;; amdgpu-corpus repo=pytorch/pytorch kind=compiled arch=gfx1250 opt=O3
	.amdgcn_target "amdgcn-amd-amdhsa--gfx1250"
	.amdhsa_code_object_version 6
	.section	.text._ZN2at6native12_GLOBAL__N_125multi_tensor_apply_kernelINS1_18TensorListMetadataILi2EEENS1_14UnaryOpFunctorIdLi2ELi1ELi1EEEJNS0_4ErfcIdEEEEEvT_T0_DpT1_,"axG",@progbits,_ZN2at6native12_GLOBAL__N_125multi_tensor_apply_kernelINS1_18TensorListMetadataILi2EEENS1_14UnaryOpFunctorIdLi2ELi1ELi1EEEJNS0_4ErfcIdEEEEEvT_T0_DpT1_,comdat
	.globl	_ZN2at6native12_GLOBAL__N_125multi_tensor_apply_kernelINS1_18TensorListMetadataILi2EEENS1_14UnaryOpFunctorIdLi2ELi1ELi1EEEJNS0_4ErfcIdEEEEEvT_T0_DpT1_ ; -- Begin function _ZN2at6native12_GLOBAL__N_125multi_tensor_apply_kernelINS1_18TensorListMetadataILi2EEENS1_14UnaryOpFunctorIdLi2ELi1ELi1EEEJNS0_4ErfcIdEEEEEvT_T0_DpT1_
	.p2align	8
	.type	_ZN2at6native12_GLOBAL__N_125multi_tensor_apply_kernelINS1_18TensorListMetadataILi2EEENS1_14UnaryOpFunctorIdLi2ELi1ELi1EEEJNS0_4ErfcIdEEEEEvT_T0_DpT1_,@function
_ZN2at6native12_GLOBAL__N_125multi_tensor_apply_kernelINS1_18TensorListMetadataILi2EEENS1_14UnaryOpFunctorIdLi2ELi1ELi1EEEJNS0_4ErfcIdEEEEEvT_T0_DpT1_: ; @_ZN2at6native12_GLOBAL__N_125multi_tensor_apply_kernelINS1_18TensorListMetadataILi2EEENS1_14UnaryOpFunctorIdLi2ELi1ELi1EEEJNS0_4ErfcIdEEEEEvT_T0_DpT1_
; %bb.0:
	s_bfe_u32 s2, ttmp6, 0x4000c
	s_and_b32 s3, ttmp6, 15
	s_add_co_i32 s2, s2, 1
	s_getreg_b32 s4, hwreg(HW_REG_IB_STS2, 6, 4)
	s_mul_i32 s2, ttmp9, s2
	s_delay_alu instid0(SALU_CYCLE_1)
	s_add_co_i32 s3, s3, s2
	s_cmp_eq_u32 s4, 0
	s_cselect_b32 s2, ttmp9, s3
	s_mov_b32 s3, 0
	s_load_u8 s11, s[0:1], s2 offset:0x600
	s_add_nc_u64 s[4:5], s[0:1], s[2:3]
	s_mul_u64 s[6:7], s[2:3], 3
	s_mov_b32 s15, s3
	s_add_nc_u64 s[4:5], s[4:5], s[6:7]
	s_load_b32 s10, s[4:5], 0x740
	s_wait_kmcnt 0x0
	s_clause 0x2
	s_load_b64 s[6:7], s[0:1], s11 offset:0x0 scale_offset
	s_load_b64 s[8:9], s[0:1], s11 offset:0x200 scale_offset
	;; [unrolled: 1-line block ×3, first 2 shown]
	s_wait_xcnt 0x0
	s_ashr_i32 s11, s10, 31
	s_delay_alu instid0(SALU_CYCLE_1)
	s_lshl_b64 s[4:5], s[10:11], 19
	s_wait_kmcnt 0x0
	s_and_b64 s[18:19], s[8:9], 31
	s_add_nc_u64 s[16:17], s[6:7], s[4:5]
	s_and_b32 s14, s12, 3
	s_and_b32 s2, s16, 31
	s_or_b64 s[14:15], s[18:19], s[14:15]
	s_lshl_b64 s[10:11], s[10:11], 16
	s_or_b64 s[2:3], s[14:15], s[2:3]
	s_sub_nc_u64 s[10:11], s[12:13], s[10:11]
	s_cmp_eq_u64 s[2:3], 0
	s_mov_b32 s2, -1
	s_cbranch_scc0 .LBB0_5
; %bb.1:
	v_min_i64 v[10:11], 0x10000, s[10:11]
	v_dual_mov_b32 v3, 0 :: v_dual_lshlrev_b32 v2, 2, v0
	s_mov_b32 s3, exec_lo
	s_delay_alu instid0(VALU_DEP_1)
	v_cmpx_lt_i64_e64 v[2:3], v[10:11]
	s_cbranch_execz .LBB0_4
; %bb.2:
	s_load_b32 s2, s[0:1], 0xc5c
	v_dual_mov_b32 v1, v3 :: v_dual_lshlrev_b32 v2, 5, v0
	v_mov_b64_e32 v[12:13], 0x3e928af3fca7ab0c
	v_mov_b64_e32 v[14:15], 0xbe41166337cfa789
	s_mov_b32 s13, 0
	s_delay_alu instid0(VALU_DEP_3)
	v_mov_b64_e32 v[18:19], v[0:1]
	v_add_nc_u64_e32 v[16:17], s[4:5], v[2:3]
	s_mov_b64 s[14:15], 0x403b39dc41e48bfc
	s_mov_b32 s17, s13
	s_mov_b32 s18, s13
                                        ; implicit-def: $vgpr2_vgpr3
                                        ; implicit-def: $vgpr2_vgpr3
	;; [unrolled: 1-line block ×28, first 2 shown]
	s_wait_kmcnt 0x0
	s_and_b32 s12, s2, 0xffff
	s_delay_alu instid0(SALU_CYCLE_1)
	s_lshl_b32 s16, s12, 5
.LBB0_3:                                ; =>This Inner Loop Header: Depth=1
	s_delay_alu instid0(VALU_DEP_2)
	v_add_nc_u64_e32 v[20:21], s[6:7], v[16:17]
	v_add_nc_u64_e32 v[18:19], s[12:13], v[18:19]
	s_clause 0x1
	global_load_b128 v[2:5], v[20:21], off offset:16
	global_load_b128 v[6:9], v[20:21], off
	s_wait_loadcnt 0x0
	s_wait_xcnt 0x0
	v_mul_f64_e64 v[20:21], v[6:7], -v[6:7]
	s_delay_alu instid0(VALU_DEP_1) | instskip(SKIP_2) | instid1(VALU_DEP_3)
	v_mul_f64_e32 v[24:25], 0x3ff71547652b82fe, v[20:21]
	v_cmp_nlt_f64_e32 vcc_lo, 0x40900000, v[20:21]
	v_cmp_ngt_f64_e64 s2, 0xc090cc00, v[20:21]
	v_rndne_f64_e32 v[24:25], v[24:25]
	s_delay_alu instid0(VALU_DEP_1) | instskip(SKIP_1) | instid1(VALU_DEP_2)
	v_fmamk_f64 v[26:27], v[24:25], 0xbfe62e42fefa39ef, v[20:21]
	v_cvt_i32_f64_e32 v1, v[24:25]
	v_fmac_f64_e32 v[26:27], 0xbc7abc9e3b39803f, v[24:25]
	s_delay_alu instid0(VALU_DEP_1) | instskip(NEXT) | instid1(VALU_DEP_1)
	v_fmamk_f64 v[28:29], v[26:27], 0x3e5ade156a5dcb37, v[12:13]
	v_fmaak_f64 v[28:29], v[26:27], v[28:29], 0x3ec71dee623fde64
	s_delay_alu instid0(VALU_DEP_1) | instskip(NEXT) | instid1(VALU_DEP_1)
	v_fmaak_f64 v[28:29], v[26:27], v[28:29], 0x3efa01997c89e6b0
	v_fmaak_f64 v[28:29], v[26:27], v[28:29], 0x3f2a01a014761f6e
	s_delay_alu instid0(VALU_DEP_1) | instskip(NEXT) | instid1(VALU_DEP_1)
	v_fmaak_f64 v[28:29], v[26:27], v[28:29], 0x3f56c16c1852b7b0
	;; [unrolled: 3-line block ×4, first 2 shown]
	v_fma_f64 v[28:29], v[26:27], v[28:29], 1.0
	s_delay_alu instid0(VALU_DEP_1) | instskip(NEXT) | instid1(VALU_DEP_1)
	v_fma_f64 v[26:27], v[26:27], v[28:29], 1.0
	v_ldexp_f64 v[24:25], v[26:27], v1
	s_delay_alu instid0(VALU_DEP_1)
	v_cndmask_b32_e32 v1, 0x7ff00000, v25, vcc_lo
	s_and_b32 vcc_lo, s2, vcc_lo
	s_delay_alu instid0(VALU_DEP_2) | instid1(SALU_CYCLE_1)
	v_dual_fma_f64 v[22:23], -v[6:7], v[6:7], -v[20:21] :: v_dual_cndmask_b32 v20, 0, v24, vcc_lo
	v_add_f64_e64 v[24:25], |v[6:7]|, 4.0
	v_cmp_ngt_f64_e64 vcc_lo, |v[6:7]|, s[14:15]
	s_delay_alu instid0(VALU_DEP_2) | instskip(SKIP_1) | instid1(TRANS32_DEP_1)
	v_rcp_f64_e32 v[26:27], v[24:25]
	v_nop
	v_fma_f64 v[28:29], -v[24:25], v[26:27], 1.0
	s_delay_alu instid0(VALU_DEP_1) | instskip(NEXT) | instid1(VALU_DEP_1)
	v_fmac_f64_e32 v[26:27], v[28:29], v[26:27]
	v_fma_f64 v[24:25], -v[24:25], v[26:27], 1.0
	s_delay_alu instid0(VALU_DEP_1) | instskip(SKIP_1) | instid1(VALU_DEP_1)
	v_fmac_f64_e32 v[26:27], v[24:25], v[26:27]
	v_cndmask_b32_e64 v21, 0, v1, s2
	v_fmac_f64_e32 v[20:21], v[20:21], v[22:23]
	v_add_f64_e64 v[22:23], |v[6:7]|, -4.0
	s_delay_alu instid0(VALU_DEP_1) | instskip(NEXT) | instid1(VALU_DEP_1)
	v_mul_f64_e32 v[22:23], v[22:23], v[26:27]
	v_add_f64_e32 v[24:25], 1.0, v[22:23]
	s_delay_alu instid0(VALU_DEP_1) | instskip(NEXT) | instid1(VALU_DEP_1)
	v_fma_f64 v[24:25], v[24:25], -4.0, |v[6:7]|
	v_fma_f64 v[24:25], -v[22:23], |v[6:7]|, v[24:25]
	s_delay_alu instid0(VALU_DEP_1) | instskip(NEXT) | instid1(VALU_DEP_1)
	v_fmac_f64_e32 v[22:23], v[26:27], v[24:25]
	v_fmamk_f64 v[24:25], v[22:23], 0xbe41f39d54df3c0e, v[14:15]
	s_delay_alu instid0(VALU_DEP_1) | instskip(NEXT) | instid1(VALU_DEP_1)
	v_fmaak_f64 v[24:25], v[22:23], v[24:25], 0x3e7b45f1d9802b82
	v_fmaak_f64 v[24:25], v[22:23], v[24:25], 0x3e6d90488a03dcdb
	s_delay_alu instid0(VALU_DEP_1) | instskip(NEXT) | instid1(VALU_DEP_1)
	v_fmaak_f64 v[24:25], v[22:23], v[24:25], 0xbeab87b02eba62d8
	v_fmaak_f64 v[24:25], v[22:23], v[24:25], 0x3e95104ba56e15f1
	;; [unrolled: 3-line block ×10, first 2 shown]
	v_add_f64_e64 v[24:25], |v[6:7]|, |v[6:7]|
	s_delay_alu instid0(VALU_DEP_1) | instskip(NEXT) | instid1(VALU_DEP_1)
	v_add_f64_e32 v[26:27], 1.0, v[24:25]
	v_rcp_f64_e32 v[28:29], v[26:27]
	v_nop
	s_delay_alu instid0(TRANS32_DEP_1) | instskip(NEXT) | instid1(VALU_DEP_1)
	v_fma_f64 v[30:31], -v[26:27], v[28:29], 1.0
	v_fmac_f64_e32 v[28:29], v[30:31], v[28:29]
	s_delay_alu instid0(VALU_DEP_1) | instskip(NEXT) | instid1(VALU_DEP_1)
	v_fma_f64 v[26:27], -v[26:27], v[28:29], 1.0
	v_fmac_f64_e32 v[28:29], v[26:27], v[28:29]
	s_delay_alu instid0(VALU_DEP_1) | instskip(NEXT) | instid1(VALU_DEP_1)
	v_fma_f64 v[26:27], v[22:23], v[28:29], v[28:29]
	v_fma_f64 v[24:25], -v[26:27], v[24:25], 1.0
	v_add_f64_e64 v[22:23], v[22:23], -v[26:27]
	s_delay_alu instid0(VALU_DEP_1) | instskip(NEXT) | instid1(VALU_DEP_1)
	v_add_f64_e32 v[22:23], v[24:25], v[22:23]
	v_fmac_f64_e32 v[26:27], v[28:29], v[22:23]
	s_delay_alu instid0(VALU_DEP_1) | instskip(NEXT) | instid1(VALU_DEP_1)
	v_mul_f64_e32 v[20:21], v[20:21], v[26:27]
	v_dual_cndmask_b32 v21, 0, v21 :: v_dual_cndmask_b32 v20, 0, v20
	v_cmp_gt_f64_e32 vcc_lo, 0, v[6:7]
	s_delay_alu instid0(VALU_DEP_2) | instskip(NEXT) | instid1(VALU_DEP_1)
	v_add_f64_e64 v[22:23], -v[20:21], 2.0
	v_dual_cndmask_b32 v7, v21, v23 :: v_dual_cndmask_b32 v6, v20, v22
	v_mul_f64_e64 v[20:21], v[8:9], -v[8:9]
	s_delay_alu instid0(VALU_DEP_1) | instskip(SKIP_3) | instid1(VALU_DEP_4)
	v_mul_f64_e32 v[24:25], 0x3ff71547652b82fe, v[20:21]
	v_cmp_nlt_f64_e32 vcc_lo, 0x40900000, v[20:21]
	v_cmp_ngt_f64_e64 s2, 0xc090cc00, v[20:21]
	v_fma_f64 v[22:23], -v[8:9], v[8:9], -v[20:21]
	v_rndne_f64_e32 v[24:25], v[24:25]
	s_delay_alu instid0(VALU_DEP_1) | instskip(SKIP_1) | instid1(VALU_DEP_2)
	v_fmamk_f64 v[26:27], v[24:25], 0xbfe62e42fefa39ef, v[20:21]
	v_cvt_i32_f64_e32 v1, v[24:25]
	v_fmac_f64_e32 v[26:27], 0xbc7abc9e3b39803f, v[24:25]
	s_delay_alu instid0(VALU_DEP_1) | instskip(NEXT) | instid1(VALU_DEP_1)
	v_fmamk_f64 v[28:29], v[26:27], 0x3e5ade156a5dcb37, v[12:13]
	v_fmaak_f64 v[28:29], v[26:27], v[28:29], 0x3ec71dee623fde64
	s_delay_alu instid0(VALU_DEP_1) | instskip(NEXT) | instid1(VALU_DEP_1)
	v_fmaak_f64 v[28:29], v[26:27], v[28:29], 0x3efa01997c89e6b0
	v_fmaak_f64 v[28:29], v[26:27], v[28:29], 0x3f2a01a014761f6e
	s_delay_alu instid0(VALU_DEP_1) | instskip(NEXT) | instid1(VALU_DEP_1)
	v_fmaak_f64 v[28:29], v[26:27], v[28:29], 0x3f56c16c1852b7b0
	;; [unrolled: 3-line block ×4, first 2 shown]
	v_fma_f64 v[28:29], v[26:27], v[28:29], 1.0
	s_delay_alu instid0(VALU_DEP_1) | instskip(NEXT) | instid1(VALU_DEP_1)
	v_fma_f64 v[26:27], v[26:27], v[28:29], 1.0
	v_ldexp_f64 v[24:25], v[26:27], v1
	s_delay_alu instid0(VALU_DEP_1) | instskip(SKIP_1) | instid1(VALU_DEP_2)
	v_cndmask_b32_e32 v1, 0x7ff00000, v25, vcc_lo
	s_and_b32 vcc_lo, s2, vcc_lo
	v_cndmask_b32_e32 v20, 0, v24, vcc_lo
	v_add_f64_e64 v[24:25], |v[8:9]|, 4.0
	v_cmp_ngt_f64_e64 vcc_lo, |v[8:9]|, s[14:15]
	s_delay_alu instid0(VALU_DEP_2) | instskip(SKIP_1) | instid1(TRANS32_DEP_1)
	v_rcp_f64_e32 v[26:27], v[24:25]
	v_nop
	v_fma_f64 v[28:29], -v[24:25], v[26:27], 1.0
	s_delay_alu instid0(VALU_DEP_1) | instskip(NEXT) | instid1(VALU_DEP_1)
	v_fmac_f64_e32 v[26:27], v[28:29], v[26:27]
	v_fma_f64 v[24:25], -v[24:25], v[26:27], 1.0
	s_delay_alu instid0(VALU_DEP_1) | instskip(SKIP_1) | instid1(VALU_DEP_1)
	v_fmac_f64_e32 v[26:27], v[24:25], v[26:27]
	v_cndmask_b32_e64 v21, 0, v1, s2
	v_fmac_f64_e32 v[20:21], v[20:21], v[22:23]
	v_add_f64_e64 v[22:23], |v[8:9]|, -4.0
	s_delay_alu instid0(VALU_DEP_1) | instskip(NEXT) | instid1(VALU_DEP_1)
	v_mul_f64_e32 v[22:23], v[22:23], v[26:27]
	v_add_f64_e32 v[24:25], 1.0, v[22:23]
	s_delay_alu instid0(VALU_DEP_1) | instskip(NEXT) | instid1(VALU_DEP_1)
	v_fma_f64 v[24:25], v[24:25], -4.0, |v[8:9]|
	v_fma_f64 v[24:25], -v[22:23], |v[8:9]|, v[24:25]
	s_delay_alu instid0(VALU_DEP_1) | instskip(NEXT) | instid1(VALU_DEP_1)
	v_fmac_f64_e32 v[22:23], v[26:27], v[24:25]
	v_fmamk_f64 v[24:25], v[22:23], 0xbe41f39d54df3c0e, v[14:15]
	s_delay_alu instid0(VALU_DEP_1) | instskip(NEXT) | instid1(VALU_DEP_1)
	v_fmaak_f64 v[24:25], v[22:23], v[24:25], 0x3e7b45f1d9802b82
	v_fmaak_f64 v[24:25], v[22:23], v[24:25], 0x3e6d90488a03dcdb
	s_delay_alu instid0(VALU_DEP_1) | instskip(NEXT) | instid1(VALU_DEP_1)
	v_fmaak_f64 v[24:25], v[22:23], v[24:25], 0xbeab87b02eba62d8
	v_fmaak_f64 v[24:25], v[22:23], v[24:25], 0x3e95104ba56e15f1
	;; [unrolled: 3-line block ×10, first 2 shown]
	v_add_f64_e64 v[24:25], |v[8:9]|, |v[8:9]|
	s_delay_alu instid0(VALU_DEP_1) | instskip(NEXT) | instid1(VALU_DEP_1)
	v_add_f64_e32 v[26:27], 1.0, v[24:25]
	v_rcp_f64_e32 v[28:29], v[26:27]
	v_nop
	s_delay_alu instid0(TRANS32_DEP_1) | instskip(NEXT) | instid1(VALU_DEP_1)
	v_fma_f64 v[30:31], -v[26:27], v[28:29], 1.0
	v_fmac_f64_e32 v[28:29], v[30:31], v[28:29]
	s_delay_alu instid0(VALU_DEP_1) | instskip(NEXT) | instid1(VALU_DEP_1)
	v_fma_f64 v[26:27], -v[26:27], v[28:29], 1.0
	v_fmac_f64_e32 v[28:29], v[26:27], v[28:29]
	s_delay_alu instid0(VALU_DEP_1) | instskip(NEXT) | instid1(VALU_DEP_1)
	v_fma_f64 v[26:27], v[22:23], v[28:29], v[28:29]
	v_fma_f64 v[24:25], -v[26:27], v[24:25], 1.0
	v_add_f64_e64 v[22:23], v[22:23], -v[26:27]
	s_delay_alu instid0(VALU_DEP_1) | instskip(NEXT) | instid1(VALU_DEP_1)
	v_add_f64_e32 v[22:23], v[24:25], v[22:23]
	v_fmac_f64_e32 v[26:27], v[28:29], v[22:23]
	s_delay_alu instid0(VALU_DEP_1) | instskip(NEXT) | instid1(VALU_DEP_1)
	v_mul_f64_e32 v[20:21], v[20:21], v[26:27]
	v_dual_cndmask_b32 v21, 0, v21 :: v_dual_cndmask_b32 v20, 0, v20
	v_cmp_gt_f64_e32 vcc_lo, 0, v[8:9]
	s_delay_alu instid0(VALU_DEP_2) | instskip(NEXT) | instid1(VALU_DEP_1)
	v_add_f64_e64 v[22:23], -v[20:21], 2.0
	v_dual_cndmask_b32 v9, v21, v23 :: v_dual_cndmask_b32 v8, v20, v22
	v_mul_f64_e64 v[20:21], v[2:3], -v[2:3]
	s_delay_alu instid0(VALU_DEP_1) | instskip(SKIP_2) | instid1(VALU_DEP_3)
	v_mul_f64_e32 v[24:25], 0x3ff71547652b82fe, v[20:21]
	v_cmp_nlt_f64_e32 vcc_lo, 0x40900000, v[20:21]
	v_cmp_ngt_f64_e64 s2, 0xc090cc00, v[20:21]
	v_rndne_f64_e32 v[24:25], v[24:25]
	s_delay_alu instid0(VALU_DEP_1) | instskip(SKIP_1) | instid1(VALU_DEP_2)
	v_fmamk_f64 v[26:27], v[24:25], 0xbfe62e42fefa39ef, v[20:21]
	v_cvt_i32_f64_e32 v1, v[24:25]
	v_fmac_f64_e32 v[26:27], 0xbc7abc9e3b39803f, v[24:25]
	s_delay_alu instid0(VALU_DEP_1) | instskip(NEXT) | instid1(VALU_DEP_1)
	v_fmamk_f64 v[28:29], v[26:27], 0x3e5ade156a5dcb37, v[12:13]
	v_fmaak_f64 v[28:29], v[26:27], v[28:29], 0x3ec71dee623fde64
	s_delay_alu instid0(VALU_DEP_1) | instskip(NEXT) | instid1(VALU_DEP_1)
	v_fmaak_f64 v[28:29], v[26:27], v[28:29], 0x3efa01997c89e6b0
	v_fmaak_f64 v[28:29], v[26:27], v[28:29], 0x3f2a01a014761f6e
	s_delay_alu instid0(VALU_DEP_1) | instskip(NEXT) | instid1(VALU_DEP_1)
	v_fmaak_f64 v[28:29], v[26:27], v[28:29], 0x3f56c16c1852b7b0
	;; [unrolled: 3-line block ×4, first 2 shown]
	v_fma_f64 v[28:29], v[26:27], v[28:29], 1.0
	s_delay_alu instid0(VALU_DEP_1) | instskip(NEXT) | instid1(VALU_DEP_1)
	v_fma_f64 v[26:27], v[26:27], v[28:29], 1.0
	v_ldexp_f64 v[24:25], v[26:27], v1
	s_delay_alu instid0(VALU_DEP_1)
	v_cndmask_b32_e32 v1, 0x7ff00000, v25, vcc_lo
	s_and_b32 vcc_lo, s2, vcc_lo
	s_delay_alu instid0(VALU_DEP_2) | instid1(SALU_CYCLE_1)
	v_dual_fma_f64 v[22:23], -v[2:3], v[2:3], -v[20:21] :: v_dual_cndmask_b32 v20, 0, v24, vcc_lo
	v_add_f64_e64 v[24:25], |v[2:3]|, 4.0
	s_delay_alu instid0(VALU_DEP_3) | instskip(SKIP_1) | instid1(VALU_DEP_2)
	v_cndmask_b32_e64 v21, 0, v1, s2
	v_cmp_ngt_f64_e64 vcc_lo, |v[2:3]|, s[14:15]
	v_fmac_f64_e32 v[20:21], v[20:21], v[22:23]
	v_add_f64_e64 v[22:23], |v[2:3]|, -4.0
	v_rcp_f64_e32 v[26:27], v[24:25]
	v_nop
	s_delay_alu instid0(TRANS32_DEP_1) | instskip(NEXT) | instid1(VALU_DEP_1)
	v_fma_f64 v[28:29], -v[24:25], v[26:27], 1.0
	v_fmac_f64_e32 v[26:27], v[28:29], v[26:27]
	s_delay_alu instid0(VALU_DEP_1) | instskip(NEXT) | instid1(VALU_DEP_1)
	v_fma_f64 v[24:25], -v[24:25], v[26:27], 1.0
	v_fmac_f64_e32 v[26:27], v[24:25], v[26:27]
	s_delay_alu instid0(VALU_DEP_1) | instskip(NEXT) | instid1(VALU_DEP_1)
	v_mul_f64_e32 v[22:23], v[22:23], v[26:27]
	v_add_f64_e32 v[24:25], 1.0, v[22:23]
	s_delay_alu instid0(VALU_DEP_1) | instskip(NEXT) | instid1(VALU_DEP_1)
	v_fma_f64 v[24:25], v[24:25], -4.0, |v[2:3]|
	v_fma_f64 v[24:25], -v[22:23], |v[2:3]|, v[24:25]
	s_delay_alu instid0(VALU_DEP_1) | instskip(NEXT) | instid1(VALU_DEP_1)
	v_fmac_f64_e32 v[22:23], v[26:27], v[24:25]
	v_fmamk_f64 v[24:25], v[22:23], 0xbe41f39d54df3c0e, v[14:15]
	s_delay_alu instid0(VALU_DEP_1) | instskip(NEXT) | instid1(VALU_DEP_1)
	v_fmaak_f64 v[24:25], v[22:23], v[24:25], 0x3e7b45f1d9802b82
	v_fmaak_f64 v[24:25], v[22:23], v[24:25], 0x3e6d90488a03dcdb
	s_delay_alu instid0(VALU_DEP_1) | instskip(NEXT) | instid1(VALU_DEP_1)
	v_fmaak_f64 v[24:25], v[22:23], v[24:25], 0xbeab87b02eba62d8
	v_fmaak_f64 v[24:25], v[22:23], v[24:25], 0x3e95104ba56e15f1
	s_delay_alu instid0(VALU_DEP_1) | instskip(NEXT) | instid1(VALU_DEP_1)
	v_fmaak_f64 v[24:25], v[22:23], v[24:25], 0x3ed7f29f71c907de
	v_fmaak_f64 v[24:25], v[22:23], v[24:25], 0xbee78f5c2cd770fb
	s_delay_alu instid0(VALU_DEP_1) | instskip(NEXT) | instid1(VALU_DEP_1)
	v_fmaak_f64 v[24:25], v[22:23], v[24:25], 0xbef995fb76d0a51a
	v_fmaak_f64 v[24:25], v[22:23], v[24:25], 0x3f23be2ec022d0ed
	s_delay_alu instid0(VALU_DEP_1) | instskip(NEXT) | instid1(VALU_DEP_1)
	v_fmaak_f64 v[24:25], v[22:23], v[24:25], 0xbf2a1deb2fdbf62e
	v_fmaak_f64 v[24:25], v[22:23], v[24:25], 0xbf48d4ac3689fc43
	s_delay_alu instid0(VALU_DEP_1) | instskip(NEXT) | instid1(VALU_DEP_1)
	v_fmaak_f64 v[24:25], v[22:23], v[24:25], 0x3f749c67192d909b
	v_fmaak_f64 v[24:25], v[22:23], v[24:25], 0xbf909623852ff070
	s_delay_alu instid0(VALU_DEP_1) | instskip(NEXT) | instid1(VALU_DEP_1)
	v_fmaak_f64 v[24:25], v[22:23], v[24:25], 0x3fa3079edfadea8f
	v_fmaak_f64 v[24:25], v[22:23], v[24:25], 0xbfb0fb06dff65910
	s_delay_alu instid0(VALU_DEP_1) | instskip(NEXT) | instid1(VALU_DEP_1)
	v_fmaak_f64 v[24:25], v[22:23], v[24:25], 0x3fb7fee004de8f32
	v_fmaak_f64 v[24:25], v[22:23], v[24:25], 0xbfb9ddb23c3dbeb3
	s_delay_alu instid0(VALU_DEP_1) | instskip(NEXT) | instid1(VALU_DEP_1)
	v_fmaak_f64 v[24:25], v[22:23], v[24:25], 0x3fb16ecefcfa6930
	v_fmaak_f64 v[24:25], v[22:23], v[24:25], 0x3f8f7f5df66fb8a3
	s_delay_alu instid0(VALU_DEP_1) | instskip(NEXT) | instid1(VALU_DEP_1)
	v_fmaak_f64 v[24:25], v[22:23], v[24:25], 0xbfc1df1ad154a2a8
	v_fmaak_f64 v[22:23], v[22:23], v[24:25], 0x3fcdd2c8b74febf8
	v_add_f64_e64 v[24:25], |v[2:3]|, |v[2:3]|
	s_delay_alu instid0(VALU_DEP_1) | instskip(NEXT) | instid1(VALU_DEP_1)
	v_add_f64_e32 v[26:27], 1.0, v[24:25]
	v_rcp_f64_e32 v[28:29], v[26:27]
	v_nop
	s_delay_alu instid0(TRANS32_DEP_1) | instskip(NEXT) | instid1(VALU_DEP_1)
	v_fma_f64 v[30:31], -v[26:27], v[28:29], 1.0
	v_fmac_f64_e32 v[28:29], v[30:31], v[28:29]
	s_delay_alu instid0(VALU_DEP_1) | instskip(NEXT) | instid1(VALU_DEP_1)
	v_fma_f64 v[26:27], -v[26:27], v[28:29], 1.0
	v_fmac_f64_e32 v[28:29], v[26:27], v[28:29]
	s_delay_alu instid0(VALU_DEP_1) | instskip(NEXT) | instid1(VALU_DEP_1)
	v_fma_f64 v[26:27], v[22:23], v[28:29], v[28:29]
	v_fma_f64 v[24:25], -v[26:27], v[24:25], 1.0
	v_add_f64_e64 v[22:23], v[22:23], -v[26:27]
	s_delay_alu instid0(VALU_DEP_1) | instskip(NEXT) | instid1(VALU_DEP_1)
	v_add_f64_e32 v[22:23], v[24:25], v[22:23]
	v_fmac_f64_e32 v[26:27], v[28:29], v[22:23]
	s_delay_alu instid0(VALU_DEP_1) | instskip(NEXT) | instid1(VALU_DEP_1)
	v_mul_f64_e32 v[20:21], v[20:21], v[26:27]
	v_dual_cndmask_b32 v21, 0, v21 :: v_dual_cndmask_b32 v20, 0, v20
	v_cmp_gt_f64_e32 vcc_lo, 0, v[2:3]
	s_delay_alu instid0(VALU_DEP_2) | instskip(NEXT) | instid1(VALU_DEP_1)
	v_add_f64_e64 v[22:23], -v[20:21], 2.0
	v_dual_cndmask_b32 v3, v21, v23 :: v_dual_cndmask_b32 v2, v20, v22
	v_mul_f64_e64 v[20:21], v[4:5], -v[4:5]
	s_delay_alu instid0(VALU_DEP_1) | instskip(SKIP_3) | instid1(VALU_DEP_4)
	v_mul_f64_e32 v[24:25], 0x3ff71547652b82fe, v[20:21]
	v_cmp_nlt_f64_e32 vcc_lo, 0x40900000, v[20:21]
	v_cmp_ngt_f64_e64 s2, 0xc090cc00, v[20:21]
	v_fma_f64 v[22:23], -v[4:5], v[4:5], -v[20:21]
	v_rndne_f64_e32 v[24:25], v[24:25]
	s_delay_alu instid0(VALU_DEP_1) | instskip(SKIP_1) | instid1(VALU_DEP_2)
	v_fmamk_f64 v[26:27], v[24:25], 0xbfe62e42fefa39ef, v[20:21]
	v_cvt_i32_f64_e32 v1, v[24:25]
	v_fmac_f64_e32 v[26:27], 0xbc7abc9e3b39803f, v[24:25]
	s_delay_alu instid0(VALU_DEP_1) | instskip(NEXT) | instid1(VALU_DEP_1)
	v_fmamk_f64 v[28:29], v[26:27], 0x3e5ade156a5dcb37, v[12:13]
	v_fmaak_f64 v[28:29], v[26:27], v[28:29], 0x3ec71dee623fde64
	s_delay_alu instid0(VALU_DEP_1) | instskip(NEXT) | instid1(VALU_DEP_1)
	v_fmaak_f64 v[28:29], v[26:27], v[28:29], 0x3efa01997c89e6b0
	v_fmaak_f64 v[28:29], v[26:27], v[28:29], 0x3f2a01a014761f6e
	s_delay_alu instid0(VALU_DEP_1) | instskip(NEXT) | instid1(VALU_DEP_1)
	v_fmaak_f64 v[28:29], v[26:27], v[28:29], 0x3f56c16c1852b7b0
	;; [unrolled: 3-line block ×4, first 2 shown]
	v_fma_f64 v[28:29], v[26:27], v[28:29], 1.0
	s_delay_alu instid0(VALU_DEP_1) | instskip(NEXT) | instid1(VALU_DEP_1)
	v_fma_f64 v[26:27], v[26:27], v[28:29], 1.0
	v_ldexp_f64 v[24:25], v[26:27], v1
	s_delay_alu instid0(VALU_DEP_1) | instskip(SKIP_1) | instid1(VALU_DEP_2)
	v_cndmask_b32_e32 v1, 0x7ff00000, v25, vcc_lo
	s_and_b32 vcc_lo, s2, vcc_lo
	v_cndmask_b32_e32 v20, 0, v24, vcc_lo
	v_add_f64_e64 v[24:25], |v[4:5]|, 4.0
	s_delay_alu instid0(VALU_DEP_3) | instskip(SKIP_1) | instid1(VALU_DEP_2)
	v_cndmask_b32_e64 v21, 0, v1, s2
	v_cmp_ngt_f64_e64 vcc_lo, |v[4:5]|, s[14:15]
	v_fmac_f64_e32 v[20:21], v[20:21], v[22:23]
	v_add_f64_e64 v[22:23], |v[4:5]|, -4.0
	v_rcp_f64_e32 v[26:27], v[24:25]
	v_nop
	s_delay_alu instid0(TRANS32_DEP_1) | instskip(NEXT) | instid1(VALU_DEP_1)
	v_fma_f64 v[28:29], -v[24:25], v[26:27], 1.0
	v_fmac_f64_e32 v[26:27], v[28:29], v[26:27]
	s_delay_alu instid0(VALU_DEP_1) | instskip(NEXT) | instid1(VALU_DEP_1)
	v_fma_f64 v[24:25], -v[24:25], v[26:27], 1.0
	v_fmac_f64_e32 v[26:27], v[24:25], v[26:27]
	s_delay_alu instid0(VALU_DEP_1) | instskip(NEXT) | instid1(VALU_DEP_1)
	v_mul_f64_e32 v[22:23], v[22:23], v[26:27]
	v_add_f64_e32 v[24:25], 1.0, v[22:23]
	s_delay_alu instid0(VALU_DEP_1) | instskip(NEXT) | instid1(VALU_DEP_1)
	v_fma_f64 v[24:25], v[24:25], -4.0, |v[4:5]|
	v_fma_f64 v[24:25], -v[22:23], |v[4:5]|, v[24:25]
	s_delay_alu instid0(VALU_DEP_1) | instskip(NEXT) | instid1(VALU_DEP_1)
	v_fmac_f64_e32 v[22:23], v[26:27], v[24:25]
	v_fmamk_f64 v[24:25], v[22:23], 0xbe41f39d54df3c0e, v[14:15]
	s_delay_alu instid0(VALU_DEP_1) | instskip(NEXT) | instid1(VALU_DEP_1)
	v_fmaak_f64 v[24:25], v[22:23], v[24:25], 0x3e7b45f1d9802b82
	v_fmaak_f64 v[24:25], v[22:23], v[24:25], 0x3e6d90488a03dcdb
	s_delay_alu instid0(VALU_DEP_1) | instskip(NEXT) | instid1(VALU_DEP_1)
	v_fmaak_f64 v[24:25], v[22:23], v[24:25], 0xbeab87b02eba62d8
	v_fmaak_f64 v[24:25], v[22:23], v[24:25], 0x3e95104ba56e15f1
	;; [unrolled: 3-line block ×10, first 2 shown]
	v_add_f64_e64 v[24:25], |v[4:5]|, |v[4:5]|
	s_delay_alu instid0(VALU_DEP_1) | instskip(NEXT) | instid1(VALU_DEP_1)
	v_add_f64_e32 v[26:27], 1.0, v[24:25]
	v_rcp_f64_e32 v[28:29], v[26:27]
	v_nop
	s_delay_alu instid0(TRANS32_DEP_1) | instskip(NEXT) | instid1(VALU_DEP_1)
	v_fma_f64 v[30:31], -v[26:27], v[28:29], 1.0
	v_fmac_f64_e32 v[28:29], v[30:31], v[28:29]
	s_delay_alu instid0(VALU_DEP_1) | instskip(NEXT) | instid1(VALU_DEP_1)
	v_fma_f64 v[26:27], -v[26:27], v[28:29], 1.0
	v_fmac_f64_e32 v[28:29], v[26:27], v[28:29]
	s_delay_alu instid0(VALU_DEP_1) | instskip(NEXT) | instid1(VALU_DEP_1)
	v_fma_f64 v[26:27], v[22:23], v[28:29], v[28:29]
	v_fma_f64 v[24:25], -v[26:27], v[24:25], 1.0
	v_add_f64_e64 v[22:23], v[22:23], -v[26:27]
	s_delay_alu instid0(VALU_DEP_1) | instskip(NEXT) | instid1(VALU_DEP_1)
	v_add_f64_e32 v[22:23], v[24:25], v[22:23]
	v_fmac_f64_e32 v[26:27], v[28:29], v[22:23]
	s_delay_alu instid0(VALU_DEP_1) | instskip(NEXT) | instid1(VALU_DEP_1)
	v_mul_f64_e32 v[20:21], v[20:21], v[26:27]
	v_dual_cndmask_b32 v21, 0, v21 :: v_dual_cndmask_b32 v20, 0, v20
	v_cmp_gt_f64_e32 vcc_lo, 0, v[4:5]
	s_delay_alu instid0(VALU_DEP_2) | instskip(NEXT) | instid1(VALU_DEP_1)
	v_add_f64_e64 v[22:23], -v[20:21], 2.0
	v_dual_cndmask_b32 v5, v21, v23 :: v_dual_cndmask_b32 v4, v20, v22
	v_add_nc_u64_e32 v[20:21], s[8:9], v[16:17]
	s_clause 0x1
	global_store_b128 v[20:21], v[6:9], off
	global_store_b128 v[20:21], v[2:5], off offset:16
	s_wait_xcnt 0x0
	v_lshlrev_b64_e32 v[2:3], 2, v[18:19]
	v_add_nc_u64_e32 v[16:17], s[16:17], v[16:17]
	s_delay_alu instid0(VALU_DEP_2) | instskip(SKIP_1) | instid1(SALU_CYCLE_1)
	v_cmp_ge_i64_e32 vcc_lo, v[2:3], v[10:11]
	s_or_b32 s18, vcc_lo, s18
	s_and_not1_b32 exec_lo, exec_lo, s18
	s_cbranch_execnz .LBB0_3
.LBB0_4:
	s_or_b32 exec_lo, exec_lo, s3
	s_mov_b32 s2, 0
.LBB0_5:
	s_delay_alu instid0(SALU_CYCLE_1)
	s_and_not1_b32 vcc_lo, exec_lo, s2
	s_cbranch_vccnz .LBB0_25
; %bb.6:
	v_cmp_lt_i64_e64 s2, s[10:11], 1
	s_and_b32 vcc_lo, exec_lo, s2
	s_cbranch_vccnz .LBB0_25
; %bb.7:
	s_load_b32 s0, s[0:1], 0xc5c
	v_min_i64 v[2:3], 0x10000, s[10:11]
	v_min_u64 v[4:5], 0x10000, s[10:11]
	v_dual_mov_b32 v1, 0 :: v_dual_lshlrev_b32 v14, 3, v0
	s_wait_xcnt 0x0
	s_mov_b32 s1, 0
	v_mov_b64_e32 v[6:7], 0x3e928af3fca7ab0c
	s_mov_b32 s13, s1
	v_dual_mov_b32 v15, v1 :: v_dual_mov_b32 v31, v1
	s_mov_b32 s3, s1
	s_mov_b32 s11, s1
	v_mov_b64_e32 v[8:9], 0xbe41166337cfa789
	s_delay_alu instid0(VALU_DEP_2) | instskip(SKIP_2) | instid1(SALU_CYCLE_1)
	v_add_nc_u64_e32 v[10:11], s[6:7], v[14:15]
                                        ; implicit-def: $vgpr32_vgpr33
                                        ; implicit-def: $vgpr32_vgpr33
	;; [unrolled: 1-line block ×28, first 2 shown]
	s_wait_kmcnt 0x0
	s_and_b32 s0, s0, 0xffff
	v_add_nc_u64_e32 v[12:13], s[0:1], v[0:1]
	v_mad_nc_u64_u32 v[26:27], s0, 24, v[14:15]
	s_lshl_b32 s12, s0, 4
	s_mul_i32 s10, s0, 3
	v_add_nc_u64_e32 v[22:23], s[12:13], v[14:15]
	s_lshl_b32 s2, s0, 1
	v_add_nc_u64_e32 v[14:15], s[8:9], v[14:15]
	v_lshlrev_b32_e32 v30, 3, v12
	v_add_nc_u64_e32 v[16:17], s[10:11], v[0:1]
	v_add_nc_u64_e32 v[18:19], s[2:3], v[0:1]
	s_lshl_b32 s10, s0, 5
	v_add_nc_u64_e32 v[20:21], s[6:7], v[22:23]
	v_add_nc_u64_e32 v[22:23], s[8:9], v[22:23]
	;; [unrolled: 1-line block ×6, first 2 shown]
	s_mov_b64 s[6:7], 0x403b39dc41e48bfc
	s_lshl_b32 s8, s0, 2
	s_mov_b32 s9, s1
	s_mov_b64 s[12:13], 0
	s_branch .LBB0_9
.LBB0_8:                                ;   in Loop: Header=BB0_9 Depth=1
	s_wait_xcnt 0x0
	s_or_b32 exec_lo, exec_lo, s1
	s_add_nc_u64 s[12:13], s[12:13], s[8:9]
	v_add_nc_u64_e32 v[10:11], s[10:11], v[10:11]
	v_cmp_ge_i64_e32 vcc_lo, s[12:13], v[2:3]
	v_add_nc_u64_e32 v[14:15], s[10:11], v[14:15]
	v_add_nc_u64_e32 v[24:25], s[10:11], v[24:25]
	;; [unrolled: 1-line block ×7, first 2 shown]
	s_cbranch_vccnz .LBB0_25
.LBB0_9:                                ; =>This Inner Loop Header: Depth=1
	s_wait_loadcnt 0x0
	v_add_nc_u64_e32 v[32:33], s[12:13], v[0:1]
	v_mov_b64_e32 v[36:37], 0
	v_mov_b64_e32 v[38:39], 0
	s_delay_alu instid0(VALU_DEP_3)
	v_cmp_lt_u64_e64 s2, v[32:33], v[4:5]
	s_and_saveexec_b32 s0, s2
	s_cbranch_execz .LBB0_11
; %bb.10:                               ;   in Loop: Header=BB0_9 Depth=1
	v_add_nc_u64_e32 v[32:33], s[4:5], v[10:11]
	global_load_b64 v[38:39], v[32:33], off
.LBB0_11:                               ;   in Loop: Header=BB0_9 Depth=1
	s_wait_xcnt 0x0
	s_or_b32 exec_lo, exec_lo, s0
	v_add_nc_u64_e32 v[32:33], s[12:13], v[12:13]
	s_delay_alu instid0(VALU_DEP_1)
	v_cmp_lt_u64_e64 s1, v[32:33], v[4:5]
	s_and_saveexec_b32 s0, s1
	s_cbranch_execz .LBB0_13
; %bb.12:                               ;   in Loop: Header=BB0_9 Depth=1
	v_add_nc_u64_e32 v[32:33], s[4:5], v[28:29]
	global_load_b64 v[36:37], v[32:33], off
.LBB0_13:                               ;   in Loop: Header=BB0_9 Depth=1
	s_wait_xcnt 0x0
	s_or_b32 exec_lo, exec_lo, s0
	v_add_nc_u64_e32 v[34:35], s[12:13], v[18:19]
	v_mov_b64_e32 v[32:33], 0
	s_delay_alu instid0(VALU_DEP_2)
	v_cmp_lt_u64_e64 s0, v[34:35], v[4:5]
	v_mov_b64_e32 v[34:35], 0
	s_and_saveexec_b32 s3, s0
	s_cbranch_execz .LBB0_15
; %bb.14:                               ;   in Loop: Header=BB0_9 Depth=1
	v_add_nc_u64_e32 v[34:35], s[4:5], v[20:21]
	global_load_b64 v[34:35], v[34:35], off
.LBB0_15:                               ;   in Loop: Header=BB0_9 Depth=1
	s_wait_xcnt 0x0
	s_or_b32 exec_lo, exec_lo, s3
	v_add_nc_u64_e32 v[40:41], s[12:13], v[16:17]
	s_delay_alu instid0(VALU_DEP_1)
	v_cmp_lt_u64_e32 vcc_lo, v[40:41], v[4:5]
	s_and_saveexec_b32 s3, vcc_lo
	s_cbranch_execnz .LBB0_20
; %bb.16:                               ;   in Loop: Header=BB0_9 Depth=1
	s_or_b32 exec_lo, exec_lo, s3
	s_and_saveexec_b32 s14, s2
	s_cbranch_execnz .LBB0_21
.LBB0_17:                               ;   in Loop: Header=BB0_9 Depth=1
	s_or_b32 exec_lo, exec_lo, s14
	s_and_saveexec_b32 s3, s1
	s_cbranch_execnz .LBB0_22
.LBB0_18:                               ;   in Loop: Header=BB0_9 Depth=1
	s_or_b32 exec_lo, exec_lo, s3
	s_and_saveexec_b32 s2, s0
	s_cbranch_execnz .LBB0_23
.LBB0_19:                               ;   in Loop: Header=BB0_9 Depth=1
	s_or_b32 exec_lo, exec_lo, s2
	s_and_saveexec_b32 s1, vcc_lo
	s_cbranch_execz .LBB0_8
	s_branch .LBB0_24
.LBB0_20:                               ;   in Loop: Header=BB0_9 Depth=1
	v_add_nc_u64_e32 v[32:33], s[4:5], v[24:25]
	global_load_b64 v[32:33], v[32:33], off
	s_wait_xcnt 0x0
	s_or_b32 exec_lo, exec_lo, s3
	s_and_saveexec_b32 s14, s2
	s_cbranch_execz .LBB0_17
.LBB0_21:                               ;   in Loop: Header=BB0_9 Depth=1
	s_wait_loadcnt 0x0
	v_add_f64_e64 v[40:41], |v[38:39]|, 4.0
	v_mul_f64_e64 v[46:47], v[38:39], -v[38:39]
	v_add_f64_e64 v[48:49], |v[38:39]|, |v[38:39]|
	s_delay_alu instid0(VALU_DEP_3) | instskip(NEXT) | instid1(VALU_DEP_2)
	v_rcp_f64_e32 v[42:43], v[40:41]
	v_cmp_ngt_f64_e64 s3, 0xc090cc00, v[46:47]
	v_mul_f64_e32 v[50:51], 0x3ff71547652b82fe, v[46:47]
	s_delay_alu instid0(VALU_DEP_3) | instskip(SKIP_1) | instid1(TRANS32_DEP_1)
	v_add_f64_e32 v[52:53], 1.0, v[48:49]
	v_cmp_nlt_f64_e64 s2, 0x40900000, v[46:47]
	v_fma_f64 v[44:45], -v[40:41], v[42:43], 1.0
	s_delay_alu instid0(VALU_DEP_1) | instskip(SKIP_1) | instid1(VALU_DEP_2)
	v_fmac_f64_e32 v[42:43], v[44:45], v[42:43]
	v_add_f64_e64 v[44:45], |v[38:39]|, -4.0
	v_fma_f64 v[40:41], -v[40:41], v[42:43], 1.0
	s_delay_alu instid0(VALU_DEP_1) | instskip(NEXT) | instid1(VALU_DEP_1)
	v_fmac_f64_e32 v[42:43], v[40:41], v[42:43]
	v_mul_f64_e32 v[40:41], v[44:45], v[42:43]
	s_delay_alu instid0(VALU_DEP_1) | instskip(NEXT) | instid1(VALU_DEP_1)
	v_add_f64_e32 v[44:45], 1.0, v[40:41]
	v_fma_f64 v[44:45], v[44:45], -4.0, |v[38:39]|
	s_delay_alu instid0(VALU_DEP_1) | instskip(NEXT) | instid1(VALU_DEP_1)
	v_fma_f64 v[44:45], -v[40:41], |v[38:39]|, v[44:45]
	v_fmac_f64_e32 v[40:41], v[42:43], v[44:45]
	v_rndne_f64_e32 v[42:43], v[50:51]
	v_rcp_f64_e32 v[44:45], v[52:53]
	s_delay_alu instid0(VALU_DEP_2) | instskip(NEXT) | instid1(VALU_DEP_2)
	v_fmamk_f64 v[50:51], v[40:41], 0xbe41f39d54df3c0e, v[8:9]
	v_fmamk_f64 v[54:55], v[42:43], 0xbfe62e42fefa39ef, v[46:47]
	s_delay_alu instid0(VALU_DEP_2) | instskip(NEXT) | instid1(VALU_DEP_2)
	v_fmaak_f64 v[50:51], v[40:41], v[50:51], 0x3e7b45f1d9802b82
	v_fmac_f64_e32 v[54:55], 0xbc7abc9e3b39803f, v[42:43]
	s_delay_alu instid0(TRANS32_DEP_1) | instskip(NEXT) | instid1(VALU_DEP_3)
	v_fma_f64 v[56:57], -v[52:53], v[44:45], 1.0
	v_fmaak_f64 v[50:51], v[40:41], v[50:51], 0x3e6d90488a03dcdb
	s_delay_alu instid0(VALU_DEP_1) | instskip(NEXT) | instid1(VALU_DEP_1)
	v_fmaak_f64 v[50:51], v[40:41], v[50:51], 0xbeab87b02eba62d8
	v_fmaak_f64 v[50:51], v[40:41], v[50:51], 0x3e95104ba56e15f1
	s_delay_alu instid0(VALU_DEP_1) | instskip(SKIP_2) | instid1(VALU_DEP_3)
	v_fmaak_f64 v[50:51], v[40:41], v[50:51], 0x3ed7f29f71c907de
	v_fmamk_f64 v[58:59], v[54:55], 0x3e5ade156a5dcb37, v[6:7]
	v_fmac_f64_e32 v[44:45], v[56:57], v[44:45]
	v_fmaak_f64 v[50:51], v[40:41], v[50:51], 0xbee78f5c2cd770fb
	s_delay_alu instid0(VALU_DEP_3) | instskip(NEXT) | instid1(VALU_DEP_2)
	v_fmaak_f64 v[56:57], v[54:55], v[58:59], 0x3ec71dee623fde64
	v_fmaak_f64 v[50:51], v[40:41], v[50:51], 0xbef995fb76d0a51a
	s_delay_alu instid0(VALU_DEP_2) | instskip(NEXT) | instid1(VALU_DEP_2)
	v_fmaak_f64 v[56:57], v[54:55], v[56:57], 0x3efa01997c89e6b0
	v_fmaak_f64 v[50:51], v[40:41], v[50:51], 0x3f23be2ec022d0ed
	s_delay_alu instid0(VALU_DEP_2) | instskip(NEXT) | instid1(VALU_DEP_2)
	;; [unrolled: 3-line block ×3, first 2 shown]
	v_fmaak_f64 v[56:57], v[54:55], v[56:57], 0x3f56c16c1852b7b0
	v_fmaak_f64 v[50:51], v[40:41], v[50:51], 0xbf48d4ac3689fc43
	v_fma_f64 v[52:53], -v[52:53], v[44:45], 1.0
	s_delay_alu instid0(VALU_DEP_3) | instskip(NEXT) | instid1(VALU_DEP_3)
	v_fmaak_f64 v[56:57], v[54:55], v[56:57], 0x3f81111111122322
	v_fmaak_f64 v[50:51], v[40:41], v[50:51], 0x3f749c67192d909b
	s_delay_alu instid0(VALU_DEP_2) | instskip(NEXT) | instid1(VALU_DEP_2)
	v_fmaak_f64 v[56:57], v[54:55], v[56:57], 0x3fa55555555502a1
	v_fmaak_f64 v[50:51], v[40:41], v[50:51], 0xbf909623852ff070
	s_delay_alu instid0(VALU_DEP_2) | instskip(NEXT) | instid1(VALU_DEP_2)
	;; [unrolled: 3-line block ×3, first 2 shown]
	v_fmaak_f64 v[56:57], v[54:55], v[56:57], 0x3fe000000000000b
	v_fmaak_f64 v[50:51], v[40:41], v[50:51], 0xbfb0fb06dff65910
	s_delay_alu instid0(VALU_DEP_2) | instskip(SKIP_1) | instid1(VALU_DEP_3)
	v_fma_f64 v[56:57], v[54:55], v[56:57], 1.0
	v_fmac_f64_e32 v[44:45], v[52:53], v[44:45]
	v_fmaak_f64 v[50:51], v[40:41], v[50:51], 0x3fb7fee004de8f32
	v_cvt_i32_f64_e32 v52, v[42:43]
	s_delay_alu instid0(VALU_DEP_2) | instskip(NEXT) | instid1(VALU_DEP_1)
	v_fmaak_f64 v[50:51], v[40:41], v[50:51], 0xbfb9ddb23c3dbeb3
	v_fmaak_f64 v[50:51], v[40:41], v[50:51], 0x3fb16ecefcfa6930
	s_delay_alu instid0(VALU_DEP_1) | instskip(NEXT) | instid1(VALU_DEP_1)
	v_fmaak_f64 v[50:51], v[40:41], v[50:51], 0x3f8f7f5df66fb8a3
	v_fmaak_f64 v[50:51], v[40:41], v[50:51], 0xbfc1df1ad154a2a8
	v_fma_f64 v[42:43], v[54:55], v[56:57], 1.0
	s_delay_alu instid0(VALU_DEP_2) | instskip(NEXT) | instid1(VALU_DEP_1)
	v_fmaak_f64 v[40:41], v[40:41], v[50:51], 0x3fcdd2c8b74febf8
	v_fma_f64 v[50:51], v[40:41], v[44:45], v[44:45]
	s_delay_alu instid0(VALU_DEP_3) | instskip(NEXT) | instid1(VALU_DEP_2)
	v_ldexp_f64 v[42:43], v[42:43], v52
	v_fma_f64 v[48:49], -v[50:51], v[48:49], 1.0
	v_add_f64_e64 v[40:41], v[40:41], -v[50:51]
	s_delay_alu instid0(VALU_DEP_3)
	v_cndmask_b32_e64 v43, 0x7ff00000, v43, s2
	s_and_b32 s2, s3, s2
	s_delay_alu instid0(VALU_DEP_4) | instid1(SALU_CYCLE_1)
	v_cndmask_b32_e64 v42, 0, v42, s2
	v_cmp_ngt_f64_e64 s2, |v[38:39]|, s[6:7]
	v_fma_f64 v[46:47], -v[38:39], v[38:39], -v[46:47]
	v_dual_add_f64 v[40:41], v[48:49], v[40:41] :: v_dual_cndmask_b32 v43, 0, v43, s3
	s_delay_alu instid0(VALU_DEP_1) | instskip(NEXT) | instid1(VALU_DEP_2)
	v_fmac_f64_e32 v[42:43], v[42:43], v[46:47]
	v_fmac_f64_e32 v[50:51], v[44:45], v[40:41]
	s_delay_alu instid0(VALU_DEP_1) | instskip(NEXT) | instid1(VALU_DEP_1)
	v_mul_f64_e32 v[40:41], v[42:43], v[50:51]
	v_dual_cndmask_b32 v41, 0, v41, s2 :: v_dual_cndmask_b32 v40, 0, v40, s2
	v_cmp_gt_f64_e64 s2, 0, v[38:39]
	v_add_nc_u64_e32 v[38:39], s[4:5], v[14:15]
	s_delay_alu instid0(VALU_DEP_3) | instskip(NEXT) | instid1(VALU_DEP_1)
	v_add_f64_e64 v[42:43], -v[40:41], 2.0
	v_dual_cndmask_b32 v41, v41, v43, s2 :: v_dual_cndmask_b32 v40, v40, v42, s2
	global_store_b64 v[38:39], v[40:41], off
	s_wait_xcnt 0x0
	s_or_b32 exec_lo, exec_lo, s14
	s_and_saveexec_b32 s3, s1
	s_cbranch_execz .LBB0_18
.LBB0_22:                               ;   in Loop: Header=BB0_9 Depth=1
	s_wait_loadcnt 0x0
	v_add_f64_e64 v[38:39], |v[36:37]|, 4.0
	v_mul_f64_e64 v[44:45], v[36:37], -v[36:37]
	v_add_f64_e64 v[46:47], |v[36:37]|, |v[36:37]|
	s_delay_alu instid0(VALU_DEP_3) | instskip(NEXT) | instid1(VALU_DEP_2)
	v_rcp_f64_e32 v[40:41], v[38:39]
	v_cmp_ngt_f64_e64 s2, 0xc090cc00, v[44:45]
	v_mul_f64_e32 v[48:49], 0x3ff71547652b82fe, v[44:45]
	s_delay_alu instid0(VALU_DEP_3) | instskip(SKIP_1) | instid1(TRANS32_DEP_1)
	v_add_f64_e32 v[50:51], 1.0, v[46:47]
	v_cmp_nlt_f64_e64 s1, 0x40900000, v[44:45]
	v_fma_f64 v[42:43], -v[38:39], v[40:41], 1.0
	s_delay_alu instid0(VALU_DEP_1) | instskip(SKIP_1) | instid1(VALU_DEP_2)
	v_fmac_f64_e32 v[40:41], v[42:43], v[40:41]
	v_add_f64_e64 v[42:43], |v[36:37]|, -4.0
	v_fma_f64 v[38:39], -v[38:39], v[40:41], 1.0
	s_delay_alu instid0(VALU_DEP_1) | instskip(NEXT) | instid1(VALU_DEP_1)
	v_fmac_f64_e32 v[40:41], v[38:39], v[40:41]
	v_mul_f64_e32 v[38:39], v[42:43], v[40:41]
	s_delay_alu instid0(VALU_DEP_1) | instskip(NEXT) | instid1(VALU_DEP_1)
	v_add_f64_e32 v[42:43], 1.0, v[38:39]
	v_fma_f64 v[42:43], v[42:43], -4.0, |v[36:37]|
	s_delay_alu instid0(VALU_DEP_1) | instskip(NEXT) | instid1(VALU_DEP_1)
	v_fma_f64 v[42:43], -v[38:39], |v[36:37]|, v[42:43]
	v_fmac_f64_e32 v[38:39], v[40:41], v[42:43]
	v_rndne_f64_e32 v[40:41], v[48:49]
	v_rcp_f64_e32 v[42:43], v[50:51]
	s_delay_alu instid0(VALU_DEP_2) | instskip(NEXT) | instid1(VALU_DEP_2)
	v_fmamk_f64 v[48:49], v[38:39], 0xbe41f39d54df3c0e, v[8:9]
	v_fmamk_f64 v[52:53], v[40:41], 0xbfe62e42fefa39ef, v[44:45]
	s_delay_alu instid0(VALU_DEP_2) | instskip(NEXT) | instid1(VALU_DEP_2)
	v_fmaak_f64 v[48:49], v[38:39], v[48:49], 0x3e7b45f1d9802b82
	v_fmac_f64_e32 v[52:53], 0xbc7abc9e3b39803f, v[40:41]
	s_delay_alu instid0(TRANS32_DEP_1) | instskip(NEXT) | instid1(VALU_DEP_3)
	v_fma_f64 v[54:55], -v[50:51], v[42:43], 1.0
	v_fmaak_f64 v[48:49], v[38:39], v[48:49], 0x3e6d90488a03dcdb
	s_delay_alu instid0(VALU_DEP_1) | instskip(NEXT) | instid1(VALU_DEP_1)
	v_fmaak_f64 v[48:49], v[38:39], v[48:49], 0xbeab87b02eba62d8
	v_fmaak_f64 v[48:49], v[38:39], v[48:49], 0x3e95104ba56e15f1
	s_delay_alu instid0(VALU_DEP_1) | instskip(SKIP_2) | instid1(VALU_DEP_3)
	v_fmaak_f64 v[48:49], v[38:39], v[48:49], 0x3ed7f29f71c907de
	v_fmamk_f64 v[56:57], v[52:53], 0x3e5ade156a5dcb37, v[6:7]
	v_fmac_f64_e32 v[42:43], v[54:55], v[42:43]
	v_fmaak_f64 v[48:49], v[38:39], v[48:49], 0xbee78f5c2cd770fb
	s_delay_alu instid0(VALU_DEP_3) | instskip(NEXT) | instid1(VALU_DEP_2)
	v_fmaak_f64 v[54:55], v[52:53], v[56:57], 0x3ec71dee623fde64
	v_fmaak_f64 v[48:49], v[38:39], v[48:49], 0xbef995fb76d0a51a
	s_delay_alu instid0(VALU_DEP_2) | instskip(NEXT) | instid1(VALU_DEP_2)
	v_fmaak_f64 v[54:55], v[52:53], v[54:55], 0x3efa01997c89e6b0
	v_fmaak_f64 v[48:49], v[38:39], v[48:49], 0x3f23be2ec022d0ed
	s_delay_alu instid0(VALU_DEP_2) | instskip(NEXT) | instid1(VALU_DEP_2)
	;; [unrolled: 3-line block ×3, first 2 shown]
	v_fmaak_f64 v[54:55], v[52:53], v[54:55], 0x3f56c16c1852b7b0
	v_fmaak_f64 v[48:49], v[38:39], v[48:49], 0xbf48d4ac3689fc43
	v_fma_f64 v[50:51], -v[50:51], v[42:43], 1.0
	s_delay_alu instid0(VALU_DEP_3) | instskip(NEXT) | instid1(VALU_DEP_3)
	v_fmaak_f64 v[54:55], v[52:53], v[54:55], 0x3f81111111122322
	v_fmaak_f64 v[48:49], v[38:39], v[48:49], 0x3f749c67192d909b
	s_delay_alu instid0(VALU_DEP_2) | instskip(NEXT) | instid1(VALU_DEP_2)
	v_fmaak_f64 v[54:55], v[52:53], v[54:55], 0x3fa55555555502a1
	v_fmaak_f64 v[48:49], v[38:39], v[48:49], 0xbf909623852ff070
	s_delay_alu instid0(VALU_DEP_2) | instskip(NEXT) | instid1(VALU_DEP_2)
	;; [unrolled: 3-line block ×3, first 2 shown]
	v_fmaak_f64 v[54:55], v[52:53], v[54:55], 0x3fe000000000000b
	v_fmaak_f64 v[48:49], v[38:39], v[48:49], 0xbfb0fb06dff65910
	s_delay_alu instid0(VALU_DEP_2) | instskip(SKIP_1) | instid1(VALU_DEP_3)
	v_fma_f64 v[54:55], v[52:53], v[54:55], 1.0
	v_fmac_f64_e32 v[42:43], v[50:51], v[42:43]
	v_fmaak_f64 v[48:49], v[38:39], v[48:49], 0x3fb7fee004de8f32
	v_cvt_i32_f64_e32 v50, v[40:41]
	s_delay_alu instid0(VALU_DEP_2) | instskip(NEXT) | instid1(VALU_DEP_1)
	v_fmaak_f64 v[48:49], v[38:39], v[48:49], 0xbfb9ddb23c3dbeb3
	v_fmaak_f64 v[48:49], v[38:39], v[48:49], 0x3fb16ecefcfa6930
	s_delay_alu instid0(VALU_DEP_1) | instskip(NEXT) | instid1(VALU_DEP_1)
	v_fmaak_f64 v[48:49], v[38:39], v[48:49], 0x3f8f7f5df66fb8a3
	v_fmaak_f64 v[48:49], v[38:39], v[48:49], 0xbfc1df1ad154a2a8
	v_fma_f64 v[40:41], v[52:53], v[54:55], 1.0
	s_delay_alu instid0(VALU_DEP_2) | instskip(NEXT) | instid1(VALU_DEP_1)
	v_fmaak_f64 v[38:39], v[38:39], v[48:49], 0x3fcdd2c8b74febf8
	v_fma_f64 v[48:49], v[38:39], v[42:43], v[42:43]
	s_delay_alu instid0(VALU_DEP_3) | instskip(NEXT) | instid1(VALU_DEP_2)
	v_ldexp_f64 v[40:41], v[40:41], v50
	v_fma_f64 v[46:47], -v[48:49], v[46:47], 1.0
	v_add_f64_e64 v[38:39], v[38:39], -v[48:49]
	s_delay_alu instid0(VALU_DEP_3)
	v_cndmask_b32_e64 v41, 0x7ff00000, v41, s1
	s_and_b32 s1, s2, s1
	s_delay_alu instid0(VALU_DEP_4) | instid1(SALU_CYCLE_1)
	v_cndmask_b32_e64 v40, 0, v40, s1
	v_cmp_ngt_f64_e64 s1, |v[36:37]|, s[6:7]
	v_fma_f64 v[44:45], -v[36:37], v[36:37], -v[44:45]
	v_dual_add_f64 v[38:39], v[46:47], v[38:39] :: v_dual_cndmask_b32 v41, 0, v41, s2
	s_delay_alu instid0(VALU_DEP_1) | instskip(NEXT) | instid1(VALU_DEP_2)
	v_fmac_f64_e32 v[40:41], v[40:41], v[44:45]
	v_fmac_f64_e32 v[48:49], v[42:43], v[38:39]
	s_delay_alu instid0(VALU_DEP_1) | instskip(NEXT) | instid1(VALU_DEP_1)
	v_mul_f64_e32 v[38:39], v[40:41], v[48:49]
	v_dual_cndmask_b32 v39, 0, v39, s1 :: v_dual_cndmask_b32 v38, 0, v38, s1
	v_cmp_gt_f64_e64 s1, 0, v[36:37]
	v_add_nc_u64_e32 v[36:37], s[4:5], v[30:31]
	s_delay_alu instid0(VALU_DEP_3) | instskip(NEXT) | instid1(VALU_DEP_1)
	v_add_f64_e64 v[40:41], -v[38:39], 2.0
	v_dual_cndmask_b32 v39, v39, v41, s1 :: v_dual_cndmask_b32 v38, v38, v40, s1
	global_store_b64 v[36:37], v[38:39], off
	s_wait_xcnt 0x0
	s_or_b32 exec_lo, exec_lo, s3
	s_and_saveexec_b32 s2, s0
	s_cbranch_execz .LBB0_19
.LBB0_23:                               ;   in Loop: Header=BB0_9 Depth=1
	s_wait_loadcnt 0x0
	v_add_f64_e64 v[36:37], |v[34:35]|, 4.0
	v_mul_f64_e64 v[42:43], v[34:35], -v[34:35]
	v_add_f64_e64 v[44:45], |v[34:35]|, |v[34:35]|
	s_delay_alu instid0(VALU_DEP_3) | instskip(NEXT) | instid1(VALU_DEP_2)
	v_rcp_f64_e32 v[38:39], v[36:37]
	v_cmp_ngt_f64_e64 s1, 0xc090cc00, v[42:43]
	v_mul_f64_e32 v[46:47], 0x3ff71547652b82fe, v[42:43]
	s_delay_alu instid0(VALU_DEP_3) | instskip(SKIP_1) | instid1(TRANS32_DEP_1)
	v_add_f64_e32 v[48:49], 1.0, v[44:45]
	v_cmp_nlt_f64_e64 s0, 0x40900000, v[42:43]
	v_fma_f64 v[40:41], -v[36:37], v[38:39], 1.0
	s_delay_alu instid0(VALU_DEP_1) | instskip(SKIP_1) | instid1(VALU_DEP_2)
	v_fmac_f64_e32 v[38:39], v[40:41], v[38:39]
	v_add_f64_e64 v[40:41], |v[34:35]|, -4.0
	v_fma_f64 v[36:37], -v[36:37], v[38:39], 1.0
	s_delay_alu instid0(VALU_DEP_1) | instskip(NEXT) | instid1(VALU_DEP_1)
	v_fmac_f64_e32 v[38:39], v[36:37], v[38:39]
	v_mul_f64_e32 v[36:37], v[40:41], v[38:39]
	s_delay_alu instid0(VALU_DEP_1) | instskip(NEXT) | instid1(VALU_DEP_1)
	v_add_f64_e32 v[40:41], 1.0, v[36:37]
	v_fma_f64 v[40:41], v[40:41], -4.0, |v[34:35]|
	s_delay_alu instid0(VALU_DEP_1) | instskip(NEXT) | instid1(VALU_DEP_1)
	v_fma_f64 v[40:41], -v[36:37], |v[34:35]|, v[40:41]
	v_fmac_f64_e32 v[36:37], v[38:39], v[40:41]
	v_rndne_f64_e32 v[38:39], v[46:47]
	v_rcp_f64_e32 v[40:41], v[48:49]
	s_delay_alu instid0(VALU_DEP_2) | instskip(NEXT) | instid1(VALU_DEP_2)
	v_fmamk_f64 v[46:47], v[36:37], 0xbe41f39d54df3c0e, v[8:9]
	v_fmamk_f64 v[50:51], v[38:39], 0xbfe62e42fefa39ef, v[42:43]
	s_delay_alu instid0(VALU_DEP_2) | instskip(NEXT) | instid1(VALU_DEP_2)
	v_fmaak_f64 v[46:47], v[36:37], v[46:47], 0x3e7b45f1d9802b82
	v_fmac_f64_e32 v[50:51], 0xbc7abc9e3b39803f, v[38:39]
	s_delay_alu instid0(TRANS32_DEP_1) | instskip(NEXT) | instid1(VALU_DEP_3)
	v_fma_f64 v[52:53], -v[48:49], v[40:41], 1.0
	v_fmaak_f64 v[46:47], v[36:37], v[46:47], 0x3e6d90488a03dcdb
	s_delay_alu instid0(VALU_DEP_1) | instskip(NEXT) | instid1(VALU_DEP_1)
	v_fmaak_f64 v[46:47], v[36:37], v[46:47], 0xbeab87b02eba62d8
	v_fmaak_f64 v[46:47], v[36:37], v[46:47], 0x3e95104ba56e15f1
	s_delay_alu instid0(VALU_DEP_1) | instskip(SKIP_2) | instid1(VALU_DEP_3)
	v_fmaak_f64 v[46:47], v[36:37], v[46:47], 0x3ed7f29f71c907de
	v_fmamk_f64 v[54:55], v[50:51], 0x3e5ade156a5dcb37, v[6:7]
	v_fmac_f64_e32 v[40:41], v[52:53], v[40:41]
	v_fmaak_f64 v[46:47], v[36:37], v[46:47], 0xbee78f5c2cd770fb
	s_delay_alu instid0(VALU_DEP_3) | instskip(NEXT) | instid1(VALU_DEP_2)
	v_fmaak_f64 v[52:53], v[50:51], v[54:55], 0x3ec71dee623fde64
	v_fmaak_f64 v[46:47], v[36:37], v[46:47], 0xbef995fb76d0a51a
	s_delay_alu instid0(VALU_DEP_2) | instskip(NEXT) | instid1(VALU_DEP_2)
	v_fmaak_f64 v[52:53], v[50:51], v[52:53], 0x3efa01997c89e6b0
	v_fmaak_f64 v[46:47], v[36:37], v[46:47], 0x3f23be2ec022d0ed
	s_delay_alu instid0(VALU_DEP_2) | instskip(NEXT) | instid1(VALU_DEP_2)
	;; [unrolled: 3-line block ×3, first 2 shown]
	v_fmaak_f64 v[52:53], v[50:51], v[52:53], 0x3f56c16c1852b7b0
	v_fmaak_f64 v[46:47], v[36:37], v[46:47], 0xbf48d4ac3689fc43
	v_fma_f64 v[48:49], -v[48:49], v[40:41], 1.0
	s_delay_alu instid0(VALU_DEP_3) | instskip(NEXT) | instid1(VALU_DEP_3)
	v_fmaak_f64 v[52:53], v[50:51], v[52:53], 0x3f81111111122322
	v_fmaak_f64 v[46:47], v[36:37], v[46:47], 0x3f749c67192d909b
	s_delay_alu instid0(VALU_DEP_2) | instskip(NEXT) | instid1(VALU_DEP_2)
	v_fmaak_f64 v[52:53], v[50:51], v[52:53], 0x3fa55555555502a1
	v_fmaak_f64 v[46:47], v[36:37], v[46:47], 0xbf909623852ff070
	s_delay_alu instid0(VALU_DEP_2) | instskip(NEXT) | instid1(VALU_DEP_2)
	;; [unrolled: 3-line block ×3, first 2 shown]
	v_fmaak_f64 v[52:53], v[50:51], v[52:53], 0x3fe000000000000b
	v_fmaak_f64 v[46:47], v[36:37], v[46:47], 0xbfb0fb06dff65910
	s_delay_alu instid0(VALU_DEP_2) | instskip(SKIP_1) | instid1(VALU_DEP_3)
	v_fma_f64 v[52:53], v[50:51], v[52:53], 1.0
	v_fmac_f64_e32 v[40:41], v[48:49], v[40:41]
	v_fmaak_f64 v[46:47], v[36:37], v[46:47], 0x3fb7fee004de8f32
	v_cvt_i32_f64_e32 v48, v[38:39]
	s_delay_alu instid0(VALU_DEP_2) | instskip(NEXT) | instid1(VALU_DEP_1)
	v_fmaak_f64 v[46:47], v[36:37], v[46:47], 0xbfb9ddb23c3dbeb3
	v_fmaak_f64 v[46:47], v[36:37], v[46:47], 0x3fb16ecefcfa6930
	s_delay_alu instid0(VALU_DEP_1) | instskip(NEXT) | instid1(VALU_DEP_1)
	v_fmaak_f64 v[46:47], v[36:37], v[46:47], 0x3f8f7f5df66fb8a3
	v_fmaak_f64 v[46:47], v[36:37], v[46:47], 0xbfc1df1ad154a2a8
	v_fma_f64 v[38:39], v[50:51], v[52:53], 1.0
	s_delay_alu instid0(VALU_DEP_2) | instskip(NEXT) | instid1(VALU_DEP_1)
	v_fmaak_f64 v[36:37], v[36:37], v[46:47], 0x3fcdd2c8b74febf8
	v_fma_f64 v[46:47], v[36:37], v[40:41], v[40:41]
	s_delay_alu instid0(VALU_DEP_3) | instskip(NEXT) | instid1(VALU_DEP_2)
	v_ldexp_f64 v[38:39], v[38:39], v48
	v_fma_f64 v[44:45], -v[46:47], v[44:45], 1.0
	v_add_f64_e64 v[36:37], v[36:37], -v[46:47]
	s_delay_alu instid0(VALU_DEP_3)
	v_cndmask_b32_e64 v39, 0x7ff00000, v39, s0
	s_and_b32 s0, s1, s0
	s_delay_alu instid0(VALU_DEP_4) | instid1(SALU_CYCLE_1)
	v_cndmask_b32_e64 v38, 0, v38, s0
	v_cmp_ngt_f64_e64 s0, |v[34:35]|, s[6:7]
	v_fma_f64 v[42:43], -v[34:35], v[34:35], -v[42:43]
	v_dual_add_f64 v[36:37], v[44:45], v[36:37] :: v_dual_cndmask_b32 v39, 0, v39, s1
	s_delay_alu instid0(VALU_DEP_1) | instskip(NEXT) | instid1(VALU_DEP_2)
	v_fmac_f64_e32 v[38:39], v[38:39], v[42:43]
	v_fmac_f64_e32 v[46:47], v[40:41], v[36:37]
	s_delay_alu instid0(VALU_DEP_1) | instskip(NEXT) | instid1(VALU_DEP_1)
	v_mul_f64_e32 v[36:37], v[38:39], v[46:47]
	v_dual_cndmask_b32 v37, 0, v37, s0 :: v_dual_cndmask_b32 v36, 0, v36, s0
	v_cmp_gt_f64_e64 s0, 0, v[34:35]
	v_add_nc_u64_e32 v[34:35], s[4:5], v[22:23]
	s_delay_alu instid0(VALU_DEP_3) | instskip(NEXT) | instid1(VALU_DEP_1)
	v_add_f64_e64 v[38:39], -v[36:37], 2.0
	v_dual_cndmask_b32 v37, v37, v39, s0 :: v_dual_cndmask_b32 v36, v36, v38, s0
	global_store_b64 v[34:35], v[36:37], off
	s_wait_xcnt 0x0
	s_or_b32 exec_lo, exec_lo, s2
	s_and_saveexec_b32 s1, vcc_lo
	s_cbranch_execz .LBB0_8
.LBB0_24:                               ;   in Loop: Header=BB0_9 Depth=1
	s_wait_loadcnt 0x0
	v_add_f64_e64 v[34:35], |v[32:33]|, 4.0
	v_mul_f64_e64 v[40:41], v[32:33], -v[32:33]
	v_add_f64_e64 v[42:43], |v[32:33]|, |v[32:33]|
	s_delay_alu instid0(VALU_DEP_3) | instskip(NEXT) | instid1(VALU_DEP_2)
	v_rcp_f64_e32 v[36:37], v[34:35]
	v_cmp_ngt_f64_e64 s0, 0xc090cc00, v[40:41]
	v_mul_f64_e32 v[44:45], 0x3ff71547652b82fe, v[40:41]
	s_delay_alu instid0(VALU_DEP_3) | instskip(SKIP_1) | instid1(TRANS32_DEP_1)
	v_add_f64_e32 v[46:47], 1.0, v[42:43]
	v_cmp_nlt_f64_e32 vcc_lo, 0x40900000, v[40:41]
	v_fma_f64 v[38:39], -v[34:35], v[36:37], 1.0
	s_delay_alu instid0(VALU_DEP_1) | instskip(SKIP_1) | instid1(VALU_DEP_2)
	v_fmac_f64_e32 v[36:37], v[38:39], v[36:37]
	v_add_f64_e64 v[38:39], |v[32:33]|, -4.0
	v_fma_f64 v[34:35], -v[34:35], v[36:37], 1.0
	s_delay_alu instid0(VALU_DEP_1) | instskip(NEXT) | instid1(VALU_DEP_1)
	v_fmac_f64_e32 v[36:37], v[34:35], v[36:37]
	v_mul_f64_e32 v[34:35], v[38:39], v[36:37]
	s_delay_alu instid0(VALU_DEP_1) | instskip(NEXT) | instid1(VALU_DEP_1)
	v_add_f64_e32 v[38:39], 1.0, v[34:35]
	v_fma_f64 v[38:39], v[38:39], -4.0, |v[32:33]|
	s_delay_alu instid0(VALU_DEP_1) | instskip(NEXT) | instid1(VALU_DEP_1)
	v_fma_f64 v[38:39], -v[34:35], |v[32:33]|, v[38:39]
	v_fmac_f64_e32 v[34:35], v[36:37], v[38:39]
	v_rndne_f64_e32 v[36:37], v[44:45]
	v_rcp_f64_e32 v[38:39], v[46:47]
	s_delay_alu instid0(VALU_DEP_2) | instskip(NEXT) | instid1(VALU_DEP_2)
	v_fmamk_f64 v[44:45], v[34:35], 0xbe41f39d54df3c0e, v[8:9]
	v_fmamk_f64 v[48:49], v[36:37], 0xbfe62e42fefa39ef, v[40:41]
	s_delay_alu instid0(VALU_DEP_2) | instskip(NEXT) | instid1(VALU_DEP_2)
	v_fmaak_f64 v[44:45], v[34:35], v[44:45], 0x3e7b45f1d9802b82
	v_fmac_f64_e32 v[48:49], 0xbc7abc9e3b39803f, v[36:37]
	s_delay_alu instid0(TRANS32_DEP_1) | instskip(NEXT) | instid1(VALU_DEP_3)
	v_fma_f64 v[50:51], -v[46:47], v[38:39], 1.0
	v_fmaak_f64 v[44:45], v[34:35], v[44:45], 0x3e6d90488a03dcdb
	s_delay_alu instid0(VALU_DEP_1) | instskip(NEXT) | instid1(VALU_DEP_1)
	v_fmaak_f64 v[44:45], v[34:35], v[44:45], 0xbeab87b02eba62d8
	v_fmaak_f64 v[44:45], v[34:35], v[44:45], 0x3e95104ba56e15f1
	s_delay_alu instid0(VALU_DEP_1) | instskip(SKIP_2) | instid1(VALU_DEP_3)
	v_fmaak_f64 v[44:45], v[34:35], v[44:45], 0x3ed7f29f71c907de
	v_fmamk_f64 v[52:53], v[48:49], 0x3e5ade156a5dcb37, v[6:7]
	v_fmac_f64_e32 v[38:39], v[50:51], v[38:39]
	v_fmaak_f64 v[44:45], v[34:35], v[44:45], 0xbee78f5c2cd770fb
	s_delay_alu instid0(VALU_DEP_3) | instskip(NEXT) | instid1(VALU_DEP_2)
	v_fmaak_f64 v[50:51], v[48:49], v[52:53], 0x3ec71dee623fde64
	v_fmaak_f64 v[44:45], v[34:35], v[44:45], 0xbef995fb76d0a51a
	s_delay_alu instid0(VALU_DEP_2) | instskip(NEXT) | instid1(VALU_DEP_2)
	v_fmaak_f64 v[50:51], v[48:49], v[50:51], 0x3efa01997c89e6b0
	v_fmaak_f64 v[44:45], v[34:35], v[44:45], 0x3f23be2ec022d0ed
	s_delay_alu instid0(VALU_DEP_2) | instskip(NEXT) | instid1(VALU_DEP_2)
	;; [unrolled: 3-line block ×3, first 2 shown]
	v_fmaak_f64 v[50:51], v[48:49], v[50:51], 0x3f56c16c1852b7b0
	v_fmaak_f64 v[44:45], v[34:35], v[44:45], 0xbf48d4ac3689fc43
	v_fma_f64 v[46:47], -v[46:47], v[38:39], 1.0
	s_delay_alu instid0(VALU_DEP_3) | instskip(NEXT) | instid1(VALU_DEP_3)
	v_fmaak_f64 v[50:51], v[48:49], v[50:51], 0x3f81111111122322
	v_fmaak_f64 v[44:45], v[34:35], v[44:45], 0x3f749c67192d909b
	s_delay_alu instid0(VALU_DEP_2) | instskip(NEXT) | instid1(VALU_DEP_2)
	v_fmaak_f64 v[50:51], v[48:49], v[50:51], 0x3fa55555555502a1
	v_fmaak_f64 v[44:45], v[34:35], v[44:45], 0xbf909623852ff070
	s_delay_alu instid0(VALU_DEP_2) | instskip(NEXT) | instid1(VALU_DEP_2)
	;; [unrolled: 3-line block ×3, first 2 shown]
	v_fmaak_f64 v[50:51], v[48:49], v[50:51], 0x3fe000000000000b
	v_fmaak_f64 v[44:45], v[34:35], v[44:45], 0xbfb0fb06dff65910
	s_delay_alu instid0(VALU_DEP_2) | instskip(SKIP_1) | instid1(VALU_DEP_3)
	v_fma_f64 v[50:51], v[48:49], v[50:51], 1.0
	v_fmac_f64_e32 v[38:39], v[46:47], v[38:39]
	v_fmaak_f64 v[44:45], v[34:35], v[44:45], 0x3fb7fee004de8f32
	v_cvt_i32_f64_e32 v46, v[36:37]
	s_delay_alu instid0(VALU_DEP_2) | instskip(NEXT) | instid1(VALU_DEP_1)
	v_fmaak_f64 v[44:45], v[34:35], v[44:45], 0xbfb9ddb23c3dbeb3
	v_fmaak_f64 v[44:45], v[34:35], v[44:45], 0x3fb16ecefcfa6930
	s_delay_alu instid0(VALU_DEP_1) | instskip(NEXT) | instid1(VALU_DEP_1)
	v_fmaak_f64 v[44:45], v[34:35], v[44:45], 0x3f8f7f5df66fb8a3
	v_fmaak_f64 v[44:45], v[34:35], v[44:45], 0xbfc1df1ad154a2a8
	v_fma_f64 v[36:37], v[48:49], v[50:51], 1.0
	s_delay_alu instid0(VALU_DEP_2) | instskip(NEXT) | instid1(VALU_DEP_1)
	v_fmaak_f64 v[34:35], v[34:35], v[44:45], 0x3fcdd2c8b74febf8
	v_fma_f64 v[44:45], v[34:35], v[38:39], v[38:39]
	s_delay_alu instid0(VALU_DEP_3) | instskip(NEXT) | instid1(VALU_DEP_2)
	v_ldexp_f64 v[36:37], v[36:37], v46
	v_fma_f64 v[42:43], -v[44:45], v[42:43], 1.0
	v_add_f64_e64 v[34:35], v[34:35], -v[44:45]
	s_delay_alu instid0(VALU_DEP_3) | instskip(SKIP_1) | instid1(VALU_DEP_4)
	v_cndmask_b32_e32 v37, 0x7ff00000, v37, vcc_lo
	s_and_b32 vcc_lo, s0, vcc_lo
	v_cndmask_b32_e32 v36, 0, v36, vcc_lo
	v_cmp_ngt_f64_e64 vcc_lo, |v[32:33]|, s[6:7]
	v_fma_f64 v[40:41], -v[32:33], v[32:33], -v[40:41]
	v_dual_add_f64 v[34:35], v[42:43], v[34:35] :: v_dual_cndmask_b32 v37, 0, v37, s0
	s_delay_alu instid0(VALU_DEP_1) | instskip(NEXT) | instid1(VALU_DEP_2)
	v_fmac_f64_e32 v[36:37], v[36:37], v[40:41]
	v_fmac_f64_e32 v[44:45], v[38:39], v[34:35]
	s_delay_alu instid0(VALU_DEP_1) | instskip(NEXT) | instid1(VALU_DEP_1)
	v_mul_f64_e32 v[34:35], v[36:37], v[44:45]
	v_dual_cndmask_b32 v35, 0, v35 :: v_dual_cndmask_b32 v34, 0, v34
	v_cmp_gt_f64_e32 vcc_lo, 0, v[32:33]
	v_add_nc_u64_e32 v[32:33], s[4:5], v[26:27]
	s_delay_alu instid0(VALU_DEP_3) | instskip(NEXT) | instid1(VALU_DEP_1)
	v_add_f64_e64 v[36:37], -v[34:35], 2.0
	v_dual_cndmask_b32 v35, v35, v37 :: v_dual_cndmask_b32 v34, v34, v36
	global_store_b64 v[32:33], v[34:35], off
	s_branch .LBB0_8
.LBB0_25:
	s_endpgm
	.section	.rodata,"a",@progbits
	.p2align	6, 0x0
	.amdhsa_kernel _ZN2at6native12_GLOBAL__N_125multi_tensor_apply_kernelINS1_18TensorListMetadataILi2EEENS1_14UnaryOpFunctorIdLi2ELi1ELi1EEEJNS0_4ErfcIdEEEEEvT_T0_DpT1_
		.amdhsa_group_segment_fixed_size 0
		.amdhsa_private_segment_fixed_size 0
		.amdhsa_kernarg_size 3408
		.amdhsa_user_sgpr_count 2
		.amdhsa_user_sgpr_dispatch_ptr 0
		.amdhsa_user_sgpr_queue_ptr 0
		.amdhsa_user_sgpr_kernarg_segment_ptr 1
		.amdhsa_user_sgpr_dispatch_id 0
		.amdhsa_user_sgpr_kernarg_preload_length 0
		.amdhsa_user_sgpr_kernarg_preload_offset 0
		.amdhsa_user_sgpr_private_segment_size 0
		.amdhsa_wavefront_size32 1
		.amdhsa_uses_dynamic_stack 0
		.amdhsa_enable_private_segment 0
		.amdhsa_system_sgpr_workgroup_id_x 1
		.amdhsa_system_sgpr_workgroup_id_y 0
		.amdhsa_system_sgpr_workgroup_id_z 0
		.amdhsa_system_sgpr_workgroup_info 0
		.amdhsa_system_vgpr_workitem_id 0
		.amdhsa_next_free_vgpr 60
		.amdhsa_next_free_sgpr 20
		.amdhsa_named_barrier_count 0
		.amdhsa_reserve_vcc 1
		.amdhsa_float_round_mode_32 0
		.amdhsa_float_round_mode_16_64 0
		.amdhsa_float_denorm_mode_32 3
		.amdhsa_float_denorm_mode_16_64 3
		.amdhsa_fp16_overflow 0
		.amdhsa_memory_ordered 1
		.amdhsa_forward_progress 1
		.amdhsa_inst_pref_size 60
		.amdhsa_round_robin_scheduling 0
		.amdhsa_exception_fp_ieee_invalid_op 0
		.amdhsa_exception_fp_denorm_src 0
		.amdhsa_exception_fp_ieee_div_zero 0
		.amdhsa_exception_fp_ieee_overflow 0
		.amdhsa_exception_fp_ieee_underflow 0
		.amdhsa_exception_fp_ieee_inexact 0
		.amdhsa_exception_int_div_zero 0
	.end_amdhsa_kernel
	.section	.text._ZN2at6native12_GLOBAL__N_125multi_tensor_apply_kernelINS1_18TensorListMetadataILi2EEENS1_14UnaryOpFunctorIdLi2ELi1ELi1EEEJNS0_4ErfcIdEEEEEvT_T0_DpT1_,"axG",@progbits,_ZN2at6native12_GLOBAL__N_125multi_tensor_apply_kernelINS1_18TensorListMetadataILi2EEENS1_14UnaryOpFunctorIdLi2ELi1ELi1EEEJNS0_4ErfcIdEEEEEvT_T0_DpT1_,comdat
.Lfunc_end0:
	.size	_ZN2at6native12_GLOBAL__N_125multi_tensor_apply_kernelINS1_18TensorListMetadataILi2EEENS1_14UnaryOpFunctorIdLi2ELi1ELi1EEEJNS0_4ErfcIdEEEEEvT_T0_DpT1_, .Lfunc_end0-_ZN2at6native12_GLOBAL__N_125multi_tensor_apply_kernelINS1_18TensorListMetadataILi2EEENS1_14UnaryOpFunctorIdLi2ELi1ELi1EEEJNS0_4ErfcIdEEEEEvT_T0_DpT1_
                                        ; -- End function
	.set _ZN2at6native12_GLOBAL__N_125multi_tensor_apply_kernelINS1_18TensorListMetadataILi2EEENS1_14UnaryOpFunctorIdLi2ELi1ELi1EEEJNS0_4ErfcIdEEEEEvT_T0_DpT1_.num_vgpr, 60
	.set _ZN2at6native12_GLOBAL__N_125multi_tensor_apply_kernelINS1_18TensorListMetadataILi2EEENS1_14UnaryOpFunctorIdLi2ELi1ELi1EEEJNS0_4ErfcIdEEEEEvT_T0_DpT1_.num_agpr, 0
	.set _ZN2at6native12_GLOBAL__N_125multi_tensor_apply_kernelINS1_18TensorListMetadataILi2EEENS1_14UnaryOpFunctorIdLi2ELi1ELi1EEEJNS0_4ErfcIdEEEEEvT_T0_DpT1_.numbered_sgpr, 20
	.set _ZN2at6native12_GLOBAL__N_125multi_tensor_apply_kernelINS1_18TensorListMetadataILi2EEENS1_14UnaryOpFunctorIdLi2ELi1ELi1EEEJNS0_4ErfcIdEEEEEvT_T0_DpT1_.num_named_barrier, 0
	.set _ZN2at6native12_GLOBAL__N_125multi_tensor_apply_kernelINS1_18TensorListMetadataILi2EEENS1_14UnaryOpFunctorIdLi2ELi1ELi1EEEJNS0_4ErfcIdEEEEEvT_T0_DpT1_.private_seg_size, 0
	.set _ZN2at6native12_GLOBAL__N_125multi_tensor_apply_kernelINS1_18TensorListMetadataILi2EEENS1_14UnaryOpFunctorIdLi2ELi1ELi1EEEJNS0_4ErfcIdEEEEEvT_T0_DpT1_.uses_vcc, 1
	.set _ZN2at6native12_GLOBAL__N_125multi_tensor_apply_kernelINS1_18TensorListMetadataILi2EEENS1_14UnaryOpFunctorIdLi2ELi1ELi1EEEJNS0_4ErfcIdEEEEEvT_T0_DpT1_.uses_flat_scratch, 0
	.set _ZN2at6native12_GLOBAL__N_125multi_tensor_apply_kernelINS1_18TensorListMetadataILi2EEENS1_14UnaryOpFunctorIdLi2ELi1ELi1EEEJNS0_4ErfcIdEEEEEvT_T0_DpT1_.has_dyn_sized_stack, 0
	.set _ZN2at6native12_GLOBAL__N_125multi_tensor_apply_kernelINS1_18TensorListMetadataILi2EEENS1_14UnaryOpFunctorIdLi2ELi1ELi1EEEJNS0_4ErfcIdEEEEEvT_T0_DpT1_.has_recursion, 0
	.set _ZN2at6native12_GLOBAL__N_125multi_tensor_apply_kernelINS1_18TensorListMetadataILi2EEENS1_14UnaryOpFunctorIdLi2ELi1ELi1EEEJNS0_4ErfcIdEEEEEvT_T0_DpT1_.has_indirect_call, 0
	.section	.AMDGPU.csdata,"",@progbits
; Kernel info:
; codeLenInByte = 7620
; TotalNumSgprs: 22
; NumVgprs: 60
; ScratchSize: 0
; MemoryBound: 0
; FloatMode: 240
; IeeeMode: 1
; LDSByteSize: 0 bytes/workgroup (compile time only)
; SGPRBlocks: 0
; VGPRBlocks: 3
; NumSGPRsForWavesPerEU: 22
; NumVGPRsForWavesPerEU: 60
; NamedBarCnt: 0
; Occupancy: 16
; WaveLimiterHint : 0
; COMPUTE_PGM_RSRC2:SCRATCH_EN: 0
; COMPUTE_PGM_RSRC2:USER_SGPR: 2
; COMPUTE_PGM_RSRC2:TRAP_HANDLER: 0
; COMPUTE_PGM_RSRC2:TGID_X_EN: 1
; COMPUTE_PGM_RSRC2:TGID_Y_EN: 0
; COMPUTE_PGM_RSRC2:TGID_Z_EN: 0
; COMPUTE_PGM_RSRC2:TIDIG_COMP_CNT: 0
	.section	.text._ZN2at6native12_GLOBAL__N_125multi_tensor_apply_kernelINS1_18TensorListMetadataILi2EEENS1_14UnaryOpFunctorIfLi2ELi1ELi1EEEJNS0_4ErfcIfEEEEEvT_T0_DpT1_,"axG",@progbits,_ZN2at6native12_GLOBAL__N_125multi_tensor_apply_kernelINS1_18TensorListMetadataILi2EEENS1_14UnaryOpFunctorIfLi2ELi1ELi1EEEJNS0_4ErfcIfEEEEEvT_T0_DpT1_,comdat
	.globl	_ZN2at6native12_GLOBAL__N_125multi_tensor_apply_kernelINS1_18TensorListMetadataILi2EEENS1_14UnaryOpFunctorIfLi2ELi1ELi1EEEJNS0_4ErfcIfEEEEEvT_T0_DpT1_ ; -- Begin function _ZN2at6native12_GLOBAL__N_125multi_tensor_apply_kernelINS1_18TensorListMetadataILi2EEENS1_14UnaryOpFunctorIfLi2ELi1ELi1EEEJNS0_4ErfcIfEEEEEvT_T0_DpT1_
	.p2align	8
	.type	_ZN2at6native12_GLOBAL__N_125multi_tensor_apply_kernelINS1_18TensorListMetadataILi2EEENS1_14UnaryOpFunctorIfLi2ELi1ELi1EEEJNS0_4ErfcIfEEEEEvT_T0_DpT1_,@function
_ZN2at6native12_GLOBAL__N_125multi_tensor_apply_kernelINS1_18TensorListMetadataILi2EEENS1_14UnaryOpFunctorIfLi2ELi1ELi1EEEJNS0_4ErfcIfEEEEEvT_T0_DpT1_: ; @_ZN2at6native12_GLOBAL__N_125multi_tensor_apply_kernelINS1_18TensorListMetadataILi2EEENS1_14UnaryOpFunctorIfLi2ELi1ELi1EEEJNS0_4ErfcIfEEEEEvT_T0_DpT1_
; %bb.0:
	s_bfe_u32 s2, ttmp6, 0x4000c
	s_and_b32 s3, ttmp6, 15
	s_add_co_i32 s2, s2, 1
	s_getreg_b32 s4, hwreg(HW_REG_IB_STS2, 6, 4)
	s_mul_i32 s2, ttmp9, s2
	s_delay_alu instid0(SALU_CYCLE_1)
	s_add_co_i32 s3, s3, s2
	s_cmp_eq_u32 s4, 0
	s_cselect_b32 s2, ttmp9, s3
	s_mov_b32 s3, 0
	s_load_u8 s13, s[0:1], s2 offset:0x600
	s_add_nc_u64 s[4:5], s[0:1], s[2:3]
	s_mul_u64 s[6:7], s[2:3], 3
	s_delay_alu instid0(SALU_CYCLE_1)
	s_add_nc_u64 s[4:5], s[4:5], s[6:7]
	s_load_b32 s12, s[4:5], 0x740
	s_wait_kmcnt 0x0
	s_clause 0x2
	s_load_b64 s[8:9], s[0:1], s13 offset:0x0 scale_offset
	s_load_b64 s[10:11], s[0:1], s13 offset:0x200 scale_offset
	;; [unrolled: 1-line block ×3, first 2 shown]
	s_mov_b32 s5, s3
	s_wait_xcnt 0x0
	s_ashr_i32 s13, s12, 31
	s_delay_alu instid0(SALU_CYCLE_1)
	s_lshl_b64 s[6:7], s[12:13], 18
	s_wait_kmcnt 0x0
	s_and_b64 s[18:19], s[10:11], 15
	s_add_nc_u64 s[16:17], s[8:9], s[6:7]
	s_and_b32 s4, s14, 3
	s_and_b32 s2, s16, 15
	s_or_b64 s[4:5], s[18:19], s[4:5]
	s_lshl_b64 s[12:13], s[12:13], 16
	s_or_b64 s[2:3], s[4:5], s[2:3]
	s_sub_nc_u64 s[12:13], s[14:15], s[12:13]
	s_cmp_eq_u64 s[2:3], 0
	s_mov_b32 s2, -1
	s_cbranch_scc0 .LBB1_5
; %bb.1:
	v_min_i64 v[6:7], 0x10000, s[12:13]
	v_dual_mov_b32 v3, 0 :: v_dual_lshlrev_b32 v2, 2, v0
	s_mov_b32 s19, exec_lo
	s_delay_alu instid0(VALU_DEP_1)
	v_cmpx_lt_i64_e64 v[2:3], v[6:7]
	s_cbranch_execz .LBB1_4
; %bb.2:
	s_load_b32 s2, s[0:1], 0xc5c
	v_dual_mov_b32 v1, v3 :: v_dual_lshlrev_b32 v2, 4, v0
	s_mov_b32 s15, 0
	s_add_nc_u64 s[16:17], s[8:9], 8
	s_mov_b32 s18, 0xbaa2d753
	s_delay_alu instid0(VALU_DEP_1)
	v_mov_b64_e32 v[10:11], v[0:1]
	v_add_nc_u64_e32 v[8:9], s[6:7], v[2:3]
	s_mov_b32 s20, 0xb9d6f8c4
	s_mov_b32 s22, 0x3aad2fb4
	;; [unrolled: 1-line block ×11, first 2 shown]
	s_wait_kmcnt 0x0
	s_and_b32 s14, s2, 0xffff
	s_delay_alu instid0(SALU_CYCLE_1)
	s_lshl_b32 s40, s14, 4
.LBB1_3:                                ; =>This Inner Loop Header: Depth=1
	v_add_nc_u64_e32 v[2:3], s[16:17], v[8:9]
	v_add_nc_u64_e32 v[10:11], s[14:15], v[10:11]
	;; [unrolled: 1-line block ×4, first 2 shown]
	global_load_b128 v[2:5], v[2:3], off offset:-8
	v_lshlrev_b64_e32 v[14:15], 2, v[10:11]
	s_delay_alu instid0(VALU_DEP_1)
	v_cmp_ge_i64_e32 vcc_lo, v[14:15], v[6:7]
	s_wait_loadcnt 0x0
	v_pk_mul_f32 v[14:15], v[2:3], v[2:3] neg_lo:[0,1] neg_hi:[0,1]
	v_add_f32_e64 v1, |v2|, 2.0
	v_add_f32_e64 v23, |v3|, 2.0
	v_pk_mul_f32 v[18:19], v[4:5], v[4:5] neg_lo:[0,1] neg_hi:[0,1]
	v_and_b32_e32 v16, 0x7fffffff, v2
	v_and_b32_e32 v17, 0x7fffffff, v3
	v_mul_f32_e32 v38, 0x3fb8aa3b, v14
	v_rcp_f32_e32 v22, v1
	v_rcp_f32_e32 v23, v23
	v_dual_mul_f32 v1, 0x3fb8aa3b, v15 :: v_dual_mul_f32 v40, 0x3fb8aa3b, v18
	v_mul_f32_e32 v41, 0x3fb8aa3b, v19
	v_pk_add_f32 v[24:25], v[16:17], -2.0 op_sel_hi:[1,0]
	v_pk_add_f32 v[26:27], v[16:17], v[16:17]
	s_delay_alu instid0(VALU_DEP_4)
	v_fma_f32 v47, 0x3fb8aa3b, v15, -v1
	v_rndne_f32_e32 v43, v1
	v_fma_f32 v48, 0x3fb8aa3b, v18, -v40
	v_rndne_f32_e32 v45, v40
	v_fma_f32 v46, 0x3fb8aa3b, v14, -v38
	v_rndne_f32_e32 v39, v38
	v_dual_add_f32 v42, 1.0, v26 :: v_dual_add_f32 v44, 1.0, v27
	v_pk_mul_f32 v[24:25], v[24:25], v[22:23]
	v_fma_f32 v50, 0x3fb8aa3b, v19, -v41
	v_dual_fmac_f32 v47, 0x32a5705f, v15 :: v_dual_fmac_f32 v48, 0x32a5705f, v18
	v_dual_sub_f32 v1, v1, v43 :: v_dual_sub_f32 v56, v40, v45
	v_dual_fmac_f32 v46, 0x32a5705f, v14 :: v_dual_sub_f32 v53, v38, v39
	v_rcp_f32_e32 v38, v42
	v_cvt_i32_f32_e32 v55, v43
	v_pk_add_f32 v[42:43], v[24:25], 1.0 op_sel_hi:[1,0]
	v_fmac_f32_e32 v50, 0x32a5705f, v19
	v_cmp_ngt_f32_e64 s3, 0xc2ce8ed0, v18
	v_dual_add_f32 v1, v1, v47 :: v_dual_add_f32 v47, v56, v48
	s_delay_alu instid0(VALU_DEP_4)
	v_pk_fma_f32 v[42:43], v[42:43], -2.0, v[16:17] op_sel_hi:[1,0,1]
	v_cvt_i32_f32_e32 v57, v45
	v_add_f32_e64 v30, |v4|, 2.0
	v_add_f32_e64 v31, |v5|, 2.0
	v_exp_f32_e32 v47, v47
	v_pk_fma_f32 v[16:17], v[24:25], v[16:17], v[42:43] neg_lo:[1,0,0] neg_hi:[1,0,0]
	v_and_b32_e32 v20, 0x7fffffff, v4
	v_and_b32_e32 v21, 0x7fffffff, v5
	v_rcp_f32_e32 v30, v30
	v_rcp_f32_e32 v31, v31
	v_pk_fma_f32 v[16:17], v[22:23], v[16:17], v[24:25]
	v_ldexp_f32 v24, v47, v57
	v_pk_add_f32 v[32:33], v[20:21], -2.0 op_sel_hi:[1,0]
	v_cmp_ngt_f32_e64 s2, 0xc2ce8ed0, v15
	v_pk_add_f32 v[34:35], v[20:21], v[20:21]
	v_cvt_i32_f32_e32 v54, v39
	v_cndmask_b32_e64 v24, 0, v24, s3
	v_exp_f32_e32 v1, v1
	v_pk_mul_f32 v[32:33], v[32:33], v[30:31]
	v_rcp_f32_e32 v39, v44
	v_dual_add_f32 v49, 1.0, v34 :: v_dual_add_f32 v52, 1.0, v35
	v_rndne_f32_e32 v51, v41
	s_delay_alu instid0(VALU_DEP_3) | instskip(NEXT) | instid1(TRANS32_DEP_2)
	v_pk_add_f32 v[44:45], v[32:33], 1.0 op_sel_hi:[1,0]
	v_ldexp_f32 v1, v1, v55
	v_add_f32_e32 v46, v53, v46
	v_rcp_f32_e32 v40, v49
	v_cmp_ngt_f32_e64 s5, 0xc2ce8ed0, v14
	v_pk_fma_f32 v[44:45], v[44:45], -2.0, v[20:21] op_sel_hi:[1,0,1]
	v_cndmask_b32_e64 v1, 0, v1, s2
	v_exp_f32_e32 v46, v46
	v_cmp_ngt_f32_e64 s4, 0xc2ce8ed0, v19
	v_pk_fma_f32 v[36:37], v[4:5], v[4:5], v[18:19] neg_lo:[1,0,1] neg_hi:[1,0,1]
	v_pk_fma_f32 v[20:21], v[32:33], v[20:21], v[44:45] neg_lo:[1,0,0] neg_hi:[1,0,0]
	v_pk_fma_f32 v[22:23], v[16:17], s[20:21], s[18:19] op_sel_hi:[1,0,0]
	v_cmp_nlt_f32_e64 s3, 0x42b17218, v18
	v_cmp_nlt_f32_e64 s2, 0x42b17218, v15
	v_ldexp_f32 v42, v46, v54
	v_sub_f32_e32 v49, v41, v51
	v_pk_fma_f32 v[20:21], v[30:31], v[20:21], v[32:33]
	v_cvt_i32_f32_e32 v51, v51
	v_pk_fma_f32 v[22:23], v[16:17], v[22:23], s[22:23] op_sel_hi:[1,1,0]
	v_cndmask_b32_e64 v30, 0, v42, s5
	v_add_f32_e32 v48, v49, v50
	v_rcp_f32_e32 v41, v52
	v_cmp_nlt_f32_e64 s5, 0x42b17218, v14
	v_pk_fma_f32 v[22:23], v[16:17], v[22:23], s[24:25] op_sel_hi:[1,1,0]
	v_pk_fma_f32 v[28:29], v[2:3], v[2:3], v[14:15] neg_lo:[1,0,1] neg_hi:[1,0,1]
	v_exp_f32_e32 v48, v48
	v_cndmask_b32_e64 v15, 0x7f800000, v1, s2
	v_cndmask_b32_e64 v14, 0x7f800000, v30, s5
	v_pk_fma_f32 v[22:23], v[16:17], v[22:23], s[26:27] op_sel_hi:[1,1,0]
	v_cndmask_b32_e64 v24, 0x7f800000, v24, s3
	v_cmp_nlt_f32_e64 s2, 0x4120ddfc, |v2|
	v_cmp_nlt_f32_e64 s3, 0x4120ddfc, |v5|
	v_ldexp_f32 v25, v48, v51
	v_pk_fma_f32 v[22:23], v[16:17], v[22:23], s[28:29] op_sel_hi:[1,1,0]
	v_pk_fma_f32 v[14:15], v[14:15], v[28:29], v[14:15]
	v_cmp_nlt_f32_e64 s5, 0x4120ddfc, |v3|
	s_delay_alu instid0(VALU_DEP_4)
	v_cndmask_b32_e64 v25, 0, v25, s4
	v_cmp_nlt_f32_e64 s4, 0x42b17218, v19
	v_pk_fma_f32 v[18:19], v[20:21], s[20:21], s[18:19] op_sel_hi:[1,0,0]
	v_pk_fma_f32 v[22:23], v[16:17], v[22:23], s[30:31] op_sel_hi:[1,1,0]
	s_or_b32 s21, vcc_lo, s21
	v_cndmask_b32_e64 v25, 0x7f800000, v25, s4
	s_delay_alu instid0(VALU_DEP_3) | instskip(NEXT) | instid1(VALU_DEP_3)
	v_pk_fma_f32 v[18:19], v[20:21], v[18:19], s[22:23] op_sel_hi:[1,1,0]
	v_pk_fma_f32 v[22:23], v[16:17], v[22:23], s[34:35] op_sel_hi:[1,1,0]
	v_cmp_nlt_f32_e64 s4, 0x4120ddfc, |v4|
	s_delay_alu instid0(VALU_DEP_4) | instskip(NEXT) | instid1(VALU_DEP_4)
	v_pk_fma_f32 v[24:25], v[24:25], v[36:37], v[24:25]
	v_pk_fma_f32 v[18:19], v[20:21], v[18:19], s[24:25] op_sel_hi:[1,1,0]
	s_delay_alu instid0(VALU_DEP_4) | instskip(NEXT) | instid1(VALU_DEP_2)
	v_pk_fma_f32 v[22:23], v[16:17], v[22:23], s[36:37] op_sel_hi:[1,1,0]
	v_pk_fma_f32 v[18:19], v[20:21], v[18:19], s[26:27] op_sel_hi:[1,1,0]
	s_delay_alu instid0(VALU_DEP_2) | instskip(NEXT) | instid1(VALU_DEP_2)
	v_pk_fma_f32 v[16:17], v[16:17], v[22:23], s[38:39] op_sel_hi:[1,1,0]
	v_pk_fma_f32 v[18:19], v[20:21], v[18:19], s[28:29] op_sel_hi:[1,1,0]
	s_delay_alu instid0(VALU_DEP_1) | instskip(NEXT) | instid1(VALU_DEP_1)
	v_pk_fma_f32 v[18:19], v[20:21], v[18:19], s[30:31] op_sel_hi:[1,1,0]
	v_pk_fma_f32 v[18:19], v[20:21], v[18:19], s[34:35] op_sel_hi:[1,1,0]
	s_delay_alu instid0(VALU_DEP_1) | instskip(NEXT) | instid1(VALU_DEP_1)
	v_pk_fma_f32 v[18:19], v[20:21], v[18:19], s[36:37] op_sel_hi:[1,1,0]
	v_pk_fma_f32 v[18:19], v[20:21], v[18:19], s[38:39] op_sel_hi:[1,1,0]
	v_pk_fma_f32 v[20:21], v[16:17], v[38:39], v[38:39]
	s_delay_alu instid0(VALU_DEP_2) | instskip(NEXT) | instid1(VALU_DEP_2)
	v_pk_fma_f32 v[22:23], v[18:19], v[40:41], v[40:41]
	v_pk_fma_f32 v[26:27], v[20:21], v[26:27], 1.0 op_sel_hi:[1,1,0] neg_lo:[1,0,0] neg_hi:[1,0,0]
	v_pk_add_f32 v[16:17], v[16:17], v[20:21] neg_lo:[0,1] neg_hi:[0,1]
	s_delay_alu instid0(VALU_DEP_3) | instskip(SKIP_1) | instid1(VALU_DEP_3)
	v_pk_fma_f32 v[28:29], v[22:23], v[34:35], 1.0 op_sel_hi:[1,1,0] neg_lo:[1,0,0] neg_hi:[1,0,0]
	v_pk_add_f32 v[18:19], v[18:19], v[22:23] neg_lo:[0,1] neg_hi:[0,1]
	v_pk_add_f32 v[16:17], v[26:27], v[16:17]
	s_delay_alu instid0(VALU_DEP_2) | instskip(NEXT) | instid1(VALU_DEP_2)
	v_pk_add_f32 v[18:19], v[28:29], v[18:19]
	v_pk_fma_f32 v[16:17], v[38:39], v[16:17], v[20:21]
	s_delay_alu instid0(VALU_DEP_2) | instskip(NEXT) | instid1(VALU_DEP_2)
	v_pk_fma_f32 v[18:19], v[40:41], v[18:19], v[22:23]
	v_pk_mul_f32 v[14:15], v[14:15], v[16:17]
	s_delay_alu instid0(VALU_DEP_2) | instskip(NEXT) | instid1(VALU_DEP_2)
	v_pk_mul_f32 v[16:17], v[24:25], v[18:19]
	v_dual_cndmask_b32 v15, 0, v15, s5 :: v_dual_cndmask_b32 v14, 0, v14, s2
	v_cmp_gt_f32_e64 s2, 0, v2
	v_cmp_gt_f32_e64 s5, 0, v3
	s_delay_alu instid0(VALU_DEP_4) | instskip(NEXT) | instid1(VALU_DEP_4)
	v_dual_cndmask_b32 v17, 0, v17, s3 :: v_dual_cndmask_b32 v16, 0, v16, s4
	v_pk_add_f32 v[18:19], v[14:15], 2.0 op_sel_hi:[1,0] neg_lo:[1,0] neg_hi:[1,0]
	v_cmp_gt_f32_e64 s3, 0, v4
	v_cmp_gt_f32_e64 s4, 0, v5
	s_delay_alu instid0(VALU_DEP_4) | instskip(SKIP_2) | instid1(VALU_DEP_2)
	v_pk_add_f32 v[20:21], v[16:17], 2.0 op_sel_hi:[1,0] neg_lo:[1,0] neg_hi:[1,0]
	s_wait_xcnt 0x0
	v_dual_cndmask_b32 v3, v15, v19, s5 :: v_dual_cndmask_b32 v2, v14, v18, s2
	v_dual_cndmask_b32 v5, v17, v21, s4 :: v_dual_cndmask_b32 v4, v16, v20, s3
	global_store_b128 v[12:13], v[2:5], off
	s_wait_xcnt 0x0
	s_and_not1_b32 exec_lo, exec_lo, s21
	s_cbranch_execnz .LBB1_3
.LBB1_4:
	s_or_b32 exec_lo, exec_lo, s19
	s_mov_b32 s2, 0
.LBB1_5:
	s_delay_alu instid0(SALU_CYCLE_1)
	s_and_not1_b32 vcc_lo, exec_lo, s2
	s_cbranch_vccnz .LBB1_25
; %bb.6:
	v_cmp_lt_i64_e64 s2, s[12:13], 1
	s_and_b32 vcc_lo, exec_lo, s2
	s_cbranch_vccnz .LBB1_25
; %bb.7:
	s_load_b32 s0, s[0:1], 0xc5c
	v_min_i64 v[2:3], 0x10000, s[12:13]
	v_min_u64 v[4:5], 0x10000, s[12:13]
	v_dual_mov_b32 v1, 0 :: v_dual_lshlrev_b32 v12, 2, v0
	s_wait_xcnt 0x0
	s_mov_b32 s1, 0
	s_delay_alu instid0(SALU_CYCLE_1) | instskip(NEXT) | instid1(VALU_DEP_1)
	s_mov_b32 s5, s1
	v_dual_mov_b32 v13, v1 :: v_dual_mov_b32 v27, v1
	s_mov_b32 s3, s1
	s_mov_b32 s13, s1
	s_delay_alu instid0(VALU_DEP_1) | instskip(SKIP_3) | instid1(SALU_CYCLE_1)
	v_add_nc_u64_e32 v[6:7], s[8:9], v[12:13]
	v_add_nc_u64_e32 v[8:9], s[10:11], v[12:13]
	s_wait_kmcnt 0x0
	s_and_b32 s0, s0, 0xffff
	v_add_nc_u64_e32 v[10:11], s[0:1], v[0:1]
	v_mad_nc_u64_u32 v[22:23], s0, 12, v[12:13]
	s_lshl_b32 s4, s0, 3
	s_lshl_b32 s2, s0, 1
	v_add_nc_u64_e32 v[18:19], s[4:5], v[12:13]
	s_mul_i32 s12, s0, 3
	v_add_nc_u64_e32 v[14:15], s[2:3], v[0:1]
	v_lshlrev_b32_e32 v26, 2, v10
	v_add_nc_u64_e32 v[12:13], s[12:13], v[0:1]
	s_lshl_b32 s4, s0, 2
	s_mov_b32 s3, 0xb9d6f8c4
	v_add_nc_u64_e32 v[16:17], s[8:9], v[18:19]
	v_add_nc_u64_e32 v[18:19], s[10:11], v[18:19]
	;; [unrolled: 1-line block ×6, first 2 shown]
	s_lshl_b32 s8, s0, 4
	s_mov_b32 s9, s1
	s_mov_b64 s[10:11], 0
	s_branch .LBB1_9
.LBB1_8:                                ;   in Loop: Header=BB1_9 Depth=1
	s_wait_xcnt 0x0
	s_or_b32 exec_lo, exec_lo, s0
	s_add_nc_u64 s[10:11], s[10:11], s[4:5]
	v_add_nc_u64_e32 v[6:7], s[8:9], v[6:7]
	v_cmp_ge_i64_e32 vcc_lo, s[10:11], v[2:3]
	v_add_nc_u64_e32 v[8:9], s[8:9], v[8:9]
	v_add_nc_u64_e32 v[20:21], s[8:9], v[20:21]
	;; [unrolled: 1-line block ×7, first 2 shown]
	s_cbranch_vccnz .LBB1_25
.LBB1_9:                                ; =>This Inner Loop Header: Depth=1
	s_wait_loadcnt 0x0
	v_add_nc_u64_e32 v[28:29], s[10:11], v[0:1]
	v_mov_b32_e32 v31, 0
	s_delay_alu instid0(VALU_DEP_2)
	v_cmp_lt_u64_e64 s2, v[28:29], v[4:5]
	s_and_saveexec_b32 s0, s2
	s_cbranch_execz .LBB1_11
; %bb.10:                               ;   in Loop: Header=BB1_9 Depth=1
	v_add_nc_u64_e32 v[28:29], s[6:7], v[6:7]
	global_load_b32 v31, v[28:29], off
.LBB1_11:                               ;   in Loop: Header=BB1_9 Depth=1
	s_wait_xcnt 0x0
	s_or_b32 exec_lo, exec_lo, s0
	v_add_nc_u64_e32 v[28:29], s[10:11], v[10:11]
	v_mov_b32_e32 v30, 0
	s_delay_alu instid0(VALU_DEP_2)
	v_cmp_lt_u64_e64 s1, v[28:29], v[4:5]
	v_mov_b32_e32 v29, 0
	s_and_saveexec_b32 s0, s1
	s_cbranch_execz .LBB1_13
; %bb.12:                               ;   in Loop: Header=BB1_9 Depth=1
	v_add_nc_u64_e32 v[32:33], s[6:7], v[24:25]
	global_load_b32 v30, v[32:33], off
.LBB1_13:                               ;   in Loop: Header=BB1_9 Depth=1
	s_wait_xcnt 0x0
	s_or_b32 exec_lo, exec_lo, s0
	v_add_nc_u64_e32 v[32:33], s[10:11], v[14:15]
	s_delay_alu instid0(VALU_DEP_1)
	v_cmp_lt_u64_e64 s0, v[32:33], v[4:5]
	s_and_saveexec_b32 s12, s0
	s_cbranch_execz .LBB1_15
; %bb.14:                               ;   in Loop: Header=BB1_9 Depth=1
	v_add_nc_u64_e32 v[28:29], s[6:7], v[16:17]
	global_load_b32 v29, v[28:29], off
.LBB1_15:                               ;   in Loop: Header=BB1_9 Depth=1
	s_wait_xcnt 0x0
	s_or_b32 exec_lo, exec_lo, s12
	v_add_nc_u64_e32 v[32:33], s[10:11], v[12:13]
	v_mov_b32_e32 v28, 0
	s_delay_alu instid0(VALU_DEP_2)
	v_cmp_lt_u64_e32 vcc_lo, v[32:33], v[4:5]
	s_and_saveexec_b32 s12, vcc_lo
	s_cbranch_execnz .LBB1_20
; %bb.16:                               ;   in Loop: Header=BB1_9 Depth=1
	s_or_b32 exec_lo, exec_lo, s12
	s_and_saveexec_b32 s12, s2
	s_cbranch_execnz .LBB1_21
.LBB1_17:                               ;   in Loop: Header=BB1_9 Depth=1
	s_or_b32 exec_lo, exec_lo, s12
	s_and_saveexec_b32 s2, s1
	s_cbranch_execnz .LBB1_22
.LBB1_18:                               ;   in Loop: Header=BB1_9 Depth=1
	s_or_b32 exec_lo, exec_lo, s2
	s_and_saveexec_b32 s1, s0
	s_cbranch_execnz .LBB1_23
.LBB1_19:                               ;   in Loop: Header=BB1_9 Depth=1
	s_or_b32 exec_lo, exec_lo, s1
	s_and_saveexec_b32 s0, vcc_lo
	s_cbranch_execz .LBB1_8
	s_branch .LBB1_24
.LBB1_20:                               ;   in Loop: Header=BB1_9 Depth=1
	v_add_nc_u64_e32 v[32:33], s[6:7], v[20:21]
	global_load_b32 v28, v[32:33], off
	s_wait_xcnt 0x0
	s_or_b32 exec_lo, exec_lo, s12
	s_and_saveexec_b32 s12, s2
	s_cbranch_execz .LBB1_17
.LBB1_21:                               ;   in Loop: Header=BB1_9 Depth=1
	s_wait_loadcnt 0x0
	v_add_f32_e64 v32, |v31|, 2.0
	v_add_f32_e64 v33, |v31|, -2.0
	v_add_f32_e64 v38, |v31|, |v31|
	v_mul_f32_e64 v36, v31, -v31
	s_delay_alu instid0(VALU_DEP_4) | instskip(NEXT) | instid1(VALU_DEP_1)
	v_rcp_f32_e32 v32, v32
	v_cmp_ngt_f32_e64 s2, 0xc2ce8ed0, v36
	s_delay_alu instid0(TRANS32_DEP_1) | instskip(NEXT) | instid1(VALU_DEP_1)
	v_mul_f32_e32 v34, v33, v32
	v_add_f32_e32 v33, 1.0, v34
	s_delay_alu instid0(VALU_DEP_1) | instskip(NEXT) | instid1(VALU_DEP_1)
	v_fma_f32 v33, v33, -2.0, |v31|
	v_fma_f32 v33, -v34, |v31|, v33
	s_delay_alu instid0(VALU_DEP_1) | instskip(NEXT) | instid1(VALU_DEP_1)
	v_dual_fmac_f32 v34, v32, v33 :: v_dual_mul_f32 v33, 0x3fb8aa3b, v36
	v_fmaak_f32 v32, s3, v34, 0xbaa2d753
	s_delay_alu instid0(VALU_DEP_2) | instskip(SKIP_1) | instid1(VALU_DEP_2)
	v_rndne_f32_e32 v35, v33
	v_fma_f32 v37, 0x3fb8aa3b, v36, -v33
	v_dual_fmaak_f32 v32, v34, v32, 0x3aad2fb4 :: v_dual_sub_f32 v33, v33, v35
	s_delay_alu instid0(VALU_DEP_2) | instskip(SKIP_1) | instid1(VALU_DEP_2)
	v_fmac_f32_e32 v37, 0x32a5705f, v36
	v_cvt_i32_f32_e32 v35, v35
	v_dual_fmaak_f32 v32, v34, v32, 0x3c0da267 :: v_dual_add_f32 v33, v33, v37
	s_delay_alu instid0(VALU_DEP_1) | instskip(NEXT) | instid1(VALU_DEP_2)
	v_dual_add_f32 v37, 1.0, v38 :: v_dual_fmaak_f32 v32, v34, v32, 0xbc0415b1
	v_exp_f32_e32 v39, v33
	s_delay_alu instid0(VALU_DEP_1) | instskip(NEXT) | instid1(VALU_DEP_1)
	v_rcp_f32_e32 v33, v37
	v_fmaak_f32 v32, v34, v32, 0xbd5e0a18
	s_delay_alu instid0(VALU_DEP_1) | instskip(NEXT) | instid1(VALU_DEP_1)
	v_fmaak_f32 v32, v34, v32, 0x3e27fe2a
	v_fmaak_f32 v32, v34, v32, 0xbe2a03fd
	s_delay_alu instid0(VALU_DEP_1) | instskip(NEXT) | instid1(VALU_DEP_1)
	v_fmaak_f32 v32, v34, v32, 0xbdbdfb0b
	v_fmaak_f32 v32, v34, v32, 0x3e8dd01c
	v_ldexp_f32 v34, v39, v35
	s_delay_alu instid0(VALU_DEP_1) | instskip(SKIP_1) | instid1(VALU_DEP_2)
	v_dual_fma_f32 v35, v32, v33, v33 :: v_dual_cndmask_b32 v34, 0, v34, s2
	v_cmp_nlt_f32_e64 s2, 0x42b17218, v36
	v_fma_f32 v37, -v35, v38, 1.0
	v_sub_f32_e32 v38, v32, v35
	s_delay_alu instid0(VALU_DEP_3) | instskip(SKIP_2) | instid1(VALU_DEP_3)
	v_cndmask_b32_e64 v32, 0x7f800000, v34, s2
	v_fma_f32 v36, -v31, v31, -v36
	v_cmp_nlt_f32_e64 s2, 0x4120ddfc, |v31|
	v_dual_add_f32 v37, v37, v38 :: v_dual_mov_b32 v34, v32
	s_delay_alu instid0(VALU_DEP_1) | instskip(NEXT) | instid1(VALU_DEP_1)
	v_pk_fma_f32 v[32:33], v[32:33], v[36:37], v[34:35]
	v_mul_f32_e32 v32, v32, v33
	s_delay_alu instid0(VALU_DEP_1) | instskip(SKIP_2) | instid1(VALU_DEP_3)
	v_cndmask_b32_e64 v34, 0, v32, s2
	v_cmp_gt_f32_e64 s2, 0, v31
	v_add_nc_u64_e32 v[32:33], s[6:7], v[8:9]
	v_sub_f32_e32 v35, 2.0, v34
	s_delay_alu instid0(VALU_DEP_1)
	v_cndmask_b32_e64 v31, v34, v35, s2
	global_store_b32 v[32:33], v31, off
	s_wait_xcnt 0x0
	s_or_b32 exec_lo, exec_lo, s12
	s_and_saveexec_b32 s2, s1
	s_cbranch_execz .LBB1_18
.LBB1_22:                               ;   in Loop: Header=BB1_9 Depth=1
	s_wait_loadcnt 0x0
	v_add_f32_e64 v31, |v30|, 2.0
	v_add_f32_e64 v32, |v30|, -2.0
	v_add_f32_e64 v37, |v30|, |v30|
	s_delay_alu instid0(VALU_DEP_3) | instskip(SKIP_1) | instid1(TRANS32_DEP_1)
	v_rcp_f32_e32 v31, v31
	v_nop
	v_mul_f32_e32 v32, v32, v31
	s_delay_alu instid0(VALU_DEP_1) | instskip(NEXT) | instid1(VALU_DEP_1)
	v_add_f32_e32 v33, 1.0, v32
	v_fma_f32 v33, v33, -2.0, |v30|
	s_delay_alu instid0(VALU_DEP_1) | instskip(NEXT) | instid1(VALU_DEP_1)
	v_fma_f32 v33, -v32, |v30|, v33
	v_dual_fmac_f32 v32, v31, v33 :: v_dual_mul_f32 v33, v30, -v30
	s_delay_alu instid0(VALU_DEP_1) | instskip(SKIP_1) | instid1(VALU_DEP_2)
	v_mul_f32_e32 v34, 0x3fb8aa3b, v33
	v_cmp_ngt_f32_e64 s1, 0xc2ce8ed0, v33
	v_rndne_f32_e32 v35, v34
	v_fma_f32 v36, 0x3fb8aa3b, v33, -v34
	s_delay_alu instid0(VALU_DEP_2) | instskip(NEXT) | instid1(VALU_DEP_2)
	v_sub_f32_e32 v34, v34, v35
	v_fmac_f32_e32 v36, 0x32a5705f, v33
	v_cvt_i32_f32_e32 v35, v35
	s_delay_alu instid0(VALU_DEP_2) | instskip(SKIP_1) | instid1(VALU_DEP_2)
	v_add_f32_e32 v34, v34, v36
	v_dual_fmaak_f32 v31, s3, v32, 0xbaa2d753 :: v_dual_add_f32 v36, 1.0, v37
	v_exp_f32_e32 v34, v34
	s_delay_alu instid0(VALU_DEP_1) | instskip(NEXT) | instid1(VALU_DEP_2)
	v_fmaak_f32 v31, v32, v31, 0x3aad2fb4
	v_rcp_f32_e32 v36, v36
	s_delay_alu instid0(VALU_DEP_1) | instskip(NEXT) | instid1(VALU_DEP_1)
	v_fmaak_f32 v31, v32, v31, 0x3c0da267
	v_fmaak_f32 v31, v32, v31, 0xbc0415b1
	s_delay_alu instid0(VALU_DEP_1) | instskip(NEXT) | instid1(VALU_DEP_1)
	v_fmaak_f32 v31, v32, v31, 0xbd5e0a18
	v_fmaak_f32 v31, v32, v31, 0x3e27fe2a
	;; [unrolled: 3-line block ×3, first 2 shown]
	s_delay_alu instid0(VALU_DEP_1) | instskip(SKIP_1) | instid1(VALU_DEP_2)
	v_fmaak_f32 v31, v32, v31, 0x3e8dd01c
	v_ldexp_f32 v32, v34, v35
	v_fma_f32 v34, v31, v36, v36
	s_delay_alu instid0(VALU_DEP_1) | instskip(SKIP_2) | instid1(VALU_DEP_1)
	v_fma_f32 v35, -v34, v37, 1.0
	v_fma_f32 v37, -v30, v30, -v33
	v_sub_f32_e32 v31, v31, v34
	v_dual_add_f32 v31, v35, v31 :: v_dual_cndmask_b32 v32, 0, v32, s1
	v_cmp_nlt_f32_e64 s1, 0x42b17218, v33
	s_delay_alu instid0(VALU_DEP_2) | instskip(NEXT) | instid1(VALU_DEP_2)
	v_fmac_f32_e32 v34, v36, v31
	v_cndmask_b32_e64 v32, 0x7f800000, v32, s1
	v_cmp_nlt_f32_e64 s1, 0x4120ddfc, |v30|
	s_delay_alu instid0(VALU_DEP_2) | instskip(NEXT) | instid1(VALU_DEP_1)
	v_fmac_f32_e32 v32, v32, v37
	v_mul_f32_e32 v31, v32, v34
	v_add_nc_u64_e32 v[32:33], s[6:7], v[26:27]
	s_delay_alu instid0(VALU_DEP_2) | instskip(SKIP_1) | instid1(VALU_DEP_2)
	v_cndmask_b32_e64 v31, 0, v31, s1
	v_cmp_gt_f32_e64 s1, 0, v30
	v_sub_f32_e32 v34, 2.0, v31
	s_delay_alu instid0(VALU_DEP_1)
	v_cndmask_b32_e64 v30, v31, v34, s1
	global_store_b32 v[32:33], v30, off
	s_wait_xcnt 0x0
	s_or_b32 exec_lo, exec_lo, s2
	s_and_saveexec_b32 s1, s0
	s_cbranch_execz .LBB1_19
.LBB1_23:                               ;   in Loop: Header=BB1_9 Depth=1
	s_wait_loadcnt 0x0
	v_add_f32_e64 v30, |v29|, 2.0
	v_add_f32_e64 v31, |v29|, -2.0
	v_add_f32_e64 v36, |v29|, |v29|
	s_delay_alu instid0(VALU_DEP_3) | instskip(SKIP_1) | instid1(TRANS32_DEP_1)
	v_rcp_f32_e32 v30, v30
	v_nop
	v_mul_f32_e32 v31, v31, v30
	s_delay_alu instid0(VALU_DEP_1) | instskip(NEXT) | instid1(VALU_DEP_1)
	v_add_f32_e32 v32, 1.0, v31
	v_fma_f32 v32, v32, -2.0, |v29|
	s_delay_alu instid0(VALU_DEP_1) | instskip(NEXT) | instid1(VALU_DEP_1)
	v_fma_f32 v32, -v31, |v29|, v32
	v_dual_fmac_f32 v31, v30, v32 :: v_dual_mul_f32 v32, v29, -v29
	s_delay_alu instid0(VALU_DEP_1) | instskip(SKIP_1) | instid1(VALU_DEP_2)
	v_mul_f32_e32 v33, 0x3fb8aa3b, v32
	v_cmp_ngt_f32_e64 s0, 0xc2ce8ed0, v32
	v_rndne_f32_e32 v34, v33
	v_fma_f32 v35, 0x3fb8aa3b, v32, -v33
	s_delay_alu instid0(VALU_DEP_2) | instskip(NEXT) | instid1(VALU_DEP_2)
	v_sub_f32_e32 v33, v33, v34
	v_fmac_f32_e32 v35, 0x32a5705f, v32
	v_cvt_i32_f32_e32 v34, v34
	s_delay_alu instid0(VALU_DEP_2) | instskip(SKIP_1) | instid1(VALU_DEP_2)
	v_add_f32_e32 v33, v33, v35
	v_dual_fmaak_f32 v30, s3, v31, 0xbaa2d753 :: v_dual_add_f32 v35, 1.0, v36
	v_exp_f32_e32 v33, v33
	s_delay_alu instid0(VALU_DEP_1) | instskip(NEXT) | instid1(VALU_DEP_2)
	v_fmaak_f32 v30, v31, v30, 0x3aad2fb4
	v_rcp_f32_e32 v35, v35
	s_delay_alu instid0(VALU_DEP_1) | instskip(NEXT) | instid1(VALU_DEP_1)
	v_fmaak_f32 v30, v31, v30, 0x3c0da267
	v_fmaak_f32 v30, v31, v30, 0xbc0415b1
	s_delay_alu instid0(VALU_DEP_1) | instskip(NEXT) | instid1(VALU_DEP_1)
	v_fmaak_f32 v30, v31, v30, 0xbd5e0a18
	v_fmaak_f32 v30, v31, v30, 0x3e27fe2a
	;; [unrolled: 3-line block ×3, first 2 shown]
	s_delay_alu instid0(VALU_DEP_1) | instskip(SKIP_1) | instid1(VALU_DEP_2)
	v_fmaak_f32 v30, v31, v30, 0x3e8dd01c
	v_ldexp_f32 v31, v33, v34
	v_fma_f32 v33, v30, v35, v35
	s_delay_alu instid0(VALU_DEP_1) | instskip(SKIP_2) | instid1(VALU_DEP_1)
	v_fma_f32 v34, -v33, v36, 1.0
	v_fma_f32 v36, -v29, v29, -v32
	v_sub_f32_e32 v30, v30, v33
	v_dual_add_f32 v30, v34, v30 :: v_dual_cndmask_b32 v31, 0, v31, s0
	v_cmp_nlt_f32_e64 s0, 0x42b17218, v32
	s_delay_alu instid0(VALU_DEP_2) | instskip(NEXT) | instid1(VALU_DEP_2)
	v_fmac_f32_e32 v33, v35, v30
	v_cndmask_b32_e64 v31, 0x7f800000, v31, s0
	v_cmp_nlt_f32_e64 s0, 0x4120ddfc, |v29|
	s_delay_alu instid0(VALU_DEP_2) | instskip(NEXT) | instid1(VALU_DEP_1)
	v_fmac_f32_e32 v31, v31, v36
	v_mul_f32_e32 v30, v31, v33
	s_delay_alu instid0(VALU_DEP_1) | instskip(SKIP_2) | instid1(VALU_DEP_3)
	v_cndmask_b32_e64 v32, 0, v30, s0
	v_cmp_gt_f32_e64 s0, 0, v29
	v_add_nc_u64_e32 v[30:31], s[6:7], v[18:19]
	v_sub_f32_e32 v33, 2.0, v32
	s_delay_alu instid0(VALU_DEP_1)
	v_cndmask_b32_e64 v29, v32, v33, s0
	global_store_b32 v[30:31], v29, off
	s_wait_xcnt 0x0
	s_or_b32 exec_lo, exec_lo, s1
	s_and_saveexec_b32 s0, vcc_lo
	s_cbranch_execz .LBB1_8
.LBB1_24:                               ;   in Loop: Header=BB1_9 Depth=1
	s_wait_loadcnt 0x0
	v_add_f32_e64 v29, |v28|, 2.0
	v_add_f32_e64 v30, |v28|, -2.0
	v_add_f32_e64 v35, |v28|, |v28|
	s_delay_alu instid0(VALU_DEP_3) | instskip(SKIP_1) | instid1(TRANS32_DEP_1)
	v_rcp_f32_e32 v29, v29
	v_nop
	v_mul_f32_e32 v30, v30, v29
	s_delay_alu instid0(VALU_DEP_1) | instskip(NEXT) | instid1(VALU_DEP_1)
	v_add_f32_e32 v31, 1.0, v30
	v_fma_f32 v31, v31, -2.0, |v28|
	s_delay_alu instid0(VALU_DEP_1) | instskip(NEXT) | instid1(VALU_DEP_1)
	v_fma_f32 v31, -v30, |v28|, v31
	v_dual_fmac_f32 v30, v29, v31 :: v_dual_mul_f32 v31, v28, -v28
	s_delay_alu instid0(VALU_DEP_1) | instskip(SKIP_1) | instid1(VALU_DEP_2)
	v_mul_f32_e32 v32, 0x3fb8aa3b, v31
	v_cmp_ngt_f32_e32 vcc_lo, 0xc2ce8ed0, v31
	v_rndne_f32_e32 v33, v32
	v_fma_f32 v34, 0x3fb8aa3b, v31, -v32
	s_delay_alu instid0(VALU_DEP_2) | instskip(NEXT) | instid1(VALU_DEP_2)
	v_sub_f32_e32 v32, v32, v33
	v_fmac_f32_e32 v34, 0x32a5705f, v31
	v_cvt_i32_f32_e32 v33, v33
	s_delay_alu instid0(VALU_DEP_2) | instskip(SKIP_1) | instid1(VALU_DEP_2)
	v_add_f32_e32 v32, v32, v34
	v_dual_fmaak_f32 v29, s3, v30, 0xbaa2d753 :: v_dual_add_f32 v34, 1.0, v35
	v_exp_f32_e32 v32, v32
	s_delay_alu instid0(VALU_DEP_1) | instskip(NEXT) | instid1(VALU_DEP_2)
	v_fmaak_f32 v29, v30, v29, 0x3aad2fb4
	v_rcp_f32_e32 v34, v34
	s_delay_alu instid0(VALU_DEP_1) | instskip(NEXT) | instid1(VALU_DEP_1)
	v_fmaak_f32 v29, v30, v29, 0x3c0da267
	v_fmaak_f32 v29, v30, v29, 0xbc0415b1
	s_delay_alu instid0(VALU_DEP_1) | instskip(NEXT) | instid1(VALU_DEP_1)
	v_fmaak_f32 v29, v30, v29, 0xbd5e0a18
	v_fmaak_f32 v29, v30, v29, 0x3e27fe2a
	;; [unrolled: 3-line block ×3, first 2 shown]
	s_delay_alu instid0(VALU_DEP_1) | instskip(SKIP_1) | instid1(VALU_DEP_2)
	v_fmaak_f32 v29, v30, v29, 0x3e8dd01c
	v_ldexp_f32 v30, v32, v33
	v_fma_f32 v32, v29, v34, v34
	s_delay_alu instid0(VALU_DEP_2) | instskip(SKIP_1) | instid1(VALU_DEP_3)
	v_cndmask_b32_e32 v30, 0, v30, vcc_lo
	v_cmp_nlt_f32_e32 vcc_lo, 0x42b17218, v31
	v_fma_f32 v33, -v32, v35, 1.0
	v_fma_f32 v35, -v28, v28, -v31
	s_delay_alu instid0(VALU_DEP_4) | instskip(SKIP_1) | instid1(VALU_DEP_2)
	v_dual_sub_f32 v29, v29, v32 :: v_dual_cndmask_b32 v30, 0x7f800000, v30
	v_cmp_nlt_f32_e64 vcc_lo, 0x4120ddfc, |v28|
	v_dual_add_f32 v29, v33, v29 :: v_dual_fmac_f32 v30, v30, v35
	s_delay_alu instid0(VALU_DEP_1) | instskip(NEXT) | instid1(VALU_DEP_1)
	v_fmac_f32_e32 v32, v34, v29
	v_mul_f32_e32 v29, v30, v32
	v_add_nc_u64_e32 v[30:31], s[6:7], v[22:23]
	s_delay_alu instid0(VALU_DEP_2) | instskip(SKIP_1) | instid1(VALU_DEP_2)
	v_cndmask_b32_e32 v29, 0, v29, vcc_lo
	v_cmp_gt_f32_e32 vcc_lo, 0, v28
	v_sub_f32_e32 v32, 2.0, v29
	s_delay_alu instid0(VALU_DEP_1)
	v_cndmask_b32_e32 v28, v29, v32, vcc_lo
	global_store_b32 v[30:31], v28, off
	s_branch .LBB1_8
.LBB1_25:
	s_endpgm
	.section	.rodata,"a",@progbits
	.p2align	6, 0x0
	.amdhsa_kernel _ZN2at6native12_GLOBAL__N_125multi_tensor_apply_kernelINS1_18TensorListMetadataILi2EEENS1_14UnaryOpFunctorIfLi2ELi1ELi1EEEJNS0_4ErfcIfEEEEEvT_T0_DpT1_
		.amdhsa_group_segment_fixed_size 0
		.amdhsa_private_segment_fixed_size 0
		.amdhsa_kernarg_size 3408
		.amdhsa_user_sgpr_count 2
		.amdhsa_user_sgpr_dispatch_ptr 0
		.amdhsa_user_sgpr_queue_ptr 0
		.amdhsa_user_sgpr_kernarg_segment_ptr 1
		.amdhsa_user_sgpr_dispatch_id 0
		.amdhsa_user_sgpr_kernarg_preload_length 0
		.amdhsa_user_sgpr_kernarg_preload_offset 0
		.amdhsa_user_sgpr_private_segment_size 0
		.amdhsa_wavefront_size32 1
		.amdhsa_uses_dynamic_stack 0
		.amdhsa_enable_private_segment 0
		.amdhsa_system_sgpr_workgroup_id_x 1
		.amdhsa_system_sgpr_workgroup_id_y 0
		.amdhsa_system_sgpr_workgroup_id_z 0
		.amdhsa_system_sgpr_workgroup_info 0
		.amdhsa_system_vgpr_workitem_id 0
		.amdhsa_next_free_vgpr 58
		.amdhsa_next_free_sgpr 42
		.amdhsa_named_barrier_count 0
		.amdhsa_reserve_vcc 1
		.amdhsa_float_round_mode_32 0
		.amdhsa_float_round_mode_16_64 0
		.amdhsa_float_denorm_mode_32 3
		.amdhsa_float_denorm_mode_16_64 3
		.amdhsa_fp16_overflow 0
		.amdhsa_memory_ordered 1
		.amdhsa_forward_progress 1
		.amdhsa_inst_pref_size 30
		.amdhsa_round_robin_scheduling 0
		.amdhsa_exception_fp_ieee_invalid_op 0
		.amdhsa_exception_fp_denorm_src 0
		.amdhsa_exception_fp_ieee_div_zero 0
		.amdhsa_exception_fp_ieee_overflow 0
		.amdhsa_exception_fp_ieee_underflow 0
		.amdhsa_exception_fp_ieee_inexact 0
		.amdhsa_exception_int_div_zero 0
	.end_amdhsa_kernel
	.section	.text._ZN2at6native12_GLOBAL__N_125multi_tensor_apply_kernelINS1_18TensorListMetadataILi2EEENS1_14UnaryOpFunctorIfLi2ELi1ELi1EEEJNS0_4ErfcIfEEEEEvT_T0_DpT1_,"axG",@progbits,_ZN2at6native12_GLOBAL__N_125multi_tensor_apply_kernelINS1_18TensorListMetadataILi2EEENS1_14UnaryOpFunctorIfLi2ELi1ELi1EEEJNS0_4ErfcIfEEEEEvT_T0_DpT1_,comdat
.Lfunc_end1:
	.size	_ZN2at6native12_GLOBAL__N_125multi_tensor_apply_kernelINS1_18TensorListMetadataILi2EEENS1_14UnaryOpFunctorIfLi2ELi1ELi1EEEJNS0_4ErfcIfEEEEEvT_T0_DpT1_, .Lfunc_end1-_ZN2at6native12_GLOBAL__N_125multi_tensor_apply_kernelINS1_18TensorListMetadataILi2EEENS1_14UnaryOpFunctorIfLi2ELi1ELi1EEEJNS0_4ErfcIfEEEEEvT_T0_DpT1_
                                        ; -- End function
	.set _ZN2at6native12_GLOBAL__N_125multi_tensor_apply_kernelINS1_18TensorListMetadataILi2EEENS1_14UnaryOpFunctorIfLi2ELi1ELi1EEEJNS0_4ErfcIfEEEEEvT_T0_DpT1_.num_vgpr, 58
	.set _ZN2at6native12_GLOBAL__N_125multi_tensor_apply_kernelINS1_18TensorListMetadataILi2EEENS1_14UnaryOpFunctorIfLi2ELi1ELi1EEEJNS0_4ErfcIfEEEEEvT_T0_DpT1_.num_agpr, 0
	.set _ZN2at6native12_GLOBAL__N_125multi_tensor_apply_kernelINS1_18TensorListMetadataILi2EEENS1_14UnaryOpFunctorIfLi2ELi1ELi1EEEJNS0_4ErfcIfEEEEEvT_T0_DpT1_.numbered_sgpr, 42
	.set _ZN2at6native12_GLOBAL__N_125multi_tensor_apply_kernelINS1_18TensorListMetadataILi2EEENS1_14UnaryOpFunctorIfLi2ELi1ELi1EEEJNS0_4ErfcIfEEEEEvT_T0_DpT1_.num_named_barrier, 0
	.set _ZN2at6native12_GLOBAL__N_125multi_tensor_apply_kernelINS1_18TensorListMetadataILi2EEENS1_14UnaryOpFunctorIfLi2ELi1ELi1EEEJNS0_4ErfcIfEEEEEvT_T0_DpT1_.private_seg_size, 0
	.set _ZN2at6native12_GLOBAL__N_125multi_tensor_apply_kernelINS1_18TensorListMetadataILi2EEENS1_14UnaryOpFunctorIfLi2ELi1ELi1EEEJNS0_4ErfcIfEEEEEvT_T0_DpT1_.uses_vcc, 1
	.set _ZN2at6native12_GLOBAL__N_125multi_tensor_apply_kernelINS1_18TensorListMetadataILi2EEENS1_14UnaryOpFunctorIfLi2ELi1ELi1EEEJNS0_4ErfcIfEEEEEvT_T0_DpT1_.uses_flat_scratch, 0
	.set _ZN2at6native12_GLOBAL__N_125multi_tensor_apply_kernelINS1_18TensorListMetadataILi2EEENS1_14UnaryOpFunctorIfLi2ELi1ELi1EEEJNS0_4ErfcIfEEEEEvT_T0_DpT1_.has_dyn_sized_stack, 0
	.set _ZN2at6native12_GLOBAL__N_125multi_tensor_apply_kernelINS1_18TensorListMetadataILi2EEENS1_14UnaryOpFunctorIfLi2ELi1ELi1EEEJNS0_4ErfcIfEEEEEvT_T0_DpT1_.has_recursion, 0
	.set _ZN2at6native12_GLOBAL__N_125multi_tensor_apply_kernelINS1_18TensorListMetadataILi2EEENS1_14UnaryOpFunctorIfLi2ELi1ELi1EEEJNS0_4ErfcIfEEEEEvT_T0_DpT1_.has_indirect_call, 0
	.section	.AMDGPU.csdata,"",@progbits
; Kernel info:
; codeLenInByte = 3792
; TotalNumSgprs: 44
; NumVgprs: 58
; ScratchSize: 0
; MemoryBound: 0
; FloatMode: 240
; IeeeMode: 1
; LDSByteSize: 0 bytes/workgroup (compile time only)
; SGPRBlocks: 0
; VGPRBlocks: 3
; NumSGPRsForWavesPerEU: 44
; NumVGPRsForWavesPerEU: 58
; NamedBarCnt: 0
; Occupancy: 16
; WaveLimiterHint : 0
; COMPUTE_PGM_RSRC2:SCRATCH_EN: 0
; COMPUTE_PGM_RSRC2:USER_SGPR: 2
; COMPUTE_PGM_RSRC2:TRAP_HANDLER: 0
; COMPUTE_PGM_RSRC2:TGID_X_EN: 1
; COMPUTE_PGM_RSRC2:TGID_Y_EN: 0
; COMPUTE_PGM_RSRC2:TGID_Z_EN: 0
; COMPUTE_PGM_RSRC2:TIDIG_COMP_CNT: 0
	.section	.text._ZN2at6native12_GLOBAL__N_125multi_tensor_apply_kernelINS1_18TensorListMetadataILi2EEENS1_14UnaryOpFunctorIN3c104HalfELi2ELi1ELi1EEEJNS0_4ErfcIfEEEEEvT_T0_DpT1_,"axG",@progbits,_ZN2at6native12_GLOBAL__N_125multi_tensor_apply_kernelINS1_18TensorListMetadataILi2EEENS1_14UnaryOpFunctorIN3c104HalfELi2ELi1ELi1EEEJNS0_4ErfcIfEEEEEvT_T0_DpT1_,comdat
	.globl	_ZN2at6native12_GLOBAL__N_125multi_tensor_apply_kernelINS1_18TensorListMetadataILi2EEENS1_14UnaryOpFunctorIN3c104HalfELi2ELi1ELi1EEEJNS0_4ErfcIfEEEEEvT_T0_DpT1_ ; -- Begin function _ZN2at6native12_GLOBAL__N_125multi_tensor_apply_kernelINS1_18TensorListMetadataILi2EEENS1_14UnaryOpFunctorIN3c104HalfELi2ELi1ELi1EEEJNS0_4ErfcIfEEEEEvT_T0_DpT1_
	.p2align	8
	.type	_ZN2at6native12_GLOBAL__N_125multi_tensor_apply_kernelINS1_18TensorListMetadataILi2EEENS1_14UnaryOpFunctorIN3c104HalfELi2ELi1ELi1EEEJNS0_4ErfcIfEEEEEvT_T0_DpT1_,@function
_ZN2at6native12_GLOBAL__N_125multi_tensor_apply_kernelINS1_18TensorListMetadataILi2EEENS1_14UnaryOpFunctorIN3c104HalfELi2ELi1ELi1EEEJNS0_4ErfcIfEEEEEvT_T0_DpT1_: ; @_ZN2at6native12_GLOBAL__N_125multi_tensor_apply_kernelINS1_18TensorListMetadataILi2EEENS1_14UnaryOpFunctorIN3c104HalfELi2ELi1ELi1EEEJNS0_4ErfcIfEEEEEvT_T0_DpT1_
; %bb.0:
	s_bfe_u32 s2, ttmp6, 0x4000c
	s_and_b32 s3, ttmp6, 15
	s_add_co_i32 s2, s2, 1
	s_getreg_b32 s4, hwreg(HW_REG_IB_STS2, 6, 4)
	s_mul_i32 s2, ttmp9, s2
	s_delay_alu instid0(SALU_CYCLE_1)
	s_add_co_i32 s3, s3, s2
	s_cmp_eq_u32 s4, 0
	s_cselect_b32 s2, ttmp9, s3
	s_mov_b32 s3, 0
	s_load_u8 s13, s[0:1], s2 offset:0x600
	s_add_nc_u64 s[4:5], s[0:1], s[2:3]
	s_mul_u64 s[6:7], s[2:3], 3
	s_delay_alu instid0(SALU_CYCLE_1)
	s_add_nc_u64 s[4:5], s[4:5], s[6:7]
	s_load_b32 s12, s[4:5], 0x740
	s_wait_kmcnt 0x0
	s_clause 0x2
	s_load_b64 s[8:9], s[0:1], s13 offset:0x0 scale_offset
	s_load_b64 s[10:11], s[0:1], s13 offset:0x200 scale_offset
	;; [unrolled: 1-line block ×3, first 2 shown]
	s_mov_b32 s5, s3
	s_wait_xcnt 0x0
	s_ashr_i32 s13, s12, 31
	s_delay_alu instid0(SALU_CYCLE_1)
	s_lshl_b64 s[6:7], s[12:13], 17
	s_wait_kmcnt 0x0
	s_and_b64 s[18:19], s[10:11], 7
	s_add_nc_u64 s[16:17], s[8:9], s[6:7]
	s_and_b32 s4, s14, 3
	s_and_b32 s2, s16, 7
	s_or_b64 s[4:5], s[18:19], s[4:5]
	s_lshl_b64 s[12:13], s[12:13], 16
	s_or_b64 s[2:3], s[4:5], s[2:3]
	s_sub_nc_u64 s[12:13], s[14:15], s[12:13]
	s_cmp_eq_u64 s[2:3], 0
	s_mov_b32 s2, -1
	s_cbranch_scc0 .LBB2_5
; %bb.1:
	v_min_i64 v[2:3], 0x10000, s[12:13]
	v_dual_mov_b32 v5, 0 :: v_dual_lshlrev_b32 v4, 2, v0
	s_mov_b32 s5, exec_lo
	s_delay_alu instid0(VALU_DEP_1)
	v_cmpx_lt_i64_e64 v[4:5], v[2:3]
	s_cbranch_execz .LBB2_4
; %bb.2:
	s_load_b32 s2, s[0:1], 0xc5c
	v_dual_mov_b32 v1, v5 :: v_dual_lshlrev_b32 v4, 3, v0
	s_mov_b32 s15, 0
	s_mov_b32 s16, 0xbaa2d753
	s_mov_b32 s18, 0xb9d6f8c4
	s_delay_alu instid0(VALU_DEP_1)
	v_mov_b64_e32 v[6:7], v[0:1]
	v_add_nc_u64_e32 v[4:5], s[6:7], v[4:5]
	s_mov_b32 s20, 0x3aad2fb4
	s_mov_b32 s22, 0x3c0da267
	;; [unrolled: 1-line block ×10, first 2 shown]
	s_wait_kmcnt 0x0
	s_and_b32 s14, s2, 0xffff
	s_delay_alu instid0(SALU_CYCLE_1)
	s_lshl_b32 s38, s14, 3
.LBB2_3:                                ; =>This Inner Loop Header: Depth=1
	v_add_nc_u64_e32 v[8:9], s[8:9], v[4:5]
	v_add_nc_u64_e32 v[6:7], s[14:15], v[6:7]
	global_load_b64 v[8:9], v[8:9], off
	v_lshlrev_b64_e32 v[10:11], 2, v[6:7]
	s_wait_loadcnt 0x0
	v_dual_lshrrev_b32 v1, 16, v9 :: v_dual_lshrrev_b32 v48, 16, v8
	v_cvt_f32_f16_e32 v14, v9
	v_cvt_f32_f16_e32 v12, v8
	s_delay_alu instid0(VALU_DEP_3) | instskip(NEXT) | instid1(VALU_DEP_4)
	v_cvt_f32_f16_e32 v15, v1
	v_cvt_f32_f16_e32 v13, v48
	s_delay_alu instid0(VALU_DEP_4)
	v_add_f32_e64 v25, |v14|, 2.0
	v_and_b32_e32 v22, 0x7fffffff, v14
	v_add_f32_e64 v24, |v12|, 2.0
	v_add_f32_e64 v38, |v15|, 2.0
	;; [unrolled: 1-line block ×3, first 2 shown]
	v_and_b32_e32 v23, 0x7fffffff, v15
	v_rcp_f32_e32 v26, v25
	v_and_b32_e32 v20, 0x7fffffff, v12
	v_and_b32_e32 v21, 0x7fffffff, v13
	v_rcp_f32_e32 v25, v27
	v_rcp_f32_e32 v27, v38
	v_nop
	v_pk_add_f32 v[38:39], v[22:23], -2.0 op_sel_hi:[1,0]
	v_rcp_f32_e32 v24, v24
	v_pk_add_f32 v[36:37], v[20:21], -2.0 op_sel_hi:[1,0]
	v_pk_add_f32 v[32:33], v[22:23], v[22:23]
	v_pk_add_f32 v[34:35], v[20:21], v[20:21]
	v_xor_b32_e32 v16, 0x80000000, v12
	v_pk_mul_f32 v[38:39], v[38:39], v[26:27]
	v_xor_b32_e32 v18, 0x80000000, v14
	v_pk_mul_f32 v[36:37], v[36:37], v[24:25]
	v_xor_b32_e32 v17, 0x80000000, v13
	v_xor_b32_e32 v19, 0x80000000, v15
	v_pk_add_f32 v[46:47], v[38:39], 1.0 op_sel_hi:[1,0]
	v_dual_add_f32 v42, 1.0, v32 :: v_dual_add_f32 v43, 1.0, v33
	v_pk_add_f32 v[44:45], v[36:37], 1.0 op_sel_hi:[1,0]
	s_delay_alu instid0(VALU_DEP_4) | instskip(NEXT) | instid1(VALU_DEP_4)
	v_pk_mul_f32 v[28:29], v[14:15], v[18:19]
	v_pk_fma_f32 v[46:47], v[46:47], -2.0, v[22:23] op_sel_hi:[1,0,1]
	v_pk_mul_f32 v[30:31], v[12:13], v[16:17]
	v_dual_add_f32 v40, 1.0, v34 :: v_dual_add_f32 v41, 1.0, v35
	v_pk_fma_f32 v[44:45], v[44:45], -2.0, v[20:21] op_sel_hi:[1,0,1]
	s_delay_alu instid0(VALU_DEP_4)
	v_pk_fma_f32 v[22:23], v[38:39], v[22:23], v[46:47] neg_lo:[1,0,0] neg_hi:[1,0,0]
	v_rcp_f32_e32 v42, v42
	v_rcp_f32_e32 v43, v43
	v_dual_mul_f32 v49, 0x3fb8aa3b, v30 :: v_dual_mul_f32 v50, 0x3fb8aa3b, v31
	v_pk_fma_f32 v[20:21], v[36:37], v[20:21], v[44:45] neg_lo:[1,0,0] neg_hi:[1,0,0]
	v_pk_fma_f32 v[22:23], v[26:27], v[22:23], v[38:39]
	v_dual_mul_f32 v51, 0x3fb8aa3b, v28 :: v_dual_mul_f32 v52, 0x3fb8aa3b, v29
	v_rcp_f32_e32 v40, v40
	s_delay_alu instid0(VALU_DEP_3) | instskip(NEXT) | instid1(VALU_DEP_3)
	v_pk_fma_f32 v[20:21], v[24:25], v[20:21], v[36:37]
	v_pk_fma_f32 v[26:27], v[22:23], s[18:19], s[16:17] op_sel_hi:[1,0,0]
	v_rcp_f32_e32 v41, v41
	v_fma_f32 v53, 0x3fb8aa3b, v30, -v49
	v_rndne_f32_e32 v54, v49
	v_pk_fma_f32 v[24:25], v[20:21], s[18:19], s[16:17] op_sel_hi:[1,0,0]
	v_pk_fma_f32 v[26:27], v[22:23], v[26:27], s[20:21] op_sel_hi:[1,1,0]
	v_fma_f32 v55, 0x3fb8aa3b, v31, -v50
	v_rndne_f32_e32 v56, v50
	v_fma_f32 v57, 0x3fb8aa3b, v28, -v51
	v_pk_fma_f32 v[24:25], v[20:21], v[24:25], s[20:21] op_sel_hi:[1,1,0]
	v_pk_fma_f32 v[26:27], v[22:23], v[26:27], s[22:23] op_sel_hi:[1,1,0]
	v_rndne_f32_e32 v58, v51
	v_fma_f32 v59, 0x3fb8aa3b, v29, -v52
	v_rndne_f32_e32 v60, v52
	v_pk_fma_f32 v[24:25], v[20:21], v[24:25], s[22:23] op_sel_hi:[1,1,0]
	v_pk_fma_f32 v[26:27], v[22:23], v[26:27], s[24:25] op_sel_hi:[1,1,0]
	v_dual_fmac_f32 v53, 0x32a5705f, v30 :: v_dual_sub_f32 v50, v50, v56
	s_delay_alu instid0(VALU_DEP_4) | instskip(NEXT) | instid1(VALU_DEP_4)
	v_dual_sub_f32 v49, v49, v54 :: v_dual_sub_f32 v52, v52, v60
	v_pk_fma_f32 v[24:25], v[20:21], v[24:25], s[24:25] op_sel_hi:[1,1,0]
	s_delay_alu instid0(VALU_DEP_4) | instskip(NEXT) | instid1(VALU_DEP_3)
	v_pk_fma_f32 v[26:27], v[22:23], v[26:27], s[26:27] op_sel_hi:[1,1,0]
	v_dual_sub_f32 v51, v51, v58 :: v_dual_add_f32 v49, v49, v53
	v_cvt_i32_f32_e32 v54, v54
	s_delay_alu instid0(VALU_DEP_4) | instskip(NEXT) | instid1(VALU_DEP_4)
	v_pk_fma_f32 v[24:25], v[20:21], v[24:25], s[26:27] op_sel_hi:[1,1,0]
	v_pk_fma_f32 v[26:27], v[22:23], v[26:27], s[28:29] op_sel_hi:[1,1,0]
	v_cvt_i32_f32_e32 v56, v56
	v_exp_f32_e32 v44, v49
	v_cvt_i32_f32_e32 v58, v58
	v_pk_fma_f32 v[24:25], v[20:21], v[24:25], s[28:29] op_sel_hi:[1,1,0]
	v_pk_fma_f32 v[26:27], v[22:23], v[26:27], s[30:31] op_sel_hi:[1,1,0]
	v_cvt_i32_f32_e32 v60, v60
	v_cmp_ngt_f32_e32 vcc_lo, 0xc2ce8ed0, v31
	v_cmp_ngt_f32_e64 s2, 0xc2ce8ed0, v28
	v_pk_fma_f32 v[24:25], v[20:21], v[24:25], s[30:31] op_sel_hi:[1,1,0]
	v_pk_fma_f32 v[26:27], v[22:23], v[26:27], s[34:35] op_sel_hi:[1,1,0]
	v_ldexp_f32 v36, v44, v54
	v_cmp_ngt_f32_e64 s3, 0xc2ce8ed0, v29
	v_cmp_ngt_f32_e64 s4, 0xc2ce8ed0, v30
	v_pk_fma_f32 v[24:25], v[20:21], v[24:25], s[34:35] op_sel_hi:[1,1,0]
	v_pk_fma_f32 v[22:23], v[22:23], v[26:27], s[36:37] op_sel_hi:[1,1,0]
	v_pk_fma_f32 v[16:17], v[16:17], v[12:13], v[30:31] neg_lo:[0,0,1] neg_hi:[0,0,1]
	v_pk_fma_f32 v[18:19], v[18:19], v[14:15], v[28:29] neg_lo:[0,0,1] neg_hi:[0,0,1]
	s_delay_alu instid0(VALU_DEP_4) | instskip(NEXT) | instid1(VALU_DEP_4)
	v_pk_fma_f32 v[20:21], v[20:21], v[24:25], s[36:37] op_sel_hi:[1,1,0]
	v_pk_fma_f32 v[26:27], v[22:23], v[42:43], v[42:43]
	v_fmac_f32_e32 v55, 0x32a5705f, v31
	s_delay_alu instid0(VALU_DEP_3) | instskip(NEXT) | instid1(VALU_DEP_3)
	v_pk_fma_f32 v[24:25], v[20:21], v[40:41], v[40:41]
	v_dual_fmac_f32 v59, 0x32a5705f, v29 :: v_dual_sub_f32 v22, v22, v26
	s_delay_alu instid0(VALU_DEP_3) | instskip(NEXT) | instid1(VALU_DEP_3)
	v_dual_fmac_f32 v57, 0x32a5705f, v28 :: v_dual_add_f32 v50, v50, v55
	v_sub_f32_e32 v20, v20, v24
	s_delay_alu instid0(VALU_DEP_3) | instskip(SKIP_1) | instid1(VALU_DEP_4)
	v_dual_add_f32 v52, v52, v59 :: v_dual_sub_f32 v21, v21, v25
	v_sub_f32_e32 v23, v23, v27
	v_add_f32_e32 v51, v51, v57
	v_exp_f32_e32 v45, v50
	s_delay_alu instid0(VALU_DEP_3) | instskip(NEXT) | instid1(VALU_DEP_1)
	v_exp_f32_e32 v47, v52
	v_exp_f32_e32 v46, v51
	s_delay_alu instid0(TRANS32_DEP_3) | instskip(NEXT) | instid1(TRANS32_DEP_2)
	v_ldexp_f32 v37, v45, v56
	v_ldexp_f32 v39, v47, v60
	v_cndmask_b32_e64 v36, 0, v36, s4
	v_cmp_nlt_f32_e64 s4, 0x42b17218, v30
	s_delay_alu instid0(TRANS32_DEP_1) | instskip(SKIP_2) | instid1(VALU_DEP_3)
	v_ldexp_f32 v38, v46, v58
	v_cndmask_b32_e32 v37, 0, v37, vcc_lo
	v_cmp_nlt_f32_e32 vcc_lo, 0x42b17218, v31
	v_dual_cndmask_b32 v31, 0, v38, s2 :: v_dual_cndmask_b32 v38, 0, v39, s3
	v_cmp_nlt_f32_e64 s2, 0x42b17218, v28
	v_cmp_nlt_f32_e64 s3, 0x42b17218, v29
	v_cndmask_b32_e64 v28, 0x7f800000, v36, s4
	v_cmp_nlt_f32_e64 s4, 0x4120ddfc, |v14|
	s_delay_alu instid0(VALU_DEP_4) | instskip(NEXT) | instid1(VALU_DEP_4)
	v_cndmask_b32_e64 v30, 0x7f800000, v31, s2
	v_cndmask_b32_e64 v31, 0x7f800000, v38, s3
	v_cmp_nlt_f32_e64 s2, 0x4120ddfc, |v12|
	v_cmp_nlt_f32_e64 s3, 0x4120ddfc, |v15|
	s_delay_alu instid0(VALU_DEP_3) | instskip(SKIP_1) | instid1(VALU_DEP_1)
	v_pk_fma_f32 v[18:19], v[30:31], v[18:19], v[30:31]
	v_pk_fma_f32 v[30:31], v[26:27], v[32:33], 1.0 op_sel_hi:[1,1,0] neg_lo:[1,0,0] neg_hi:[1,0,0]
	v_pk_add_f32 v[22:23], v[30:31], v[22:23]
	s_delay_alu instid0(VALU_DEP_1) | instskip(NEXT) | instid1(VALU_DEP_1)
	v_pk_fma_f32 v[22:23], v[42:43], v[22:23], v[26:27]
	v_pk_mul_f32 v[18:19], v[18:19], v[22:23]
	s_delay_alu instid0(VALU_DEP_1) | instskip(SKIP_2) | instid1(VALU_DEP_4)
	v_cndmask_b32_e64 v12, 0, v18, s4
	v_cndmask_b32_e32 v29, 0x7f800000, v37, vcc_lo
	v_cmp_nlt_f32_e64 vcc_lo, 0x4120ddfc, |v13|
	v_cndmask_b32_e64 v13, 0, v19, s3
	v_cmp_gt_f16_e64 s3, 0, v8
	v_cmp_gt_f16_e64 s4, 0, v48
	v_pk_fma_f32 v[16:17], v[28:29], v[16:17], v[28:29]
	v_pk_fma_f32 v[28:29], v[24:25], v[34:35], 1.0 op_sel_hi:[1,1,0] neg_lo:[1,0,0] neg_hi:[1,0,0]
	s_delay_alu instid0(VALU_DEP_1) | instskip(NEXT) | instid1(VALU_DEP_1)
	v_pk_add_f32 v[20:21], v[28:29], v[20:21]
	v_pk_fma_f32 v[20:21], v[40:41], v[20:21], v[24:25]
	s_delay_alu instid0(VALU_DEP_1) | instskip(NEXT) | instid1(VALU_DEP_1)
	v_pk_mul_f32 v[16:17], v[16:17], v[20:21]
	v_dual_cndmask_b32 v14, 0, v16, s2 :: v_dual_cndmask_b32 v15, 0, v17, vcc_lo
	v_dual_sub_f32 v16, 2.0, v12 :: v_dual_sub_f32 v17, 2.0, v13
	v_cmp_gt_f16_e32 vcc_lo, 0, v9
	s_delay_alu instid0(VALU_DEP_3)
	v_sub_f32_e32 v18, 2.0, v14
	v_cmp_gt_f16_e64 s2, 0, v1
	v_sub_f32_e32 v19, 2.0, v15
	s_wait_xcnt 0x0
	v_add_nc_u64_e32 v[8:9], s[10:11], v[4:5]
	v_dual_cndmask_b32 v12, v12, v16, vcc_lo :: v_dual_cndmask_b32 v14, v14, v18, s3
	s_delay_alu instid0(VALU_DEP_3) | instskip(SKIP_2) | instid1(VALU_DEP_3)
	v_dual_cndmask_b32 v13, v13, v17, s2 :: v_dual_cndmask_b32 v1, v15, v19, s4
	v_cmp_ge_i64_e32 vcc_lo, v[10:11], v[2:3]
	v_add_nc_u64_e32 v[4:5], s[38:39], v[4:5]
	v_cvt_pk_f16_f32 v11, v12, v13
	s_delay_alu instid0(VALU_DEP_4)
	v_cvt_pk_f16_f32 v10, v14, v1
	s_or_b32 s17, vcc_lo, s17
	global_store_b64 v[8:9], v[10:11], off
	s_wait_xcnt 0x0
	s_and_not1_b32 exec_lo, exec_lo, s17
	s_cbranch_execnz .LBB2_3
.LBB2_4:
	s_or_b32 exec_lo, exec_lo, s5
	s_mov_b32 s2, 0
.LBB2_5:
	s_delay_alu instid0(SALU_CYCLE_1)
	s_and_not1_b32 vcc_lo, exec_lo, s2
	s_cbranch_vccnz .LBB2_25
; %bb.6:
	v_cmp_lt_i64_e64 s2, s[12:13], 1
	s_and_b32 vcc_lo, exec_lo, s2
	s_cbranch_vccnz .LBB2_25
; %bb.7:
	s_load_b32 s0, s[0:1], 0xc5c
	v_min_i64 v[2:3], 0x10000, s[12:13]
	v_min_u64 v[4:5], 0x10000, s[12:13]
	v_dual_mov_b32 v1, 0 :: v_dual_lshlrev_b32 v10, 1, v0
	s_wait_xcnt 0x0
	s_mov_b32 s1, 0
	s_delay_alu instid0(SALU_CYCLE_1) | instskip(NEXT) | instid1(VALU_DEP_1)
	s_mov_b32 s5, s1
	v_dual_mov_b32 v11, v1 :: v_dual_mov_b32 v27, v1
	s_mov_b32 s3, s1
	s_mov_b32 s13, s1
	s_delay_alu instid0(VALU_DEP_1) | instskip(SKIP_2) | instid1(SALU_CYCLE_1)
	v_add_nc_u64_e32 v[6:7], s[8:9], v[10:11]
	s_wait_kmcnt 0x0
	s_and_b32 s0, s0, 0xffff
	v_add_nc_u64_e32 v[8:9], s[0:1], v[0:1]
	v_mad_nc_u64_u32 v[22:23], s0, 6, v[10:11]
	s_lshl_b32 s4, s0, 2
	s_mul_i32 s12, s0, 3
	v_add_nc_u64_e32 v[18:19], s[4:5], v[10:11]
	s_lshl_b32 s2, s0, 1
	v_add_nc_u64_e32 v[10:11], s[10:11], v[10:11]
	v_lshlrev_b32_e32 v26, 1, v8
	v_add_nc_u64_e32 v[12:13], s[12:13], v[0:1]
	v_add_nc_u64_e32 v[14:15], s[2:3], v[0:1]
	s_mov_b32 s3, -2.0
	v_add_nc_u64_e32 v[16:17], s[8:9], v[18:19]
	v_add_nc_u64_e32 v[18:19], s[10:11], v[18:19]
	;; [unrolled: 1-line block ×6, first 2 shown]
	s_lshl_b32 s8, s0, 3
	s_mov_b32 s9, s1
	s_mov_b64 s[10:11], 0
	s_mov_b32 s12, 0xb9d6f8c4
	s_branch .LBB2_9
.LBB2_8:                                ;   in Loop: Header=BB2_9 Depth=1
	s_wait_xcnt 0x0
	s_or_b32 exec_lo, exec_lo, s0
	s_add_nc_u64 s[10:11], s[10:11], s[4:5]
	v_add_nc_u64_e32 v[6:7], s[8:9], v[6:7]
	v_cmp_ge_i64_e32 vcc_lo, s[10:11], v[2:3]
	v_add_nc_u64_e32 v[10:11], s[8:9], v[10:11]
	v_add_nc_u64_e32 v[20:21], s[8:9], v[20:21]
	;; [unrolled: 1-line block ×7, first 2 shown]
	s_cbranch_vccnz .LBB2_25
.LBB2_9:                                ; =>This Inner Loop Header: Depth=1
	s_wait_loadcnt 0x0
	v_add_nc_u64_e32 v[28:29], s[10:11], v[0:1]
	v_mov_b32_e32 v31, 0
	s_delay_alu instid0(VALU_DEP_2)
	v_cmp_lt_u64_e64 s2, v[28:29], v[4:5]
	s_and_saveexec_b32 s0, s2
	s_cbranch_execz .LBB2_11
; %bb.10:                               ;   in Loop: Header=BB2_9 Depth=1
	v_add_nc_u64_e32 v[28:29], s[6:7], v[6:7]
	global_load_u16 v31, v[28:29], off
.LBB2_11:                               ;   in Loop: Header=BB2_9 Depth=1
	s_wait_xcnt 0x0
	s_or_b32 exec_lo, exec_lo, s0
	v_add_nc_u64_e32 v[28:29], s[10:11], v[8:9]
	v_mov_b32_e32 v30, 0
	s_delay_alu instid0(VALU_DEP_2)
	v_cmp_lt_u64_e64 s1, v[28:29], v[4:5]
	v_mov_b32_e32 v29, 0
	s_and_saveexec_b32 s0, s1
	s_cbranch_execz .LBB2_13
; %bb.12:                               ;   in Loop: Header=BB2_9 Depth=1
	v_add_nc_u64_e32 v[32:33], s[6:7], v[24:25]
	global_load_u16 v30, v[32:33], off
.LBB2_13:                               ;   in Loop: Header=BB2_9 Depth=1
	s_wait_xcnt 0x0
	s_or_b32 exec_lo, exec_lo, s0
	v_add_nc_u64_e32 v[32:33], s[10:11], v[14:15]
	s_delay_alu instid0(VALU_DEP_1)
	v_cmp_lt_u64_e64 s0, v[32:33], v[4:5]
	s_and_saveexec_b32 s13, s0
	s_cbranch_execz .LBB2_15
; %bb.14:                               ;   in Loop: Header=BB2_9 Depth=1
	v_add_nc_u64_e32 v[28:29], s[6:7], v[16:17]
	global_load_u16 v29, v[28:29], off
.LBB2_15:                               ;   in Loop: Header=BB2_9 Depth=1
	s_wait_xcnt 0x0
	s_or_b32 exec_lo, exec_lo, s13
	v_add_nc_u64_e32 v[32:33], s[10:11], v[12:13]
	v_mov_b32_e32 v28, 0
	s_delay_alu instid0(VALU_DEP_2)
	v_cmp_lt_u64_e32 vcc_lo, v[32:33], v[4:5]
	s_and_saveexec_b32 s13, vcc_lo
	s_cbranch_execnz .LBB2_20
; %bb.16:                               ;   in Loop: Header=BB2_9 Depth=1
	s_or_b32 exec_lo, exec_lo, s13
	s_and_saveexec_b32 s13, s2
	s_cbranch_execnz .LBB2_21
.LBB2_17:                               ;   in Loop: Header=BB2_9 Depth=1
	s_or_b32 exec_lo, exec_lo, s13
	s_and_saveexec_b32 s2, s1
	s_cbranch_execnz .LBB2_22
.LBB2_18:                               ;   in Loop: Header=BB2_9 Depth=1
	s_or_b32 exec_lo, exec_lo, s2
	s_and_saveexec_b32 s1, s0
	s_cbranch_execnz .LBB2_23
.LBB2_19:                               ;   in Loop: Header=BB2_9 Depth=1
	s_or_b32 exec_lo, exec_lo, s1
	s_and_saveexec_b32 s0, vcc_lo
	s_cbranch_execz .LBB2_8
	s_branch .LBB2_24
.LBB2_20:                               ;   in Loop: Header=BB2_9 Depth=1
	v_add_nc_u64_e32 v[32:33], s[6:7], v[20:21]
	global_load_u16 v28, v[32:33], off
	s_wait_xcnt 0x0
	s_or_b32 exec_lo, exec_lo, s13
	s_and_saveexec_b32 s13, s2
	s_cbranch_execz .LBB2_17
.LBB2_21:                               ;   in Loop: Header=BB2_9 Depth=1
	s_wait_loadcnt 0x0
	v_cvt_f32_f16_e32 v38, v31
	s_delay_alu instid0(VALU_DEP_1) | instskip(SKIP_3) | instid1(VALU_DEP_4)
	v_add_f32_e64 v32, |v38|, 2.0
	v_add_f32_e64 v33, |v38|, -2.0
	v_add_f32_e64 v39, |v38|, |v38|
	v_mul_f32_e64 v36, v38, -v38
	v_rcp_f32_e32 v32, v32
	s_delay_alu instid0(VALU_DEP_1) | instskip(NEXT) | instid1(TRANS32_DEP_1)
	v_cmp_ngt_f32_e64 s2, 0xc2ce8ed0, v36
	v_mul_f32_e32 v34, v33, v32
	s_delay_alu instid0(VALU_DEP_1) | instskip(NEXT) | instid1(VALU_DEP_1)
	v_add_f32_e32 v33, 1.0, v34
	v_fma_mix_f32 v33, v33, s3, |v31| op_sel_hi:[0,0,1]
	s_delay_alu instid0(VALU_DEP_1) | instskip(NEXT) | instid1(VALU_DEP_1)
	v_fma_mix_f32 v33, -v34, |v31|, v33 op_sel_hi:[0,1,0]
	v_dual_fmac_f32 v34, v32, v33 :: v_dual_mul_f32 v33, 0x3fb8aa3b, v36
	s_delay_alu instid0(VALU_DEP_1) | instskip(NEXT) | instid1(VALU_DEP_2)
	v_fmaak_f32 v32, s12, v34, 0xbaa2d753
	v_rndne_f32_e32 v35, v33
	v_fma_f32 v37, 0x3fb8aa3b, v36, -v33
	s_delay_alu instid0(VALU_DEP_2) | instskip(NEXT) | instid1(VALU_DEP_2)
	v_dual_fmaak_f32 v32, v34, v32, 0x3aad2fb4 :: v_dual_sub_f32 v33, v33, v35
	v_fmac_f32_e32 v37, 0x32a5705f, v36
	v_cvt_i32_f32_e32 v35, v35
	s_delay_alu instid0(VALU_DEP_2) | instskip(NEXT) | instid1(VALU_DEP_1)
	v_dual_fmaak_f32 v32, v34, v32, 0x3c0da267 :: v_dual_add_f32 v33, v33, v37
	v_dual_add_f32 v37, 1.0, v39 :: v_dual_fmaak_f32 v32, v34, v32, 0xbc0415b1
	s_delay_alu instid0(VALU_DEP_2) | instskip(NEXT) | instid1(VALU_DEP_1)
	v_exp_f32_e32 v40, v33
	v_rcp_f32_e32 v33, v37
	s_delay_alu instid0(VALU_DEP_1) | instskip(NEXT) | instid1(VALU_DEP_1)
	v_fmaak_f32 v32, v34, v32, 0xbd5e0a18
	v_fmaak_f32 v32, v34, v32, 0x3e27fe2a
	s_delay_alu instid0(VALU_DEP_1) | instskip(NEXT) | instid1(VALU_DEP_1)
	v_fmaak_f32 v32, v34, v32, 0xbe2a03fd
	v_fmaak_f32 v32, v34, v32, 0xbdbdfb0b
	s_delay_alu instid0(VALU_DEP_1) | instskip(SKIP_1) | instid1(VALU_DEP_1)
	v_fmaak_f32 v32, v34, v32, 0x3e8dd01c
	v_ldexp_f32 v34, v40, v35
	v_dual_fma_f32 v35, v32, v33, v33 :: v_dual_cndmask_b32 v34, 0, v34, s2
	v_cmp_nlt_f32_e64 s2, 0x42b17218, v36
	v_fma_mix_f32 v36, -v31, v31, -v36 op_sel_hi:[1,1,0]
	s_delay_alu instid0(VALU_DEP_3) | instskip(SKIP_1) | instid1(VALU_DEP_4)
	v_fma_f32 v37, -v35, v39, 1.0
	v_sub_f32_e32 v39, v32, v35
	v_cndmask_b32_e64 v32, 0x7f800000, v34, s2
	v_cmp_nlt_f32_e64 s2, 0x4120ddfc, |v38|
	s_delay_alu instid0(VALU_DEP_2) | instskip(NEXT) | instid1(VALU_DEP_1)
	v_dual_add_f32 v37, v37, v39 :: v_dual_mov_b32 v34, v32
	v_pk_fma_f32 v[32:33], v[32:33], v[36:37], v[34:35]
	s_delay_alu instid0(VALU_DEP_1) | instskip(NEXT) | instid1(VALU_DEP_1)
	v_mul_f32_e32 v32, v32, v33
	v_cndmask_b32_e64 v32, 0, v32, s2
	v_cmp_gt_f16_e64 s2, 0, v31
	s_delay_alu instid0(VALU_DEP_2) | instskip(NEXT) | instid1(VALU_DEP_1)
	v_sub_f32_e32 v33, 2.0, v32
	v_cndmask_b32_e64 v31, v32, v33, s2
	v_add_nc_u64_e32 v[32:33], s[6:7], v[10:11]
	s_delay_alu instid0(VALU_DEP_2)
	v_cvt_f16_f32_e32 v31, v31
	global_store_b16 v[32:33], v31, off
	s_wait_xcnt 0x0
	s_or_b32 exec_lo, exec_lo, s13
	s_and_saveexec_b32 s2, s1
	s_cbranch_execz .LBB2_18
.LBB2_22:                               ;   in Loop: Header=BB2_9 Depth=1
	s_wait_loadcnt 0x0
	v_cvt_f32_f16_e32 v31, v30
	s_delay_alu instid0(VALU_DEP_1) | instskip(SKIP_2) | instid1(VALU_DEP_3)
	v_add_f32_e64 v32, |v31|, 2.0
	v_add_f32_e64 v33, |v31|, -2.0
	v_add_f32_e64 v38, |v31|, |v31|
	v_rcp_f32_e32 v32, v32
	v_nop
	s_delay_alu instid0(TRANS32_DEP_1) | instskip(NEXT) | instid1(VALU_DEP_1)
	v_mul_f32_e32 v33, v33, v32
	v_add_f32_e32 v34, 1.0, v33
	s_delay_alu instid0(VALU_DEP_1) | instskip(NEXT) | instid1(VALU_DEP_1)
	v_fma_mix_f32 v34, v34, s3, |v30| op_sel_hi:[0,0,1]
	v_fma_mix_f32 v34, -v33, |v30|, v34 op_sel_hi:[0,1,0]
	s_delay_alu instid0(VALU_DEP_1) | instskip(NEXT) | instid1(VALU_DEP_1)
	v_dual_fmac_f32 v33, v32, v34 :: v_dual_mul_f32 v34, v31, -v31
	v_mul_f32_e32 v35, 0x3fb8aa3b, v34
	v_cmp_ngt_f32_e64 s1, 0xc2ce8ed0, v34
	s_delay_alu instid0(VALU_DEP_2) | instskip(SKIP_1) | instid1(VALU_DEP_2)
	v_rndne_f32_e32 v36, v35
	v_fma_f32 v37, 0x3fb8aa3b, v34, -v35
	v_sub_f32_e32 v35, v35, v36
	s_delay_alu instid0(VALU_DEP_2) | instskip(SKIP_1) | instid1(VALU_DEP_2)
	v_fmac_f32_e32 v37, 0x32a5705f, v34
	v_cvt_i32_f32_e32 v36, v36
	v_add_f32_e32 v35, v35, v37
	v_dual_fmaak_f32 v32, s12, v33, 0xbaa2d753 :: v_dual_add_f32 v37, 1.0, v38
	s_delay_alu instid0(VALU_DEP_2) | instskip(NEXT) | instid1(VALU_DEP_1)
	v_exp_f32_e32 v35, v35
	v_fmaak_f32 v32, v33, v32, 0x3aad2fb4
	s_delay_alu instid0(VALU_DEP_2) | instskip(NEXT) | instid1(VALU_DEP_1)
	v_rcp_f32_e32 v37, v37
	v_fmaak_f32 v32, v33, v32, 0x3c0da267
	s_delay_alu instid0(VALU_DEP_1) | instskip(NEXT) | instid1(VALU_DEP_1)
	v_fmaak_f32 v32, v33, v32, 0xbc0415b1
	v_fmaak_f32 v32, v33, v32, 0xbd5e0a18
	s_delay_alu instid0(VALU_DEP_1) | instskip(NEXT) | instid1(VALU_DEP_1)
	v_fmaak_f32 v32, v33, v32, 0x3e27fe2a
	v_fmaak_f32 v32, v33, v32, 0xbe2a03fd
	s_delay_alu instid0(VALU_DEP_1) | instskip(NEXT) | instid1(VALU_DEP_1)
	v_fmaak_f32 v32, v33, v32, 0xbdbdfb0b
	v_fmaak_f32 v32, v33, v32, 0x3e8dd01c
	v_ldexp_f32 v33, v35, v36
	s_delay_alu instid0(VALU_DEP_1) | instskip(SKIP_1) | instid1(VALU_DEP_1)
	v_cndmask_b32_e64 v33, 0, v33, s1
	v_cmp_nlt_f32_e64 s1, 0x42b17218, v34
	v_cndmask_b32_e64 v33, 0x7f800000, v33, s1
	v_cmp_nlt_f32_e64 s1, 0x4120ddfc, |v31|
	v_fma_f32 v35, v32, v37, v37
	s_delay_alu instid0(VALU_DEP_1) | instskip(SKIP_2) | instid1(VALU_DEP_1)
	v_fma_f32 v36, -v35, v38, 1.0
	v_sub_f32_e32 v32, v32, v35
	v_fma_mix_f32 v38, -v30, v30, -v34 op_sel_hi:[1,1,0]
	v_dual_add_f32 v32, v36, v32 :: v_dual_fmac_f32 v33, v33, v38
	s_delay_alu instid0(VALU_DEP_1) | instskip(NEXT) | instid1(VALU_DEP_1)
	v_fmac_f32_e32 v35, v37, v32
	v_mul_f32_e32 v32, v33, v35
	s_delay_alu instid0(VALU_DEP_1) | instskip(SKIP_1) | instid1(VALU_DEP_2)
	v_cndmask_b32_e64 v31, 0, v32, s1
	v_cmp_gt_f16_e64 s1, 0, v30
	v_sub_f32_e32 v32, 2.0, v31
	s_delay_alu instid0(VALU_DEP_1) | instskip(SKIP_1) | instid1(VALU_DEP_2)
	v_cndmask_b32_e64 v32, v31, v32, s1
	v_add_nc_u64_e32 v[30:31], s[6:7], v[26:27]
	v_cvt_f16_f32_e32 v32, v32
	global_store_b16 v[30:31], v32, off
	s_wait_xcnt 0x0
	s_or_b32 exec_lo, exec_lo, s2
	s_and_saveexec_b32 s1, s0
	s_cbranch_execz .LBB2_19
.LBB2_23:                               ;   in Loop: Header=BB2_9 Depth=1
	s_wait_loadcnt 0x0
	v_cvt_f32_f16_e32 v30, v29
	s_delay_alu instid0(VALU_DEP_1) | instskip(SKIP_2) | instid1(VALU_DEP_3)
	v_add_f32_e64 v31, |v30|, 2.0
	v_add_f32_e64 v32, |v30|, -2.0
	v_add_f32_e64 v37, |v30|, |v30|
	v_rcp_f32_e32 v31, v31
	v_nop
	s_delay_alu instid0(TRANS32_DEP_1) | instskip(NEXT) | instid1(VALU_DEP_1)
	v_mul_f32_e32 v32, v32, v31
	v_add_f32_e32 v33, 1.0, v32
	s_delay_alu instid0(VALU_DEP_1) | instskip(NEXT) | instid1(VALU_DEP_1)
	v_fma_mix_f32 v33, v33, s3, |v29| op_sel_hi:[0,0,1]
	v_fma_mix_f32 v33, -v32, |v29|, v33 op_sel_hi:[0,1,0]
	s_delay_alu instid0(VALU_DEP_1) | instskip(NEXT) | instid1(VALU_DEP_1)
	v_dual_fmac_f32 v32, v31, v33 :: v_dual_mul_f32 v33, v30, -v30
	v_mul_f32_e32 v34, 0x3fb8aa3b, v33
	v_cmp_ngt_f32_e64 s0, 0xc2ce8ed0, v33
	s_delay_alu instid0(VALU_DEP_2) | instskip(SKIP_1) | instid1(VALU_DEP_2)
	v_rndne_f32_e32 v35, v34
	v_fma_f32 v36, 0x3fb8aa3b, v33, -v34
	v_sub_f32_e32 v34, v34, v35
	s_delay_alu instid0(VALU_DEP_2) | instskip(SKIP_1) | instid1(VALU_DEP_2)
	v_fmac_f32_e32 v36, 0x32a5705f, v33
	v_cvt_i32_f32_e32 v35, v35
	v_add_f32_e32 v34, v34, v36
	v_dual_fmaak_f32 v31, s12, v32, 0xbaa2d753 :: v_dual_add_f32 v36, 1.0, v37
	s_delay_alu instid0(VALU_DEP_2) | instskip(NEXT) | instid1(VALU_DEP_1)
	v_exp_f32_e32 v34, v34
	v_fmaak_f32 v31, v32, v31, 0x3aad2fb4
	s_delay_alu instid0(VALU_DEP_2) | instskip(NEXT) | instid1(VALU_DEP_1)
	v_rcp_f32_e32 v36, v36
	v_fmaak_f32 v31, v32, v31, 0x3c0da267
	s_delay_alu instid0(VALU_DEP_1) | instskip(NEXT) | instid1(VALU_DEP_1)
	v_fmaak_f32 v31, v32, v31, 0xbc0415b1
	v_fmaak_f32 v31, v32, v31, 0xbd5e0a18
	s_delay_alu instid0(VALU_DEP_1) | instskip(NEXT) | instid1(VALU_DEP_1)
	v_fmaak_f32 v31, v32, v31, 0x3e27fe2a
	;; [unrolled: 3-line block ×3, first 2 shown]
	v_fmaak_f32 v31, v32, v31, 0x3e8dd01c
	v_ldexp_f32 v32, v34, v35
	s_delay_alu instid0(VALU_DEP_1) | instskip(SKIP_1) | instid1(VALU_DEP_1)
	v_cndmask_b32_e64 v32, 0, v32, s0
	v_cmp_nlt_f32_e64 s0, 0x42b17218, v33
	v_cndmask_b32_e64 v32, 0x7f800000, v32, s0
	v_cmp_nlt_f32_e64 s0, 0x4120ddfc, |v30|
	v_fma_f32 v34, v31, v36, v36
	s_delay_alu instid0(VALU_DEP_1) | instskip(SKIP_2) | instid1(VALU_DEP_1)
	v_fma_f32 v35, -v34, v37, 1.0
	v_sub_f32_e32 v31, v31, v34
	v_fma_mix_f32 v37, -v29, v29, -v33 op_sel_hi:[1,1,0]
	v_dual_add_f32 v31, v35, v31 :: v_dual_fmac_f32 v32, v32, v37
	s_delay_alu instid0(VALU_DEP_1) | instskip(NEXT) | instid1(VALU_DEP_1)
	v_fmac_f32_e32 v34, v36, v31
	v_mul_f32_e32 v31, v32, v34
	s_delay_alu instid0(VALU_DEP_1) | instskip(SKIP_1) | instid1(VALU_DEP_2)
	v_cndmask_b32_e64 v30, 0, v31, s0
	v_cmp_gt_f16_e64 s0, 0, v29
	v_sub_f32_e32 v31, 2.0, v30
	s_delay_alu instid0(VALU_DEP_1) | instskip(SKIP_1) | instid1(VALU_DEP_2)
	v_cndmask_b32_e64 v29, v30, v31, s0
	v_add_nc_u64_e32 v[30:31], s[6:7], v[18:19]
	v_cvt_f16_f32_e32 v29, v29
	global_store_b16 v[30:31], v29, off
	s_wait_xcnt 0x0
	s_or_b32 exec_lo, exec_lo, s1
	s_and_saveexec_b32 s0, vcc_lo
	s_cbranch_execz .LBB2_8
.LBB2_24:                               ;   in Loop: Header=BB2_9 Depth=1
	s_wait_loadcnt 0x0
	v_cvt_f32_f16_e32 v29, v28
	s_delay_alu instid0(VALU_DEP_1) | instskip(SKIP_2) | instid1(VALU_DEP_3)
	v_add_f32_e64 v30, |v29|, 2.0
	v_add_f32_e64 v31, |v29|, -2.0
	v_add_f32_e64 v36, |v29|, |v29|
	v_rcp_f32_e32 v30, v30
	v_nop
	s_delay_alu instid0(TRANS32_DEP_1) | instskip(NEXT) | instid1(VALU_DEP_1)
	v_mul_f32_e32 v31, v31, v30
	v_add_f32_e32 v32, 1.0, v31
	s_delay_alu instid0(VALU_DEP_1) | instskip(NEXT) | instid1(VALU_DEP_1)
	v_fma_mix_f32 v32, v32, s3, |v28| op_sel_hi:[0,0,1]
	v_fma_mix_f32 v32, -v31, |v28|, v32 op_sel_hi:[0,1,0]
	s_delay_alu instid0(VALU_DEP_1) | instskip(NEXT) | instid1(VALU_DEP_1)
	v_dual_fmac_f32 v31, v30, v32 :: v_dual_mul_f32 v32, v29, -v29
	v_mul_f32_e32 v33, 0x3fb8aa3b, v32
	v_cmp_ngt_f32_e32 vcc_lo, 0xc2ce8ed0, v32
	s_delay_alu instid0(VALU_DEP_2) | instskip(SKIP_1) | instid1(VALU_DEP_2)
	v_rndne_f32_e32 v34, v33
	v_fma_f32 v35, 0x3fb8aa3b, v32, -v33
	v_sub_f32_e32 v33, v33, v34
	s_delay_alu instid0(VALU_DEP_2) | instskip(SKIP_1) | instid1(VALU_DEP_2)
	v_fmac_f32_e32 v35, 0x32a5705f, v32
	v_cvt_i32_f32_e32 v34, v34
	v_add_f32_e32 v33, v33, v35
	v_dual_fmaak_f32 v30, s12, v31, 0xbaa2d753 :: v_dual_add_f32 v35, 1.0, v36
	s_delay_alu instid0(VALU_DEP_2) | instskip(NEXT) | instid1(VALU_DEP_1)
	v_exp_f32_e32 v33, v33
	v_fmaak_f32 v30, v31, v30, 0x3aad2fb4
	s_delay_alu instid0(VALU_DEP_2) | instskip(NEXT) | instid1(VALU_DEP_1)
	v_rcp_f32_e32 v35, v35
	v_fmaak_f32 v30, v31, v30, 0x3c0da267
	s_delay_alu instid0(VALU_DEP_1) | instskip(NEXT) | instid1(VALU_DEP_1)
	v_fmaak_f32 v30, v31, v30, 0xbc0415b1
	v_fmaak_f32 v30, v31, v30, 0xbd5e0a18
	s_delay_alu instid0(VALU_DEP_1) | instskip(NEXT) | instid1(VALU_DEP_1)
	v_fmaak_f32 v30, v31, v30, 0x3e27fe2a
	v_fmaak_f32 v30, v31, v30, 0xbe2a03fd
	s_delay_alu instid0(VALU_DEP_1) | instskip(NEXT) | instid1(VALU_DEP_1)
	v_fmaak_f32 v30, v31, v30, 0xbdbdfb0b
	v_fmaak_f32 v30, v31, v30, 0x3e8dd01c
	v_ldexp_f32 v31, v33, v34
	s_delay_alu instid0(VALU_DEP_1) | instskip(SKIP_1) | instid1(VALU_DEP_2)
	v_cndmask_b32_e32 v31, 0, v31, vcc_lo
	v_cmp_nlt_f32_e32 vcc_lo, 0x42b17218, v32
	v_cndmask_b32_e32 v31, 0x7f800000, v31, vcc_lo
	v_cmp_nlt_f32_e64 vcc_lo, 0x4120ddfc, |v29|
	v_fma_f32 v33, v30, v35, v35
	s_delay_alu instid0(VALU_DEP_1) | instskip(SKIP_2) | instid1(VALU_DEP_1)
	v_fma_f32 v34, -v33, v36, 1.0
	v_sub_f32_e32 v30, v30, v33
	v_fma_mix_f32 v36, -v28, v28, -v32 op_sel_hi:[1,1,0]
	v_dual_add_f32 v30, v34, v30 :: v_dual_fmac_f32 v31, v31, v36
	s_delay_alu instid0(VALU_DEP_1) | instskip(NEXT) | instid1(VALU_DEP_1)
	v_fmac_f32_e32 v33, v35, v30
	v_mul_f32_e32 v30, v31, v33
	s_delay_alu instid0(VALU_DEP_1) | instskip(SKIP_1) | instid1(VALU_DEP_2)
	v_cndmask_b32_e32 v29, 0, v30, vcc_lo
	v_cmp_gt_f16_e32 vcc_lo, 0, v28
	v_sub_f32_e32 v30, 2.0, v29
	s_delay_alu instid0(VALU_DEP_1) | instskip(SKIP_1) | instid1(VALU_DEP_2)
	v_cndmask_b32_e32 v30, v29, v30, vcc_lo
	v_add_nc_u64_e32 v[28:29], s[6:7], v[22:23]
	v_cvt_f16_f32_e32 v30, v30
	global_store_b16 v[28:29], v30, off
	s_branch .LBB2_8
.LBB2_25:
	s_endpgm
	.section	.rodata,"a",@progbits
	.p2align	6, 0x0
	.amdhsa_kernel _ZN2at6native12_GLOBAL__N_125multi_tensor_apply_kernelINS1_18TensorListMetadataILi2EEENS1_14UnaryOpFunctorIN3c104HalfELi2ELi1ELi1EEEJNS0_4ErfcIfEEEEEvT_T0_DpT1_
		.amdhsa_group_segment_fixed_size 0
		.amdhsa_private_segment_fixed_size 0
		.amdhsa_kernarg_size 3408
		.amdhsa_user_sgpr_count 2
		.amdhsa_user_sgpr_dispatch_ptr 0
		.amdhsa_user_sgpr_queue_ptr 0
		.amdhsa_user_sgpr_kernarg_segment_ptr 1
		.amdhsa_user_sgpr_dispatch_id 0
		.amdhsa_user_sgpr_kernarg_preload_length 0
		.amdhsa_user_sgpr_kernarg_preload_offset 0
		.amdhsa_user_sgpr_private_segment_size 0
		.amdhsa_wavefront_size32 1
		.amdhsa_uses_dynamic_stack 0
		.amdhsa_enable_private_segment 0
		.amdhsa_system_sgpr_workgroup_id_x 1
		.amdhsa_system_sgpr_workgroup_id_y 0
		.amdhsa_system_sgpr_workgroup_id_z 0
		.amdhsa_system_sgpr_workgroup_info 0
		.amdhsa_system_vgpr_workitem_id 0
		.amdhsa_next_free_vgpr 61
		.amdhsa_next_free_sgpr 40
		.amdhsa_named_barrier_count 0
		.amdhsa_reserve_vcc 1
		.amdhsa_float_round_mode_32 0
		.amdhsa_float_round_mode_16_64 0
		.amdhsa_float_denorm_mode_32 3
		.amdhsa_float_denorm_mode_16_64 3
		.amdhsa_fp16_overflow 0
		.amdhsa_memory_ordered 1
		.amdhsa_forward_progress 1
		.amdhsa_inst_pref_size 31
		.amdhsa_round_robin_scheduling 0
		.amdhsa_exception_fp_ieee_invalid_op 0
		.amdhsa_exception_fp_denorm_src 0
		.amdhsa_exception_fp_ieee_div_zero 0
		.amdhsa_exception_fp_ieee_overflow 0
		.amdhsa_exception_fp_ieee_underflow 0
		.amdhsa_exception_fp_ieee_inexact 0
		.amdhsa_exception_int_div_zero 0
	.end_amdhsa_kernel
	.section	.text._ZN2at6native12_GLOBAL__N_125multi_tensor_apply_kernelINS1_18TensorListMetadataILi2EEENS1_14UnaryOpFunctorIN3c104HalfELi2ELi1ELi1EEEJNS0_4ErfcIfEEEEEvT_T0_DpT1_,"axG",@progbits,_ZN2at6native12_GLOBAL__N_125multi_tensor_apply_kernelINS1_18TensorListMetadataILi2EEENS1_14UnaryOpFunctorIN3c104HalfELi2ELi1ELi1EEEJNS0_4ErfcIfEEEEEvT_T0_DpT1_,comdat
.Lfunc_end2:
	.size	_ZN2at6native12_GLOBAL__N_125multi_tensor_apply_kernelINS1_18TensorListMetadataILi2EEENS1_14UnaryOpFunctorIN3c104HalfELi2ELi1ELi1EEEJNS0_4ErfcIfEEEEEvT_T0_DpT1_, .Lfunc_end2-_ZN2at6native12_GLOBAL__N_125multi_tensor_apply_kernelINS1_18TensorListMetadataILi2EEENS1_14UnaryOpFunctorIN3c104HalfELi2ELi1ELi1EEEJNS0_4ErfcIfEEEEEvT_T0_DpT1_
                                        ; -- End function
	.set _ZN2at6native12_GLOBAL__N_125multi_tensor_apply_kernelINS1_18TensorListMetadataILi2EEENS1_14UnaryOpFunctorIN3c104HalfELi2ELi1ELi1EEEJNS0_4ErfcIfEEEEEvT_T0_DpT1_.num_vgpr, 61
	.set _ZN2at6native12_GLOBAL__N_125multi_tensor_apply_kernelINS1_18TensorListMetadataILi2EEENS1_14UnaryOpFunctorIN3c104HalfELi2ELi1ELi1EEEJNS0_4ErfcIfEEEEEvT_T0_DpT1_.num_agpr, 0
	.set _ZN2at6native12_GLOBAL__N_125multi_tensor_apply_kernelINS1_18TensorListMetadataILi2EEENS1_14UnaryOpFunctorIN3c104HalfELi2ELi1ELi1EEEJNS0_4ErfcIfEEEEEvT_T0_DpT1_.numbered_sgpr, 40
	.set _ZN2at6native12_GLOBAL__N_125multi_tensor_apply_kernelINS1_18TensorListMetadataILi2EEENS1_14UnaryOpFunctorIN3c104HalfELi2ELi1ELi1EEEJNS0_4ErfcIfEEEEEvT_T0_DpT1_.num_named_barrier, 0
	.set _ZN2at6native12_GLOBAL__N_125multi_tensor_apply_kernelINS1_18TensorListMetadataILi2EEENS1_14UnaryOpFunctorIN3c104HalfELi2ELi1ELi1EEEJNS0_4ErfcIfEEEEEvT_T0_DpT1_.private_seg_size, 0
	.set _ZN2at6native12_GLOBAL__N_125multi_tensor_apply_kernelINS1_18TensorListMetadataILi2EEENS1_14UnaryOpFunctorIN3c104HalfELi2ELi1ELi1EEEJNS0_4ErfcIfEEEEEvT_T0_DpT1_.uses_vcc, 1
	.set _ZN2at6native12_GLOBAL__N_125multi_tensor_apply_kernelINS1_18TensorListMetadataILi2EEENS1_14UnaryOpFunctorIN3c104HalfELi2ELi1ELi1EEEJNS0_4ErfcIfEEEEEvT_T0_DpT1_.uses_flat_scratch, 0
	.set _ZN2at6native12_GLOBAL__N_125multi_tensor_apply_kernelINS1_18TensorListMetadataILi2EEENS1_14UnaryOpFunctorIN3c104HalfELi2ELi1ELi1EEEJNS0_4ErfcIfEEEEEvT_T0_DpT1_.has_dyn_sized_stack, 0
	.set _ZN2at6native12_GLOBAL__N_125multi_tensor_apply_kernelINS1_18TensorListMetadataILi2EEENS1_14UnaryOpFunctorIN3c104HalfELi2ELi1ELi1EEEJNS0_4ErfcIfEEEEEvT_T0_DpT1_.has_recursion, 0
	.set _ZN2at6native12_GLOBAL__N_125multi_tensor_apply_kernelINS1_18TensorListMetadataILi2EEENS1_14UnaryOpFunctorIN3c104HalfELi2ELi1ELi1EEEJNS0_4ErfcIfEEEEEvT_T0_DpT1_.has_indirect_call, 0
	.section	.AMDGPU.csdata,"",@progbits
; Kernel info:
; codeLenInByte = 3904
; TotalNumSgprs: 42
; NumVgprs: 61
; ScratchSize: 0
; MemoryBound: 0
; FloatMode: 240
; IeeeMode: 1
; LDSByteSize: 0 bytes/workgroup (compile time only)
; SGPRBlocks: 0
; VGPRBlocks: 3
; NumSGPRsForWavesPerEU: 42
; NumVGPRsForWavesPerEU: 61
; NamedBarCnt: 0
; Occupancy: 16
; WaveLimiterHint : 0
; COMPUTE_PGM_RSRC2:SCRATCH_EN: 0
; COMPUTE_PGM_RSRC2:USER_SGPR: 2
; COMPUTE_PGM_RSRC2:TRAP_HANDLER: 0
; COMPUTE_PGM_RSRC2:TGID_X_EN: 1
; COMPUTE_PGM_RSRC2:TGID_Y_EN: 0
; COMPUTE_PGM_RSRC2:TGID_Z_EN: 0
; COMPUTE_PGM_RSRC2:TIDIG_COMP_CNT: 0
	.section	.text._ZN2at6native12_GLOBAL__N_125multi_tensor_apply_kernelINS1_18TensorListMetadataILi2EEENS1_14UnaryOpFunctorIN3c108BFloat16ELi2ELi1ELi1EEEJNS0_4ErfcIfEEEEEvT_T0_DpT1_,"axG",@progbits,_ZN2at6native12_GLOBAL__N_125multi_tensor_apply_kernelINS1_18TensorListMetadataILi2EEENS1_14UnaryOpFunctorIN3c108BFloat16ELi2ELi1ELi1EEEJNS0_4ErfcIfEEEEEvT_T0_DpT1_,comdat
	.globl	_ZN2at6native12_GLOBAL__N_125multi_tensor_apply_kernelINS1_18TensorListMetadataILi2EEENS1_14UnaryOpFunctorIN3c108BFloat16ELi2ELi1ELi1EEEJNS0_4ErfcIfEEEEEvT_T0_DpT1_ ; -- Begin function _ZN2at6native12_GLOBAL__N_125multi_tensor_apply_kernelINS1_18TensorListMetadataILi2EEENS1_14UnaryOpFunctorIN3c108BFloat16ELi2ELi1ELi1EEEJNS0_4ErfcIfEEEEEvT_T0_DpT1_
	.p2align	8
	.type	_ZN2at6native12_GLOBAL__N_125multi_tensor_apply_kernelINS1_18TensorListMetadataILi2EEENS1_14UnaryOpFunctorIN3c108BFloat16ELi2ELi1ELi1EEEJNS0_4ErfcIfEEEEEvT_T0_DpT1_,@function
_ZN2at6native12_GLOBAL__N_125multi_tensor_apply_kernelINS1_18TensorListMetadataILi2EEENS1_14UnaryOpFunctorIN3c108BFloat16ELi2ELi1ELi1EEEJNS0_4ErfcIfEEEEEvT_T0_DpT1_: ; @_ZN2at6native12_GLOBAL__N_125multi_tensor_apply_kernelINS1_18TensorListMetadataILi2EEENS1_14UnaryOpFunctorIN3c108BFloat16ELi2ELi1ELi1EEEJNS0_4ErfcIfEEEEEvT_T0_DpT1_
; %bb.0:
	s_bfe_u32 s2, ttmp6, 0x4000c
	s_and_b32 s3, ttmp6, 15
	s_add_co_i32 s2, s2, 1
	s_getreg_b32 s4, hwreg(HW_REG_IB_STS2, 6, 4)
	s_mul_i32 s2, ttmp9, s2
	s_delay_alu instid0(SALU_CYCLE_1)
	s_add_co_i32 s3, s3, s2
	s_cmp_eq_u32 s4, 0
	s_cselect_b32 s2, ttmp9, s3
	s_mov_b32 s3, 0
	s_load_u8 s13, s[0:1], s2 offset:0x600
	s_add_nc_u64 s[4:5], s[0:1], s[2:3]
	s_mul_u64 s[6:7], s[2:3], 3
	s_delay_alu instid0(SALU_CYCLE_1)
	s_add_nc_u64 s[4:5], s[4:5], s[6:7]
	s_load_b32 s12, s[4:5], 0x740
	s_wait_kmcnt 0x0
	s_clause 0x2
	s_load_b64 s[8:9], s[0:1], s13 offset:0x0 scale_offset
	s_load_b64 s[10:11], s[0:1], s13 offset:0x200 scale_offset
	;; [unrolled: 1-line block ×3, first 2 shown]
	s_mov_b32 s5, s3
	s_wait_xcnt 0x0
	s_ashr_i32 s13, s12, 31
	s_delay_alu instid0(SALU_CYCLE_1)
	s_lshl_b64 s[6:7], s[12:13], 17
	s_wait_kmcnt 0x0
	s_and_b64 s[18:19], s[10:11], 7
	s_add_nc_u64 s[16:17], s[8:9], s[6:7]
	s_and_b32 s4, s14, 3
	s_and_b32 s2, s16, 7
	s_or_b64 s[4:5], s[18:19], s[4:5]
	s_lshl_b64 s[12:13], s[12:13], 16
	s_or_b64 s[2:3], s[4:5], s[2:3]
	s_sub_nc_u64 s[12:13], s[14:15], s[12:13]
	s_cmp_eq_u64 s[2:3], 0
	s_mov_b32 s2, -1
	s_cbranch_scc0 .LBB3_5
; %bb.1:
	v_min_i64 v[2:3], 0x10000, s[12:13]
	v_dual_mov_b32 v5, 0 :: v_dual_lshlrev_b32 v4, 2, v0
	s_mov_b32 s5, exec_lo
	s_delay_alu instid0(VALU_DEP_1)
	v_cmpx_lt_i64_e64 v[4:5], v[2:3]
	s_cbranch_execz .LBB3_4
; %bb.2:
	s_load_b32 s2, s[0:1], 0xc5c
	v_dual_mov_b32 v1, v5 :: v_dual_lshlrev_b32 v4, 3, v0
	s_mov_b32 s15, 0
	s_mov_b32 s16, 0xbaa2d753
	;; [unrolled: 1-line block ×3, first 2 shown]
	s_delay_alu instid0(VALU_DEP_1)
	v_mov_b64_e32 v[6:7], v[0:1]
	v_add_nc_u64_e32 v[4:5], s[6:7], v[4:5]
	s_mov_b32 s20, 0x3aad2fb4
	s_mov_b32 s22, 0x3c0da267
	;; [unrolled: 1-line block ×10, first 2 shown]
	s_wait_kmcnt 0x0
	s_and_b32 s14, s2, 0xffff
	s_delay_alu instid0(SALU_CYCLE_1)
	s_lshl_b32 s38, s14, 3
.LBB3_3:                                ; =>This Inner Loop Header: Depth=1
	v_add_nc_u64_e32 v[8:9], s[8:9], v[4:5]
	v_add_nc_u64_e32 v[6:7], s[14:15], v[6:7]
	global_load_b64 v[8:9], v[8:9], off
	v_lshlrev_b64_e32 v[10:11], 2, v[6:7]
	s_wait_loadcnt 0x0
	v_and_b32_e32 v13, 0xffff0000, v8
	v_lshlrev_b32_e32 v12, 16, v8
	v_alignbit_b32 v1, v9, v8, 16
	s_wait_xcnt 0x0
	v_and_b32_e32 v9, 0xffff0000, v9
	v_and_b32_e32 v19, 0x7fffffff, v13
	;; [unrolled: 1-line block ×3, first 2 shown]
	v_xor_b32_e32 v15, 0x80000000, v13
	v_and_b32_e32 v8, 0xffff0000, v1
	v_add_f32_e64 v25, |v13|, 2.0
	v_xor_b32_e32 v17, 0x80000000, v9
	v_pk_add_f32 v[26:27], v[18:19], v[18:19]
	v_and_b32_e32 v21, 0x7fffffff, v9
	v_add_f32_e64 v30, |v9|, 2.0
	v_xor_b32_e32 v16, 0x80000000, v8
	v_and_b32_e32 v20, 0x7fffffff, v8
	v_add_f32_e32 v38, 1.0, v26
	v_xor_b32_e32 v14, 0x80000000, v12
	v_add_f32_e64 v1, |v12|, 2.0
	v_rcp_f32_e32 v25, v25
	v_pk_add_f32 v[28:29], v[18:19], -2.0 op_sel_hi:[1,0]
	v_rcp_f32_e32 v31, v30
	v_pk_mul_f32 v[22:23], v[12:13], v[14:15]
	v_rcp_f32_e32 v24, v1
	v_nop
	v_add_f32_e64 v1, |v8|, 2.0
	v_pk_mul_f32 v[32:33], v[8:9], v[16:17]
	v_pk_add_f32 v[34:35], v[20:21], v[20:21]
	v_dual_mul_f32 v42, 0x3fb8aa3b, v22 :: v_dual_mul_f32 v43, 0x3fb8aa3b, v23
	s_delay_alu instid0(VALU_DEP_4) | instskip(NEXT) | instid1(VALU_DEP_2)
	v_rcp_f32_e32 v30, v1
	v_dual_add_f32 v39, 1.0, v27 :: v_dual_add_f32 v48, 1.0, v34
	s_delay_alu instid0(VALU_DEP_2)
	v_fma_f32 v1, 0x3fb8aa3b, v22, -v42
	v_rndne_f32_e32 v44, v42
	v_fma_f32 v46, 0x3fb8aa3b, v23, -v43
	v_rndne_f32_e32 v45, v43
	v_pk_add_f32 v[36:37], v[20:21], -2.0 op_sel_hi:[1,0]
	v_pk_mul_f32 v[28:29], v[28:29], v[24:25]
	v_dual_mul_f32 v47, 0x3fb8aa3b, v32 :: v_dual_add_f32 v50, 1.0, v35
	v_dual_fmac_f32 v1, 0x32a5705f, v22 :: v_dual_fmac_f32 v46, 0x32a5705f, v23
	v_dual_sub_f32 v51, v42, v44 :: v_dual_sub_f32 v53, v43, v45
	v_mul_f32_e32 v49, 0x3fb8aa3b, v33
	v_pk_add_f32 v[40:41], v[28:29], 1.0 op_sel_hi:[1,0]
	v_pk_mul_f32 v[36:37], v[36:37], v[30:31]
	v_fma_f32 v55, 0x3fb8aa3b, v32, -v47
	v_rndne_f32_e32 v56, v47
	v_rcp_f32_e32 v42, v48
	v_add_f32_e32 v46, v53, v46
	v_fma_f32 v48, 0x3fb8aa3b, v33, -v49
	v_rndne_f32_e32 v57, v49
	v_cvt_i32_f32_e32 v52, v44
	v_cvt_i32_f32_e32 v54, v45
	v_pk_fma_f32 v[40:41], v[40:41], -2.0, v[18:19] op_sel_hi:[1,0,1]
	v_pk_add_f32 v[44:45], v[36:37], 1.0 op_sel_hi:[1,0]
	v_dual_fmac_f32 v55, 0x32a5705f, v32 :: v_dual_fmac_f32 v48, 0x32a5705f, v33
	v_dual_sub_f32 v47, v47, v56 :: v_dual_sub_f32 v49, v49, v57
	v_add_f32_e32 v1, v51, v1
	v_pk_fma_f32 v[18:19], v[28:29], v[18:19], v[40:41] neg_lo:[1,0,0] neg_hi:[1,0,0]
	v_pk_fma_f32 v[40:41], v[44:45], -2.0, v[20:21] op_sel_hi:[1,0,1]
	v_exp_f32_e32 v44, v46
	v_nop
	v_add_f32_e32 v46, v49, v48
	v_exp_f32_e32 v1, v1
	v_cmp_ngt_f32_e64 s2, 0xc2ce8ed0, v22
	v_pk_fma_f32 v[18:19], v[24:25], v[18:19], v[28:29]
	v_pk_fma_f32 v[20:21], v[36:37], v[20:21], v[40:41] neg_lo:[1,0,0] neg_hi:[1,0,0]
	v_exp_f32_e32 v29, v46
	v_rcp_f32_e32 v43, v50
	v_nop
	v_cvt_i32_f32_e32 v50, v56
	v_ldexp_f32 v1, v1, v52
	v_add_f32_e32 v45, v47, v55
	v_cvt_i32_f32_e32 v51, v57
	v_pk_fma_f32 v[20:21], v[30:31], v[20:21], v[36:37]
	v_pk_fma_f32 v[24:25], v[18:19], s[18:19], s[16:17] op_sel_hi:[1,0,0]
	v_cndmask_b32_e64 v1, 0, v1, s2
	v_exp_f32_e32 v28, v45
	v_ldexp_f32 v40, v44, v54
	v_cmp_ngt_f32_e32 vcc_lo, 0xc2ce8ed0, v23
	v_ldexp_f32 v36, v29, v51
	v_pk_fma_f32 v[24:25], v[18:19], v[24:25], s[20:21] op_sel_hi:[1,1,0]
	v_cmp_ngt_f32_e64 s2, 0xc2ce8ed0, v32
	v_cmp_nlt_f32_e64 s4, 0x42b17218, v22
	v_ldexp_f32 v31, v28, v50
	v_pk_fma_f32 v[28:29], v[20:21], s[18:19], s[16:17] op_sel_hi:[1,0,0]
	v_cndmask_b32_e32 v30, 0, v40, vcc_lo
	v_cmp_nlt_f32_e32 vcc_lo, 0x42b17218, v23
	v_pk_fma_f32 v[24:25], v[18:19], v[24:25], s[22:23] op_sel_hi:[1,1,0]
	v_pk_fma_f32 v[14:15], v[14:15], v[12:13], v[22:23] neg_lo:[0,0,1] neg_hi:[0,0,1]
	v_pk_fma_f32 v[28:29], v[20:21], v[28:29], s[20:21] op_sel_hi:[1,1,0]
	v_cndmask_b32_e64 v22, 0x7f800000, v1, s4
	v_cndmask_b32_e64 v1, 0, v31, s2
	v_cndmask_b32_e32 v23, 0x7f800000, v30, vcc_lo
	v_pk_fma_f32 v[24:25], v[18:19], v[24:25], s[24:25] op_sel_hi:[1,1,0]
	v_pk_fma_f32 v[28:29], v[20:21], v[28:29], s[22:23] op_sel_hi:[1,1,0]
	v_rcp_f32_e32 v38, v38
	v_rcp_f32_e32 v39, v39
	v_pk_fma_f32 v[14:15], v[22:23], v[14:15], v[22:23]
	v_pk_fma_f32 v[24:25], v[18:19], v[24:25], s[26:27] op_sel_hi:[1,1,0]
	v_pk_fma_f32 v[22:23], v[20:21], v[28:29], s[24:25] op_sel_hi:[1,1,0]
	v_cmp_ngt_f32_e64 s3, 0xc2ce8ed0, v33
	v_cmp_nlt_f32_e32 vcc_lo, 0x42b17218, v32
	v_cmp_nlt_f32_e64 s2, 0x42b17218, v33
	v_pk_fma_f32 v[24:25], v[18:19], v[24:25], s[28:29] op_sel_hi:[1,1,0]
	v_pk_fma_f32 v[22:23], v[20:21], v[22:23], s[26:27] op_sel_hi:[1,1,0]
	v_pk_fma_f32 v[16:17], v[16:17], v[8:9], v[32:33] neg_lo:[0,0,1] neg_hi:[0,0,1]
	v_cndmask_b32_e32 v30, 0x7f800000, v1, vcc_lo
	v_cmp_nlt_f32_e64 vcc_lo, 0x4120ddfc, |v12|
	v_pk_fma_f32 v[24:25], v[18:19], v[24:25], s[30:31] op_sel_hi:[1,1,0]
	v_pk_fma_f32 v[22:23], v[20:21], v[22:23], s[28:29] op_sel_hi:[1,1,0]
	s_delay_alu instid0(VALU_DEP_2) | instskip(NEXT) | instid1(VALU_DEP_2)
	v_pk_fma_f32 v[24:25], v[18:19], v[24:25], s[34:35] op_sel_hi:[1,1,0]
	v_pk_fma_f32 v[22:23], v[20:21], v[22:23], s[30:31] op_sel_hi:[1,1,0]
	s_delay_alu instid0(VALU_DEP_2) | instskip(NEXT) | instid1(VALU_DEP_2)
	v_pk_fma_f32 v[18:19], v[18:19], v[24:25], s[36:37] op_sel_hi:[1,1,0]
	v_pk_fma_f32 v[22:23], v[20:21], v[22:23], s[34:35] op_sel_hi:[1,1,0]
	s_delay_alu instid0(VALU_DEP_1) | instskip(NEXT) | instid1(VALU_DEP_3)
	v_pk_fma_f32 v[20:21], v[20:21], v[22:23], s[36:37] op_sel_hi:[1,1,0]
	v_pk_fma_f32 v[22:23], v[18:19], v[38:39], v[38:39]
	v_cndmask_b32_e64 v31, 0, v36, s3
	v_cmp_nlt_f32_e64 s3, 0x4120ddfc, |v9|
	s_delay_alu instid0(VALU_DEP_4) | instskip(NEXT) | instid1(VALU_DEP_4)
	v_pk_fma_f32 v[24:25], v[20:21], v[42:43], v[42:43]
	v_pk_fma_f32 v[26:27], v[22:23], v[26:27], 1.0 op_sel_hi:[1,1,0] neg_lo:[1,0,0] neg_hi:[1,0,0]
	v_dual_sub_f32 v19, v19, v23 :: v_dual_sub_f32 v18, v18, v22
	v_cndmask_b32_e64 v31, 0x7f800000, v31, s2
	s_delay_alu instid0(VALU_DEP_4) | instskip(SKIP_1) | instid1(VALU_DEP_4)
	v_pk_fma_f32 v[28:29], v[24:25], v[34:35], 1.0 op_sel_hi:[1,1,0] neg_lo:[1,0,0] neg_hi:[1,0,0]
	v_dual_sub_f32 v21, v21, v25 :: v_dual_sub_f32 v20, v20, v24
	v_pk_add_f32 v[18:19], v[26:27], v[18:19]
	s_delay_alu instid0(VALU_DEP_4) | instskip(SKIP_1) | instid1(VALU_DEP_4)
	v_pk_fma_f32 v[16:17], v[30:31], v[16:17], v[30:31]
	v_cmp_nlt_f32_e64 s2, 0x4120ddfc, |v13|
	v_pk_add_f32 v[20:21], v[28:29], v[20:21]
	s_delay_alu instid0(VALU_DEP_4) | instskip(NEXT) | instid1(VALU_DEP_2)
	v_pk_fma_f32 v[18:19], v[38:39], v[18:19], v[22:23]
	v_pk_fma_f32 v[20:21], v[42:43], v[20:21], v[24:25]
	s_delay_alu instid0(VALU_DEP_2) | instskip(NEXT) | instid1(VALU_DEP_2)
	v_pk_mul_f32 v[14:15], v[14:15], v[18:19]
	v_pk_mul_f32 v[16:17], v[16:17], v[20:21]
	s_delay_alu instid0(VALU_DEP_2) | instskip(SKIP_2) | instid1(VALU_DEP_2)
	v_dual_cndmask_b32 v1, 0, v15, s2 :: v_dual_cndmask_b32 v14, 0, v14, vcc_lo
	v_cmp_nlt_f32_e64 vcc_lo, 0x4120ddfc, |v8|
	v_cmp_gt_f32_e64 s2, 0, v12
	v_dual_cndmask_b32 v15, 0, v16, vcc_lo :: v_dual_cndmask_b32 v16, 0, v17, s3
	s_delay_alu instid0(VALU_DEP_4) | instskip(SKIP_1) | instid1(VALU_DEP_3)
	v_sub_f32_e32 v17, 2.0, v1
	v_cmp_gt_f32_e32 vcc_lo, 0, v13
	v_dual_sub_f32 v18, 2.0, v14 :: v_dual_sub_f32 v13, 2.0, v15
	s_delay_alu instid0(VALU_DEP_4) | instskip(SKIP_3) | instid1(VALU_DEP_3)
	v_sub_f32_e32 v12, 2.0, v16
	v_cmp_gt_f32_e64 s3, 0, v9
	v_cndmask_b32_e32 v1, v1, v17, vcc_lo
	v_cmp_gt_f32_e32 vcc_lo, 0, v8
	v_dual_cndmask_b32 v9, v14, v18, s2 :: v_dual_cndmask_b32 v12, v16, v12, s3
	s_delay_alu instid0(VALU_DEP_3) | instskip(SKIP_1) | instid1(VALU_DEP_3)
	v_cmp_o_f32_e64 s2, v1, v1
	v_cndmask_b32_e32 v8, v15, v13, vcc_lo
	v_lshrrev_b32_e32 v14, 16, v9
	s_delay_alu instid0(VALU_DEP_4) | instskip(SKIP_1) | instid1(VALU_DEP_2)
	v_dual_lshrrev_b32 v13, 16, v1 :: v_dual_lshrrev_b32 v16, 16, v12
	v_cmp_o_f32_e32 vcc_lo, v9, v9
	v_dual_lshrrev_b32 v15, 16, v8 :: v_dual_bitop2_b32 v13, 1, v13 bitop3:0x40
	s_delay_alu instid0(VALU_DEP_3) | instskip(NEXT) | instid1(VALU_DEP_2)
	v_and_b32_e32 v16, 1, v16
	v_and_b32_e32 v15, 1, v15
	s_delay_alu instid0(VALU_DEP_3) | instskip(NEXT) | instid1(VALU_DEP_3)
	v_add3_u32 v13, v1, v13, 0x7fff
	v_add3_u32 v16, v12, v16, 0x7fff
	s_delay_alu instid0(VALU_DEP_3) | instskip(SKIP_1) | instid1(VALU_DEP_4)
	v_add3_u32 v15, v8, v15, 0x7fff
	v_and_b32_e32 v14, 1, v14
	v_and_b32_e32 v13, 0xffff0000, v13
	s_delay_alu instid0(VALU_DEP_4) | instskip(NEXT) | instid1(VALU_DEP_4)
	v_and_b32_e32 v1, 0xffff0000, v16
	v_lshrrev_b32_e32 v15, 16, v15
	s_delay_alu instid0(VALU_DEP_4) | instskip(NEXT) | instid1(VALU_DEP_4)
	v_add3_u32 v14, v9, v14, 0x7fff
	v_cndmask_b32_e64 v13, 0x7fc00000, v13, s2
	s_delay_alu instid0(VALU_DEP_3) | instskip(NEXT) | instid1(VALU_DEP_3)
	v_and_b32_e32 v9, 0xffff, v15
	v_lshrrev_b32_e32 v14, 16, v14
	s_delay_alu instid0(VALU_DEP_1)
	v_cndmask_b32_e32 v14, 0x7fc0, v14, vcc_lo
	v_cmp_o_f32_e32 vcc_lo, v12, v12
	v_cndmask_b32_e32 v1, 0x7fc00000, v1, vcc_lo
	v_cmp_o_f32_e32 vcc_lo, v8, v8
	v_cndmask_b32_e32 v12, 0x7fc0, v9, vcc_lo
	v_cmp_ge_i64_e32 vcc_lo, v[10:11], v[2:3]
	v_add_nc_u64_e32 v[8:9], s[10:11], v[4:5]
	v_add_nc_u64_e32 v[4:5], s[38:39], v[4:5]
	v_or3_b32 v10, v14, 0, v13
	v_or3_b32 v11, 0, v12, v1
	s_or_b32 s17, vcc_lo, s17
	global_store_b64 v[8:9], v[10:11], off
	s_wait_xcnt 0x0
	s_and_not1_b32 exec_lo, exec_lo, s17
	s_cbranch_execnz .LBB3_3
.LBB3_4:
	s_or_b32 exec_lo, exec_lo, s5
	s_mov_b32 s2, 0
.LBB3_5:
	s_delay_alu instid0(SALU_CYCLE_1)
	s_and_not1_b32 vcc_lo, exec_lo, s2
	s_cbranch_vccnz .LBB3_25
; %bb.6:
	v_cmp_lt_i64_e64 s2, s[12:13], 1
	s_and_b32 vcc_lo, exec_lo, s2
	s_cbranch_vccnz .LBB3_25
; %bb.7:
	s_load_b32 s0, s[0:1], 0xc5c
	v_min_i64 v[2:3], 0x10000, s[12:13]
	v_min_u64 v[4:5], 0x10000, s[12:13]
	v_dual_mov_b32 v1, 0 :: v_dual_lshlrev_b32 v10, 1, v0
	s_wait_xcnt 0x0
	s_mov_b32 s1, 0
	s_delay_alu instid0(SALU_CYCLE_1) | instskip(NEXT) | instid1(VALU_DEP_1)
	s_mov_b32 s5, s1
	v_dual_mov_b32 v11, v1 :: v_dual_mov_b32 v27, v1
	s_mov_b32 s3, s1
	s_mov_b32 s13, s1
	s_delay_alu instid0(VALU_DEP_1) | instskip(SKIP_2) | instid1(SALU_CYCLE_1)
	v_add_nc_u64_e32 v[6:7], s[8:9], v[10:11]
	s_wait_kmcnt 0x0
	s_and_b32 s0, s0, 0xffff
	v_add_nc_u64_e32 v[8:9], s[0:1], v[0:1]
	v_mad_nc_u64_u32 v[22:23], s0, 6, v[10:11]
	s_lshl_b32 s4, s0, 2
	s_mul_i32 s12, s0, 3
	v_add_nc_u64_e32 v[18:19], s[4:5], v[10:11]
	s_lshl_b32 s2, s0, 1
	v_add_nc_u64_e32 v[10:11], s[10:11], v[10:11]
	v_lshlrev_b32_e32 v26, 1, v8
	v_add_nc_u64_e32 v[12:13], s[12:13], v[0:1]
	v_add_nc_u64_e32 v[14:15], s[2:3], v[0:1]
	s_mov_b32 s3, 0xb9d6f8c4
	v_add_nc_u64_e32 v[16:17], s[8:9], v[18:19]
	v_add_nc_u64_e32 v[18:19], s[10:11], v[18:19]
	;; [unrolled: 1-line block ×6, first 2 shown]
	s_lshl_b32 s8, s0, 3
	s_mov_b32 s9, s1
	s_mov_b64 s[10:11], 0
	s_branch .LBB3_9
.LBB3_8:                                ;   in Loop: Header=BB3_9 Depth=1
	s_wait_xcnt 0x0
	s_or_b32 exec_lo, exec_lo, s0
	s_add_nc_u64 s[10:11], s[10:11], s[4:5]
	v_add_nc_u64_e32 v[6:7], s[8:9], v[6:7]
	v_cmp_ge_i64_e32 vcc_lo, s[10:11], v[2:3]
	v_add_nc_u64_e32 v[10:11], s[8:9], v[10:11]
	v_add_nc_u64_e32 v[20:21], s[8:9], v[20:21]
	;; [unrolled: 1-line block ×7, first 2 shown]
	s_cbranch_vccnz .LBB3_25
.LBB3_9:                                ; =>This Inner Loop Header: Depth=1
	v_add_nc_u64_e32 v[28:29], s[10:11], v[0:1]
	v_mov_b32_e32 v31, 0
	s_delay_alu instid0(VALU_DEP_2)
	v_cmp_lt_u64_e64 s2, v[28:29], v[4:5]
	s_and_saveexec_b32 s0, s2
	s_cbranch_execz .LBB3_11
; %bb.10:                               ;   in Loop: Header=BB3_9 Depth=1
	v_add_nc_u64_e32 v[28:29], s[6:7], v[6:7]
	global_load_u16 v28, v[28:29], off
	s_wait_loadcnt 0x0
	v_lshlrev_b32_e32 v31, 16, v28
.LBB3_11:                               ;   in Loop: Header=BB3_9 Depth=1
	s_wait_xcnt 0x0
	s_or_b32 exec_lo, exec_lo, s0
	v_add_nc_u64_e32 v[28:29], s[10:11], v[8:9]
	v_mov_b32_e32 v30, 0
	s_delay_alu instid0(VALU_DEP_2)
	v_cmp_lt_u64_e64 s1, v[28:29], v[4:5]
	v_mov_b32_e32 v29, 0
	s_and_saveexec_b32 s0, s1
	s_cbranch_execz .LBB3_13
; %bb.12:                               ;   in Loop: Header=BB3_9 Depth=1
	v_add_nc_u64_e32 v[32:33], s[6:7], v[24:25]
	global_load_u16 v28, v[32:33], off
	s_wait_loadcnt 0x0
	v_lshlrev_b32_e32 v30, 16, v28
.LBB3_13:                               ;   in Loop: Header=BB3_9 Depth=1
	s_wait_xcnt 0x0
	s_or_b32 exec_lo, exec_lo, s0
	v_add_nc_u64_e32 v[32:33], s[10:11], v[14:15]
	s_delay_alu instid0(VALU_DEP_1)
	v_cmp_lt_u64_e64 s0, v[32:33], v[4:5]
	s_and_saveexec_b32 s12, s0
	s_cbranch_execz .LBB3_15
; %bb.14:                               ;   in Loop: Header=BB3_9 Depth=1
	v_add_nc_u64_e32 v[28:29], s[6:7], v[16:17]
	global_load_u16 v28, v[28:29], off
	s_wait_loadcnt 0x0
	v_lshlrev_b32_e32 v29, 16, v28
.LBB3_15:                               ;   in Loop: Header=BB3_9 Depth=1
	s_or_b32 exec_lo, exec_lo, s12
	v_add_nc_u64_e32 v[32:33], s[10:11], v[12:13]
	v_mov_b32_e32 v28, 0
	s_delay_alu instid0(VALU_DEP_2)
	v_cmp_lt_u64_e32 vcc_lo, v[32:33], v[4:5]
	s_and_saveexec_b32 s12, vcc_lo
	s_cbranch_execnz .LBB3_20
; %bb.16:                               ;   in Loop: Header=BB3_9 Depth=1
	s_or_b32 exec_lo, exec_lo, s12
	s_and_saveexec_b32 s12, s2
	s_cbranch_execnz .LBB3_21
.LBB3_17:                               ;   in Loop: Header=BB3_9 Depth=1
	s_or_b32 exec_lo, exec_lo, s12
	s_and_saveexec_b32 s2, s1
	s_cbranch_execnz .LBB3_22
.LBB3_18:                               ;   in Loop: Header=BB3_9 Depth=1
	s_or_b32 exec_lo, exec_lo, s2
	s_and_saveexec_b32 s1, s0
	s_cbranch_execnz .LBB3_23
.LBB3_19:                               ;   in Loop: Header=BB3_9 Depth=1
	s_or_b32 exec_lo, exec_lo, s1
	s_and_saveexec_b32 s0, vcc_lo
	s_cbranch_execz .LBB3_8
	s_branch .LBB3_24
.LBB3_20:                               ;   in Loop: Header=BB3_9 Depth=1
	v_add_nc_u64_e32 v[32:33], s[6:7], v[20:21]
	global_load_u16 v28, v[32:33], off
	s_wait_loadcnt 0x0
	v_lshlrev_b32_e32 v28, 16, v28
	s_wait_xcnt 0x0
	s_or_b32 exec_lo, exec_lo, s12
	s_and_saveexec_b32 s12, s2
	s_cbranch_execz .LBB3_17
.LBB3_21:                               ;   in Loop: Header=BB3_9 Depth=1
	v_add_f32_e64 v32, |v31|, 2.0
	v_add_f32_e64 v33, |v31|, -2.0
	v_add_f32_e64 v38, |v31|, |v31|
	v_mul_f32_e64 v36, v31, -v31
	s_delay_alu instid0(VALU_DEP_4) | instskip(NEXT) | instid1(VALU_DEP_1)
	v_rcp_f32_e32 v32, v32
	v_cmp_ngt_f32_e64 s2, 0xc2ce8ed0, v36
	s_delay_alu instid0(TRANS32_DEP_1) | instskip(NEXT) | instid1(VALU_DEP_1)
	v_mul_f32_e32 v34, v33, v32
	v_add_f32_e32 v33, 1.0, v34
	s_delay_alu instid0(VALU_DEP_1) | instskip(NEXT) | instid1(VALU_DEP_1)
	v_fma_f32 v33, v33, -2.0, |v31|
	v_fma_f32 v33, -v34, |v31|, v33
	s_delay_alu instid0(VALU_DEP_1) | instskip(NEXT) | instid1(VALU_DEP_1)
	v_dual_fmac_f32 v34, v32, v33 :: v_dual_mul_f32 v33, 0x3fb8aa3b, v36
	v_fmaak_f32 v32, s3, v34, 0xbaa2d753
	s_delay_alu instid0(VALU_DEP_2) | instskip(SKIP_1) | instid1(VALU_DEP_2)
	v_rndne_f32_e32 v35, v33
	v_fma_f32 v37, 0x3fb8aa3b, v36, -v33
	v_dual_fmaak_f32 v32, v34, v32, 0x3aad2fb4 :: v_dual_sub_f32 v33, v33, v35
	s_delay_alu instid0(VALU_DEP_2) | instskip(SKIP_1) | instid1(VALU_DEP_2)
	v_fmac_f32_e32 v37, 0x32a5705f, v36
	v_cvt_i32_f32_e32 v35, v35
	v_dual_fmaak_f32 v32, v34, v32, 0x3c0da267 :: v_dual_add_f32 v33, v33, v37
	s_delay_alu instid0(VALU_DEP_1) | instskip(NEXT) | instid1(VALU_DEP_2)
	v_dual_add_f32 v37, 1.0, v38 :: v_dual_fmaak_f32 v32, v34, v32, 0xbc0415b1
	v_exp_f32_e32 v39, v33
	s_delay_alu instid0(VALU_DEP_1) | instskip(NEXT) | instid1(VALU_DEP_1)
	v_rcp_f32_e32 v33, v37
	v_fmaak_f32 v32, v34, v32, 0xbd5e0a18
	s_delay_alu instid0(VALU_DEP_1) | instskip(NEXT) | instid1(VALU_DEP_1)
	v_fmaak_f32 v32, v34, v32, 0x3e27fe2a
	v_fmaak_f32 v32, v34, v32, 0xbe2a03fd
	s_delay_alu instid0(VALU_DEP_1) | instskip(NEXT) | instid1(VALU_DEP_1)
	v_fmaak_f32 v32, v34, v32, 0xbdbdfb0b
	v_fmaak_f32 v32, v34, v32, 0x3e8dd01c
	v_ldexp_f32 v34, v39, v35
	s_delay_alu instid0(VALU_DEP_1) | instskip(SKIP_1) | instid1(VALU_DEP_2)
	v_dual_fma_f32 v35, v32, v33, v33 :: v_dual_cndmask_b32 v34, 0, v34, s2
	v_cmp_nlt_f32_e64 s2, 0x42b17218, v36
	v_fma_f32 v37, -v35, v38, 1.0
	v_sub_f32_e32 v38, v32, v35
	s_delay_alu instid0(VALU_DEP_3) | instskip(SKIP_2) | instid1(VALU_DEP_3)
	v_cndmask_b32_e64 v32, 0x7f800000, v34, s2
	v_fma_f32 v36, -v31, v31, -v36
	v_cmp_nlt_f32_e64 s2, 0x4120ddfc, |v31|
	v_dual_add_f32 v37, v37, v38 :: v_dual_mov_b32 v34, v32
	s_delay_alu instid0(VALU_DEP_1) | instskip(NEXT) | instid1(VALU_DEP_1)
	v_pk_fma_f32 v[32:33], v[32:33], v[36:37], v[34:35]
	v_mul_f32_e32 v32, v32, v33
	s_delay_alu instid0(VALU_DEP_1) | instskip(SKIP_1) | instid1(VALU_DEP_2)
	v_cndmask_b32_e64 v32, 0, v32, s2
	v_cmp_gt_f32_e64 s2, 0, v31
	v_sub_f32_e32 v33, 2.0, v32
	s_delay_alu instid0(VALU_DEP_1) | instskip(NEXT) | instid1(VALU_DEP_1)
	v_cndmask_b32_e64 v31, v32, v33, s2
	v_bfe_u32 v32, v31, 16, 1
	v_cmp_o_f32_e64 s2, v31, v31
	s_delay_alu instid0(VALU_DEP_2) | instskip(NEXT) | instid1(VALU_DEP_1)
	v_add3_u32 v32, v31, v32, 0x7fff
	v_lshrrev_b32_e32 v34, 16, v32
	v_add_nc_u64_e32 v[32:33], s[6:7], v[10:11]
	s_delay_alu instid0(VALU_DEP_2)
	v_cndmask_b32_e64 v31, 0x7fc0, v34, s2
	global_store_b16 v[32:33], v31, off
	s_wait_xcnt 0x0
	s_or_b32 exec_lo, exec_lo, s12
	s_and_saveexec_b32 s2, s1
	s_cbranch_execz .LBB3_18
.LBB3_22:                               ;   in Loop: Header=BB3_9 Depth=1
	v_add_f32_e64 v31, |v30|, 2.0
	v_add_f32_e64 v32, |v30|, -2.0
	v_add_f32_e64 v37, |v30|, |v30|
	v_mul_f32_e64 v34, v30, -v30
	s_delay_alu instid0(VALU_DEP_4) | instskip(NEXT) | instid1(VALU_DEP_1)
	v_rcp_f32_e32 v31, v31
	v_cmp_ngt_f32_e64 s1, 0xc2ce8ed0, v34
	s_delay_alu instid0(TRANS32_DEP_1) | instskip(NEXT) | instid1(VALU_DEP_1)
	v_mul_f32_e32 v32, v32, v31
	v_add_f32_e32 v33, 1.0, v32
	s_delay_alu instid0(VALU_DEP_1) | instskip(NEXT) | instid1(VALU_DEP_1)
	v_fma_f32 v33, v33, -2.0, |v30|
	v_fma_f32 v33, -v32, |v30|, v33
	s_delay_alu instid0(VALU_DEP_1) | instskip(NEXT) | instid1(VALU_DEP_1)
	v_dual_fmac_f32 v32, v31, v33 :: v_dual_mul_f32 v33, 0x3fb8aa3b, v34
	v_fmaak_f32 v31, s3, v32, 0xbaa2d753
	s_delay_alu instid0(VALU_DEP_2) | instskip(SKIP_1) | instid1(VALU_DEP_1)
	v_rndne_f32_e32 v35, v33
	v_fma_f32 v36, 0x3fb8aa3b, v34, -v33
	v_dual_sub_f32 v33, v33, v35 :: v_dual_fmac_f32 v36, 0x32a5705f, v34
	v_cvt_i32_f32_e32 v35, v35
	s_delay_alu instid0(VALU_DEP_2) | instskip(SKIP_1) | instid1(VALU_DEP_2)
	v_dual_add_f32 v33, v33, v36 :: v_dual_add_f32 v36, 1.0, v37
	v_fmaak_f32 v31, v32, v31, 0x3aad2fb4
	v_exp_f32_e32 v38, v33
	s_delay_alu instid0(VALU_DEP_2) | instskip(NEXT) | instid1(VALU_DEP_1)
	v_rcp_f32_e32 v33, v36
	v_fmaak_f32 v31, v32, v31, 0x3c0da267
	v_fma_f32 v36, -v30, v30, -v34
	s_delay_alu instid0(VALU_DEP_2) | instskip(NEXT) | instid1(VALU_DEP_1)
	v_fmaak_f32 v31, v32, v31, 0xbc0415b1
	v_fmaak_f32 v31, v32, v31, 0xbd5e0a18
	s_delay_alu instid0(VALU_DEP_1) | instskip(NEXT) | instid1(VALU_DEP_1)
	v_fmaak_f32 v31, v32, v31, 0x3e27fe2a
	v_fmaak_f32 v31, v32, v31, 0xbe2a03fd
	s_delay_alu instid0(VALU_DEP_1) | instskip(NEXT) | instid1(VALU_DEP_1)
	v_fmaak_f32 v31, v32, v31, 0xbdbdfb0b
	v_fmaak_f32 v31, v32, v31, 0x3e8dd01c
	v_ldexp_f32 v32, v38, v35
	s_delay_alu instid0(VALU_DEP_1) | instskip(SKIP_1) | instid1(VALU_DEP_2)
	v_dual_fma_f32 v35, v31, v33, v33 :: v_dual_cndmask_b32 v32, 0, v32, s1
	v_cmp_nlt_f32_e64 s1, 0x42b17218, v34
	v_fma_f32 v37, -v35, v37, 1.0
	v_sub_f32_e32 v31, v31, v35
	s_delay_alu instid0(VALU_DEP_3) | instskip(SKIP_1) | instid1(VALU_DEP_2)
	v_cndmask_b32_e64 v32, 0x7f800000, v32, s1
	v_cmp_nlt_f32_e64 s1, 0x4120ddfc, |v30|
	v_dual_add_f32 v37, v37, v31 :: v_dual_mov_b32 v34, v32
	s_delay_alu instid0(VALU_DEP_1) | instskip(NEXT) | instid1(VALU_DEP_1)
	v_pk_fma_f32 v[32:33], v[32:33], v[36:37], v[34:35]
	v_mul_f32_e32 v31, v32, v33
	s_delay_alu instid0(VALU_DEP_1) | instskip(SKIP_1) | instid1(VALU_DEP_2)
	v_cndmask_b32_e64 v31, 0, v31, s1
	v_cmp_gt_f32_e64 s1, 0, v30
	v_sub_f32_e32 v32, 2.0, v31
	s_delay_alu instid0(VALU_DEP_1) | instskip(NEXT) | instid1(VALU_DEP_1)
	v_cndmask_b32_e64 v32, v31, v32, s1
	v_bfe_u32 v30, v32, 16, 1
	v_cmp_o_f32_e64 s1, v32, v32
	s_delay_alu instid0(VALU_DEP_2) | instskip(NEXT) | instid1(VALU_DEP_1)
	v_add3_u32 v30, v32, v30, 0x7fff
	v_lshrrev_b32_e32 v33, 16, v30
	v_add_nc_u64_e32 v[30:31], s[6:7], v[26:27]
	s_delay_alu instid0(VALU_DEP_2)
	v_cndmask_b32_e64 v32, 0x7fc0, v33, s1
	global_store_b16 v[30:31], v32, off
	s_wait_xcnt 0x0
	s_or_b32 exec_lo, exec_lo, s2
	s_and_saveexec_b32 s1, s0
	s_cbranch_execz .LBB3_19
.LBB3_23:                               ;   in Loop: Header=BB3_9 Depth=1
	v_add_f32_e64 v30, |v29|, 2.0
	v_add_f32_e64 v31, |v29|, -2.0
	v_add_f32_e64 v36, |v29|, |v29|
	v_mul_f32_e64 v34, v29, -v29
	s_delay_alu instid0(VALU_DEP_4) | instskip(NEXT) | instid1(VALU_DEP_1)
	v_rcp_f32_e32 v30, v30
	v_cmp_ngt_f32_e64 s0, 0xc2ce8ed0, v34
	s_delay_alu instid0(TRANS32_DEP_1) | instskip(NEXT) | instid1(VALU_DEP_1)
	v_mul_f32_e32 v32, v31, v30
	v_add_f32_e32 v31, 1.0, v32
	s_delay_alu instid0(VALU_DEP_1) | instskip(NEXT) | instid1(VALU_DEP_1)
	v_fma_f32 v31, v31, -2.0, |v29|
	v_fma_f32 v31, -v32, |v29|, v31
	s_delay_alu instid0(VALU_DEP_1) | instskip(NEXT) | instid1(VALU_DEP_1)
	v_dual_fmac_f32 v32, v30, v31 :: v_dual_mul_f32 v31, 0x3fb8aa3b, v34
	v_fmaak_f32 v30, s3, v32, 0xbaa2d753
	s_delay_alu instid0(VALU_DEP_2) | instskip(SKIP_1) | instid1(VALU_DEP_2)
	v_rndne_f32_e32 v33, v31
	v_fma_f32 v35, 0x3fb8aa3b, v34, -v31
	v_dual_fmaak_f32 v30, v32, v30, 0x3aad2fb4 :: v_dual_sub_f32 v31, v31, v33
	s_delay_alu instid0(VALU_DEP_2) | instskip(SKIP_1) | instid1(VALU_DEP_2)
	v_fmac_f32_e32 v35, 0x32a5705f, v34
	v_cvt_i32_f32_e32 v33, v33
	v_dual_fmaak_f32 v30, v32, v30, 0x3c0da267 :: v_dual_add_f32 v31, v31, v35
	s_delay_alu instid0(VALU_DEP_1) | instskip(NEXT) | instid1(VALU_DEP_2)
	v_dual_add_f32 v35, 1.0, v36 :: v_dual_fmaak_f32 v30, v32, v30, 0xbc0415b1
	v_exp_f32_e32 v37, v31
	s_delay_alu instid0(VALU_DEP_1) | instskip(NEXT) | instid1(VALU_DEP_1)
	v_rcp_f32_e32 v31, v35
	v_fmaak_f32 v30, v32, v30, 0xbd5e0a18
	s_delay_alu instid0(VALU_DEP_1) | instskip(NEXT) | instid1(VALU_DEP_1)
	v_fmaak_f32 v30, v32, v30, 0x3e27fe2a
	v_fmaak_f32 v30, v32, v30, 0xbe2a03fd
	s_delay_alu instid0(VALU_DEP_1) | instskip(NEXT) | instid1(VALU_DEP_1)
	v_fmaak_f32 v30, v32, v30, 0xbdbdfb0b
	v_fmaak_f32 v30, v32, v30, 0x3e8dd01c
	v_ldexp_f32 v32, v37, v33
	s_delay_alu instid0(VALU_DEP_1) | instskip(SKIP_1) | instid1(VALU_DEP_2)
	v_dual_fma_f32 v33, v30, v31, v31 :: v_dual_cndmask_b32 v32, 0, v32, s0
	v_cmp_nlt_f32_e64 s0, 0x42b17218, v34
	v_fma_f32 v35, -v33, v36, 1.0
	v_sub_f32_e32 v36, v30, v33
	s_delay_alu instid0(VALU_DEP_3) | instskip(SKIP_2) | instid1(VALU_DEP_3)
	v_cndmask_b32_e64 v30, 0x7f800000, v32, s0
	v_fma_f32 v34, -v29, v29, -v34
	v_cmp_nlt_f32_e64 s0, 0x4120ddfc, |v29|
	v_dual_add_f32 v35, v35, v36 :: v_dual_mov_b32 v32, v30
	s_delay_alu instid0(VALU_DEP_1) | instskip(NEXT) | instid1(VALU_DEP_1)
	v_pk_fma_f32 v[30:31], v[30:31], v[34:35], v[32:33]
	v_mul_f32_e32 v30, v30, v31
	s_delay_alu instid0(VALU_DEP_1) | instskip(SKIP_1) | instid1(VALU_DEP_2)
	v_cndmask_b32_e64 v30, 0, v30, s0
	v_cmp_gt_f32_e64 s0, 0, v29
	v_sub_f32_e32 v31, 2.0, v30
	s_delay_alu instid0(VALU_DEP_1) | instskip(NEXT) | instid1(VALU_DEP_1)
	v_cndmask_b32_e64 v29, v30, v31, s0
	v_bfe_u32 v30, v29, 16, 1
	v_cmp_o_f32_e64 s0, v29, v29
	s_delay_alu instid0(VALU_DEP_2) | instskip(NEXT) | instid1(VALU_DEP_1)
	v_add3_u32 v30, v29, v30, 0x7fff
	v_lshrrev_b32_e32 v32, 16, v30
	v_add_nc_u64_e32 v[30:31], s[6:7], v[18:19]
	s_delay_alu instid0(VALU_DEP_2)
	v_cndmask_b32_e64 v29, 0x7fc0, v32, s0
	global_store_b16 v[30:31], v29, off
	s_wait_xcnt 0x0
	s_or_b32 exec_lo, exec_lo, s1
	s_and_saveexec_b32 s0, vcc_lo
	s_cbranch_execz .LBB3_8
.LBB3_24:                               ;   in Loop: Header=BB3_9 Depth=1
	v_add_f32_e64 v29, |v28|, 2.0
	v_add_f32_e64 v30, |v28|, -2.0
	v_add_f32_e64 v35, |v28|, |v28|
	v_mul_f32_e64 v32, v28, -v28
	s_delay_alu instid0(VALU_DEP_4) | instskip(NEXT) | instid1(VALU_DEP_1)
	v_rcp_f32_e32 v29, v29
	v_cmp_ngt_f32_e32 vcc_lo, 0xc2ce8ed0, v32
	s_delay_alu instid0(TRANS32_DEP_1) | instskip(NEXT) | instid1(VALU_DEP_1)
	v_mul_f32_e32 v30, v30, v29
	v_add_f32_e32 v31, 1.0, v30
	s_delay_alu instid0(VALU_DEP_1) | instskip(NEXT) | instid1(VALU_DEP_1)
	v_fma_f32 v31, v31, -2.0, |v28|
	v_fma_f32 v31, -v30, |v28|, v31
	s_delay_alu instid0(VALU_DEP_1) | instskip(NEXT) | instid1(VALU_DEP_1)
	v_dual_fmac_f32 v30, v29, v31 :: v_dual_mul_f32 v31, 0x3fb8aa3b, v32
	v_fmaak_f32 v29, s3, v30, 0xbaa2d753
	s_delay_alu instid0(VALU_DEP_2) | instskip(SKIP_1) | instid1(VALU_DEP_1)
	v_rndne_f32_e32 v33, v31
	v_fma_f32 v34, 0x3fb8aa3b, v32, -v31
	v_dual_sub_f32 v31, v31, v33 :: v_dual_fmac_f32 v34, 0x32a5705f, v32
	v_cvt_i32_f32_e32 v33, v33
	s_delay_alu instid0(VALU_DEP_2) | instskip(SKIP_1) | instid1(VALU_DEP_2)
	v_dual_add_f32 v31, v31, v34 :: v_dual_add_f32 v34, 1.0, v35
	v_fmaak_f32 v29, v30, v29, 0x3aad2fb4
	v_exp_f32_e32 v36, v31
	s_delay_alu instid0(VALU_DEP_2) | instskip(NEXT) | instid1(VALU_DEP_1)
	v_rcp_f32_e32 v31, v34
	v_fmaak_f32 v29, v30, v29, 0x3c0da267
	v_fma_f32 v34, -v28, v28, -v32
	s_delay_alu instid0(VALU_DEP_2) | instskip(NEXT) | instid1(VALU_DEP_1)
	v_fmaak_f32 v29, v30, v29, 0xbc0415b1
	v_fmaak_f32 v29, v30, v29, 0xbd5e0a18
	s_delay_alu instid0(VALU_DEP_1) | instskip(NEXT) | instid1(VALU_DEP_1)
	v_fmaak_f32 v29, v30, v29, 0x3e27fe2a
	v_fmaak_f32 v29, v30, v29, 0xbe2a03fd
	s_delay_alu instid0(VALU_DEP_1) | instskip(NEXT) | instid1(VALU_DEP_1)
	v_fmaak_f32 v29, v30, v29, 0xbdbdfb0b
	v_fmaak_f32 v29, v30, v29, 0x3e8dd01c
	v_ldexp_f32 v30, v36, v33
	s_delay_alu instid0(VALU_DEP_1) | instskip(SKIP_1) | instid1(VALU_DEP_2)
	v_dual_fma_f32 v33, v29, v31, v31 :: v_dual_cndmask_b32 v30, 0, v30, vcc_lo
	v_cmp_nlt_f32_e32 vcc_lo, 0x42b17218, v32
	v_fma_f32 v35, -v33, v35, 1.0
	s_delay_alu instid0(VALU_DEP_3) | instskip(SKIP_1) | instid1(VALU_DEP_2)
	v_dual_sub_f32 v29, v29, v33 :: v_dual_cndmask_b32 v30, 0x7f800000, v30
	v_cmp_nlt_f32_e64 vcc_lo, 0x4120ddfc, |v28|
	v_dual_add_f32 v35, v35, v29 :: v_dual_mov_b32 v32, v30
	s_delay_alu instid0(VALU_DEP_1) | instskip(NEXT) | instid1(VALU_DEP_1)
	v_pk_fma_f32 v[30:31], v[30:31], v[34:35], v[32:33]
	v_mul_f32_e32 v29, v30, v31
	s_delay_alu instid0(VALU_DEP_1) | instskip(SKIP_1) | instid1(VALU_DEP_2)
	v_cndmask_b32_e32 v29, 0, v29, vcc_lo
	v_cmp_gt_f32_e32 vcc_lo, 0, v28
	v_sub_f32_e32 v30, 2.0, v29
	s_delay_alu instid0(VALU_DEP_1) | instskip(NEXT) | instid1(VALU_DEP_1)
	v_cndmask_b32_e32 v30, v29, v30, vcc_lo
	v_bfe_u32 v28, v30, 16, 1
	v_cmp_o_f32_e32 vcc_lo, v30, v30
	s_delay_alu instid0(VALU_DEP_2) | instskip(NEXT) | instid1(VALU_DEP_1)
	v_add3_u32 v28, v30, v28, 0x7fff
	v_lshrrev_b32_e32 v31, 16, v28
	v_add_nc_u64_e32 v[28:29], s[6:7], v[22:23]
	s_delay_alu instid0(VALU_DEP_2)
	v_cndmask_b32_e32 v30, 0x7fc0, v31, vcc_lo
	global_store_b16 v[28:29], v30, off
	s_branch .LBB3_8
.LBB3_25:
	s_endpgm
	.section	.rodata,"a",@progbits
	.p2align	6, 0x0
	.amdhsa_kernel _ZN2at6native12_GLOBAL__N_125multi_tensor_apply_kernelINS1_18TensorListMetadataILi2EEENS1_14UnaryOpFunctorIN3c108BFloat16ELi2ELi1ELi1EEEJNS0_4ErfcIfEEEEEvT_T0_DpT1_
		.amdhsa_group_segment_fixed_size 0
		.amdhsa_private_segment_fixed_size 0
		.amdhsa_kernarg_size 3408
		.amdhsa_user_sgpr_count 2
		.amdhsa_user_sgpr_dispatch_ptr 0
		.amdhsa_user_sgpr_queue_ptr 0
		.amdhsa_user_sgpr_kernarg_segment_ptr 1
		.amdhsa_user_sgpr_dispatch_id 0
		.amdhsa_user_sgpr_kernarg_preload_length 0
		.amdhsa_user_sgpr_kernarg_preload_offset 0
		.amdhsa_user_sgpr_private_segment_size 0
		.amdhsa_wavefront_size32 1
		.amdhsa_uses_dynamic_stack 0
		.amdhsa_enable_private_segment 0
		.amdhsa_system_sgpr_workgroup_id_x 1
		.amdhsa_system_sgpr_workgroup_id_y 0
		.amdhsa_system_sgpr_workgroup_id_z 0
		.amdhsa_system_sgpr_workgroup_info 0
		.amdhsa_system_vgpr_workitem_id 0
		.amdhsa_next_free_vgpr 58
		.amdhsa_next_free_sgpr 40
		.amdhsa_named_barrier_count 0
		.amdhsa_reserve_vcc 1
		.amdhsa_float_round_mode_32 0
		.amdhsa_float_round_mode_16_64 0
		.amdhsa_float_denorm_mode_32 3
		.amdhsa_float_denorm_mode_16_64 3
		.amdhsa_fp16_overflow 0
		.amdhsa_memory_ordered 1
		.amdhsa_forward_progress 1
		.amdhsa_inst_pref_size 33
		.amdhsa_round_robin_scheduling 0
		.amdhsa_exception_fp_ieee_invalid_op 0
		.amdhsa_exception_fp_denorm_src 0
		.amdhsa_exception_fp_ieee_div_zero 0
		.amdhsa_exception_fp_ieee_overflow 0
		.amdhsa_exception_fp_ieee_underflow 0
		.amdhsa_exception_fp_ieee_inexact 0
		.amdhsa_exception_int_div_zero 0
	.end_amdhsa_kernel
	.section	.text._ZN2at6native12_GLOBAL__N_125multi_tensor_apply_kernelINS1_18TensorListMetadataILi2EEENS1_14UnaryOpFunctorIN3c108BFloat16ELi2ELi1ELi1EEEJNS0_4ErfcIfEEEEEvT_T0_DpT1_,"axG",@progbits,_ZN2at6native12_GLOBAL__N_125multi_tensor_apply_kernelINS1_18TensorListMetadataILi2EEENS1_14UnaryOpFunctorIN3c108BFloat16ELi2ELi1ELi1EEEJNS0_4ErfcIfEEEEEvT_T0_DpT1_,comdat
.Lfunc_end3:
	.size	_ZN2at6native12_GLOBAL__N_125multi_tensor_apply_kernelINS1_18TensorListMetadataILi2EEENS1_14UnaryOpFunctorIN3c108BFloat16ELi2ELi1ELi1EEEJNS0_4ErfcIfEEEEEvT_T0_DpT1_, .Lfunc_end3-_ZN2at6native12_GLOBAL__N_125multi_tensor_apply_kernelINS1_18TensorListMetadataILi2EEENS1_14UnaryOpFunctorIN3c108BFloat16ELi2ELi1ELi1EEEJNS0_4ErfcIfEEEEEvT_T0_DpT1_
                                        ; -- End function
	.set _ZN2at6native12_GLOBAL__N_125multi_tensor_apply_kernelINS1_18TensorListMetadataILi2EEENS1_14UnaryOpFunctorIN3c108BFloat16ELi2ELi1ELi1EEEJNS0_4ErfcIfEEEEEvT_T0_DpT1_.num_vgpr, 58
	.set _ZN2at6native12_GLOBAL__N_125multi_tensor_apply_kernelINS1_18TensorListMetadataILi2EEENS1_14UnaryOpFunctorIN3c108BFloat16ELi2ELi1ELi1EEEJNS0_4ErfcIfEEEEEvT_T0_DpT1_.num_agpr, 0
	.set _ZN2at6native12_GLOBAL__N_125multi_tensor_apply_kernelINS1_18TensorListMetadataILi2EEENS1_14UnaryOpFunctorIN3c108BFloat16ELi2ELi1ELi1EEEJNS0_4ErfcIfEEEEEvT_T0_DpT1_.numbered_sgpr, 40
	.set _ZN2at6native12_GLOBAL__N_125multi_tensor_apply_kernelINS1_18TensorListMetadataILi2EEENS1_14UnaryOpFunctorIN3c108BFloat16ELi2ELi1ELi1EEEJNS0_4ErfcIfEEEEEvT_T0_DpT1_.num_named_barrier, 0
	.set _ZN2at6native12_GLOBAL__N_125multi_tensor_apply_kernelINS1_18TensorListMetadataILi2EEENS1_14UnaryOpFunctorIN3c108BFloat16ELi2ELi1ELi1EEEJNS0_4ErfcIfEEEEEvT_T0_DpT1_.private_seg_size, 0
	.set _ZN2at6native12_GLOBAL__N_125multi_tensor_apply_kernelINS1_18TensorListMetadataILi2EEENS1_14UnaryOpFunctorIN3c108BFloat16ELi2ELi1ELi1EEEJNS0_4ErfcIfEEEEEvT_T0_DpT1_.uses_vcc, 1
	.set _ZN2at6native12_GLOBAL__N_125multi_tensor_apply_kernelINS1_18TensorListMetadataILi2EEENS1_14UnaryOpFunctorIN3c108BFloat16ELi2ELi1ELi1EEEJNS0_4ErfcIfEEEEEvT_T0_DpT1_.uses_flat_scratch, 0
	.set _ZN2at6native12_GLOBAL__N_125multi_tensor_apply_kernelINS1_18TensorListMetadataILi2EEENS1_14UnaryOpFunctorIN3c108BFloat16ELi2ELi1ELi1EEEJNS0_4ErfcIfEEEEEvT_T0_DpT1_.has_dyn_sized_stack, 0
	.set _ZN2at6native12_GLOBAL__N_125multi_tensor_apply_kernelINS1_18TensorListMetadataILi2EEENS1_14UnaryOpFunctorIN3c108BFloat16ELi2ELi1ELi1EEEJNS0_4ErfcIfEEEEEvT_T0_DpT1_.has_recursion, 0
	.set _ZN2at6native12_GLOBAL__N_125multi_tensor_apply_kernelINS1_18TensorListMetadataILi2EEENS1_14UnaryOpFunctorIN3c108BFloat16ELi2ELi1ELi1EEEJNS0_4ErfcIfEEEEEvT_T0_DpT1_.has_indirect_call, 0
	.section	.AMDGPU.csdata,"",@progbits
; Kernel info:
; codeLenInByte = 4220
; TotalNumSgprs: 42
; NumVgprs: 58
; ScratchSize: 0
; MemoryBound: 0
; FloatMode: 240
; IeeeMode: 1
; LDSByteSize: 0 bytes/workgroup (compile time only)
; SGPRBlocks: 0
; VGPRBlocks: 3
; NumSGPRsForWavesPerEU: 42
; NumVGPRsForWavesPerEU: 58
; NamedBarCnt: 0
; Occupancy: 16
; WaveLimiterHint : 0
; COMPUTE_PGM_RSRC2:SCRATCH_EN: 0
; COMPUTE_PGM_RSRC2:USER_SGPR: 2
; COMPUTE_PGM_RSRC2:TRAP_HANDLER: 0
; COMPUTE_PGM_RSRC2:TGID_X_EN: 1
; COMPUTE_PGM_RSRC2:TGID_Y_EN: 0
; COMPUTE_PGM_RSRC2:TGID_Z_EN: 0
; COMPUTE_PGM_RSRC2:TIDIG_COMP_CNT: 0
	.section	.text._ZN2at6native12_GLOBAL__N_125multi_tensor_apply_kernelINS1_18TensorListMetadataILi1EEENS1_14UnaryOpFunctorIdLi1ELi1ELi0EEEJNS0_4ErfcIdEEEEEvT_T0_DpT1_,"axG",@progbits,_ZN2at6native12_GLOBAL__N_125multi_tensor_apply_kernelINS1_18TensorListMetadataILi1EEENS1_14UnaryOpFunctorIdLi1ELi1ELi0EEEJNS0_4ErfcIdEEEEEvT_T0_DpT1_,comdat
	.globl	_ZN2at6native12_GLOBAL__N_125multi_tensor_apply_kernelINS1_18TensorListMetadataILi1EEENS1_14UnaryOpFunctorIdLi1ELi1ELi0EEEJNS0_4ErfcIdEEEEEvT_T0_DpT1_ ; -- Begin function _ZN2at6native12_GLOBAL__N_125multi_tensor_apply_kernelINS1_18TensorListMetadataILi1EEENS1_14UnaryOpFunctorIdLi1ELi1ELi0EEEJNS0_4ErfcIdEEEEEvT_T0_DpT1_
	.p2align	8
	.type	_ZN2at6native12_GLOBAL__N_125multi_tensor_apply_kernelINS1_18TensorListMetadataILi1EEENS1_14UnaryOpFunctorIdLi1ELi1ELi0EEEJNS0_4ErfcIdEEEEEvT_T0_DpT1_,@function
_ZN2at6native12_GLOBAL__N_125multi_tensor_apply_kernelINS1_18TensorListMetadataILi1EEENS1_14UnaryOpFunctorIdLi1ELi1ELi0EEEJNS0_4ErfcIdEEEEEvT_T0_DpT1_: ; @_ZN2at6native12_GLOBAL__N_125multi_tensor_apply_kernelINS1_18TensorListMetadataILi1EEENS1_14UnaryOpFunctorIdLi1ELi1ELi0EEEJNS0_4ErfcIdEEEEEvT_T0_DpT1_
; %bb.0:
	s_bfe_u32 s2, ttmp6, 0x4000c
	s_and_b32 s3, ttmp6, 15
	s_add_co_i32 s2, s2, 1
	s_getreg_b32 s4, hwreg(HW_REG_IB_STS2, 6, 4)
	s_mul_i32 s2, ttmp9, s2
	s_delay_alu instid0(SALU_CYCLE_1)
	s_add_co_i32 s3, s3, s2
	s_cmp_eq_u32 s4, 0
	s_cselect_b32 s2, ttmp9, s3
	s_mov_b32 s3, 0
	s_load_u8 s8, s[0:1], s2 offset:0x6e0
	s_add_nc_u64 s[4:5], s[0:1], s[2:3]
	s_mul_u64 s[6:7], s[2:3], 3
	s_delay_alu instid0(SALU_CYCLE_1)
	s_add_nc_u64 s[4:5], s[4:5], s[6:7]
	s_load_b32 s10, s[4:5], 0x820
	s_wait_kmcnt 0x0
	s_clause 0x1
	s_load_b64 s[6:7], s[0:1], s8 offset:0x0 scale_offset
	s_load_b64 s[12:13], s[0:1], s8 offset:0x370 scale_offset
	s_ashr_i32 s11, s10, 31
	s_wait_kmcnt 0x0
	s_and_b64 s[4:5], s[6:7], 31
	s_and_b32 s2, s12, 3
	s_lshl_b64 s[8:9], s[10:11], 19
	s_or_b64 s[2:3], s[4:5], s[2:3]
	s_lshl_b64 s[4:5], s[10:11], 16
	s_cmp_eq_u64 s[2:3], 0
	s_sub_nc_u64 s[10:11], s[12:13], s[4:5]
	s_cbranch_scc1 .LBB4_21
; %bb.1:
	v_cmp_lt_i64_e64 s2, s[10:11], 1
	s_and_b32 vcc_lo, exec_lo, s2
	s_cbranch_vccnz .LBB4_20
; %bb.2:
	s_load_b32 s4, s[0:1], 0xd3c
	v_min_i64 v[2:3], 0x10000, s[10:11]
	v_min_u64 v[4:5], 0x10000, s[10:11]
	v_dual_mov_b32 v1, 0 :: v_dual_lshlrev_b32 v12, 3, v0
	s_mov_b32 s21, 0
	s_add_nc_u64 s[2:3], s[6:7], s[8:9]
	s_mov_b32 s5, s21
	s_delay_alu instid0(VALU_DEP_1) | instskip(SKIP_3) | instid1(VALU_DEP_3)
	v_dual_mov_b32 v13, v1 :: v_dual_mov_b32 v19, v1
	s_mov_b32 s17, s21
	v_mov_b64_e32 v[6:7], 0x3e928af3fca7ab0c
	v_mov_b64_e32 v[8:9], 0xbe41166337cfa789
	v_add_nc_u64_e32 v[12:13], s[2:3], v[12:13]
	s_mov_b32 s13, s21
	s_mov_b32 s15, s21
	s_mov_b64 s[22:23], 0
                                        ; implicit-def: $vgpr20_vgpr21
                                        ; implicit-def: $vgpr20_vgpr21
	;; [unrolled: 1-line block ×28, first 2 shown]
	s_wait_kmcnt 0x0
	s_and_b32 s20, s4, 0xffff
	s_delay_alu instid0(SALU_CYCLE_1)
	v_add_nc_u64_e32 v[10:11], s[20:21], v[0:1]
	s_lshl_b32 s4, s20, 1
	s_mul_i32 s16, s20, 3
	v_add_nc_u64_e32 v[16:17], s[4:5], v[0:1]
	v_add_nc_u64_e32 v[14:15], s[16:17], v[0:1]
	s_lshl_b32 s12, s20, 2
	s_lshl_b32 s14, s20, 5
	v_lshlrev_b32_e32 v18, 3, v10
	s_mov_b64 s[16:17], 0x403b39dc41e48bfc
	s_mul_u64 s[18:19], s[20:21], 24
	s_lshl_b32 s20, s20, 4
	s_delay_alu instid0(VALU_DEP_1)
	v_add_nc_u64_e32 v[18:19], s[2:3], v[18:19]
	s_branch .LBB4_4
.LBB4_3:                                ;   in Loop: Header=BB4_4 Depth=1
	s_wait_xcnt 0x0
	s_or_b32 exec_lo, exec_lo, s3
	s_add_nc_u64 s[22:23], s[22:23], s[12:13]
	v_add_nc_u64_e32 v[12:13], s[14:15], v[12:13]
	v_cmp_lt_i64_e32 vcc_lo, s[22:23], v[2:3]
	v_add_nc_u64_e32 v[18:19], s[14:15], v[18:19]
	s_cbranch_vccz .LBB4_20
.LBB4_4:                                ; =>This Inner Loop Header: Depth=1
	s_wait_loadcnt 0x0
	v_add_nc_u64_e32 v[20:21], s[22:23], v[0:1]
	v_mov_b64_e32 v[28:29], 0
	v_mov_b64_e32 v[30:31], 0
	s_delay_alu instid0(VALU_DEP_3)
	v_cmp_lt_u64_e64 s4, v[20:21], v[4:5]
	s_and_saveexec_b32 s2, s4
	s_cbranch_execz .LBB4_6
; %bb.5:                                ;   in Loop: Header=BB4_4 Depth=1
	global_load_b64 v[30:31], v[12:13], off
.LBB4_6:                                ;   in Loop: Header=BB4_4 Depth=1
	s_wait_xcnt 0x0
	s_or_b32 exec_lo, exec_lo, s2
	v_add_nc_u64_e32 v[20:21], s[22:23], v[10:11]
	s_delay_alu instid0(VALU_DEP_1)
	v_cmp_lt_u64_e64 s3, v[20:21], v[4:5]
	s_and_saveexec_b32 s2, s3
	s_cbranch_execz .LBB4_8
; %bb.7:                                ;   in Loop: Header=BB4_4 Depth=1
	global_load_b64 v[28:29], v[18:19], off
.LBB4_8:                                ;   in Loop: Header=BB4_4 Depth=1
	s_wait_xcnt 0x0
	s_or_b32 exec_lo, exec_lo, s2
	v_add_nc_u64_e32 v[22:23], s[22:23], v[16:17]
	v_mov_b64_e32 v[20:21], 0
	v_add_nc_u64_e32 v[24:25], s[20:21], v[12:13]
	v_mov_b64_e32 v[26:27], 0
	s_delay_alu instid0(VALU_DEP_4)
	v_cmp_lt_u64_e64 s2, v[22:23], v[4:5]
	s_and_saveexec_b32 s5, s2
	s_cbranch_execz .LBB4_10
; %bb.9:                                ;   in Loop: Header=BB4_4 Depth=1
	global_load_b64 v[26:27], v[24:25], off
.LBB4_10:                               ;   in Loop: Header=BB4_4 Depth=1
	s_wait_xcnt 0x0
	s_or_b32 exec_lo, exec_lo, s5
	v_add_nc_u64_e32 v[22:23], s[22:23], v[14:15]
	s_delay_alu instid0(VALU_DEP_1)
	v_cmp_lt_u64_e32 vcc_lo, v[22:23], v[4:5]
	v_add_nc_u64_e32 v[22:23], s[18:19], v[12:13]
	s_and_saveexec_b32 s5, vcc_lo
	s_cbranch_execnz .LBB4_15
; %bb.11:                               ;   in Loop: Header=BB4_4 Depth=1
	s_or_b32 exec_lo, exec_lo, s5
	s_and_saveexec_b32 s24, s4
	s_cbranch_execnz .LBB4_16
.LBB4_12:                               ;   in Loop: Header=BB4_4 Depth=1
	s_or_b32 exec_lo, exec_lo, s24
	s_and_saveexec_b32 s5, s3
	s_cbranch_execnz .LBB4_17
.LBB4_13:                               ;   in Loop: Header=BB4_4 Depth=1
	s_or_b32 exec_lo, exec_lo, s5
	s_and_saveexec_b32 s4, s2
	s_cbranch_execnz .LBB4_18
.LBB4_14:                               ;   in Loop: Header=BB4_4 Depth=1
	s_or_b32 exec_lo, exec_lo, s4
	s_and_saveexec_b32 s3, vcc_lo
	s_cbranch_execz .LBB4_3
	s_branch .LBB4_19
.LBB4_15:                               ;   in Loop: Header=BB4_4 Depth=1
	global_load_b64 v[20:21], v[22:23], off
	s_wait_xcnt 0x0
	s_or_b32 exec_lo, exec_lo, s5
	s_and_saveexec_b32 s24, s4
	s_cbranch_execz .LBB4_12
.LBB4_16:                               ;   in Loop: Header=BB4_4 Depth=1
	s_wait_loadcnt 0x0
	v_add_f64_e64 v[32:33], |v[30:31]|, 4.0
	v_mul_f64_e64 v[38:39], v[30:31], -v[30:31]
	v_add_f64_e64 v[40:41], |v[30:31]|, |v[30:31]|
	s_delay_alu instid0(VALU_DEP_3) | instskip(NEXT) | instid1(VALU_DEP_2)
	v_rcp_f64_e32 v[34:35], v[32:33]
	v_cmp_ngt_f64_e64 s5, 0xc090cc00, v[38:39]
	v_mul_f64_e32 v[42:43], 0x3ff71547652b82fe, v[38:39]
	s_delay_alu instid0(VALU_DEP_3) | instskip(SKIP_1) | instid1(TRANS32_DEP_1)
	v_add_f64_e32 v[44:45], 1.0, v[40:41]
	v_cmp_nlt_f64_e64 s4, 0x40900000, v[38:39]
	v_fma_f64 v[36:37], -v[32:33], v[34:35], 1.0
	s_delay_alu instid0(VALU_DEP_1) | instskip(SKIP_1) | instid1(VALU_DEP_2)
	v_fmac_f64_e32 v[34:35], v[36:37], v[34:35]
	v_add_f64_e64 v[36:37], |v[30:31]|, -4.0
	v_fma_f64 v[32:33], -v[32:33], v[34:35], 1.0
	s_delay_alu instid0(VALU_DEP_1) | instskip(NEXT) | instid1(VALU_DEP_1)
	v_fmac_f64_e32 v[34:35], v[32:33], v[34:35]
	v_mul_f64_e32 v[32:33], v[36:37], v[34:35]
	s_delay_alu instid0(VALU_DEP_1) | instskip(NEXT) | instid1(VALU_DEP_1)
	v_add_f64_e32 v[36:37], 1.0, v[32:33]
	v_fma_f64 v[36:37], v[36:37], -4.0, |v[30:31]|
	s_delay_alu instid0(VALU_DEP_1) | instskip(NEXT) | instid1(VALU_DEP_1)
	v_fma_f64 v[36:37], -v[32:33], |v[30:31]|, v[36:37]
	v_fmac_f64_e32 v[32:33], v[34:35], v[36:37]
	v_rndne_f64_e32 v[34:35], v[42:43]
	v_rcp_f64_e32 v[36:37], v[44:45]
	s_delay_alu instid0(VALU_DEP_2) | instskip(NEXT) | instid1(VALU_DEP_2)
	v_fmamk_f64 v[42:43], v[32:33], 0xbe41f39d54df3c0e, v[8:9]
	v_fmamk_f64 v[46:47], v[34:35], 0xbfe62e42fefa39ef, v[38:39]
	s_delay_alu instid0(VALU_DEP_2) | instskip(NEXT) | instid1(VALU_DEP_2)
	v_fmaak_f64 v[42:43], v[32:33], v[42:43], 0x3e7b45f1d9802b82
	v_fmac_f64_e32 v[46:47], 0xbc7abc9e3b39803f, v[34:35]
	s_delay_alu instid0(TRANS32_DEP_1) | instskip(NEXT) | instid1(VALU_DEP_3)
	v_fma_f64 v[48:49], -v[44:45], v[36:37], 1.0
	v_fmaak_f64 v[42:43], v[32:33], v[42:43], 0x3e6d90488a03dcdb
	s_delay_alu instid0(VALU_DEP_1) | instskip(NEXT) | instid1(VALU_DEP_1)
	v_fmaak_f64 v[42:43], v[32:33], v[42:43], 0xbeab87b02eba62d8
	v_fmaak_f64 v[42:43], v[32:33], v[42:43], 0x3e95104ba56e15f1
	s_delay_alu instid0(VALU_DEP_1) | instskip(SKIP_2) | instid1(VALU_DEP_3)
	v_fmaak_f64 v[42:43], v[32:33], v[42:43], 0x3ed7f29f71c907de
	v_fmamk_f64 v[50:51], v[46:47], 0x3e5ade156a5dcb37, v[6:7]
	v_fmac_f64_e32 v[36:37], v[48:49], v[36:37]
	v_fmaak_f64 v[42:43], v[32:33], v[42:43], 0xbee78f5c2cd770fb
	s_delay_alu instid0(VALU_DEP_3) | instskip(NEXT) | instid1(VALU_DEP_2)
	v_fmaak_f64 v[48:49], v[46:47], v[50:51], 0x3ec71dee623fde64
	v_fmaak_f64 v[42:43], v[32:33], v[42:43], 0xbef995fb76d0a51a
	s_delay_alu instid0(VALU_DEP_2) | instskip(NEXT) | instid1(VALU_DEP_2)
	v_fmaak_f64 v[48:49], v[46:47], v[48:49], 0x3efa01997c89e6b0
	v_fmaak_f64 v[42:43], v[32:33], v[42:43], 0x3f23be2ec022d0ed
	s_delay_alu instid0(VALU_DEP_2) | instskip(NEXT) | instid1(VALU_DEP_2)
	;; [unrolled: 3-line block ×3, first 2 shown]
	v_fmaak_f64 v[48:49], v[46:47], v[48:49], 0x3f56c16c1852b7b0
	v_fmaak_f64 v[42:43], v[32:33], v[42:43], 0xbf48d4ac3689fc43
	v_fma_f64 v[44:45], -v[44:45], v[36:37], 1.0
	s_delay_alu instid0(VALU_DEP_3) | instskip(NEXT) | instid1(VALU_DEP_3)
	v_fmaak_f64 v[48:49], v[46:47], v[48:49], 0x3f81111111122322
	v_fmaak_f64 v[42:43], v[32:33], v[42:43], 0x3f749c67192d909b
	s_delay_alu instid0(VALU_DEP_2) | instskip(NEXT) | instid1(VALU_DEP_2)
	v_fmaak_f64 v[48:49], v[46:47], v[48:49], 0x3fa55555555502a1
	v_fmaak_f64 v[42:43], v[32:33], v[42:43], 0xbf909623852ff070
	s_delay_alu instid0(VALU_DEP_2) | instskip(NEXT) | instid1(VALU_DEP_2)
	;; [unrolled: 3-line block ×3, first 2 shown]
	v_fmaak_f64 v[48:49], v[46:47], v[48:49], 0x3fe000000000000b
	v_fmaak_f64 v[42:43], v[32:33], v[42:43], 0xbfb0fb06dff65910
	s_delay_alu instid0(VALU_DEP_2) | instskip(SKIP_1) | instid1(VALU_DEP_3)
	v_fma_f64 v[48:49], v[46:47], v[48:49], 1.0
	v_fmac_f64_e32 v[36:37], v[44:45], v[36:37]
	v_fmaak_f64 v[42:43], v[32:33], v[42:43], 0x3fb7fee004de8f32
	v_cvt_i32_f64_e32 v44, v[34:35]
	s_delay_alu instid0(VALU_DEP_2) | instskip(NEXT) | instid1(VALU_DEP_1)
	v_fmaak_f64 v[42:43], v[32:33], v[42:43], 0xbfb9ddb23c3dbeb3
	v_fmaak_f64 v[42:43], v[32:33], v[42:43], 0x3fb16ecefcfa6930
	s_delay_alu instid0(VALU_DEP_1) | instskip(NEXT) | instid1(VALU_DEP_1)
	v_fmaak_f64 v[42:43], v[32:33], v[42:43], 0x3f8f7f5df66fb8a3
	v_fmaak_f64 v[42:43], v[32:33], v[42:43], 0xbfc1df1ad154a2a8
	v_fma_f64 v[34:35], v[46:47], v[48:49], 1.0
	s_delay_alu instid0(VALU_DEP_2) | instskip(NEXT) | instid1(VALU_DEP_1)
	v_fmaak_f64 v[32:33], v[32:33], v[42:43], 0x3fcdd2c8b74febf8
	v_fma_f64 v[42:43], v[32:33], v[36:37], v[36:37]
	s_delay_alu instid0(VALU_DEP_3) | instskip(NEXT) | instid1(VALU_DEP_2)
	v_ldexp_f64 v[34:35], v[34:35], v44
	v_fma_f64 v[40:41], -v[42:43], v[40:41], 1.0
	v_add_f64_e64 v[32:33], v[32:33], -v[42:43]
	s_delay_alu instid0(VALU_DEP_3)
	v_cndmask_b32_e64 v35, 0x7ff00000, v35, s4
	s_and_b32 s4, s5, s4
	s_delay_alu instid0(VALU_DEP_4) | instid1(SALU_CYCLE_1)
	v_cndmask_b32_e64 v34, 0, v34, s4
	v_cmp_ngt_f64_e64 s4, |v[30:31]|, s[16:17]
	v_fma_f64 v[38:39], -v[30:31], v[30:31], -v[38:39]
	v_dual_add_f64 v[32:33], v[40:41], v[32:33] :: v_dual_cndmask_b32 v35, 0, v35, s5
	s_delay_alu instid0(VALU_DEP_1) | instskip(NEXT) | instid1(VALU_DEP_2)
	v_fmac_f64_e32 v[34:35], v[34:35], v[38:39]
	v_fmac_f64_e32 v[42:43], v[36:37], v[32:33]
	s_delay_alu instid0(VALU_DEP_1) | instskip(NEXT) | instid1(VALU_DEP_1)
	v_mul_f64_e32 v[32:33], v[34:35], v[42:43]
	v_dual_cndmask_b32 v33, 0, v33, s4 :: v_dual_cndmask_b32 v32, 0, v32, s4
	v_cmp_gt_f64_e64 s4, 0, v[30:31]
	s_delay_alu instid0(VALU_DEP_2) | instskip(NEXT) | instid1(VALU_DEP_1)
	v_add_f64_e64 v[34:35], -v[32:33], 2.0
	v_dual_cndmask_b32 v31, v33, v35, s4 :: v_dual_cndmask_b32 v30, v32, v34, s4
	global_store_b64 v[12:13], v[30:31], off
	s_wait_xcnt 0x0
	s_or_b32 exec_lo, exec_lo, s24
	s_and_saveexec_b32 s5, s3
	s_cbranch_execz .LBB4_13
.LBB4_17:                               ;   in Loop: Header=BB4_4 Depth=1
	s_wait_loadcnt 0x0
	v_add_f64_e64 v[30:31], |v[28:29]|, 4.0
	v_mul_f64_e64 v[36:37], v[28:29], -v[28:29]
	v_add_f64_e64 v[38:39], |v[28:29]|, |v[28:29]|
	s_delay_alu instid0(VALU_DEP_3) | instskip(NEXT) | instid1(VALU_DEP_2)
	v_rcp_f64_e32 v[32:33], v[30:31]
	v_cmp_ngt_f64_e64 s4, 0xc090cc00, v[36:37]
	v_mul_f64_e32 v[40:41], 0x3ff71547652b82fe, v[36:37]
	s_delay_alu instid0(VALU_DEP_3) | instskip(SKIP_1) | instid1(TRANS32_DEP_1)
	v_add_f64_e32 v[42:43], 1.0, v[38:39]
	v_cmp_nlt_f64_e64 s3, 0x40900000, v[36:37]
	v_fma_f64 v[34:35], -v[30:31], v[32:33], 1.0
	s_delay_alu instid0(VALU_DEP_1) | instskip(SKIP_1) | instid1(VALU_DEP_2)
	v_fmac_f64_e32 v[32:33], v[34:35], v[32:33]
	v_add_f64_e64 v[34:35], |v[28:29]|, -4.0
	v_fma_f64 v[30:31], -v[30:31], v[32:33], 1.0
	s_delay_alu instid0(VALU_DEP_1) | instskip(NEXT) | instid1(VALU_DEP_1)
	v_fmac_f64_e32 v[32:33], v[30:31], v[32:33]
	v_mul_f64_e32 v[30:31], v[34:35], v[32:33]
	s_delay_alu instid0(VALU_DEP_1) | instskip(NEXT) | instid1(VALU_DEP_1)
	v_add_f64_e32 v[34:35], 1.0, v[30:31]
	v_fma_f64 v[34:35], v[34:35], -4.0, |v[28:29]|
	s_delay_alu instid0(VALU_DEP_1) | instskip(NEXT) | instid1(VALU_DEP_1)
	v_fma_f64 v[34:35], -v[30:31], |v[28:29]|, v[34:35]
	v_fmac_f64_e32 v[30:31], v[32:33], v[34:35]
	v_rndne_f64_e32 v[32:33], v[40:41]
	v_rcp_f64_e32 v[34:35], v[42:43]
	s_delay_alu instid0(VALU_DEP_2) | instskip(NEXT) | instid1(VALU_DEP_2)
	v_fmamk_f64 v[40:41], v[30:31], 0xbe41f39d54df3c0e, v[8:9]
	v_fmamk_f64 v[44:45], v[32:33], 0xbfe62e42fefa39ef, v[36:37]
	s_delay_alu instid0(VALU_DEP_2) | instskip(NEXT) | instid1(VALU_DEP_2)
	v_fmaak_f64 v[40:41], v[30:31], v[40:41], 0x3e7b45f1d9802b82
	v_fmac_f64_e32 v[44:45], 0xbc7abc9e3b39803f, v[32:33]
	s_delay_alu instid0(TRANS32_DEP_1) | instskip(NEXT) | instid1(VALU_DEP_3)
	v_fma_f64 v[46:47], -v[42:43], v[34:35], 1.0
	v_fmaak_f64 v[40:41], v[30:31], v[40:41], 0x3e6d90488a03dcdb
	s_delay_alu instid0(VALU_DEP_1) | instskip(NEXT) | instid1(VALU_DEP_1)
	v_fmaak_f64 v[40:41], v[30:31], v[40:41], 0xbeab87b02eba62d8
	v_fmaak_f64 v[40:41], v[30:31], v[40:41], 0x3e95104ba56e15f1
	s_delay_alu instid0(VALU_DEP_1) | instskip(SKIP_2) | instid1(VALU_DEP_3)
	v_fmaak_f64 v[40:41], v[30:31], v[40:41], 0x3ed7f29f71c907de
	v_fmamk_f64 v[48:49], v[44:45], 0x3e5ade156a5dcb37, v[6:7]
	v_fmac_f64_e32 v[34:35], v[46:47], v[34:35]
	v_fmaak_f64 v[40:41], v[30:31], v[40:41], 0xbee78f5c2cd770fb
	s_delay_alu instid0(VALU_DEP_3) | instskip(NEXT) | instid1(VALU_DEP_2)
	v_fmaak_f64 v[46:47], v[44:45], v[48:49], 0x3ec71dee623fde64
	v_fmaak_f64 v[40:41], v[30:31], v[40:41], 0xbef995fb76d0a51a
	s_delay_alu instid0(VALU_DEP_2) | instskip(NEXT) | instid1(VALU_DEP_2)
	v_fmaak_f64 v[46:47], v[44:45], v[46:47], 0x3efa01997c89e6b0
	v_fmaak_f64 v[40:41], v[30:31], v[40:41], 0x3f23be2ec022d0ed
	s_delay_alu instid0(VALU_DEP_2) | instskip(NEXT) | instid1(VALU_DEP_2)
	;; [unrolled: 3-line block ×3, first 2 shown]
	v_fmaak_f64 v[46:47], v[44:45], v[46:47], 0x3f56c16c1852b7b0
	v_fmaak_f64 v[40:41], v[30:31], v[40:41], 0xbf48d4ac3689fc43
	v_fma_f64 v[42:43], -v[42:43], v[34:35], 1.0
	s_delay_alu instid0(VALU_DEP_3) | instskip(NEXT) | instid1(VALU_DEP_3)
	v_fmaak_f64 v[46:47], v[44:45], v[46:47], 0x3f81111111122322
	v_fmaak_f64 v[40:41], v[30:31], v[40:41], 0x3f749c67192d909b
	s_delay_alu instid0(VALU_DEP_2) | instskip(NEXT) | instid1(VALU_DEP_2)
	v_fmaak_f64 v[46:47], v[44:45], v[46:47], 0x3fa55555555502a1
	v_fmaak_f64 v[40:41], v[30:31], v[40:41], 0xbf909623852ff070
	s_delay_alu instid0(VALU_DEP_2) | instskip(NEXT) | instid1(VALU_DEP_2)
	;; [unrolled: 3-line block ×3, first 2 shown]
	v_fmaak_f64 v[46:47], v[44:45], v[46:47], 0x3fe000000000000b
	v_fmaak_f64 v[40:41], v[30:31], v[40:41], 0xbfb0fb06dff65910
	s_delay_alu instid0(VALU_DEP_2) | instskip(SKIP_1) | instid1(VALU_DEP_3)
	v_fma_f64 v[46:47], v[44:45], v[46:47], 1.0
	v_fmac_f64_e32 v[34:35], v[42:43], v[34:35]
	v_fmaak_f64 v[40:41], v[30:31], v[40:41], 0x3fb7fee004de8f32
	v_cvt_i32_f64_e32 v42, v[32:33]
	s_delay_alu instid0(VALU_DEP_2) | instskip(NEXT) | instid1(VALU_DEP_1)
	v_fmaak_f64 v[40:41], v[30:31], v[40:41], 0xbfb9ddb23c3dbeb3
	v_fmaak_f64 v[40:41], v[30:31], v[40:41], 0x3fb16ecefcfa6930
	s_delay_alu instid0(VALU_DEP_1) | instskip(NEXT) | instid1(VALU_DEP_1)
	v_fmaak_f64 v[40:41], v[30:31], v[40:41], 0x3f8f7f5df66fb8a3
	v_fmaak_f64 v[40:41], v[30:31], v[40:41], 0xbfc1df1ad154a2a8
	v_fma_f64 v[32:33], v[44:45], v[46:47], 1.0
	s_delay_alu instid0(VALU_DEP_2) | instskip(NEXT) | instid1(VALU_DEP_1)
	v_fmaak_f64 v[30:31], v[30:31], v[40:41], 0x3fcdd2c8b74febf8
	v_fma_f64 v[40:41], v[30:31], v[34:35], v[34:35]
	s_delay_alu instid0(VALU_DEP_3) | instskip(NEXT) | instid1(VALU_DEP_2)
	v_ldexp_f64 v[32:33], v[32:33], v42
	v_fma_f64 v[38:39], -v[40:41], v[38:39], 1.0
	v_add_f64_e64 v[30:31], v[30:31], -v[40:41]
	s_delay_alu instid0(VALU_DEP_3)
	v_cndmask_b32_e64 v33, 0x7ff00000, v33, s3
	s_and_b32 s3, s4, s3
	s_delay_alu instid0(VALU_DEP_4) | instid1(SALU_CYCLE_1)
	v_cndmask_b32_e64 v32, 0, v32, s3
	v_cmp_ngt_f64_e64 s3, |v[28:29]|, s[16:17]
	v_fma_f64 v[36:37], -v[28:29], v[28:29], -v[36:37]
	v_dual_add_f64 v[30:31], v[38:39], v[30:31] :: v_dual_cndmask_b32 v33, 0, v33, s4
	s_delay_alu instid0(VALU_DEP_1) | instskip(NEXT) | instid1(VALU_DEP_2)
	v_fmac_f64_e32 v[32:33], v[32:33], v[36:37]
	v_fmac_f64_e32 v[40:41], v[34:35], v[30:31]
	s_delay_alu instid0(VALU_DEP_1) | instskip(NEXT) | instid1(VALU_DEP_1)
	v_mul_f64_e32 v[30:31], v[32:33], v[40:41]
	v_dual_cndmask_b32 v31, 0, v31, s3 :: v_dual_cndmask_b32 v30, 0, v30, s3
	v_cmp_gt_f64_e64 s3, 0, v[28:29]
	s_delay_alu instid0(VALU_DEP_2) | instskip(NEXT) | instid1(VALU_DEP_1)
	v_add_f64_e64 v[32:33], -v[30:31], 2.0
	v_dual_cndmask_b32 v29, v31, v33, s3 :: v_dual_cndmask_b32 v28, v30, v32, s3
	global_store_b64 v[18:19], v[28:29], off
	s_wait_xcnt 0x0
	s_or_b32 exec_lo, exec_lo, s5
	s_and_saveexec_b32 s4, s2
	s_cbranch_execz .LBB4_14
.LBB4_18:                               ;   in Loop: Header=BB4_4 Depth=1
	s_wait_loadcnt 0x0
	v_add_f64_e64 v[28:29], |v[26:27]|, 4.0
	v_mul_f64_e64 v[34:35], v[26:27], -v[26:27]
	v_add_f64_e64 v[36:37], |v[26:27]|, |v[26:27]|
	s_delay_alu instid0(VALU_DEP_3) | instskip(NEXT) | instid1(VALU_DEP_2)
	v_rcp_f64_e32 v[30:31], v[28:29]
	v_cmp_ngt_f64_e64 s3, 0xc090cc00, v[34:35]
	v_mul_f64_e32 v[38:39], 0x3ff71547652b82fe, v[34:35]
	s_delay_alu instid0(VALU_DEP_3) | instskip(SKIP_1) | instid1(TRANS32_DEP_1)
	v_add_f64_e32 v[40:41], 1.0, v[36:37]
	v_cmp_nlt_f64_e64 s2, 0x40900000, v[34:35]
	v_fma_f64 v[32:33], -v[28:29], v[30:31], 1.0
	s_delay_alu instid0(VALU_DEP_1) | instskip(SKIP_1) | instid1(VALU_DEP_2)
	v_fmac_f64_e32 v[30:31], v[32:33], v[30:31]
	v_add_f64_e64 v[32:33], |v[26:27]|, -4.0
	v_fma_f64 v[28:29], -v[28:29], v[30:31], 1.0
	s_delay_alu instid0(VALU_DEP_1) | instskip(NEXT) | instid1(VALU_DEP_1)
	v_fmac_f64_e32 v[30:31], v[28:29], v[30:31]
	v_mul_f64_e32 v[28:29], v[32:33], v[30:31]
	s_delay_alu instid0(VALU_DEP_1) | instskip(NEXT) | instid1(VALU_DEP_1)
	v_add_f64_e32 v[32:33], 1.0, v[28:29]
	v_fma_f64 v[32:33], v[32:33], -4.0, |v[26:27]|
	s_delay_alu instid0(VALU_DEP_1) | instskip(NEXT) | instid1(VALU_DEP_1)
	v_fma_f64 v[32:33], -v[28:29], |v[26:27]|, v[32:33]
	v_fmac_f64_e32 v[28:29], v[30:31], v[32:33]
	v_rndne_f64_e32 v[30:31], v[38:39]
	v_rcp_f64_e32 v[32:33], v[40:41]
	s_delay_alu instid0(VALU_DEP_2) | instskip(NEXT) | instid1(VALU_DEP_2)
	v_fmamk_f64 v[38:39], v[28:29], 0xbe41f39d54df3c0e, v[8:9]
	v_fmamk_f64 v[42:43], v[30:31], 0xbfe62e42fefa39ef, v[34:35]
	s_delay_alu instid0(VALU_DEP_2) | instskip(NEXT) | instid1(VALU_DEP_2)
	v_fmaak_f64 v[38:39], v[28:29], v[38:39], 0x3e7b45f1d9802b82
	v_fmac_f64_e32 v[42:43], 0xbc7abc9e3b39803f, v[30:31]
	s_delay_alu instid0(TRANS32_DEP_1) | instskip(NEXT) | instid1(VALU_DEP_3)
	v_fma_f64 v[44:45], -v[40:41], v[32:33], 1.0
	v_fmaak_f64 v[38:39], v[28:29], v[38:39], 0x3e6d90488a03dcdb
	s_delay_alu instid0(VALU_DEP_1) | instskip(NEXT) | instid1(VALU_DEP_1)
	v_fmaak_f64 v[38:39], v[28:29], v[38:39], 0xbeab87b02eba62d8
	v_fmaak_f64 v[38:39], v[28:29], v[38:39], 0x3e95104ba56e15f1
	s_delay_alu instid0(VALU_DEP_1) | instskip(SKIP_2) | instid1(VALU_DEP_3)
	v_fmaak_f64 v[38:39], v[28:29], v[38:39], 0x3ed7f29f71c907de
	v_fmamk_f64 v[46:47], v[42:43], 0x3e5ade156a5dcb37, v[6:7]
	v_fmac_f64_e32 v[32:33], v[44:45], v[32:33]
	v_fmaak_f64 v[38:39], v[28:29], v[38:39], 0xbee78f5c2cd770fb
	s_delay_alu instid0(VALU_DEP_3) | instskip(NEXT) | instid1(VALU_DEP_2)
	v_fmaak_f64 v[44:45], v[42:43], v[46:47], 0x3ec71dee623fde64
	v_fmaak_f64 v[38:39], v[28:29], v[38:39], 0xbef995fb76d0a51a
	s_delay_alu instid0(VALU_DEP_2) | instskip(NEXT) | instid1(VALU_DEP_2)
	v_fmaak_f64 v[44:45], v[42:43], v[44:45], 0x3efa01997c89e6b0
	v_fmaak_f64 v[38:39], v[28:29], v[38:39], 0x3f23be2ec022d0ed
	s_delay_alu instid0(VALU_DEP_2) | instskip(NEXT) | instid1(VALU_DEP_2)
	;; [unrolled: 3-line block ×3, first 2 shown]
	v_fmaak_f64 v[44:45], v[42:43], v[44:45], 0x3f56c16c1852b7b0
	v_fmaak_f64 v[38:39], v[28:29], v[38:39], 0xbf48d4ac3689fc43
	v_fma_f64 v[40:41], -v[40:41], v[32:33], 1.0
	s_delay_alu instid0(VALU_DEP_3) | instskip(NEXT) | instid1(VALU_DEP_3)
	v_fmaak_f64 v[44:45], v[42:43], v[44:45], 0x3f81111111122322
	v_fmaak_f64 v[38:39], v[28:29], v[38:39], 0x3f749c67192d909b
	s_delay_alu instid0(VALU_DEP_2) | instskip(NEXT) | instid1(VALU_DEP_2)
	v_fmaak_f64 v[44:45], v[42:43], v[44:45], 0x3fa55555555502a1
	v_fmaak_f64 v[38:39], v[28:29], v[38:39], 0xbf909623852ff070
	s_delay_alu instid0(VALU_DEP_2) | instskip(NEXT) | instid1(VALU_DEP_2)
	;; [unrolled: 3-line block ×3, first 2 shown]
	v_fmaak_f64 v[44:45], v[42:43], v[44:45], 0x3fe000000000000b
	v_fmaak_f64 v[38:39], v[28:29], v[38:39], 0xbfb0fb06dff65910
	s_delay_alu instid0(VALU_DEP_2) | instskip(SKIP_1) | instid1(VALU_DEP_3)
	v_fma_f64 v[44:45], v[42:43], v[44:45], 1.0
	v_fmac_f64_e32 v[32:33], v[40:41], v[32:33]
	v_fmaak_f64 v[38:39], v[28:29], v[38:39], 0x3fb7fee004de8f32
	v_cvt_i32_f64_e32 v40, v[30:31]
	s_delay_alu instid0(VALU_DEP_2) | instskip(NEXT) | instid1(VALU_DEP_1)
	v_fmaak_f64 v[38:39], v[28:29], v[38:39], 0xbfb9ddb23c3dbeb3
	v_fmaak_f64 v[38:39], v[28:29], v[38:39], 0x3fb16ecefcfa6930
	s_delay_alu instid0(VALU_DEP_1) | instskip(NEXT) | instid1(VALU_DEP_1)
	v_fmaak_f64 v[38:39], v[28:29], v[38:39], 0x3f8f7f5df66fb8a3
	v_fmaak_f64 v[38:39], v[28:29], v[38:39], 0xbfc1df1ad154a2a8
	v_fma_f64 v[30:31], v[42:43], v[44:45], 1.0
	s_delay_alu instid0(VALU_DEP_2) | instskip(NEXT) | instid1(VALU_DEP_1)
	v_fmaak_f64 v[28:29], v[28:29], v[38:39], 0x3fcdd2c8b74febf8
	v_fma_f64 v[38:39], v[28:29], v[32:33], v[32:33]
	s_delay_alu instid0(VALU_DEP_3) | instskip(NEXT) | instid1(VALU_DEP_2)
	v_ldexp_f64 v[30:31], v[30:31], v40
	v_fma_f64 v[36:37], -v[38:39], v[36:37], 1.0
	v_add_f64_e64 v[28:29], v[28:29], -v[38:39]
	s_delay_alu instid0(VALU_DEP_3)
	v_cndmask_b32_e64 v31, 0x7ff00000, v31, s2
	s_and_b32 s2, s3, s2
	s_delay_alu instid0(VALU_DEP_4) | instid1(SALU_CYCLE_1)
	v_cndmask_b32_e64 v30, 0, v30, s2
	v_cmp_ngt_f64_e64 s2, |v[26:27]|, s[16:17]
	v_fma_f64 v[34:35], -v[26:27], v[26:27], -v[34:35]
	v_dual_add_f64 v[28:29], v[36:37], v[28:29] :: v_dual_cndmask_b32 v31, 0, v31, s3
	s_delay_alu instid0(VALU_DEP_1) | instskip(NEXT) | instid1(VALU_DEP_2)
	v_fmac_f64_e32 v[30:31], v[30:31], v[34:35]
	v_fmac_f64_e32 v[38:39], v[32:33], v[28:29]
	s_delay_alu instid0(VALU_DEP_1) | instskip(NEXT) | instid1(VALU_DEP_1)
	v_mul_f64_e32 v[28:29], v[30:31], v[38:39]
	v_dual_cndmask_b32 v29, 0, v29, s2 :: v_dual_cndmask_b32 v28, 0, v28, s2
	v_cmp_gt_f64_e64 s2, 0, v[26:27]
	s_delay_alu instid0(VALU_DEP_2) | instskip(NEXT) | instid1(VALU_DEP_1)
	v_add_f64_e64 v[30:31], -v[28:29], 2.0
	v_dual_cndmask_b32 v27, v29, v31, s2 :: v_dual_cndmask_b32 v26, v28, v30, s2
	global_store_b64 v[24:25], v[26:27], off
	s_wait_xcnt 0x0
	s_or_b32 exec_lo, exec_lo, s4
	s_and_saveexec_b32 s3, vcc_lo
	s_cbranch_execz .LBB4_3
.LBB4_19:                               ;   in Loop: Header=BB4_4 Depth=1
	s_wait_loadcnt 0x0
	v_add_f64_e64 v[24:25], |v[20:21]|, 4.0
	v_mul_f64_e64 v[30:31], v[20:21], -v[20:21]
	v_add_f64_e64 v[32:33], |v[20:21]|, |v[20:21]|
	s_delay_alu instid0(VALU_DEP_3) | instskip(NEXT) | instid1(VALU_DEP_2)
	v_rcp_f64_e32 v[26:27], v[24:25]
	v_cmp_ngt_f64_e64 s2, 0xc090cc00, v[30:31]
	v_mul_f64_e32 v[34:35], 0x3ff71547652b82fe, v[30:31]
	s_delay_alu instid0(VALU_DEP_3) | instskip(SKIP_1) | instid1(TRANS32_DEP_1)
	v_add_f64_e32 v[36:37], 1.0, v[32:33]
	v_cmp_nlt_f64_e32 vcc_lo, 0x40900000, v[30:31]
	v_fma_f64 v[28:29], -v[24:25], v[26:27], 1.0
	s_delay_alu instid0(VALU_DEP_1) | instskip(SKIP_1) | instid1(VALU_DEP_2)
	v_fmac_f64_e32 v[26:27], v[28:29], v[26:27]
	v_add_f64_e64 v[28:29], |v[20:21]|, -4.0
	v_fma_f64 v[24:25], -v[24:25], v[26:27], 1.0
	s_delay_alu instid0(VALU_DEP_1) | instskip(NEXT) | instid1(VALU_DEP_1)
	v_fmac_f64_e32 v[26:27], v[24:25], v[26:27]
	v_mul_f64_e32 v[24:25], v[28:29], v[26:27]
	s_delay_alu instid0(VALU_DEP_1) | instskip(NEXT) | instid1(VALU_DEP_1)
	v_add_f64_e32 v[28:29], 1.0, v[24:25]
	v_fma_f64 v[28:29], v[28:29], -4.0, |v[20:21]|
	s_delay_alu instid0(VALU_DEP_1) | instskip(NEXT) | instid1(VALU_DEP_1)
	v_fma_f64 v[28:29], -v[24:25], |v[20:21]|, v[28:29]
	v_fmac_f64_e32 v[24:25], v[26:27], v[28:29]
	v_rndne_f64_e32 v[26:27], v[34:35]
	v_rcp_f64_e32 v[28:29], v[36:37]
	s_delay_alu instid0(VALU_DEP_2) | instskip(NEXT) | instid1(VALU_DEP_2)
	v_fmamk_f64 v[34:35], v[24:25], 0xbe41f39d54df3c0e, v[8:9]
	v_fmamk_f64 v[38:39], v[26:27], 0xbfe62e42fefa39ef, v[30:31]
	s_delay_alu instid0(VALU_DEP_2) | instskip(NEXT) | instid1(VALU_DEP_2)
	v_fmaak_f64 v[34:35], v[24:25], v[34:35], 0x3e7b45f1d9802b82
	v_fmac_f64_e32 v[38:39], 0xbc7abc9e3b39803f, v[26:27]
	s_delay_alu instid0(TRANS32_DEP_1) | instskip(NEXT) | instid1(VALU_DEP_3)
	v_fma_f64 v[40:41], -v[36:37], v[28:29], 1.0
	v_fmaak_f64 v[34:35], v[24:25], v[34:35], 0x3e6d90488a03dcdb
	s_delay_alu instid0(VALU_DEP_1) | instskip(NEXT) | instid1(VALU_DEP_1)
	v_fmaak_f64 v[34:35], v[24:25], v[34:35], 0xbeab87b02eba62d8
	v_fmaak_f64 v[34:35], v[24:25], v[34:35], 0x3e95104ba56e15f1
	s_delay_alu instid0(VALU_DEP_1) | instskip(SKIP_2) | instid1(VALU_DEP_3)
	v_fmaak_f64 v[34:35], v[24:25], v[34:35], 0x3ed7f29f71c907de
	v_fmamk_f64 v[42:43], v[38:39], 0x3e5ade156a5dcb37, v[6:7]
	v_fmac_f64_e32 v[28:29], v[40:41], v[28:29]
	v_fmaak_f64 v[34:35], v[24:25], v[34:35], 0xbee78f5c2cd770fb
	s_delay_alu instid0(VALU_DEP_3) | instskip(NEXT) | instid1(VALU_DEP_2)
	v_fmaak_f64 v[40:41], v[38:39], v[42:43], 0x3ec71dee623fde64
	v_fmaak_f64 v[34:35], v[24:25], v[34:35], 0xbef995fb76d0a51a
	s_delay_alu instid0(VALU_DEP_2) | instskip(NEXT) | instid1(VALU_DEP_2)
	v_fmaak_f64 v[40:41], v[38:39], v[40:41], 0x3efa01997c89e6b0
	v_fmaak_f64 v[34:35], v[24:25], v[34:35], 0x3f23be2ec022d0ed
	s_delay_alu instid0(VALU_DEP_2) | instskip(NEXT) | instid1(VALU_DEP_2)
	v_fmaak_f64 v[40:41], v[38:39], v[40:41], 0x3f2a01a014761f6e
	v_fmaak_f64 v[34:35], v[24:25], v[34:35], 0xbf2a1deb2fdbf62e
	s_delay_alu instid0(VALU_DEP_2) | instskip(NEXT) | instid1(VALU_DEP_2)
	v_fmaak_f64 v[40:41], v[38:39], v[40:41], 0x3f56c16c1852b7b0
	v_fmaak_f64 v[34:35], v[24:25], v[34:35], 0xbf48d4ac3689fc43
	v_fma_f64 v[36:37], -v[36:37], v[28:29], 1.0
	s_delay_alu instid0(VALU_DEP_3) | instskip(NEXT) | instid1(VALU_DEP_3)
	v_fmaak_f64 v[40:41], v[38:39], v[40:41], 0x3f81111111122322
	v_fmaak_f64 v[34:35], v[24:25], v[34:35], 0x3f749c67192d909b
	s_delay_alu instid0(VALU_DEP_2) | instskip(NEXT) | instid1(VALU_DEP_2)
	v_fmaak_f64 v[40:41], v[38:39], v[40:41], 0x3fa55555555502a1
	v_fmaak_f64 v[34:35], v[24:25], v[34:35], 0xbf909623852ff070
	s_delay_alu instid0(VALU_DEP_2) | instskip(NEXT) | instid1(VALU_DEP_2)
	;; [unrolled: 3-line block ×3, first 2 shown]
	v_fmaak_f64 v[40:41], v[38:39], v[40:41], 0x3fe000000000000b
	v_fmaak_f64 v[34:35], v[24:25], v[34:35], 0xbfb0fb06dff65910
	s_delay_alu instid0(VALU_DEP_2) | instskip(SKIP_1) | instid1(VALU_DEP_3)
	v_fma_f64 v[40:41], v[38:39], v[40:41], 1.0
	v_fmac_f64_e32 v[28:29], v[36:37], v[28:29]
	v_fmaak_f64 v[34:35], v[24:25], v[34:35], 0x3fb7fee004de8f32
	v_cvt_i32_f64_e32 v36, v[26:27]
	s_delay_alu instid0(VALU_DEP_2) | instskip(NEXT) | instid1(VALU_DEP_1)
	v_fmaak_f64 v[34:35], v[24:25], v[34:35], 0xbfb9ddb23c3dbeb3
	v_fmaak_f64 v[34:35], v[24:25], v[34:35], 0x3fb16ecefcfa6930
	s_delay_alu instid0(VALU_DEP_1) | instskip(NEXT) | instid1(VALU_DEP_1)
	v_fmaak_f64 v[34:35], v[24:25], v[34:35], 0x3f8f7f5df66fb8a3
	v_fmaak_f64 v[34:35], v[24:25], v[34:35], 0xbfc1df1ad154a2a8
	v_fma_f64 v[26:27], v[38:39], v[40:41], 1.0
	s_delay_alu instid0(VALU_DEP_2) | instskip(NEXT) | instid1(VALU_DEP_1)
	v_fmaak_f64 v[24:25], v[24:25], v[34:35], 0x3fcdd2c8b74febf8
	v_fma_f64 v[34:35], v[24:25], v[28:29], v[28:29]
	s_delay_alu instid0(VALU_DEP_3) | instskip(NEXT) | instid1(VALU_DEP_2)
	v_ldexp_f64 v[26:27], v[26:27], v36
	v_fma_f64 v[32:33], -v[34:35], v[32:33], 1.0
	v_add_f64_e64 v[24:25], v[24:25], -v[34:35]
	s_delay_alu instid0(VALU_DEP_3)
	v_cndmask_b32_e32 v27, 0x7ff00000, v27, vcc_lo
	s_and_b32 vcc_lo, s2, vcc_lo
	s_delay_alu instid0(VALU_DEP_4) | instid1(SALU_CYCLE_1)
	v_dual_fma_f64 v[30:31], -v[20:21], v[20:21], -v[30:31] :: v_dual_cndmask_b32 v26, 0, v26, vcc_lo
	s_delay_alu instid0(VALU_DEP_2) | instskip(SKIP_2) | instid1(VALU_DEP_3)
	v_cndmask_b32_e64 v27, 0, v27, s2
	v_cmp_ngt_f64_e64 vcc_lo, |v[20:21]|, s[16:17]
	v_add_f64_e32 v[24:25], v[32:33], v[24:25]
	v_fmac_f64_e32 v[26:27], v[26:27], v[30:31]
	s_delay_alu instid0(VALU_DEP_2) | instskip(NEXT) | instid1(VALU_DEP_1)
	v_fmac_f64_e32 v[34:35], v[28:29], v[24:25]
	v_mul_f64_e32 v[24:25], v[26:27], v[34:35]
	s_delay_alu instid0(VALU_DEP_1) | instskip(SKIP_1) | instid1(VALU_DEP_2)
	v_dual_cndmask_b32 v25, 0, v25 :: v_dual_cndmask_b32 v24, 0, v24
	v_cmp_gt_f64_e32 vcc_lo, 0, v[20:21]
	v_add_f64_e64 v[26:27], -v[24:25], 2.0
	s_delay_alu instid0(VALU_DEP_1)
	v_dual_cndmask_b32 v21, v25, v27 :: v_dual_cndmask_b32 v20, v24, v26
	global_store_b64 v[22:23], v[20:21], off
	s_branch .LBB4_3
.LBB4_20:
	s_cbranch_execz .LBB4_22
	s_branch .LBB4_25
.LBB4_21:
.LBB4_22:
	v_min_i64 v[10:11], 0x10000, s[10:11]
	v_dual_mov_b32 v3, 0 :: v_dual_lshlrev_b32 v2, 2, v0
	s_mov_b32 s2, exec_lo
	s_delay_alu instid0(VALU_DEP_1)
	v_cmpx_lt_i64_e64 v[2:3], v[10:11]
	s_cbranch_execz .LBB4_25
; %bb.23:
	s_load_b32 s4, s[0:1], 0xd3c
	v_dual_mov_b32 v1, v3 :: v_dual_lshlrev_b32 v2, 5, v0
	s_wait_xcnt 0x0
	s_add_nc_u64 s[0:1], s[6:7], s[8:9]
	v_mov_b64_e32 v[12:13], 0x3e928af3fca7ab0c
	v_mov_b64_e32 v[14:15], 0xbe41166337cfa789
	v_add_nc_u64_e32 v[4:5], s[0:1], v[2:3]
	s_mov_b32 s5, 0
	s_mov_b64 s[2:3], 0x403b39dc41e48bfc
	s_mov_b32 s7, s5
	s_mov_b32 s1, s5
                                        ; implicit-def: $vgpr2_vgpr3
                                        ; implicit-def: $vgpr2_vgpr3
	;; [unrolled: 1-line block ×28, first 2 shown]
	s_delay_alu instid0(VALU_DEP_1) | instskip(SKIP_2) | instid1(SALU_CYCLE_1)
	v_add_nc_u64_e32 v[16:17], 16, v[4:5]
	s_wait_kmcnt 0x0
	s_and_b32 s4, s4, 0xffff
	s_lshl_b32 s6, s4, 5
.LBB4_24:                               ; =>This Inner Loop Header: Depth=1
	s_clause 0x1
	global_load_b128 v[2:5], v[16:17], off
	global_load_b128 v[6:9], v[16:17], off offset:-16
	v_add_nc_u64_e32 v[0:1], s[4:5], v[0:1]
	s_wait_loadcnt 0x0
	v_mul_f64_e64 v[18:19], v[6:7], -v[6:7]
	s_delay_alu instid0(VALU_DEP_1) | instskip(SKIP_3) | instid1(VALU_DEP_4)
	v_mul_f64_e32 v[22:23], 0x3ff71547652b82fe, v[18:19]
	v_cmp_nlt_f64_e32 vcc_lo, 0x40900000, v[18:19]
	v_cmp_ngt_f64_e64 s0, 0xc090cc00, v[18:19]
	v_fma_f64 v[20:21], -v[6:7], v[6:7], -v[18:19]
	v_rndne_f64_e32 v[22:23], v[22:23]
	s_delay_alu instid0(VALU_DEP_1) | instskip(NEXT) | instid1(VALU_DEP_1)
	v_fmamk_f64 v[24:25], v[22:23], 0xbfe62e42fefa39ef, v[18:19]
	v_fmac_f64_e32 v[24:25], 0xbc7abc9e3b39803f, v[22:23]
	v_cvt_i32_f64_e32 v22, v[22:23]
	s_delay_alu instid0(VALU_DEP_2) | instskip(NEXT) | instid1(VALU_DEP_1)
	v_fmamk_f64 v[26:27], v[24:25], 0x3e5ade156a5dcb37, v[12:13]
	v_fmaak_f64 v[26:27], v[24:25], v[26:27], 0x3ec71dee623fde64
	s_delay_alu instid0(VALU_DEP_1) | instskip(NEXT) | instid1(VALU_DEP_1)
	v_fmaak_f64 v[26:27], v[24:25], v[26:27], 0x3efa01997c89e6b0
	v_fmaak_f64 v[26:27], v[24:25], v[26:27], 0x3f2a01a014761f6e
	s_delay_alu instid0(VALU_DEP_1) | instskip(NEXT) | instid1(VALU_DEP_1)
	v_fmaak_f64 v[26:27], v[24:25], v[26:27], 0x3f56c16c1852b7b0
	;; [unrolled: 3-line block ×4, first 2 shown]
	v_fma_f64 v[26:27], v[24:25], v[26:27], 1.0
	s_delay_alu instid0(VALU_DEP_1) | instskip(NEXT) | instid1(VALU_DEP_1)
	v_fma_f64 v[24:25], v[24:25], v[26:27], 1.0
	v_ldexp_f64 v[22:23], v[24:25], v22
	s_delay_alu instid0(VALU_DEP_1) | instskip(SKIP_1) | instid1(VALU_DEP_2)
	v_cndmask_b32_e32 v23, 0x7ff00000, v23, vcc_lo
	s_and_b32 vcc_lo, s0, vcc_lo
	v_cndmask_b32_e32 v18, 0, v22, vcc_lo
	v_cmp_ngt_f64_e64 vcc_lo, |v[6:7]|, s[2:3]
	s_delay_alu instid0(VALU_DEP_3) | instskip(SKIP_1) | instid1(VALU_DEP_2)
	v_cndmask_b32_e64 v19, 0, v23, s0
	v_add_f64_e64 v[22:23], |v[6:7]|, 4.0
	v_fmac_f64_e32 v[18:19], v[18:19], v[20:21]
	v_add_f64_e64 v[20:21], |v[6:7]|, -4.0
	s_delay_alu instid0(VALU_DEP_3) | instskip(SKIP_1) | instid1(TRANS32_DEP_1)
	v_rcp_f64_e32 v[24:25], v[22:23]
	v_nop
	v_fma_f64 v[26:27], -v[22:23], v[24:25], 1.0
	s_delay_alu instid0(VALU_DEP_1) | instskip(NEXT) | instid1(VALU_DEP_1)
	v_fmac_f64_e32 v[24:25], v[26:27], v[24:25]
	v_fma_f64 v[22:23], -v[22:23], v[24:25], 1.0
	s_delay_alu instid0(VALU_DEP_1) | instskip(NEXT) | instid1(VALU_DEP_1)
	v_fmac_f64_e32 v[24:25], v[22:23], v[24:25]
	v_mul_f64_e32 v[20:21], v[20:21], v[24:25]
	s_delay_alu instid0(VALU_DEP_1) | instskip(NEXT) | instid1(VALU_DEP_1)
	v_add_f64_e32 v[22:23], 1.0, v[20:21]
	v_fma_f64 v[22:23], v[22:23], -4.0, |v[6:7]|
	s_delay_alu instid0(VALU_DEP_1) | instskip(NEXT) | instid1(VALU_DEP_1)
	v_fma_f64 v[22:23], -v[20:21], |v[6:7]|, v[22:23]
	v_fmac_f64_e32 v[20:21], v[24:25], v[22:23]
	s_delay_alu instid0(VALU_DEP_1) | instskip(NEXT) | instid1(VALU_DEP_1)
	v_fmamk_f64 v[22:23], v[20:21], 0xbe41f39d54df3c0e, v[14:15]
	v_fmaak_f64 v[22:23], v[20:21], v[22:23], 0x3e7b45f1d9802b82
	s_delay_alu instid0(VALU_DEP_1) | instskip(NEXT) | instid1(VALU_DEP_1)
	v_fmaak_f64 v[22:23], v[20:21], v[22:23], 0x3e6d90488a03dcdb
	v_fmaak_f64 v[22:23], v[20:21], v[22:23], 0xbeab87b02eba62d8
	s_delay_alu instid0(VALU_DEP_1) | instskip(NEXT) | instid1(VALU_DEP_1)
	v_fmaak_f64 v[22:23], v[20:21], v[22:23], 0x3e95104ba56e15f1
	;; [unrolled: 3-line block ×9, first 2 shown]
	v_fmaak_f64 v[22:23], v[20:21], v[22:23], 0xbfc1df1ad154a2a8
	s_delay_alu instid0(VALU_DEP_1) | instskip(SKIP_1) | instid1(VALU_DEP_1)
	v_fmaak_f64 v[20:21], v[20:21], v[22:23], 0x3fcdd2c8b74febf8
	v_add_f64_e64 v[22:23], |v[6:7]|, |v[6:7]|
	v_add_f64_e32 v[24:25], 1.0, v[22:23]
	s_delay_alu instid0(VALU_DEP_1) | instskip(SKIP_1) | instid1(TRANS32_DEP_1)
	v_rcp_f64_e32 v[26:27], v[24:25]
	v_nop
	v_fma_f64 v[28:29], -v[24:25], v[26:27], 1.0
	s_delay_alu instid0(VALU_DEP_1) | instskip(NEXT) | instid1(VALU_DEP_1)
	v_fmac_f64_e32 v[26:27], v[28:29], v[26:27]
	v_fma_f64 v[24:25], -v[24:25], v[26:27], 1.0
	s_delay_alu instid0(VALU_DEP_1) | instskip(NEXT) | instid1(VALU_DEP_1)
	v_fmac_f64_e32 v[26:27], v[24:25], v[26:27]
	v_fma_f64 v[24:25], v[20:21], v[26:27], v[26:27]
	s_delay_alu instid0(VALU_DEP_1) | instskip(SKIP_1) | instid1(VALU_DEP_1)
	v_fma_f64 v[22:23], -v[24:25], v[22:23], 1.0
	v_add_f64_e64 v[20:21], v[20:21], -v[24:25]
	v_add_f64_e32 v[20:21], v[22:23], v[20:21]
	s_delay_alu instid0(VALU_DEP_1) | instskip(NEXT) | instid1(VALU_DEP_1)
	v_fmac_f64_e32 v[24:25], v[26:27], v[20:21]
	v_mul_f64_e32 v[18:19], v[18:19], v[24:25]
	s_delay_alu instid0(VALU_DEP_1) | instskip(SKIP_1) | instid1(VALU_DEP_2)
	v_dual_cndmask_b32 v19, 0, v19 :: v_dual_cndmask_b32 v18, 0, v18
	v_cmp_gt_f64_e32 vcc_lo, 0, v[6:7]
	v_add_f64_e64 v[20:21], -v[18:19], 2.0
	s_delay_alu instid0(VALU_DEP_1) | instskip(SKIP_1) | instid1(VALU_DEP_1)
	v_dual_cndmask_b32 v7, v19, v21 :: v_dual_cndmask_b32 v6, v18, v20
	v_mul_f64_e64 v[18:19], v[8:9], -v[8:9]
	v_mul_f64_e32 v[22:23], 0x3ff71547652b82fe, v[18:19]
	v_cmp_nlt_f64_e32 vcc_lo, 0x40900000, v[18:19]
	v_cmp_ngt_f64_e64 s0, 0xc090cc00, v[18:19]
	v_fma_f64 v[20:21], -v[8:9], v[8:9], -v[18:19]
	s_delay_alu instid0(VALU_DEP_4) | instskip(NEXT) | instid1(VALU_DEP_1)
	v_rndne_f64_e32 v[22:23], v[22:23]
	v_fmamk_f64 v[24:25], v[22:23], 0xbfe62e42fefa39ef, v[18:19]
	s_delay_alu instid0(VALU_DEP_1) | instskip(SKIP_1) | instid1(VALU_DEP_2)
	v_fmac_f64_e32 v[24:25], 0xbc7abc9e3b39803f, v[22:23]
	v_cvt_i32_f64_e32 v22, v[22:23]
	v_fmamk_f64 v[26:27], v[24:25], 0x3e5ade156a5dcb37, v[12:13]
	s_delay_alu instid0(VALU_DEP_1) | instskip(NEXT) | instid1(VALU_DEP_1)
	v_fmaak_f64 v[26:27], v[24:25], v[26:27], 0x3ec71dee623fde64
	v_fmaak_f64 v[26:27], v[24:25], v[26:27], 0x3efa01997c89e6b0
	s_delay_alu instid0(VALU_DEP_1) | instskip(NEXT) | instid1(VALU_DEP_1)
	v_fmaak_f64 v[26:27], v[24:25], v[26:27], 0x3f2a01a014761f6e
	v_fmaak_f64 v[26:27], v[24:25], v[26:27], 0x3f56c16c1852b7b0
	;; [unrolled: 3-line block ×4, first 2 shown]
	s_delay_alu instid0(VALU_DEP_1) | instskip(NEXT) | instid1(VALU_DEP_1)
	v_fma_f64 v[26:27], v[24:25], v[26:27], 1.0
	v_fma_f64 v[24:25], v[24:25], v[26:27], 1.0
	s_delay_alu instid0(VALU_DEP_1) | instskip(NEXT) | instid1(VALU_DEP_1)
	v_ldexp_f64 v[22:23], v[24:25], v22
	v_cndmask_b32_e32 v23, 0x7ff00000, v23, vcc_lo
	s_and_b32 vcc_lo, s0, vcc_lo
	s_delay_alu instid0(VALU_DEP_2) | instskip(SKIP_1) | instid1(VALU_DEP_3)
	v_cndmask_b32_e32 v18, 0, v22, vcc_lo
	v_cmp_ngt_f64_e64 vcc_lo, |v[8:9]|, s[2:3]
	v_cndmask_b32_e64 v19, 0, v23, s0
	v_add_f64_e64 v[22:23], |v[8:9]|, 4.0
	s_delay_alu instid0(VALU_DEP_2) | instskip(SKIP_1) | instid1(VALU_DEP_3)
	v_fmac_f64_e32 v[18:19], v[18:19], v[20:21]
	v_add_f64_e64 v[20:21], |v[8:9]|, -4.0
	v_rcp_f64_e32 v[24:25], v[22:23]
	v_nop
	s_delay_alu instid0(TRANS32_DEP_1) | instskip(NEXT) | instid1(VALU_DEP_1)
	v_fma_f64 v[26:27], -v[22:23], v[24:25], 1.0
	v_fmac_f64_e32 v[24:25], v[26:27], v[24:25]
	s_delay_alu instid0(VALU_DEP_1) | instskip(NEXT) | instid1(VALU_DEP_1)
	v_fma_f64 v[22:23], -v[22:23], v[24:25], 1.0
	v_fmac_f64_e32 v[24:25], v[22:23], v[24:25]
	s_delay_alu instid0(VALU_DEP_1) | instskip(NEXT) | instid1(VALU_DEP_1)
	v_mul_f64_e32 v[20:21], v[20:21], v[24:25]
	v_add_f64_e32 v[22:23], 1.0, v[20:21]
	s_delay_alu instid0(VALU_DEP_1) | instskip(NEXT) | instid1(VALU_DEP_1)
	v_fma_f64 v[22:23], v[22:23], -4.0, |v[8:9]|
	v_fma_f64 v[22:23], -v[20:21], |v[8:9]|, v[22:23]
	s_delay_alu instid0(VALU_DEP_1) | instskip(NEXT) | instid1(VALU_DEP_1)
	v_fmac_f64_e32 v[20:21], v[24:25], v[22:23]
	v_fmamk_f64 v[22:23], v[20:21], 0xbe41f39d54df3c0e, v[14:15]
	s_delay_alu instid0(VALU_DEP_1) | instskip(NEXT) | instid1(VALU_DEP_1)
	v_fmaak_f64 v[22:23], v[20:21], v[22:23], 0x3e7b45f1d9802b82
	v_fmaak_f64 v[22:23], v[20:21], v[22:23], 0x3e6d90488a03dcdb
	s_delay_alu instid0(VALU_DEP_1) | instskip(NEXT) | instid1(VALU_DEP_1)
	v_fmaak_f64 v[22:23], v[20:21], v[22:23], 0xbeab87b02eba62d8
	v_fmaak_f64 v[22:23], v[20:21], v[22:23], 0x3e95104ba56e15f1
	;; [unrolled: 3-line block ×10, first 2 shown]
	v_add_f64_e64 v[22:23], |v[8:9]|, |v[8:9]|
	s_delay_alu instid0(VALU_DEP_1) | instskip(NEXT) | instid1(VALU_DEP_1)
	v_add_f64_e32 v[24:25], 1.0, v[22:23]
	v_rcp_f64_e32 v[26:27], v[24:25]
	v_nop
	s_delay_alu instid0(TRANS32_DEP_1) | instskip(NEXT) | instid1(VALU_DEP_1)
	v_fma_f64 v[28:29], -v[24:25], v[26:27], 1.0
	v_fmac_f64_e32 v[26:27], v[28:29], v[26:27]
	s_delay_alu instid0(VALU_DEP_1) | instskip(NEXT) | instid1(VALU_DEP_1)
	v_fma_f64 v[24:25], -v[24:25], v[26:27], 1.0
	v_fmac_f64_e32 v[26:27], v[24:25], v[26:27]
	s_delay_alu instid0(VALU_DEP_1) | instskip(NEXT) | instid1(VALU_DEP_1)
	v_fma_f64 v[24:25], v[20:21], v[26:27], v[26:27]
	v_fma_f64 v[22:23], -v[24:25], v[22:23], 1.0
	v_add_f64_e64 v[20:21], v[20:21], -v[24:25]
	s_delay_alu instid0(VALU_DEP_1) | instskip(NEXT) | instid1(VALU_DEP_1)
	v_add_f64_e32 v[20:21], v[22:23], v[20:21]
	v_fmac_f64_e32 v[24:25], v[26:27], v[20:21]
	s_delay_alu instid0(VALU_DEP_1) | instskip(NEXT) | instid1(VALU_DEP_1)
	v_mul_f64_e32 v[18:19], v[18:19], v[24:25]
	v_dual_cndmask_b32 v19, 0, v19 :: v_dual_cndmask_b32 v18, 0, v18
	v_cmp_gt_f64_e32 vcc_lo, 0, v[8:9]
	s_delay_alu instid0(VALU_DEP_2) | instskip(NEXT) | instid1(VALU_DEP_1)
	v_add_f64_e64 v[20:21], -v[18:19], 2.0
	v_dual_cndmask_b32 v9, v19, v21 :: v_dual_cndmask_b32 v8, v18, v20
	v_mul_f64_e64 v[18:19], v[2:3], -v[2:3]
	s_delay_alu instid0(VALU_DEP_1) | instskip(SKIP_3) | instid1(VALU_DEP_4)
	v_mul_f64_e32 v[22:23], 0x3ff71547652b82fe, v[18:19]
	v_cmp_nlt_f64_e32 vcc_lo, 0x40900000, v[18:19]
	v_cmp_ngt_f64_e64 s0, 0xc090cc00, v[18:19]
	v_fma_f64 v[20:21], -v[2:3], v[2:3], -v[18:19]
	v_rndne_f64_e32 v[22:23], v[22:23]
	s_delay_alu instid0(VALU_DEP_1) | instskip(NEXT) | instid1(VALU_DEP_1)
	v_fmamk_f64 v[24:25], v[22:23], 0xbfe62e42fefa39ef, v[18:19]
	v_fmac_f64_e32 v[24:25], 0xbc7abc9e3b39803f, v[22:23]
	v_cvt_i32_f64_e32 v22, v[22:23]
	s_delay_alu instid0(VALU_DEP_2) | instskip(NEXT) | instid1(VALU_DEP_1)
	v_fmamk_f64 v[26:27], v[24:25], 0x3e5ade156a5dcb37, v[12:13]
	v_fmaak_f64 v[26:27], v[24:25], v[26:27], 0x3ec71dee623fde64
	s_delay_alu instid0(VALU_DEP_1) | instskip(NEXT) | instid1(VALU_DEP_1)
	v_fmaak_f64 v[26:27], v[24:25], v[26:27], 0x3efa01997c89e6b0
	v_fmaak_f64 v[26:27], v[24:25], v[26:27], 0x3f2a01a014761f6e
	s_delay_alu instid0(VALU_DEP_1) | instskip(NEXT) | instid1(VALU_DEP_1)
	v_fmaak_f64 v[26:27], v[24:25], v[26:27], 0x3f56c16c1852b7b0
	;; [unrolled: 3-line block ×4, first 2 shown]
	v_fma_f64 v[26:27], v[24:25], v[26:27], 1.0
	s_delay_alu instid0(VALU_DEP_1) | instskip(NEXT) | instid1(VALU_DEP_1)
	v_fma_f64 v[24:25], v[24:25], v[26:27], 1.0
	v_ldexp_f64 v[22:23], v[24:25], v22
	s_delay_alu instid0(VALU_DEP_1) | instskip(SKIP_1) | instid1(VALU_DEP_2)
	v_cndmask_b32_e32 v23, 0x7ff00000, v23, vcc_lo
	s_and_b32 vcc_lo, s0, vcc_lo
	v_cndmask_b32_e32 v18, 0, v22, vcc_lo
	v_cmp_ngt_f64_e64 vcc_lo, |v[2:3]|, s[2:3]
	s_delay_alu instid0(VALU_DEP_3) | instskip(SKIP_1) | instid1(VALU_DEP_2)
	v_cndmask_b32_e64 v19, 0, v23, s0
	v_add_f64_e64 v[22:23], |v[2:3]|, 4.0
	v_fmac_f64_e32 v[18:19], v[18:19], v[20:21]
	v_add_f64_e64 v[20:21], |v[2:3]|, -4.0
	s_delay_alu instid0(VALU_DEP_3) | instskip(SKIP_1) | instid1(TRANS32_DEP_1)
	v_rcp_f64_e32 v[24:25], v[22:23]
	v_nop
	v_fma_f64 v[26:27], -v[22:23], v[24:25], 1.0
	s_delay_alu instid0(VALU_DEP_1) | instskip(NEXT) | instid1(VALU_DEP_1)
	v_fmac_f64_e32 v[24:25], v[26:27], v[24:25]
	v_fma_f64 v[22:23], -v[22:23], v[24:25], 1.0
	s_delay_alu instid0(VALU_DEP_1) | instskip(NEXT) | instid1(VALU_DEP_1)
	v_fmac_f64_e32 v[24:25], v[22:23], v[24:25]
	v_mul_f64_e32 v[20:21], v[20:21], v[24:25]
	s_delay_alu instid0(VALU_DEP_1) | instskip(NEXT) | instid1(VALU_DEP_1)
	v_add_f64_e32 v[22:23], 1.0, v[20:21]
	v_fma_f64 v[22:23], v[22:23], -4.0, |v[2:3]|
	s_delay_alu instid0(VALU_DEP_1) | instskip(NEXT) | instid1(VALU_DEP_1)
	v_fma_f64 v[22:23], -v[20:21], |v[2:3]|, v[22:23]
	v_fmac_f64_e32 v[20:21], v[24:25], v[22:23]
	s_delay_alu instid0(VALU_DEP_1) | instskip(NEXT) | instid1(VALU_DEP_1)
	v_fmamk_f64 v[22:23], v[20:21], 0xbe41f39d54df3c0e, v[14:15]
	v_fmaak_f64 v[22:23], v[20:21], v[22:23], 0x3e7b45f1d9802b82
	s_delay_alu instid0(VALU_DEP_1) | instskip(NEXT) | instid1(VALU_DEP_1)
	v_fmaak_f64 v[22:23], v[20:21], v[22:23], 0x3e6d90488a03dcdb
	v_fmaak_f64 v[22:23], v[20:21], v[22:23], 0xbeab87b02eba62d8
	s_delay_alu instid0(VALU_DEP_1) | instskip(NEXT) | instid1(VALU_DEP_1)
	v_fmaak_f64 v[22:23], v[20:21], v[22:23], 0x3e95104ba56e15f1
	;; [unrolled: 3-line block ×9, first 2 shown]
	v_fmaak_f64 v[22:23], v[20:21], v[22:23], 0xbfc1df1ad154a2a8
	s_delay_alu instid0(VALU_DEP_1) | instskip(SKIP_1) | instid1(VALU_DEP_1)
	v_fmaak_f64 v[20:21], v[20:21], v[22:23], 0x3fcdd2c8b74febf8
	v_add_f64_e64 v[22:23], |v[2:3]|, |v[2:3]|
	v_add_f64_e32 v[24:25], 1.0, v[22:23]
	s_delay_alu instid0(VALU_DEP_1) | instskip(SKIP_1) | instid1(TRANS32_DEP_1)
	v_rcp_f64_e32 v[26:27], v[24:25]
	v_nop
	v_fma_f64 v[28:29], -v[24:25], v[26:27], 1.0
	s_delay_alu instid0(VALU_DEP_1) | instskip(NEXT) | instid1(VALU_DEP_1)
	v_fmac_f64_e32 v[26:27], v[28:29], v[26:27]
	v_fma_f64 v[24:25], -v[24:25], v[26:27], 1.0
	s_delay_alu instid0(VALU_DEP_1) | instskip(NEXT) | instid1(VALU_DEP_1)
	v_fmac_f64_e32 v[26:27], v[24:25], v[26:27]
	v_fma_f64 v[24:25], v[20:21], v[26:27], v[26:27]
	s_delay_alu instid0(VALU_DEP_1) | instskip(SKIP_1) | instid1(VALU_DEP_1)
	v_fma_f64 v[22:23], -v[24:25], v[22:23], 1.0
	v_add_f64_e64 v[20:21], v[20:21], -v[24:25]
	v_add_f64_e32 v[20:21], v[22:23], v[20:21]
	s_delay_alu instid0(VALU_DEP_1) | instskip(NEXT) | instid1(VALU_DEP_1)
	v_fmac_f64_e32 v[24:25], v[26:27], v[20:21]
	v_mul_f64_e32 v[18:19], v[18:19], v[24:25]
	s_delay_alu instid0(VALU_DEP_1) | instskip(SKIP_1) | instid1(VALU_DEP_2)
	v_dual_cndmask_b32 v19, 0, v19 :: v_dual_cndmask_b32 v18, 0, v18
	v_cmp_gt_f64_e32 vcc_lo, 0, v[2:3]
	v_add_f64_e64 v[20:21], -v[18:19], 2.0
	s_delay_alu instid0(VALU_DEP_1) | instskip(SKIP_1) | instid1(VALU_DEP_1)
	v_dual_cndmask_b32 v3, v19, v21 :: v_dual_cndmask_b32 v2, v18, v20
	v_mul_f64_e64 v[18:19], v[4:5], -v[4:5]
	v_mul_f64_e32 v[22:23], 0x3ff71547652b82fe, v[18:19]
	v_cmp_nlt_f64_e32 vcc_lo, 0x40900000, v[18:19]
	v_cmp_ngt_f64_e64 s0, 0xc090cc00, v[18:19]
	v_fma_f64 v[20:21], -v[4:5], v[4:5], -v[18:19]
	s_delay_alu instid0(VALU_DEP_4) | instskip(NEXT) | instid1(VALU_DEP_1)
	v_rndne_f64_e32 v[22:23], v[22:23]
	v_fmamk_f64 v[24:25], v[22:23], 0xbfe62e42fefa39ef, v[18:19]
	s_delay_alu instid0(VALU_DEP_1) | instskip(SKIP_1) | instid1(VALU_DEP_2)
	v_fmac_f64_e32 v[24:25], 0xbc7abc9e3b39803f, v[22:23]
	v_cvt_i32_f64_e32 v22, v[22:23]
	v_fmamk_f64 v[26:27], v[24:25], 0x3e5ade156a5dcb37, v[12:13]
	s_delay_alu instid0(VALU_DEP_1) | instskip(NEXT) | instid1(VALU_DEP_1)
	v_fmaak_f64 v[26:27], v[24:25], v[26:27], 0x3ec71dee623fde64
	v_fmaak_f64 v[26:27], v[24:25], v[26:27], 0x3efa01997c89e6b0
	s_delay_alu instid0(VALU_DEP_1) | instskip(NEXT) | instid1(VALU_DEP_1)
	v_fmaak_f64 v[26:27], v[24:25], v[26:27], 0x3f2a01a014761f6e
	v_fmaak_f64 v[26:27], v[24:25], v[26:27], 0x3f56c16c1852b7b0
	;; [unrolled: 3-line block ×4, first 2 shown]
	s_delay_alu instid0(VALU_DEP_1) | instskip(NEXT) | instid1(VALU_DEP_1)
	v_fma_f64 v[26:27], v[24:25], v[26:27], 1.0
	v_fma_f64 v[24:25], v[24:25], v[26:27], 1.0
	s_delay_alu instid0(VALU_DEP_1) | instskip(NEXT) | instid1(VALU_DEP_1)
	v_ldexp_f64 v[22:23], v[24:25], v22
	v_cndmask_b32_e32 v23, 0x7ff00000, v23, vcc_lo
	s_and_b32 vcc_lo, s0, vcc_lo
	s_delay_alu instid0(VALU_DEP_2) | instskip(SKIP_1) | instid1(VALU_DEP_3)
	v_cndmask_b32_e32 v18, 0, v22, vcc_lo
	v_cmp_ngt_f64_e64 vcc_lo, |v[4:5]|, s[2:3]
	v_cndmask_b32_e64 v19, 0, v23, s0
	v_add_f64_e64 v[22:23], |v[4:5]|, 4.0
	s_delay_alu instid0(VALU_DEP_2) | instskip(SKIP_1) | instid1(VALU_DEP_3)
	v_fmac_f64_e32 v[18:19], v[18:19], v[20:21]
	v_add_f64_e64 v[20:21], |v[4:5]|, -4.0
	v_rcp_f64_e32 v[24:25], v[22:23]
	v_nop
	s_delay_alu instid0(TRANS32_DEP_1) | instskip(NEXT) | instid1(VALU_DEP_1)
	v_fma_f64 v[26:27], -v[22:23], v[24:25], 1.0
	v_fmac_f64_e32 v[24:25], v[26:27], v[24:25]
	s_delay_alu instid0(VALU_DEP_1) | instskip(NEXT) | instid1(VALU_DEP_1)
	v_fma_f64 v[22:23], -v[22:23], v[24:25], 1.0
	v_fmac_f64_e32 v[24:25], v[22:23], v[24:25]
	s_delay_alu instid0(VALU_DEP_1) | instskip(NEXT) | instid1(VALU_DEP_1)
	v_mul_f64_e32 v[20:21], v[20:21], v[24:25]
	v_add_f64_e32 v[22:23], 1.0, v[20:21]
	s_delay_alu instid0(VALU_DEP_1) | instskip(NEXT) | instid1(VALU_DEP_1)
	v_fma_f64 v[22:23], v[22:23], -4.0, |v[4:5]|
	v_fma_f64 v[22:23], -v[20:21], |v[4:5]|, v[22:23]
	s_delay_alu instid0(VALU_DEP_1) | instskip(NEXT) | instid1(VALU_DEP_1)
	v_fmac_f64_e32 v[20:21], v[24:25], v[22:23]
	v_fmamk_f64 v[22:23], v[20:21], 0xbe41f39d54df3c0e, v[14:15]
	s_delay_alu instid0(VALU_DEP_1) | instskip(NEXT) | instid1(VALU_DEP_1)
	v_fmaak_f64 v[22:23], v[20:21], v[22:23], 0x3e7b45f1d9802b82
	v_fmaak_f64 v[22:23], v[20:21], v[22:23], 0x3e6d90488a03dcdb
	s_delay_alu instid0(VALU_DEP_1) | instskip(NEXT) | instid1(VALU_DEP_1)
	v_fmaak_f64 v[22:23], v[20:21], v[22:23], 0xbeab87b02eba62d8
	v_fmaak_f64 v[22:23], v[20:21], v[22:23], 0x3e95104ba56e15f1
	;; [unrolled: 3-line block ×10, first 2 shown]
	v_add_f64_e64 v[22:23], |v[4:5]|, |v[4:5]|
	s_delay_alu instid0(VALU_DEP_1) | instskip(NEXT) | instid1(VALU_DEP_1)
	v_add_f64_e32 v[24:25], 1.0, v[22:23]
	v_rcp_f64_e32 v[26:27], v[24:25]
	v_nop
	s_delay_alu instid0(TRANS32_DEP_1) | instskip(NEXT) | instid1(VALU_DEP_1)
	v_fma_f64 v[28:29], -v[24:25], v[26:27], 1.0
	v_fmac_f64_e32 v[26:27], v[28:29], v[26:27]
	s_delay_alu instid0(VALU_DEP_1) | instskip(NEXT) | instid1(VALU_DEP_1)
	v_fma_f64 v[24:25], -v[24:25], v[26:27], 1.0
	v_fmac_f64_e32 v[26:27], v[24:25], v[26:27]
	s_delay_alu instid0(VALU_DEP_1) | instskip(NEXT) | instid1(VALU_DEP_1)
	v_fma_f64 v[24:25], v[20:21], v[26:27], v[26:27]
	v_fma_f64 v[22:23], -v[24:25], v[22:23], 1.0
	v_add_f64_e64 v[20:21], v[20:21], -v[24:25]
	s_delay_alu instid0(VALU_DEP_1) | instskip(NEXT) | instid1(VALU_DEP_1)
	v_add_f64_e32 v[20:21], v[22:23], v[20:21]
	v_fmac_f64_e32 v[24:25], v[26:27], v[20:21]
	s_delay_alu instid0(VALU_DEP_1) | instskip(NEXT) | instid1(VALU_DEP_1)
	v_mul_f64_e32 v[18:19], v[18:19], v[24:25]
	v_dual_cndmask_b32 v19, 0, v19 :: v_dual_cndmask_b32 v18, 0, v18
	v_cmp_gt_f64_e32 vcc_lo, 0, v[4:5]
	s_delay_alu instid0(VALU_DEP_2) | instskip(NEXT) | instid1(VALU_DEP_1)
	v_add_f64_e64 v[20:21], -v[18:19], 2.0
	v_dual_cndmask_b32 v5, v19, v21 :: v_dual_cndmask_b32 v4, v18, v20
	s_clause 0x1
	global_store_b128 v[16:17], v[6:9], off offset:-16
	global_store_b128 v[16:17], v[2:5], off
	s_wait_xcnt 0x0
	v_lshlrev_b64_e32 v[2:3], 2, v[0:1]
	v_add_nc_u64_e32 v[16:17], s[6:7], v[16:17]
	s_delay_alu instid0(VALU_DEP_2) | instskip(SKIP_1) | instid1(SALU_CYCLE_1)
	v_cmp_ge_i64_e32 vcc_lo, v[2:3], v[10:11]
	s_or_b32 s1, vcc_lo, s1
	s_and_not1_b32 exec_lo, exec_lo, s1
	s_cbranch_execnz .LBB4_24
.LBB4_25:
	s_endpgm
	.section	.rodata,"a",@progbits
	.p2align	6, 0x0
	.amdhsa_kernel _ZN2at6native12_GLOBAL__N_125multi_tensor_apply_kernelINS1_18TensorListMetadataILi1EEENS1_14UnaryOpFunctorIdLi1ELi1ELi0EEEJNS0_4ErfcIdEEEEEvT_T0_DpT1_
		.amdhsa_group_segment_fixed_size 0
		.amdhsa_private_segment_fixed_size 0
		.amdhsa_kernarg_size 3632
		.amdhsa_user_sgpr_count 2
		.amdhsa_user_sgpr_dispatch_ptr 0
		.amdhsa_user_sgpr_queue_ptr 0
		.amdhsa_user_sgpr_kernarg_segment_ptr 1
		.amdhsa_user_sgpr_dispatch_id 0
		.amdhsa_user_sgpr_kernarg_preload_length 0
		.amdhsa_user_sgpr_kernarg_preload_offset 0
		.amdhsa_user_sgpr_private_segment_size 0
		.amdhsa_wavefront_size32 1
		.amdhsa_uses_dynamic_stack 0
		.amdhsa_enable_private_segment 0
		.amdhsa_system_sgpr_workgroup_id_x 1
		.amdhsa_system_sgpr_workgroup_id_y 0
		.amdhsa_system_sgpr_workgroup_id_z 0
		.amdhsa_system_sgpr_workgroup_info 0
		.amdhsa_system_vgpr_workitem_id 0
		.amdhsa_next_free_vgpr 52
		.amdhsa_next_free_sgpr 25
		.amdhsa_named_barrier_count 0
		.amdhsa_reserve_vcc 1
		.amdhsa_float_round_mode_32 0
		.amdhsa_float_round_mode_16_64 0
		.amdhsa_float_denorm_mode_32 3
		.amdhsa_float_denorm_mode_16_64 3
		.amdhsa_fp16_overflow 0
		.amdhsa_memory_ordered 1
		.amdhsa_forward_progress 1
		.amdhsa_inst_pref_size 59
		.amdhsa_round_robin_scheduling 0
		.amdhsa_exception_fp_ieee_invalid_op 0
		.amdhsa_exception_fp_denorm_src 0
		.amdhsa_exception_fp_ieee_div_zero 0
		.amdhsa_exception_fp_ieee_overflow 0
		.amdhsa_exception_fp_ieee_underflow 0
		.amdhsa_exception_fp_ieee_inexact 0
		.amdhsa_exception_int_div_zero 0
	.end_amdhsa_kernel
	.section	.text._ZN2at6native12_GLOBAL__N_125multi_tensor_apply_kernelINS1_18TensorListMetadataILi1EEENS1_14UnaryOpFunctorIdLi1ELi1ELi0EEEJNS0_4ErfcIdEEEEEvT_T0_DpT1_,"axG",@progbits,_ZN2at6native12_GLOBAL__N_125multi_tensor_apply_kernelINS1_18TensorListMetadataILi1EEENS1_14UnaryOpFunctorIdLi1ELi1ELi0EEEJNS0_4ErfcIdEEEEEvT_T0_DpT1_,comdat
.Lfunc_end4:
	.size	_ZN2at6native12_GLOBAL__N_125multi_tensor_apply_kernelINS1_18TensorListMetadataILi1EEENS1_14UnaryOpFunctorIdLi1ELi1ELi0EEEJNS0_4ErfcIdEEEEEvT_T0_DpT1_, .Lfunc_end4-_ZN2at6native12_GLOBAL__N_125multi_tensor_apply_kernelINS1_18TensorListMetadataILi1EEENS1_14UnaryOpFunctorIdLi1ELi1ELi0EEEJNS0_4ErfcIdEEEEEvT_T0_DpT1_
                                        ; -- End function
	.set _ZN2at6native12_GLOBAL__N_125multi_tensor_apply_kernelINS1_18TensorListMetadataILi1EEENS1_14UnaryOpFunctorIdLi1ELi1ELi0EEEJNS0_4ErfcIdEEEEEvT_T0_DpT1_.num_vgpr, 52
	.set _ZN2at6native12_GLOBAL__N_125multi_tensor_apply_kernelINS1_18TensorListMetadataILi1EEENS1_14UnaryOpFunctorIdLi1ELi1ELi0EEEJNS0_4ErfcIdEEEEEvT_T0_DpT1_.num_agpr, 0
	.set _ZN2at6native12_GLOBAL__N_125multi_tensor_apply_kernelINS1_18TensorListMetadataILi1EEENS1_14UnaryOpFunctorIdLi1ELi1ELi0EEEJNS0_4ErfcIdEEEEEvT_T0_DpT1_.numbered_sgpr, 25
	.set _ZN2at6native12_GLOBAL__N_125multi_tensor_apply_kernelINS1_18TensorListMetadataILi1EEENS1_14UnaryOpFunctorIdLi1ELi1ELi0EEEJNS0_4ErfcIdEEEEEvT_T0_DpT1_.num_named_barrier, 0
	.set _ZN2at6native12_GLOBAL__N_125multi_tensor_apply_kernelINS1_18TensorListMetadataILi1EEENS1_14UnaryOpFunctorIdLi1ELi1ELi0EEEJNS0_4ErfcIdEEEEEvT_T0_DpT1_.private_seg_size, 0
	.set _ZN2at6native12_GLOBAL__N_125multi_tensor_apply_kernelINS1_18TensorListMetadataILi1EEENS1_14UnaryOpFunctorIdLi1ELi1ELi0EEEJNS0_4ErfcIdEEEEEvT_T0_DpT1_.uses_vcc, 1
	.set _ZN2at6native12_GLOBAL__N_125multi_tensor_apply_kernelINS1_18TensorListMetadataILi1EEENS1_14UnaryOpFunctorIdLi1ELi1ELi0EEEJNS0_4ErfcIdEEEEEvT_T0_DpT1_.uses_flat_scratch, 0
	.set _ZN2at6native12_GLOBAL__N_125multi_tensor_apply_kernelINS1_18TensorListMetadataILi1EEENS1_14UnaryOpFunctorIdLi1ELi1ELi0EEEJNS0_4ErfcIdEEEEEvT_T0_DpT1_.has_dyn_sized_stack, 0
	.set _ZN2at6native12_GLOBAL__N_125multi_tensor_apply_kernelINS1_18TensorListMetadataILi1EEENS1_14UnaryOpFunctorIdLi1ELi1ELi0EEEJNS0_4ErfcIdEEEEEvT_T0_DpT1_.has_recursion, 0
	.set _ZN2at6native12_GLOBAL__N_125multi_tensor_apply_kernelINS1_18TensorListMetadataILi1EEENS1_14UnaryOpFunctorIdLi1ELi1ELi0EEEJNS0_4ErfcIdEEEEEvT_T0_DpT1_.has_indirect_call, 0
	.section	.AMDGPU.csdata,"",@progbits
; Kernel info:
; codeLenInByte = 7500
; TotalNumSgprs: 27
; NumVgprs: 52
; ScratchSize: 0
; MemoryBound: 0
; FloatMode: 240
; IeeeMode: 1
; LDSByteSize: 0 bytes/workgroup (compile time only)
; SGPRBlocks: 0
; VGPRBlocks: 3
; NumSGPRsForWavesPerEU: 27
; NumVGPRsForWavesPerEU: 52
; NamedBarCnt: 0
; Occupancy: 16
; WaveLimiterHint : 0
; COMPUTE_PGM_RSRC2:SCRATCH_EN: 0
; COMPUTE_PGM_RSRC2:USER_SGPR: 2
; COMPUTE_PGM_RSRC2:TRAP_HANDLER: 0
; COMPUTE_PGM_RSRC2:TGID_X_EN: 1
; COMPUTE_PGM_RSRC2:TGID_Y_EN: 0
; COMPUTE_PGM_RSRC2:TGID_Z_EN: 0
; COMPUTE_PGM_RSRC2:TIDIG_COMP_CNT: 0
	.section	.text._ZN2at6native12_GLOBAL__N_125multi_tensor_apply_kernelINS1_18TensorListMetadataILi1EEENS1_14UnaryOpFunctorIfLi1ELi1ELi0EEEJNS0_4ErfcIfEEEEEvT_T0_DpT1_,"axG",@progbits,_ZN2at6native12_GLOBAL__N_125multi_tensor_apply_kernelINS1_18TensorListMetadataILi1EEENS1_14UnaryOpFunctorIfLi1ELi1ELi0EEEJNS0_4ErfcIfEEEEEvT_T0_DpT1_,comdat
	.globl	_ZN2at6native12_GLOBAL__N_125multi_tensor_apply_kernelINS1_18TensorListMetadataILi1EEENS1_14UnaryOpFunctorIfLi1ELi1ELi0EEEJNS0_4ErfcIfEEEEEvT_T0_DpT1_ ; -- Begin function _ZN2at6native12_GLOBAL__N_125multi_tensor_apply_kernelINS1_18TensorListMetadataILi1EEENS1_14UnaryOpFunctorIfLi1ELi1ELi0EEEJNS0_4ErfcIfEEEEEvT_T0_DpT1_
	.p2align	8
	.type	_ZN2at6native12_GLOBAL__N_125multi_tensor_apply_kernelINS1_18TensorListMetadataILi1EEENS1_14UnaryOpFunctorIfLi1ELi1ELi0EEEJNS0_4ErfcIfEEEEEvT_T0_DpT1_,@function
_ZN2at6native12_GLOBAL__N_125multi_tensor_apply_kernelINS1_18TensorListMetadataILi1EEENS1_14UnaryOpFunctorIfLi1ELi1ELi0EEEJNS0_4ErfcIfEEEEEvT_T0_DpT1_: ; @_ZN2at6native12_GLOBAL__N_125multi_tensor_apply_kernelINS1_18TensorListMetadataILi1EEENS1_14UnaryOpFunctorIfLi1ELi1ELi0EEEJNS0_4ErfcIfEEEEEvT_T0_DpT1_
; %bb.0:
	s_bfe_u32 s2, ttmp6, 0x4000c
	s_and_b32 s3, ttmp6, 15
	s_add_co_i32 s2, s2, 1
	s_getreg_b32 s4, hwreg(HW_REG_IB_STS2, 6, 4)
	s_mul_i32 s2, ttmp9, s2
	s_delay_alu instid0(SALU_CYCLE_1)
	s_add_co_i32 s3, s3, s2
	s_cmp_eq_u32 s4, 0
	s_cselect_b32 s2, ttmp9, s3
	s_mov_b32 s3, 0
	s_load_u8 s8, s[0:1], s2 offset:0x6e0
	s_add_nc_u64 s[4:5], s[0:1], s[2:3]
	s_mul_u64 s[6:7], s[2:3], 3
	s_delay_alu instid0(SALU_CYCLE_1)
	s_add_nc_u64 s[4:5], s[4:5], s[6:7]
	s_load_b32 s10, s[4:5], 0x820
	s_wait_kmcnt 0x0
	s_clause 0x1
	s_load_b64 s[6:7], s[0:1], s8 offset:0x0 scale_offset
	s_load_b64 s[12:13], s[0:1], s8 offset:0x370 scale_offset
	s_ashr_i32 s11, s10, 31
	s_wait_kmcnt 0x0
	s_and_b64 s[4:5], s[6:7], 15
	s_and_b32 s2, s12, 3
	s_lshl_b64 s[8:9], s[10:11], 18
	s_or_b64 s[2:3], s[4:5], s[2:3]
	s_lshl_b64 s[4:5], s[10:11], 16
	s_cmp_eq_u64 s[2:3], 0
	s_sub_nc_u64 s[10:11], s[12:13], s[4:5]
	s_cbranch_scc1 .LBB5_21
; %bb.1:
	v_cmp_lt_i64_e64 s2, s[10:11], 1
	s_and_b32 vcc_lo, exec_lo, s2
	s_cbranch_vccnz .LBB5_20
; %bb.2:
	s_load_b32 s4, s[0:1], 0xd3c
	v_min_i64 v[2:3], 0x10000, s[10:11]
	v_min_u64 v[4:5], 0x10000, s[10:11]
	v_dual_mov_b32 v1, 0 :: v_dual_lshlrev_b32 v8, 2, v0
	s_mov_b32 s19, 0
	s_add_nc_u64 s[2:3], s[6:7], s[8:9]
	s_mov_b32 s5, s19
	s_delay_alu instid0(VALU_DEP_1)
	v_mov_b32_e32 v15, v1
	s_mov_b32 s17, s19
	s_mov_b32 s13, s19
	;; [unrolled: 1-line block ×3, first 2 shown]
	s_mov_b64 s[20:21], 0
	s_wait_kmcnt 0x0
	s_and_b32 s18, s4, 0xffff
	s_delay_alu instid0(SALU_CYCLE_1)
	v_add_nc_u64_e32 v[6:7], s[18:19], v[0:1]
	v_mov_b32_e32 v9, v1
	s_lshl_b32 s4, s18, 1
	s_mul_i32 s16, s18, 3
	v_add_nc_u64_e32 v[12:13], s[4:5], v[0:1]
	v_add_nc_u64_e32 v[10:11], s[16:17], v[0:1]
	s_lshl_b32 s12, s18, 2
	v_lshlrev_b32_e32 v14, 2, v6
	v_add_nc_u64_e32 v[8:9], s[2:3], v[8:9]
	s_lshl_b32 s14, s18, 4
	s_mul_u64 s[16:17], s[18:19], 12
	s_lshl_b32 s18, s18, 3
	v_add_nc_u64_e32 v[14:15], s[2:3], v[14:15]
	s_mov_b32 s5, 0xb9d6f8c4
	s_branch .LBB5_4
.LBB5_3:                                ;   in Loop: Header=BB5_4 Depth=1
	s_wait_xcnt 0x0
	s_or_b32 exec_lo, exec_lo, s2
	s_add_nc_u64 s[20:21], s[20:21], s[12:13]
	v_add_nc_u64_e32 v[8:9], s[14:15], v[8:9]
	v_cmp_lt_i64_e32 vcc_lo, s[20:21], v[2:3]
	v_add_nc_u64_e32 v[14:15], s[14:15], v[14:15]
	s_cbranch_vccz .LBB5_20
.LBB5_4:                                ; =>This Inner Loop Header: Depth=1
	v_add_nc_u64_e32 v[16:17], s[20:21], v[0:1]
	s_wait_loadcnt 0x0
	v_mov_b32_e32 v23, 0
	s_delay_alu instid0(VALU_DEP_2)
	v_cmp_lt_u64_e64 s4, v[16:17], v[4:5]
	s_and_saveexec_b32 s2, s4
	s_cbranch_execz .LBB5_6
; %bb.5:                                ;   in Loop: Header=BB5_4 Depth=1
	global_load_b32 v23, v[8:9], off
.LBB5_6:                                ;   in Loop: Header=BB5_4 Depth=1
	s_wait_xcnt 0x0
	s_or_b32 exec_lo, exec_lo, s2
	v_add_nc_u64_e32 v[16:17], s[20:21], v[6:7]
	v_dual_mov_b32 v21, 0 :: v_dual_mov_b32 v22, 0
	s_delay_alu instid0(VALU_DEP_2)
	v_cmp_lt_u64_e64 s3, v[16:17], v[4:5]
	s_and_saveexec_b32 s2, s3
	s_cbranch_execz .LBB5_8
; %bb.7:                                ;   in Loop: Header=BB5_4 Depth=1
	global_load_b32 v22, v[14:15], off
.LBB5_8:                                ;   in Loop: Header=BB5_4 Depth=1
	s_wait_xcnt 0x0
	s_or_b32 exec_lo, exec_lo, s2
	v_add_nc_u64_e32 v[16:17], s[20:21], v[12:13]
	v_add_nc_u64_e32 v[18:19], s[18:19], v[8:9]
	s_delay_alu instid0(VALU_DEP_2)
	v_cmp_lt_u64_e64 s2, v[16:17], v[4:5]
	s_and_saveexec_b32 s22, s2
	s_cbranch_execz .LBB5_10
; %bb.9:                                ;   in Loop: Header=BB5_4 Depth=1
	global_load_b32 v21, v[18:19], off
.LBB5_10:                               ;   in Loop: Header=BB5_4 Depth=1
	s_wait_xcnt 0x0
	s_or_b32 exec_lo, exec_lo, s22
	v_add_nc_u64_e32 v[16:17], s[20:21], v[10:11]
	v_mov_b32_e32 v20, 0
	s_delay_alu instid0(VALU_DEP_2)
	v_cmp_lt_u64_e32 vcc_lo, v[16:17], v[4:5]
	v_add_nc_u64_e32 v[16:17], s[16:17], v[8:9]
	s_and_saveexec_b32 s22, vcc_lo
	s_cbranch_execnz .LBB5_15
; %bb.11:                               ;   in Loop: Header=BB5_4 Depth=1
	s_or_b32 exec_lo, exec_lo, s22
	s_and_saveexec_b32 s22, s4
	s_cbranch_execnz .LBB5_16
.LBB5_12:                               ;   in Loop: Header=BB5_4 Depth=1
	s_or_b32 exec_lo, exec_lo, s22
	s_and_saveexec_b32 s4, s3
	s_cbranch_execnz .LBB5_17
.LBB5_13:                               ;   in Loop: Header=BB5_4 Depth=1
	s_or_b32 exec_lo, exec_lo, s4
	s_and_saveexec_b32 s3, s2
	s_cbranch_execnz .LBB5_18
.LBB5_14:                               ;   in Loop: Header=BB5_4 Depth=1
	s_or_b32 exec_lo, exec_lo, s3
	s_and_saveexec_b32 s2, vcc_lo
	s_cbranch_execz .LBB5_3
	s_branch .LBB5_19
.LBB5_15:                               ;   in Loop: Header=BB5_4 Depth=1
	global_load_b32 v20, v[16:17], off
	s_wait_xcnt 0x0
	s_or_b32 exec_lo, exec_lo, s22
	s_and_saveexec_b32 s22, s4
	s_cbranch_execz .LBB5_12
.LBB5_16:                               ;   in Loop: Header=BB5_4 Depth=1
	s_wait_loadcnt 0x0
	v_add_f32_e64 v24, |v23|, 2.0
	v_add_f32_e64 v25, |v23|, -2.0
	v_add_f32_e64 v30, |v23|, |v23|
	v_mul_f32_e64 v28, v23, -v23
	s_delay_alu instid0(VALU_DEP_4) | instskip(NEXT) | instid1(VALU_DEP_1)
	v_rcp_f32_e32 v24, v24
	v_cmp_ngt_f32_e64 s4, 0xc2ce8ed0, v28
	s_delay_alu instid0(TRANS32_DEP_1) | instskip(NEXT) | instid1(VALU_DEP_1)
	v_mul_f32_e32 v26, v25, v24
	v_add_f32_e32 v25, 1.0, v26
	s_delay_alu instid0(VALU_DEP_1) | instskip(NEXT) | instid1(VALU_DEP_1)
	v_fma_f32 v25, v25, -2.0, |v23|
	v_fma_f32 v25, -v26, |v23|, v25
	s_delay_alu instid0(VALU_DEP_1) | instskip(NEXT) | instid1(VALU_DEP_1)
	v_dual_fmac_f32 v26, v24, v25 :: v_dual_mul_f32 v25, 0x3fb8aa3b, v28
	v_fmaak_f32 v24, s5, v26, 0xbaa2d753
	s_delay_alu instid0(VALU_DEP_2) | instskip(SKIP_1) | instid1(VALU_DEP_2)
	v_rndne_f32_e32 v27, v25
	v_fma_f32 v29, 0x3fb8aa3b, v28, -v25
	v_dual_fmaak_f32 v24, v26, v24, 0x3aad2fb4 :: v_dual_sub_f32 v25, v25, v27
	s_delay_alu instid0(VALU_DEP_2) | instskip(SKIP_1) | instid1(VALU_DEP_2)
	v_fmac_f32_e32 v29, 0x32a5705f, v28
	v_cvt_i32_f32_e32 v27, v27
	v_dual_fmaak_f32 v24, v26, v24, 0x3c0da267 :: v_dual_add_f32 v25, v25, v29
	s_delay_alu instid0(VALU_DEP_1) | instskip(NEXT) | instid1(VALU_DEP_2)
	v_dual_add_f32 v29, 1.0, v30 :: v_dual_fmaak_f32 v24, v26, v24, 0xbc0415b1
	v_exp_f32_e32 v31, v25
	s_delay_alu instid0(VALU_DEP_1) | instskip(NEXT) | instid1(VALU_DEP_1)
	v_rcp_f32_e32 v25, v29
	v_fmaak_f32 v24, v26, v24, 0xbd5e0a18
	s_delay_alu instid0(VALU_DEP_1) | instskip(NEXT) | instid1(VALU_DEP_1)
	v_fmaak_f32 v24, v26, v24, 0x3e27fe2a
	v_fmaak_f32 v24, v26, v24, 0xbe2a03fd
	s_delay_alu instid0(VALU_DEP_1) | instskip(NEXT) | instid1(VALU_DEP_1)
	v_fmaak_f32 v24, v26, v24, 0xbdbdfb0b
	v_fmaak_f32 v24, v26, v24, 0x3e8dd01c
	v_ldexp_f32 v26, v31, v27
	s_delay_alu instid0(VALU_DEP_1) | instskip(SKIP_1) | instid1(VALU_DEP_2)
	v_dual_fma_f32 v27, v24, v25, v25 :: v_dual_cndmask_b32 v26, 0, v26, s4
	v_cmp_nlt_f32_e64 s4, 0x42b17218, v28
	v_fma_f32 v29, -v27, v30, 1.0
	v_sub_f32_e32 v30, v24, v27
	s_delay_alu instid0(VALU_DEP_3) | instskip(SKIP_2) | instid1(VALU_DEP_3)
	v_cndmask_b32_e64 v24, 0x7f800000, v26, s4
	v_fma_f32 v28, -v23, v23, -v28
	v_cmp_nlt_f32_e64 s4, 0x4120ddfc, |v23|
	v_dual_add_f32 v29, v29, v30 :: v_dual_mov_b32 v26, v24
	s_delay_alu instid0(VALU_DEP_1) | instskip(NEXT) | instid1(VALU_DEP_1)
	v_pk_fma_f32 v[24:25], v[24:25], v[28:29], v[26:27]
	v_mul_f32_e32 v24, v24, v25
	s_delay_alu instid0(VALU_DEP_1) | instskip(SKIP_1) | instid1(VALU_DEP_2)
	v_cndmask_b32_e64 v24, 0, v24, s4
	v_cmp_gt_f32_e64 s4, 0, v23
	v_sub_f32_e32 v25, 2.0, v24
	s_delay_alu instid0(VALU_DEP_1)
	v_cndmask_b32_e64 v23, v24, v25, s4
	global_store_b32 v[8:9], v23, off
	s_wait_xcnt 0x0
	s_or_b32 exec_lo, exec_lo, s22
	s_and_saveexec_b32 s4, s3
	s_cbranch_execz .LBB5_13
.LBB5_17:                               ;   in Loop: Header=BB5_4 Depth=1
	s_wait_loadcnt 0x0
	v_add_f32_e64 v23, |v22|, 2.0
	v_add_f32_e64 v24, |v22|, -2.0
	v_add_f32_e64 v29, |v22|, |v22|
	s_delay_alu instid0(VALU_DEP_3) | instskip(SKIP_1) | instid1(TRANS32_DEP_1)
	v_rcp_f32_e32 v23, v23
	v_nop
	v_mul_f32_e32 v24, v24, v23
	s_delay_alu instid0(VALU_DEP_1) | instskip(NEXT) | instid1(VALU_DEP_1)
	v_add_f32_e32 v25, 1.0, v24
	v_fma_f32 v25, v25, -2.0, |v22|
	s_delay_alu instid0(VALU_DEP_1) | instskip(NEXT) | instid1(VALU_DEP_1)
	v_fma_f32 v25, -v24, |v22|, v25
	v_dual_fmac_f32 v24, v23, v25 :: v_dual_mul_f32 v25, v22, -v22
	s_delay_alu instid0(VALU_DEP_1) | instskip(SKIP_1) | instid1(VALU_DEP_2)
	v_mul_f32_e32 v26, 0x3fb8aa3b, v25
	v_cmp_ngt_f32_e64 s3, 0xc2ce8ed0, v25
	v_rndne_f32_e32 v27, v26
	v_fma_f32 v28, 0x3fb8aa3b, v25, -v26
	s_delay_alu instid0(VALU_DEP_2) | instskip(NEXT) | instid1(VALU_DEP_2)
	v_sub_f32_e32 v26, v26, v27
	v_fmac_f32_e32 v28, 0x32a5705f, v25
	v_cvt_i32_f32_e32 v27, v27
	s_delay_alu instid0(VALU_DEP_2) | instskip(SKIP_1) | instid1(VALU_DEP_2)
	v_add_f32_e32 v26, v26, v28
	v_dual_fmaak_f32 v23, s5, v24, 0xbaa2d753 :: v_dual_add_f32 v28, 1.0, v29
	v_exp_f32_e32 v26, v26
	s_delay_alu instid0(VALU_DEP_1) | instskip(NEXT) | instid1(VALU_DEP_2)
	v_fmaak_f32 v23, v24, v23, 0x3aad2fb4
	v_rcp_f32_e32 v28, v28
	s_delay_alu instid0(VALU_DEP_1) | instskip(NEXT) | instid1(VALU_DEP_1)
	v_fmaak_f32 v23, v24, v23, 0x3c0da267
	v_fmaak_f32 v23, v24, v23, 0xbc0415b1
	s_delay_alu instid0(VALU_DEP_1) | instskip(NEXT) | instid1(VALU_DEP_1)
	v_fmaak_f32 v23, v24, v23, 0xbd5e0a18
	v_fmaak_f32 v23, v24, v23, 0x3e27fe2a
	;; [unrolled: 3-line block ×3, first 2 shown]
	s_delay_alu instid0(VALU_DEP_1) | instskip(SKIP_1) | instid1(VALU_DEP_2)
	v_fmaak_f32 v23, v24, v23, 0x3e8dd01c
	v_ldexp_f32 v24, v26, v27
	v_fma_f32 v26, v23, v28, v28
	s_delay_alu instid0(VALU_DEP_1) | instskip(SKIP_2) | instid1(VALU_DEP_1)
	v_fma_f32 v27, -v26, v29, 1.0
	v_fma_f32 v29, -v22, v22, -v25
	v_sub_f32_e32 v23, v23, v26
	v_dual_add_f32 v23, v27, v23 :: v_dual_cndmask_b32 v24, 0, v24, s3
	v_cmp_nlt_f32_e64 s3, 0x42b17218, v25
	s_delay_alu instid0(VALU_DEP_2) | instskip(NEXT) | instid1(VALU_DEP_2)
	v_fmac_f32_e32 v26, v28, v23
	v_cndmask_b32_e64 v24, 0x7f800000, v24, s3
	v_cmp_nlt_f32_e64 s3, 0x4120ddfc, |v22|
	s_delay_alu instid0(VALU_DEP_2) | instskip(NEXT) | instid1(VALU_DEP_1)
	v_fmac_f32_e32 v24, v24, v29
	v_mul_f32_e32 v23, v24, v26
	s_delay_alu instid0(VALU_DEP_1) | instskip(SKIP_1) | instid1(VALU_DEP_2)
	v_cndmask_b32_e64 v23, 0, v23, s3
	v_cmp_gt_f32_e64 s3, 0, v22
	v_sub_f32_e32 v24, 2.0, v23
	s_delay_alu instid0(VALU_DEP_1)
	v_cndmask_b32_e64 v22, v23, v24, s3
	global_store_b32 v[14:15], v22, off
	s_wait_xcnt 0x0
	s_or_b32 exec_lo, exec_lo, s4
	s_and_saveexec_b32 s3, s2
	s_cbranch_execz .LBB5_14
.LBB5_18:                               ;   in Loop: Header=BB5_4 Depth=1
	s_wait_loadcnt 0x0
	v_add_f32_e64 v22, |v21|, 2.0
	v_add_f32_e64 v23, |v21|, -2.0
	v_add_f32_e64 v28, |v21|, |v21|
	s_delay_alu instid0(VALU_DEP_3) | instskip(SKIP_1) | instid1(TRANS32_DEP_1)
	v_rcp_f32_e32 v22, v22
	v_nop
	v_mul_f32_e32 v23, v23, v22
	s_delay_alu instid0(VALU_DEP_1) | instskip(NEXT) | instid1(VALU_DEP_1)
	v_add_f32_e32 v24, 1.0, v23
	v_fma_f32 v24, v24, -2.0, |v21|
	s_delay_alu instid0(VALU_DEP_1) | instskip(NEXT) | instid1(VALU_DEP_1)
	v_fma_f32 v24, -v23, |v21|, v24
	v_dual_fmac_f32 v23, v22, v24 :: v_dual_mul_f32 v24, v21, -v21
	s_delay_alu instid0(VALU_DEP_1) | instskip(SKIP_1) | instid1(VALU_DEP_2)
	v_mul_f32_e32 v25, 0x3fb8aa3b, v24
	v_cmp_ngt_f32_e64 s2, 0xc2ce8ed0, v24
	v_rndne_f32_e32 v26, v25
	v_fma_f32 v27, 0x3fb8aa3b, v24, -v25
	s_delay_alu instid0(VALU_DEP_2) | instskip(NEXT) | instid1(VALU_DEP_2)
	v_sub_f32_e32 v25, v25, v26
	v_fmac_f32_e32 v27, 0x32a5705f, v24
	v_cvt_i32_f32_e32 v26, v26
	s_delay_alu instid0(VALU_DEP_2) | instskip(SKIP_1) | instid1(VALU_DEP_2)
	v_add_f32_e32 v25, v25, v27
	v_dual_fmaak_f32 v22, s5, v23, 0xbaa2d753 :: v_dual_add_f32 v27, 1.0, v28
	v_exp_f32_e32 v25, v25
	s_delay_alu instid0(VALU_DEP_1) | instskip(NEXT) | instid1(VALU_DEP_2)
	v_fmaak_f32 v22, v23, v22, 0x3aad2fb4
	v_rcp_f32_e32 v27, v27
	s_delay_alu instid0(VALU_DEP_1) | instskip(NEXT) | instid1(VALU_DEP_1)
	v_fmaak_f32 v22, v23, v22, 0x3c0da267
	v_fmaak_f32 v22, v23, v22, 0xbc0415b1
	s_delay_alu instid0(VALU_DEP_1) | instskip(NEXT) | instid1(VALU_DEP_1)
	v_fmaak_f32 v22, v23, v22, 0xbd5e0a18
	v_fmaak_f32 v22, v23, v22, 0x3e27fe2a
	s_delay_alu instid0(VALU_DEP_1) | instskip(NEXT) | instid1(VALU_DEP_1)
	v_fmaak_f32 v22, v23, v22, 0xbe2a03fd
	v_fmaak_f32 v22, v23, v22, 0xbdbdfb0b
	s_delay_alu instid0(VALU_DEP_1) | instskip(SKIP_1) | instid1(VALU_DEP_2)
	v_fmaak_f32 v22, v23, v22, 0x3e8dd01c
	v_ldexp_f32 v23, v25, v26
	v_fma_f32 v25, v22, v27, v27
	s_delay_alu instid0(VALU_DEP_1) | instskip(SKIP_2) | instid1(VALU_DEP_1)
	v_fma_f32 v26, -v25, v28, 1.0
	v_fma_f32 v28, -v21, v21, -v24
	v_sub_f32_e32 v22, v22, v25
	v_dual_add_f32 v22, v26, v22 :: v_dual_cndmask_b32 v23, 0, v23, s2
	v_cmp_nlt_f32_e64 s2, 0x42b17218, v24
	s_delay_alu instid0(VALU_DEP_2) | instskip(NEXT) | instid1(VALU_DEP_2)
	v_fmac_f32_e32 v25, v27, v22
	v_cndmask_b32_e64 v23, 0x7f800000, v23, s2
	v_cmp_nlt_f32_e64 s2, 0x4120ddfc, |v21|
	s_delay_alu instid0(VALU_DEP_2) | instskip(NEXT) | instid1(VALU_DEP_1)
	v_fmac_f32_e32 v23, v23, v28
	v_mul_f32_e32 v22, v23, v25
	s_delay_alu instid0(VALU_DEP_1) | instskip(SKIP_1) | instid1(VALU_DEP_2)
	v_cndmask_b32_e64 v22, 0, v22, s2
	v_cmp_gt_f32_e64 s2, 0, v21
	v_sub_f32_e32 v23, 2.0, v22
	s_delay_alu instid0(VALU_DEP_1)
	v_cndmask_b32_e64 v21, v22, v23, s2
	global_store_b32 v[18:19], v21, off
	s_wait_xcnt 0x0
	s_or_b32 exec_lo, exec_lo, s3
	s_and_saveexec_b32 s2, vcc_lo
	s_cbranch_execz .LBB5_3
.LBB5_19:                               ;   in Loop: Header=BB5_4 Depth=1
	s_wait_loadcnt 0x0
	v_add_f32_e64 v18, |v20|, 2.0
	v_add_f32_e64 v19, |v20|, -2.0
	v_add_f32_e64 v25, |v20|, |v20|
	s_delay_alu instid0(VALU_DEP_3) | instskip(SKIP_1) | instid1(TRANS32_DEP_1)
	v_rcp_f32_e32 v18, v18
	v_nop
	v_mul_f32_e32 v19, v19, v18
	s_delay_alu instid0(VALU_DEP_1) | instskip(NEXT) | instid1(VALU_DEP_1)
	v_add_f32_e32 v21, 1.0, v19
	v_fma_f32 v21, v21, -2.0, |v20|
	s_delay_alu instid0(VALU_DEP_1) | instskip(NEXT) | instid1(VALU_DEP_1)
	v_fma_f32 v21, -v19, |v20|, v21
	v_dual_fmac_f32 v19, v18, v21 :: v_dual_mul_f32 v21, v20, -v20
	s_delay_alu instid0(VALU_DEP_1) | instskip(NEXT) | instid1(VALU_DEP_2)
	v_mul_f32_e32 v22, 0x3fb8aa3b, v21
	v_fmaak_f32 v18, s5, v19, 0xbaa2d753
	v_cmp_ngt_f32_e32 vcc_lo, 0xc2ce8ed0, v21
	s_delay_alu instid0(VALU_DEP_3) | instskip(NEXT) | instid1(VALU_DEP_3)
	v_rndne_f32_e32 v23, v22
	v_fmaak_f32 v18, v19, v18, 0x3aad2fb4
	v_fma_f32 v24, 0x3fb8aa3b, v21, -v22
	s_delay_alu instid0(VALU_DEP_3) | instskip(NEXT) | instid1(VALU_DEP_3)
	v_sub_f32_e32 v22, v22, v23
	v_fmaak_f32 v18, v19, v18, 0x3c0da267
	s_delay_alu instid0(VALU_DEP_3) | instskip(SKIP_1) | instid1(VALU_DEP_3)
	v_fmac_f32_e32 v24, 0x32a5705f, v21
	v_cvt_i32_f32_e32 v23, v23
	v_fmaak_f32 v18, v19, v18, 0xbc0415b1
	s_delay_alu instid0(VALU_DEP_3) | instskip(NEXT) | instid1(VALU_DEP_2)
	v_dual_add_f32 v22, v22, v24 :: v_dual_add_f32 v24, 1.0, v25
	v_fmaak_f32 v18, v19, v18, 0xbd5e0a18
	s_delay_alu instid0(VALU_DEP_2) | instskip(NEXT) | instid1(VALU_DEP_2)
	v_exp_f32_e32 v22, v22
	v_rcp_f32_e32 v24, v24
	s_delay_alu instid0(VALU_DEP_1) | instskip(NEXT) | instid1(VALU_DEP_1)
	v_fmaak_f32 v18, v19, v18, 0x3e27fe2a
	v_fmaak_f32 v18, v19, v18, 0xbe2a03fd
	s_delay_alu instid0(VALU_DEP_1) | instskip(NEXT) | instid1(VALU_DEP_1)
	v_fmaak_f32 v18, v19, v18, 0xbdbdfb0b
	v_fmaak_f32 v18, v19, v18, 0x3e8dd01c
	s_delay_alu instid0(TRANS32_DEP_2)
	v_ldexp_f32 v19, v22, v23
	s_delay_alu instid0(TRANS32_DEP_1) | instid1(VALU_DEP_1)
	v_dual_fma_f32 v22, v18, v24, v24 :: v_dual_cndmask_b32 v19, 0, v19, vcc_lo
	v_cmp_nlt_f32_e32 vcc_lo, 0x42b17218, v21
	s_delay_alu instid0(VALU_DEP_2) | instskip(SKIP_1) | instid1(VALU_DEP_4)
	v_fma_f32 v23, -v22, v25, 1.0
	v_dual_sub_f32 v18, v18, v22 :: v_dual_fma_f32 v25, -v20, v20, -v21
	v_cndmask_b32_e32 v19, 0x7f800000, v19, vcc_lo
	v_cmp_nlt_f32_e64 vcc_lo, 0x4120ddfc, |v20|
	s_delay_alu instid0(VALU_DEP_3) | instskip(NEXT) | instid1(VALU_DEP_1)
	v_add_f32_e32 v18, v23, v18
	v_dual_fmac_f32 v19, v19, v25 :: v_dual_fmac_f32 v22, v24, v18
	s_delay_alu instid0(VALU_DEP_1) | instskip(NEXT) | instid1(VALU_DEP_1)
	v_mul_f32_e32 v18, v19, v22
	v_cndmask_b32_e32 v18, 0, v18, vcc_lo
	v_cmp_gt_f32_e32 vcc_lo, 0, v20
	s_delay_alu instid0(VALU_DEP_2) | instskip(NEXT) | instid1(VALU_DEP_1)
	v_sub_f32_e32 v19, 2.0, v18
	v_cndmask_b32_e32 v18, v18, v19, vcc_lo
	global_store_b32 v[16:17], v18, off
	s_branch .LBB5_3
.LBB5_20:
	s_cbranch_execz .LBB5_22
	s_branch .LBB5_25
.LBB5_21:
.LBB5_22:
	v_min_i64 v[6:7], 0x10000, s[10:11]
	v_dual_mov_b32 v3, 0 :: v_dual_lshlrev_b32 v2, 2, v0
	s_mov_b32 s2, exec_lo
	s_delay_alu instid0(VALU_DEP_1)
	v_cmpx_lt_i64_e64 v[2:3], v[6:7]
	s_cbranch_execz .LBB5_25
; %bb.23:
	s_load_b32 s0, s[0:1], 0xd3c
	v_dual_mov_b32 v1, v3 :: v_dual_lshlrev_b32 v2, 4, v0
	s_add_nc_u64 s[8:9], s[6:7], s[8:9]
	s_wait_xcnt 0x0
	s_mov_b32 s1, 0
	s_mov_b32 s2, 0xbaa2d753
	;; [unrolled: 1-line block ×3, first 2 shown]
	v_add_nc_u64_e32 v[2:3], s[8:9], v[2:3]
	s_mov_b32 s6, 0x3aad2fb4
	s_mov_b32 s8, 0x3c0da267
	;; [unrolled: 1-line block ×6, first 2 shown]
	v_add_nc_u64_e32 v[8:9], 8, v[2:3]
	s_mov_b32 s18, 0xbdbdfb0b
	s_mov_b32 s20, 0x3e8dd01c
	;; [unrolled: 1-line block ×4, first 2 shown]
	s_wait_kmcnt 0x0
	s_and_b32 s0, s0, 0xffff
	s_delay_alu instid0(SALU_CYCLE_1)
	s_lshl_b32 s22, s0, 4
.LBB5_24:                               ; =>This Inner Loop Header: Depth=1
	global_load_b128 v[2:5], v[8:9], off offset:-8
	v_add_nc_u64_e32 v[0:1], s[0:1], v[0:1]
	s_wait_loadcnt 0x0
	v_add_f32_e64 v18, |v2|, 2.0
	v_add_f32_e64 v19, |v3|, 2.0
	v_and_b32_e32 v12, 0x7fffffff, v2
	v_and_b32_e32 v13, 0x7fffffff, v3
	v_add_f32_e64 v26, |v4|, 2.0
	v_rcp_f32_e32 v18, v18
	v_rcp_f32_e32 v19, v19
	v_add_f32_e64 v27, |v5|, 2.0
	v_pk_add_f32 v[20:21], v[12:13], -2.0 op_sel_hi:[1,0]
	v_and_b32_e32 v16, 0x7fffffff, v4
	v_and_b32_e32 v17, 0x7fffffff, v5
	v_rcp_f32_e32 v26, v26
	v_rcp_f32_e32 v27, v27
	v_pk_mul_f32 v[20:21], v[20:21], v[18:19]
	v_pk_add_f32 v[22:23], v[12:13], v[12:13]
	v_pk_add_f32 v[28:29], v[16:17], -2.0 op_sel_hi:[1,0]
	v_pk_mul_f32 v[10:11], v[2:3], v[2:3] neg_lo:[0,1] neg_hi:[0,1]
	v_pk_mul_f32 v[14:15], v[4:5], v[4:5] neg_lo:[0,1] neg_hi:[0,1]
	v_pk_add_f32 v[34:35], v[20:21], 1.0 op_sel_hi:[1,0]
	v_pk_add_f32 v[30:31], v[16:17], v[16:17]
	v_pk_mul_f32 v[28:29], v[28:29], v[26:27]
	v_dual_mul_f32 v38, 0x3fb8aa3b, v10 :: v_dual_mul_f32 v39, 0x3fb8aa3b, v11
	s_delay_alu instid0(VALU_DEP_4) | instskip(SKIP_1) | instid1(VALU_DEP_4)
	v_pk_fma_f32 v[34:35], v[34:35], -2.0, v[12:13] op_sel_hi:[1,0,1]
	v_dual_mul_f32 v40, 0x3fb8aa3b, v14 :: v_dual_mul_f32 v41, 0x3fb8aa3b, v15
	v_pk_add_f32 v[36:37], v[28:29], 1.0 op_sel_hi:[1,0]
	s_delay_alu instid0(VALU_DEP_4) | instskip(NEXT) | instid1(VALU_DEP_4)
	v_rndne_f32_e32 v42, v38
	v_pk_fma_f32 v[12:13], v[20:21], v[12:13], v[34:35] neg_lo:[1,0,0] neg_hi:[1,0,0]
	v_fma_f32 v43, 0x3fb8aa3b, v10, -v38
	v_rndne_f32_e32 v45, v39
	v_pk_fma_f32 v[36:37], v[36:37], -2.0, v[16:17] op_sel_hi:[1,0,1]
	v_fma_f32 v46, 0x3fb8aa3b, v11, -v39
	v_pk_fma_f32 v[12:13], v[18:19], v[12:13], v[20:21]
	v_fma_f32 v48, 0x3fb8aa3b, v14, -v40
	v_rndne_f32_e32 v49, v40
	v_pk_fma_f32 v[16:17], v[28:29], v[16:17], v[36:37] neg_lo:[1,0,0] neg_hi:[1,0,0]
	v_fma_f32 v51, 0x3fb8aa3b, v15, -v41
	v_pk_fma_f32 v[18:19], v[12:13], s[4:5], s[2:3] op_sel_hi:[1,0,0]
	v_rndne_f32_e32 v52, v41
	v_dual_sub_f32 v38, v38, v42 :: v_dual_sub_f32 v36, v39, v45
	v_pk_fma_f32 v[16:17], v[26:27], v[16:17], v[28:29]
	s_delay_alu instid0(VALU_DEP_4) | instskip(SKIP_2) | instid1(VALU_DEP_4)
	v_pk_fma_f32 v[18:19], v[12:13], v[18:19], s[6:7] op_sel_hi:[1,1,0]
	v_dual_fmac_f32 v43, 0x32a5705f, v10 :: v_dual_fmac_f32 v46, 0x32a5705f, v11
	v_dual_fmac_f32 v48, 0x32a5705f, v14 :: v_dual_sub_f32 v27, v40, v49
	v_pk_fma_f32 v[20:21], v[16:17], s[4:5], s[2:3] op_sel_hi:[1,0,0]
	s_delay_alu instid0(VALU_DEP_4) | instskip(NEXT) | instid1(VALU_DEP_4)
	v_pk_fma_f32 v[18:19], v[12:13], v[18:19], s[8:9] op_sel_hi:[1,1,0]
	v_dual_fmac_f32 v51, 0x32a5705f, v15 :: v_dual_add_f32 v36, v36, v46
	v_dual_sub_f32 v37, v41, v52 :: v_dual_add_f32 v38, v38, v43
	s_delay_alu instid0(VALU_DEP_4) | instskip(NEXT) | instid1(VALU_DEP_4)
	v_pk_fma_f32 v[20:21], v[16:17], v[20:21], s[6:7] op_sel_hi:[1,1,0]
	v_pk_fma_f32 v[18:19], v[12:13], v[18:19], s[10:11] op_sel_hi:[1,1,0]
	s_delay_alu instid0(VALU_DEP_3) | instskip(NEXT) | instid1(VALU_DEP_4)
	v_dual_add_f32 v27, v27, v48 :: v_dual_add_f32 v37, v37, v51
	v_exp_f32_e32 v38, v38
	v_cvt_i32_f32_e32 v42, v42
	v_pk_fma_f32 v[20:21], v[16:17], v[20:21], s[8:9] op_sel_hi:[1,1,0]
	v_pk_fma_f32 v[18:19], v[12:13], v[18:19], s[12:13] op_sel_hi:[1,1,0]
	v_exp_f32_e32 v36, v36
	v_exp_f32_e32 v37, v37
	v_cvt_i32_f32_e32 v28, v45
	v_cvt_i32_f32_e32 v39, v52
	v_pk_fma_f32 v[20:21], v[16:17], v[20:21], s[10:11] op_sel_hi:[1,1,0]
	v_pk_fma_f32 v[18:19], v[12:13], v[18:19], s[14:15] op_sel_hi:[1,1,0]
	v_ldexp_f32 v38, v38, v42
	v_cmp_ngt_f32_e32 vcc_lo, 0xc2ce8ed0, v10
	v_exp_f32_e32 v40, v27
	v_cvt_i32_f32_e32 v29, v49
	v_pk_fma_f32 v[20:21], v[16:17], v[20:21], s[12:13] op_sel_hi:[1,1,0]
	v_pk_fma_f32 v[18:19], v[12:13], v[18:19], s[16:17] op_sel_hi:[1,1,0]
	v_ldexp_f32 v28, v36, v28
	v_ldexp_f32 v36, v37, v39
	v_cndmask_b32_e32 v37, 0, v38, vcc_lo
	v_cmp_ngt_f32_e32 vcc_lo, 0xc2ce8ed0, v11
	v_dual_add_f32 v44, 1.0, v22 :: v_dual_add_f32 v47, 1.0, v23
	v_pk_fma_f32 v[20:21], v[16:17], v[20:21], s[14:15] op_sel_hi:[1,1,0]
	v_ldexp_f32 v29, v40, v29
	v_pk_fma_f32 v[18:19], v[12:13], v[18:19], s[18:19] op_sel_hi:[1,1,0]
	v_cndmask_b32_e32 v28, 0, v28, vcc_lo
	v_cmp_ngt_f32_e32 vcc_lo, 0xc2ce8ed0, v14
	v_rcp_f32_e32 v34, v44
	v_rcp_f32_e32 v35, v47
	v_pk_fma_f32 v[20:21], v[16:17], v[20:21], s[16:17] op_sel_hi:[1,1,0]
	v_pk_fma_f32 v[12:13], v[12:13], v[18:19], s[20:21] op_sel_hi:[1,1,0]
	v_cndmask_b32_e32 v38, 0, v29, vcc_lo
	v_cmp_ngt_f32_e32 vcc_lo, 0xc2ce8ed0, v15
	v_dual_add_f32 v50, 1.0, v30 :: v_dual_add_f32 v53, 1.0, v31
	v_pk_fma_f32 v[20:21], v[16:17], v[20:21], s[18:19] op_sel_hi:[1,1,0]
	v_pk_fma_f32 v[18:19], v[12:13], v[34:35], v[34:35]
	v_cndmask_b32_e32 v36, 0, v36, vcc_lo
	v_cmp_nlt_f32_e32 vcc_lo, 0x42b17218, v10
	v_rcp_f32_e32 v26, v50
	v_rcp_f32_e32 v27, v53
	v_pk_fma_f32 v[24:25], v[2:3], v[2:3], v[10:11] neg_lo:[1,0,1] neg_hi:[1,0,1]
	v_pk_fma_f32 v[16:17], v[16:17], v[20:21], s[20:21] op_sel_hi:[1,1,0]
	v_cndmask_b32_e32 v10, 0x7f800000, v37, vcc_lo
	v_cmp_nlt_f32_e32 vcc_lo, 0x42b17218, v11
	v_pk_fma_f32 v[22:23], v[18:19], v[22:23], 1.0 op_sel_hi:[1,1,0] neg_lo:[1,0,0] neg_hi:[1,0,0]
	v_pk_add_f32 v[12:13], v[12:13], v[18:19] neg_lo:[0,1] neg_hi:[0,1]
	v_pk_fma_f32 v[20:21], v[16:17], v[26:27], v[26:27]
	v_pk_fma_f32 v[32:33], v[4:5], v[4:5], v[14:15] neg_lo:[1,0,1] neg_hi:[1,0,1]
	v_cndmask_b32_e32 v11, 0x7f800000, v28, vcc_lo
	v_cmp_nlt_f32_e32 vcc_lo, 0x42b17218, v14
	v_pk_add_f32 v[12:13], v[22:23], v[12:13]
	v_pk_fma_f32 v[28:29], v[20:21], v[30:31], 1.0 op_sel_hi:[1,1,0] neg_lo:[1,0,0] neg_hi:[1,0,0]
	v_pk_add_f32 v[16:17], v[16:17], v[20:21] neg_lo:[0,1] neg_hi:[0,1]
	v_pk_fma_f32 v[10:11], v[10:11], v[24:25], v[10:11]
	v_cndmask_b32_e32 v14, 0x7f800000, v38, vcc_lo
	v_cmp_nlt_f32_e32 vcc_lo, 0x42b17218, v15
	v_pk_fma_f32 v[12:13], v[34:35], v[12:13], v[18:19]
	v_pk_add_f32 v[16:17], v[28:29], v[16:17]
	v_cndmask_b32_e32 v15, 0x7f800000, v36, vcc_lo
	s_delay_alu instid0(VALU_DEP_3) | instskip(SKIP_1) | instid1(VALU_DEP_4)
	v_pk_mul_f32 v[10:11], v[10:11], v[12:13]
	v_cmp_nlt_f32_e64 vcc_lo, 0x4120ddfc, |v3|
	v_pk_fma_f32 v[16:17], v[26:27], v[16:17], v[20:21]
	s_delay_alu instid0(VALU_DEP_4) | instskip(NEXT) | instid1(VALU_DEP_4)
	v_pk_fma_f32 v[14:15], v[14:15], v[32:33], v[14:15]
	v_cndmask_b32_e32 v11, 0, v11, vcc_lo
	v_cmp_nlt_f32_e64 vcc_lo, 0x4120ddfc, |v2|
	s_delay_alu instid0(VALU_DEP_3) | instskip(SKIP_3) | instid1(VALU_DEP_2)
	v_pk_mul_f32 v[12:13], v[14:15], v[16:17]
	v_lshlrev_b64_e32 v[16:17], 2, v[0:1]
	v_cndmask_b32_e32 v10, 0, v10, vcc_lo
	v_cmp_nlt_f32_e64 vcc_lo, 0x4120ddfc, |v5|
	v_pk_add_f32 v[14:15], v[10:11], 2.0 op_sel_hi:[1,0] neg_lo:[1,0] neg_hi:[1,0]
	v_cndmask_b32_e32 v13, 0, v13, vcc_lo
	v_cmp_nlt_f32_e64 vcc_lo, 0x4120ddfc, |v4|
	v_cndmask_b32_e32 v12, 0, v12, vcc_lo
	v_cmp_gt_f32_e32 vcc_lo, 0, v3
	s_delay_alu instid0(VALU_DEP_2)
	v_pk_add_f32 v[18:19], v[12:13], 2.0 op_sel_hi:[1,0] neg_lo:[1,0] neg_hi:[1,0]
	v_cndmask_b32_e32 v3, v11, v15, vcc_lo
	v_cmp_gt_f32_e32 vcc_lo, 0, v2
	v_cndmask_b32_e32 v2, v10, v14, vcc_lo
	v_cmp_gt_f32_e32 vcc_lo, 0, v5
	;; [unrolled: 2-line block ×3, first 2 shown]
	v_cndmask_b32_e32 v4, v12, v18, vcc_lo
	v_cmp_ge_i64_e32 vcc_lo, v[16:17], v[6:7]
	global_store_b128 v[8:9], v[2:5], off offset:-8
	s_wait_xcnt 0x0
	v_add_nc_u64_e32 v[8:9], s[22:23], v[8:9]
	s_or_b32 s3, vcc_lo, s3
	s_delay_alu instid0(SALU_CYCLE_1)
	s_and_not1_b32 exec_lo, exec_lo, s3
	s_cbranch_execnz .LBB5_24
.LBB5_25:
	s_endpgm
	.section	.rodata,"a",@progbits
	.p2align	6, 0x0
	.amdhsa_kernel _ZN2at6native12_GLOBAL__N_125multi_tensor_apply_kernelINS1_18TensorListMetadataILi1EEENS1_14UnaryOpFunctorIfLi1ELi1ELi0EEEJNS0_4ErfcIfEEEEEvT_T0_DpT1_
		.amdhsa_group_segment_fixed_size 0
		.amdhsa_private_segment_fixed_size 0
		.amdhsa_kernarg_size 3632
		.amdhsa_user_sgpr_count 2
		.amdhsa_user_sgpr_dispatch_ptr 0
		.amdhsa_user_sgpr_queue_ptr 0
		.amdhsa_user_sgpr_kernarg_segment_ptr 1
		.amdhsa_user_sgpr_dispatch_id 0
		.amdhsa_user_sgpr_kernarg_preload_length 0
		.amdhsa_user_sgpr_kernarg_preload_offset 0
		.amdhsa_user_sgpr_private_segment_size 0
		.amdhsa_wavefront_size32 1
		.amdhsa_uses_dynamic_stack 0
		.amdhsa_enable_private_segment 0
		.amdhsa_system_sgpr_workgroup_id_x 1
		.amdhsa_system_sgpr_workgroup_id_y 0
		.amdhsa_system_sgpr_workgroup_id_z 0
		.amdhsa_system_sgpr_workgroup_info 0
		.amdhsa_system_vgpr_workitem_id 0
		.amdhsa_next_free_vgpr 54
		.amdhsa_next_free_sgpr 24
		.amdhsa_named_barrier_count 0
		.amdhsa_reserve_vcc 1
		.amdhsa_float_round_mode_32 0
		.amdhsa_float_round_mode_16_64 0
		.amdhsa_float_denorm_mode_32 3
		.amdhsa_float_denorm_mode_16_64 3
		.amdhsa_fp16_overflow 0
		.amdhsa_memory_ordered 1
		.amdhsa_forward_progress 1
		.amdhsa_inst_pref_size 28
		.amdhsa_round_robin_scheduling 0
		.amdhsa_exception_fp_ieee_invalid_op 0
		.amdhsa_exception_fp_denorm_src 0
		.amdhsa_exception_fp_ieee_div_zero 0
		.amdhsa_exception_fp_ieee_overflow 0
		.amdhsa_exception_fp_ieee_underflow 0
		.amdhsa_exception_fp_ieee_inexact 0
		.amdhsa_exception_int_div_zero 0
	.end_amdhsa_kernel
	.section	.text._ZN2at6native12_GLOBAL__N_125multi_tensor_apply_kernelINS1_18TensorListMetadataILi1EEENS1_14UnaryOpFunctorIfLi1ELi1ELi0EEEJNS0_4ErfcIfEEEEEvT_T0_DpT1_,"axG",@progbits,_ZN2at6native12_GLOBAL__N_125multi_tensor_apply_kernelINS1_18TensorListMetadataILi1EEENS1_14UnaryOpFunctorIfLi1ELi1ELi0EEEJNS0_4ErfcIfEEEEEvT_T0_DpT1_,comdat
.Lfunc_end5:
	.size	_ZN2at6native12_GLOBAL__N_125multi_tensor_apply_kernelINS1_18TensorListMetadataILi1EEENS1_14UnaryOpFunctorIfLi1ELi1ELi0EEEJNS0_4ErfcIfEEEEEvT_T0_DpT1_, .Lfunc_end5-_ZN2at6native12_GLOBAL__N_125multi_tensor_apply_kernelINS1_18TensorListMetadataILi1EEENS1_14UnaryOpFunctorIfLi1ELi1ELi0EEEJNS0_4ErfcIfEEEEEvT_T0_DpT1_
                                        ; -- End function
	.set _ZN2at6native12_GLOBAL__N_125multi_tensor_apply_kernelINS1_18TensorListMetadataILi1EEENS1_14UnaryOpFunctorIfLi1ELi1ELi0EEEJNS0_4ErfcIfEEEEEvT_T0_DpT1_.num_vgpr, 54
	.set _ZN2at6native12_GLOBAL__N_125multi_tensor_apply_kernelINS1_18TensorListMetadataILi1EEENS1_14UnaryOpFunctorIfLi1ELi1ELi0EEEJNS0_4ErfcIfEEEEEvT_T0_DpT1_.num_agpr, 0
	.set _ZN2at6native12_GLOBAL__N_125multi_tensor_apply_kernelINS1_18TensorListMetadataILi1EEENS1_14UnaryOpFunctorIfLi1ELi1ELi0EEEJNS0_4ErfcIfEEEEEvT_T0_DpT1_.numbered_sgpr, 24
	.set _ZN2at6native12_GLOBAL__N_125multi_tensor_apply_kernelINS1_18TensorListMetadataILi1EEENS1_14UnaryOpFunctorIfLi1ELi1ELi0EEEJNS0_4ErfcIfEEEEEvT_T0_DpT1_.num_named_barrier, 0
	.set _ZN2at6native12_GLOBAL__N_125multi_tensor_apply_kernelINS1_18TensorListMetadataILi1EEENS1_14UnaryOpFunctorIfLi1ELi1ELi0EEEJNS0_4ErfcIfEEEEEvT_T0_DpT1_.private_seg_size, 0
	.set _ZN2at6native12_GLOBAL__N_125multi_tensor_apply_kernelINS1_18TensorListMetadataILi1EEENS1_14UnaryOpFunctorIfLi1ELi1ELi0EEEJNS0_4ErfcIfEEEEEvT_T0_DpT1_.uses_vcc, 1
	.set _ZN2at6native12_GLOBAL__N_125multi_tensor_apply_kernelINS1_18TensorListMetadataILi1EEENS1_14UnaryOpFunctorIfLi1ELi1ELi0EEEJNS0_4ErfcIfEEEEEvT_T0_DpT1_.uses_flat_scratch, 0
	.set _ZN2at6native12_GLOBAL__N_125multi_tensor_apply_kernelINS1_18TensorListMetadataILi1EEENS1_14UnaryOpFunctorIfLi1ELi1ELi0EEEJNS0_4ErfcIfEEEEEvT_T0_DpT1_.has_dyn_sized_stack, 0
	.set _ZN2at6native12_GLOBAL__N_125multi_tensor_apply_kernelINS1_18TensorListMetadataILi1EEENS1_14UnaryOpFunctorIfLi1ELi1ELi0EEEJNS0_4ErfcIfEEEEEvT_T0_DpT1_.has_recursion, 0
	.set _ZN2at6native12_GLOBAL__N_125multi_tensor_apply_kernelINS1_18TensorListMetadataILi1EEENS1_14UnaryOpFunctorIfLi1ELi1ELi0EEEJNS0_4ErfcIfEEEEEvT_T0_DpT1_.has_indirect_call, 0
	.section	.AMDGPU.csdata,"",@progbits
; Kernel info:
; codeLenInByte = 3528
; TotalNumSgprs: 26
; NumVgprs: 54
; ScratchSize: 0
; MemoryBound: 0
; FloatMode: 240
; IeeeMode: 1
; LDSByteSize: 0 bytes/workgroup (compile time only)
; SGPRBlocks: 0
; VGPRBlocks: 3
; NumSGPRsForWavesPerEU: 26
; NumVGPRsForWavesPerEU: 54
; NamedBarCnt: 0
; Occupancy: 16
; WaveLimiterHint : 0
; COMPUTE_PGM_RSRC2:SCRATCH_EN: 0
; COMPUTE_PGM_RSRC2:USER_SGPR: 2
; COMPUTE_PGM_RSRC2:TRAP_HANDLER: 0
; COMPUTE_PGM_RSRC2:TGID_X_EN: 1
; COMPUTE_PGM_RSRC2:TGID_Y_EN: 0
; COMPUTE_PGM_RSRC2:TGID_Z_EN: 0
; COMPUTE_PGM_RSRC2:TIDIG_COMP_CNT: 0
	.section	.text._ZN2at6native12_GLOBAL__N_125multi_tensor_apply_kernelINS1_18TensorListMetadataILi1EEENS1_14UnaryOpFunctorIN3c104HalfELi1ELi1ELi0EEEJNS0_4ErfcIfEEEEEvT_T0_DpT1_,"axG",@progbits,_ZN2at6native12_GLOBAL__N_125multi_tensor_apply_kernelINS1_18TensorListMetadataILi1EEENS1_14UnaryOpFunctorIN3c104HalfELi1ELi1ELi0EEEJNS0_4ErfcIfEEEEEvT_T0_DpT1_,comdat
	.globl	_ZN2at6native12_GLOBAL__N_125multi_tensor_apply_kernelINS1_18TensorListMetadataILi1EEENS1_14UnaryOpFunctorIN3c104HalfELi1ELi1ELi0EEEJNS0_4ErfcIfEEEEEvT_T0_DpT1_ ; -- Begin function _ZN2at6native12_GLOBAL__N_125multi_tensor_apply_kernelINS1_18TensorListMetadataILi1EEENS1_14UnaryOpFunctorIN3c104HalfELi1ELi1ELi0EEEJNS0_4ErfcIfEEEEEvT_T0_DpT1_
	.p2align	8
	.type	_ZN2at6native12_GLOBAL__N_125multi_tensor_apply_kernelINS1_18TensorListMetadataILi1EEENS1_14UnaryOpFunctorIN3c104HalfELi1ELi1ELi0EEEJNS0_4ErfcIfEEEEEvT_T0_DpT1_,@function
_ZN2at6native12_GLOBAL__N_125multi_tensor_apply_kernelINS1_18TensorListMetadataILi1EEENS1_14UnaryOpFunctorIN3c104HalfELi1ELi1ELi0EEEJNS0_4ErfcIfEEEEEvT_T0_DpT1_: ; @_ZN2at6native12_GLOBAL__N_125multi_tensor_apply_kernelINS1_18TensorListMetadataILi1EEENS1_14UnaryOpFunctorIN3c104HalfELi1ELi1ELi0EEEJNS0_4ErfcIfEEEEEvT_T0_DpT1_
; %bb.0:
	s_bfe_u32 s2, ttmp6, 0x4000c
	s_and_b32 s3, ttmp6, 15
	s_add_co_i32 s2, s2, 1
	s_getreg_b32 s4, hwreg(HW_REG_IB_STS2, 6, 4)
	s_mul_i32 s2, ttmp9, s2
	s_delay_alu instid0(SALU_CYCLE_1)
	s_add_co_i32 s3, s3, s2
	s_cmp_eq_u32 s4, 0
	s_cselect_b32 s2, ttmp9, s3
	s_mov_b32 s3, 0
	s_load_u8 s8, s[0:1], s2 offset:0x6e0
	s_add_nc_u64 s[4:5], s[0:1], s[2:3]
	s_mul_u64 s[6:7], s[2:3], 3
	s_delay_alu instid0(SALU_CYCLE_1)
	s_add_nc_u64 s[4:5], s[4:5], s[6:7]
	s_load_b32 s10, s[4:5], 0x820
	s_wait_kmcnt 0x0
	s_clause 0x1
	s_load_b64 s[6:7], s[0:1], s8 offset:0x0 scale_offset
	s_load_b64 s[12:13], s[0:1], s8 offset:0x370 scale_offset
	s_ashr_i32 s11, s10, 31
	s_wait_kmcnt 0x0
	s_and_b64 s[4:5], s[6:7], 7
	s_and_b32 s2, s12, 3
	s_lshl_b64 s[8:9], s[10:11], 17
	s_or_b64 s[2:3], s[4:5], s[2:3]
	s_lshl_b64 s[4:5], s[10:11], 16
	s_cmp_eq_u64 s[2:3], 0
	s_sub_nc_u64 s[10:11], s[12:13], s[4:5]
	s_cbranch_scc1 .LBB6_21
; %bb.1:
	v_cmp_lt_i64_e64 s2, s[10:11], 1
	s_and_b32 vcc_lo, exec_lo, s2
	s_cbranch_vccnz .LBB6_20
; %bb.2:
	s_load_b32 s2, s[0:1], 0xd3c
	v_min_i64 v[2:3], 0x10000, s[10:11]
	v_min_u64 v[4:5], 0x10000, s[10:11]
	v_dual_mov_b32 v1, 0 :: v_dual_lshlrev_b32 v8, 1, v0
	s_mov_b32 s3, 0
	s_add_nc_u64 s[4:5], s[6:7], s[8:9]
	s_mov_b32 s17, s3
	s_delay_alu instid0(VALU_DEP_1)
	v_mov_b32_e32 v15, v1
	s_mov_b32 s19, s3
	s_mov_b32 s13, s3
	;; [unrolled: 1-line block ×4, first 2 shown]
	s_wait_kmcnt 0x0
	s_and_b32 s2, s2, 0xffff
	s_delay_alu instid0(SALU_CYCLE_1)
	v_add_nc_u64_e32 v[6:7], s[2:3], v[0:1]
	v_mov_b32_e32 v9, v1
	s_lshl_b32 s16, s2, 1
	s_mul_i32 s18, s2, 3
	v_add_nc_u64_e32 v[12:13], s[16:17], v[0:1]
	v_add_nc_u64_e32 v[10:11], s[18:19], v[0:1]
	s_lshl_b32 s12, s2, 2
	v_lshlrev_b32_e32 v14, 1, v6
	v_add_nc_u64_e32 v[8:9], s[4:5], v[8:9]
	s_lshl_b32 s14, s2, 3
	s_mul_u64 s[16:17], s[2:3], 6
	s_mov_b64 s[18:19], 0
	v_add_nc_u64_e32 v[14:15], s[4:5], v[14:15]
	s_mov_b32 s5, -2.0
	s_branch .LBB6_4
.LBB6_3:                                ;   in Loop: Header=BB6_4 Depth=1
	s_wait_xcnt 0x0
	s_or_b32 exec_lo, exec_lo, s2
	s_add_nc_u64 s[18:19], s[18:19], s[12:13]
	v_add_nc_u64_e32 v[8:9], s[14:15], v[8:9]
	v_cmp_lt_i64_e32 vcc_lo, s[18:19], v[2:3]
	v_add_nc_u64_e32 v[14:15], s[14:15], v[14:15]
	s_cbranch_vccz .LBB6_20
.LBB6_4:                                ; =>This Inner Loop Header: Depth=1
	v_add_nc_u64_e32 v[16:17], s[18:19], v[0:1]
	s_wait_loadcnt 0x0
	v_mov_b32_e32 v23, 0
	s_delay_alu instid0(VALU_DEP_2)
	v_cmp_lt_u64_e64 s4, v[16:17], v[4:5]
	s_and_saveexec_b32 s2, s4
	s_cbranch_execz .LBB6_6
; %bb.5:                                ;   in Loop: Header=BB6_4 Depth=1
	global_load_u16 v23, v[8:9], off
.LBB6_6:                                ;   in Loop: Header=BB6_4 Depth=1
	s_wait_xcnt 0x0
	s_or_b32 exec_lo, exec_lo, s2
	v_add_nc_u64_e32 v[16:17], s[18:19], v[6:7]
	v_dual_mov_b32 v21, 0 :: v_dual_mov_b32 v22, 0
	s_delay_alu instid0(VALU_DEP_2)
	v_cmp_lt_u64_e64 s3, v[16:17], v[4:5]
	s_and_saveexec_b32 s2, s3
	s_cbranch_execz .LBB6_8
; %bb.7:                                ;   in Loop: Header=BB6_4 Depth=1
	global_load_u16 v22, v[14:15], off
.LBB6_8:                                ;   in Loop: Header=BB6_4 Depth=1
	s_wait_xcnt 0x0
	s_or_b32 exec_lo, exec_lo, s2
	v_add_nc_u64_e32 v[16:17], s[18:19], v[12:13]
	v_add_nc_u64_e32 v[18:19], s[12:13], v[8:9]
	s_delay_alu instid0(VALU_DEP_2)
	v_cmp_lt_u64_e64 s2, v[16:17], v[4:5]
	s_and_saveexec_b32 s21, s2
	s_cbranch_execz .LBB6_10
; %bb.9:                                ;   in Loop: Header=BB6_4 Depth=1
	global_load_u16 v21, v[18:19], off
.LBB6_10:                               ;   in Loop: Header=BB6_4 Depth=1
	s_wait_xcnt 0x0
	s_or_b32 exec_lo, exec_lo, s21
	v_add_nc_u64_e32 v[16:17], s[18:19], v[10:11]
	v_mov_b32_e32 v20, 0
	s_delay_alu instid0(VALU_DEP_2)
	v_cmp_lt_u64_e32 vcc_lo, v[16:17], v[4:5]
	v_add_nc_u64_e32 v[16:17], s[16:17], v[8:9]
	s_and_saveexec_b32 s21, vcc_lo
	s_cbranch_execnz .LBB6_15
; %bb.11:                               ;   in Loop: Header=BB6_4 Depth=1
	s_or_b32 exec_lo, exec_lo, s21
	s_and_saveexec_b32 s21, s4
	s_cbranch_execnz .LBB6_16
.LBB6_12:                               ;   in Loop: Header=BB6_4 Depth=1
	s_or_b32 exec_lo, exec_lo, s21
	s_and_saveexec_b32 s4, s3
	s_cbranch_execnz .LBB6_17
.LBB6_13:                               ;   in Loop: Header=BB6_4 Depth=1
	s_or_b32 exec_lo, exec_lo, s4
	s_and_saveexec_b32 s3, s2
	s_cbranch_execnz .LBB6_18
.LBB6_14:                               ;   in Loop: Header=BB6_4 Depth=1
	s_or_b32 exec_lo, exec_lo, s3
	s_and_saveexec_b32 s2, vcc_lo
	s_cbranch_execz .LBB6_3
	s_branch .LBB6_19
.LBB6_15:                               ;   in Loop: Header=BB6_4 Depth=1
	global_load_u16 v20, v[16:17], off
	s_wait_xcnt 0x0
	s_or_b32 exec_lo, exec_lo, s21
	s_and_saveexec_b32 s21, s4
	s_cbranch_execz .LBB6_12
.LBB6_16:                               ;   in Loop: Header=BB6_4 Depth=1
	s_wait_loadcnt 0x0
	v_cvt_f32_f16_e32 v30, v23
	s_delay_alu instid0(VALU_DEP_1) | instskip(SKIP_3) | instid1(VALU_DEP_4)
	v_add_f32_e64 v24, |v30|, 2.0
	v_add_f32_e64 v25, |v30|, -2.0
	v_add_f32_e64 v31, |v30|, |v30|
	v_mul_f32_e64 v28, v30, -v30
	v_rcp_f32_e32 v24, v24
	s_delay_alu instid0(VALU_DEP_1) | instskip(NEXT) | instid1(TRANS32_DEP_1)
	v_cmp_ngt_f32_e64 s4, 0xc2ce8ed0, v28
	v_mul_f32_e32 v26, v25, v24
	s_delay_alu instid0(VALU_DEP_1) | instskip(NEXT) | instid1(VALU_DEP_1)
	v_add_f32_e32 v25, 1.0, v26
	v_fma_mix_f32 v25, v25, s5, |v23| op_sel_hi:[0,0,1]
	s_delay_alu instid0(VALU_DEP_1) | instskip(NEXT) | instid1(VALU_DEP_1)
	v_fma_mix_f32 v25, -v26, |v23|, v25 op_sel_hi:[0,1,0]
	v_dual_fmac_f32 v26, v24, v25 :: v_dual_mul_f32 v25, 0x3fb8aa3b, v28
	s_delay_alu instid0(VALU_DEP_1) | instskip(NEXT) | instid1(VALU_DEP_2)
	v_fmaak_f32 v24, s20, v26, 0xbaa2d753
	v_rndne_f32_e32 v27, v25
	v_fma_f32 v29, 0x3fb8aa3b, v28, -v25
	s_delay_alu instid0(VALU_DEP_2) | instskip(NEXT) | instid1(VALU_DEP_2)
	v_dual_fmaak_f32 v24, v26, v24, 0x3aad2fb4 :: v_dual_sub_f32 v25, v25, v27
	v_fmac_f32_e32 v29, 0x32a5705f, v28
	v_cvt_i32_f32_e32 v27, v27
	s_delay_alu instid0(VALU_DEP_2) | instskip(NEXT) | instid1(VALU_DEP_1)
	v_dual_fmaak_f32 v24, v26, v24, 0x3c0da267 :: v_dual_add_f32 v25, v25, v29
	v_dual_add_f32 v29, 1.0, v31 :: v_dual_fmaak_f32 v24, v26, v24, 0xbc0415b1
	s_delay_alu instid0(VALU_DEP_2) | instskip(NEXT) | instid1(VALU_DEP_1)
	v_exp_f32_e32 v32, v25
	v_rcp_f32_e32 v25, v29
	s_delay_alu instid0(VALU_DEP_1) | instskip(NEXT) | instid1(VALU_DEP_1)
	v_fmaak_f32 v24, v26, v24, 0xbd5e0a18
	v_fmaak_f32 v24, v26, v24, 0x3e27fe2a
	s_delay_alu instid0(VALU_DEP_1) | instskip(NEXT) | instid1(VALU_DEP_1)
	v_fmaak_f32 v24, v26, v24, 0xbe2a03fd
	v_fmaak_f32 v24, v26, v24, 0xbdbdfb0b
	s_delay_alu instid0(VALU_DEP_1) | instskip(SKIP_1) | instid1(VALU_DEP_1)
	v_fmaak_f32 v24, v26, v24, 0x3e8dd01c
	v_ldexp_f32 v26, v32, v27
	v_dual_fma_f32 v27, v24, v25, v25 :: v_dual_cndmask_b32 v26, 0, v26, s4
	v_cmp_nlt_f32_e64 s4, 0x42b17218, v28
	v_fma_mix_f32 v28, -v23, v23, -v28 op_sel_hi:[1,1,0]
	s_delay_alu instid0(VALU_DEP_3) | instskip(SKIP_1) | instid1(VALU_DEP_4)
	v_fma_f32 v29, -v27, v31, 1.0
	v_sub_f32_e32 v31, v24, v27
	v_cndmask_b32_e64 v24, 0x7f800000, v26, s4
	v_cmp_nlt_f32_e64 s4, 0x4120ddfc, |v30|
	s_delay_alu instid0(VALU_DEP_2) | instskip(NEXT) | instid1(VALU_DEP_1)
	v_dual_add_f32 v29, v29, v31 :: v_dual_mov_b32 v26, v24
	v_pk_fma_f32 v[24:25], v[24:25], v[28:29], v[26:27]
	s_delay_alu instid0(VALU_DEP_1) | instskip(NEXT) | instid1(VALU_DEP_1)
	v_mul_f32_e32 v24, v24, v25
	v_cndmask_b32_e64 v24, 0, v24, s4
	v_cmp_gt_f16_e64 s4, 0, v23
	s_delay_alu instid0(VALU_DEP_2) | instskip(NEXT) | instid1(VALU_DEP_1)
	v_sub_f32_e32 v25, 2.0, v24
	v_cndmask_b32_e64 v23, v24, v25, s4
	s_delay_alu instid0(VALU_DEP_1)
	v_cvt_f16_f32_e32 v23, v23
	global_store_b16 v[8:9], v23, off
	s_wait_xcnt 0x0
	s_or_b32 exec_lo, exec_lo, s21
	s_and_saveexec_b32 s4, s3
	s_cbranch_execz .LBB6_13
.LBB6_17:                               ;   in Loop: Header=BB6_4 Depth=1
	s_wait_loadcnt 0x0
	v_cvt_f32_f16_e32 v23, v22
	s_delay_alu instid0(VALU_DEP_1) | instskip(SKIP_2) | instid1(VALU_DEP_3)
	v_add_f32_e64 v24, |v23|, 2.0
	v_add_f32_e64 v25, |v23|, -2.0
	v_add_f32_e64 v30, |v23|, |v23|
	v_rcp_f32_e32 v24, v24
	v_nop
	s_delay_alu instid0(TRANS32_DEP_1) | instskip(NEXT) | instid1(VALU_DEP_1)
	v_mul_f32_e32 v25, v25, v24
	v_add_f32_e32 v26, 1.0, v25
	s_delay_alu instid0(VALU_DEP_1) | instskip(NEXT) | instid1(VALU_DEP_1)
	v_fma_mix_f32 v26, v26, s5, |v22| op_sel_hi:[0,0,1]
	v_fma_mix_f32 v26, -v25, |v22|, v26 op_sel_hi:[0,1,0]
	s_delay_alu instid0(VALU_DEP_1) | instskip(NEXT) | instid1(VALU_DEP_1)
	v_dual_fmac_f32 v25, v24, v26 :: v_dual_mul_f32 v26, v23, -v23
	v_mul_f32_e32 v27, 0x3fb8aa3b, v26
	v_cmp_ngt_f32_e64 s3, 0xc2ce8ed0, v26
	s_delay_alu instid0(VALU_DEP_2) | instskip(SKIP_1) | instid1(VALU_DEP_2)
	v_rndne_f32_e32 v28, v27
	v_fma_f32 v29, 0x3fb8aa3b, v26, -v27
	v_sub_f32_e32 v27, v27, v28
	s_delay_alu instid0(VALU_DEP_2) | instskip(SKIP_1) | instid1(VALU_DEP_2)
	v_fmac_f32_e32 v29, 0x32a5705f, v26
	v_cvt_i32_f32_e32 v28, v28
	v_add_f32_e32 v27, v27, v29
	v_dual_fmaak_f32 v24, s20, v25, 0xbaa2d753 :: v_dual_add_f32 v29, 1.0, v30
	s_delay_alu instid0(VALU_DEP_2) | instskip(NEXT) | instid1(VALU_DEP_1)
	v_exp_f32_e32 v27, v27
	v_fmaak_f32 v24, v25, v24, 0x3aad2fb4
	s_delay_alu instid0(VALU_DEP_2) | instskip(NEXT) | instid1(VALU_DEP_1)
	v_rcp_f32_e32 v29, v29
	v_fmaak_f32 v24, v25, v24, 0x3c0da267
	s_delay_alu instid0(VALU_DEP_1) | instskip(NEXT) | instid1(VALU_DEP_1)
	v_fmaak_f32 v24, v25, v24, 0xbc0415b1
	v_fmaak_f32 v24, v25, v24, 0xbd5e0a18
	s_delay_alu instid0(VALU_DEP_1) | instskip(NEXT) | instid1(VALU_DEP_1)
	v_fmaak_f32 v24, v25, v24, 0x3e27fe2a
	;; [unrolled: 3-line block ×3, first 2 shown]
	v_fmaak_f32 v24, v25, v24, 0x3e8dd01c
	v_ldexp_f32 v25, v27, v28
	s_delay_alu instid0(VALU_DEP_1) | instskip(SKIP_1) | instid1(VALU_DEP_1)
	v_cndmask_b32_e64 v25, 0, v25, s3
	v_cmp_nlt_f32_e64 s3, 0x42b17218, v26
	v_cndmask_b32_e64 v25, 0x7f800000, v25, s3
	v_cmp_nlt_f32_e64 s3, 0x4120ddfc, |v23|
	v_fma_f32 v27, v24, v29, v29
	s_delay_alu instid0(VALU_DEP_1) | instskip(SKIP_2) | instid1(VALU_DEP_1)
	v_fma_f32 v28, -v27, v30, 1.0
	v_sub_f32_e32 v24, v24, v27
	v_fma_mix_f32 v30, -v22, v22, -v26 op_sel_hi:[1,1,0]
	v_dual_add_f32 v24, v28, v24 :: v_dual_fmac_f32 v25, v25, v30
	s_delay_alu instid0(VALU_DEP_1) | instskip(NEXT) | instid1(VALU_DEP_1)
	v_fmac_f32_e32 v27, v29, v24
	v_mul_f32_e32 v24, v25, v27
	s_delay_alu instid0(VALU_DEP_1) | instskip(SKIP_1) | instid1(VALU_DEP_2)
	v_cndmask_b32_e64 v23, 0, v24, s3
	v_cmp_gt_f16_e64 s3, 0, v22
	v_sub_f32_e32 v24, 2.0, v23
	s_delay_alu instid0(VALU_DEP_1) | instskip(NEXT) | instid1(VALU_DEP_1)
	v_cndmask_b32_e64 v22, v23, v24, s3
	v_cvt_f16_f32_e32 v22, v22
	global_store_b16 v[14:15], v22, off
	s_wait_xcnt 0x0
	s_or_b32 exec_lo, exec_lo, s4
	s_and_saveexec_b32 s3, s2
	s_cbranch_execz .LBB6_14
.LBB6_18:                               ;   in Loop: Header=BB6_4 Depth=1
	s_wait_loadcnt 0x0
	v_cvt_f32_f16_e32 v22, v21
	s_delay_alu instid0(VALU_DEP_1) | instskip(SKIP_2) | instid1(VALU_DEP_3)
	v_add_f32_e64 v23, |v22|, 2.0
	v_add_f32_e64 v24, |v22|, -2.0
	v_add_f32_e64 v29, |v22|, |v22|
	v_rcp_f32_e32 v23, v23
	v_nop
	s_delay_alu instid0(TRANS32_DEP_1) | instskip(NEXT) | instid1(VALU_DEP_1)
	v_mul_f32_e32 v24, v24, v23
	v_add_f32_e32 v25, 1.0, v24
	s_delay_alu instid0(VALU_DEP_1) | instskip(NEXT) | instid1(VALU_DEP_1)
	v_fma_mix_f32 v25, v25, s5, |v21| op_sel_hi:[0,0,1]
	v_fma_mix_f32 v25, -v24, |v21|, v25 op_sel_hi:[0,1,0]
	s_delay_alu instid0(VALU_DEP_1) | instskip(NEXT) | instid1(VALU_DEP_1)
	v_dual_fmac_f32 v24, v23, v25 :: v_dual_mul_f32 v25, v22, -v22
	v_mul_f32_e32 v26, 0x3fb8aa3b, v25
	v_cmp_ngt_f32_e64 s2, 0xc2ce8ed0, v25
	s_delay_alu instid0(VALU_DEP_2) | instskip(SKIP_1) | instid1(VALU_DEP_2)
	v_rndne_f32_e32 v27, v26
	v_fma_f32 v28, 0x3fb8aa3b, v25, -v26
	v_sub_f32_e32 v26, v26, v27
	s_delay_alu instid0(VALU_DEP_2) | instskip(SKIP_1) | instid1(VALU_DEP_2)
	v_fmac_f32_e32 v28, 0x32a5705f, v25
	v_cvt_i32_f32_e32 v27, v27
	v_add_f32_e32 v26, v26, v28
	v_dual_fmaak_f32 v23, s20, v24, 0xbaa2d753 :: v_dual_add_f32 v28, 1.0, v29
	s_delay_alu instid0(VALU_DEP_2) | instskip(NEXT) | instid1(VALU_DEP_1)
	v_exp_f32_e32 v26, v26
	v_fmaak_f32 v23, v24, v23, 0x3aad2fb4
	s_delay_alu instid0(VALU_DEP_2) | instskip(NEXT) | instid1(VALU_DEP_1)
	v_rcp_f32_e32 v28, v28
	v_fmaak_f32 v23, v24, v23, 0x3c0da267
	s_delay_alu instid0(VALU_DEP_1) | instskip(NEXT) | instid1(VALU_DEP_1)
	v_fmaak_f32 v23, v24, v23, 0xbc0415b1
	v_fmaak_f32 v23, v24, v23, 0xbd5e0a18
	s_delay_alu instid0(VALU_DEP_1) | instskip(NEXT) | instid1(VALU_DEP_1)
	v_fmaak_f32 v23, v24, v23, 0x3e27fe2a
	;; [unrolled: 3-line block ×3, first 2 shown]
	v_fmaak_f32 v23, v24, v23, 0x3e8dd01c
	v_ldexp_f32 v24, v26, v27
	s_delay_alu instid0(VALU_DEP_1) | instskip(SKIP_1) | instid1(VALU_DEP_1)
	v_cndmask_b32_e64 v24, 0, v24, s2
	v_cmp_nlt_f32_e64 s2, 0x42b17218, v25
	v_cndmask_b32_e64 v24, 0x7f800000, v24, s2
	v_cmp_nlt_f32_e64 s2, 0x4120ddfc, |v22|
	v_fma_f32 v26, v23, v28, v28
	s_delay_alu instid0(VALU_DEP_1) | instskip(SKIP_2) | instid1(VALU_DEP_1)
	v_fma_f32 v27, -v26, v29, 1.0
	v_sub_f32_e32 v23, v23, v26
	v_fma_mix_f32 v29, -v21, v21, -v25 op_sel_hi:[1,1,0]
	v_dual_add_f32 v23, v27, v23 :: v_dual_fmac_f32 v24, v24, v29
	s_delay_alu instid0(VALU_DEP_1) | instskip(NEXT) | instid1(VALU_DEP_1)
	v_fmac_f32_e32 v26, v28, v23
	v_mul_f32_e32 v23, v24, v26
	s_delay_alu instid0(VALU_DEP_1) | instskip(SKIP_1) | instid1(VALU_DEP_2)
	v_cndmask_b32_e64 v22, 0, v23, s2
	v_cmp_gt_f16_e64 s2, 0, v21
	v_sub_f32_e32 v23, 2.0, v22
	s_delay_alu instid0(VALU_DEP_1) | instskip(NEXT) | instid1(VALU_DEP_1)
	v_cndmask_b32_e64 v21, v22, v23, s2
	v_cvt_f16_f32_e32 v21, v21
	global_store_b16 v[18:19], v21, off
	s_wait_xcnt 0x0
	s_or_b32 exec_lo, exec_lo, s3
	s_and_saveexec_b32 s2, vcc_lo
	s_cbranch_execz .LBB6_3
.LBB6_19:                               ;   in Loop: Header=BB6_4 Depth=1
	s_wait_loadcnt 0x0
	v_cvt_f32_f16_e32 v18, v20
	s_delay_alu instid0(VALU_DEP_1) | instskip(SKIP_2) | instid1(VALU_DEP_3)
	v_add_f32_e64 v19, |v18|, 2.0
	v_add_f32_e64 v21, |v18|, -2.0
	v_add_f32_e64 v26, |v18|, |v18|
	v_rcp_f32_e32 v19, v19
	v_nop
	s_delay_alu instid0(TRANS32_DEP_1) | instskip(NEXT) | instid1(VALU_DEP_1)
	v_mul_f32_e32 v21, v21, v19
	v_add_f32_e32 v22, 1.0, v21
	s_delay_alu instid0(VALU_DEP_1) | instskip(NEXT) | instid1(VALU_DEP_1)
	v_fma_mix_f32 v22, v22, s5, |v20| op_sel_hi:[0,0,1]
	v_fma_mix_f32 v22, -v21, |v20|, v22 op_sel_hi:[0,1,0]
	s_delay_alu instid0(VALU_DEP_1) | instskip(SKIP_1) | instid1(VALU_DEP_2)
	v_fmac_f32_e32 v21, v19, v22
	v_mul_f32_e64 v22, v18, -v18
	v_fmaak_f32 v19, s20, v21, 0xbaa2d753
	s_delay_alu instid0(VALU_DEP_2) | instskip(SKIP_1) | instid1(VALU_DEP_3)
	v_mul_f32_e32 v23, 0x3fb8aa3b, v22
	v_cmp_ngt_f32_e32 vcc_lo, 0xc2ce8ed0, v22
	v_fmaak_f32 v19, v21, v19, 0x3aad2fb4
	s_delay_alu instid0(VALU_DEP_3) | instskip(SKIP_1) | instid1(VALU_DEP_3)
	v_rndne_f32_e32 v24, v23
	v_fma_f32 v25, 0x3fb8aa3b, v22, -v23
	v_fmaak_f32 v19, v21, v19, 0x3c0da267
	s_delay_alu instid0(VALU_DEP_3) | instskip(NEXT) | instid1(VALU_DEP_3)
	v_sub_f32_e32 v23, v23, v24
	v_fmac_f32_e32 v25, 0x32a5705f, v22
	v_cvt_i32_f32_e32 v24, v24
	s_delay_alu instid0(VALU_DEP_4) | instskip(NEXT) | instid1(VALU_DEP_3)
	v_fmaak_f32 v19, v21, v19, 0xbc0415b1
	v_dual_add_f32 v23, v23, v25 :: v_dual_add_f32 v25, 1.0, v26
	s_delay_alu instid0(VALU_DEP_2) | instskip(NEXT) | instid1(VALU_DEP_2)
	v_fmaak_f32 v19, v21, v19, 0xbd5e0a18
	v_exp_f32_e32 v23, v23
	s_delay_alu instid0(VALU_DEP_2) | instskip(NEXT) | instid1(VALU_DEP_1)
	v_rcp_f32_e32 v25, v25
	v_fmaak_f32 v19, v21, v19, 0x3e27fe2a
	s_delay_alu instid0(VALU_DEP_1) | instskip(NEXT) | instid1(VALU_DEP_1)
	v_fmaak_f32 v19, v21, v19, 0xbe2a03fd
	v_fmaak_f32 v19, v21, v19, 0xbdbdfb0b
	s_delay_alu instid0(VALU_DEP_1) | instskip(NEXT) | instid1(TRANS32_DEP_2)
	v_fmaak_f32 v19, v21, v19, 0x3e8dd01c
	v_ldexp_f32 v21, v23, v24
	s_delay_alu instid0(TRANS32_DEP_1) | instid1(VALU_DEP_2)
	v_fma_f32 v23, v19, v25, v25
	s_delay_alu instid0(VALU_DEP_1) | instskip(SKIP_2) | instid1(VALU_DEP_2)
	v_fma_f32 v24, -v23, v26, 1.0
	v_sub_f32_e32 v19, v19, v23
	v_fma_mix_f32 v26, -v20, v20, -v22 op_sel_hi:[1,1,0]
	v_dual_add_f32 v19, v24, v19 :: v_dual_cndmask_b32 v21, 0, v21, vcc_lo
	v_cmp_nlt_f32_e32 vcc_lo, 0x42b17218, v22
	s_delay_alu instid0(VALU_DEP_2) | instskip(NEXT) | instid1(VALU_DEP_3)
	v_fmac_f32_e32 v23, v25, v19
	v_cndmask_b32_e32 v21, 0x7f800000, v21, vcc_lo
	v_cmp_nlt_f32_e64 vcc_lo, 0x4120ddfc, |v18|
	s_delay_alu instid0(VALU_DEP_2) | instskip(NEXT) | instid1(VALU_DEP_1)
	v_fmac_f32_e32 v21, v21, v26
	v_mul_f32_e32 v19, v21, v23
	s_delay_alu instid0(VALU_DEP_1) | instskip(SKIP_1) | instid1(VALU_DEP_2)
	v_cndmask_b32_e32 v18, 0, v19, vcc_lo
	v_cmp_gt_f16_e32 vcc_lo, 0, v20
	v_sub_f32_e32 v19, 2.0, v18
	s_delay_alu instid0(VALU_DEP_1) | instskip(NEXT) | instid1(VALU_DEP_1)
	v_cndmask_b32_e32 v18, v18, v19, vcc_lo
	v_cvt_f16_f32_e32 v18, v18
	global_store_b16 v[16:17], v18, off
	s_branch .LBB6_3
.LBB6_20:
	s_cbranch_execz .LBB6_22
	s_branch .LBB6_25
.LBB6_21:
.LBB6_22:
	v_min_i64 v[2:3], 0x10000, s[10:11]
	v_dual_mov_b32 v5, 0 :: v_dual_lshlrev_b32 v4, 2, v0
	s_mov_b32 s2, exec_lo
	s_delay_alu instid0(VALU_DEP_1)
	v_cmpx_lt_i64_e64 v[4:5], v[2:3]
	s_cbranch_execz .LBB6_25
; %bb.23:
	s_load_b32 s0, s[0:1], 0xd3c
	v_dual_mov_b32 v1, v5 :: v_dual_lshlrev_b32 v4, 3, v0
	s_add_nc_u64 s[20:21], s[6:7], s[8:9]
	s_wait_xcnt 0x0
	s_mov_b32 s1, 0
	s_mov_b32 s2, 0xbaa2d753
	s_mov_b32 s4, 0xb9d6f8c4
	v_add_nc_u64_e32 v[4:5], s[20:21], v[4:5]
	s_mov_b32 s6, 0x3aad2fb4
	s_mov_b32 s8, 0x3c0da267
	;; [unrolled: 1-line block ×10, first 2 shown]
	s_wait_kmcnt 0x0
	s_and_b32 s0, s0, 0xffff
	s_delay_alu instid0(SALU_CYCLE_1)
	s_lshl_b32 s22, s0, 3
.LBB6_24:                               ; =>This Inner Loop Header: Depth=1
	global_load_b64 v[6:7], v[4:5], off
	v_add_nc_u64_e32 v[0:1], s[0:1], v[0:1]
	s_wait_loadcnt 0x0
	v_dual_lshrrev_b32 v44, 16, v7 :: v_dual_lshrrev_b32 v45, 16, v6
	v_cvt_f32_f16_e32 v8, v6
	v_cvt_f32_f16_e32 v10, v7
	s_delay_alu instid0(VALU_DEP_3) | instskip(NEXT) | instid1(VALU_DEP_4)
	v_cvt_f32_f16_e32 v11, v44
	v_cvt_f32_f16_e32 v9, v45
	s_delay_alu instid0(VALU_DEP_4) | instskip(NEXT) | instid1(VALU_DEP_4)
	v_add_f32_e64 v20, |v8|, 2.0
	v_add_f32_e64 v21, |v10|, 2.0
	v_and_b32_e32 v16, 0x7fffffff, v8
	v_add_f32_e64 v34, |v11|, 2.0
	v_add_f32_e64 v23, |v9|, 2.0
	v_and_b32_e32 v18, 0x7fffffff, v10
	v_and_b32_e32 v17, 0x7fffffff, v9
	;; [unrolled: 1-line block ×3, first 2 shown]
	v_rcp_f32_e32 v20, v20
	v_rcp_f32_e32 v22, v21
	;; [unrolled: 1-line block ×4, first 2 shown]
	v_pk_add_f32 v[32:33], v[16:17], -2.0 op_sel_hi:[1,0]
	v_pk_add_f32 v[34:35], v[18:19], -2.0 op_sel_hi:[1,0]
	v_pk_add_f32 v[28:29], v[18:19], v[18:19]
	v_pk_add_f32 v[30:31], v[16:17], v[16:17]
	v_xor_b32_e32 v12, 0x80000000, v8
	v_pk_mul_f32 v[32:33], v[32:33], v[20:21]
	v_pk_mul_f32 v[34:35], v[34:35], v[22:23]
	v_xor_b32_e32 v14, 0x80000000, v10
	v_xor_b32_e32 v13, 0x80000000, v9
	;; [unrolled: 1-line block ×3, first 2 shown]
	v_pk_add_f32 v[40:41], v[32:33], 1.0 op_sel_hi:[1,0]
	v_pk_add_f32 v[38:39], v[34:35], 1.0 op_sel_hi:[1,0]
	v_dual_add_f32 v36, 1.0, v30 :: v_dual_add_f32 v37, 1.0, v31
	s_delay_alu instid0(VALU_DEP_4) | instskip(NEXT) | instid1(VALU_DEP_4)
	v_pk_mul_f32 v[24:25], v[10:11], v[14:15]
	v_pk_fma_f32 v[40:41], v[40:41], -2.0, v[16:17] op_sel_hi:[1,0,1]
	s_delay_alu instid0(VALU_DEP_4) | instskip(SKIP_2) | instid1(VALU_DEP_4)
	v_pk_fma_f32 v[38:39], v[38:39], -2.0, v[18:19] op_sel_hi:[1,0,1]
	v_pk_mul_f32 v[26:27], v[8:9], v[12:13]
	v_dual_add_f32 v42, 1.0, v28 :: v_dual_add_f32 v43, 1.0, v29
	v_pk_fma_f32 v[16:17], v[32:33], v[16:17], v[40:41] neg_lo:[1,0,0] neg_hi:[1,0,0]
	s_delay_alu instid0(VALU_DEP_4) | instskip(NEXT) | instid1(VALU_DEP_4)
	v_pk_fma_f32 v[18:19], v[34:35], v[18:19], v[38:39] neg_lo:[1,0,0] neg_hi:[1,0,0]
	v_dual_mul_f32 v46, 0x3fb8aa3b, v26 :: v_dual_mul_f32 v47, 0x3fb8aa3b, v27
	v_dual_mul_f32 v48, 0x3fb8aa3b, v24 :: v_dual_mul_f32 v49, 0x3fb8aa3b, v25
	s_delay_alu instid0(VALU_DEP_3)
	v_pk_fma_f32 v[18:19], v[22:23], v[18:19], v[34:35]
	v_pk_fma_f32 v[16:17], v[20:21], v[16:17], v[32:33]
	v_rcp_f32_e32 v36, v36
	v_rcp_f32_e32 v37, v37
	;; [unrolled: 1-line block ×3, first 2 shown]
	v_pk_fma_f32 v[20:21], v[18:19], s[4:5], s[2:3] op_sel_hi:[1,0,0]
	v_pk_fma_f32 v[22:23], v[16:17], s[4:5], s[2:3] op_sel_hi:[1,0,0]
	v_rcp_f32_e32 v43, v43
	v_fma_f32 v50, 0x3fb8aa3b, v26, -v46
	v_rndne_f32_e32 v51, v46
	v_pk_fma_f32 v[20:21], v[18:19], v[20:21], s[6:7] op_sel_hi:[1,1,0]
	v_pk_fma_f32 v[22:23], v[16:17], v[22:23], s[6:7] op_sel_hi:[1,1,0]
	v_fma_f32 v52, 0x3fb8aa3b, v27, -v47
	v_rndne_f32_e32 v53, v47
	v_fma_f32 v38, 0x3fb8aa3b, v25, -v49
	v_pk_fma_f32 v[20:21], v[18:19], v[20:21], s[8:9] op_sel_hi:[1,1,0]
	v_pk_fma_f32 v[22:23], v[16:17], v[22:23], s[8:9] op_sel_hi:[1,1,0]
	v_rndne_f32_e32 v39, v49
	v_rndne_f32_e32 v55, v48
	v_fmac_f32_e32 v50, 0x32a5705f, v26
	v_pk_fma_f32 v[20:21], v[18:19], v[20:21], s[10:11] op_sel_hi:[1,1,0]
	v_pk_fma_f32 v[22:23], v[16:17], v[22:23], s[10:11] op_sel_hi:[1,1,0]
	v_dual_sub_f32 v32, v46, v51 :: v_dual_sub_f32 v34, v47, v53
	v_sub_f32_e32 v46, v49, v39
	s_delay_alu instid0(VALU_DEP_4) | instskip(NEXT) | instid1(VALU_DEP_4)
	v_pk_fma_f32 v[20:21], v[18:19], v[20:21], s[12:13] op_sel_hi:[1,1,0]
	v_pk_fma_f32 v[22:23], v[16:17], v[22:23], s[12:13] op_sel_hi:[1,1,0]
	s_delay_alu instid0(VALU_DEP_4)
	v_add_f32_e32 v32, v32, v50
	v_fma_f32 v54, 0x3fb8aa3b, v24, -v48
	v_cvt_i32_f32_e32 v33, v51
	v_pk_fma_f32 v[20:21], v[18:19], v[20:21], s[14:15] op_sel_hi:[1,1,0]
	v_pk_fma_f32 v[22:23], v[16:17], v[22:23], s[14:15] op_sel_hi:[1,1,0]
	v_exp_f32_e32 v32, v32
	v_cvt_i32_f32_e32 v35, v53
	v_cvt_i32_f32_e32 v39, v39
	v_pk_fma_f32 v[20:21], v[18:19], v[20:21], s[16:17] op_sel_hi:[1,1,0]
	v_pk_fma_f32 v[22:23], v[16:17], v[22:23], s[16:17] op_sel_hi:[1,1,0]
	v_cmp_ngt_f32_e32 vcc_lo, 0xc2ce8ed0, v26
	v_cvt_i32_f32_e32 v41, v55
	v_ldexp_f32 v32, v32, v33
	v_pk_fma_f32 v[20:21], v[18:19], v[20:21], s[18:19] op_sel_hi:[1,1,0]
	v_pk_fma_f32 v[22:23], v[16:17], v[22:23], s[18:19] op_sel_hi:[1,1,0]
	v_pk_fma_f32 v[12:13], v[12:13], v[8:9], v[26:27] neg_lo:[0,0,1] neg_hi:[0,0,1]
	v_pk_fma_f32 v[14:15], v[14:15], v[10:11], v[24:25] neg_lo:[0,0,1] neg_hi:[0,0,1]
	v_cndmask_b32_e32 v32, 0, v32, vcc_lo
	v_pk_fma_f32 v[18:19], v[18:19], v[20:21], s[20:21] op_sel_hi:[1,1,0]
	v_pk_fma_f32 v[16:17], v[16:17], v[22:23], s[20:21] op_sel_hi:[1,1,0]
	v_cmp_ngt_f32_e32 vcc_lo, 0xc2ce8ed0, v27
	s_delay_alu instid0(VALU_DEP_3) | instskip(SKIP_1) | instid1(VALU_DEP_4)
	v_pk_fma_f32 v[20:21], v[18:19], v[42:43], v[42:43]
	v_fmac_f32_e32 v52, 0x32a5705f, v27
	v_pk_fma_f32 v[22:23], v[16:17], v[36:37], v[36:37]
	v_fmac_f32_e32 v38, 0x32a5705f, v25
	s_delay_alu instid0(VALU_DEP_4) | instskip(NEXT) | instid1(VALU_DEP_3)
	v_dual_sub_f32 v19, v19, v21 :: v_dual_sub_f32 v40, v48, v55
	v_dual_add_f32 v34, v34, v52 :: v_dual_sub_f32 v17, v17, v23
	s_delay_alu instid0(VALU_DEP_3) | instskip(SKIP_2) | instid1(VALU_DEP_4)
	v_add_f32_e32 v38, v46, v38
	v_pk_fma_f32 v[30:31], v[22:23], v[30:31], 1.0 op_sel_hi:[1,1,0] neg_lo:[1,0,0] neg_hi:[1,0,0]
	v_pk_fma_f32 v[28:29], v[20:21], v[28:29], 1.0 op_sel_hi:[1,1,0] neg_lo:[1,0,0] neg_hi:[1,0,0]
	v_exp_f32_e32 v34, v34
	v_sub_f32_e32 v18, v18, v20
	v_exp_f32_e32 v38, v38
	s_delay_alu instid0(VALU_DEP_1) | instskip(NEXT) | instid1(TRANS32_DEP_2)
	v_pk_add_f32 v[18:19], v[28:29], v[18:19]
	v_ldexp_f32 v33, v34, v35
	s_delay_alu instid0(TRANS32_DEP_1) | instskip(SKIP_1) | instid1(VALU_DEP_4)
	v_ldexp_f32 v35, v38, v39
	v_fmac_f32_e32 v54, 0x32a5705f, v24
	v_pk_fma_f32 v[18:19], v[42:43], v[18:19], v[20:21]
	s_delay_alu instid0(VALU_DEP_4) | instskip(SKIP_1) | instid1(VALU_DEP_4)
	v_cndmask_b32_e32 v33, 0, v33, vcc_lo
	v_cmp_ngt_f32_e32 vcc_lo, 0xc2ce8ed0, v24
	v_add_f32_e32 v40, v40, v54
	s_delay_alu instid0(VALU_DEP_1) | instskip(SKIP_1) | instid1(TRANS32_DEP_1)
	v_exp_f32_e32 v40, v40
	v_nop
	v_ldexp_f32 v34, v40, v41
	s_delay_alu instid0(VALU_DEP_1)
	v_cndmask_b32_e32 v34, 0, v34, vcc_lo
	v_cmp_ngt_f32_e32 vcc_lo, 0xc2ce8ed0, v25
	v_cndmask_b32_e32 v35, 0, v35, vcc_lo
	v_cmp_nlt_f32_e32 vcc_lo, 0x42b17218, v26
	v_cndmask_b32_e32 v26, 0x7f800000, v32, vcc_lo
	v_cmp_nlt_f32_e32 vcc_lo, 0x42b17218, v27
	;; [unrolled: 2-line block ×3, first 2 shown]
	s_delay_alu instid0(VALU_DEP_2) | instskip(SKIP_3) | instid1(VALU_DEP_1)
	v_pk_fma_f32 v[12:13], v[26:27], v[12:13], v[26:27]
	v_cndmask_b32_e32 v24, 0x7f800000, v34, vcc_lo
	v_cmp_nlt_f32_e32 vcc_lo, 0x42b17218, v25
	v_dual_sub_f32 v16, v16, v22 :: v_dual_cndmask_b32 v25, 0x7f800000, v35
	v_pk_add_f32 v[16:17], v[30:31], v[16:17]
	v_cmp_nlt_f32_e64 vcc_lo, 0x4120ddfc, |v9|
	s_delay_alu instid0(VALU_DEP_3) | instskip(NEXT) | instid1(VALU_DEP_3)
	v_pk_fma_f32 v[14:15], v[24:25], v[14:15], v[24:25]
	v_pk_fma_f32 v[16:17], v[36:37], v[16:17], v[22:23]
	s_delay_alu instid0(VALU_DEP_2) | instskip(NEXT) | instid1(VALU_DEP_2)
	v_pk_mul_f32 v[14:15], v[14:15], v[18:19]
	v_pk_mul_f32 v[12:13], v[12:13], v[16:17]
	s_delay_alu instid0(VALU_DEP_1) | instskip(SKIP_1) | instid1(VALU_DEP_4)
	v_cndmask_b32_e32 v9, 0, v13, vcc_lo
	v_cmp_nlt_f32_e64 vcc_lo, 0x4120ddfc, |v11|
	v_cndmask_b32_e32 v11, 0, v15, vcc_lo
	v_cmp_nlt_f32_e64 vcc_lo, 0x4120ddfc, |v10|
	;; [unrolled: 2-line block ×3, first 2 shown]
	s_delay_alu instid0(VALU_DEP_1) | instskip(SKIP_2) | instid1(VALU_DEP_3)
	v_dual_sub_f32 v14, 2.0, v11 :: v_dual_cndmask_b32 v8, 0, v12, vcc_lo
	v_sub_f32_e32 v12, 2.0, v9
	v_cmp_gt_f16_e32 vcc_lo, 0, v45
	v_dual_sub_f32 v13, 2.0, v10 :: v_dual_sub_f32 v15, 2.0, v8
	s_delay_alu instid0(VALU_DEP_3)
	v_cndmask_b32_e32 v12, v9, v12, vcc_lo
	v_cmp_gt_f16_e32 vcc_lo, 0, v44
	v_cndmask_b32_e32 v9, v11, v14, vcc_lo
	v_cmp_gt_f16_e32 vcc_lo, 0, v7
	v_cndmask_b32_e32 v10, v10, v13, vcc_lo
	v_cmp_gt_f16_e32 vcc_lo, 0, v6
	v_lshlrev_b64_e32 v[6:7], 2, v[0:1]
	v_cndmask_b32_e32 v8, v8, v15, vcc_lo
	s_delay_alu instid0(VALU_DEP_4) | instskip(NEXT) | instid1(VALU_DEP_3)
	v_cvt_pk_f16_f32 v9, v10, v9
	v_cmp_ge_i64_e32 vcc_lo, v[6:7], v[2:3]
	s_delay_alu instid0(VALU_DEP_3) | instskip(SKIP_4) | instid1(SALU_CYCLE_1)
	v_cvt_pk_f16_f32 v8, v8, v12
	global_store_b64 v[4:5], v[8:9], off
	s_wait_xcnt 0x0
	v_add_nc_u64_e32 v[4:5], s[22:23], v[4:5]
	s_or_b32 s3, vcc_lo, s3
	s_and_not1_b32 exec_lo, exec_lo, s3
	s_cbranch_execnz .LBB6_24
.LBB6_25:
	s_endpgm
	.section	.rodata,"a",@progbits
	.p2align	6, 0x0
	.amdhsa_kernel _ZN2at6native12_GLOBAL__N_125multi_tensor_apply_kernelINS1_18TensorListMetadataILi1EEENS1_14UnaryOpFunctorIN3c104HalfELi1ELi1ELi0EEEJNS0_4ErfcIfEEEEEvT_T0_DpT1_
		.amdhsa_group_segment_fixed_size 0
		.amdhsa_private_segment_fixed_size 0
		.amdhsa_kernarg_size 3632
		.amdhsa_user_sgpr_count 2
		.amdhsa_user_sgpr_dispatch_ptr 0
		.amdhsa_user_sgpr_queue_ptr 0
		.amdhsa_user_sgpr_kernarg_segment_ptr 1
		.amdhsa_user_sgpr_dispatch_id 0
		.amdhsa_user_sgpr_kernarg_preload_length 0
		.amdhsa_user_sgpr_kernarg_preload_offset 0
		.amdhsa_user_sgpr_private_segment_size 0
		.amdhsa_wavefront_size32 1
		.amdhsa_uses_dynamic_stack 0
		.amdhsa_enable_private_segment 0
		.amdhsa_system_sgpr_workgroup_id_x 1
		.amdhsa_system_sgpr_workgroup_id_y 0
		.amdhsa_system_sgpr_workgroup_id_z 0
		.amdhsa_system_sgpr_workgroup_info 0
		.amdhsa_system_vgpr_workitem_id 0
		.amdhsa_next_free_vgpr 56
		.amdhsa_next_free_sgpr 24
		.amdhsa_named_barrier_count 0
		.amdhsa_reserve_vcc 1
		.amdhsa_float_round_mode_32 0
		.amdhsa_float_round_mode_16_64 0
		.amdhsa_float_denorm_mode_32 3
		.amdhsa_float_denorm_mode_16_64 3
		.amdhsa_fp16_overflow 0
		.amdhsa_memory_ordered 1
		.amdhsa_forward_progress 1
		.amdhsa_inst_pref_size 29
		.amdhsa_round_robin_scheduling 0
		.amdhsa_exception_fp_ieee_invalid_op 0
		.amdhsa_exception_fp_denorm_src 0
		.amdhsa_exception_fp_ieee_div_zero 0
		.amdhsa_exception_fp_ieee_overflow 0
		.amdhsa_exception_fp_ieee_underflow 0
		.amdhsa_exception_fp_ieee_inexact 0
		.amdhsa_exception_int_div_zero 0
	.end_amdhsa_kernel
	.section	.text._ZN2at6native12_GLOBAL__N_125multi_tensor_apply_kernelINS1_18TensorListMetadataILi1EEENS1_14UnaryOpFunctorIN3c104HalfELi1ELi1ELi0EEEJNS0_4ErfcIfEEEEEvT_T0_DpT1_,"axG",@progbits,_ZN2at6native12_GLOBAL__N_125multi_tensor_apply_kernelINS1_18TensorListMetadataILi1EEENS1_14UnaryOpFunctorIN3c104HalfELi1ELi1ELi0EEEJNS0_4ErfcIfEEEEEvT_T0_DpT1_,comdat
.Lfunc_end6:
	.size	_ZN2at6native12_GLOBAL__N_125multi_tensor_apply_kernelINS1_18TensorListMetadataILi1EEENS1_14UnaryOpFunctorIN3c104HalfELi1ELi1ELi0EEEJNS0_4ErfcIfEEEEEvT_T0_DpT1_, .Lfunc_end6-_ZN2at6native12_GLOBAL__N_125multi_tensor_apply_kernelINS1_18TensorListMetadataILi1EEENS1_14UnaryOpFunctorIN3c104HalfELi1ELi1ELi0EEEJNS0_4ErfcIfEEEEEvT_T0_DpT1_
                                        ; -- End function
	.set _ZN2at6native12_GLOBAL__N_125multi_tensor_apply_kernelINS1_18TensorListMetadataILi1EEENS1_14UnaryOpFunctorIN3c104HalfELi1ELi1ELi0EEEJNS0_4ErfcIfEEEEEvT_T0_DpT1_.num_vgpr, 56
	.set _ZN2at6native12_GLOBAL__N_125multi_tensor_apply_kernelINS1_18TensorListMetadataILi1EEENS1_14UnaryOpFunctorIN3c104HalfELi1ELi1ELi0EEEJNS0_4ErfcIfEEEEEvT_T0_DpT1_.num_agpr, 0
	.set _ZN2at6native12_GLOBAL__N_125multi_tensor_apply_kernelINS1_18TensorListMetadataILi1EEENS1_14UnaryOpFunctorIN3c104HalfELi1ELi1ELi0EEEJNS0_4ErfcIfEEEEEvT_T0_DpT1_.numbered_sgpr, 24
	.set _ZN2at6native12_GLOBAL__N_125multi_tensor_apply_kernelINS1_18TensorListMetadataILi1EEENS1_14UnaryOpFunctorIN3c104HalfELi1ELi1ELi0EEEJNS0_4ErfcIfEEEEEvT_T0_DpT1_.num_named_barrier, 0
	.set _ZN2at6native12_GLOBAL__N_125multi_tensor_apply_kernelINS1_18TensorListMetadataILi1EEENS1_14UnaryOpFunctorIN3c104HalfELi1ELi1ELi0EEEJNS0_4ErfcIfEEEEEvT_T0_DpT1_.private_seg_size, 0
	.set _ZN2at6native12_GLOBAL__N_125multi_tensor_apply_kernelINS1_18TensorListMetadataILi1EEENS1_14UnaryOpFunctorIN3c104HalfELi1ELi1ELi0EEEJNS0_4ErfcIfEEEEEvT_T0_DpT1_.uses_vcc, 1
	.set _ZN2at6native12_GLOBAL__N_125multi_tensor_apply_kernelINS1_18TensorListMetadataILi1EEENS1_14UnaryOpFunctorIN3c104HalfELi1ELi1ELi0EEEJNS0_4ErfcIfEEEEEvT_T0_DpT1_.uses_flat_scratch, 0
	.set _ZN2at6native12_GLOBAL__N_125multi_tensor_apply_kernelINS1_18TensorListMetadataILi1EEENS1_14UnaryOpFunctorIN3c104HalfELi1ELi1ELi0EEEJNS0_4ErfcIfEEEEEvT_T0_DpT1_.has_dyn_sized_stack, 0
	.set _ZN2at6native12_GLOBAL__N_125multi_tensor_apply_kernelINS1_18TensorListMetadataILi1EEENS1_14UnaryOpFunctorIN3c104HalfELi1ELi1ELi0EEEJNS0_4ErfcIfEEEEEvT_T0_DpT1_.has_recursion, 0
	.set _ZN2at6native12_GLOBAL__N_125multi_tensor_apply_kernelINS1_18TensorListMetadataILi1EEENS1_14UnaryOpFunctorIN3c104HalfELi1ELi1ELi0EEEJNS0_4ErfcIfEEEEEvT_T0_DpT1_.has_indirect_call, 0
	.section	.AMDGPU.csdata,"",@progbits
; Kernel info:
; codeLenInByte = 3708
; TotalNumSgprs: 26
; NumVgprs: 56
; ScratchSize: 0
; MemoryBound: 0
; FloatMode: 240
; IeeeMode: 1
; LDSByteSize: 0 bytes/workgroup (compile time only)
; SGPRBlocks: 0
; VGPRBlocks: 3
; NumSGPRsForWavesPerEU: 26
; NumVGPRsForWavesPerEU: 56
; NamedBarCnt: 0
; Occupancy: 16
; WaveLimiterHint : 0
; COMPUTE_PGM_RSRC2:SCRATCH_EN: 0
; COMPUTE_PGM_RSRC2:USER_SGPR: 2
; COMPUTE_PGM_RSRC2:TRAP_HANDLER: 0
; COMPUTE_PGM_RSRC2:TGID_X_EN: 1
; COMPUTE_PGM_RSRC2:TGID_Y_EN: 0
; COMPUTE_PGM_RSRC2:TGID_Z_EN: 0
; COMPUTE_PGM_RSRC2:TIDIG_COMP_CNT: 0
	.section	.text._ZN2at6native12_GLOBAL__N_125multi_tensor_apply_kernelINS1_18TensorListMetadataILi1EEENS1_14UnaryOpFunctorIN3c108BFloat16ELi1ELi1ELi0EEEJNS0_4ErfcIfEEEEEvT_T0_DpT1_,"axG",@progbits,_ZN2at6native12_GLOBAL__N_125multi_tensor_apply_kernelINS1_18TensorListMetadataILi1EEENS1_14UnaryOpFunctorIN3c108BFloat16ELi1ELi1ELi0EEEJNS0_4ErfcIfEEEEEvT_T0_DpT1_,comdat
	.globl	_ZN2at6native12_GLOBAL__N_125multi_tensor_apply_kernelINS1_18TensorListMetadataILi1EEENS1_14UnaryOpFunctorIN3c108BFloat16ELi1ELi1ELi0EEEJNS0_4ErfcIfEEEEEvT_T0_DpT1_ ; -- Begin function _ZN2at6native12_GLOBAL__N_125multi_tensor_apply_kernelINS1_18TensorListMetadataILi1EEENS1_14UnaryOpFunctorIN3c108BFloat16ELi1ELi1ELi0EEEJNS0_4ErfcIfEEEEEvT_T0_DpT1_
	.p2align	8
	.type	_ZN2at6native12_GLOBAL__N_125multi_tensor_apply_kernelINS1_18TensorListMetadataILi1EEENS1_14UnaryOpFunctorIN3c108BFloat16ELi1ELi1ELi0EEEJNS0_4ErfcIfEEEEEvT_T0_DpT1_,@function
_ZN2at6native12_GLOBAL__N_125multi_tensor_apply_kernelINS1_18TensorListMetadataILi1EEENS1_14UnaryOpFunctorIN3c108BFloat16ELi1ELi1ELi0EEEJNS0_4ErfcIfEEEEEvT_T0_DpT1_: ; @_ZN2at6native12_GLOBAL__N_125multi_tensor_apply_kernelINS1_18TensorListMetadataILi1EEENS1_14UnaryOpFunctorIN3c108BFloat16ELi1ELi1ELi0EEEJNS0_4ErfcIfEEEEEvT_T0_DpT1_
; %bb.0:
	s_bfe_u32 s2, ttmp6, 0x4000c
	s_and_b32 s3, ttmp6, 15
	s_add_co_i32 s2, s2, 1
	s_getreg_b32 s4, hwreg(HW_REG_IB_STS2, 6, 4)
	s_mul_i32 s2, ttmp9, s2
	s_delay_alu instid0(SALU_CYCLE_1)
	s_add_co_i32 s3, s3, s2
	s_cmp_eq_u32 s4, 0
	s_cselect_b32 s2, ttmp9, s3
	s_mov_b32 s3, 0
	s_load_u8 s8, s[0:1], s2 offset:0x6e0
	s_add_nc_u64 s[4:5], s[0:1], s[2:3]
	s_mul_u64 s[6:7], s[2:3], 3
	s_delay_alu instid0(SALU_CYCLE_1)
	s_add_nc_u64 s[4:5], s[4:5], s[6:7]
	s_load_b32 s10, s[4:5], 0x820
	s_wait_kmcnt 0x0
	s_clause 0x1
	s_load_b64 s[6:7], s[0:1], s8 offset:0x0 scale_offset
	s_load_b64 s[12:13], s[0:1], s8 offset:0x370 scale_offset
	s_ashr_i32 s11, s10, 31
	s_wait_kmcnt 0x0
	s_and_b64 s[4:5], s[6:7], 7
	s_and_b32 s2, s12, 3
	s_lshl_b64 s[8:9], s[10:11], 17
	s_or_b64 s[2:3], s[4:5], s[2:3]
	s_lshl_b64 s[4:5], s[10:11], 16
	s_cmp_eq_u64 s[2:3], 0
	s_sub_nc_u64 s[10:11], s[12:13], s[4:5]
	s_cbranch_scc1 .LBB7_21
; %bb.1:
	v_cmp_lt_i64_e64 s2, s[10:11], 1
	s_and_b32 vcc_lo, exec_lo, s2
	s_cbranch_vccnz .LBB7_20
; %bb.2:
	s_load_b32 s2, s[0:1], 0xd3c
	v_min_i64 v[2:3], 0x10000, s[10:11]
	v_min_u64 v[4:5], 0x10000, s[10:11]
	v_dual_mov_b32 v1, 0 :: v_dual_lshlrev_b32 v8, 1, v0
	s_mov_b32 s3, 0
	s_add_nc_u64 s[4:5], s[6:7], s[8:9]
	s_mov_b32 s15, s3
	s_delay_alu instid0(VALU_DEP_1)
	v_mov_b32_e32 v15, v1
	s_mov_b32 s17, s3
	s_mov_b32 s13, s3
	s_mov_b64 s[18:19], 0
	s_wait_kmcnt 0x0
	s_and_b32 s2, s2, 0xffff
	s_delay_alu instid0(SALU_CYCLE_1)
	v_add_nc_u64_e32 v[6:7], s[2:3], v[0:1]
	v_mov_b32_e32 v9, v1
	s_lshl_b32 s14, s2, 1
	s_mul_i32 s16, s2, 3
	v_add_nc_u64_e32 v[12:13], s[14:15], v[0:1]
	v_add_nc_u64_e32 v[10:11], s[16:17], v[0:1]
	s_lshl_b32 s12, s2, 2
	v_lshlrev_b32_e32 v14, 1, v6
	v_add_nc_u64_e32 v[8:9], s[4:5], v[8:9]
	s_lshl_b32 s14, s2, 3
	s_mul_u64 s[16:17], s[2:3], 6
	s_delay_alu instid0(VALU_DEP_2)
	v_add_nc_u64_e32 v[14:15], s[4:5], v[14:15]
	s_mov_b32 s5, 0xb9d6f8c4
	s_branch .LBB7_4
.LBB7_3:                                ;   in Loop: Header=BB7_4 Depth=1
	s_wait_xcnt 0x0
	s_or_b32 exec_lo, exec_lo, s2
	s_add_nc_u64 s[18:19], s[18:19], s[12:13]
	v_add_nc_u64_e32 v[8:9], s[14:15], v[8:9]
	v_cmp_lt_i64_e32 vcc_lo, s[18:19], v[2:3]
	v_add_nc_u64_e32 v[14:15], s[14:15], v[14:15]
	s_cbranch_vccz .LBB7_20
.LBB7_4:                                ; =>This Inner Loop Header: Depth=1
	v_add_nc_u64_e32 v[16:17], s[18:19], v[0:1]
	v_mov_b32_e32 v23, 0
	s_delay_alu instid0(VALU_DEP_2)
	v_cmp_lt_u64_e64 s4, v[16:17], v[4:5]
	s_and_saveexec_b32 s2, s4
	s_cbranch_execz .LBB7_6
; %bb.5:                                ;   in Loop: Header=BB7_4 Depth=1
	global_load_u16 v16, v[8:9], off
	s_wait_loadcnt 0x0
	v_lshlrev_b32_e32 v23, 16, v16
.LBB7_6:                                ;   in Loop: Header=BB7_4 Depth=1
	s_wait_xcnt 0x0
	s_or_b32 exec_lo, exec_lo, s2
	v_add_nc_u64_e32 v[16:17], s[18:19], v[6:7]
	v_dual_mov_b32 v21, 0 :: v_dual_mov_b32 v22, 0
	s_delay_alu instid0(VALU_DEP_2)
	v_cmp_lt_u64_e64 s3, v[16:17], v[4:5]
	s_and_saveexec_b32 s2, s3
	s_cbranch_execz .LBB7_8
; %bb.7:                                ;   in Loop: Header=BB7_4 Depth=1
	global_load_u16 v16, v[14:15], off
	s_wait_loadcnt 0x0
	v_lshlrev_b32_e32 v22, 16, v16
.LBB7_8:                                ;   in Loop: Header=BB7_4 Depth=1
	s_wait_xcnt 0x0
	s_or_b32 exec_lo, exec_lo, s2
	v_add_nc_u64_e32 v[16:17], s[18:19], v[12:13]
	v_add_nc_u64_e32 v[18:19], s[12:13], v[8:9]
	s_delay_alu instid0(VALU_DEP_2)
	v_cmp_lt_u64_e64 s2, v[16:17], v[4:5]
	s_and_saveexec_b32 s20, s2
	s_cbranch_execz .LBB7_10
; %bb.9:                                ;   in Loop: Header=BB7_4 Depth=1
	global_load_u16 v16, v[18:19], off
	s_wait_loadcnt 0x0
	v_lshlrev_b32_e32 v21, 16, v16
.LBB7_10:                               ;   in Loop: Header=BB7_4 Depth=1
	s_wait_xcnt 0x0
	s_or_b32 exec_lo, exec_lo, s20
	v_add_nc_u64_e32 v[16:17], s[18:19], v[10:11]
	v_mov_b32_e32 v20, 0
	s_delay_alu instid0(VALU_DEP_2)
	v_cmp_lt_u64_e32 vcc_lo, v[16:17], v[4:5]
	v_add_nc_u64_e32 v[16:17], s[16:17], v[8:9]
	s_and_saveexec_b32 s20, vcc_lo
	s_cbranch_execnz .LBB7_15
; %bb.11:                               ;   in Loop: Header=BB7_4 Depth=1
	s_or_b32 exec_lo, exec_lo, s20
	s_and_saveexec_b32 s20, s4
	s_cbranch_execnz .LBB7_16
.LBB7_12:                               ;   in Loop: Header=BB7_4 Depth=1
	s_or_b32 exec_lo, exec_lo, s20
	s_and_saveexec_b32 s4, s3
	s_cbranch_execnz .LBB7_17
.LBB7_13:                               ;   in Loop: Header=BB7_4 Depth=1
	s_or_b32 exec_lo, exec_lo, s4
	s_and_saveexec_b32 s3, s2
	s_cbranch_execnz .LBB7_18
.LBB7_14:                               ;   in Loop: Header=BB7_4 Depth=1
	s_or_b32 exec_lo, exec_lo, s3
	s_and_saveexec_b32 s2, vcc_lo
	s_cbranch_execz .LBB7_3
	s_branch .LBB7_19
.LBB7_15:                               ;   in Loop: Header=BB7_4 Depth=1
	global_load_u16 v20, v[16:17], off
	s_wait_loadcnt 0x0
	v_lshlrev_b32_e32 v20, 16, v20
	s_wait_xcnt 0x0
	s_or_b32 exec_lo, exec_lo, s20
	s_and_saveexec_b32 s20, s4
	s_cbranch_execz .LBB7_12
.LBB7_16:                               ;   in Loop: Header=BB7_4 Depth=1
	v_add_f32_e64 v24, |v23|, 2.0
	v_add_f32_e64 v25, |v23|, -2.0
	v_add_f32_e64 v30, |v23|, |v23|
	v_mul_f32_e64 v28, v23, -v23
	s_delay_alu instid0(VALU_DEP_4) | instskip(NEXT) | instid1(VALU_DEP_1)
	v_rcp_f32_e32 v24, v24
	v_cmp_ngt_f32_e64 s4, 0xc2ce8ed0, v28
	s_delay_alu instid0(TRANS32_DEP_1) | instskip(NEXT) | instid1(VALU_DEP_1)
	v_mul_f32_e32 v26, v25, v24
	v_add_f32_e32 v25, 1.0, v26
	s_delay_alu instid0(VALU_DEP_1) | instskip(NEXT) | instid1(VALU_DEP_1)
	v_fma_f32 v25, v25, -2.0, |v23|
	v_fma_f32 v25, -v26, |v23|, v25
	s_delay_alu instid0(VALU_DEP_1) | instskip(NEXT) | instid1(VALU_DEP_1)
	v_dual_fmac_f32 v26, v24, v25 :: v_dual_mul_f32 v25, 0x3fb8aa3b, v28
	v_fmaak_f32 v24, s5, v26, 0xbaa2d753
	s_delay_alu instid0(VALU_DEP_2) | instskip(SKIP_1) | instid1(VALU_DEP_2)
	v_rndne_f32_e32 v27, v25
	v_fma_f32 v29, 0x3fb8aa3b, v28, -v25
	v_dual_fmaak_f32 v24, v26, v24, 0x3aad2fb4 :: v_dual_sub_f32 v25, v25, v27
	s_delay_alu instid0(VALU_DEP_2) | instskip(SKIP_1) | instid1(VALU_DEP_2)
	v_fmac_f32_e32 v29, 0x32a5705f, v28
	v_cvt_i32_f32_e32 v27, v27
	v_dual_fmaak_f32 v24, v26, v24, 0x3c0da267 :: v_dual_add_f32 v25, v25, v29
	s_delay_alu instid0(VALU_DEP_1) | instskip(NEXT) | instid1(VALU_DEP_2)
	v_dual_add_f32 v29, 1.0, v30 :: v_dual_fmaak_f32 v24, v26, v24, 0xbc0415b1
	v_exp_f32_e32 v31, v25
	s_delay_alu instid0(VALU_DEP_1) | instskip(NEXT) | instid1(VALU_DEP_1)
	v_rcp_f32_e32 v25, v29
	v_fmaak_f32 v24, v26, v24, 0xbd5e0a18
	s_delay_alu instid0(VALU_DEP_1) | instskip(NEXT) | instid1(VALU_DEP_1)
	v_fmaak_f32 v24, v26, v24, 0x3e27fe2a
	v_fmaak_f32 v24, v26, v24, 0xbe2a03fd
	s_delay_alu instid0(VALU_DEP_1) | instskip(NEXT) | instid1(VALU_DEP_1)
	v_fmaak_f32 v24, v26, v24, 0xbdbdfb0b
	v_fmaak_f32 v24, v26, v24, 0x3e8dd01c
	v_ldexp_f32 v26, v31, v27
	s_delay_alu instid0(VALU_DEP_1) | instskip(SKIP_1) | instid1(VALU_DEP_2)
	v_dual_fma_f32 v27, v24, v25, v25 :: v_dual_cndmask_b32 v26, 0, v26, s4
	v_cmp_nlt_f32_e64 s4, 0x42b17218, v28
	v_fma_f32 v29, -v27, v30, 1.0
	v_sub_f32_e32 v30, v24, v27
	s_delay_alu instid0(VALU_DEP_3) | instskip(SKIP_2) | instid1(VALU_DEP_3)
	v_cndmask_b32_e64 v24, 0x7f800000, v26, s4
	v_fma_f32 v28, -v23, v23, -v28
	v_cmp_nlt_f32_e64 s4, 0x4120ddfc, |v23|
	v_dual_add_f32 v29, v29, v30 :: v_dual_mov_b32 v26, v24
	s_delay_alu instid0(VALU_DEP_1) | instskip(NEXT) | instid1(VALU_DEP_1)
	v_pk_fma_f32 v[24:25], v[24:25], v[28:29], v[26:27]
	v_mul_f32_e32 v24, v24, v25
	s_delay_alu instid0(VALU_DEP_1) | instskip(SKIP_1) | instid1(VALU_DEP_2)
	v_cndmask_b32_e64 v24, 0, v24, s4
	v_cmp_gt_f32_e64 s4, 0, v23
	v_sub_f32_e32 v25, 2.0, v24
	s_delay_alu instid0(VALU_DEP_1) | instskip(NEXT) | instid1(VALU_DEP_1)
	v_cndmask_b32_e64 v23, v24, v25, s4
	v_bfe_u32 v24, v23, 16, 1
	v_cmp_o_f32_e64 s4, v23, v23
	s_delay_alu instid0(VALU_DEP_2) | instskip(NEXT) | instid1(VALU_DEP_1)
	v_add3_u32 v24, v23, v24, 0x7fff
	v_lshrrev_b32_e32 v24, 16, v24
	s_delay_alu instid0(VALU_DEP_1)
	v_cndmask_b32_e64 v23, 0x7fc0, v24, s4
	global_store_b16 v[8:9], v23, off
	s_wait_xcnt 0x0
	s_or_b32 exec_lo, exec_lo, s20
	s_and_saveexec_b32 s4, s3
	s_cbranch_execz .LBB7_13
.LBB7_17:                               ;   in Loop: Header=BB7_4 Depth=1
	v_add_f32_e64 v23, |v22|, 2.0
	v_add_f32_e64 v24, |v22|, -2.0
	v_add_f32_e64 v29, |v22|, |v22|
	v_mul_f32_e64 v26, v22, -v22
	s_delay_alu instid0(VALU_DEP_4) | instskip(NEXT) | instid1(VALU_DEP_1)
	v_rcp_f32_e32 v23, v23
	v_cmp_ngt_f32_e64 s3, 0xc2ce8ed0, v26
	s_delay_alu instid0(TRANS32_DEP_1) | instskip(NEXT) | instid1(VALU_DEP_1)
	v_mul_f32_e32 v24, v24, v23
	v_add_f32_e32 v25, 1.0, v24
	s_delay_alu instid0(VALU_DEP_1) | instskip(NEXT) | instid1(VALU_DEP_1)
	v_fma_f32 v25, v25, -2.0, |v22|
	v_fma_f32 v25, -v24, |v22|, v25
	s_delay_alu instid0(VALU_DEP_1) | instskip(NEXT) | instid1(VALU_DEP_1)
	v_dual_fmac_f32 v24, v23, v25 :: v_dual_mul_f32 v25, 0x3fb8aa3b, v26
	v_fmaak_f32 v23, s5, v24, 0xbaa2d753
	s_delay_alu instid0(VALU_DEP_2) | instskip(SKIP_1) | instid1(VALU_DEP_1)
	v_rndne_f32_e32 v27, v25
	v_fma_f32 v28, 0x3fb8aa3b, v26, -v25
	v_dual_sub_f32 v25, v25, v27 :: v_dual_fmac_f32 v28, 0x32a5705f, v26
	v_cvt_i32_f32_e32 v27, v27
	s_delay_alu instid0(VALU_DEP_2) | instskip(SKIP_1) | instid1(VALU_DEP_2)
	v_dual_add_f32 v25, v25, v28 :: v_dual_add_f32 v28, 1.0, v29
	v_fmaak_f32 v23, v24, v23, 0x3aad2fb4
	v_exp_f32_e32 v30, v25
	s_delay_alu instid0(VALU_DEP_2) | instskip(NEXT) | instid1(VALU_DEP_1)
	v_rcp_f32_e32 v25, v28
	v_fmaak_f32 v23, v24, v23, 0x3c0da267
	v_fma_f32 v28, -v22, v22, -v26
	s_delay_alu instid0(VALU_DEP_2) | instskip(NEXT) | instid1(VALU_DEP_1)
	v_fmaak_f32 v23, v24, v23, 0xbc0415b1
	v_fmaak_f32 v23, v24, v23, 0xbd5e0a18
	s_delay_alu instid0(VALU_DEP_1) | instskip(NEXT) | instid1(VALU_DEP_1)
	v_fmaak_f32 v23, v24, v23, 0x3e27fe2a
	v_fmaak_f32 v23, v24, v23, 0xbe2a03fd
	s_delay_alu instid0(VALU_DEP_1) | instskip(NEXT) | instid1(VALU_DEP_1)
	v_fmaak_f32 v23, v24, v23, 0xbdbdfb0b
	v_fmaak_f32 v23, v24, v23, 0x3e8dd01c
	v_ldexp_f32 v24, v30, v27
	s_delay_alu instid0(VALU_DEP_1) | instskip(SKIP_1) | instid1(VALU_DEP_2)
	v_dual_fma_f32 v27, v23, v25, v25 :: v_dual_cndmask_b32 v24, 0, v24, s3
	v_cmp_nlt_f32_e64 s3, 0x42b17218, v26
	v_fma_f32 v29, -v27, v29, 1.0
	v_sub_f32_e32 v23, v23, v27
	s_delay_alu instid0(VALU_DEP_3) | instskip(SKIP_1) | instid1(VALU_DEP_2)
	v_cndmask_b32_e64 v24, 0x7f800000, v24, s3
	v_cmp_nlt_f32_e64 s3, 0x4120ddfc, |v22|
	v_dual_add_f32 v29, v29, v23 :: v_dual_mov_b32 v26, v24
	s_delay_alu instid0(VALU_DEP_1) | instskip(NEXT) | instid1(VALU_DEP_1)
	v_pk_fma_f32 v[24:25], v[24:25], v[28:29], v[26:27]
	v_mul_f32_e32 v23, v24, v25
	s_delay_alu instid0(VALU_DEP_1) | instskip(SKIP_1) | instid1(VALU_DEP_2)
	v_cndmask_b32_e64 v23, 0, v23, s3
	v_cmp_gt_f32_e64 s3, 0, v22
	v_sub_f32_e32 v24, 2.0, v23
	s_delay_alu instid0(VALU_DEP_1) | instskip(NEXT) | instid1(VALU_DEP_1)
	v_cndmask_b32_e64 v22, v23, v24, s3
	v_bfe_u32 v23, v22, 16, 1
	v_cmp_o_f32_e64 s3, v22, v22
	s_delay_alu instid0(VALU_DEP_2) | instskip(NEXT) | instid1(VALU_DEP_1)
	v_add3_u32 v23, v22, v23, 0x7fff
	v_lshrrev_b32_e32 v23, 16, v23
	s_delay_alu instid0(VALU_DEP_1)
	v_cndmask_b32_e64 v22, 0x7fc0, v23, s3
	global_store_b16 v[14:15], v22, off
	s_wait_xcnt 0x0
	s_or_b32 exec_lo, exec_lo, s4
	s_and_saveexec_b32 s3, s2
	s_cbranch_execz .LBB7_14
.LBB7_18:                               ;   in Loop: Header=BB7_4 Depth=1
	v_add_f32_e64 v22, |v21|, 2.0
	v_add_f32_e64 v23, |v21|, -2.0
	v_add_f32_e64 v28, |v21|, |v21|
	v_mul_f32_e64 v26, v21, -v21
	s_delay_alu instid0(VALU_DEP_4) | instskip(NEXT) | instid1(VALU_DEP_1)
	v_rcp_f32_e32 v22, v22
	v_cmp_ngt_f32_e64 s2, 0xc2ce8ed0, v26
	s_delay_alu instid0(TRANS32_DEP_1) | instskip(NEXT) | instid1(VALU_DEP_1)
	v_mul_f32_e32 v24, v23, v22
	v_add_f32_e32 v23, 1.0, v24
	s_delay_alu instid0(VALU_DEP_1) | instskip(NEXT) | instid1(VALU_DEP_1)
	v_fma_f32 v23, v23, -2.0, |v21|
	v_fma_f32 v23, -v24, |v21|, v23
	s_delay_alu instid0(VALU_DEP_1) | instskip(NEXT) | instid1(VALU_DEP_1)
	v_dual_fmac_f32 v24, v22, v23 :: v_dual_mul_f32 v23, 0x3fb8aa3b, v26
	v_fmaak_f32 v22, s5, v24, 0xbaa2d753
	s_delay_alu instid0(VALU_DEP_2) | instskip(SKIP_1) | instid1(VALU_DEP_2)
	v_rndne_f32_e32 v25, v23
	v_fma_f32 v27, 0x3fb8aa3b, v26, -v23
	v_dual_fmaak_f32 v22, v24, v22, 0x3aad2fb4 :: v_dual_sub_f32 v23, v23, v25
	s_delay_alu instid0(VALU_DEP_2) | instskip(SKIP_1) | instid1(VALU_DEP_2)
	v_fmac_f32_e32 v27, 0x32a5705f, v26
	v_cvt_i32_f32_e32 v25, v25
	v_dual_fmaak_f32 v22, v24, v22, 0x3c0da267 :: v_dual_add_f32 v23, v23, v27
	s_delay_alu instid0(VALU_DEP_1) | instskip(NEXT) | instid1(VALU_DEP_2)
	v_dual_add_f32 v27, 1.0, v28 :: v_dual_fmaak_f32 v22, v24, v22, 0xbc0415b1
	v_exp_f32_e32 v29, v23
	s_delay_alu instid0(VALU_DEP_1) | instskip(NEXT) | instid1(VALU_DEP_1)
	v_rcp_f32_e32 v23, v27
	v_fmaak_f32 v22, v24, v22, 0xbd5e0a18
	s_delay_alu instid0(VALU_DEP_1) | instskip(NEXT) | instid1(VALU_DEP_1)
	v_fmaak_f32 v22, v24, v22, 0x3e27fe2a
	v_fmaak_f32 v22, v24, v22, 0xbe2a03fd
	s_delay_alu instid0(VALU_DEP_1) | instskip(NEXT) | instid1(VALU_DEP_1)
	v_fmaak_f32 v22, v24, v22, 0xbdbdfb0b
	v_fmaak_f32 v22, v24, v22, 0x3e8dd01c
	v_ldexp_f32 v24, v29, v25
	s_delay_alu instid0(VALU_DEP_1) | instskip(SKIP_1) | instid1(VALU_DEP_2)
	v_dual_fma_f32 v25, v22, v23, v23 :: v_dual_cndmask_b32 v24, 0, v24, s2
	v_cmp_nlt_f32_e64 s2, 0x42b17218, v26
	v_fma_f32 v27, -v25, v28, 1.0
	v_sub_f32_e32 v28, v22, v25
	s_delay_alu instid0(VALU_DEP_3) | instskip(SKIP_2) | instid1(VALU_DEP_3)
	v_cndmask_b32_e64 v22, 0x7f800000, v24, s2
	v_fma_f32 v26, -v21, v21, -v26
	v_cmp_nlt_f32_e64 s2, 0x4120ddfc, |v21|
	v_dual_add_f32 v27, v27, v28 :: v_dual_mov_b32 v24, v22
	s_delay_alu instid0(VALU_DEP_1) | instskip(NEXT) | instid1(VALU_DEP_1)
	v_pk_fma_f32 v[22:23], v[22:23], v[26:27], v[24:25]
	v_mul_f32_e32 v22, v22, v23
	s_delay_alu instid0(VALU_DEP_1) | instskip(SKIP_1) | instid1(VALU_DEP_2)
	v_cndmask_b32_e64 v22, 0, v22, s2
	v_cmp_gt_f32_e64 s2, 0, v21
	v_sub_f32_e32 v23, 2.0, v22
	s_delay_alu instid0(VALU_DEP_1) | instskip(NEXT) | instid1(VALU_DEP_1)
	v_cndmask_b32_e64 v21, v22, v23, s2
	v_bfe_u32 v22, v21, 16, 1
	v_cmp_o_f32_e64 s2, v21, v21
	s_delay_alu instid0(VALU_DEP_2) | instskip(NEXT) | instid1(VALU_DEP_1)
	v_add3_u32 v22, v21, v22, 0x7fff
	v_lshrrev_b32_e32 v22, 16, v22
	s_delay_alu instid0(VALU_DEP_1)
	v_cndmask_b32_e64 v21, 0x7fc0, v22, s2
	global_store_b16 v[18:19], v21, off
	s_wait_xcnt 0x0
	s_or_b32 exec_lo, exec_lo, s3
	s_and_saveexec_b32 s2, vcc_lo
	s_cbranch_execz .LBB7_3
.LBB7_19:                               ;   in Loop: Header=BB7_4 Depth=1
	v_add_f32_e64 v18, |v20|, 2.0
	v_add_f32_e64 v19, |v20|, -2.0
	v_add_f32_e64 v25, |v20|, |v20|
	v_mul_f32_e64 v22, v20, -v20
	s_delay_alu instid0(VALU_DEP_4) | instskip(NEXT) | instid1(VALU_DEP_1)
	v_rcp_f32_e32 v18, v18
	v_cmp_ngt_f32_e32 vcc_lo, 0xc2ce8ed0, v22
	s_delay_alu instid0(TRANS32_DEP_1) | instskip(NEXT) | instid1(VALU_DEP_1)
	v_mul_f32_e32 v21, v19, v18
	v_add_f32_e32 v19, 1.0, v21
	s_delay_alu instid0(VALU_DEP_1) | instskip(NEXT) | instid1(VALU_DEP_1)
	v_fma_f32 v19, v19, -2.0, |v20|
	v_fma_f32 v19, -v21, |v20|, v19
	s_delay_alu instid0(VALU_DEP_1) | instskip(SKIP_1) | instid1(VALU_DEP_1)
	v_fmac_f32_e32 v21, v18, v19
	v_mul_f32_e32 v19, 0x3fb8aa3b, v22
	v_fma_f32 v24, 0x3fb8aa3b, v22, -v19
	v_rndne_f32_e32 v23, v19
	s_delay_alu instid0(VALU_DEP_2) | instskip(NEXT) | instid1(VALU_DEP_2)
	v_fmac_f32_e32 v24, 0x32a5705f, v22
	v_dual_fmaak_f32 v18, s5, v21, 0xbaa2d753 :: v_dual_sub_f32 v19, v19, v23
	v_cvt_i32_f32_e32 v23, v23
	s_delay_alu instid0(VALU_DEP_2) | instskip(SKIP_1) | instid1(VALU_DEP_2)
	v_dual_fmaak_f32 v18, v21, v18, 0x3aad2fb4 :: v_dual_add_f32 v19, v19, v24
	v_add_f32_e32 v24, 1.0, v25
	v_fmaak_f32 v18, v21, v18, 0x3c0da267
	s_delay_alu instid0(VALU_DEP_3) | instskip(NEXT) | instid1(VALU_DEP_2)
	v_exp_f32_e32 v26, v19
	v_rcp_f32_e32 v19, v24
	v_nop
	v_fma_f32 v24, -v20, v20, -v22
	v_fmaak_f32 v18, v21, v18, 0xbc0415b1
	s_delay_alu instid0(VALU_DEP_1) | instskip(NEXT) | instid1(VALU_DEP_1)
	v_fmaak_f32 v18, v21, v18, 0xbd5e0a18
	v_fmaak_f32 v18, v21, v18, 0x3e27fe2a
	s_delay_alu instid0(VALU_DEP_1) | instskip(NEXT) | instid1(VALU_DEP_1)
	v_fmaak_f32 v18, v21, v18, 0xbe2a03fd
	v_fmaak_f32 v18, v21, v18, 0xbdbdfb0b
	s_delay_alu instid0(VALU_DEP_1) | instskip(SKIP_1) | instid1(VALU_DEP_1)
	v_fmaak_f32 v18, v21, v18, 0x3e8dd01c
	v_ldexp_f32 v21, v26, v23
	v_dual_fma_f32 v23, v18, v19, v19 :: v_dual_cndmask_b32 v21, 0, v21, vcc_lo
	v_cmp_nlt_f32_e32 vcc_lo, 0x42b17218, v22
	s_delay_alu instid0(VALU_DEP_2) | instskip(SKIP_1) | instid1(VALU_DEP_4)
	v_fma_f32 v25, -v23, v25, 1.0
	v_sub_f32_e32 v26, v18, v23
	v_cndmask_b32_e32 v18, 0x7f800000, v21, vcc_lo
	v_cmp_nlt_f32_e64 vcc_lo, 0x4120ddfc, |v20|
	s_delay_alu instid0(VALU_DEP_2) | instskip(NEXT) | instid1(VALU_DEP_1)
	v_dual_mov_b32 v22, v18 :: v_dual_add_f32 v25, v25, v26
	v_pk_fma_f32 v[18:19], v[18:19], v[24:25], v[22:23]
	s_delay_alu instid0(VALU_DEP_1) | instskip(NEXT) | instid1(VALU_DEP_1)
	v_mul_f32_e32 v18, v18, v19
	v_cndmask_b32_e32 v18, 0, v18, vcc_lo
	v_cmp_gt_f32_e32 vcc_lo, 0, v20
	s_delay_alu instid0(VALU_DEP_2) | instskip(NEXT) | instid1(VALU_DEP_1)
	v_sub_f32_e32 v19, 2.0, v18
	v_cndmask_b32_e32 v18, v18, v19, vcc_lo
	s_delay_alu instid0(VALU_DEP_1) | instskip(SKIP_1) | instid1(VALU_DEP_2)
	v_bfe_u32 v19, v18, 16, 1
	v_cmp_o_f32_e32 vcc_lo, v18, v18
	v_add3_u32 v19, v18, v19, 0x7fff
	s_delay_alu instid0(VALU_DEP_1) | instskip(NEXT) | instid1(VALU_DEP_1)
	v_lshrrev_b32_e32 v19, 16, v19
	v_cndmask_b32_e32 v18, 0x7fc0, v19, vcc_lo
	global_store_b16 v[16:17], v18, off
	s_branch .LBB7_3
.LBB7_20:
	s_cbranch_execz .LBB7_22
	s_branch .LBB7_25
.LBB7_21:
.LBB7_22:
	v_min_i64 v[2:3], 0x10000, s[10:11]
	v_dual_mov_b32 v5, 0 :: v_dual_lshlrev_b32 v4, 2, v0
	s_mov_b32 s2, exec_lo
	s_delay_alu instid0(VALU_DEP_1)
	v_cmpx_lt_i64_e64 v[4:5], v[2:3]
	s_cbranch_execz .LBB7_25
; %bb.23:
	s_load_b32 s0, s[0:1], 0xd3c
	v_dual_mov_b32 v1, v5 :: v_dual_lshlrev_b32 v4, 3, v0
	s_add_nc_u64 s[20:21], s[6:7], s[8:9]
	s_wait_xcnt 0x0
	s_mov_b32 s1, 0
	s_mov_b32 s2, 0xbaa2d753
	;; [unrolled: 1-line block ×3, first 2 shown]
	v_add_nc_u64_e32 v[4:5], s[20:21], v[4:5]
	s_mov_b32 s6, 0x3aad2fb4
	s_mov_b32 s8, 0x3c0da267
	;; [unrolled: 1-line block ×10, first 2 shown]
	s_wait_kmcnt 0x0
	s_and_b32 s0, s0, 0xffff
	s_delay_alu instid0(SALU_CYCLE_1)
	s_lshl_b32 s22, s0, 3
.LBB7_24:                               ; =>This Inner Loop Header: Depth=1
	global_load_b64 v[6:7], v[4:5], off
	v_add_nc_u64_e32 v[0:1], s[0:1], v[0:1]
	s_wait_loadcnt 0x0
	v_alignbit_b32 v10, v7, v6, 16
	v_and_b32_e32 v9, 0xffff0000, v6
	v_lshlrev_b32_e32 v8, 16, v6
	v_and_b32_e32 v7, 0xffff0000, v7
	s_delay_alu instid0(VALU_DEP_4) | instskip(NEXT) | instid1(VALU_DEP_4)
	v_and_b32_e32 v6, 0xffff0000, v10
	v_xor_b32_e32 v11, 0x80000000, v9
	s_delay_alu instid0(VALU_DEP_4) | instskip(NEXT) | instid1(VALU_DEP_4)
	v_xor_b32_e32 v10, 0x80000000, v8
	v_add_f32_e64 v26, |v7|, 2.0
	v_and_b32_e32 v17, 0x7fffffff, v7
	v_add_f32_e64 v32, |v6|, 2.0
	v_add_f32_e64 v21, |v9|, 2.0
	v_pk_mul_f32 v[18:19], v[8:9], v[10:11]
	v_rcp_f32_e32 v27, v26
	v_and_b32_e32 v15, 0x7fffffff, v9
	v_rcp_f32_e32 v26, v32
	v_rcp_f32_e32 v21, v21
	v_mul_f32_e32 v41, 0x3fb8aa3b, v19
	v_add_f32_e64 v16, |v8|, 2.0
	v_and_b32_e32 v14, 0x7fffffff, v8
	v_xor_b32_e32 v13, 0x80000000, v7
	v_xor_b32_e32 v12, 0x80000000, v6
	v_rndne_f32_e32 v45, v41
	v_rcp_f32_e32 v20, v16
	v_nop
	v_and_b32_e32 v16, 0x7fffffff, v6
	v_pk_add_f32 v[24:25], v[14:15], -2.0 op_sel_hi:[1,0]
	v_pk_add_f32 v[22:23], v[14:15], v[14:15]
	v_pk_mul_f32 v[28:29], v[6:7], v[12:13]
	v_mul_f32_e32 v40, 0x3fb8aa3b, v18
	v_pk_add_f32 v[32:33], v[16:17], -2.0 op_sel_hi:[1,0]
	v_pk_add_f32 v[30:31], v[16:17], v[16:17]
	v_pk_mul_f32 v[24:25], v[24:25], v[20:21]
	v_add_f32_e32 v34, 1.0, v22
	v_mul_f32_e32 v46, 0x3fb8aa3b, v28
	v_pk_mul_f32 v[32:33], v[32:33], v[26:27]
	v_add_f32_e32 v47, 1.0, v30
	v_pk_add_f32 v[36:37], v[24:25], 1.0 op_sel_hi:[1,0]
	v_add_f32_e32 v49, 1.0, v31
	v_add_f32_e32 v35, 1.0, v23
	v_pk_add_f32 v[38:39], v[32:33], 1.0 op_sel_hi:[1,0]
	v_fma_f32 v42, 0x3fb8aa3b, v18, -v40
	v_pk_fma_f32 v[36:37], v[36:37], -2.0, v[14:15] op_sel_hi:[1,0,1]
	v_rndne_f32_e32 v43, v40
	v_fma_f32 v44, 0x3fb8aa3b, v19, -v41
	v_pk_fma_f32 v[38:39], v[38:39], -2.0, v[16:17] op_sel_hi:[1,0,1]
	v_cmp_ngt_f32_e32 vcc_lo, 0xc2ce8ed0, v18
	v_pk_fma_f32 v[14:15], v[24:25], v[14:15], v[36:37] neg_lo:[1,0,0] neg_hi:[1,0,0]
	v_fmac_f32_e32 v42, 0x32a5705f, v18
	v_dual_sub_f32 v40, v40, v43 :: v_dual_sub_f32 v36, v41, v45
	v_pk_fma_f32 v[16:17], v[32:33], v[16:17], v[38:39] neg_lo:[1,0,0] neg_hi:[1,0,0]
	s_delay_alu instid0(VALU_DEP_4)
	v_pk_fma_f32 v[14:15], v[20:21], v[14:15], v[24:25]
	v_rcp_f32_e32 v20, v47
	v_rcp_f32_e32 v21, v49
	v_fma_f32 v38, 0x3fb8aa3b, v28, -v46
	v_pk_fma_f32 v[16:17], v[26:27], v[16:17], v[32:33]
	v_pk_fma_f32 v[24:25], v[14:15], s[4:5], s[2:3] op_sel_hi:[1,0,0]
	v_rndne_f32_e32 v39, v46
	v_mul_f32_e32 v48, 0x3fb8aa3b, v29
	v_rcp_f32_e32 v34, v34
	v_pk_fma_f32 v[26:27], v[16:17], s[4:5], s[2:3] op_sel_hi:[1,0,0]
	v_pk_fma_f32 v[24:25], v[14:15], v[24:25], s[6:7] op_sel_hi:[1,1,0]
	v_sub_f32_e32 v41, v46, v39
	v_fma_f32 v32, 0x3fb8aa3b, v29, -v48
	v_rndne_f32_e32 v33, v48
	v_pk_fma_f32 v[26:27], v[16:17], v[26:27], s[6:7] op_sel_hi:[1,1,0]
	v_pk_fma_f32 v[24:25], v[14:15], v[24:25], s[8:9] op_sel_hi:[1,1,0]
	v_cvt_i32_f32_e32 v39, v39
	v_fmac_f32_e32 v32, 0x32a5705f, v29
	v_add_f32_e32 v40, v40, v42
	v_pk_fma_f32 v[26:27], v[16:17], v[26:27], s[8:9] op_sel_hi:[1,1,0]
	v_pk_fma_f32 v[24:25], v[14:15], v[24:25], s[10:11] op_sel_hi:[1,1,0]
	v_rcp_f32_e32 v35, v35
	v_cvt_i32_f32_e32 v43, v43
	v_cvt_i32_f32_e32 v37, v45
	v_pk_fma_f32 v[26:27], v[16:17], v[26:27], s[10:11] op_sel_hi:[1,1,0]
	v_pk_fma_f32 v[24:25], v[14:15], v[24:25], s[12:13] op_sel_hi:[1,1,0]
	v_pk_fma_f32 v[10:11], v[10:11], v[8:9], v[18:19] neg_lo:[0,0,1] neg_hi:[0,0,1]
	v_pk_fma_f32 v[12:13], v[12:13], v[6:7], v[28:29] neg_lo:[0,0,1] neg_hi:[0,0,1]
	s_delay_alu instid0(VALU_DEP_4) | instskip(NEXT) | instid1(VALU_DEP_4)
	v_pk_fma_f32 v[26:27], v[16:17], v[26:27], s[12:13] op_sel_hi:[1,1,0]
	v_pk_fma_f32 v[24:25], v[14:15], v[24:25], s[14:15] op_sel_hi:[1,1,0]
	s_delay_alu instid0(VALU_DEP_2) | instskip(NEXT) | instid1(VALU_DEP_2)
	v_pk_fma_f32 v[26:27], v[16:17], v[26:27], s[14:15] op_sel_hi:[1,1,0]
	v_pk_fma_f32 v[24:25], v[14:15], v[24:25], s[16:17] op_sel_hi:[1,1,0]
	s_delay_alu instid0(VALU_DEP_2) | instskip(NEXT) | instid1(VALU_DEP_2)
	;; [unrolled: 3-line block ×4, first 2 shown]
	v_pk_fma_f32 v[16:17], v[16:17], v[26:27], s[20:21] op_sel_hi:[1,1,0]
	v_pk_fma_f32 v[24:25], v[14:15], v[34:35], v[34:35]
	s_delay_alu instid0(VALU_DEP_2) | instskip(SKIP_1) | instid1(VALU_DEP_3)
	v_pk_fma_f32 v[26:27], v[16:17], v[20:21], v[20:21]
	v_fmac_f32_e32 v38, 0x32a5705f, v28
	v_pk_fma_f32 v[22:23], v[24:25], v[22:23], 1.0 op_sel_hi:[1,1,0] neg_lo:[1,0,0] neg_hi:[1,0,0]
	v_dual_sub_f32 v14, v14, v24 :: v_dual_sub_f32 v15, v15, v25
	s_delay_alu instid0(VALU_DEP_4) | instskip(NEXT) | instid1(VALU_DEP_4)
	v_dual_sub_f32 v17, v17, v27 :: v_dual_sub_f32 v42, v48, v33
	v_add_f32_e32 v38, v41, v38
	v_cvt_i32_f32_e32 v33, v33
	v_pk_fma_f32 v[30:31], v[26:27], v[30:31], 1.0 op_sel_hi:[1,1,0] neg_lo:[1,0,0] neg_hi:[1,0,0]
	v_pk_add_f32 v[14:15], v[22:23], v[14:15]
	v_add_f32_e32 v32, v42, v32
	v_exp_f32_e32 v38, v38
	v_exp_f32_e32 v40, v40
	v_sub_f32_e32 v16, v16, v26
	v_pk_fma_f32 v[14:15], v[34:35], v[14:15], v[24:25]
	v_exp_f32_e32 v32, v32
	s_delay_alu instid0(TRANS32_DEP_3) | instskip(SKIP_1) | instid1(TRANS32_DEP_2)
	v_ldexp_f32 v38, v38, v39
	v_fmac_f32_e32 v44, 0x32a5705f, v19
	v_ldexp_f32 v40, v40, v43
	v_pk_add_f32 v[16:17], v[30:31], v[16:17]
	s_delay_alu instid0(TRANS32_DEP_1) | instskip(NEXT) | instid1(VALU_DEP_4)
	v_ldexp_f32 v32, v32, v33
	v_add_f32_e32 v36, v36, v44
	s_delay_alu instid0(VALU_DEP_3) | instskip(NEXT) | instid1(VALU_DEP_2)
	v_pk_fma_f32 v[16:17], v[20:21], v[16:17], v[26:27]
	v_exp_f32_e32 v36, v36
	v_nop
	s_delay_alu instid0(TRANS32_DEP_1) | instskip(SKIP_2) | instid1(VALU_DEP_3)
	v_ldexp_f32 v36, v36, v37
	v_cndmask_b32_e32 v37, 0, v40, vcc_lo
	v_cmp_ngt_f32_e32 vcc_lo, 0xc2ce8ed0, v19
	v_cndmask_b32_e32 v36, 0, v36, vcc_lo
	v_cmp_nlt_f32_e32 vcc_lo, 0x42b17218, v18
	s_delay_alu instid0(VALU_DEP_4) | instskip(SKIP_1) | instid1(VALU_DEP_4)
	v_cndmask_b32_e32 v18, 0x7f800000, v37, vcc_lo
	v_cmp_nlt_f32_e32 vcc_lo, 0x42b17218, v19
	v_cndmask_b32_e32 v19, 0x7f800000, v36, vcc_lo
	v_cmp_ngt_f32_e32 vcc_lo, 0xc2ce8ed0, v28
	s_delay_alu instid0(VALU_DEP_2) | instskip(SKIP_2) | instid1(VALU_DEP_3)
	v_pk_fma_f32 v[10:11], v[18:19], v[10:11], v[18:19]
	v_cndmask_b32_e32 v33, 0, v38, vcc_lo
	v_cmp_ngt_f32_e32 vcc_lo, 0xc2ce8ed0, v29
	v_pk_mul_f32 v[10:11], v[10:11], v[14:15]
	v_cndmask_b32_e32 v32, 0, v32, vcc_lo
	v_cmp_nlt_f32_e32 vcc_lo, 0x42b17218, v28
	v_cndmask_b32_e32 v28, 0x7f800000, v33, vcc_lo
	v_cmp_nlt_f32_e32 vcc_lo, 0x42b17218, v29
	s_delay_alu instid0(VALU_DEP_4) | instskip(SKIP_1) | instid1(VALU_DEP_2)
	v_cndmask_b32_e32 v29, 0x7f800000, v32, vcc_lo
	v_cmp_nlt_f32_e64 vcc_lo, 0x4120ddfc, |v8|
	v_pk_fma_f32 v[12:13], v[28:29], v[12:13], v[28:29]
	v_cndmask_b32_e32 v10, 0, v10, vcc_lo
	v_cmp_nlt_f32_e64 vcc_lo, 0x4120ddfc, |v9|
	s_delay_alu instid0(VALU_DEP_3) | instskip(NEXT) | instid1(VALU_DEP_3)
	v_pk_mul_f32 v[12:13], v[12:13], v[16:17]
	v_dual_sub_f32 v14, 2.0, v10 :: v_dual_cndmask_b32 v11, 0, v11
	v_cmp_nlt_f32_e64 vcc_lo, 0x4120ddfc, |v7|
	s_delay_alu instid0(VALU_DEP_1) | instskip(SKIP_1) | instid1(VALU_DEP_1)
	v_dual_sub_f32 v15, 2.0, v11 :: v_dual_cndmask_b32 v13, 0, v13, vcc_lo
	v_cmp_nlt_f32_e64 vcc_lo, 0x4120ddfc, |v6|
	v_dual_sub_f32 v16, 2.0, v13 :: v_dual_cndmask_b32 v12, 0, v12, vcc_lo
	v_cmp_gt_f32_e32 vcc_lo, 0, v8
	v_cndmask_b32_e32 v8, v10, v14, vcc_lo
	v_cmp_gt_f32_e32 vcc_lo, 0, v9
	s_delay_alu instid0(VALU_DEP_4) | instskip(SKIP_1) | instid1(VALU_DEP_2)
	v_dual_sub_f32 v17, 2.0, v12 :: v_dual_cndmask_b32 v9, v11, v15, vcc_lo
	v_cmp_gt_f32_e32 vcc_lo, 0, v6
	v_dual_lshrrev_b32 v10, 16, v8 :: v_dual_cndmask_b32 v6, v12, v17, vcc_lo
	v_cmp_gt_f32_e32 vcc_lo, 0, v7
	s_delay_alu instid0(VALU_DEP_2) | instskip(NEXT) | instid1(VALU_DEP_3)
	v_dual_lshrrev_b32 v12, 16, v9 :: v_dual_bitop2_b32 v10, 1, v10 bitop3:0x40
	v_dual_lshrrev_b32 v11, 16, v6 :: v_dual_cndmask_b32 v7, v13, v16, vcc_lo
	v_cmp_o_f32_e32 vcc_lo, v8, v8
	s_delay_alu instid0(VALU_DEP_3) | instskip(NEXT) | instid1(VALU_DEP_3)
	v_add3_u32 v10, v8, v10, 0x7fff
	v_and_b32_e32 v11, 1, v11
	s_delay_alu instid0(VALU_DEP_2) | instskip(NEXT) | instid1(VALU_DEP_2)
	v_dual_lshrrev_b32 v13, 16, v7 :: v_dual_lshrrev_b32 v10, 16, v10
	v_add3_u32 v11, v6, v11, 0x7fff
	v_and_b32_e32 v12, 1, v12
	s_delay_alu instid0(VALU_DEP_3) | instskip(NEXT) | instid1(VALU_DEP_4)
	v_and_b32_e32 v13, 1, v13
	v_cndmask_b32_e32 v8, 0x7fc0, v10, vcc_lo
	v_cmp_o_f32_e32 vcc_lo, v9, v9
	v_lshrrev_b32_e32 v11, 16, v11
	v_add3_u32 v12, v9, v12, 0x7fff
	v_add3_u32 v13, v7, v13, 0x7fff
	s_delay_alu instid0(VALU_DEP_3) | instskip(NEXT) | instid1(VALU_DEP_3)
	v_and_b32_e32 v10, 0xffff, v11
	v_and_b32_e32 v12, 0xffff0000, v12
	s_delay_alu instid0(VALU_DEP_3) | instskip(NEXT) | instid1(VALU_DEP_2)
	v_and_b32_e32 v13, 0xffff0000, v13
	v_cndmask_b32_e32 v9, 0x7fc00000, v12, vcc_lo
	v_cmp_o_f32_e32 vcc_lo, v7, v7
	s_delay_alu instid0(VALU_DEP_2) | instskip(NEXT) | instid1(VALU_DEP_4)
	v_or3_b32 v8, v8, 0, v9
	v_cndmask_b32_e32 v11, 0x7fc00000, v13, vcc_lo
	v_cmp_o_f32_e32 vcc_lo, v6, v6
	v_lshlrev_b64_e32 v[6:7], 2, v[0:1]
	v_cndmask_b32_e32 v10, 0x7fc0, v10, vcc_lo
	s_delay_alu instid0(VALU_DEP_2) | instskip(NEXT) | instid1(VALU_DEP_2)
	v_cmp_ge_i64_e32 vcc_lo, v[6:7], v[2:3]
	v_or3_b32 v9, 0, v10, v11
	global_store_b64 v[4:5], v[8:9], off
	s_wait_xcnt 0x0
	v_add_nc_u64_e32 v[4:5], s[22:23], v[4:5]
	s_or_b32 s3, vcc_lo, s3
	s_delay_alu instid0(SALU_CYCLE_1)
	s_and_not1_b32 exec_lo, exec_lo, s3
	s_cbranch_execnz .LBB7_24
.LBB7_25:
	s_endpgm
	.section	.rodata,"a",@progbits
	.p2align	6, 0x0
	.amdhsa_kernel _ZN2at6native12_GLOBAL__N_125multi_tensor_apply_kernelINS1_18TensorListMetadataILi1EEENS1_14UnaryOpFunctorIN3c108BFloat16ELi1ELi1ELi0EEEJNS0_4ErfcIfEEEEEvT_T0_DpT1_
		.amdhsa_group_segment_fixed_size 0
		.amdhsa_private_segment_fixed_size 0
		.amdhsa_kernarg_size 3632
		.amdhsa_user_sgpr_count 2
		.amdhsa_user_sgpr_dispatch_ptr 0
		.amdhsa_user_sgpr_queue_ptr 0
		.amdhsa_user_sgpr_kernarg_segment_ptr 1
		.amdhsa_user_sgpr_dispatch_id 0
		.amdhsa_user_sgpr_kernarg_preload_length 0
		.amdhsa_user_sgpr_kernarg_preload_offset 0
		.amdhsa_user_sgpr_private_segment_size 0
		.amdhsa_wavefront_size32 1
		.amdhsa_uses_dynamic_stack 0
		.amdhsa_enable_private_segment 0
		.amdhsa_system_sgpr_workgroup_id_x 1
		.amdhsa_system_sgpr_workgroup_id_y 0
		.amdhsa_system_sgpr_workgroup_id_z 0
		.amdhsa_system_sgpr_workgroup_info 0
		.amdhsa_system_vgpr_workitem_id 0
		.amdhsa_next_free_vgpr 50
		.amdhsa_next_free_sgpr 24
		.amdhsa_named_barrier_count 0
		.amdhsa_reserve_vcc 1
		.amdhsa_float_round_mode_32 0
		.amdhsa_float_round_mode_16_64 0
		.amdhsa_float_denorm_mode_32 3
		.amdhsa_float_denorm_mode_16_64 3
		.amdhsa_fp16_overflow 0
		.amdhsa_memory_ordered 1
		.amdhsa_forward_progress 1
		.amdhsa_inst_pref_size 32
		.amdhsa_round_robin_scheduling 0
		.amdhsa_exception_fp_ieee_invalid_op 0
		.amdhsa_exception_fp_denorm_src 0
		.amdhsa_exception_fp_ieee_div_zero 0
		.amdhsa_exception_fp_ieee_overflow 0
		.amdhsa_exception_fp_ieee_underflow 0
		.amdhsa_exception_fp_ieee_inexact 0
		.amdhsa_exception_int_div_zero 0
	.end_amdhsa_kernel
	.section	.text._ZN2at6native12_GLOBAL__N_125multi_tensor_apply_kernelINS1_18TensorListMetadataILi1EEENS1_14UnaryOpFunctorIN3c108BFloat16ELi1ELi1ELi0EEEJNS0_4ErfcIfEEEEEvT_T0_DpT1_,"axG",@progbits,_ZN2at6native12_GLOBAL__N_125multi_tensor_apply_kernelINS1_18TensorListMetadataILi1EEENS1_14UnaryOpFunctorIN3c108BFloat16ELi1ELi1ELi0EEEJNS0_4ErfcIfEEEEEvT_T0_DpT1_,comdat
.Lfunc_end7:
	.size	_ZN2at6native12_GLOBAL__N_125multi_tensor_apply_kernelINS1_18TensorListMetadataILi1EEENS1_14UnaryOpFunctorIN3c108BFloat16ELi1ELi1ELi0EEEJNS0_4ErfcIfEEEEEvT_T0_DpT1_, .Lfunc_end7-_ZN2at6native12_GLOBAL__N_125multi_tensor_apply_kernelINS1_18TensorListMetadataILi1EEENS1_14UnaryOpFunctorIN3c108BFloat16ELi1ELi1ELi0EEEJNS0_4ErfcIfEEEEEvT_T0_DpT1_
                                        ; -- End function
	.set _ZN2at6native12_GLOBAL__N_125multi_tensor_apply_kernelINS1_18TensorListMetadataILi1EEENS1_14UnaryOpFunctorIN3c108BFloat16ELi1ELi1ELi0EEEJNS0_4ErfcIfEEEEEvT_T0_DpT1_.num_vgpr, 50
	.set _ZN2at6native12_GLOBAL__N_125multi_tensor_apply_kernelINS1_18TensorListMetadataILi1EEENS1_14UnaryOpFunctorIN3c108BFloat16ELi1ELi1ELi0EEEJNS0_4ErfcIfEEEEEvT_T0_DpT1_.num_agpr, 0
	.set _ZN2at6native12_GLOBAL__N_125multi_tensor_apply_kernelINS1_18TensorListMetadataILi1EEENS1_14UnaryOpFunctorIN3c108BFloat16ELi1ELi1ELi0EEEJNS0_4ErfcIfEEEEEvT_T0_DpT1_.numbered_sgpr, 24
	.set _ZN2at6native12_GLOBAL__N_125multi_tensor_apply_kernelINS1_18TensorListMetadataILi1EEENS1_14UnaryOpFunctorIN3c108BFloat16ELi1ELi1ELi0EEEJNS0_4ErfcIfEEEEEvT_T0_DpT1_.num_named_barrier, 0
	.set _ZN2at6native12_GLOBAL__N_125multi_tensor_apply_kernelINS1_18TensorListMetadataILi1EEENS1_14UnaryOpFunctorIN3c108BFloat16ELi1ELi1ELi0EEEJNS0_4ErfcIfEEEEEvT_T0_DpT1_.private_seg_size, 0
	.set _ZN2at6native12_GLOBAL__N_125multi_tensor_apply_kernelINS1_18TensorListMetadataILi1EEENS1_14UnaryOpFunctorIN3c108BFloat16ELi1ELi1ELi0EEEJNS0_4ErfcIfEEEEEvT_T0_DpT1_.uses_vcc, 1
	.set _ZN2at6native12_GLOBAL__N_125multi_tensor_apply_kernelINS1_18TensorListMetadataILi1EEENS1_14UnaryOpFunctorIN3c108BFloat16ELi1ELi1ELi0EEEJNS0_4ErfcIfEEEEEvT_T0_DpT1_.uses_flat_scratch, 0
	.set _ZN2at6native12_GLOBAL__N_125multi_tensor_apply_kernelINS1_18TensorListMetadataILi1EEENS1_14UnaryOpFunctorIN3c108BFloat16ELi1ELi1ELi0EEEJNS0_4ErfcIfEEEEEvT_T0_DpT1_.has_dyn_sized_stack, 0
	.set _ZN2at6native12_GLOBAL__N_125multi_tensor_apply_kernelINS1_18TensorListMetadataILi1EEENS1_14UnaryOpFunctorIN3c108BFloat16ELi1ELi1ELi0EEEJNS0_4ErfcIfEEEEEvT_T0_DpT1_.has_recursion, 0
	.set _ZN2at6native12_GLOBAL__N_125multi_tensor_apply_kernelINS1_18TensorListMetadataILi1EEENS1_14UnaryOpFunctorIN3c108BFloat16ELi1ELi1ELi0EEEJNS0_4ErfcIfEEEEEvT_T0_DpT1_.has_indirect_call, 0
	.section	.AMDGPU.csdata,"",@progbits
; Kernel info:
; codeLenInByte = 4064
; TotalNumSgprs: 26
; NumVgprs: 50
; ScratchSize: 0
; MemoryBound: 0
; FloatMode: 240
; IeeeMode: 1
; LDSByteSize: 0 bytes/workgroup (compile time only)
; SGPRBlocks: 0
; VGPRBlocks: 3
; NumSGPRsForWavesPerEU: 26
; NumVGPRsForWavesPerEU: 50
; NamedBarCnt: 0
; Occupancy: 16
; WaveLimiterHint : 0
; COMPUTE_PGM_RSRC2:SCRATCH_EN: 0
; COMPUTE_PGM_RSRC2:USER_SGPR: 2
; COMPUTE_PGM_RSRC2:TRAP_HANDLER: 0
; COMPUTE_PGM_RSRC2:TGID_X_EN: 1
; COMPUTE_PGM_RSRC2:TGID_Y_EN: 0
; COMPUTE_PGM_RSRC2:TGID_Z_EN: 0
; COMPUTE_PGM_RSRC2:TIDIG_COMP_CNT: 0
	.section	.text._ZN2at6native12_GLOBAL__N_125multi_tensor_apply_kernelINS1_18TensorListMetadataILi2EEENS1_14UnaryOpFunctorIdLi2ELi1ELi1EEEJNS0_6LgammaIdEEEEEvT_T0_DpT1_,"axG",@progbits,_ZN2at6native12_GLOBAL__N_125multi_tensor_apply_kernelINS1_18TensorListMetadataILi2EEENS1_14UnaryOpFunctorIdLi2ELi1ELi1EEEJNS0_6LgammaIdEEEEEvT_T0_DpT1_,comdat
	.globl	_ZN2at6native12_GLOBAL__N_125multi_tensor_apply_kernelINS1_18TensorListMetadataILi2EEENS1_14UnaryOpFunctorIdLi2ELi1ELi1EEEJNS0_6LgammaIdEEEEEvT_T0_DpT1_ ; -- Begin function _ZN2at6native12_GLOBAL__N_125multi_tensor_apply_kernelINS1_18TensorListMetadataILi2EEENS1_14UnaryOpFunctorIdLi2ELi1ELi1EEEJNS0_6LgammaIdEEEEEvT_T0_DpT1_
	.p2align	8
	.type	_ZN2at6native12_GLOBAL__N_125multi_tensor_apply_kernelINS1_18TensorListMetadataILi2EEENS1_14UnaryOpFunctorIdLi2ELi1ELi1EEEJNS0_6LgammaIdEEEEEvT_T0_DpT1_,@function
_ZN2at6native12_GLOBAL__N_125multi_tensor_apply_kernelINS1_18TensorListMetadataILi2EEENS1_14UnaryOpFunctorIdLi2ELi1ELi1EEEJNS0_6LgammaIdEEEEEvT_T0_DpT1_: ; @_ZN2at6native12_GLOBAL__N_125multi_tensor_apply_kernelINS1_18TensorListMetadataILi2EEENS1_14UnaryOpFunctorIdLi2ELi1ELi1EEEJNS0_6LgammaIdEEEEEvT_T0_DpT1_
; %bb.0:
	s_bfe_u32 s2, ttmp6, 0x4000c
	s_and_b32 s3, ttmp6, 15
	s_add_co_i32 s2, s2, 1
	s_getreg_b32 s4, hwreg(HW_REG_IB_STS2, 6, 4)
	s_mul_i32 s2, ttmp9, s2
	s_delay_alu instid0(SALU_CYCLE_1)
	s_add_co_i32 s3, s3, s2
	s_cmp_eq_u32 s4, 0
	s_cselect_b32 s2, ttmp9, s3
	s_mov_b32 s3, 0
	s_load_u8 s10, s[0:1], s2 offset:0x600
	s_add_nc_u64 s[4:5], s[0:1], s[2:3]
	s_mul_u64 s[6:7], s[2:3], 3
	s_delay_alu instid0(SALU_CYCLE_1)
	s_add_nc_u64 s[4:5], s[4:5], s[6:7]
	s_load_b32 s6, s[4:5], 0x740
	s_wait_kmcnt 0x0
	s_clause 0x2
	s_load_b64 s[12:13], s[0:1], s10 offset:0x0 scale_offset
	s_load_b64 s[14:15], s[0:1], s10 offset:0x200 scale_offset
	;; [unrolled: 1-line block ×3, first 2 shown]
	s_mov_b32 s5, s3
	s_ashr_i32 s7, s6, 31
	s_wait_xcnt 0x0
	s_lshl_b64 s[10:11], s[6:7], 19
	s_wait_kmcnt 0x0
	s_and_b32 s4, s8, 3
	s_add_nc_u64 s[20:21], s[14:15], s[10:11]
	s_add_nc_u64 s[18:19], s[12:13], s[10:11]
	s_and_b64 s[16:17], s[20:21], 31
	s_and_b32 s2, s18, 31
	s_or_b64 s[4:5], s[16:17], s[4:5]
	s_lshl_b64 s[6:7], s[6:7], 16
	s_or_b64 s[2:3], s[4:5], s[2:3]
	s_sub_nc_u64 s[16:17], s[8:9], s[6:7]
	s_cmp_eq_u64 s[2:3], 0
	s_mov_b32 s2, -1
	s_cbranch_scc0 .LBB8_141
; %bb.1:
	v_min_i64 v[10:11], 0x10000, s[16:17]
	v_dual_mov_b32 v3, 0 :: v_dual_lshlrev_b32 v2, 2, v0
	s_mov_b32 s33, exec_lo
	s_delay_alu instid0(VALU_DEP_1)
	v_cmpx_lt_i64_e64 v[2:3], v[10:11]
	s_cbranch_execz .LBB8_140
; %bb.2:
	v_mov_b32_e32 v1, v3
	v_mov_b64_e32 v[12:13], 0x3fc385386b47b09a
	v_mov_b64_e32 v[14:15], 0x3f4b67ba4cdad5d1
	;; [unrolled: 1-line block ×14, first 2 shown]
	s_mov_b64 s[22:23], 0x3fe5555555555555
	s_mov_b64 s[24:25], 0x3fe62e42fefa39ef
	;; [unrolled: 1-line block ×11, first 2 shown]
	s_add_nc_u64 s[46:47], s[0:1], 0xc50
	s_mov_b32 s9, 0
	s_mov_b32 s48, 0
                                        ; implicit-def: $vgpr2_vgpr3
                                        ; implicit-def: $vgpr2_vgpr3
	;; [unrolled: 1-line block ×51, first 2 shown]
	s_branch .LBB8_5
.LBB8_3:                                ;   in Loop: Header=BB8_5 Depth=1
	s_or_b32 exec_lo, exec_lo, s4
.LBB8_4:                                ;   in Loop: Header=BB8_5 Depth=1
	s_delay_alu instid0(SALU_CYCLE_1)
	s_or_b32 exec_lo, exec_lo, s3
	v_cmp_gt_f64_e64 s2, 0, v[8:9]
	v_cmp_gt_f64_e64 s3, 0, v[6:7]
	;; [unrolled: 1-line block ×3, first 2 shown]
	v_cmp_class_f64_e64 s50, v[8:9], 0x264
	v_cmp_class_f64_e64 s51, v[6:7], 0x264
	;; [unrolled: 1-line block ×3, first 2 shown]
	v_cmp_gt_f64_e32 vcc_lo, 0, v[2:3]
	v_cmp_lt_u32_e64 s6, 0x432fffff, v47
	v_cmp_lt_u32_e64 s7, 0x432fffff, v43
	;; [unrolled: 1-line block ×3, first 2 shown]
	v_cmp_class_f64_e64 s49, v[2:3], 0x264
	v_cmp_lt_u32_e64 s5, 0x432fffff, v51
	v_add_nc_u64_e32 v[40:41], s[20:21], v[40:41]
	s_and_b32 s2, s2, s6
	s_and_b32 s3, s3, s7
	;; [unrolled: 1-line block ×3, first 2 shown]
	s_or_b32 s2, s50, s2
	s_or_b32 s3, s51, s3
	;; [unrolled: 1-line block ×3, first 2 shown]
	s_and_b32 s5, vcc_lo, s5
	v_cndmask_b32_e64 v42, v48, 0, s2
	v_cndmask_b32_e64 v43, v44, 0, s3
	v_cmp_u_f64_e32 vcc_lo, v[2:3], v[2:3]
	v_cndmask_b32_e64 v47, v49, 0x7ff00000, s2
	v_cmp_u_f64_e64 s2, v[8:9], v[8:9]
	v_cndmask_b32_e64 v45, v45, 0x7ff00000, s3
	v_cmp_u_f64_e64 s3, v[6:7], v[6:7]
	v_cndmask_b32_e64 v44, v56, 0, s4
	v_cndmask_b32_e64 v48, v57, 0x7ff00000, s4
	v_cmp_u_f64_e64 s4, v[4:5], v[4:5]
	s_or_b32 s5, s49, s5
	s_delay_alu instid0(SALU_CYCLE_1) | instskip(SKIP_1) | instid1(VALU_DEP_1)
	v_cndmask_b32_e64 v1, v52, 0, s5
	v_cndmask_b32_e64 v46, v53, 0x7ff00000, s5
	v_dual_cndmask_b32 v3, v46, v3 :: v_dual_cndmask_b32 v2, v1, v2
	v_dual_cndmask_b32 v8, v42, v8, s2 :: v_dual_cndmask_b32 v9, v47, v9, s2
	v_dual_cndmask_b32 v7, v45, v7, s3 :: v_dual_cndmask_b32 v6, v43, v6, s3
	v_cndmask_b32_e64 v4, v44, v4, s4
	v_cndmask_b32_e64 v5, v48, v5, s4
	s_clause 0x1
	global_store_b128 v[40:41], v[6:9], off
	global_store_b128 v[40:41], v[2:5], off offset:16
	s_load_b32 s2, s[46:47], 0xc
	s_wait_kmcnt 0x0
	s_and_b32 s8, s2, 0xffff
	s_delay_alu instid0(SALU_CYCLE_1) | instskip(NEXT) | instid1(VALU_DEP_1)
	v_add_nc_u64_e32 v[38:39], s[8:9], v[38:39]
	v_lshlrev_b64_e32 v[2:3], 2, v[38:39]
	s_delay_alu instid0(VALU_DEP_1) | instskip(SKIP_1) | instid1(SALU_CYCLE_1)
	v_cmp_ge_i64_e32 vcc_lo, v[2:3], v[10:11]
	s_or_b32 s48, vcc_lo, s48
	s_and_not1_b32 exec_lo, exec_lo, s48
	s_cbranch_execz .LBB8_140
.LBB8_5:                                ; =>This Inner Loop Header: Depth=1
	v_lshlrev_b64_e32 v[40:41], 5, v[38:39]
                                        ; implicit-def: $vgpr44_vgpr45
	s_mov_b32 s2, exec_lo
	s_delay_alu instid0(VALU_DEP_1)
	v_add_nc_u64_e32 v[42:43], s[18:19], v[40:41]
	s_clause 0x1
	global_load_b128 v[6:9], v[42:43], off
	global_load_b128 v[2:5], v[42:43], off offset:16
	s_wait_loadcnt 0x1
	s_wait_xcnt 0x0
	v_and_b32_e32 v43, 0x7fffffff, v7
	v_mov_b32_e32 v42, v6
	s_delay_alu instid0(VALU_DEP_2)
	v_cmpx_lt_u32_e32 0x3f6fffff, v43
	s_xor_b32 s5, exec_lo, s2
	s_cbranch_execz .LBB8_31
; %bb.6:                                ;   in Loop: Header=BB8_5 Depth=1
                                        ; implicit-def: $vgpr44_vgpr45
	s_mov_b32 s2, exec_lo
	v_cmpx_lt_u32_e32 0x3fffffff, v43
	s_xor_b32 s3, exec_lo, s2
	s_cbranch_execz .LBB8_16
; %bb.7:                                ;   in Loop: Header=BB8_5 Depth=1
                                        ; implicit-def: $vgpr44_vgpr45
	s_mov_b32 s2, exec_lo
	;; [unrolled: 6-line block ×3, first 2 shown]
	v_cmpx_lt_u32_e32 0x438fffff, v43
	s_xor_b32 s6, exec_lo, s2
	s_cbranch_execz .LBB8_10
; %bb.9:                                ;   in Loop: Header=BB8_5 Depth=1
	v_frexp_mant_f64_e64 v[44:45], |v[6:7]|
	v_cmp_neq_f64_e64 s2, 0, v[6:7]
	s_delay_alu instid0(VALU_DEP_2) | instskip(SKIP_1) | instid1(VALU_DEP_1)
	v_cmp_gt_f64_e32 vcc_lo, s[22:23], v[44:45]
	v_cndmask_b32_e64 v1, 0, 1, vcc_lo
	v_ldexp_f64 v[44:45], v[44:45], v1
	v_frexp_exp_i32_f64_e32 v1, v[6:7]
	s_delay_alu instid0(VALU_DEP_2) | instskip(SKIP_1) | instid1(VALU_DEP_3)
	v_add_f64_e32 v[46:47], 1.0, v[44:45]
	v_add_f64_e32 v[52:53], -1.0, v[44:45]
	v_subrev_co_ci_u32_e64 v1, null, 0, v1, vcc_lo
	v_cmp_neq_f64_e64 vcc_lo, 0x7ff00000, |v[6:7]|
	s_delay_alu instid0(VALU_DEP_4) | instskip(SKIP_1) | instid1(VALU_DEP_1)
	v_rcp_f64_e32 v[48:49], v[46:47]
	v_add_f64_e32 v[54:55], -1.0, v[46:47]
	v_add_f64_e64 v[44:45], v[44:45], -v[54:55]
	s_delay_alu instid0(TRANS32_DEP_1) | instskip(NEXT) | instid1(VALU_DEP_1)
	v_fma_f64 v[50:51], -v[46:47], v[48:49], 1.0
	v_fmac_f64_e32 v[48:49], v[50:51], v[48:49]
	s_delay_alu instid0(VALU_DEP_1) | instskip(NEXT) | instid1(VALU_DEP_1)
	v_fma_f64 v[50:51], -v[46:47], v[48:49], 1.0
	v_fmac_f64_e32 v[48:49], v[50:51], v[48:49]
	s_delay_alu instid0(VALU_DEP_1) | instskip(NEXT) | instid1(VALU_DEP_1)
	v_mul_f64_e32 v[50:51], v[52:53], v[48:49]
	v_mul_f64_e32 v[56:57], v[46:47], v[50:51]
	s_delay_alu instid0(VALU_DEP_1) | instskip(NEXT) | instid1(VALU_DEP_1)
	v_fma_f64 v[46:47], v[50:51], v[46:47], -v[56:57]
	v_fmac_f64_e32 v[46:47], v[50:51], v[44:45]
	s_delay_alu instid0(VALU_DEP_1) | instskip(NEXT) | instid1(VALU_DEP_1)
	v_add_f64_e32 v[44:45], v[56:57], v[46:47]
	v_add_f64_e64 v[54:55], v[52:53], -v[44:45]
	v_add_f64_e64 v[56:57], v[44:45], -v[56:57]
	s_delay_alu instid0(VALU_DEP_2) | instskip(NEXT) | instid1(VALU_DEP_2)
	v_add_f64_e64 v[52:53], v[52:53], -v[54:55]
	v_add_f64_e64 v[46:47], v[56:57], -v[46:47]
	s_delay_alu instid0(VALU_DEP_2) | instskip(NEXT) | instid1(VALU_DEP_1)
	v_add_f64_e64 v[44:45], v[52:53], -v[44:45]
	v_add_f64_e32 v[44:45], v[46:47], v[44:45]
	s_delay_alu instid0(VALU_DEP_1) | instskip(NEXT) | instid1(VALU_DEP_1)
	v_add_f64_e32 v[44:45], v[54:55], v[44:45]
	v_mul_f64_e32 v[44:45], v[48:49], v[44:45]
	s_delay_alu instid0(VALU_DEP_1) | instskip(NEXT) | instid1(VALU_DEP_1)
	v_add_f64_e32 v[46:47], v[50:51], v[44:45]
	v_mul_f64_e32 v[48:49], v[46:47], v[46:47]
	s_delay_alu instid0(VALU_DEP_1) | instskip(SKIP_1) | instid1(VALU_DEP_2)
	v_fmamk_f64 v[52:53], v[48:49], 0x3fc3ab76bf559e2b, v[12:13]
	v_mul_f64_e32 v[54:55], v[46:47], v[48:49]
	v_fmaak_f64 v[52:53], v[48:49], v[52:53], 0x3fc7474dd7f4df2e
	s_delay_alu instid0(VALU_DEP_1) | instskip(NEXT) | instid1(VALU_DEP_1)
	v_fmaak_f64 v[52:53], v[48:49], v[52:53], 0x3fcc71c016291751
	v_fmaak_f64 v[52:53], v[48:49], v[52:53], 0x3fd249249b27acf1
	s_delay_alu instid0(VALU_DEP_1) | instskip(NEXT) | instid1(VALU_DEP_1)
	v_fmaak_f64 v[52:53], v[48:49], v[52:53], 0x3fd99999998ef7b6
	v_fmaak_f64 v[48:49], v[48:49], v[52:53], 0x3fe5555555555780
	v_ldexp_f64 v[52:53], v[46:47], 1
	v_add_f64_e64 v[46:47], v[46:47], -v[50:51]
	s_delay_alu instid0(VALU_DEP_3) | instskip(SKIP_1) | instid1(VALU_DEP_3)
	v_mul_f64_e32 v[48:49], v[54:55], v[48:49]
	v_cvt_f64_i32_e32 v[54:55], v1
	v_add_f64_e64 v[44:45], v[44:45], -v[46:47]
	s_delay_alu instid0(VALU_DEP_3) | instskip(NEXT) | instid1(VALU_DEP_3)
	v_add_f64_e32 v[50:51], v[52:53], v[48:49]
	v_mul_f64_e32 v[56:57], 0x3fe62e42fefa39ef, v[54:55]
	s_delay_alu instid0(VALU_DEP_3) | instskip(NEXT) | instid1(VALU_DEP_3)
	v_ldexp_f64 v[44:45], v[44:45], 1
	v_add_f64_e64 v[46:47], v[50:51], -v[52:53]
	s_delay_alu instid0(VALU_DEP_3) | instskip(NEXT) | instid1(VALU_DEP_2)
	v_fma_f64 v[52:53], v[54:55], s[24:25], -v[56:57]
	v_add_f64_e64 v[46:47], v[48:49], -v[46:47]
	s_delay_alu instid0(VALU_DEP_2) | instskip(NEXT) | instid1(VALU_DEP_2)
	v_fmac_f64_e32 v[52:53], 0x3c7abc9e3b39803f, v[54:55]
	v_add_f64_e32 v[44:45], v[44:45], v[46:47]
	s_delay_alu instid0(VALU_DEP_2) | instskip(NEXT) | instid1(VALU_DEP_2)
	v_add_f64_e32 v[46:47], v[56:57], v[52:53]
	v_add_f64_e32 v[48:49], v[50:51], v[44:45]
	s_delay_alu instid0(VALU_DEP_2) | instskip(NEXT) | instid1(VALU_DEP_2)
	v_add_f64_e64 v[56:57], v[46:47], -v[56:57]
	v_add_f64_e32 v[54:55], v[46:47], v[48:49]
	v_add_f64_e64 v[50:51], v[48:49], -v[50:51]
	s_delay_alu instid0(VALU_DEP_3) | instskip(NEXT) | instid1(VALU_DEP_3)
	v_add_f64_e64 v[52:53], v[52:53], -v[56:57]
	v_add_f64_e64 v[58:59], v[54:55], -v[46:47]
	s_delay_alu instid0(VALU_DEP_3) | instskip(NEXT) | instid1(VALU_DEP_2)
	v_add_f64_e64 v[44:45], v[44:45], -v[50:51]
	v_add_f64_e64 v[60:61], v[54:55], -v[58:59]
	;; [unrolled: 1-line block ×3, first 2 shown]
	s_delay_alu instid0(VALU_DEP_3) | instskip(NEXT) | instid1(VALU_DEP_3)
	v_add_f64_e32 v[50:51], v[52:53], v[44:45]
	v_add_f64_e64 v[46:47], v[46:47], -v[60:61]
	s_delay_alu instid0(VALU_DEP_1) | instskip(NEXT) | instid1(VALU_DEP_3)
	v_add_f64_e32 v[46:47], v[48:49], v[46:47]
	v_add_f64_e64 v[48:49], v[50:51], -v[52:53]
	s_delay_alu instid0(VALU_DEP_2) | instskip(NEXT) | instid1(VALU_DEP_2)
	v_add_f64_e32 v[46:47], v[50:51], v[46:47]
	v_add_f64_e64 v[50:51], v[50:51], -v[48:49]
	v_add_f64_e64 v[44:45], v[44:45], -v[48:49]
	s_delay_alu instid0(VALU_DEP_3) | instskip(NEXT) | instid1(VALU_DEP_3)
	v_add_f64_e32 v[56:57], v[54:55], v[46:47]
	v_add_f64_e64 v[48:49], v[52:53], -v[50:51]
	s_delay_alu instid0(VALU_DEP_2) | instskip(NEXT) | instid1(VALU_DEP_2)
	v_add_f64_e64 v[50:51], v[56:57], -v[54:55]
	v_add_f64_e32 v[44:45], v[44:45], v[48:49]
	s_delay_alu instid0(VALU_DEP_2) | instskip(NEXT) | instid1(VALU_DEP_1)
	v_add_f64_e64 v[46:47], v[46:47], -v[50:51]
	v_add_f64_e32 v[44:45], v[44:45], v[46:47]
	s_delay_alu instid0(VALU_DEP_1) | instskip(NEXT) | instid1(VALU_DEP_1)
	v_add_f64_e32 v[44:45], v[56:57], v[44:45]
	v_cndmask_b32_e32 v1, 0x7ff00000, v45, vcc_lo
	s_and_b32 vcc_lo, s2, vcc_lo
	s_delay_alu instid0(VALU_DEP_2) | instskip(NEXT) | instid1(VALU_DEP_2)
	v_cndmask_b32_e32 v44, 0, v44, vcc_lo
	v_cndmask_b32_e64 v45, 0xfff00000, v1, s2
	s_delay_alu instid0(VALU_DEP_1)
	v_fma_f64 v[44:45], |v[6:7]|, v[44:45], -|v[6:7]|
.LBB8_10:                               ;   in Loop: Header=BB8_5 Depth=1
	s_and_not1_saveexec_b32 s6, s6
	s_cbranch_execz .LBB8_12
; %bb.11:                               ;   in Loop: Header=BB8_5 Depth=1
	v_frexp_mant_f64_e64 v[44:45], |v[6:7]|
	v_and_b32_e32 v59, 0x7fffffff, v7
	v_cmp_neq_f64_e64 s2, 0, v[6:7]
	v_mov_b32_e32 v58, v6
	s_delay_alu instid0(VALU_DEP_1) | instskip(SKIP_1) | instid1(VALU_DEP_2)
	v_div_scale_f64 v[60:61], null, v[58:59], v[58:59], 1.0
	v_cmp_gt_f64_e32 vcc_lo, s[22:23], v[44:45]
	v_rcp_f64_e32 v[64:65], v[60:61]
	v_cndmask_b32_e64 v1, 0, 1, vcc_lo
	s_delay_alu instid0(VALU_DEP_1) | instskip(SKIP_1) | instid1(TRANS32_DEP_1)
	v_ldexp_f64 v[44:45], v[44:45], v1
	v_frexp_exp_i32_f64_e32 v1, v[6:7]
	v_fma_f64 v[68:69], -v[60:61], v[64:65], 1.0
	s_delay_alu instid0(VALU_DEP_3) | instskip(SKIP_1) | instid1(VALU_DEP_4)
	v_add_f64_e32 v[46:47], 1.0, v[44:45]
	v_add_f64_e32 v[52:53], -1.0, v[44:45]
	v_subrev_co_ci_u32_e64 v1, null, 0, v1, vcc_lo
	v_div_scale_f64 v[58:59], vcc_lo, 1.0, v[58:59], 1.0
	v_fmac_f64_e32 v[64:65], v[64:65], v[68:69]
	v_rcp_f64_e32 v[48:49], v[46:47]
	v_add_f64_e32 v[54:55], -1.0, v[46:47]
	s_delay_alu instid0(VALU_DEP_1) | instskip(NEXT) | instid1(TRANS32_DEP_1)
	v_add_f64_e64 v[44:45], v[44:45], -v[54:55]
	v_fma_f64 v[50:51], -v[46:47], v[48:49], 1.0
	s_delay_alu instid0(VALU_DEP_1) | instskip(NEXT) | instid1(VALU_DEP_1)
	v_fmac_f64_e32 v[48:49], v[50:51], v[48:49]
	v_fma_f64 v[50:51], -v[46:47], v[48:49], 1.0
	s_delay_alu instid0(VALU_DEP_1) | instskip(NEXT) | instid1(VALU_DEP_1)
	v_fmac_f64_e32 v[48:49], v[50:51], v[48:49]
	v_mul_f64_e32 v[50:51], v[52:53], v[48:49]
	s_delay_alu instid0(VALU_DEP_1) | instskip(NEXT) | instid1(VALU_DEP_1)
	v_mul_f64_e32 v[56:57], v[46:47], v[50:51]
	v_fma_f64 v[46:47], v[50:51], v[46:47], -v[56:57]
	s_delay_alu instid0(VALU_DEP_1) | instskip(NEXT) | instid1(VALU_DEP_1)
	v_fmac_f64_e32 v[46:47], v[50:51], v[44:45]
	v_add_f64_e32 v[44:45], v[56:57], v[46:47]
	s_delay_alu instid0(VALU_DEP_1) | instskip(SKIP_1) | instid1(VALU_DEP_2)
	v_add_f64_e64 v[54:55], v[52:53], -v[44:45]
	v_add_f64_e64 v[56:57], v[44:45], -v[56:57]
	;; [unrolled: 1-line block ×3, first 2 shown]
	s_delay_alu instid0(VALU_DEP_2) | instskip(NEXT) | instid1(VALU_DEP_2)
	v_add_f64_e64 v[46:47], v[56:57], -v[46:47]
	v_add_f64_e64 v[44:45], v[52:53], -v[44:45]
	s_delay_alu instid0(VALU_DEP_1) | instskip(NEXT) | instid1(VALU_DEP_1)
	v_add_f64_e32 v[44:45], v[46:47], v[44:45]
	v_add_f64_e32 v[44:45], v[54:55], v[44:45]
	s_delay_alu instid0(VALU_DEP_1) | instskip(NEXT) | instid1(VALU_DEP_1)
	v_mul_f64_e32 v[44:45], v[48:49], v[44:45]
	v_add_f64_e32 v[46:47], v[50:51], v[44:45]
	s_delay_alu instid0(VALU_DEP_1) | instskip(NEXT) | instid1(VALU_DEP_1)
	v_mul_f64_e32 v[48:49], v[46:47], v[46:47]
	v_fmamk_f64 v[52:53], v[48:49], 0x3fc3ab76bf559e2b, v[12:13]
	v_mul_f64_e32 v[54:55], v[46:47], v[48:49]
	s_delay_alu instid0(VALU_DEP_2) | instskip(NEXT) | instid1(VALU_DEP_1)
	v_fmaak_f64 v[52:53], v[48:49], v[52:53], 0x3fc7474dd7f4df2e
	v_fmaak_f64 v[52:53], v[48:49], v[52:53], 0x3fcc71c016291751
	s_delay_alu instid0(VALU_DEP_1) | instskip(NEXT) | instid1(VALU_DEP_1)
	v_fmaak_f64 v[52:53], v[48:49], v[52:53], 0x3fd249249b27acf1
	v_fmaak_f64 v[52:53], v[48:49], v[52:53], 0x3fd99999998ef7b6
	s_delay_alu instid0(VALU_DEP_1) | instskip(SKIP_2) | instid1(VALU_DEP_3)
	v_fmaak_f64 v[48:49], v[48:49], v[52:53], 0x3fe5555555555780
	v_ldexp_f64 v[52:53], v[46:47], 1
	v_add_f64_e64 v[46:47], v[46:47], -v[50:51]
	v_mul_f64_e32 v[48:49], v[54:55], v[48:49]
	v_cvt_f64_i32_e32 v[54:55], v1
	s_delay_alu instid0(VALU_DEP_3) | instskip(NEXT) | instid1(VALU_DEP_3)
	v_add_f64_e64 v[44:45], v[44:45], -v[46:47]
	v_add_f64_e32 v[50:51], v[52:53], v[48:49]
	s_delay_alu instid0(VALU_DEP_3) | instskip(NEXT) | instid1(VALU_DEP_3)
	v_mul_f64_e32 v[56:57], 0x3fe62e42fefa39ef, v[54:55]
	v_ldexp_f64 v[44:45], v[44:45], 1
	s_delay_alu instid0(VALU_DEP_3) | instskip(NEXT) | instid1(VALU_DEP_3)
	v_add_f64_e64 v[46:47], v[50:51], -v[52:53]
	v_fma_f64 v[52:53], v[54:55], s[24:25], -v[56:57]
	s_delay_alu instid0(VALU_DEP_2) | instskip(NEXT) | instid1(VALU_DEP_2)
	v_add_f64_e64 v[46:47], v[48:49], -v[46:47]
	v_fmac_f64_e32 v[52:53], 0x3c7abc9e3b39803f, v[54:55]
	s_delay_alu instid0(VALU_DEP_2) | instskip(NEXT) | instid1(VALU_DEP_2)
	v_add_f64_e32 v[44:45], v[44:45], v[46:47]
	v_add_f64_e32 v[46:47], v[56:57], v[52:53]
	s_delay_alu instid0(VALU_DEP_2) | instskip(NEXT) | instid1(VALU_DEP_2)
	v_add_f64_e32 v[48:49], v[50:51], v[44:45]
	v_add_f64_e64 v[56:57], v[46:47], -v[56:57]
	s_delay_alu instid0(VALU_DEP_2) | instskip(SKIP_1) | instid1(VALU_DEP_3)
	v_add_f64_e32 v[54:55], v[46:47], v[48:49]
	v_add_f64_e64 v[50:51], v[48:49], -v[50:51]
	v_add_f64_e64 v[52:53], v[52:53], -v[56:57]
	s_delay_alu instid0(VALU_DEP_3) | instskip(NEXT) | instid1(VALU_DEP_3)
	v_add_f64_e64 v[62:63], v[54:55], -v[46:47]
	v_add_f64_e64 v[44:45], v[44:45], -v[50:51]
	s_delay_alu instid0(VALU_DEP_2) | instskip(SKIP_1) | instid1(VALU_DEP_3)
	v_add_f64_e64 v[66:67], v[54:55], -v[62:63]
	v_add_f64_e64 v[48:49], v[48:49], -v[62:63]
	v_add_f64_e32 v[50:51], v[52:53], v[44:45]
	s_delay_alu instid0(VALU_DEP_3) | instskip(NEXT) | instid1(VALU_DEP_2)
	v_add_f64_e64 v[46:47], v[46:47], -v[66:67]
	v_add_f64_e64 v[56:57], v[50:51], -v[52:53]
	s_delay_alu instid0(VALU_DEP_2) | instskip(SKIP_1) | instid1(VALU_DEP_3)
	v_add_f64_e32 v[46:47], v[48:49], v[46:47]
	v_fma_f64 v[48:49], -v[60:61], v[64:65], 1.0
	v_add_f64_e64 v[44:45], v[44:45], -v[56:57]
	s_delay_alu instid0(VALU_DEP_3) | instskip(NEXT) | instid1(VALU_DEP_3)
	v_add_f64_e32 v[46:47], v[50:51], v[46:47]
	v_fmac_f64_e32 v[64:65], v[64:65], v[48:49]
	v_add_f64_e64 v[48:49], v[50:51], -v[56:57]
	s_delay_alu instid0(VALU_DEP_3) | instskip(NEXT) | instid1(VALU_DEP_3)
	v_add_f64_e32 v[50:51], v[54:55], v[46:47]
	v_mul_f64_e32 v[62:63], v[58:59], v[64:65]
	s_delay_alu instid0(VALU_DEP_3) | instskip(NEXT) | instid1(VALU_DEP_3)
	v_add_f64_e64 v[48:49], v[52:53], -v[48:49]
	v_add_f64_e64 v[52:53], v[50:51], -v[54:55]
	s_delay_alu instid0(VALU_DEP_3) | instskip(NEXT) | instid1(VALU_DEP_3)
	v_fma_f64 v[54:55], -v[60:61], v[62:63], v[58:59]
	v_add_f64_e32 v[44:45], v[44:45], v[48:49]
	s_delay_alu instid0(VALU_DEP_3) | instskip(NEXT) | instid1(VALU_DEP_3)
	v_add_f64_e64 v[46:47], v[46:47], -v[52:53]
	v_div_fmas_f64 v[48:49], v[54:55], v[64:65], v[62:63]
	v_cmp_neq_f64_e64 vcc_lo, 0x7ff00000, |v[6:7]|
	v_add_f64_e64 v[52:53], |v[6:7]|, -0.5
	s_delay_alu instid0(VALU_DEP_4) | instskip(NEXT) | instid1(VALU_DEP_4)
	v_add_f64_e32 v[44:45], v[44:45], v[46:47]
	v_div_fixup_f64 v[46:47], v[48:49], |v[6:7]|, 1.0
	s_delay_alu instid0(VALU_DEP_2) | instskip(NEXT) | instid1(VALU_DEP_2)
	v_add_f64_e32 v[44:45], v[50:51], v[44:45]
	v_mul_f64_e32 v[48:49], v[46:47], v[46:47]
	s_delay_alu instid0(VALU_DEP_2) | instskip(NEXT) | instid1(VALU_DEP_2)
	v_add_f64_e32 v[50:51], -1.0, v[44:45]
	v_fmamk_f64 v[44:45], v[48:49], 0xbf5ab89d0b9e43e4, v[14:15]
	s_delay_alu instid0(VALU_DEP_1) | instskip(NEXT) | instid1(VALU_DEP_1)
	v_fmaak_f64 v[44:45], v[48:49], v[44:45], 0xbf4380cb8c0fe741
	v_fmaak_f64 v[44:45], v[48:49], v[44:45], 0x3f4a019f98cf38b6
	s_delay_alu instid0(VALU_DEP_1) | instskip(NEXT) | instid1(VALU_DEP_1)
	v_fmaak_f64 v[44:45], v[48:49], v[44:45], 0xbf66c16c16b02e5c
	v_fmaak_f64 v[44:45], v[48:49], v[44:45], 0x3fb555555555553b
	v_cndmask_b32_e32 v1, 0x7ff00000, v51, vcc_lo
	s_and_b32 vcc_lo, s2, vcc_lo
	s_delay_alu instid0(VALU_DEP_2) | instskip(NEXT) | instid1(VALU_DEP_2)
	v_fmaak_f64 v[44:45], v[46:47], v[44:45], 0x3fdacfe390c97d69
	v_cndmask_b32_e64 v47, 0xfff00000, v1, s2
	v_cndmask_b32_e32 v46, 0, v50, vcc_lo
	s_delay_alu instid0(VALU_DEP_1)
	v_fmac_f64_e32 v[44:45], v[52:53], v[46:47]
.LBB8_12:                               ;   in Loop: Header=BB8_5 Depth=1
	s_or_b32 exec_lo, exec_lo, s6
.LBB8_13:                               ;   in Loop: Header=BB8_5 Depth=1
	s_and_not1_saveexec_b32 s4, s4
	s_cbranch_execz .LBB8_15
; %bb.14:                               ;   in Loop: Header=BB8_5 Depth=1
	v_cvt_i32_f64_e32 v1, v[42:43]
	s_delay_alu instid0(VALU_DEP_1) | instskip(SKIP_2) | instid1(VALU_DEP_3)
	v_cvt_f64_i32_e32 v[44:45], v1
	v_cmp_lt_i32_e32 vcc_lo, 2, v1
	v_cmp_lt_i32_e64 s2, 3, v1
	v_add_f64_e64 v[44:45], |v[6:7]|, -v[44:45]
	s_delay_alu instid0(VALU_DEP_1) | instskip(SKIP_2) | instid1(VALU_DEP_2)
	v_add_f64_e32 v[50:51], 4.0, v[44:45]
	v_add_f64_e32 v[46:47], 2.0, v[44:45]
	v_add_f64_e32 v[48:49], 0x40080000, v[44:45]
	v_cndmask_b32_e32 v47, 0x3ff00000, v47, vcc_lo
	s_delay_alu instid0(VALU_DEP_3) | instskip(SKIP_1) | instid1(VALU_DEP_4)
	v_cndmask_b32_e32 v46, 0, v46, vcc_lo
	v_cmp_lt_i32_e32 vcc_lo, 4, v1
	v_cndmask_b32_e64 v49, 0x3ff00000, v49, s2
	v_cndmask_b32_e32 v51, 0x3ff00000, v51, vcc_lo
	v_dual_cndmask_b32 v50, 0, v50, vcc_lo :: v_dual_cndmask_b32 v48, 0, v48, s2
	v_cmp_lt_i32_e32 vcc_lo, 5, v1
	s_delay_alu instid0(VALU_DEP_2) | instskip(SKIP_1) | instid1(VALU_DEP_2)
	v_mul_f64_e32 v[46:47], v[46:47], v[48:49]
	v_add_f64_e32 v[48:49], 0x40140000, v[44:45]
	v_mul_f64_e32 v[46:47], v[50:51], v[46:47]
	v_add_f64_e32 v[50:51], 0x40180000, v[44:45]
	s_delay_alu instid0(VALU_DEP_3) | instskip(NEXT) | instid1(VALU_DEP_4)
	v_cndmask_b32_e32 v49, 0x3ff00000, v49, vcc_lo
	v_cndmask_b32_e32 v48, 0, v48, vcc_lo
	v_cmp_lt_i32_e32 vcc_lo, 6, v1
	s_delay_alu instid0(VALU_DEP_2) | instskip(SKIP_2) | instid1(VALU_DEP_1)
	v_mul_f64_e32 v[46:47], v[48:49], v[46:47]
	v_cndmask_b32_e32 v49, 0x3ff00000, v51, vcc_lo
	v_cndmask_b32_e32 v48, 0, v50, vcc_lo
	v_mul_f64_e32 v[46:47], v[48:49], v[46:47]
	s_delay_alu instid0(VALU_DEP_1) | instskip(NEXT) | instid1(VALU_DEP_1)
	v_frexp_mant_f64_e32 v[48:49], v[46:47]
	v_cmp_gt_f64_e32 vcc_lo, s[22:23], v[48:49]
	v_cndmask_b32_e64 v1, 0, 1, vcc_lo
	s_delay_alu instid0(VALU_DEP_1) | instskip(SKIP_1) | instid1(VALU_DEP_2)
	v_ldexp_f64 v[48:49], v[48:49], v1
	v_frexp_exp_i32_f64_e32 v1, v[46:47]
	v_add_f64_e32 v[50:51], 1.0, v[48:49]
	v_add_f64_e32 v[56:57], -1.0, v[48:49]
	s_delay_alu instid0(VALU_DEP_3) | instskip(NEXT) | instid1(VALU_DEP_3)
	v_subrev_co_ci_u32_e64 v1, null, 0, v1, vcc_lo
	v_rcp_f64_e32 v[52:53], v[50:51]
	v_add_f64_e32 v[58:59], -1.0, v[50:51]
	s_delay_alu instid0(VALU_DEP_1) | instskip(NEXT) | instid1(TRANS32_DEP_1)
	v_add_f64_e64 v[48:49], v[48:49], -v[58:59]
	v_fma_f64 v[54:55], -v[50:51], v[52:53], 1.0
	s_delay_alu instid0(VALU_DEP_1) | instskip(NEXT) | instid1(VALU_DEP_1)
	v_fmac_f64_e32 v[52:53], v[54:55], v[52:53]
	v_fma_f64 v[54:55], -v[50:51], v[52:53], 1.0
	s_delay_alu instid0(VALU_DEP_1) | instskip(NEXT) | instid1(VALU_DEP_1)
	v_fmac_f64_e32 v[52:53], v[54:55], v[52:53]
	v_mul_f64_e32 v[54:55], v[56:57], v[52:53]
	s_delay_alu instid0(VALU_DEP_1) | instskip(NEXT) | instid1(VALU_DEP_1)
	v_mul_f64_e32 v[60:61], v[50:51], v[54:55]
	v_fma_f64 v[50:51], v[54:55], v[50:51], -v[60:61]
	s_delay_alu instid0(VALU_DEP_1) | instskip(NEXT) | instid1(VALU_DEP_1)
	v_fmac_f64_e32 v[50:51], v[54:55], v[48:49]
	v_add_f64_e32 v[48:49], v[60:61], v[50:51]
	s_delay_alu instid0(VALU_DEP_1) | instskip(SKIP_1) | instid1(VALU_DEP_2)
	v_add_f64_e64 v[58:59], v[56:57], -v[48:49]
	v_add_f64_e64 v[60:61], v[48:49], -v[60:61]
	v_add_f64_e64 v[56:57], v[56:57], -v[58:59]
	s_delay_alu instid0(VALU_DEP_2) | instskip(NEXT) | instid1(VALU_DEP_2)
	v_add_f64_e64 v[50:51], v[60:61], -v[50:51]
	v_add_f64_e64 v[48:49], v[56:57], -v[48:49]
	s_delay_alu instid0(VALU_DEP_1) | instskip(NEXT) | instid1(VALU_DEP_1)
	v_add_f64_e32 v[48:49], v[50:51], v[48:49]
	v_add_f64_e32 v[48:49], v[58:59], v[48:49]
	s_delay_alu instid0(VALU_DEP_1) | instskip(NEXT) | instid1(VALU_DEP_1)
	v_mul_f64_e32 v[48:49], v[52:53], v[48:49]
	v_add_f64_e32 v[50:51], v[54:55], v[48:49]
	s_delay_alu instid0(VALU_DEP_1) | instskip(NEXT) | instid1(VALU_DEP_1)
	v_mul_f64_e32 v[52:53], v[50:51], v[50:51]
	v_fmamk_f64 v[56:57], v[52:53], 0x3fc3ab76bf559e2b, v[12:13]
	v_mul_f64_e32 v[58:59], v[50:51], v[52:53]
	s_delay_alu instid0(VALU_DEP_2) | instskip(NEXT) | instid1(VALU_DEP_1)
	v_fmaak_f64 v[56:57], v[52:53], v[56:57], 0x3fc7474dd7f4df2e
	v_fmaak_f64 v[56:57], v[52:53], v[56:57], 0x3fcc71c016291751
	s_delay_alu instid0(VALU_DEP_1) | instskip(NEXT) | instid1(VALU_DEP_1)
	v_fmaak_f64 v[56:57], v[52:53], v[56:57], 0x3fd249249b27acf1
	v_fmaak_f64 v[56:57], v[52:53], v[56:57], 0x3fd99999998ef7b6
	s_delay_alu instid0(VALU_DEP_1) | instskip(SKIP_2) | instid1(VALU_DEP_3)
	v_fmaak_f64 v[52:53], v[52:53], v[56:57], 0x3fe5555555555780
	v_ldexp_f64 v[56:57], v[50:51], 1
	v_add_f64_e64 v[50:51], v[50:51], -v[54:55]
	v_mul_f64_e32 v[52:53], v[58:59], v[52:53]
	v_cvt_f64_i32_e32 v[58:59], v1
	s_delay_alu instid0(VALU_DEP_3) | instskip(NEXT) | instid1(VALU_DEP_3)
	v_add_f64_e64 v[48:49], v[48:49], -v[50:51]
	v_add_f64_e32 v[54:55], v[56:57], v[52:53]
	s_delay_alu instid0(VALU_DEP_3) | instskip(NEXT) | instid1(VALU_DEP_3)
	v_mul_f64_e32 v[60:61], 0x3fe62e42fefa39ef, v[58:59]
	v_ldexp_f64 v[48:49], v[48:49], 1
	s_delay_alu instid0(VALU_DEP_3) | instskip(NEXT) | instid1(VALU_DEP_3)
	v_add_f64_e64 v[50:51], v[54:55], -v[56:57]
	v_fma_f64 v[56:57], v[58:59], s[24:25], -v[60:61]
	s_delay_alu instid0(VALU_DEP_2) | instskip(NEXT) | instid1(VALU_DEP_2)
	v_add_f64_e64 v[50:51], v[52:53], -v[50:51]
	v_fmac_f64_e32 v[56:57], 0x3c7abc9e3b39803f, v[58:59]
	v_fmamk_f64 v[52:53], v[44:45], 0x3f00bfecdd17e945, v[16:17]
	s_delay_alu instid0(VALU_DEP_1) | instskip(NEXT) | instid1(VALU_DEP_1)
	v_fmaak_f64 v[52:53], v[44:45], v[52:53], 0x3f9b481c7e939961
	v_fmaak_f64 v[52:53], v[44:45], v[52:53], 0x3fc2bb9cbee5f2f7
	s_delay_alu instid0(VALU_DEP_1) | instskip(NEXT) | instid1(VALU_DEP_1)
	v_fmaak_f64 v[52:53], v[44:45], v[52:53], 0x3fd4d98f4f139f59
	v_fmaak_f64 v[52:53], v[44:45], v[52:53], 0x3fcb848b36e20878
	v_add_f64_e32 v[48:49], v[48:49], v[50:51]
	v_fmamk_f64 v[50:51], v[44:45], 0x3edebaf7a5b38140, v[18:19]
	v_add_f64_e32 v[58:59], v[60:61], v[56:57]
	s_delay_alu instid0(VALU_DEP_4) | instskip(NEXT) | instid1(VALU_DEP_3)
	v_fmaak_f64 v[52:53], v[44:45], v[52:53], 0xbfb3c467e37db0c8
	v_fmaak_f64 v[50:51], v[44:45], v[50:51], 0x3f9317ea742ed475
	s_delay_alu instid0(VALU_DEP_2) | instskip(NEXT) | instid1(VALU_DEP_2)
	v_mul_f64_e32 v[52:53], v[44:45], v[52:53]
	v_fmaak_f64 v[50:51], v[44:45], v[50:51], 0x3fc601edccfbdf27
	s_delay_alu instid0(VALU_DEP_1) | instskip(NEXT) | instid1(VALU_DEP_1)
	v_fmaak_f64 v[50:51], v[44:45], v[50:51], 0x3fe71a1893d3dcdc
	v_fmaak_f64 v[50:51], v[44:45], v[50:51], 0x3ff645a762c4ab74
	v_add_f64_e32 v[62:63], v[54:55], v[48:49]
	v_add_f64_e64 v[60:61], v[58:59], -v[60:61]
	s_delay_alu instid0(VALU_DEP_3) | instskip(NEXT) | instid1(VALU_DEP_3)
	v_fma_f64 v[50:51], v[44:45], v[50:51], 1.0
	v_add_f64_e32 v[64:65], v[58:59], v[62:63]
	v_add_f64_e64 v[54:55], v[62:63], -v[54:55]
	s_delay_alu instid0(VALU_DEP_4) | instskip(NEXT) | instid1(VALU_DEP_4)
	v_add_f64_e64 v[56:57], v[56:57], -v[60:61]
	v_div_scale_f64 v[66:67], null, v[50:51], v[50:51], v[52:53]
	s_delay_alu instid0(VALU_DEP_4) | instskip(NEXT) | instid1(VALU_DEP_4)
	v_add_f64_e64 v[68:69], v[64:65], -v[58:59]
	v_add_f64_e64 v[48:49], v[48:49], -v[54:55]
	s_delay_alu instid0(VALU_DEP_3) | instskip(NEXT) | instid1(VALU_DEP_2)
	v_rcp_f64_e32 v[70:71], v[66:67]
	v_add_f64_e64 v[72:73], v[64:65], -v[68:69]
	v_add_f64_e64 v[54:55], v[62:63], -v[68:69]
	s_delay_alu instid0(VALU_DEP_3) | instskip(SKIP_1) | instid1(TRANS32_DEP_1)
	v_add_f64_e32 v[60:61], v[56:57], v[48:49]
	v_div_scale_f64 v[68:69], vcc_lo, v[52:53], v[50:51], v[52:53]
	v_fma_f64 v[74:75], -v[66:67], v[70:71], 1.0
	v_add_f64_e64 v[58:59], v[58:59], -v[72:73]
	s_delay_alu instid0(VALU_DEP_4) | instskip(NEXT) | instid1(VALU_DEP_3)
	v_add_f64_e64 v[62:63], v[60:61], -v[56:57]
	v_fmac_f64_e32 v[70:71], v[70:71], v[74:75]
	s_delay_alu instid0(VALU_DEP_3) | instskip(NEXT) | instid1(VALU_DEP_3)
	v_add_f64_e32 v[54:55], v[54:55], v[58:59]
	v_add_f64_e64 v[48:49], v[48:49], -v[62:63]
	s_delay_alu instid0(VALU_DEP_3) | instskip(NEXT) | instid1(VALU_DEP_3)
	v_fma_f64 v[58:59], -v[66:67], v[70:71], 1.0
	v_add_f64_e32 v[54:55], v[60:61], v[54:55]
	s_delay_alu instid0(VALU_DEP_2) | instskip(SKIP_1) | instid1(VALU_DEP_3)
	v_fmac_f64_e32 v[70:71], v[70:71], v[58:59]
	v_add_f64_e64 v[58:59], v[60:61], -v[62:63]
	v_add_f64_e32 v[60:61], v[64:65], v[54:55]
	s_delay_alu instid0(VALU_DEP_3) | instskip(NEXT) | instid1(VALU_DEP_3)
	v_mul_f64_e32 v[72:73], v[68:69], v[70:71]
	v_add_f64_e64 v[56:57], v[56:57], -v[58:59]
	s_delay_alu instid0(VALU_DEP_3) | instskip(NEXT) | instid1(VALU_DEP_3)
	v_add_f64_e64 v[58:59], v[60:61], -v[64:65]
	v_fma_f64 v[62:63], -v[66:67], v[72:73], v[68:69]
	s_delay_alu instid0(VALU_DEP_3) | instskip(NEXT) | instid1(VALU_DEP_3)
	v_add_f64_e32 v[48:49], v[48:49], v[56:57]
	v_add_f64_e64 v[54:55], v[54:55], -v[58:59]
	s_delay_alu instid0(VALU_DEP_3) | instskip(SKIP_1) | instid1(VALU_DEP_3)
	v_div_fmas_f64 v[56:57], v[62:63], v[70:71], v[72:73]
	v_cmp_class_f64_e64 vcc_lo, v[46:47], 0x204
	v_add_f64_e32 v[48:49], v[48:49], v[54:55]
	s_delay_alu instid0(VALU_DEP_3) | instskip(NEXT) | instid1(VALU_DEP_2)
	v_div_fixup_f64 v[50:51], v[56:57], v[50:51], v[52:53]
	v_add_f64_e32 v[48:49], v[60:61], v[48:49]
	s_delay_alu instid0(VALU_DEP_2) | instskip(NEXT) | instid1(VALU_DEP_2)
	v_fmac_f64_e32 v[50:51], 0.5, v[44:45]
	v_dual_cndmask_b32 v1, v48, v46 :: v_dual_cndmask_b32 v42, v49, v47
	v_cmp_ngt_f64_e32 vcc_lo, 0, v[46:47]
	s_delay_alu instid0(VALU_DEP_2) | instskip(SKIP_1) | instid1(VALU_DEP_4)
	v_cndmask_b32_e32 v42, 0x7ff80000, v42, vcc_lo
	v_cmp_nge_f64_e32 vcc_lo, 0, v[46:47]
	v_cndmask_b32_e32 v44, 0, v1, vcc_lo
	v_cmp_neq_f64_e32 vcc_lo, 0, v[46:47]
	s_delay_alu instid0(VALU_DEP_4) | instskip(NEXT) | instid1(VALU_DEP_1)
	v_cndmask_b32_e32 v45, 0xfff00000, v42, vcc_lo
	v_add_f64_e32 v[44:45], v[50:51], v[44:45]
.LBB8_15:                               ;   in Loop: Header=BB8_5 Depth=1
	s_or_b32 exec_lo, exec_lo, s4
.LBB8_16:                               ;   in Loop: Header=BB8_5 Depth=1
	s_and_not1_saveexec_b32 s6, s3
	s_cbranch_execz .LBB8_30
; %bb.17:                               ;   in Loop: Header=BB8_5 Depth=1
                                        ; implicit-def: $vgpr1
                                        ; implicit-def: $vgpr44_vgpr45
	s_mov_b32 s2, exec_lo
	v_cmpx_lt_u32_e32 0x3feccccc, v43
	s_xor_b32 s3, exec_lo, s2
	s_cbranch_execz .LBB8_19
; %bb.18:                               ;   in Loop: Header=BB8_5 Depth=1
	v_add_f64_e64 v[44:45], -|v[6:7]|, 2.0
	v_add_f64_e64 v[46:47], |v[6:7]|, s[26:27]
	v_add_f64_e64 v[48:49], |v[6:7]|, -1.0
	v_cmp_gt_u32_e32 vcc_lo, 0x3ffbb4c3, v43
	v_cmp_gt_u32_e64 s2, 0x3ff3b4c4, v43
	s_delay_alu instid0(VALU_DEP_4) | instskip(SKIP_1) | instid1(VALU_DEP_2)
	v_dual_cndmask_b32 v1, v44, v46 :: v_dual_cndmask_b32 v42, v45, v47
	v_cndmask_b32_e64 v46, 0, 1, vcc_lo
	v_dual_cndmask_b32 v44, v1, v48, s2 :: v_dual_cndmask_b32 v45, v42, v49, s2
	s_delay_alu instid0(VALU_DEP_2)
	v_cndmask_b32_e64 v1, v46, 2, s2
.LBB8_19:                               ;   in Loop: Header=BB8_5 Depth=1
	s_or_saveexec_b32 s7, s3
	v_mov_b64_e32 v[46:47], 0
	s_xor_b32 exec_lo, exec_lo, s7
	s_cbranch_execz .LBB8_21
; %bb.20:                               ;   in Loop: Header=BB8_5 Depth=1
	v_frexp_mant_f64_e64 v[44:45], |v[6:7]|
	v_and_b32_e32 v42, 0x7fffffff, v7
	v_cmp_gt_u32_e64 s4, 0x3fcda661, v43
	v_cmp_gt_u32_e64 s3, 0x3fe76944, v43
	v_cmp_neq_f64_e64 s2, 0, v[6:7]
	v_cmp_gt_f64_e32 vcc_lo, s[22:23], v[44:45]
	v_cndmask_b32_e64 v1, 0, 1, vcc_lo
	s_delay_alu instid0(VALU_DEP_1) | instskip(SKIP_1) | instid1(VALU_DEP_2)
	v_ldexp_f64 v[44:45], v[44:45], v1
	v_frexp_exp_i32_f64_e32 v1, v[6:7]
	v_add_f64_e32 v[46:47], 1.0, v[44:45]
	v_add_f64_e32 v[52:53], -1.0, v[44:45]
	s_delay_alu instid0(VALU_DEP_3) | instskip(SKIP_1) | instid1(VALU_DEP_4)
	v_subrev_co_ci_u32_e64 v1, null, 0, v1, vcc_lo
	v_cmp_neq_f64_e64 vcc_lo, 0x7ff00000, |v[6:7]|
	v_rcp_f64_e32 v[48:49], v[46:47]
	v_add_f64_e32 v[54:55], -1.0, v[46:47]
	s_delay_alu instid0(VALU_DEP_1) | instskip(NEXT) | instid1(TRANS32_DEP_1)
	v_add_f64_e64 v[44:45], v[44:45], -v[54:55]
	v_fma_f64 v[50:51], -v[46:47], v[48:49], 1.0
	s_delay_alu instid0(VALU_DEP_1) | instskip(NEXT) | instid1(VALU_DEP_1)
	v_fmac_f64_e32 v[48:49], v[50:51], v[48:49]
	v_fma_f64 v[50:51], -v[46:47], v[48:49], 1.0
	s_delay_alu instid0(VALU_DEP_1) | instskip(NEXT) | instid1(VALU_DEP_1)
	v_fmac_f64_e32 v[48:49], v[50:51], v[48:49]
	v_mul_f64_e32 v[50:51], v[52:53], v[48:49]
	s_delay_alu instid0(VALU_DEP_1) | instskip(NEXT) | instid1(VALU_DEP_1)
	v_mul_f64_e32 v[56:57], v[46:47], v[50:51]
	v_fma_f64 v[46:47], v[50:51], v[46:47], -v[56:57]
	s_delay_alu instid0(VALU_DEP_1) | instskip(NEXT) | instid1(VALU_DEP_1)
	v_fmac_f64_e32 v[46:47], v[50:51], v[44:45]
	v_add_f64_e32 v[44:45], v[56:57], v[46:47]
	s_delay_alu instid0(VALU_DEP_1) | instskip(SKIP_1) | instid1(VALU_DEP_2)
	v_add_f64_e64 v[54:55], v[52:53], -v[44:45]
	v_add_f64_e64 v[56:57], v[44:45], -v[56:57]
	;; [unrolled: 1-line block ×3, first 2 shown]
	s_delay_alu instid0(VALU_DEP_2) | instskip(NEXT) | instid1(VALU_DEP_2)
	v_add_f64_e64 v[46:47], v[56:57], -v[46:47]
	v_add_f64_e64 v[44:45], v[52:53], -v[44:45]
	s_delay_alu instid0(VALU_DEP_1) | instskip(NEXT) | instid1(VALU_DEP_1)
	v_add_f64_e32 v[44:45], v[46:47], v[44:45]
	v_add_f64_e32 v[44:45], v[54:55], v[44:45]
	s_delay_alu instid0(VALU_DEP_1) | instskip(NEXT) | instid1(VALU_DEP_1)
	v_mul_f64_e32 v[44:45], v[48:49], v[44:45]
	v_add_f64_e32 v[46:47], v[50:51], v[44:45]
	s_delay_alu instid0(VALU_DEP_1) | instskip(NEXT) | instid1(VALU_DEP_1)
	v_mul_f64_e32 v[48:49], v[46:47], v[46:47]
	v_fmamk_f64 v[52:53], v[48:49], 0x3fc3ab76bf559e2b, v[12:13]
	v_mul_f64_e32 v[54:55], v[46:47], v[48:49]
	s_delay_alu instid0(VALU_DEP_2) | instskip(NEXT) | instid1(VALU_DEP_1)
	v_fmaak_f64 v[52:53], v[48:49], v[52:53], 0x3fc7474dd7f4df2e
	v_fmaak_f64 v[52:53], v[48:49], v[52:53], 0x3fcc71c016291751
	s_delay_alu instid0(VALU_DEP_1) | instskip(NEXT) | instid1(VALU_DEP_1)
	v_fmaak_f64 v[52:53], v[48:49], v[52:53], 0x3fd249249b27acf1
	v_fmaak_f64 v[52:53], v[48:49], v[52:53], 0x3fd99999998ef7b6
	s_delay_alu instid0(VALU_DEP_1) | instskip(SKIP_2) | instid1(VALU_DEP_3)
	v_fmaak_f64 v[48:49], v[48:49], v[52:53], 0x3fe5555555555780
	v_ldexp_f64 v[52:53], v[46:47], 1
	v_add_f64_e64 v[46:47], v[46:47], -v[50:51]
	v_mul_f64_e32 v[48:49], v[54:55], v[48:49]
	v_cvt_f64_i32_e32 v[54:55], v1
	s_delay_alu instid0(VALU_DEP_3) | instskip(NEXT) | instid1(VALU_DEP_3)
	v_add_f64_e64 v[44:45], v[44:45], -v[46:47]
	v_add_f64_e32 v[50:51], v[52:53], v[48:49]
	s_delay_alu instid0(VALU_DEP_3) | instskip(NEXT) | instid1(VALU_DEP_3)
	v_mul_f64_e32 v[56:57], 0x3fe62e42fefa39ef, v[54:55]
	v_ldexp_f64 v[44:45], v[44:45], 1
	s_delay_alu instid0(VALU_DEP_3) | instskip(NEXT) | instid1(VALU_DEP_3)
	v_add_f64_e64 v[46:47], v[50:51], -v[52:53]
	v_fma_f64 v[52:53], v[54:55], s[24:25], -v[56:57]
	s_delay_alu instid0(VALU_DEP_2) | instskip(NEXT) | instid1(VALU_DEP_2)
	v_add_f64_e64 v[46:47], v[48:49], -v[46:47]
	v_fmac_f64_e32 v[52:53], 0x3c7abc9e3b39803f, v[54:55]
	s_delay_alu instid0(VALU_DEP_2) | instskip(NEXT) | instid1(VALU_DEP_2)
	v_add_f64_e32 v[44:45], v[44:45], v[46:47]
	v_add_f64_e32 v[46:47], v[56:57], v[52:53]
	s_delay_alu instid0(VALU_DEP_2) | instskip(NEXT) | instid1(VALU_DEP_2)
	v_add_f64_e32 v[48:49], v[50:51], v[44:45]
	v_add_f64_e64 v[56:57], v[46:47], -v[56:57]
	s_delay_alu instid0(VALU_DEP_2) | instskip(SKIP_1) | instid1(VALU_DEP_3)
	v_add_f64_e32 v[54:55], v[46:47], v[48:49]
	v_add_f64_e64 v[50:51], v[48:49], -v[50:51]
	v_add_f64_e64 v[52:53], v[52:53], -v[56:57]
	s_delay_alu instid0(VALU_DEP_3) | instskip(NEXT) | instid1(VALU_DEP_3)
	v_add_f64_e64 v[58:59], v[54:55], -v[46:47]
	v_add_f64_e64 v[44:45], v[44:45], -v[50:51]
	s_delay_alu instid0(VALU_DEP_2) | instskip(SKIP_1) | instid1(VALU_DEP_3)
	v_add_f64_e64 v[60:61], v[54:55], -v[58:59]
	v_add_f64_e64 v[48:49], v[48:49], -v[58:59]
	v_add_f64_e32 v[50:51], v[52:53], v[44:45]
	s_delay_alu instid0(VALU_DEP_3) | instskip(NEXT) | instid1(VALU_DEP_1)
	v_add_f64_e64 v[46:47], v[46:47], -v[60:61]
	v_add_f64_e32 v[46:47], v[48:49], v[46:47]
	s_delay_alu instid0(VALU_DEP_3) | instskip(NEXT) | instid1(VALU_DEP_2)
	v_add_f64_e64 v[48:49], v[50:51], -v[52:53]
	v_add_f64_e32 v[46:47], v[50:51], v[46:47]
	s_delay_alu instid0(VALU_DEP_2) | instskip(SKIP_1) | instid1(VALU_DEP_3)
	v_add_f64_e64 v[50:51], v[50:51], -v[48:49]
	v_add_f64_e64 v[44:45], v[44:45], -v[48:49]
	v_add_f64_e32 v[56:57], v[54:55], v[46:47]
	s_delay_alu instid0(VALU_DEP_3) | instskip(NEXT) | instid1(VALU_DEP_2)
	v_add_f64_e64 v[48:49], v[52:53], -v[50:51]
	v_add_f64_e64 v[50:51], v[56:57], -v[54:55]
	s_delay_alu instid0(VALU_DEP_2) | instskip(SKIP_1) | instid1(VALU_DEP_3)
	v_add_f64_e32 v[44:45], v[44:45], v[48:49]
	v_add_f64_e64 v[48:49], |v[6:7]|, s[28:29]
	v_add_f64_e64 v[46:47], v[46:47], -v[50:51]
	s_delay_alu instid0(VALU_DEP_1) | instskip(NEXT) | instid1(VALU_DEP_1)
	v_add_f64_e32 v[44:45], v[44:45], v[46:47]
	v_add_f64_e32 v[46:47], v[56:57], v[44:45]
	v_add_f64_e64 v[44:45], -|v[6:7]|, 1.0
	s_delay_alu instid0(VALU_DEP_2) | instskip(NEXT) | instid1(VALU_DEP_2)
	v_xor_b32_e32 v1, 0x80000000, v47
	v_dual_cndmask_b32 v44, v44, v48, s3 :: v_dual_cndmask_b32 v45, v45, v49, s3
	v_cndmask_b32_e64 v48, 0, 1, s3
	s_delay_alu instid0(VALU_DEP_3) | instskip(SKIP_1) | instid1(VALU_DEP_3)
	v_cndmask_b32_e32 v1, 0xfff00000, v1, vcc_lo
	s_and_b32 vcc_lo, s2, vcc_lo
	v_cndmask_b32_e64 v45, v45, v42, s4
	v_cndmask_b32_e64 v44, v44, v6, s4
	v_cndmask_b32_e32 v46, 0, v46, vcc_lo
	v_cndmask_b32_e64 v47, 0x7ff00000, v1, s2
	v_cndmask_b32_e64 v1, v48, 2, s4
.LBB8_21:                               ;   in Loop: Header=BB8_5 Depth=1
	s_or_b32 exec_lo, exec_lo, s7
	s_delay_alu instid0(SALU_CYCLE_1) | instskip(NEXT) | instid1(VALU_DEP_1)
	s_mov_b32 s2, exec_lo
                                        ; implicit-def: $vgpr48_vgpr49
	v_cmpx_lt_i32_e32 1, v1
	s_xor_b32 s2, exec_lo, s2
	s_cbranch_execz .LBB8_23
; %bb.22:                               ;   in Loop: Header=BB8_5 Depth=1
	s_delay_alu instid0(VALU_DEP_4) | instskip(SKIP_1) | instid1(VALU_DEP_2)
	v_fmamk_f64 v[48:49], v[44:45], 0x3f8b678bbf2bab09, v[20:21]
	v_fmamk_f64 v[50:51], v[44:45], 0x3f6a5abb57d0cf61, v[22:23]
                                        ; implicit-def: $vgpr1
	v_fmaak_f64 v[48:49], v[44:45], v[48:49], 0x3fef497644ea8450
	s_delay_alu instid0(VALU_DEP_2) | instskip(NEXT) | instid1(VALU_DEP_2)
	v_fmaak_f64 v[50:51], v[44:45], v[50:51], 0x3fe89dfbe45050af
	v_fmaak_f64 v[48:49], v[44:45], v[48:49], 0x3ff7475cd119bd6f
	s_delay_alu instid0(VALU_DEP_2) | instskip(NEXT) | instid1(VALU_DEP_2)
	v_fmaak_f64 v[50:51], v[44:45], v[50:51], 0x40010725a42b18f5
	;; [unrolled: 3-line block ×3, first 2 shown]
	v_fmaak_f64 v[48:49], v[44:45], v[48:49], 0xbfb3c467e37db0c8
	s_delay_alu instid0(VALU_DEP_2) | instskip(NEXT) | instid1(VALU_DEP_2)
	v_fma_f64 v[50:51], v[44:45], v[50:51], 1.0
	v_mul_f64_e32 v[48:49], v[44:45], v[48:49]
	s_delay_alu instid0(VALU_DEP_1) | instskip(NEXT) | instid1(VALU_DEP_1)
	v_div_scale_f64 v[52:53], null, v[50:51], v[50:51], v[48:49]
	v_rcp_f64_e32 v[54:55], v[52:53]
	v_nop
	s_delay_alu instid0(TRANS32_DEP_1) | instskip(NEXT) | instid1(VALU_DEP_1)
	v_fma_f64 v[56:57], -v[52:53], v[54:55], 1.0
	v_fmac_f64_e32 v[54:55], v[54:55], v[56:57]
	s_delay_alu instid0(VALU_DEP_1) | instskip(NEXT) | instid1(VALU_DEP_1)
	v_fma_f64 v[56:57], -v[52:53], v[54:55], 1.0
	v_fmac_f64_e32 v[54:55], v[54:55], v[56:57]
	v_div_scale_f64 v[56:57], vcc_lo, v[48:49], v[50:51], v[48:49]
	s_delay_alu instid0(VALU_DEP_1) | instskip(NEXT) | instid1(VALU_DEP_1)
	v_mul_f64_e32 v[58:59], v[56:57], v[54:55]
	v_fma_f64 v[52:53], -v[52:53], v[58:59], v[56:57]
	s_delay_alu instid0(VALU_DEP_1) | instskip(NEXT) | instid1(VALU_DEP_1)
	v_div_fmas_f64 v[52:53], v[52:53], v[54:55], v[58:59]
	v_div_fixup_f64 v[48:49], v[52:53], v[50:51], v[48:49]
	s_delay_alu instid0(VALU_DEP_1)
	v_fmac_f64_e32 v[48:49], -0.5, v[44:45]
                                        ; implicit-def: $vgpr44_vgpr45
.LBB8_23:                               ;   in Loop: Header=BB8_5 Depth=1
	s_and_not1_saveexec_b32 s2, s2
	s_cbranch_execz .LBB8_29
; %bb.24:                               ;   in Loop: Header=BB8_5 Depth=1
	s_delay_alu instid0(VALU_DEP_4)
	v_mul_f64_e32 v[50:51], v[44:45], v[44:45]
	s_mov_b32 s3, exec_lo
                                        ; implicit-def: $vgpr48_vgpr49
	v_cmpx_ne_u32_e32 1, v1
	s_xor_b32 s3, exec_lo, s3
	s_cbranch_execz .LBB8_26
; %bb.25:                               ;   in Loop: Header=BB8_5 Depth=1
	s_delay_alu instid0(VALU_DEP_2) | instskip(SKIP_1) | instid1(VALU_DEP_2)
	v_fmamk_f64 v[48:49], v[50:51], 0x3f07858e90a45837, v[26:27]
	v_fmamk_f64 v[52:53], v[50:51], 0x3efa7074428cfa52, v[24:25]
	v_fmaak_f64 v[48:49], v[50:51], v[48:49], 0x3f40b6c689b99c00
	s_delay_alu instid0(VALU_DEP_2) | instskip(NEXT) | instid1(VALU_DEP_2)
	v_fmaak_f64 v[52:53], v[50:51], v[52:53], 0x3f538a94116f3f5d
	v_fmaak_f64 v[48:49], v[50:51], v[48:49], 0x3f67add8ccb7926b
	s_delay_alu instid0(VALU_DEP_2) | instskip(NEXT) | instid1(VALU_DEP_2)
	v_fmaak_f64 v[52:53], v[50:51], v[52:53], 0x3f7e404fb68fefe8
	;; [unrolled: 3-line block ×3, first 2 shown]
	v_fmaak_f64 v[48:49], v[50:51], v[48:49], 0x3fd4a34cc4a60fad
	s_delay_alu instid0(VALU_DEP_1) | instskip(NEXT) | instid1(VALU_DEP_3)
	v_mul_f64_e32 v[48:49], v[50:51], v[48:49]
	v_fmaak_f64 v[50:51], v[50:51], v[52:53], 0x3fb3c467e37db0c8
	s_delay_alu instid0(VALU_DEP_1) | instskip(NEXT) | instid1(VALU_DEP_1)
	v_fmac_f64_e32 v[48:49], v[44:45], v[50:51]
                                        ; implicit-def: $vgpr50_vgpr51
	v_fmac_f64_e32 v[48:49], -0.5, v[44:45]
                                        ; implicit-def: $vgpr44_vgpr45
.LBB8_26:                               ;   in Loop: Header=BB8_5 Depth=1
	s_and_not1_saveexec_b32 s3, s3
	s_cbranch_execz .LBB8_28
; %bb.27:                               ;   in Loop: Header=BB8_5 Depth=1
	s_delay_alu instid0(VALU_DEP_2) | instskip(NEXT) | instid1(VALU_DEP_1)
	v_mul_f64_e32 v[48:49], v[44:45], v[50:51]
	v_fmamk_f64 v[52:53], v[48:49], 0xbf347f24ecc38c38, v[30:31]
	v_fmamk_f64 v[54:55], v[48:49], 0x3f35fd3ee8c2d3f4, v[32:33]
	s_delay_alu instid0(VALU_DEP_2) | instskip(NEXT) | instid1(VALU_DEP_2)
	v_fmaak_f64 v[52:53], v[48:49], v[52:53], 0xbf6e2effb3e914d7
	v_fmaak_f64 v[54:55], v[48:49], v[54:55], 0x3f6282d32e15c915
	s_delay_alu instid0(VALU_DEP_2) | instskip(NEXT) | instid1(VALU_DEP_2)
	v_fmaak_f64 v[52:53], v[48:49], v[52:53], 0x3f9266e7970af9ec
	v_fmaak_f64 v[54:55], v[48:49], v[54:55], 0xbf851f9fba91ec6a
	;; [unrolled: 3-line block ×3, first 2 shown]
	s_delay_alu instid0(VALU_DEP_1) | instskip(NEXT) | instid1(VALU_DEP_1)
	v_fmac_f64_e32 v[52:53], v[44:45], v[54:55]
	v_fma_f64 v[44:45], v[48:49], -v[52:53], s[30:31]
	v_fmamk_f64 v[52:53], v[48:49], 0x3f34af6d6c0ebbf7, v[28:29]
	s_delay_alu instid0(VALU_DEP_1) | instskip(NEXT) | instid1(VALU_DEP_1)
	v_fmaak_f64 v[52:53], v[48:49], v[52:53], 0x3f78fce0e370e344
	v_fmaak_f64 v[52:53], v[48:49], v[52:53], 0xbfa0c9a8df35b713
	s_delay_alu instid0(VALU_DEP_1) | instskip(NEXT) | instid1(VALU_DEP_1)
	v_fmaak_f64 v[48:49], v[48:49], v[52:53], 0x3fdef72bc8ee38a2
	v_fma_f64 v[44:45], v[50:51], v[48:49], -v[44:45]
	s_delay_alu instid0(VALU_DEP_1)
	v_add_f64_e32 v[48:49], 0xbfbf19b9bcc38a42, v[44:45]
.LBB8_28:                               ;   in Loop: Header=BB8_5 Depth=1
	s_or_b32 exec_lo, exec_lo, s3
.LBB8_29:                               ;   in Loop: Header=BB8_5 Depth=1
	s_delay_alu instid0(SALU_CYCLE_1) | instskip(NEXT) | instid1(VALU_DEP_1)
	s_or_b32 exec_lo, exec_lo, s2
	v_add_f64_e32 v[44:45], v[46:47], v[48:49]
.LBB8_30:                               ;   in Loop: Header=BB8_5 Depth=1
	s_or_b32 exec_lo, exec_lo, s6
.LBB8_31:                               ;   in Loop: Header=BB8_5 Depth=1
	s_and_not1_saveexec_b32 s3, s5
	s_cbranch_execz .LBB8_33
; %bb.32:                               ;   in Loop: Header=BB8_5 Depth=1
	v_frexp_mant_f64_e64 v[44:45], |v[6:7]|
	v_cmp_neq_f64_e64 s2, 0, v[6:7]
	s_delay_alu instid0(VALU_DEP_2) | instskip(SKIP_1) | instid1(VALU_DEP_1)
	v_cmp_gt_f64_e32 vcc_lo, s[22:23], v[44:45]
	v_cndmask_b32_e64 v1, 0, 1, vcc_lo
	v_ldexp_f64 v[44:45], v[44:45], v1
	v_frexp_exp_i32_f64_e32 v1, v[6:7]
	s_delay_alu instid0(VALU_DEP_2) | instskip(SKIP_1) | instid1(VALU_DEP_3)
	v_add_f64_e32 v[46:47], 1.0, v[44:45]
	v_add_f64_e32 v[52:53], -1.0, v[44:45]
	v_subrev_co_ci_u32_e64 v1, null, 0, v1, vcc_lo
	v_cmp_neq_f64_e64 vcc_lo, 0x7ff00000, |v[6:7]|
	s_delay_alu instid0(VALU_DEP_4) | instskip(SKIP_1) | instid1(VALU_DEP_1)
	v_rcp_f64_e32 v[48:49], v[46:47]
	v_add_f64_e32 v[54:55], -1.0, v[46:47]
	v_add_f64_e64 v[44:45], v[44:45], -v[54:55]
	s_delay_alu instid0(TRANS32_DEP_1) | instskip(NEXT) | instid1(VALU_DEP_1)
	v_fma_f64 v[50:51], -v[46:47], v[48:49], 1.0
	v_fmac_f64_e32 v[48:49], v[50:51], v[48:49]
	s_delay_alu instid0(VALU_DEP_1) | instskip(NEXT) | instid1(VALU_DEP_1)
	v_fma_f64 v[50:51], -v[46:47], v[48:49], 1.0
	v_fmac_f64_e32 v[48:49], v[50:51], v[48:49]
	s_delay_alu instid0(VALU_DEP_1) | instskip(NEXT) | instid1(VALU_DEP_1)
	v_mul_f64_e32 v[50:51], v[52:53], v[48:49]
	v_mul_f64_e32 v[56:57], v[46:47], v[50:51]
	s_delay_alu instid0(VALU_DEP_1) | instskip(NEXT) | instid1(VALU_DEP_1)
	v_fma_f64 v[46:47], v[50:51], v[46:47], -v[56:57]
	v_fmac_f64_e32 v[46:47], v[50:51], v[44:45]
	s_delay_alu instid0(VALU_DEP_1) | instskip(NEXT) | instid1(VALU_DEP_1)
	v_add_f64_e32 v[44:45], v[56:57], v[46:47]
	v_add_f64_e64 v[54:55], v[52:53], -v[44:45]
	v_add_f64_e64 v[56:57], v[44:45], -v[56:57]
	s_delay_alu instid0(VALU_DEP_2) | instskip(NEXT) | instid1(VALU_DEP_2)
	v_add_f64_e64 v[52:53], v[52:53], -v[54:55]
	v_add_f64_e64 v[46:47], v[56:57], -v[46:47]
	s_delay_alu instid0(VALU_DEP_2) | instskip(NEXT) | instid1(VALU_DEP_1)
	v_add_f64_e64 v[44:45], v[52:53], -v[44:45]
	v_add_f64_e32 v[44:45], v[46:47], v[44:45]
	s_delay_alu instid0(VALU_DEP_1) | instskip(NEXT) | instid1(VALU_DEP_1)
	v_add_f64_e32 v[44:45], v[54:55], v[44:45]
	v_mul_f64_e32 v[44:45], v[48:49], v[44:45]
	s_delay_alu instid0(VALU_DEP_1) | instskip(NEXT) | instid1(VALU_DEP_1)
	v_add_f64_e32 v[46:47], v[50:51], v[44:45]
	v_mul_f64_e32 v[48:49], v[46:47], v[46:47]
	s_delay_alu instid0(VALU_DEP_1) | instskip(SKIP_1) | instid1(VALU_DEP_2)
	v_fmamk_f64 v[52:53], v[48:49], 0x3fc3ab76bf559e2b, v[12:13]
	v_mul_f64_e32 v[54:55], v[46:47], v[48:49]
	v_fmaak_f64 v[52:53], v[48:49], v[52:53], 0x3fc7474dd7f4df2e
	s_delay_alu instid0(VALU_DEP_1) | instskip(NEXT) | instid1(VALU_DEP_1)
	v_fmaak_f64 v[52:53], v[48:49], v[52:53], 0x3fcc71c016291751
	v_fmaak_f64 v[52:53], v[48:49], v[52:53], 0x3fd249249b27acf1
	s_delay_alu instid0(VALU_DEP_1) | instskip(NEXT) | instid1(VALU_DEP_1)
	v_fmaak_f64 v[52:53], v[48:49], v[52:53], 0x3fd99999998ef7b6
	v_fmaak_f64 v[48:49], v[48:49], v[52:53], 0x3fe5555555555780
	v_ldexp_f64 v[52:53], v[46:47], 1
	v_add_f64_e64 v[46:47], v[46:47], -v[50:51]
	s_delay_alu instid0(VALU_DEP_3) | instskip(SKIP_1) | instid1(VALU_DEP_3)
	v_mul_f64_e32 v[48:49], v[54:55], v[48:49]
	v_cvt_f64_i32_e32 v[54:55], v1
	v_add_f64_e64 v[44:45], v[44:45], -v[46:47]
	s_delay_alu instid0(VALU_DEP_3) | instskip(NEXT) | instid1(VALU_DEP_3)
	v_add_f64_e32 v[50:51], v[52:53], v[48:49]
	v_mul_f64_e32 v[56:57], 0x3fe62e42fefa39ef, v[54:55]
	s_delay_alu instid0(VALU_DEP_3) | instskip(NEXT) | instid1(VALU_DEP_3)
	v_ldexp_f64 v[44:45], v[44:45], 1
	v_add_f64_e64 v[46:47], v[50:51], -v[52:53]
	s_delay_alu instid0(VALU_DEP_3) | instskip(NEXT) | instid1(VALU_DEP_2)
	v_fma_f64 v[52:53], v[54:55], s[24:25], -v[56:57]
	v_add_f64_e64 v[46:47], v[48:49], -v[46:47]
	s_delay_alu instid0(VALU_DEP_2) | instskip(NEXT) | instid1(VALU_DEP_2)
	v_fmac_f64_e32 v[52:53], 0x3c7abc9e3b39803f, v[54:55]
	v_add_f64_e32 v[44:45], v[44:45], v[46:47]
	s_delay_alu instid0(VALU_DEP_2) | instskip(NEXT) | instid1(VALU_DEP_2)
	v_add_f64_e32 v[46:47], v[56:57], v[52:53]
	v_add_f64_e32 v[48:49], v[50:51], v[44:45]
	s_delay_alu instid0(VALU_DEP_2) | instskip(NEXT) | instid1(VALU_DEP_2)
	v_add_f64_e64 v[56:57], v[46:47], -v[56:57]
	v_add_f64_e32 v[54:55], v[46:47], v[48:49]
	v_add_f64_e64 v[50:51], v[48:49], -v[50:51]
	s_delay_alu instid0(VALU_DEP_3) | instskip(NEXT) | instid1(VALU_DEP_3)
	v_add_f64_e64 v[52:53], v[52:53], -v[56:57]
	v_add_f64_e64 v[58:59], v[54:55], -v[46:47]
	s_delay_alu instid0(VALU_DEP_3) | instskip(NEXT) | instid1(VALU_DEP_2)
	v_add_f64_e64 v[44:45], v[44:45], -v[50:51]
	v_add_f64_e64 v[60:61], v[54:55], -v[58:59]
	;; [unrolled: 1-line block ×3, first 2 shown]
	s_delay_alu instid0(VALU_DEP_3) | instskip(NEXT) | instid1(VALU_DEP_3)
	v_add_f64_e32 v[50:51], v[52:53], v[44:45]
	v_add_f64_e64 v[46:47], v[46:47], -v[60:61]
	s_delay_alu instid0(VALU_DEP_1) | instskip(NEXT) | instid1(VALU_DEP_3)
	v_add_f64_e32 v[46:47], v[48:49], v[46:47]
	v_add_f64_e64 v[48:49], v[50:51], -v[52:53]
	s_delay_alu instid0(VALU_DEP_2) | instskip(NEXT) | instid1(VALU_DEP_2)
	v_add_f64_e32 v[46:47], v[50:51], v[46:47]
	v_add_f64_e64 v[50:51], v[50:51], -v[48:49]
	v_add_f64_e64 v[44:45], v[44:45], -v[48:49]
	s_delay_alu instid0(VALU_DEP_3) | instskip(NEXT) | instid1(VALU_DEP_3)
	v_add_f64_e32 v[56:57], v[54:55], v[46:47]
	v_add_f64_e64 v[48:49], v[52:53], -v[50:51]
	s_delay_alu instid0(VALU_DEP_2) | instskip(NEXT) | instid1(VALU_DEP_2)
	v_add_f64_e64 v[50:51], v[56:57], -v[54:55]
	v_add_f64_e32 v[44:45], v[44:45], v[48:49]
	v_fma_f64 v[48:49], |v[6:7]|, s[36:37], s[34:35]
	s_delay_alu instid0(VALU_DEP_3) | instskip(NEXT) | instid1(VALU_DEP_1)
	v_add_f64_e64 v[46:47], v[46:47], -v[50:51]
	v_add_f64_e32 v[44:45], v[44:45], v[46:47]
	s_delay_alu instid0(VALU_DEP_3) | instskip(NEXT) | instid1(VALU_DEP_2)
	v_fma_f64 v[46:47], |v[6:7]|, v[48:49], s[38:39]
	v_add_f64_e32 v[44:45], v[56:57], v[44:45]
	s_delay_alu instid0(VALU_DEP_2) | instskip(NEXT) | instid1(VALU_DEP_2)
	v_fma_f64 v[46:47], |v[6:7]|, v[46:47], s[40:41]
	v_xor_b32_e32 v1, 0x80000000, v45
	s_delay_alu instid0(VALU_DEP_2) | instskip(NEXT) | instid1(VALU_DEP_2)
	v_fma_f64 v[46:47], |v[6:7]|, v[46:47], s[42:43]
	v_cndmask_b32_e32 v1, 0xfff00000, v1, vcc_lo
	s_and_b32 vcc_lo, s2, vcc_lo
	v_cndmask_b32_e32 v44, 0, v44, vcc_lo
	s_delay_alu instid0(VALU_DEP_2) | instskip(NEXT) | instid1(VALU_DEP_1)
	v_cndmask_b32_e64 v45, 0x7ff00000, v1, s2
	v_fma_f64 v[44:45], |v[6:7]|, v[46:47], v[44:45]
.LBB8_33:                               ;   in Loop: Header=BB8_5 Depth=1
	s_or_b32 exec_lo, exec_lo, s3
	s_delay_alu instid0(SALU_CYCLE_1)
	s_mov_b32 s2, exec_lo
	v_cmpx_le_f64_e32 0, v[6:7]
	s_xor_b32 s3, exec_lo, s2
	s_cbranch_execz .LBB8_35
; %bb.34:                               ;   in Loop: Header=BB8_5 Depth=1
	v_cmp_eq_f64_e32 vcc_lo, 1.0, v[6:7]
	v_cmp_eq_f64_e64 s2, 2.0, v[6:7]
	s_or_b32 s2, vcc_lo, s2
	s_delay_alu instid0(SALU_CYCLE_1)
	v_cndmask_b32_e64 v45, v45, 0, s2
	v_cndmask_b32_e64 v44, v44, 0, s2
.LBB8_35:                               ;   in Loop: Header=BB8_5 Depth=1
	s_and_not1_saveexec_b32 s3, s3
	s_cbranch_execz .LBB8_39
; %bb.36:                               ;   in Loop: Header=BB8_5 Depth=1
	v_add_nc_u32_e32 v1, 0xc32fffff, v43
	s_mov_b32 s4, exec_lo
	s_delay_alu instid0(VALU_DEP_1)
	v_cmpx_gt_u32_e32 0x65fffff, v1
	s_cbranch_execz .LBB8_38
; %bb.37:                               ;   in Loop: Header=BB8_5 Depth=1
	v_mul_f64_e64 v[46:47], |v[6:7]|, 0.5
	v_and_b32_e32 v1, 0x7fffffff, v7
	v_cmp_class_f64_e64 s2, v[6:7], 0x1f8
	s_delay_alu instid0(VALU_DEP_3) | instskip(SKIP_1) | instid1(VALU_DEP_2)
	v_fract_f64_e32 v[48:49], v[46:47]
	v_cmp_neq_f64_e64 vcc_lo, 0x7ff00000, |v[46:47]|
	v_add_f64_e32 v[48:49], v[48:49], v[48:49]
	s_delay_alu instid0(VALU_DEP_1) | instskip(SKIP_1) | instid1(VALU_DEP_2)
	v_dual_cndmask_b32 v42, 0, v48, vcc_lo :: v_dual_cndmask_b32 v46, 0, v49, vcc_lo
	v_cmp_gt_f64_e64 vcc_lo, |v[6:7]|, 1.0
	v_cndmask_b32_e32 v47, v1, v46, vcc_lo
	s_delay_alu instid0(VALU_DEP_3) | instskip(NEXT) | instid1(VALU_DEP_1)
	v_cndmask_b32_e32 v46, v6, v42, vcc_lo
	v_add_f64_e32 v[48:49], v[46:47], v[46:47]
	s_delay_alu instid0(VALU_DEP_1) | instskip(NEXT) | instid1(VALU_DEP_1)
	v_rndne_f64_e32 v[48:49], v[48:49]
	v_cvt_i32_f64_e32 v1, v[48:49]
	v_fmac_f64_e32 v[46:47], -0.5, v[48:49]
	s_delay_alu instid0(VALU_DEP_2) | instskip(NEXT) | instid1(VALU_DEP_1)
	v_dual_lshlrev_b32 v1, 30, v1 :: v_dual_bitop2_b32 v42, 1, v1 bitop3:0x40
	v_cmp_eq_u32_e32 vcc_lo, 0, v42
	s_delay_alu instid0(VALU_DEP_3) | instskip(NEXT) | instid1(VALU_DEP_1)
	v_mul_f64_e32 v[50:51], v[46:47], v[46:47]
	v_fmamk_f64 v[52:53], v[50:51], 0x3f3e357ef99eb0bb, v[34:35]
	v_mul_f64_e32 v[54:55], v[46:47], v[50:51]
	v_fmamk_f64 v[56:57], v[50:51], 0xbf1b167302e21c33, v[36:37]
	s_delay_alu instid0(VALU_DEP_3) | instskip(NEXT) | instid1(VALU_DEP_2)
	v_fmaak_f64 v[52:53], v[50:51], v[52:53], 0x3fb50782d5f14825
	v_fmaak_f64 v[56:57], v[50:51], v[56:57], 0xbf9a6d1e7294bff9
	s_delay_alu instid0(VALU_DEP_2) | instskip(NEXT) | instid1(VALU_DEP_1)
	v_fmaak_f64 v[52:53], v[50:51], v[52:53], 0xbfe32d2ccdfe9424
	v_fmaak_f64 v[52:53], v[50:51], v[52:53], 0x400466bc67754fff
	s_delay_alu instid0(VALU_DEP_1) | instskip(NEXT) | instid1(VALU_DEP_1)
	v_fmaak_f64 v[52:53], v[50:51], v[52:53], 0xc014abbce625be09
	v_mul_f64_e32 v[52:53], v[54:55], v[52:53]
	v_fmaak_f64 v[54:55], v[50:51], v[56:57], 0x3fce1f5067b90b37
	s_delay_alu instid0(VALU_DEP_1) | instskip(NEXT) | instid1(VALU_DEP_1)
	v_fmaak_f64 v[54:55], v[50:51], v[54:55], 0xbff55d3c7e3c325b
	v_fmaak_f64 v[54:55], v[50:51], v[54:55], 0x40103c1f081b5a67
	s_delay_alu instid0(VALU_DEP_1) | instskip(NEXT) | instid1(VALU_DEP_1)
	v_fmaak_f64 v[54:55], v[50:51], v[54:55], 0xc013bd3cc9be45de
	v_fma_f64 v[48:49], v[50:51], v[54:55], 1.0
	v_fmac_f64_e32 v[52:53], 0x400921fb54442d18, v[46:47]
	s_delay_alu instid0(VALU_DEP_1) | instskip(NEXT) | instid1(VALU_DEP_2)
	v_dual_cndmask_b32 v42, v48, v52, vcc_lo :: v_dual_bitop2_b32 v1, v1, v7 bitop3:0x14
	v_cndmask_b32_e32 v46, v49, v53, vcc_lo
	s_delay_alu instid0(VALU_DEP_1) | instskip(NEXT) | instid1(VALU_DEP_3)
	v_bitop3_b32 v1, v46, v1, 0x80000000 bitop3:0x78
	v_cndmask_b32_e64 v46, 0, v42, s2
	s_delay_alu instid0(VALU_DEP_2) | instskip(SKIP_1) | instid1(VALU_DEP_2)
	v_cndmask_b32_e64 v47, 0x7ff80000, v1, s2
	v_cmp_class_f64_e64 s2, v[6:7], 0x204
	v_mul_f64_e32 v[46:47], v[6:7], v[46:47]
	s_delay_alu instid0(VALU_DEP_1) | instskip(NEXT) | instid1(VALU_DEP_2)
	v_and_b32_e32 v49, 0x7fffffff, v47
	v_mov_b32_e32 v48, v46
	s_delay_alu instid0(VALU_DEP_1) | instskip(SKIP_1) | instid1(VALU_DEP_2)
	v_div_scale_f64 v[50:51], null, v[48:49], v[48:49], s[44:45]
	v_div_scale_f64 v[48:49], vcc_lo, s[44:45], v[48:49], s[44:45]
	v_rcp_f64_e32 v[52:53], v[50:51]
	v_nop
	s_delay_alu instid0(TRANS32_DEP_1) | instskip(NEXT) | instid1(VALU_DEP_1)
	v_fma_f64 v[54:55], -v[50:51], v[52:53], 1.0
	v_fmac_f64_e32 v[52:53], v[52:53], v[54:55]
	s_delay_alu instid0(VALU_DEP_1) | instskip(NEXT) | instid1(VALU_DEP_1)
	v_fma_f64 v[54:55], -v[50:51], v[52:53], 1.0
	v_fmac_f64_e32 v[52:53], v[52:53], v[54:55]
	s_delay_alu instid0(VALU_DEP_1) | instskip(NEXT) | instid1(VALU_DEP_1)
	v_mul_f64_e32 v[54:55], v[48:49], v[52:53]
	v_fma_f64 v[48:49], -v[50:51], v[54:55], v[48:49]
	s_delay_alu instid0(VALU_DEP_1) | instskip(NEXT) | instid1(VALU_DEP_1)
	v_div_fmas_f64 v[48:49], v[48:49], v[52:53], v[54:55]
	v_div_fixup_f64 v[46:47], v[48:49], |v[46:47]|, s[44:45]
	s_delay_alu instid0(VALU_DEP_1) | instskip(NEXT) | instid1(VALU_DEP_1)
	v_frexp_mant_f64_e32 v[48:49], v[46:47]
	v_cmp_gt_f64_e32 vcc_lo, s[22:23], v[48:49]
	v_cndmask_b32_e64 v1, 0, 1, vcc_lo
	s_delay_alu instid0(VALU_DEP_1) | instskip(SKIP_1) | instid1(VALU_DEP_1)
	v_ldexp_f64 v[48:49], v[48:49], v1
	v_frexp_exp_i32_f64_e32 v1, v[46:47]
	v_subrev_co_ci_u32_e64 v1, null, 0, v1, vcc_lo
	v_cmp_class_f64_e64 vcc_lo, v[46:47], 0x204
	s_delay_alu instid0(VALU_DEP_4) | instskip(SKIP_1) | instid1(VALU_DEP_2)
	v_add_f64_e32 v[50:51], 1.0, v[48:49]
	v_add_f64_e32 v[56:57], -1.0, v[48:49]
	v_rcp_f64_e32 v[52:53], v[50:51]
	v_add_f64_e32 v[58:59], -1.0, v[50:51]
	s_delay_alu instid0(VALU_DEP_1) | instskip(NEXT) | instid1(TRANS32_DEP_1)
	v_add_f64_e64 v[48:49], v[48:49], -v[58:59]
	v_fma_f64 v[54:55], -v[50:51], v[52:53], 1.0
	s_delay_alu instid0(VALU_DEP_1) | instskip(NEXT) | instid1(VALU_DEP_1)
	v_fmac_f64_e32 v[52:53], v[54:55], v[52:53]
	v_fma_f64 v[54:55], -v[50:51], v[52:53], 1.0
	s_delay_alu instid0(VALU_DEP_1) | instskip(NEXT) | instid1(VALU_DEP_1)
	v_fmac_f64_e32 v[52:53], v[54:55], v[52:53]
	v_mul_f64_e32 v[54:55], v[56:57], v[52:53]
	s_delay_alu instid0(VALU_DEP_1) | instskip(NEXT) | instid1(VALU_DEP_1)
	v_mul_f64_e32 v[60:61], v[50:51], v[54:55]
	v_fma_f64 v[50:51], v[54:55], v[50:51], -v[60:61]
	s_delay_alu instid0(VALU_DEP_1) | instskip(NEXT) | instid1(VALU_DEP_1)
	v_fmac_f64_e32 v[50:51], v[54:55], v[48:49]
	v_add_f64_e32 v[48:49], v[60:61], v[50:51]
	s_delay_alu instid0(VALU_DEP_1) | instskip(SKIP_1) | instid1(VALU_DEP_2)
	v_add_f64_e64 v[58:59], v[56:57], -v[48:49]
	v_add_f64_e64 v[60:61], v[48:49], -v[60:61]
	;; [unrolled: 1-line block ×3, first 2 shown]
	s_delay_alu instid0(VALU_DEP_2) | instskip(NEXT) | instid1(VALU_DEP_2)
	v_add_f64_e64 v[50:51], v[60:61], -v[50:51]
	v_add_f64_e64 v[48:49], v[56:57], -v[48:49]
	s_delay_alu instid0(VALU_DEP_1) | instskip(NEXT) | instid1(VALU_DEP_1)
	v_add_f64_e32 v[48:49], v[50:51], v[48:49]
	v_add_f64_e32 v[48:49], v[58:59], v[48:49]
	s_delay_alu instid0(VALU_DEP_1) | instskip(NEXT) | instid1(VALU_DEP_1)
	v_mul_f64_e32 v[48:49], v[52:53], v[48:49]
	v_add_f64_e32 v[50:51], v[54:55], v[48:49]
	s_delay_alu instid0(VALU_DEP_1) | instskip(NEXT) | instid1(VALU_DEP_1)
	v_mul_f64_e32 v[52:53], v[50:51], v[50:51]
	v_fmamk_f64 v[56:57], v[52:53], 0x3fc3ab76bf559e2b, v[12:13]
	v_mul_f64_e32 v[58:59], v[50:51], v[52:53]
	s_delay_alu instid0(VALU_DEP_2) | instskip(NEXT) | instid1(VALU_DEP_1)
	v_fmaak_f64 v[56:57], v[52:53], v[56:57], 0x3fc7474dd7f4df2e
	v_fmaak_f64 v[56:57], v[52:53], v[56:57], 0x3fcc71c016291751
	s_delay_alu instid0(VALU_DEP_1) | instskip(NEXT) | instid1(VALU_DEP_1)
	v_fmaak_f64 v[56:57], v[52:53], v[56:57], 0x3fd249249b27acf1
	v_fmaak_f64 v[56:57], v[52:53], v[56:57], 0x3fd99999998ef7b6
	s_delay_alu instid0(VALU_DEP_1) | instskip(SKIP_2) | instid1(VALU_DEP_3)
	v_fmaak_f64 v[52:53], v[52:53], v[56:57], 0x3fe5555555555780
	v_ldexp_f64 v[56:57], v[50:51], 1
	v_add_f64_e64 v[50:51], v[50:51], -v[54:55]
	v_mul_f64_e32 v[52:53], v[58:59], v[52:53]
	v_cvt_f64_i32_e32 v[58:59], v1
	s_delay_alu instid0(VALU_DEP_3) | instskip(NEXT) | instid1(VALU_DEP_3)
	v_add_f64_e64 v[48:49], v[48:49], -v[50:51]
	v_add_f64_e32 v[54:55], v[56:57], v[52:53]
	s_delay_alu instid0(VALU_DEP_3) | instskip(NEXT) | instid1(VALU_DEP_3)
	v_mul_f64_e32 v[60:61], 0x3fe62e42fefa39ef, v[58:59]
	v_ldexp_f64 v[48:49], v[48:49], 1
	s_delay_alu instid0(VALU_DEP_3) | instskip(NEXT) | instid1(VALU_DEP_3)
	v_add_f64_e64 v[50:51], v[54:55], -v[56:57]
	v_fma_f64 v[56:57], v[58:59], s[24:25], -v[60:61]
	s_delay_alu instid0(VALU_DEP_2) | instskip(NEXT) | instid1(VALU_DEP_2)
	v_add_f64_e64 v[50:51], v[52:53], -v[50:51]
	v_fmac_f64_e32 v[56:57], 0x3c7abc9e3b39803f, v[58:59]
	s_delay_alu instid0(VALU_DEP_2) | instskip(NEXT) | instid1(VALU_DEP_2)
	v_add_f64_e32 v[48:49], v[48:49], v[50:51]
	v_add_f64_e32 v[50:51], v[60:61], v[56:57]
	s_delay_alu instid0(VALU_DEP_2) | instskip(NEXT) | instid1(VALU_DEP_2)
	v_add_f64_e32 v[52:53], v[54:55], v[48:49]
	v_add_f64_e64 v[60:61], v[50:51], -v[60:61]
	s_delay_alu instid0(VALU_DEP_2) | instskip(SKIP_1) | instid1(VALU_DEP_3)
	v_add_f64_e32 v[58:59], v[50:51], v[52:53]
	v_add_f64_e64 v[54:55], v[52:53], -v[54:55]
	v_add_f64_e64 v[56:57], v[56:57], -v[60:61]
	s_delay_alu instid0(VALU_DEP_3) | instskip(NEXT) | instid1(VALU_DEP_3)
	v_add_f64_e64 v[62:63], v[58:59], -v[50:51]
	v_add_f64_e64 v[48:49], v[48:49], -v[54:55]
	s_delay_alu instid0(VALU_DEP_2) | instskip(SKIP_1) | instid1(VALU_DEP_3)
	v_add_f64_e64 v[64:65], v[58:59], -v[62:63]
	v_add_f64_e64 v[52:53], v[52:53], -v[62:63]
	v_add_f64_e32 v[54:55], v[56:57], v[48:49]
	s_delay_alu instid0(VALU_DEP_3) | instskip(NEXT) | instid1(VALU_DEP_1)
	v_add_f64_e64 v[50:51], v[50:51], -v[64:65]
	v_add_f64_e32 v[50:51], v[52:53], v[50:51]
	s_delay_alu instid0(VALU_DEP_3) | instskip(NEXT) | instid1(VALU_DEP_2)
	v_add_f64_e64 v[52:53], v[54:55], -v[56:57]
	v_add_f64_e32 v[50:51], v[54:55], v[50:51]
	s_delay_alu instid0(VALU_DEP_2) | instskip(SKIP_1) | instid1(VALU_DEP_3)
	v_add_f64_e64 v[54:55], v[54:55], -v[52:53]
	v_add_f64_e64 v[48:49], v[48:49], -v[52:53]
	v_add_f64_e32 v[60:61], v[58:59], v[50:51]
	s_delay_alu instid0(VALU_DEP_3) | instskip(NEXT) | instid1(VALU_DEP_2)
	v_add_f64_e64 v[52:53], v[56:57], -v[54:55]
	v_add_f64_e64 v[54:55], v[60:61], -v[58:59]
	s_delay_alu instid0(VALU_DEP_2) | instskip(NEXT) | instid1(VALU_DEP_2)
	v_add_f64_e32 v[48:49], v[48:49], v[52:53]
	v_add_f64_e64 v[50:51], v[50:51], -v[54:55]
	s_delay_alu instid0(VALU_DEP_1) | instskip(NEXT) | instid1(VALU_DEP_1)
	v_add_f64_e32 v[48:49], v[48:49], v[50:51]
	v_add_f64_e32 v[48:49], v[60:61], v[48:49]
	s_delay_alu instid0(VALU_DEP_1) | instskip(SKIP_2) | instid1(VALU_DEP_3)
	v_dual_cndmask_b32 v1, v48, v46 :: v_dual_cndmask_b32 v42, v49, v47
	v_cmp_neq_f64_e32 vcc_lo, 0, v[46:47]
	v_fract_f64_e32 v[46:47], v[6:7]
	v_cndmask_b32_e32 v49, 0xfff00000, v42, vcc_lo
	s_delay_alu instid0(VALU_DEP_4) | instskip(NEXT) | instid1(VALU_DEP_3)
	v_cndmask_b32_e32 v48, 0, v1, vcc_lo
	v_cmp_eq_f64_e32 vcc_lo, 0, v[46:47]
	s_delay_alu instid0(VALU_DEP_2)
	v_add_f64_e64 v[44:45], v[48:49], -v[44:45]
	s_or_b32 s2, s2, vcc_lo
	s_delay_alu instid0(VALU_DEP_1) | instid1(SALU_CYCLE_1)
	v_cndmask_b32_e64 v45, v45, 0x7ff00000, s2
	s_delay_alu instid0(VALU_DEP_2)
	v_cndmask_b32_e64 v44, v44, 0, s2
.LBB8_38:                               ;   in Loop: Header=BB8_5 Depth=1
	s_or_b32 exec_lo, exec_lo, s4
.LBB8_39:                               ;   in Loop: Header=BB8_5 Depth=1
	s_delay_alu instid0(SALU_CYCLE_1) | instskip(SKIP_3) | instid1(VALU_DEP_2)
	s_or_b32 exec_lo, exec_lo, s3
	v_and_b32_e32 v47, 0x7fffffff, v9
	v_mov_b32_e32 v46, v8
                                        ; implicit-def: $vgpr48_vgpr49
	s_mov_b32 s2, exec_lo
	v_cmpx_lt_u32_e32 0x3f6fffff, v47
	s_xor_b32 s5, exec_lo, s2
	s_cbranch_execz .LBB8_65
; %bb.40:                               ;   in Loop: Header=BB8_5 Depth=1
                                        ; implicit-def: $vgpr48_vgpr49
	s_mov_b32 s2, exec_lo
	v_cmpx_lt_u32_e32 0x3fffffff, v47
	s_xor_b32 s3, exec_lo, s2
	s_cbranch_execz .LBB8_50
; %bb.41:                               ;   in Loop: Header=BB8_5 Depth=1
	;; [unrolled: 6-line block ×4, first 2 shown]
	v_frexp_mant_f64_e64 v[48:49], |v[8:9]|
	v_cmp_neq_f64_e64 s2, 0, v[8:9]
	s_delay_alu instid0(VALU_DEP_2) | instskip(SKIP_1) | instid1(VALU_DEP_1)
	v_cmp_gt_f64_e32 vcc_lo, s[22:23], v[48:49]
	v_cndmask_b32_e64 v1, 0, 1, vcc_lo
	v_ldexp_f64 v[48:49], v[48:49], v1
	v_frexp_exp_i32_f64_e32 v1, v[8:9]
	s_delay_alu instid0(VALU_DEP_2) | instskip(SKIP_1) | instid1(VALU_DEP_3)
	v_add_f64_e32 v[50:51], 1.0, v[48:49]
	v_add_f64_e32 v[56:57], -1.0, v[48:49]
	v_subrev_co_ci_u32_e64 v1, null, 0, v1, vcc_lo
	v_cmp_neq_f64_e64 vcc_lo, 0x7ff00000, |v[8:9]|
	s_delay_alu instid0(VALU_DEP_4) | instskip(SKIP_1) | instid1(VALU_DEP_1)
	v_rcp_f64_e32 v[52:53], v[50:51]
	v_add_f64_e32 v[58:59], -1.0, v[50:51]
	v_add_f64_e64 v[48:49], v[48:49], -v[58:59]
	s_delay_alu instid0(TRANS32_DEP_1) | instskip(NEXT) | instid1(VALU_DEP_1)
	v_fma_f64 v[54:55], -v[50:51], v[52:53], 1.0
	v_fmac_f64_e32 v[52:53], v[54:55], v[52:53]
	s_delay_alu instid0(VALU_DEP_1) | instskip(NEXT) | instid1(VALU_DEP_1)
	v_fma_f64 v[54:55], -v[50:51], v[52:53], 1.0
	v_fmac_f64_e32 v[52:53], v[54:55], v[52:53]
	s_delay_alu instid0(VALU_DEP_1) | instskip(NEXT) | instid1(VALU_DEP_1)
	v_mul_f64_e32 v[54:55], v[56:57], v[52:53]
	v_mul_f64_e32 v[60:61], v[50:51], v[54:55]
	s_delay_alu instid0(VALU_DEP_1) | instskip(NEXT) | instid1(VALU_DEP_1)
	v_fma_f64 v[50:51], v[54:55], v[50:51], -v[60:61]
	v_fmac_f64_e32 v[50:51], v[54:55], v[48:49]
	s_delay_alu instid0(VALU_DEP_1) | instskip(NEXT) | instid1(VALU_DEP_1)
	v_add_f64_e32 v[48:49], v[60:61], v[50:51]
	v_add_f64_e64 v[58:59], v[56:57], -v[48:49]
	v_add_f64_e64 v[60:61], v[48:49], -v[60:61]
	s_delay_alu instid0(VALU_DEP_2) | instskip(NEXT) | instid1(VALU_DEP_2)
	v_add_f64_e64 v[56:57], v[56:57], -v[58:59]
	v_add_f64_e64 v[50:51], v[60:61], -v[50:51]
	s_delay_alu instid0(VALU_DEP_2) | instskip(NEXT) | instid1(VALU_DEP_1)
	v_add_f64_e64 v[48:49], v[56:57], -v[48:49]
	v_add_f64_e32 v[48:49], v[50:51], v[48:49]
	s_delay_alu instid0(VALU_DEP_1) | instskip(NEXT) | instid1(VALU_DEP_1)
	v_add_f64_e32 v[48:49], v[58:59], v[48:49]
	v_mul_f64_e32 v[48:49], v[52:53], v[48:49]
	s_delay_alu instid0(VALU_DEP_1) | instskip(NEXT) | instid1(VALU_DEP_1)
	v_add_f64_e32 v[50:51], v[54:55], v[48:49]
	v_mul_f64_e32 v[52:53], v[50:51], v[50:51]
	s_delay_alu instid0(VALU_DEP_1) | instskip(SKIP_1) | instid1(VALU_DEP_2)
	v_fmamk_f64 v[56:57], v[52:53], 0x3fc3ab76bf559e2b, v[12:13]
	v_mul_f64_e32 v[58:59], v[50:51], v[52:53]
	v_fmaak_f64 v[56:57], v[52:53], v[56:57], 0x3fc7474dd7f4df2e
	s_delay_alu instid0(VALU_DEP_1) | instskip(NEXT) | instid1(VALU_DEP_1)
	v_fmaak_f64 v[56:57], v[52:53], v[56:57], 0x3fcc71c016291751
	v_fmaak_f64 v[56:57], v[52:53], v[56:57], 0x3fd249249b27acf1
	s_delay_alu instid0(VALU_DEP_1) | instskip(NEXT) | instid1(VALU_DEP_1)
	v_fmaak_f64 v[56:57], v[52:53], v[56:57], 0x3fd99999998ef7b6
	v_fmaak_f64 v[52:53], v[52:53], v[56:57], 0x3fe5555555555780
	v_ldexp_f64 v[56:57], v[50:51], 1
	v_add_f64_e64 v[50:51], v[50:51], -v[54:55]
	s_delay_alu instid0(VALU_DEP_3) | instskip(SKIP_1) | instid1(VALU_DEP_3)
	v_mul_f64_e32 v[52:53], v[58:59], v[52:53]
	v_cvt_f64_i32_e32 v[58:59], v1
	v_add_f64_e64 v[48:49], v[48:49], -v[50:51]
	s_delay_alu instid0(VALU_DEP_3) | instskip(NEXT) | instid1(VALU_DEP_3)
	v_add_f64_e32 v[54:55], v[56:57], v[52:53]
	v_mul_f64_e32 v[60:61], 0x3fe62e42fefa39ef, v[58:59]
	s_delay_alu instid0(VALU_DEP_3) | instskip(NEXT) | instid1(VALU_DEP_3)
	v_ldexp_f64 v[48:49], v[48:49], 1
	v_add_f64_e64 v[50:51], v[54:55], -v[56:57]
	s_delay_alu instid0(VALU_DEP_3) | instskip(NEXT) | instid1(VALU_DEP_2)
	v_fma_f64 v[56:57], v[58:59], s[24:25], -v[60:61]
	v_add_f64_e64 v[50:51], v[52:53], -v[50:51]
	s_delay_alu instid0(VALU_DEP_2) | instskip(NEXT) | instid1(VALU_DEP_2)
	v_fmac_f64_e32 v[56:57], 0x3c7abc9e3b39803f, v[58:59]
	v_add_f64_e32 v[48:49], v[48:49], v[50:51]
	s_delay_alu instid0(VALU_DEP_2) | instskip(NEXT) | instid1(VALU_DEP_2)
	v_add_f64_e32 v[50:51], v[60:61], v[56:57]
	v_add_f64_e32 v[52:53], v[54:55], v[48:49]
	s_delay_alu instid0(VALU_DEP_2) | instskip(NEXT) | instid1(VALU_DEP_2)
	v_add_f64_e64 v[60:61], v[50:51], -v[60:61]
	v_add_f64_e32 v[58:59], v[50:51], v[52:53]
	v_add_f64_e64 v[54:55], v[52:53], -v[54:55]
	s_delay_alu instid0(VALU_DEP_3) | instskip(NEXT) | instid1(VALU_DEP_3)
	v_add_f64_e64 v[56:57], v[56:57], -v[60:61]
	v_add_f64_e64 v[62:63], v[58:59], -v[50:51]
	s_delay_alu instid0(VALU_DEP_3) | instskip(NEXT) | instid1(VALU_DEP_2)
	v_add_f64_e64 v[48:49], v[48:49], -v[54:55]
	v_add_f64_e64 v[64:65], v[58:59], -v[62:63]
	;; [unrolled: 1-line block ×3, first 2 shown]
	s_delay_alu instid0(VALU_DEP_3) | instskip(NEXT) | instid1(VALU_DEP_3)
	v_add_f64_e32 v[54:55], v[56:57], v[48:49]
	v_add_f64_e64 v[50:51], v[50:51], -v[64:65]
	s_delay_alu instid0(VALU_DEP_1) | instskip(NEXT) | instid1(VALU_DEP_3)
	v_add_f64_e32 v[50:51], v[52:53], v[50:51]
	v_add_f64_e64 v[52:53], v[54:55], -v[56:57]
	s_delay_alu instid0(VALU_DEP_2) | instskip(NEXT) | instid1(VALU_DEP_2)
	v_add_f64_e32 v[50:51], v[54:55], v[50:51]
	v_add_f64_e64 v[54:55], v[54:55], -v[52:53]
	v_add_f64_e64 v[48:49], v[48:49], -v[52:53]
	s_delay_alu instid0(VALU_DEP_3) | instskip(NEXT) | instid1(VALU_DEP_3)
	v_add_f64_e32 v[60:61], v[58:59], v[50:51]
	v_add_f64_e64 v[52:53], v[56:57], -v[54:55]
	s_delay_alu instid0(VALU_DEP_2) | instskip(NEXT) | instid1(VALU_DEP_2)
	v_add_f64_e64 v[54:55], v[60:61], -v[58:59]
	v_add_f64_e32 v[48:49], v[48:49], v[52:53]
	s_delay_alu instid0(VALU_DEP_2) | instskip(NEXT) | instid1(VALU_DEP_1)
	v_add_f64_e64 v[50:51], v[50:51], -v[54:55]
	v_add_f64_e32 v[48:49], v[48:49], v[50:51]
	s_delay_alu instid0(VALU_DEP_1) | instskip(NEXT) | instid1(VALU_DEP_1)
	v_add_f64_e32 v[48:49], v[60:61], v[48:49]
	v_cndmask_b32_e32 v1, 0x7ff00000, v49, vcc_lo
	s_and_b32 vcc_lo, s2, vcc_lo
	s_delay_alu instid0(VALU_DEP_2) | instskip(NEXT) | instid1(VALU_DEP_2)
	v_cndmask_b32_e32 v48, 0, v48, vcc_lo
	v_cndmask_b32_e64 v49, 0xfff00000, v1, s2
	s_delay_alu instid0(VALU_DEP_1)
	v_fma_f64 v[48:49], |v[8:9]|, v[48:49], -|v[8:9]|
.LBB8_44:                               ;   in Loop: Header=BB8_5 Depth=1
	s_and_not1_saveexec_b32 s6, s6
	s_cbranch_execz .LBB8_46
; %bb.45:                               ;   in Loop: Header=BB8_5 Depth=1
	v_frexp_mant_f64_e64 v[48:49], |v[8:9]|
	v_and_b32_e32 v63, 0x7fffffff, v9
	v_cmp_neq_f64_e64 s2, 0, v[8:9]
	v_mov_b32_e32 v62, v8
	s_delay_alu instid0(VALU_DEP_1) | instskip(SKIP_1) | instid1(VALU_DEP_2)
	v_div_scale_f64 v[64:65], null, v[62:63], v[62:63], 1.0
	v_cmp_gt_f64_e32 vcc_lo, s[22:23], v[48:49]
	v_rcp_f64_e32 v[68:69], v[64:65]
	v_cndmask_b32_e64 v1, 0, 1, vcc_lo
	s_delay_alu instid0(VALU_DEP_1) | instskip(SKIP_1) | instid1(TRANS32_DEP_1)
	v_ldexp_f64 v[48:49], v[48:49], v1
	v_frexp_exp_i32_f64_e32 v1, v[8:9]
	v_fma_f64 v[72:73], -v[64:65], v[68:69], 1.0
	s_delay_alu instid0(VALU_DEP_3) | instskip(SKIP_1) | instid1(VALU_DEP_4)
	v_add_f64_e32 v[50:51], 1.0, v[48:49]
	v_add_f64_e32 v[56:57], -1.0, v[48:49]
	v_subrev_co_ci_u32_e64 v1, null, 0, v1, vcc_lo
	v_div_scale_f64 v[62:63], vcc_lo, 1.0, v[62:63], 1.0
	v_fmac_f64_e32 v[68:69], v[68:69], v[72:73]
	v_rcp_f64_e32 v[52:53], v[50:51]
	v_add_f64_e32 v[58:59], -1.0, v[50:51]
	s_delay_alu instid0(VALU_DEP_1) | instskip(NEXT) | instid1(TRANS32_DEP_1)
	v_add_f64_e64 v[48:49], v[48:49], -v[58:59]
	v_fma_f64 v[54:55], -v[50:51], v[52:53], 1.0
	s_delay_alu instid0(VALU_DEP_1) | instskip(NEXT) | instid1(VALU_DEP_1)
	v_fmac_f64_e32 v[52:53], v[54:55], v[52:53]
	v_fma_f64 v[54:55], -v[50:51], v[52:53], 1.0
	s_delay_alu instid0(VALU_DEP_1) | instskip(NEXT) | instid1(VALU_DEP_1)
	v_fmac_f64_e32 v[52:53], v[54:55], v[52:53]
	v_mul_f64_e32 v[54:55], v[56:57], v[52:53]
	s_delay_alu instid0(VALU_DEP_1) | instskip(NEXT) | instid1(VALU_DEP_1)
	v_mul_f64_e32 v[60:61], v[50:51], v[54:55]
	v_fma_f64 v[50:51], v[54:55], v[50:51], -v[60:61]
	s_delay_alu instid0(VALU_DEP_1) | instskip(NEXT) | instid1(VALU_DEP_1)
	v_fmac_f64_e32 v[50:51], v[54:55], v[48:49]
	v_add_f64_e32 v[48:49], v[60:61], v[50:51]
	s_delay_alu instid0(VALU_DEP_1) | instskip(SKIP_1) | instid1(VALU_DEP_2)
	v_add_f64_e64 v[58:59], v[56:57], -v[48:49]
	v_add_f64_e64 v[60:61], v[48:49], -v[60:61]
	;; [unrolled: 1-line block ×3, first 2 shown]
	s_delay_alu instid0(VALU_DEP_2) | instskip(NEXT) | instid1(VALU_DEP_2)
	v_add_f64_e64 v[50:51], v[60:61], -v[50:51]
	v_add_f64_e64 v[48:49], v[56:57], -v[48:49]
	s_delay_alu instid0(VALU_DEP_1) | instskip(NEXT) | instid1(VALU_DEP_1)
	v_add_f64_e32 v[48:49], v[50:51], v[48:49]
	v_add_f64_e32 v[48:49], v[58:59], v[48:49]
	s_delay_alu instid0(VALU_DEP_1) | instskip(NEXT) | instid1(VALU_DEP_1)
	v_mul_f64_e32 v[48:49], v[52:53], v[48:49]
	v_add_f64_e32 v[50:51], v[54:55], v[48:49]
	s_delay_alu instid0(VALU_DEP_1) | instskip(NEXT) | instid1(VALU_DEP_1)
	v_mul_f64_e32 v[52:53], v[50:51], v[50:51]
	v_fmamk_f64 v[56:57], v[52:53], 0x3fc3ab76bf559e2b, v[12:13]
	v_mul_f64_e32 v[58:59], v[50:51], v[52:53]
	s_delay_alu instid0(VALU_DEP_2) | instskip(NEXT) | instid1(VALU_DEP_1)
	v_fmaak_f64 v[56:57], v[52:53], v[56:57], 0x3fc7474dd7f4df2e
	v_fmaak_f64 v[56:57], v[52:53], v[56:57], 0x3fcc71c016291751
	s_delay_alu instid0(VALU_DEP_1) | instskip(NEXT) | instid1(VALU_DEP_1)
	v_fmaak_f64 v[56:57], v[52:53], v[56:57], 0x3fd249249b27acf1
	v_fmaak_f64 v[56:57], v[52:53], v[56:57], 0x3fd99999998ef7b6
	s_delay_alu instid0(VALU_DEP_1) | instskip(SKIP_2) | instid1(VALU_DEP_3)
	v_fmaak_f64 v[52:53], v[52:53], v[56:57], 0x3fe5555555555780
	v_ldexp_f64 v[56:57], v[50:51], 1
	v_add_f64_e64 v[50:51], v[50:51], -v[54:55]
	v_mul_f64_e32 v[52:53], v[58:59], v[52:53]
	v_cvt_f64_i32_e32 v[58:59], v1
	s_delay_alu instid0(VALU_DEP_3) | instskip(NEXT) | instid1(VALU_DEP_3)
	v_add_f64_e64 v[48:49], v[48:49], -v[50:51]
	v_add_f64_e32 v[54:55], v[56:57], v[52:53]
	s_delay_alu instid0(VALU_DEP_3) | instskip(NEXT) | instid1(VALU_DEP_3)
	v_mul_f64_e32 v[60:61], 0x3fe62e42fefa39ef, v[58:59]
	v_ldexp_f64 v[48:49], v[48:49], 1
	s_delay_alu instid0(VALU_DEP_3) | instskip(NEXT) | instid1(VALU_DEP_3)
	v_add_f64_e64 v[50:51], v[54:55], -v[56:57]
	v_fma_f64 v[56:57], v[58:59], s[24:25], -v[60:61]
	s_delay_alu instid0(VALU_DEP_2) | instskip(NEXT) | instid1(VALU_DEP_2)
	v_add_f64_e64 v[50:51], v[52:53], -v[50:51]
	v_fmac_f64_e32 v[56:57], 0x3c7abc9e3b39803f, v[58:59]
	s_delay_alu instid0(VALU_DEP_2) | instskip(NEXT) | instid1(VALU_DEP_2)
	v_add_f64_e32 v[48:49], v[48:49], v[50:51]
	v_add_f64_e32 v[50:51], v[60:61], v[56:57]
	s_delay_alu instid0(VALU_DEP_2) | instskip(NEXT) | instid1(VALU_DEP_2)
	v_add_f64_e32 v[52:53], v[54:55], v[48:49]
	v_add_f64_e64 v[60:61], v[50:51], -v[60:61]
	s_delay_alu instid0(VALU_DEP_2) | instskip(SKIP_1) | instid1(VALU_DEP_3)
	v_add_f64_e32 v[58:59], v[50:51], v[52:53]
	v_add_f64_e64 v[54:55], v[52:53], -v[54:55]
	v_add_f64_e64 v[56:57], v[56:57], -v[60:61]
	s_delay_alu instid0(VALU_DEP_3) | instskip(NEXT) | instid1(VALU_DEP_3)
	v_add_f64_e64 v[66:67], v[58:59], -v[50:51]
	v_add_f64_e64 v[48:49], v[48:49], -v[54:55]
	s_delay_alu instid0(VALU_DEP_2) | instskip(SKIP_1) | instid1(VALU_DEP_3)
	v_add_f64_e64 v[70:71], v[58:59], -v[66:67]
	v_add_f64_e64 v[52:53], v[52:53], -v[66:67]
	v_add_f64_e32 v[54:55], v[56:57], v[48:49]
	s_delay_alu instid0(VALU_DEP_3) | instskip(NEXT) | instid1(VALU_DEP_2)
	v_add_f64_e64 v[50:51], v[50:51], -v[70:71]
	v_add_f64_e64 v[60:61], v[54:55], -v[56:57]
	s_delay_alu instid0(VALU_DEP_2) | instskip(SKIP_1) | instid1(VALU_DEP_3)
	v_add_f64_e32 v[50:51], v[52:53], v[50:51]
	v_fma_f64 v[52:53], -v[64:65], v[68:69], 1.0
	v_add_f64_e64 v[48:49], v[48:49], -v[60:61]
	s_delay_alu instid0(VALU_DEP_3) | instskip(NEXT) | instid1(VALU_DEP_3)
	v_add_f64_e32 v[50:51], v[54:55], v[50:51]
	v_fmac_f64_e32 v[68:69], v[68:69], v[52:53]
	v_add_f64_e64 v[52:53], v[54:55], -v[60:61]
	s_delay_alu instid0(VALU_DEP_3) | instskip(NEXT) | instid1(VALU_DEP_3)
	v_add_f64_e32 v[54:55], v[58:59], v[50:51]
	v_mul_f64_e32 v[66:67], v[62:63], v[68:69]
	s_delay_alu instid0(VALU_DEP_3) | instskip(NEXT) | instid1(VALU_DEP_3)
	v_add_f64_e64 v[52:53], v[56:57], -v[52:53]
	v_add_f64_e64 v[56:57], v[54:55], -v[58:59]
	s_delay_alu instid0(VALU_DEP_3) | instskip(NEXT) | instid1(VALU_DEP_3)
	v_fma_f64 v[58:59], -v[64:65], v[66:67], v[62:63]
	v_add_f64_e32 v[48:49], v[48:49], v[52:53]
	s_delay_alu instid0(VALU_DEP_3) | instskip(NEXT) | instid1(VALU_DEP_3)
	v_add_f64_e64 v[50:51], v[50:51], -v[56:57]
	v_div_fmas_f64 v[52:53], v[58:59], v[68:69], v[66:67]
	v_cmp_neq_f64_e64 vcc_lo, 0x7ff00000, |v[8:9]|
	v_add_f64_e64 v[56:57], |v[8:9]|, -0.5
	s_delay_alu instid0(VALU_DEP_4) | instskip(NEXT) | instid1(VALU_DEP_4)
	v_add_f64_e32 v[48:49], v[48:49], v[50:51]
	v_div_fixup_f64 v[50:51], v[52:53], |v[8:9]|, 1.0
	s_delay_alu instid0(VALU_DEP_2) | instskip(NEXT) | instid1(VALU_DEP_2)
	v_add_f64_e32 v[48:49], v[54:55], v[48:49]
	v_mul_f64_e32 v[52:53], v[50:51], v[50:51]
	s_delay_alu instid0(VALU_DEP_2) | instskip(NEXT) | instid1(VALU_DEP_2)
	v_add_f64_e32 v[54:55], -1.0, v[48:49]
	v_fmamk_f64 v[48:49], v[52:53], 0xbf5ab89d0b9e43e4, v[14:15]
	s_delay_alu instid0(VALU_DEP_1) | instskip(NEXT) | instid1(VALU_DEP_1)
	v_fmaak_f64 v[48:49], v[52:53], v[48:49], 0xbf4380cb8c0fe741
	v_fmaak_f64 v[48:49], v[52:53], v[48:49], 0x3f4a019f98cf38b6
	s_delay_alu instid0(VALU_DEP_1) | instskip(NEXT) | instid1(VALU_DEP_1)
	v_fmaak_f64 v[48:49], v[52:53], v[48:49], 0xbf66c16c16b02e5c
	v_fmaak_f64 v[48:49], v[52:53], v[48:49], 0x3fb555555555553b
	v_cndmask_b32_e32 v1, 0x7ff00000, v55, vcc_lo
	s_and_b32 vcc_lo, s2, vcc_lo
	s_delay_alu instid0(VALU_DEP_2) | instskip(NEXT) | instid1(VALU_DEP_2)
	v_fmaak_f64 v[48:49], v[50:51], v[48:49], 0x3fdacfe390c97d69
	v_cndmask_b32_e64 v51, 0xfff00000, v1, s2
	v_cndmask_b32_e32 v50, 0, v54, vcc_lo
	s_delay_alu instid0(VALU_DEP_1)
	v_fmac_f64_e32 v[48:49], v[56:57], v[50:51]
.LBB8_46:                               ;   in Loop: Header=BB8_5 Depth=1
	s_or_b32 exec_lo, exec_lo, s6
.LBB8_47:                               ;   in Loop: Header=BB8_5 Depth=1
	s_and_not1_saveexec_b32 s4, s4
	s_cbranch_execz .LBB8_49
; %bb.48:                               ;   in Loop: Header=BB8_5 Depth=1
	v_cvt_i32_f64_e32 v1, v[46:47]
	s_delay_alu instid0(VALU_DEP_1) | instskip(SKIP_2) | instid1(VALU_DEP_3)
	v_cvt_f64_i32_e32 v[48:49], v1
	v_cmp_lt_i32_e32 vcc_lo, 2, v1
	v_cmp_lt_i32_e64 s2, 3, v1
	v_add_f64_e64 v[48:49], |v[8:9]|, -v[48:49]
	s_delay_alu instid0(VALU_DEP_1) | instskip(SKIP_2) | instid1(VALU_DEP_2)
	v_add_f64_e32 v[54:55], 4.0, v[48:49]
	v_add_f64_e32 v[50:51], 2.0, v[48:49]
	v_add_f64_e32 v[52:53], 0x40080000, v[48:49]
	v_cndmask_b32_e32 v51, 0x3ff00000, v51, vcc_lo
	s_delay_alu instid0(VALU_DEP_3) | instskip(SKIP_1) | instid1(VALU_DEP_4)
	v_cndmask_b32_e32 v50, 0, v50, vcc_lo
	v_cmp_lt_i32_e32 vcc_lo, 4, v1
	v_cndmask_b32_e64 v53, 0x3ff00000, v53, s2
	v_cndmask_b32_e32 v55, 0x3ff00000, v55, vcc_lo
	v_dual_cndmask_b32 v54, 0, v54, vcc_lo :: v_dual_cndmask_b32 v52, 0, v52, s2
	v_cmp_lt_i32_e32 vcc_lo, 5, v1
	s_delay_alu instid0(VALU_DEP_2) | instskip(SKIP_1) | instid1(VALU_DEP_2)
	v_mul_f64_e32 v[50:51], v[50:51], v[52:53]
	v_add_f64_e32 v[52:53], 0x40140000, v[48:49]
	v_mul_f64_e32 v[50:51], v[54:55], v[50:51]
	v_add_f64_e32 v[54:55], 0x40180000, v[48:49]
	s_delay_alu instid0(VALU_DEP_3) | instskip(NEXT) | instid1(VALU_DEP_4)
	v_cndmask_b32_e32 v53, 0x3ff00000, v53, vcc_lo
	v_cndmask_b32_e32 v52, 0, v52, vcc_lo
	v_cmp_lt_i32_e32 vcc_lo, 6, v1
	s_delay_alu instid0(VALU_DEP_2) | instskip(SKIP_2) | instid1(VALU_DEP_1)
	v_mul_f64_e32 v[50:51], v[52:53], v[50:51]
	v_cndmask_b32_e32 v53, 0x3ff00000, v55, vcc_lo
	v_cndmask_b32_e32 v52, 0, v54, vcc_lo
	v_mul_f64_e32 v[50:51], v[52:53], v[50:51]
	s_delay_alu instid0(VALU_DEP_1) | instskip(NEXT) | instid1(VALU_DEP_1)
	v_frexp_mant_f64_e32 v[52:53], v[50:51]
	v_cmp_gt_f64_e32 vcc_lo, s[22:23], v[52:53]
	v_cndmask_b32_e64 v1, 0, 1, vcc_lo
	s_delay_alu instid0(VALU_DEP_1) | instskip(SKIP_1) | instid1(VALU_DEP_2)
	v_ldexp_f64 v[52:53], v[52:53], v1
	v_frexp_exp_i32_f64_e32 v1, v[50:51]
	v_add_f64_e32 v[54:55], 1.0, v[52:53]
	v_add_f64_e32 v[60:61], -1.0, v[52:53]
	s_delay_alu instid0(VALU_DEP_3) | instskip(NEXT) | instid1(VALU_DEP_3)
	v_subrev_co_ci_u32_e64 v1, null, 0, v1, vcc_lo
	v_rcp_f64_e32 v[56:57], v[54:55]
	v_add_f64_e32 v[62:63], -1.0, v[54:55]
	s_delay_alu instid0(VALU_DEP_1) | instskip(NEXT) | instid1(TRANS32_DEP_1)
	v_add_f64_e64 v[52:53], v[52:53], -v[62:63]
	v_fma_f64 v[58:59], -v[54:55], v[56:57], 1.0
	s_delay_alu instid0(VALU_DEP_1) | instskip(NEXT) | instid1(VALU_DEP_1)
	v_fmac_f64_e32 v[56:57], v[58:59], v[56:57]
	v_fma_f64 v[58:59], -v[54:55], v[56:57], 1.0
	s_delay_alu instid0(VALU_DEP_1) | instskip(NEXT) | instid1(VALU_DEP_1)
	v_fmac_f64_e32 v[56:57], v[58:59], v[56:57]
	v_mul_f64_e32 v[58:59], v[60:61], v[56:57]
	s_delay_alu instid0(VALU_DEP_1) | instskip(NEXT) | instid1(VALU_DEP_1)
	v_mul_f64_e32 v[64:65], v[54:55], v[58:59]
	v_fma_f64 v[54:55], v[58:59], v[54:55], -v[64:65]
	s_delay_alu instid0(VALU_DEP_1) | instskip(NEXT) | instid1(VALU_DEP_1)
	v_fmac_f64_e32 v[54:55], v[58:59], v[52:53]
	v_add_f64_e32 v[52:53], v[64:65], v[54:55]
	s_delay_alu instid0(VALU_DEP_1) | instskip(SKIP_1) | instid1(VALU_DEP_2)
	v_add_f64_e64 v[62:63], v[60:61], -v[52:53]
	v_add_f64_e64 v[64:65], v[52:53], -v[64:65]
	;; [unrolled: 1-line block ×3, first 2 shown]
	s_delay_alu instid0(VALU_DEP_2) | instskip(NEXT) | instid1(VALU_DEP_2)
	v_add_f64_e64 v[54:55], v[64:65], -v[54:55]
	v_add_f64_e64 v[52:53], v[60:61], -v[52:53]
	s_delay_alu instid0(VALU_DEP_1) | instskip(NEXT) | instid1(VALU_DEP_1)
	v_add_f64_e32 v[52:53], v[54:55], v[52:53]
	v_add_f64_e32 v[52:53], v[62:63], v[52:53]
	s_delay_alu instid0(VALU_DEP_1) | instskip(NEXT) | instid1(VALU_DEP_1)
	v_mul_f64_e32 v[52:53], v[56:57], v[52:53]
	v_add_f64_e32 v[54:55], v[58:59], v[52:53]
	s_delay_alu instid0(VALU_DEP_1) | instskip(NEXT) | instid1(VALU_DEP_1)
	v_mul_f64_e32 v[56:57], v[54:55], v[54:55]
	v_fmamk_f64 v[60:61], v[56:57], 0x3fc3ab76bf559e2b, v[12:13]
	v_mul_f64_e32 v[62:63], v[54:55], v[56:57]
	s_delay_alu instid0(VALU_DEP_2) | instskip(NEXT) | instid1(VALU_DEP_1)
	v_fmaak_f64 v[60:61], v[56:57], v[60:61], 0x3fc7474dd7f4df2e
	v_fmaak_f64 v[60:61], v[56:57], v[60:61], 0x3fcc71c016291751
	s_delay_alu instid0(VALU_DEP_1) | instskip(NEXT) | instid1(VALU_DEP_1)
	v_fmaak_f64 v[60:61], v[56:57], v[60:61], 0x3fd249249b27acf1
	v_fmaak_f64 v[60:61], v[56:57], v[60:61], 0x3fd99999998ef7b6
	s_delay_alu instid0(VALU_DEP_1) | instskip(SKIP_2) | instid1(VALU_DEP_3)
	v_fmaak_f64 v[56:57], v[56:57], v[60:61], 0x3fe5555555555780
	v_ldexp_f64 v[60:61], v[54:55], 1
	v_add_f64_e64 v[54:55], v[54:55], -v[58:59]
	v_mul_f64_e32 v[56:57], v[62:63], v[56:57]
	v_cvt_f64_i32_e32 v[62:63], v1
	s_delay_alu instid0(VALU_DEP_3) | instskip(NEXT) | instid1(VALU_DEP_3)
	v_add_f64_e64 v[52:53], v[52:53], -v[54:55]
	v_add_f64_e32 v[58:59], v[60:61], v[56:57]
	s_delay_alu instid0(VALU_DEP_3) | instskip(NEXT) | instid1(VALU_DEP_3)
	v_mul_f64_e32 v[64:65], 0x3fe62e42fefa39ef, v[62:63]
	v_ldexp_f64 v[52:53], v[52:53], 1
	s_delay_alu instid0(VALU_DEP_3) | instskip(NEXT) | instid1(VALU_DEP_3)
	v_add_f64_e64 v[54:55], v[58:59], -v[60:61]
	v_fma_f64 v[60:61], v[62:63], s[24:25], -v[64:65]
	s_delay_alu instid0(VALU_DEP_2) | instskip(NEXT) | instid1(VALU_DEP_2)
	v_add_f64_e64 v[54:55], v[56:57], -v[54:55]
	v_fmac_f64_e32 v[60:61], 0x3c7abc9e3b39803f, v[62:63]
	v_fmamk_f64 v[56:57], v[48:49], 0x3f00bfecdd17e945, v[16:17]
	s_delay_alu instid0(VALU_DEP_1) | instskip(NEXT) | instid1(VALU_DEP_1)
	v_fmaak_f64 v[56:57], v[48:49], v[56:57], 0x3f9b481c7e939961
	v_fmaak_f64 v[56:57], v[48:49], v[56:57], 0x3fc2bb9cbee5f2f7
	s_delay_alu instid0(VALU_DEP_1) | instskip(NEXT) | instid1(VALU_DEP_1)
	v_fmaak_f64 v[56:57], v[48:49], v[56:57], 0x3fd4d98f4f139f59
	v_fmaak_f64 v[56:57], v[48:49], v[56:57], 0x3fcb848b36e20878
	v_add_f64_e32 v[52:53], v[52:53], v[54:55]
	v_fmamk_f64 v[54:55], v[48:49], 0x3edebaf7a5b38140, v[18:19]
	v_add_f64_e32 v[62:63], v[64:65], v[60:61]
	s_delay_alu instid0(VALU_DEP_4) | instskip(NEXT) | instid1(VALU_DEP_3)
	v_fmaak_f64 v[56:57], v[48:49], v[56:57], 0xbfb3c467e37db0c8
	v_fmaak_f64 v[54:55], v[48:49], v[54:55], 0x3f9317ea742ed475
	s_delay_alu instid0(VALU_DEP_2) | instskip(NEXT) | instid1(VALU_DEP_2)
	v_mul_f64_e32 v[56:57], v[48:49], v[56:57]
	v_fmaak_f64 v[54:55], v[48:49], v[54:55], 0x3fc601edccfbdf27
	s_delay_alu instid0(VALU_DEP_1) | instskip(NEXT) | instid1(VALU_DEP_1)
	v_fmaak_f64 v[54:55], v[48:49], v[54:55], 0x3fe71a1893d3dcdc
	v_fmaak_f64 v[54:55], v[48:49], v[54:55], 0x3ff645a762c4ab74
	v_add_f64_e32 v[66:67], v[58:59], v[52:53]
	v_add_f64_e64 v[64:65], v[62:63], -v[64:65]
	s_delay_alu instid0(VALU_DEP_3) | instskip(NEXT) | instid1(VALU_DEP_3)
	v_fma_f64 v[54:55], v[48:49], v[54:55], 1.0
	v_add_f64_e32 v[68:69], v[62:63], v[66:67]
	v_add_f64_e64 v[58:59], v[66:67], -v[58:59]
	s_delay_alu instid0(VALU_DEP_4) | instskip(NEXT) | instid1(VALU_DEP_4)
	v_add_f64_e64 v[60:61], v[60:61], -v[64:65]
	v_div_scale_f64 v[70:71], null, v[54:55], v[54:55], v[56:57]
	s_delay_alu instid0(VALU_DEP_4) | instskip(NEXT) | instid1(VALU_DEP_4)
	v_add_f64_e64 v[72:73], v[68:69], -v[62:63]
	v_add_f64_e64 v[52:53], v[52:53], -v[58:59]
	s_delay_alu instid0(VALU_DEP_3) | instskip(NEXT) | instid1(VALU_DEP_2)
	v_rcp_f64_e32 v[74:75], v[70:71]
	v_add_f64_e64 v[76:77], v[68:69], -v[72:73]
	v_add_f64_e64 v[58:59], v[66:67], -v[72:73]
	s_delay_alu instid0(VALU_DEP_3) | instskip(SKIP_1) | instid1(TRANS32_DEP_1)
	v_add_f64_e32 v[64:65], v[60:61], v[52:53]
	v_div_scale_f64 v[72:73], vcc_lo, v[56:57], v[54:55], v[56:57]
	v_fma_f64 v[78:79], -v[70:71], v[74:75], 1.0
	v_add_f64_e64 v[62:63], v[62:63], -v[76:77]
	s_delay_alu instid0(VALU_DEP_4) | instskip(NEXT) | instid1(VALU_DEP_3)
	v_add_f64_e64 v[66:67], v[64:65], -v[60:61]
	v_fmac_f64_e32 v[74:75], v[74:75], v[78:79]
	s_delay_alu instid0(VALU_DEP_3) | instskip(NEXT) | instid1(VALU_DEP_3)
	v_add_f64_e32 v[58:59], v[58:59], v[62:63]
	v_add_f64_e64 v[52:53], v[52:53], -v[66:67]
	s_delay_alu instid0(VALU_DEP_3) | instskip(NEXT) | instid1(VALU_DEP_3)
	v_fma_f64 v[62:63], -v[70:71], v[74:75], 1.0
	v_add_f64_e32 v[58:59], v[64:65], v[58:59]
	s_delay_alu instid0(VALU_DEP_2) | instskip(SKIP_1) | instid1(VALU_DEP_3)
	v_fmac_f64_e32 v[74:75], v[74:75], v[62:63]
	v_add_f64_e64 v[62:63], v[64:65], -v[66:67]
	v_add_f64_e32 v[64:65], v[68:69], v[58:59]
	s_delay_alu instid0(VALU_DEP_3) | instskip(NEXT) | instid1(VALU_DEP_3)
	v_mul_f64_e32 v[76:77], v[72:73], v[74:75]
	v_add_f64_e64 v[60:61], v[60:61], -v[62:63]
	s_delay_alu instid0(VALU_DEP_3) | instskip(NEXT) | instid1(VALU_DEP_3)
	v_add_f64_e64 v[62:63], v[64:65], -v[68:69]
	v_fma_f64 v[66:67], -v[70:71], v[76:77], v[72:73]
	s_delay_alu instid0(VALU_DEP_3) | instskip(NEXT) | instid1(VALU_DEP_3)
	v_add_f64_e32 v[52:53], v[52:53], v[60:61]
	v_add_f64_e64 v[58:59], v[58:59], -v[62:63]
	s_delay_alu instid0(VALU_DEP_3) | instskip(SKIP_1) | instid1(VALU_DEP_3)
	v_div_fmas_f64 v[60:61], v[66:67], v[74:75], v[76:77]
	v_cmp_class_f64_e64 vcc_lo, v[50:51], 0x204
	v_add_f64_e32 v[52:53], v[52:53], v[58:59]
	s_delay_alu instid0(VALU_DEP_3) | instskip(NEXT) | instid1(VALU_DEP_2)
	v_div_fixup_f64 v[54:55], v[60:61], v[54:55], v[56:57]
	v_add_f64_e32 v[52:53], v[64:65], v[52:53]
	s_delay_alu instid0(VALU_DEP_2) | instskip(NEXT) | instid1(VALU_DEP_2)
	v_fmac_f64_e32 v[54:55], 0.5, v[48:49]
	v_dual_cndmask_b32 v1, v52, v50 :: v_dual_cndmask_b32 v42, v53, v51
	v_cmp_ngt_f64_e32 vcc_lo, 0, v[50:51]
	s_delay_alu instid0(VALU_DEP_2) | instskip(SKIP_1) | instid1(VALU_DEP_4)
	v_cndmask_b32_e32 v42, 0x7ff80000, v42, vcc_lo
	v_cmp_nge_f64_e32 vcc_lo, 0, v[50:51]
	v_cndmask_b32_e32 v48, 0, v1, vcc_lo
	v_cmp_neq_f64_e32 vcc_lo, 0, v[50:51]
	s_delay_alu instid0(VALU_DEP_4) | instskip(NEXT) | instid1(VALU_DEP_1)
	v_cndmask_b32_e32 v49, 0xfff00000, v42, vcc_lo
	v_add_f64_e32 v[48:49], v[54:55], v[48:49]
.LBB8_49:                               ;   in Loop: Header=BB8_5 Depth=1
	s_or_b32 exec_lo, exec_lo, s4
.LBB8_50:                               ;   in Loop: Header=BB8_5 Depth=1
	s_and_not1_saveexec_b32 s6, s3
	s_cbranch_execz .LBB8_64
; %bb.51:                               ;   in Loop: Header=BB8_5 Depth=1
                                        ; implicit-def: $vgpr1
                                        ; implicit-def: $vgpr50_vgpr51
	s_mov_b32 s2, exec_lo
	v_cmpx_lt_u32_e32 0x3feccccc, v47
	s_xor_b32 s3, exec_lo, s2
	s_cbranch_execz .LBB8_53
; %bb.52:                               ;   in Loop: Header=BB8_5 Depth=1
	v_add_f64_e64 v[48:49], -|v[8:9]|, 2.0
	v_add_f64_e64 v[50:51], |v[8:9]|, s[26:27]
	v_add_f64_e64 v[52:53], |v[8:9]|, -1.0
	v_cmp_gt_u32_e32 vcc_lo, 0x3ffbb4c3, v47
	v_cmp_gt_u32_e64 s2, 0x3ff3b4c4, v47
	v_cndmask_b32_e64 v46, 0, 1, vcc_lo
	v_dual_cndmask_b32 v1, v48, v50 :: v_dual_cndmask_b32 v42, v49, v51
	s_delay_alu instid0(VALU_DEP_1) | instskip(NEXT) | instid1(VALU_DEP_3)
	v_dual_cndmask_b32 v50, v1, v52, s2 :: v_dual_cndmask_b32 v51, v42, v53, s2
	v_cndmask_b32_e64 v1, v46, 2, s2
.LBB8_53:                               ;   in Loop: Header=BB8_5 Depth=1
	s_or_saveexec_b32 s7, s3
	v_mov_b64_e32 v[48:49], 0
	s_xor_b32 exec_lo, exec_lo, s7
	s_cbranch_execz .LBB8_55
; %bb.54:                               ;   in Loop: Header=BB8_5 Depth=1
	v_frexp_mant_f64_e64 v[48:49], |v[8:9]|
	v_and_b32_e32 v42, 0x7fffffff, v9
	v_cmp_gt_u32_e64 s4, 0x3fcda661, v47
	v_cmp_gt_u32_e64 s3, 0x3fe76944, v47
	v_cmp_neq_f64_e64 s2, 0, v[8:9]
	v_cmp_gt_f64_e32 vcc_lo, s[22:23], v[48:49]
	v_cndmask_b32_e64 v1, 0, 1, vcc_lo
	s_delay_alu instid0(VALU_DEP_1) | instskip(SKIP_1) | instid1(VALU_DEP_2)
	v_ldexp_f64 v[48:49], v[48:49], v1
	v_frexp_exp_i32_f64_e32 v1, v[8:9]
	v_add_f64_e32 v[50:51], 1.0, v[48:49]
	v_add_f64_e32 v[56:57], -1.0, v[48:49]
	s_delay_alu instid0(VALU_DEP_3) | instskip(SKIP_1) | instid1(VALU_DEP_4)
	v_subrev_co_ci_u32_e64 v1, null, 0, v1, vcc_lo
	v_cmp_neq_f64_e64 vcc_lo, 0x7ff00000, |v[8:9]|
	v_rcp_f64_e32 v[52:53], v[50:51]
	v_add_f64_e32 v[58:59], -1.0, v[50:51]
	s_delay_alu instid0(VALU_DEP_1) | instskip(NEXT) | instid1(TRANS32_DEP_1)
	v_add_f64_e64 v[48:49], v[48:49], -v[58:59]
	v_fma_f64 v[54:55], -v[50:51], v[52:53], 1.0
	s_delay_alu instid0(VALU_DEP_1) | instskip(NEXT) | instid1(VALU_DEP_1)
	v_fmac_f64_e32 v[52:53], v[54:55], v[52:53]
	v_fma_f64 v[54:55], -v[50:51], v[52:53], 1.0
	s_delay_alu instid0(VALU_DEP_1) | instskip(NEXT) | instid1(VALU_DEP_1)
	v_fmac_f64_e32 v[52:53], v[54:55], v[52:53]
	v_mul_f64_e32 v[54:55], v[56:57], v[52:53]
	s_delay_alu instid0(VALU_DEP_1) | instskip(NEXT) | instid1(VALU_DEP_1)
	v_mul_f64_e32 v[60:61], v[50:51], v[54:55]
	v_fma_f64 v[50:51], v[54:55], v[50:51], -v[60:61]
	s_delay_alu instid0(VALU_DEP_1) | instskip(NEXT) | instid1(VALU_DEP_1)
	v_fmac_f64_e32 v[50:51], v[54:55], v[48:49]
	v_add_f64_e32 v[48:49], v[60:61], v[50:51]
	s_delay_alu instid0(VALU_DEP_1) | instskip(SKIP_1) | instid1(VALU_DEP_2)
	v_add_f64_e64 v[58:59], v[56:57], -v[48:49]
	v_add_f64_e64 v[60:61], v[48:49], -v[60:61]
	;; [unrolled: 1-line block ×3, first 2 shown]
	s_delay_alu instid0(VALU_DEP_2) | instskip(NEXT) | instid1(VALU_DEP_2)
	v_add_f64_e64 v[50:51], v[60:61], -v[50:51]
	v_add_f64_e64 v[48:49], v[56:57], -v[48:49]
	s_delay_alu instid0(VALU_DEP_1) | instskip(NEXT) | instid1(VALU_DEP_1)
	v_add_f64_e32 v[48:49], v[50:51], v[48:49]
	v_add_f64_e32 v[48:49], v[58:59], v[48:49]
	s_delay_alu instid0(VALU_DEP_1) | instskip(NEXT) | instid1(VALU_DEP_1)
	v_mul_f64_e32 v[48:49], v[52:53], v[48:49]
	v_add_f64_e32 v[50:51], v[54:55], v[48:49]
	s_delay_alu instid0(VALU_DEP_1) | instskip(NEXT) | instid1(VALU_DEP_1)
	v_mul_f64_e32 v[52:53], v[50:51], v[50:51]
	v_fmamk_f64 v[56:57], v[52:53], 0x3fc3ab76bf559e2b, v[12:13]
	v_mul_f64_e32 v[58:59], v[50:51], v[52:53]
	s_delay_alu instid0(VALU_DEP_2) | instskip(NEXT) | instid1(VALU_DEP_1)
	v_fmaak_f64 v[56:57], v[52:53], v[56:57], 0x3fc7474dd7f4df2e
	v_fmaak_f64 v[56:57], v[52:53], v[56:57], 0x3fcc71c016291751
	s_delay_alu instid0(VALU_DEP_1) | instskip(NEXT) | instid1(VALU_DEP_1)
	v_fmaak_f64 v[56:57], v[52:53], v[56:57], 0x3fd249249b27acf1
	v_fmaak_f64 v[56:57], v[52:53], v[56:57], 0x3fd99999998ef7b6
	s_delay_alu instid0(VALU_DEP_1) | instskip(SKIP_2) | instid1(VALU_DEP_3)
	v_fmaak_f64 v[52:53], v[52:53], v[56:57], 0x3fe5555555555780
	v_ldexp_f64 v[56:57], v[50:51], 1
	v_add_f64_e64 v[50:51], v[50:51], -v[54:55]
	v_mul_f64_e32 v[52:53], v[58:59], v[52:53]
	v_cvt_f64_i32_e32 v[58:59], v1
	s_delay_alu instid0(VALU_DEP_3) | instskip(NEXT) | instid1(VALU_DEP_3)
	v_add_f64_e64 v[48:49], v[48:49], -v[50:51]
	v_add_f64_e32 v[54:55], v[56:57], v[52:53]
	s_delay_alu instid0(VALU_DEP_3) | instskip(NEXT) | instid1(VALU_DEP_3)
	v_mul_f64_e32 v[60:61], 0x3fe62e42fefa39ef, v[58:59]
	v_ldexp_f64 v[48:49], v[48:49], 1
	s_delay_alu instid0(VALU_DEP_3) | instskip(NEXT) | instid1(VALU_DEP_3)
	v_add_f64_e64 v[50:51], v[54:55], -v[56:57]
	v_fma_f64 v[56:57], v[58:59], s[24:25], -v[60:61]
	s_delay_alu instid0(VALU_DEP_2) | instskip(NEXT) | instid1(VALU_DEP_2)
	v_add_f64_e64 v[50:51], v[52:53], -v[50:51]
	v_fmac_f64_e32 v[56:57], 0x3c7abc9e3b39803f, v[58:59]
	s_delay_alu instid0(VALU_DEP_2) | instskip(NEXT) | instid1(VALU_DEP_2)
	v_add_f64_e32 v[48:49], v[48:49], v[50:51]
	v_add_f64_e32 v[50:51], v[60:61], v[56:57]
	s_delay_alu instid0(VALU_DEP_2) | instskip(NEXT) | instid1(VALU_DEP_2)
	v_add_f64_e32 v[52:53], v[54:55], v[48:49]
	v_add_f64_e64 v[60:61], v[50:51], -v[60:61]
	s_delay_alu instid0(VALU_DEP_2) | instskip(SKIP_1) | instid1(VALU_DEP_3)
	v_add_f64_e32 v[58:59], v[50:51], v[52:53]
	v_add_f64_e64 v[54:55], v[52:53], -v[54:55]
	v_add_f64_e64 v[56:57], v[56:57], -v[60:61]
	s_delay_alu instid0(VALU_DEP_3) | instskip(NEXT) | instid1(VALU_DEP_3)
	v_add_f64_e64 v[62:63], v[58:59], -v[50:51]
	v_add_f64_e64 v[48:49], v[48:49], -v[54:55]
	s_delay_alu instid0(VALU_DEP_2) | instskip(SKIP_1) | instid1(VALU_DEP_3)
	v_add_f64_e64 v[64:65], v[58:59], -v[62:63]
	v_add_f64_e64 v[52:53], v[52:53], -v[62:63]
	v_add_f64_e32 v[54:55], v[56:57], v[48:49]
	s_delay_alu instid0(VALU_DEP_3) | instskip(NEXT) | instid1(VALU_DEP_1)
	v_add_f64_e64 v[50:51], v[50:51], -v[64:65]
	v_add_f64_e32 v[50:51], v[52:53], v[50:51]
	s_delay_alu instid0(VALU_DEP_3) | instskip(NEXT) | instid1(VALU_DEP_2)
	v_add_f64_e64 v[52:53], v[54:55], -v[56:57]
	v_add_f64_e32 v[50:51], v[54:55], v[50:51]
	s_delay_alu instid0(VALU_DEP_2) | instskip(SKIP_1) | instid1(VALU_DEP_3)
	v_add_f64_e64 v[54:55], v[54:55], -v[52:53]
	v_add_f64_e64 v[48:49], v[48:49], -v[52:53]
	v_add_f64_e32 v[60:61], v[58:59], v[50:51]
	s_delay_alu instid0(VALU_DEP_3) | instskip(NEXT) | instid1(VALU_DEP_2)
	v_add_f64_e64 v[52:53], v[56:57], -v[54:55]
	v_add_f64_e64 v[54:55], v[60:61], -v[58:59]
	s_delay_alu instid0(VALU_DEP_2) | instskip(SKIP_1) | instid1(VALU_DEP_3)
	v_add_f64_e32 v[48:49], v[48:49], v[52:53]
	v_add_f64_e64 v[52:53], |v[8:9]|, s[28:29]
	v_add_f64_e64 v[50:51], v[50:51], -v[54:55]
	s_delay_alu instid0(VALU_DEP_1) | instskip(SKIP_1) | instid1(VALU_DEP_2)
	v_add_f64_e32 v[48:49], v[48:49], v[50:51]
	v_add_f64_e64 v[50:51], -|v[8:9]|, 1.0
	v_add_f64_e32 v[48:49], v[60:61], v[48:49]
	s_delay_alu instid0(VALU_DEP_2) | instskip(SKIP_1) | instid1(VALU_DEP_2)
	v_cndmask_b32_e64 v46, v50, v52, s3
	v_cndmask_b32_e64 v52, 0, 1, s3
	;; [unrolled: 1-line block ×3, first 2 shown]
	s_delay_alu instid0(VALU_DEP_4) | instskip(SKIP_1) | instid1(VALU_DEP_2)
	v_xor_b32_e32 v1, 0x80000000, v49
	v_cndmask_b32_e64 v49, v51, v53, s3
	v_cndmask_b32_e32 v1, 0xfff00000, v1, vcc_lo
	s_and_b32 vcc_lo, s2, vcc_lo
	s_delay_alu instid0(VALU_DEP_2) | instid1(SALU_CYCLE_1)
	v_dual_cndmask_b32 v51, v49, v42, s4 :: v_dual_cndmask_b32 v48, 0, v48, vcc_lo
	s_delay_alu instid0(VALU_DEP_2)
	v_cndmask_b32_e64 v49, 0x7ff00000, v1, s2
	v_cndmask_b32_e64 v1, v52, 2, s4
.LBB8_55:                               ;   in Loop: Header=BB8_5 Depth=1
	s_or_b32 exec_lo, exec_lo, s7
	s_delay_alu instid0(SALU_CYCLE_1) | instskip(NEXT) | instid1(VALU_DEP_1)
	s_mov_b32 s2, exec_lo
                                        ; implicit-def: $vgpr52_vgpr53
	v_cmpx_lt_i32_e32 1, v1
	s_xor_b32 s2, exec_lo, s2
	s_cbranch_execz .LBB8_57
; %bb.56:                               ;   in Loop: Header=BB8_5 Depth=1
	v_fmamk_f64 v[52:53], v[50:51], 0x3f8b678bbf2bab09, v[20:21]
	v_fmamk_f64 v[54:55], v[50:51], 0x3f6a5abb57d0cf61, v[22:23]
                                        ; implicit-def: $vgpr1
	s_delay_alu instid0(VALU_DEP_2) | instskip(NEXT) | instid1(VALU_DEP_2)
	v_fmaak_f64 v[52:53], v[50:51], v[52:53], 0x3fef497644ea8450
	v_fmaak_f64 v[54:55], v[50:51], v[54:55], 0x3fe89dfbe45050af
	s_delay_alu instid0(VALU_DEP_2) | instskip(NEXT) | instid1(VALU_DEP_2)
	v_fmaak_f64 v[52:53], v[50:51], v[52:53], 0x3ff7475cd119bd6f
	v_fmaak_f64 v[54:55], v[50:51], v[54:55], 0x40010725a42b18f5
	;; [unrolled: 3-line block ×3, first 2 shown]
	s_delay_alu instid0(VALU_DEP_2) | instskip(NEXT) | instid1(VALU_DEP_2)
	v_fmaak_f64 v[52:53], v[50:51], v[52:53], 0xbfb3c467e37db0c8
	v_fma_f64 v[54:55], v[50:51], v[54:55], 1.0
	s_delay_alu instid0(VALU_DEP_2) | instskip(NEXT) | instid1(VALU_DEP_1)
	v_mul_f64_e32 v[52:53], v[50:51], v[52:53]
	v_div_scale_f64 v[56:57], null, v[54:55], v[54:55], v[52:53]
	s_delay_alu instid0(VALU_DEP_1) | instskip(SKIP_1) | instid1(TRANS32_DEP_1)
	v_rcp_f64_e32 v[58:59], v[56:57]
	v_nop
	v_fma_f64 v[60:61], -v[56:57], v[58:59], 1.0
	s_delay_alu instid0(VALU_DEP_1) | instskip(NEXT) | instid1(VALU_DEP_1)
	v_fmac_f64_e32 v[58:59], v[58:59], v[60:61]
	v_fma_f64 v[60:61], -v[56:57], v[58:59], 1.0
	s_delay_alu instid0(VALU_DEP_1) | instskip(SKIP_1) | instid1(VALU_DEP_1)
	v_fmac_f64_e32 v[58:59], v[58:59], v[60:61]
	v_div_scale_f64 v[60:61], vcc_lo, v[52:53], v[54:55], v[52:53]
	v_mul_f64_e32 v[62:63], v[60:61], v[58:59]
	s_delay_alu instid0(VALU_DEP_1) | instskip(NEXT) | instid1(VALU_DEP_1)
	v_fma_f64 v[56:57], -v[56:57], v[62:63], v[60:61]
	v_div_fmas_f64 v[56:57], v[56:57], v[58:59], v[62:63]
	s_delay_alu instid0(VALU_DEP_1) | instskip(NEXT) | instid1(VALU_DEP_1)
	v_div_fixup_f64 v[52:53], v[56:57], v[54:55], v[52:53]
	v_fmac_f64_e32 v[52:53], -0.5, v[50:51]
                                        ; implicit-def: $vgpr50_vgpr51
.LBB8_57:                               ;   in Loop: Header=BB8_5 Depth=1
	s_and_not1_saveexec_b32 s2, s2
	s_cbranch_execz .LBB8_63
; %bb.58:                               ;   in Loop: Header=BB8_5 Depth=1
	v_mul_f64_e32 v[54:55], v[50:51], v[50:51]
	s_mov_b32 s3, exec_lo
                                        ; implicit-def: $vgpr52_vgpr53
	v_cmpx_ne_u32_e32 1, v1
	s_xor_b32 s3, exec_lo, s3
	s_cbranch_execz .LBB8_60
; %bb.59:                               ;   in Loop: Header=BB8_5 Depth=1
	s_delay_alu instid0(VALU_DEP_2) | instskip(SKIP_1) | instid1(VALU_DEP_2)
	v_fmamk_f64 v[52:53], v[54:55], 0x3f07858e90a45837, v[26:27]
	v_fmamk_f64 v[56:57], v[54:55], 0x3efa7074428cfa52, v[24:25]
	v_fmaak_f64 v[52:53], v[54:55], v[52:53], 0x3f40b6c689b99c00
	s_delay_alu instid0(VALU_DEP_2) | instskip(NEXT) | instid1(VALU_DEP_2)
	v_fmaak_f64 v[56:57], v[54:55], v[56:57], 0x3f538a94116f3f5d
	v_fmaak_f64 v[52:53], v[54:55], v[52:53], 0x3f67add8ccb7926b
	s_delay_alu instid0(VALU_DEP_2) | instskip(NEXT) | instid1(VALU_DEP_2)
	v_fmaak_f64 v[56:57], v[54:55], v[56:57], 0x3f7e404fb68fefe8
	;; [unrolled: 3-line block ×3, first 2 shown]
	v_fmaak_f64 v[52:53], v[54:55], v[52:53], 0x3fd4a34cc4a60fad
	s_delay_alu instid0(VALU_DEP_1) | instskip(NEXT) | instid1(VALU_DEP_3)
	v_mul_f64_e32 v[52:53], v[54:55], v[52:53]
	v_fmaak_f64 v[54:55], v[54:55], v[56:57], 0x3fb3c467e37db0c8
	s_delay_alu instid0(VALU_DEP_1) | instskip(NEXT) | instid1(VALU_DEP_1)
	v_fmac_f64_e32 v[52:53], v[50:51], v[54:55]
                                        ; implicit-def: $vgpr54_vgpr55
	v_fmac_f64_e32 v[52:53], -0.5, v[50:51]
                                        ; implicit-def: $vgpr50_vgpr51
.LBB8_60:                               ;   in Loop: Header=BB8_5 Depth=1
	s_and_not1_saveexec_b32 s3, s3
	s_cbranch_execz .LBB8_62
; %bb.61:                               ;   in Loop: Header=BB8_5 Depth=1
	s_delay_alu instid0(VALU_DEP_2) | instskip(NEXT) | instid1(VALU_DEP_1)
	v_mul_f64_e32 v[52:53], v[50:51], v[54:55]
	v_fmamk_f64 v[56:57], v[52:53], 0xbf347f24ecc38c38, v[30:31]
	v_fmamk_f64 v[58:59], v[52:53], 0x3f35fd3ee8c2d3f4, v[32:33]
	s_delay_alu instid0(VALU_DEP_2) | instskip(NEXT) | instid1(VALU_DEP_2)
	v_fmaak_f64 v[56:57], v[52:53], v[56:57], 0xbf6e2effb3e914d7
	v_fmaak_f64 v[58:59], v[52:53], v[58:59], 0x3f6282d32e15c915
	s_delay_alu instid0(VALU_DEP_2) | instskip(NEXT) | instid1(VALU_DEP_2)
	v_fmaak_f64 v[56:57], v[52:53], v[56:57], 0x3f9266e7970af9ec
	v_fmaak_f64 v[58:59], v[52:53], v[58:59], 0xbf851f9fba91ec6a
	;; [unrolled: 3-line block ×3, first 2 shown]
	s_delay_alu instid0(VALU_DEP_1) | instskip(NEXT) | instid1(VALU_DEP_1)
	v_fmac_f64_e32 v[56:57], v[50:51], v[58:59]
	v_fma_f64 v[50:51], v[52:53], -v[56:57], s[30:31]
	v_fmamk_f64 v[56:57], v[52:53], 0x3f34af6d6c0ebbf7, v[28:29]
	s_delay_alu instid0(VALU_DEP_1) | instskip(NEXT) | instid1(VALU_DEP_1)
	v_fmaak_f64 v[56:57], v[52:53], v[56:57], 0x3f78fce0e370e344
	v_fmaak_f64 v[56:57], v[52:53], v[56:57], 0xbfa0c9a8df35b713
	s_delay_alu instid0(VALU_DEP_1) | instskip(NEXT) | instid1(VALU_DEP_1)
	v_fmaak_f64 v[52:53], v[52:53], v[56:57], 0x3fdef72bc8ee38a2
	v_fma_f64 v[50:51], v[54:55], v[52:53], -v[50:51]
	s_delay_alu instid0(VALU_DEP_1)
	v_add_f64_e32 v[52:53], 0xbfbf19b9bcc38a42, v[50:51]
.LBB8_62:                               ;   in Loop: Header=BB8_5 Depth=1
	s_or_b32 exec_lo, exec_lo, s3
.LBB8_63:                               ;   in Loop: Header=BB8_5 Depth=1
	s_delay_alu instid0(SALU_CYCLE_1) | instskip(NEXT) | instid1(VALU_DEP_1)
	s_or_b32 exec_lo, exec_lo, s2
	v_add_f64_e32 v[48:49], v[48:49], v[52:53]
.LBB8_64:                               ;   in Loop: Header=BB8_5 Depth=1
	s_or_b32 exec_lo, exec_lo, s6
.LBB8_65:                               ;   in Loop: Header=BB8_5 Depth=1
	s_and_not1_saveexec_b32 s3, s5
	s_cbranch_execz .LBB8_67
; %bb.66:                               ;   in Loop: Header=BB8_5 Depth=1
	v_frexp_mant_f64_e64 v[48:49], |v[8:9]|
	v_cmp_neq_f64_e64 s2, 0, v[8:9]
	s_delay_alu instid0(VALU_DEP_2) | instskip(SKIP_1) | instid1(VALU_DEP_1)
	v_cmp_gt_f64_e32 vcc_lo, s[22:23], v[48:49]
	v_cndmask_b32_e64 v1, 0, 1, vcc_lo
	v_ldexp_f64 v[48:49], v[48:49], v1
	v_frexp_exp_i32_f64_e32 v1, v[8:9]
	s_delay_alu instid0(VALU_DEP_2) | instskip(SKIP_1) | instid1(VALU_DEP_3)
	v_add_f64_e32 v[50:51], 1.0, v[48:49]
	v_add_f64_e32 v[56:57], -1.0, v[48:49]
	v_subrev_co_ci_u32_e64 v1, null, 0, v1, vcc_lo
	v_cmp_neq_f64_e64 vcc_lo, 0x7ff00000, |v[8:9]|
	s_delay_alu instid0(VALU_DEP_4) | instskip(SKIP_1) | instid1(VALU_DEP_1)
	v_rcp_f64_e32 v[52:53], v[50:51]
	v_add_f64_e32 v[58:59], -1.0, v[50:51]
	v_add_f64_e64 v[48:49], v[48:49], -v[58:59]
	s_delay_alu instid0(TRANS32_DEP_1) | instskip(NEXT) | instid1(VALU_DEP_1)
	v_fma_f64 v[54:55], -v[50:51], v[52:53], 1.0
	v_fmac_f64_e32 v[52:53], v[54:55], v[52:53]
	s_delay_alu instid0(VALU_DEP_1) | instskip(NEXT) | instid1(VALU_DEP_1)
	v_fma_f64 v[54:55], -v[50:51], v[52:53], 1.0
	v_fmac_f64_e32 v[52:53], v[54:55], v[52:53]
	s_delay_alu instid0(VALU_DEP_1) | instskip(NEXT) | instid1(VALU_DEP_1)
	v_mul_f64_e32 v[54:55], v[56:57], v[52:53]
	v_mul_f64_e32 v[60:61], v[50:51], v[54:55]
	s_delay_alu instid0(VALU_DEP_1) | instskip(NEXT) | instid1(VALU_DEP_1)
	v_fma_f64 v[50:51], v[54:55], v[50:51], -v[60:61]
	v_fmac_f64_e32 v[50:51], v[54:55], v[48:49]
	s_delay_alu instid0(VALU_DEP_1) | instskip(NEXT) | instid1(VALU_DEP_1)
	v_add_f64_e32 v[48:49], v[60:61], v[50:51]
	v_add_f64_e64 v[58:59], v[56:57], -v[48:49]
	v_add_f64_e64 v[60:61], v[48:49], -v[60:61]
	s_delay_alu instid0(VALU_DEP_2) | instskip(NEXT) | instid1(VALU_DEP_2)
	v_add_f64_e64 v[56:57], v[56:57], -v[58:59]
	v_add_f64_e64 v[50:51], v[60:61], -v[50:51]
	s_delay_alu instid0(VALU_DEP_2) | instskip(NEXT) | instid1(VALU_DEP_1)
	v_add_f64_e64 v[48:49], v[56:57], -v[48:49]
	v_add_f64_e32 v[48:49], v[50:51], v[48:49]
	s_delay_alu instid0(VALU_DEP_1) | instskip(NEXT) | instid1(VALU_DEP_1)
	v_add_f64_e32 v[48:49], v[58:59], v[48:49]
	v_mul_f64_e32 v[48:49], v[52:53], v[48:49]
	s_delay_alu instid0(VALU_DEP_1) | instskip(NEXT) | instid1(VALU_DEP_1)
	v_add_f64_e32 v[50:51], v[54:55], v[48:49]
	v_mul_f64_e32 v[52:53], v[50:51], v[50:51]
	s_delay_alu instid0(VALU_DEP_1) | instskip(SKIP_1) | instid1(VALU_DEP_2)
	v_fmamk_f64 v[56:57], v[52:53], 0x3fc3ab76bf559e2b, v[12:13]
	v_mul_f64_e32 v[58:59], v[50:51], v[52:53]
	v_fmaak_f64 v[56:57], v[52:53], v[56:57], 0x3fc7474dd7f4df2e
	s_delay_alu instid0(VALU_DEP_1) | instskip(NEXT) | instid1(VALU_DEP_1)
	v_fmaak_f64 v[56:57], v[52:53], v[56:57], 0x3fcc71c016291751
	v_fmaak_f64 v[56:57], v[52:53], v[56:57], 0x3fd249249b27acf1
	s_delay_alu instid0(VALU_DEP_1) | instskip(NEXT) | instid1(VALU_DEP_1)
	v_fmaak_f64 v[56:57], v[52:53], v[56:57], 0x3fd99999998ef7b6
	v_fmaak_f64 v[52:53], v[52:53], v[56:57], 0x3fe5555555555780
	v_ldexp_f64 v[56:57], v[50:51], 1
	v_add_f64_e64 v[50:51], v[50:51], -v[54:55]
	s_delay_alu instid0(VALU_DEP_3) | instskip(SKIP_1) | instid1(VALU_DEP_3)
	v_mul_f64_e32 v[52:53], v[58:59], v[52:53]
	v_cvt_f64_i32_e32 v[58:59], v1
	v_add_f64_e64 v[48:49], v[48:49], -v[50:51]
	s_delay_alu instid0(VALU_DEP_3) | instskip(NEXT) | instid1(VALU_DEP_3)
	v_add_f64_e32 v[54:55], v[56:57], v[52:53]
	v_mul_f64_e32 v[60:61], 0x3fe62e42fefa39ef, v[58:59]
	s_delay_alu instid0(VALU_DEP_3) | instskip(NEXT) | instid1(VALU_DEP_3)
	v_ldexp_f64 v[48:49], v[48:49], 1
	v_add_f64_e64 v[50:51], v[54:55], -v[56:57]
	s_delay_alu instid0(VALU_DEP_3) | instskip(NEXT) | instid1(VALU_DEP_2)
	v_fma_f64 v[56:57], v[58:59], s[24:25], -v[60:61]
	v_add_f64_e64 v[50:51], v[52:53], -v[50:51]
	s_delay_alu instid0(VALU_DEP_2) | instskip(NEXT) | instid1(VALU_DEP_2)
	v_fmac_f64_e32 v[56:57], 0x3c7abc9e3b39803f, v[58:59]
	v_add_f64_e32 v[48:49], v[48:49], v[50:51]
	s_delay_alu instid0(VALU_DEP_2) | instskip(NEXT) | instid1(VALU_DEP_2)
	v_add_f64_e32 v[50:51], v[60:61], v[56:57]
	v_add_f64_e32 v[52:53], v[54:55], v[48:49]
	s_delay_alu instid0(VALU_DEP_2) | instskip(NEXT) | instid1(VALU_DEP_2)
	v_add_f64_e64 v[60:61], v[50:51], -v[60:61]
	v_add_f64_e32 v[58:59], v[50:51], v[52:53]
	v_add_f64_e64 v[54:55], v[52:53], -v[54:55]
	s_delay_alu instid0(VALU_DEP_3) | instskip(NEXT) | instid1(VALU_DEP_3)
	v_add_f64_e64 v[56:57], v[56:57], -v[60:61]
	v_add_f64_e64 v[62:63], v[58:59], -v[50:51]
	s_delay_alu instid0(VALU_DEP_3) | instskip(NEXT) | instid1(VALU_DEP_2)
	v_add_f64_e64 v[48:49], v[48:49], -v[54:55]
	v_add_f64_e64 v[64:65], v[58:59], -v[62:63]
	v_add_f64_e64 v[52:53], v[52:53], -v[62:63]
	s_delay_alu instid0(VALU_DEP_3) | instskip(NEXT) | instid1(VALU_DEP_3)
	v_add_f64_e32 v[54:55], v[56:57], v[48:49]
	v_add_f64_e64 v[50:51], v[50:51], -v[64:65]
	s_delay_alu instid0(VALU_DEP_1) | instskip(NEXT) | instid1(VALU_DEP_3)
	v_add_f64_e32 v[50:51], v[52:53], v[50:51]
	v_add_f64_e64 v[52:53], v[54:55], -v[56:57]
	s_delay_alu instid0(VALU_DEP_2) | instskip(NEXT) | instid1(VALU_DEP_2)
	v_add_f64_e32 v[50:51], v[54:55], v[50:51]
	v_add_f64_e64 v[54:55], v[54:55], -v[52:53]
	v_add_f64_e64 v[48:49], v[48:49], -v[52:53]
	s_delay_alu instid0(VALU_DEP_3) | instskip(NEXT) | instid1(VALU_DEP_3)
	v_add_f64_e32 v[60:61], v[58:59], v[50:51]
	v_add_f64_e64 v[52:53], v[56:57], -v[54:55]
	s_delay_alu instid0(VALU_DEP_2) | instskip(NEXT) | instid1(VALU_DEP_2)
	v_add_f64_e64 v[54:55], v[60:61], -v[58:59]
	v_add_f64_e32 v[48:49], v[48:49], v[52:53]
	v_fma_f64 v[52:53], |v[8:9]|, s[36:37], s[34:35]
	s_delay_alu instid0(VALU_DEP_3) | instskip(NEXT) | instid1(VALU_DEP_1)
	v_add_f64_e64 v[50:51], v[50:51], -v[54:55]
	v_add_f64_e32 v[48:49], v[48:49], v[50:51]
	s_delay_alu instid0(VALU_DEP_3) | instskip(NEXT) | instid1(VALU_DEP_2)
	v_fma_f64 v[50:51], |v[8:9]|, v[52:53], s[38:39]
	v_add_f64_e32 v[48:49], v[60:61], v[48:49]
	s_delay_alu instid0(VALU_DEP_2) | instskip(NEXT) | instid1(VALU_DEP_2)
	v_fma_f64 v[50:51], |v[8:9]|, v[50:51], s[40:41]
	v_xor_b32_e32 v1, 0x80000000, v49
	s_delay_alu instid0(VALU_DEP_2) | instskip(NEXT) | instid1(VALU_DEP_2)
	v_fma_f64 v[50:51], |v[8:9]|, v[50:51], s[42:43]
	v_cndmask_b32_e32 v1, 0xfff00000, v1, vcc_lo
	s_and_b32 vcc_lo, s2, vcc_lo
	v_cndmask_b32_e32 v48, 0, v48, vcc_lo
	s_delay_alu instid0(VALU_DEP_2) | instskip(NEXT) | instid1(VALU_DEP_1)
	v_cndmask_b32_e64 v49, 0x7ff00000, v1, s2
	v_fma_f64 v[48:49], |v[8:9]|, v[50:51], v[48:49]
.LBB8_67:                               ;   in Loop: Header=BB8_5 Depth=1
	s_or_b32 exec_lo, exec_lo, s3
	s_delay_alu instid0(SALU_CYCLE_1)
	s_mov_b32 s2, exec_lo
	v_cmpx_le_f64_e32 0, v[8:9]
	s_xor_b32 s3, exec_lo, s2
	s_cbranch_execz .LBB8_69
; %bb.68:                               ;   in Loop: Header=BB8_5 Depth=1
	v_cmp_eq_f64_e32 vcc_lo, 1.0, v[8:9]
	v_cmp_eq_f64_e64 s2, 2.0, v[8:9]
	s_or_b32 s2, vcc_lo, s2
	s_delay_alu instid0(SALU_CYCLE_1)
	v_cndmask_b32_e64 v49, v49, 0, s2
	v_cndmask_b32_e64 v48, v48, 0, s2
.LBB8_69:                               ;   in Loop: Header=BB8_5 Depth=1
	s_and_not1_saveexec_b32 s3, s3
	s_cbranch_execz .LBB8_73
; %bb.70:                               ;   in Loop: Header=BB8_5 Depth=1
	v_add_nc_u32_e32 v1, 0xc32fffff, v47
	s_mov_b32 s4, exec_lo
	s_delay_alu instid0(VALU_DEP_1)
	v_cmpx_gt_u32_e32 0x65fffff, v1
	s_cbranch_execz .LBB8_72
; %bb.71:                               ;   in Loop: Header=BB8_5 Depth=1
	v_mul_f64_e64 v[50:51], |v[8:9]|, 0.5
	v_cmp_class_f64_e64 s2, v[8:9], 0x1f8
	v_and_b32_e32 v1, 0x7fffffff, v9
	s_delay_alu instid0(VALU_DEP_3) | instskip(SKIP_1) | instid1(VALU_DEP_2)
	v_fract_f64_e32 v[52:53], v[50:51]
	v_cmp_neq_f64_e64 vcc_lo, 0x7ff00000, |v[50:51]|
	v_add_f64_e32 v[52:53], v[52:53], v[52:53]
	s_delay_alu instid0(VALU_DEP_1) | instskip(SKIP_1) | instid1(VALU_DEP_2)
	v_dual_cndmask_b32 v42, 0, v52, vcc_lo :: v_dual_cndmask_b32 v46, 0, v53, vcc_lo
	v_cmp_gt_f64_e64 vcc_lo, |v[8:9]|, 1.0
	v_cndmask_b32_e32 v51, v1, v46, vcc_lo
	s_delay_alu instid0(VALU_DEP_3) | instskip(NEXT) | instid1(VALU_DEP_1)
	v_cndmask_b32_e32 v50, v8, v42, vcc_lo
	v_add_f64_e32 v[52:53], v[50:51], v[50:51]
	s_delay_alu instid0(VALU_DEP_1) | instskip(NEXT) | instid1(VALU_DEP_1)
	v_rndne_f64_e32 v[52:53], v[52:53]
	v_cvt_i32_f64_e32 v1, v[52:53]
	s_delay_alu instid0(VALU_DEP_1) | instskip(SKIP_2) | instid1(VALU_DEP_3)
	v_and_b32_e32 v42, 1, v1
	v_fmac_f64_e32 v[50:51], -0.5, v[52:53]
	v_lshlrev_b32_e32 v1, 30, v1
	v_cmp_eq_u32_e32 vcc_lo, 0, v42
	s_delay_alu instid0(VALU_DEP_2) | instskip(NEXT) | instid1(VALU_DEP_1)
	v_dual_mul_f64 v[54:55], v[50:51], v[50:51] :: v_dual_bitop2_b32 v1, v1, v9 bitop3:0x14
	v_fmamk_f64 v[56:57], v[54:55], 0x3f3e357ef99eb0bb, v[34:35]
	v_mul_f64_e32 v[58:59], v[50:51], v[54:55]
	v_fmamk_f64 v[60:61], v[54:55], 0xbf1b167302e21c33, v[36:37]
	s_delay_alu instid0(VALU_DEP_3) | instskip(NEXT) | instid1(VALU_DEP_2)
	v_fmaak_f64 v[56:57], v[54:55], v[56:57], 0x3fb50782d5f14825
	v_fmaak_f64 v[60:61], v[54:55], v[60:61], 0xbf9a6d1e7294bff9
	s_delay_alu instid0(VALU_DEP_2) | instskip(NEXT) | instid1(VALU_DEP_1)
	v_fmaak_f64 v[56:57], v[54:55], v[56:57], 0xbfe32d2ccdfe9424
	v_fmaak_f64 v[56:57], v[54:55], v[56:57], 0x400466bc67754fff
	s_delay_alu instid0(VALU_DEP_1) | instskip(NEXT) | instid1(VALU_DEP_1)
	v_fmaak_f64 v[56:57], v[54:55], v[56:57], 0xc014abbce625be09
	v_mul_f64_e32 v[56:57], v[58:59], v[56:57]
	v_fmaak_f64 v[58:59], v[54:55], v[60:61], 0x3fce1f5067b90b37
	s_delay_alu instid0(VALU_DEP_1) | instskip(NEXT) | instid1(VALU_DEP_1)
	v_fmaak_f64 v[58:59], v[54:55], v[58:59], 0xbff55d3c7e3c325b
	v_fmaak_f64 v[58:59], v[54:55], v[58:59], 0x40103c1f081b5a67
	s_delay_alu instid0(VALU_DEP_1) | instskip(NEXT) | instid1(VALU_DEP_1)
	v_fmaak_f64 v[58:59], v[54:55], v[58:59], 0xc013bd3cc9be45de
	v_fma_f64 v[52:53], v[54:55], v[58:59], 1.0
	v_fmac_f64_e32 v[56:57], 0x400921fb54442d18, v[50:51]
	s_delay_alu instid0(VALU_DEP_1) | instskip(NEXT) | instid1(VALU_DEP_1)
	v_dual_cndmask_b32 v46, v53, v57, vcc_lo :: v_dual_cndmask_b32 v42, v52, v56, vcc_lo
	v_bitop3_b32 v1, v46, v1, 0x80000000 bitop3:0x78
	s_delay_alu instid0(VALU_DEP_2) | instskip(NEXT) | instid1(VALU_DEP_2)
	v_cndmask_b32_e64 v50, 0, v42, s2
	v_cndmask_b32_e64 v51, 0x7ff80000, v1, s2
	v_cmp_class_f64_e64 s2, v[8:9], 0x204
	s_delay_alu instid0(VALU_DEP_2) | instskip(NEXT) | instid1(VALU_DEP_1)
	v_mul_f64_e32 v[50:51], v[8:9], v[50:51]
	v_and_b32_e32 v53, 0x7fffffff, v51
	s_delay_alu instid0(VALU_DEP_2) | instskip(NEXT) | instid1(VALU_DEP_1)
	v_mov_b32_e32 v52, v50
	v_div_scale_f64 v[54:55], null, v[52:53], v[52:53], s[44:45]
	v_div_scale_f64 v[52:53], vcc_lo, s[44:45], v[52:53], s[44:45]
	s_delay_alu instid0(VALU_DEP_2) | instskip(SKIP_1) | instid1(TRANS32_DEP_1)
	v_rcp_f64_e32 v[56:57], v[54:55]
	v_nop
	v_fma_f64 v[58:59], -v[54:55], v[56:57], 1.0
	s_delay_alu instid0(VALU_DEP_1) | instskip(NEXT) | instid1(VALU_DEP_1)
	v_fmac_f64_e32 v[56:57], v[56:57], v[58:59]
	v_fma_f64 v[58:59], -v[54:55], v[56:57], 1.0
	s_delay_alu instid0(VALU_DEP_1) | instskip(NEXT) | instid1(VALU_DEP_1)
	v_fmac_f64_e32 v[56:57], v[56:57], v[58:59]
	v_mul_f64_e32 v[58:59], v[52:53], v[56:57]
	s_delay_alu instid0(VALU_DEP_1) | instskip(NEXT) | instid1(VALU_DEP_1)
	v_fma_f64 v[52:53], -v[54:55], v[58:59], v[52:53]
	v_div_fmas_f64 v[52:53], v[52:53], v[56:57], v[58:59]
	s_delay_alu instid0(VALU_DEP_1) | instskip(NEXT) | instid1(VALU_DEP_1)
	v_div_fixup_f64 v[50:51], v[52:53], |v[50:51]|, s[44:45]
	v_frexp_mant_f64_e32 v[52:53], v[50:51]
	s_delay_alu instid0(VALU_DEP_1) | instskip(SKIP_1) | instid1(VALU_DEP_1)
	v_cmp_gt_f64_e32 vcc_lo, s[22:23], v[52:53]
	v_cndmask_b32_e64 v1, 0, 1, vcc_lo
	v_ldexp_f64 v[52:53], v[52:53], v1
	v_frexp_exp_i32_f64_e32 v1, v[50:51]
	s_delay_alu instid0(VALU_DEP_1) | instskip(SKIP_1) | instid1(VALU_DEP_4)
	v_subrev_co_ci_u32_e64 v1, null, 0, v1, vcc_lo
	v_cmp_class_f64_e64 vcc_lo, v[50:51], 0x204
	v_add_f64_e32 v[54:55], 1.0, v[52:53]
	v_add_f64_e32 v[60:61], -1.0, v[52:53]
	s_delay_alu instid0(VALU_DEP_2) | instskip(SKIP_1) | instid1(VALU_DEP_1)
	v_rcp_f64_e32 v[56:57], v[54:55]
	v_add_f64_e32 v[62:63], -1.0, v[54:55]
	v_add_f64_e64 v[52:53], v[52:53], -v[62:63]
	s_delay_alu instid0(TRANS32_DEP_1) | instskip(NEXT) | instid1(VALU_DEP_1)
	v_fma_f64 v[58:59], -v[54:55], v[56:57], 1.0
	v_fmac_f64_e32 v[56:57], v[58:59], v[56:57]
	s_delay_alu instid0(VALU_DEP_1) | instskip(NEXT) | instid1(VALU_DEP_1)
	v_fma_f64 v[58:59], -v[54:55], v[56:57], 1.0
	v_fmac_f64_e32 v[56:57], v[58:59], v[56:57]
	s_delay_alu instid0(VALU_DEP_1) | instskip(NEXT) | instid1(VALU_DEP_1)
	v_mul_f64_e32 v[58:59], v[60:61], v[56:57]
	v_mul_f64_e32 v[64:65], v[54:55], v[58:59]
	s_delay_alu instid0(VALU_DEP_1) | instskip(NEXT) | instid1(VALU_DEP_1)
	v_fma_f64 v[54:55], v[58:59], v[54:55], -v[64:65]
	v_fmac_f64_e32 v[54:55], v[58:59], v[52:53]
	s_delay_alu instid0(VALU_DEP_1) | instskip(NEXT) | instid1(VALU_DEP_1)
	v_add_f64_e32 v[52:53], v[64:65], v[54:55]
	v_add_f64_e64 v[62:63], v[60:61], -v[52:53]
	v_add_f64_e64 v[64:65], v[52:53], -v[64:65]
	s_delay_alu instid0(VALU_DEP_2) | instskip(NEXT) | instid1(VALU_DEP_2)
	v_add_f64_e64 v[60:61], v[60:61], -v[62:63]
	v_add_f64_e64 v[54:55], v[64:65], -v[54:55]
	s_delay_alu instid0(VALU_DEP_2) | instskip(NEXT) | instid1(VALU_DEP_1)
	v_add_f64_e64 v[52:53], v[60:61], -v[52:53]
	v_add_f64_e32 v[52:53], v[54:55], v[52:53]
	s_delay_alu instid0(VALU_DEP_1) | instskip(NEXT) | instid1(VALU_DEP_1)
	v_add_f64_e32 v[52:53], v[62:63], v[52:53]
	v_mul_f64_e32 v[52:53], v[56:57], v[52:53]
	s_delay_alu instid0(VALU_DEP_1) | instskip(NEXT) | instid1(VALU_DEP_1)
	v_add_f64_e32 v[54:55], v[58:59], v[52:53]
	v_mul_f64_e32 v[56:57], v[54:55], v[54:55]
	s_delay_alu instid0(VALU_DEP_1) | instskip(SKIP_1) | instid1(VALU_DEP_2)
	v_fmamk_f64 v[60:61], v[56:57], 0x3fc3ab76bf559e2b, v[12:13]
	v_mul_f64_e32 v[62:63], v[54:55], v[56:57]
	v_fmaak_f64 v[60:61], v[56:57], v[60:61], 0x3fc7474dd7f4df2e
	s_delay_alu instid0(VALU_DEP_1) | instskip(NEXT) | instid1(VALU_DEP_1)
	v_fmaak_f64 v[60:61], v[56:57], v[60:61], 0x3fcc71c016291751
	v_fmaak_f64 v[60:61], v[56:57], v[60:61], 0x3fd249249b27acf1
	s_delay_alu instid0(VALU_DEP_1) | instskip(NEXT) | instid1(VALU_DEP_1)
	v_fmaak_f64 v[60:61], v[56:57], v[60:61], 0x3fd99999998ef7b6
	v_fmaak_f64 v[56:57], v[56:57], v[60:61], 0x3fe5555555555780
	v_ldexp_f64 v[60:61], v[54:55], 1
	v_add_f64_e64 v[54:55], v[54:55], -v[58:59]
	s_delay_alu instid0(VALU_DEP_3) | instskip(SKIP_1) | instid1(VALU_DEP_3)
	v_mul_f64_e32 v[56:57], v[62:63], v[56:57]
	v_cvt_f64_i32_e32 v[62:63], v1
	v_add_f64_e64 v[52:53], v[52:53], -v[54:55]
	s_delay_alu instid0(VALU_DEP_3) | instskip(NEXT) | instid1(VALU_DEP_3)
	v_add_f64_e32 v[58:59], v[60:61], v[56:57]
	v_mul_f64_e32 v[64:65], 0x3fe62e42fefa39ef, v[62:63]
	s_delay_alu instid0(VALU_DEP_3) | instskip(NEXT) | instid1(VALU_DEP_3)
	v_ldexp_f64 v[52:53], v[52:53], 1
	v_add_f64_e64 v[54:55], v[58:59], -v[60:61]
	s_delay_alu instid0(VALU_DEP_3) | instskip(NEXT) | instid1(VALU_DEP_2)
	v_fma_f64 v[60:61], v[62:63], s[24:25], -v[64:65]
	v_add_f64_e64 v[54:55], v[56:57], -v[54:55]
	s_delay_alu instid0(VALU_DEP_2) | instskip(NEXT) | instid1(VALU_DEP_2)
	v_fmac_f64_e32 v[60:61], 0x3c7abc9e3b39803f, v[62:63]
	v_add_f64_e32 v[52:53], v[52:53], v[54:55]
	s_delay_alu instid0(VALU_DEP_2) | instskip(NEXT) | instid1(VALU_DEP_2)
	v_add_f64_e32 v[54:55], v[64:65], v[60:61]
	v_add_f64_e32 v[56:57], v[58:59], v[52:53]
	s_delay_alu instid0(VALU_DEP_2) | instskip(NEXT) | instid1(VALU_DEP_2)
	v_add_f64_e64 v[64:65], v[54:55], -v[64:65]
	v_add_f64_e32 v[62:63], v[54:55], v[56:57]
	v_add_f64_e64 v[58:59], v[56:57], -v[58:59]
	s_delay_alu instid0(VALU_DEP_3) | instskip(NEXT) | instid1(VALU_DEP_3)
	v_add_f64_e64 v[60:61], v[60:61], -v[64:65]
	v_add_f64_e64 v[66:67], v[62:63], -v[54:55]
	s_delay_alu instid0(VALU_DEP_3) | instskip(NEXT) | instid1(VALU_DEP_2)
	v_add_f64_e64 v[52:53], v[52:53], -v[58:59]
	v_add_f64_e64 v[68:69], v[62:63], -v[66:67]
	;; [unrolled: 1-line block ×3, first 2 shown]
	s_delay_alu instid0(VALU_DEP_3) | instskip(NEXT) | instid1(VALU_DEP_3)
	v_add_f64_e32 v[58:59], v[60:61], v[52:53]
	v_add_f64_e64 v[54:55], v[54:55], -v[68:69]
	s_delay_alu instid0(VALU_DEP_1) | instskip(NEXT) | instid1(VALU_DEP_3)
	v_add_f64_e32 v[54:55], v[56:57], v[54:55]
	v_add_f64_e64 v[56:57], v[58:59], -v[60:61]
	s_delay_alu instid0(VALU_DEP_2) | instskip(NEXT) | instid1(VALU_DEP_2)
	v_add_f64_e32 v[54:55], v[58:59], v[54:55]
	v_add_f64_e64 v[58:59], v[58:59], -v[56:57]
	v_add_f64_e64 v[52:53], v[52:53], -v[56:57]
	s_delay_alu instid0(VALU_DEP_3) | instskip(NEXT) | instid1(VALU_DEP_3)
	v_add_f64_e32 v[64:65], v[62:63], v[54:55]
	v_add_f64_e64 v[56:57], v[60:61], -v[58:59]
	s_delay_alu instid0(VALU_DEP_2) | instskip(NEXT) | instid1(VALU_DEP_2)
	v_add_f64_e64 v[58:59], v[64:65], -v[62:63]
	v_add_f64_e32 v[52:53], v[52:53], v[56:57]
	s_delay_alu instid0(VALU_DEP_2) | instskip(NEXT) | instid1(VALU_DEP_1)
	v_add_f64_e64 v[54:55], v[54:55], -v[58:59]
	v_add_f64_e32 v[52:53], v[52:53], v[54:55]
	s_delay_alu instid0(VALU_DEP_1) | instskip(NEXT) | instid1(VALU_DEP_1)
	v_add_f64_e32 v[52:53], v[64:65], v[52:53]
	v_dual_cndmask_b32 v1, v52, v50 :: v_dual_cndmask_b32 v42, v53, v51
	v_cmp_neq_f64_e32 vcc_lo, 0, v[50:51]
	v_fract_f64_e32 v[50:51], v[8:9]
	s_delay_alu instid0(VALU_DEP_3) | instskip(NEXT) | instid1(VALU_DEP_4)
	v_cndmask_b32_e32 v53, 0xfff00000, v42, vcc_lo
	v_cndmask_b32_e32 v52, 0, v1, vcc_lo
	s_delay_alu instid0(VALU_DEP_3) | instskip(NEXT) | instid1(VALU_DEP_2)
	v_cmp_eq_f64_e32 vcc_lo, 0, v[50:51]
	v_add_f64_e64 v[48:49], v[52:53], -v[48:49]
	s_or_b32 s2, s2, vcc_lo
	s_delay_alu instid0(VALU_DEP_1) | instid1(SALU_CYCLE_1)
	v_cndmask_b32_e64 v49, v49, 0x7ff00000, s2
	s_delay_alu instid0(VALU_DEP_2)
	v_cndmask_b32_e64 v48, v48, 0, s2
.LBB8_72:                               ;   in Loop: Header=BB8_5 Depth=1
	s_or_b32 exec_lo, exec_lo, s4
.LBB8_73:                               ;   in Loop: Header=BB8_5 Depth=1
	s_delay_alu instid0(SALU_CYCLE_1) | instskip(SKIP_4) | instid1(VALU_DEP_2)
	s_or_b32 exec_lo, exec_lo, s3
	s_wait_loadcnt 0x0
	v_and_b32_e32 v51, 0x7fffffff, v3
	v_mov_b32_e32 v50, v2
                                        ; implicit-def: $vgpr52_vgpr53
	s_mov_b32 s2, exec_lo
	v_cmpx_lt_u32_e32 0x3f6fffff, v51
	s_xor_b32 s5, exec_lo, s2
	s_cbranch_execz .LBB8_99
; %bb.74:                               ;   in Loop: Header=BB8_5 Depth=1
                                        ; implicit-def: $vgpr52_vgpr53
	s_mov_b32 s2, exec_lo
	v_cmpx_lt_u32_e32 0x3fffffff, v51
	s_xor_b32 s3, exec_lo, s2
	s_cbranch_execz .LBB8_84
; %bb.75:                               ;   in Loop: Header=BB8_5 Depth=1
	;; [unrolled: 6-line block ×4, first 2 shown]
	v_frexp_mant_f64_e64 v[52:53], |v[2:3]|
	v_cmp_neq_f64_e64 s2, 0, v[2:3]
	s_delay_alu instid0(VALU_DEP_2) | instskip(SKIP_1) | instid1(VALU_DEP_1)
	v_cmp_gt_f64_e32 vcc_lo, s[22:23], v[52:53]
	v_cndmask_b32_e64 v1, 0, 1, vcc_lo
	v_ldexp_f64 v[52:53], v[52:53], v1
	v_frexp_exp_i32_f64_e32 v1, v[2:3]
	s_delay_alu instid0(VALU_DEP_2) | instskip(SKIP_1) | instid1(VALU_DEP_3)
	v_add_f64_e32 v[54:55], 1.0, v[52:53]
	v_add_f64_e32 v[60:61], -1.0, v[52:53]
	v_subrev_co_ci_u32_e64 v1, null, 0, v1, vcc_lo
	v_cmp_neq_f64_e64 vcc_lo, 0x7ff00000, |v[2:3]|
	s_delay_alu instid0(VALU_DEP_4) | instskip(SKIP_1) | instid1(VALU_DEP_1)
	v_rcp_f64_e32 v[56:57], v[54:55]
	v_add_f64_e32 v[62:63], -1.0, v[54:55]
	v_add_f64_e64 v[52:53], v[52:53], -v[62:63]
	s_delay_alu instid0(TRANS32_DEP_1) | instskip(NEXT) | instid1(VALU_DEP_1)
	v_fma_f64 v[58:59], -v[54:55], v[56:57], 1.0
	v_fmac_f64_e32 v[56:57], v[58:59], v[56:57]
	s_delay_alu instid0(VALU_DEP_1) | instskip(NEXT) | instid1(VALU_DEP_1)
	v_fma_f64 v[58:59], -v[54:55], v[56:57], 1.0
	v_fmac_f64_e32 v[56:57], v[58:59], v[56:57]
	s_delay_alu instid0(VALU_DEP_1) | instskip(NEXT) | instid1(VALU_DEP_1)
	v_mul_f64_e32 v[58:59], v[60:61], v[56:57]
	v_mul_f64_e32 v[64:65], v[54:55], v[58:59]
	s_delay_alu instid0(VALU_DEP_1) | instskip(NEXT) | instid1(VALU_DEP_1)
	v_fma_f64 v[54:55], v[58:59], v[54:55], -v[64:65]
	v_fmac_f64_e32 v[54:55], v[58:59], v[52:53]
	s_delay_alu instid0(VALU_DEP_1) | instskip(NEXT) | instid1(VALU_DEP_1)
	v_add_f64_e32 v[52:53], v[64:65], v[54:55]
	v_add_f64_e64 v[62:63], v[60:61], -v[52:53]
	v_add_f64_e64 v[64:65], v[52:53], -v[64:65]
	s_delay_alu instid0(VALU_DEP_2) | instskip(NEXT) | instid1(VALU_DEP_2)
	v_add_f64_e64 v[60:61], v[60:61], -v[62:63]
	v_add_f64_e64 v[54:55], v[64:65], -v[54:55]
	s_delay_alu instid0(VALU_DEP_2) | instskip(NEXT) | instid1(VALU_DEP_1)
	v_add_f64_e64 v[52:53], v[60:61], -v[52:53]
	v_add_f64_e32 v[52:53], v[54:55], v[52:53]
	s_delay_alu instid0(VALU_DEP_1) | instskip(NEXT) | instid1(VALU_DEP_1)
	v_add_f64_e32 v[52:53], v[62:63], v[52:53]
	v_mul_f64_e32 v[52:53], v[56:57], v[52:53]
	s_delay_alu instid0(VALU_DEP_1) | instskip(NEXT) | instid1(VALU_DEP_1)
	v_add_f64_e32 v[54:55], v[58:59], v[52:53]
	v_mul_f64_e32 v[56:57], v[54:55], v[54:55]
	s_delay_alu instid0(VALU_DEP_1) | instskip(SKIP_1) | instid1(VALU_DEP_2)
	v_fmamk_f64 v[60:61], v[56:57], 0x3fc3ab76bf559e2b, v[12:13]
	v_mul_f64_e32 v[62:63], v[54:55], v[56:57]
	v_fmaak_f64 v[60:61], v[56:57], v[60:61], 0x3fc7474dd7f4df2e
	s_delay_alu instid0(VALU_DEP_1) | instskip(NEXT) | instid1(VALU_DEP_1)
	v_fmaak_f64 v[60:61], v[56:57], v[60:61], 0x3fcc71c016291751
	v_fmaak_f64 v[60:61], v[56:57], v[60:61], 0x3fd249249b27acf1
	s_delay_alu instid0(VALU_DEP_1) | instskip(NEXT) | instid1(VALU_DEP_1)
	v_fmaak_f64 v[60:61], v[56:57], v[60:61], 0x3fd99999998ef7b6
	v_fmaak_f64 v[56:57], v[56:57], v[60:61], 0x3fe5555555555780
	v_ldexp_f64 v[60:61], v[54:55], 1
	v_add_f64_e64 v[54:55], v[54:55], -v[58:59]
	s_delay_alu instid0(VALU_DEP_3) | instskip(SKIP_1) | instid1(VALU_DEP_3)
	v_mul_f64_e32 v[56:57], v[62:63], v[56:57]
	v_cvt_f64_i32_e32 v[62:63], v1
	v_add_f64_e64 v[52:53], v[52:53], -v[54:55]
	s_delay_alu instid0(VALU_DEP_3) | instskip(NEXT) | instid1(VALU_DEP_3)
	v_add_f64_e32 v[58:59], v[60:61], v[56:57]
	v_mul_f64_e32 v[64:65], 0x3fe62e42fefa39ef, v[62:63]
	s_delay_alu instid0(VALU_DEP_3) | instskip(NEXT) | instid1(VALU_DEP_3)
	v_ldexp_f64 v[52:53], v[52:53], 1
	v_add_f64_e64 v[54:55], v[58:59], -v[60:61]
	s_delay_alu instid0(VALU_DEP_3) | instskip(NEXT) | instid1(VALU_DEP_2)
	v_fma_f64 v[60:61], v[62:63], s[24:25], -v[64:65]
	v_add_f64_e64 v[54:55], v[56:57], -v[54:55]
	s_delay_alu instid0(VALU_DEP_2) | instskip(NEXT) | instid1(VALU_DEP_2)
	v_fmac_f64_e32 v[60:61], 0x3c7abc9e3b39803f, v[62:63]
	v_add_f64_e32 v[52:53], v[52:53], v[54:55]
	s_delay_alu instid0(VALU_DEP_2) | instskip(NEXT) | instid1(VALU_DEP_2)
	v_add_f64_e32 v[54:55], v[64:65], v[60:61]
	v_add_f64_e32 v[56:57], v[58:59], v[52:53]
	s_delay_alu instid0(VALU_DEP_2) | instskip(NEXT) | instid1(VALU_DEP_2)
	v_add_f64_e64 v[64:65], v[54:55], -v[64:65]
	v_add_f64_e32 v[62:63], v[54:55], v[56:57]
	v_add_f64_e64 v[58:59], v[56:57], -v[58:59]
	s_delay_alu instid0(VALU_DEP_3) | instskip(NEXT) | instid1(VALU_DEP_3)
	v_add_f64_e64 v[60:61], v[60:61], -v[64:65]
	v_add_f64_e64 v[66:67], v[62:63], -v[54:55]
	s_delay_alu instid0(VALU_DEP_3) | instskip(NEXT) | instid1(VALU_DEP_2)
	v_add_f64_e64 v[52:53], v[52:53], -v[58:59]
	v_add_f64_e64 v[68:69], v[62:63], -v[66:67]
	v_add_f64_e64 v[56:57], v[56:57], -v[66:67]
	s_delay_alu instid0(VALU_DEP_3) | instskip(NEXT) | instid1(VALU_DEP_3)
	v_add_f64_e32 v[58:59], v[60:61], v[52:53]
	v_add_f64_e64 v[54:55], v[54:55], -v[68:69]
	s_delay_alu instid0(VALU_DEP_1) | instskip(NEXT) | instid1(VALU_DEP_3)
	v_add_f64_e32 v[54:55], v[56:57], v[54:55]
	v_add_f64_e64 v[56:57], v[58:59], -v[60:61]
	s_delay_alu instid0(VALU_DEP_2) | instskip(NEXT) | instid1(VALU_DEP_2)
	v_add_f64_e32 v[54:55], v[58:59], v[54:55]
	v_add_f64_e64 v[58:59], v[58:59], -v[56:57]
	v_add_f64_e64 v[52:53], v[52:53], -v[56:57]
	s_delay_alu instid0(VALU_DEP_3) | instskip(NEXT) | instid1(VALU_DEP_3)
	v_add_f64_e32 v[64:65], v[62:63], v[54:55]
	v_add_f64_e64 v[56:57], v[60:61], -v[58:59]
	s_delay_alu instid0(VALU_DEP_2) | instskip(NEXT) | instid1(VALU_DEP_2)
	v_add_f64_e64 v[58:59], v[64:65], -v[62:63]
	v_add_f64_e32 v[52:53], v[52:53], v[56:57]
	s_delay_alu instid0(VALU_DEP_2) | instskip(NEXT) | instid1(VALU_DEP_1)
	v_add_f64_e64 v[54:55], v[54:55], -v[58:59]
	v_add_f64_e32 v[52:53], v[52:53], v[54:55]
	s_delay_alu instid0(VALU_DEP_1) | instskip(NEXT) | instid1(VALU_DEP_1)
	v_add_f64_e32 v[52:53], v[64:65], v[52:53]
	v_cndmask_b32_e32 v1, 0x7ff00000, v53, vcc_lo
	s_and_b32 vcc_lo, s2, vcc_lo
	s_delay_alu instid0(VALU_DEP_2) | instskip(NEXT) | instid1(VALU_DEP_2)
	v_cndmask_b32_e32 v52, 0, v52, vcc_lo
	v_cndmask_b32_e64 v53, 0xfff00000, v1, s2
	s_delay_alu instid0(VALU_DEP_1)
	v_fma_f64 v[52:53], |v[2:3]|, v[52:53], -|v[2:3]|
.LBB8_78:                               ;   in Loop: Header=BB8_5 Depth=1
	s_and_not1_saveexec_b32 s6, s6
	s_cbranch_execz .LBB8_80
; %bb.79:                               ;   in Loop: Header=BB8_5 Depth=1
	v_frexp_mant_f64_e64 v[52:53], |v[2:3]|
	v_and_b32_e32 v67, 0x7fffffff, v3
	v_cmp_neq_f64_e64 s2, 0, v[2:3]
	v_mov_b32_e32 v66, v2
	s_delay_alu instid0(VALU_DEP_1) | instskip(SKIP_1) | instid1(VALU_DEP_2)
	v_div_scale_f64 v[68:69], null, v[66:67], v[66:67], 1.0
	v_cmp_gt_f64_e32 vcc_lo, s[22:23], v[52:53]
	v_rcp_f64_e32 v[72:73], v[68:69]
	v_cndmask_b32_e64 v1, 0, 1, vcc_lo
	s_delay_alu instid0(VALU_DEP_1) | instskip(SKIP_1) | instid1(TRANS32_DEP_1)
	v_ldexp_f64 v[52:53], v[52:53], v1
	v_frexp_exp_i32_f64_e32 v1, v[2:3]
	v_fma_f64 v[76:77], -v[68:69], v[72:73], 1.0
	s_delay_alu instid0(VALU_DEP_3) | instskip(SKIP_1) | instid1(VALU_DEP_4)
	v_add_f64_e32 v[54:55], 1.0, v[52:53]
	v_add_f64_e32 v[60:61], -1.0, v[52:53]
	v_subrev_co_ci_u32_e64 v1, null, 0, v1, vcc_lo
	v_div_scale_f64 v[66:67], vcc_lo, 1.0, v[66:67], 1.0
	v_fmac_f64_e32 v[72:73], v[72:73], v[76:77]
	v_rcp_f64_e32 v[56:57], v[54:55]
	v_add_f64_e32 v[62:63], -1.0, v[54:55]
	s_delay_alu instid0(VALU_DEP_1) | instskip(NEXT) | instid1(TRANS32_DEP_1)
	v_add_f64_e64 v[52:53], v[52:53], -v[62:63]
	v_fma_f64 v[58:59], -v[54:55], v[56:57], 1.0
	s_delay_alu instid0(VALU_DEP_1) | instskip(NEXT) | instid1(VALU_DEP_1)
	v_fmac_f64_e32 v[56:57], v[58:59], v[56:57]
	v_fma_f64 v[58:59], -v[54:55], v[56:57], 1.0
	s_delay_alu instid0(VALU_DEP_1) | instskip(NEXT) | instid1(VALU_DEP_1)
	v_fmac_f64_e32 v[56:57], v[58:59], v[56:57]
	v_mul_f64_e32 v[58:59], v[60:61], v[56:57]
	s_delay_alu instid0(VALU_DEP_1) | instskip(NEXT) | instid1(VALU_DEP_1)
	v_mul_f64_e32 v[64:65], v[54:55], v[58:59]
	v_fma_f64 v[54:55], v[58:59], v[54:55], -v[64:65]
	s_delay_alu instid0(VALU_DEP_1) | instskip(NEXT) | instid1(VALU_DEP_1)
	v_fmac_f64_e32 v[54:55], v[58:59], v[52:53]
	v_add_f64_e32 v[52:53], v[64:65], v[54:55]
	s_delay_alu instid0(VALU_DEP_1) | instskip(SKIP_1) | instid1(VALU_DEP_2)
	v_add_f64_e64 v[62:63], v[60:61], -v[52:53]
	v_add_f64_e64 v[64:65], v[52:53], -v[64:65]
	;; [unrolled: 1-line block ×3, first 2 shown]
	s_delay_alu instid0(VALU_DEP_2) | instskip(NEXT) | instid1(VALU_DEP_2)
	v_add_f64_e64 v[54:55], v[64:65], -v[54:55]
	v_add_f64_e64 v[52:53], v[60:61], -v[52:53]
	s_delay_alu instid0(VALU_DEP_1) | instskip(NEXT) | instid1(VALU_DEP_1)
	v_add_f64_e32 v[52:53], v[54:55], v[52:53]
	v_add_f64_e32 v[52:53], v[62:63], v[52:53]
	s_delay_alu instid0(VALU_DEP_1) | instskip(NEXT) | instid1(VALU_DEP_1)
	v_mul_f64_e32 v[52:53], v[56:57], v[52:53]
	v_add_f64_e32 v[54:55], v[58:59], v[52:53]
	s_delay_alu instid0(VALU_DEP_1) | instskip(NEXT) | instid1(VALU_DEP_1)
	v_mul_f64_e32 v[56:57], v[54:55], v[54:55]
	v_fmamk_f64 v[60:61], v[56:57], 0x3fc3ab76bf559e2b, v[12:13]
	v_mul_f64_e32 v[62:63], v[54:55], v[56:57]
	s_delay_alu instid0(VALU_DEP_2) | instskip(NEXT) | instid1(VALU_DEP_1)
	v_fmaak_f64 v[60:61], v[56:57], v[60:61], 0x3fc7474dd7f4df2e
	v_fmaak_f64 v[60:61], v[56:57], v[60:61], 0x3fcc71c016291751
	s_delay_alu instid0(VALU_DEP_1) | instskip(NEXT) | instid1(VALU_DEP_1)
	v_fmaak_f64 v[60:61], v[56:57], v[60:61], 0x3fd249249b27acf1
	v_fmaak_f64 v[60:61], v[56:57], v[60:61], 0x3fd99999998ef7b6
	s_delay_alu instid0(VALU_DEP_1) | instskip(SKIP_2) | instid1(VALU_DEP_3)
	v_fmaak_f64 v[56:57], v[56:57], v[60:61], 0x3fe5555555555780
	v_ldexp_f64 v[60:61], v[54:55], 1
	v_add_f64_e64 v[54:55], v[54:55], -v[58:59]
	v_mul_f64_e32 v[56:57], v[62:63], v[56:57]
	v_cvt_f64_i32_e32 v[62:63], v1
	s_delay_alu instid0(VALU_DEP_3) | instskip(NEXT) | instid1(VALU_DEP_3)
	v_add_f64_e64 v[52:53], v[52:53], -v[54:55]
	v_add_f64_e32 v[58:59], v[60:61], v[56:57]
	s_delay_alu instid0(VALU_DEP_3) | instskip(NEXT) | instid1(VALU_DEP_3)
	v_mul_f64_e32 v[64:65], 0x3fe62e42fefa39ef, v[62:63]
	v_ldexp_f64 v[52:53], v[52:53], 1
	s_delay_alu instid0(VALU_DEP_3) | instskip(NEXT) | instid1(VALU_DEP_3)
	v_add_f64_e64 v[54:55], v[58:59], -v[60:61]
	v_fma_f64 v[60:61], v[62:63], s[24:25], -v[64:65]
	s_delay_alu instid0(VALU_DEP_2) | instskip(NEXT) | instid1(VALU_DEP_2)
	v_add_f64_e64 v[54:55], v[56:57], -v[54:55]
	v_fmac_f64_e32 v[60:61], 0x3c7abc9e3b39803f, v[62:63]
	s_delay_alu instid0(VALU_DEP_2) | instskip(NEXT) | instid1(VALU_DEP_2)
	v_add_f64_e32 v[52:53], v[52:53], v[54:55]
	v_add_f64_e32 v[54:55], v[64:65], v[60:61]
	s_delay_alu instid0(VALU_DEP_2) | instskip(NEXT) | instid1(VALU_DEP_2)
	v_add_f64_e32 v[56:57], v[58:59], v[52:53]
	v_add_f64_e64 v[64:65], v[54:55], -v[64:65]
	s_delay_alu instid0(VALU_DEP_2) | instskip(SKIP_1) | instid1(VALU_DEP_3)
	v_add_f64_e32 v[62:63], v[54:55], v[56:57]
	v_add_f64_e64 v[58:59], v[56:57], -v[58:59]
	v_add_f64_e64 v[60:61], v[60:61], -v[64:65]
	s_delay_alu instid0(VALU_DEP_3) | instskip(NEXT) | instid1(VALU_DEP_3)
	v_add_f64_e64 v[70:71], v[62:63], -v[54:55]
	v_add_f64_e64 v[52:53], v[52:53], -v[58:59]
	s_delay_alu instid0(VALU_DEP_2) | instskip(SKIP_1) | instid1(VALU_DEP_3)
	v_add_f64_e64 v[74:75], v[62:63], -v[70:71]
	v_add_f64_e64 v[56:57], v[56:57], -v[70:71]
	v_add_f64_e32 v[58:59], v[60:61], v[52:53]
	s_delay_alu instid0(VALU_DEP_3) | instskip(NEXT) | instid1(VALU_DEP_2)
	v_add_f64_e64 v[54:55], v[54:55], -v[74:75]
	v_add_f64_e64 v[64:65], v[58:59], -v[60:61]
	s_delay_alu instid0(VALU_DEP_2) | instskip(SKIP_1) | instid1(VALU_DEP_3)
	v_add_f64_e32 v[54:55], v[56:57], v[54:55]
	v_fma_f64 v[56:57], -v[68:69], v[72:73], 1.0
	v_add_f64_e64 v[52:53], v[52:53], -v[64:65]
	s_delay_alu instid0(VALU_DEP_3) | instskip(NEXT) | instid1(VALU_DEP_3)
	v_add_f64_e32 v[54:55], v[58:59], v[54:55]
	v_fmac_f64_e32 v[72:73], v[72:73], v[56:57]
	v_add_f64_e64 v[56:57], v[58:59], -v[64:65]
	s_delay_alu instid0(VALU_DEP_3) | instskip(NEXT) | instid1(VALU_DEP_3)
	v_add_f64_e32 v[58:59], v[62:63], v[54:55]
	v_mul_f64_e32 v[70:71], v[66:67], v[72:73]
	s_delay_alu instid0(VALU_DEP_3) | instskip(NEXT) | instid1(VALU_DEP_3)
	v_add_f64_e64 v[56:57], v[60:61], -v[56:57]
	v_add_f64_e64 v[60:61], v[58:59], -v[62:63]
	s_delay_alu instid0(VALU_DEP_3) | instskip(NEXT) | instid1(VALU_DEP_3)
	v_fma_f64 v[62:63], -v[68:69], v[70:71], v[66:67]
	v_add_f64_e32 v[52:53], v[52:53], v[56:57]
	s_delay_alu instid0(VALU_DEP_3) | instskip(NEXT) | instid1(VALU_DEP_3)
	v_add_f64_e64 v[54:55], v[54:55], -v[60:61]
	v_div_fmas_f64 v[56:57], v[62:63], v[72:73], v[70:71]
	v_cmp_neq_f64_e64 vcc_lo, 0x7ff00000, |v[2:3]|
	v_add_f64_e64 v[60:61], |v[2:3]|, -0.5
	s_delay_alu instid0(VALU_DEP_4) | instskip(NEXT) | instid1(VALU_DEP_4)
	v_add_f64_e32 v[52:53], v[52:53], v[54:55]
	v_div_fixup_f64 v[54:55], v[56:57], |v[2:3]|, 1.0
	s_delay_alu instid0(VALU_DEP_2) | instskip(NEXT) | instid1(VALU_DEP_2)
	v_add_f64_e32 v[52:53], v[58:59], v[52:53]
	v_mul_f64_e32 v[56:57], v[54:55], v[54:55]
	s_delay_alu instid0(VALU_DEP_2) | instskip(NEXT) | instid1(VALU_DEP_2)
	v_add_f64_e32 v[58:59], -1.0, v[52:53]
	v_fmamk_f64 v[52:53], v[56:57], 0xbf5ab89d0b9e43e4, v[14:15]
	s_delay_alu instid0(VALU_DEP_1) | instskip(NEXT) | instid1(VALU_DEP_1)
	v_fmaak_f64 v[52:53], v[56:57], v[52:53], 0xbf4380cb8c0fe741
	v_fmaak_f64 v[52:53], v[56:57], v[52:53], 0x3f4a019f98cf38b6
	s_delay_alu instid0(VALU_DEP_1) | instskip(NEXT) | instid1(VALU_DEP_1)
	v_fmaak_f64 v[52:53], v[56:57], v[52:53], 0xbf66c16c16b02e5c
	v_fmaak_f64 v[52:53], v[56:57], v[52:53], 0x3fb555555555553b
	v_cndmask_b32_e32 v1, 0x7ff00000, v59, vcc_lo
	s_and_b32 vcc_lo, s2, vcc_lo
	s_delay_alu instid0(VALU_DEP_2) | instskip(NEXT) | instid1(VALU_DEP_2)
	v_fmaak_f64 v[52:53], v[54:55], v[52:53], 0x3fdacfe390c97d69
	v_cndmask_b32_e64 v55, 0xfff00000, v1, s2
	v_cndmask_b32_e32 v54, 0, v58, vcc_lo
	s_delay_alu instid0(VALU_DEP_1)
	v_fmac_f64_e32 v[52:53], v[60:61], v[54:55]
.LBB8_80:                               ;   in Loop: Header=BB8_5 Depth=1
	s_or_b32 exec_lo, exec_lo, s6
.LBB8_81:                               ;   in Loop: Header=BB8_5 Depth=1
	s_and_not1_saveexec_b32 s4, s4
	s_cbranch_execz .LBB8_83
; %bb.82:                               ;   in Loop: Header=BB8_5 Depth=1
	v_cvt_i32_f64_e32 v1, v[50:51]
	s_delay_alu instid0(VALU_DEP_1) | instskip(SKIP_2) | instid1(VALU_DEP_3)
	v_cvt_f64_i32_e32 v[52:53], v1
	v_cmp_lt_i32_e32 vcc_lo, 2, v1
	v_cmp_lt_i32_e64 s2, 3, v1
	v_add_f64_e64 v[52:53], |v[2:3]|, -v[52:53]
	s_delay_alu instid0(VALU_DEP_1) | instskip(SKIP_2) | instid1(VALU_DEP_2)
	v_add_f64_e32 v[58:59], 4.0, v[52:53]
	v_add_f64_e32 v[54:55], 2.0, v[52:53]
	v_add_f64_e32 v[56:57], 0x40080000, v[52:53]
	v_cndmask_b32_e32 v55, 0x3ff00000, v55, vcc_lo
	s_delay_alu instid0(VALU_DEP_3) | instskip(SKIP_1) | instid1(VALU_DEP_4)
	v_cndmask_b32_e32 v54, 0, v54, vcc_lo
	v_cmp_lt_i32_e32 vcc_lo, 4, v1
	v_cndmask_b32_e64 v57, 0x3ff00000, v57, s2
	v_cndmask_b32_e32 v59, 0x3ff00000, v59, vcc_lo
	v_dual_cndmask_b32 v58, 0, v58, vcc_lo :: v_dual_cndmask_b32 v56, 0, v56, s2
	v_cmp_lt_i32_e32 vcc_lo, 5, v1
	s_delay_alu instid0(VALU_DEP_2) | instskip(SKIP_1) | instid1(VALU_DEP_2)
	v_mul_f64_e32 v[54:55], v[54:55], v[56:57]
	v_add_f64_e32 v[56:57], 0x40140000, v[52:53]
	v_mul_f64_e32 v[54:55], v[58:59], v[54:55]
	v_add_f64_e32 v[58:59], 0x40180000, v[52:53]
	s_delay_alu instid0(VALU_DEP_3) | instskip(NEXT) | instid1(VALU_DEP_4)
	v_cndmask_b32_e32 v57, 0x3ff00000, v57, vcc_lo
	v_cndmask_b32_e32 v56, 0, v56, vcc_lo
	v_cmp_lt_i32_e32 vcc_lo, 6, v1
	s_delay_alu instid0(VALU_DEP_2) | instskip(SKIP_2) | instid1(VALU_DEP_1)
	v_mul_f64_e32 v[54:55], v[56:57], v[54:55]
	v_cndmask_b32_e32 v57, 0x3ff00000, v59, vcc_lo
	v_cndmask_b32_e32 v56, 0, v58, vcc_lo
	v_mul_f64_e32 v[54:55], v[56:57], v[54:55]
	s_delay_alu instid0(VALU_DEP_1) | instskip(NEXT) | instid1(VALU_DEP_1)
	v_frexp_mant_f64_e32 v[56:57], v[54:55]
	v_cmp_gt_f64_e32 vcc_lo, s[22:23], v[56:57]
	v_cndmask_b32_e64 v1, 0, 1, vcc_lo
	s_delay_alu instid0(VALU_DEP_1) | instskip(SKIP_1) | instid1(VALU_DEP_2)
	v_ldexp_f64 v[56:57], v[56:57], v1
	v_frexp_exp_i32_f64_e32 v1, v[54:55]
	v_add_f64_e32 v[58:59], 1.0, v[56:57]
	v_add_f64_e32 v[64:65], -1.0, v[56:57]
	s_delay_alu instid0(VALU_DEP_3) | instskip(NEXT) | instid1(VALU_DEP_3)
	v_subrev_co_ci_u32_e64 v1, null, 0, v1, vcc_lo
	v_rcp_f64_e32 v[60:61], v[58:59]
	v_add_f64_e32 v[66:67], -1.0, v[58:59]
	s_delay_alu instid0(VALU_DEP_1) | instskip(NEXT) | instid1(TRANS32_DEP_1)
	v_add_f64_e64 v[56:57], v[56:57], -v[66:67]
	v_fma_f64 v[62:63], -v[58:59], v[60:61], 1.0
	s_delay_alu instid0(VALU_DEP_1) | instskip(NEXT) | instid1(VALU_DEP_1)
	v_fmac_f64_e32 v[60:61], v[62:63], v[60:61]
	v_fma_f64 v[62:63], -v[58:59], v[60:61], 1.0
	s_delay_alu instid0(VALU_DEP_1) | instskip(NEXT) | instid1(VALU_DEP_1)
	v_fmac_f64_e32 v[60:61], v[62:63], v[60:61]
	v_mul_f64_e32 v[62:63], v[64:65], v[60:61]
	s_delay_alu instid0(VALU_DEP_1) | instskip(NEXT) | instid1(VALU_DEP_1)
	v_mul_f64_e32 v[68:69], v[58:59], v[62:63]
	v_fma_f64 v[58:59], v[62:63], v[58:59], -v[68:69]
	s_delay_alu instid0(VALU_DEP_1) | instskip(NEXT) | instid1(VALU_DEP_1)
	v_fmac_f64_e32 v[58:59], v[62:63], v[56:57]
	v_add_f64_e32 v[56:57], v[68:69], v[58:59]
	s_delay_alu instid0(VALU_DEP_1) | instskip(SKIP_1) | instid1(VALU_DEP_2)
	v_add_f64_e64 v[66:67], v[64:65], -v[56:57]
	v_add_f64_e64 v[68:69], v[56:57], -v[68:69]
	;; [unrolled: 1-line block ×3, first 2 shown]
	s_delay_alu instid0(VALU_DEP_2) | instskip(NEXT) | instid1(VALU_DEP_2)
	v_add_f64_e64 v[58:59], v[68:69], -v[58:59]
	v_add_f64_e64 v[56:57], v[64:65], -v[56:57]
	s_delay_alu instid0(VALU_DEP_1) | instskip(NEXT) | instid1(VALU_DEP_1)
	v_add_f64_e32 v[56:57], v[58:59], v[56:57]
	v_add_f64_e32 v[56:57], v[66:67], v[56:57]
	s_delay_alu instid0(VALU_DEP_1) | instskip(NEXT) | instid1(VALU_DEP_1)
	v_mul_f64_e32 v[56:57], v[60:61], v[56:57]
	v_add_f64_e32 v[58:59], v[62:63], v[56:57]
	s_delay_alu instid0(VALU_DEP_1) | instskip(NEXT) | instid1(VALU_DEP_1)
	v_mul_f64_e32 v[60:61], v[58:59], v[58:59]
	v_fmamk_f64 v[64:65], v[60:61], 0x3fc3ab76bf559e2b, v[12:13]
	v_mul_f64_e32 v[66:67], v[58:59], v[60:61]
	s_delay_alu instid0(VALU_DEP_2) | instskip(NEXT) | instid1(VALU_DEP_1)
	v_fmaak_f64 v[64:65], v[60:61], v[64:65], 0x3fc7474dd7f4df2e
	v_fmaak_f64 v[64:65], v[60:61], v[64:65], 0x3fcc71c016291751
	s_delay_alu instid0(VALU_DEP_1) | instskip(NEXT) | instid1(VALU_DEP_1)
	v_fmaak_f64 v[64:65], v[60:61], v[64:65], 0x3fd249249b27acf1
	v_fmaak_f64 v[64:65], v[60:61], v[64:65], 0x3fd99999998ef7b6
	s_delay_alu instid0(VALU_DEP_1) | instskip(SKIP_2) | instid1(VALU_DEP_3)
	v_fmaak_f64 v[60:61], v[60:61], v[64:65], 0x3fe5555555555780
	v_ldexp_f64 v[64:65], v[58:59], 1
	v_add_f64_e64 v[58:59], v[58:59], -v[62:63]
	v_mul_f64_e32 v[60:61], v[66:67], v[60:61]
	v_cvt_f64_i32_e32 v[66:67], v1
	s_delay_alu instid0(VALU_DEP_3) | instskip(NEXT) | instid1(VALU_DEP_3)
	v_add_f64_e64 v[56:57], v[56:57], -v[58:59]
	v_add_f64_e32 v[62:63], v[64:65], v[60:61]
	s_delay_alu instid0(VALU_DEP_3) | instskip(NEXT) | instid1(VALU_DEP_3)
	v_mul_f64_e32 v[68:69], 0x3fe62e42fefa39ef, v[66:67]
	v_ldexp_f64 v[56:57], v[56:57], 1
	s_delay_alu instid0(VALU_DEP_3) | instskip(NEXT) | instid1(VALU_DEP_3)
	v_add_f64_e64 v[58:59], v[62:63], -v[64:65]
	v_fma_f64 v[64:65], v[66:67], s[24:25], -v[68:69]
	s_delay_alu instid0(VALU_DEP_2) | instskip(NEXT) | instid1(VALU_DEP_2)
	v_add_f64_e64 v[58:59], v[60:61], -v[58:59]
	v_fmac_f64_e32 v[64:65], 0x3c7abc9e3b39803f, v[66:67]
	v_fmamk_f64 v[60:61], v[52:53], 0x3f00bfecdd17e945, v[16:17]
	s_delay_alu instid0(VALU_DEP_1) | instskip(NEXT) | instid1(VALU_DEP_1)
	v_fmaak_f64 v[60:61], v[52:53], v[60:61], 0x3f9b481c7e939961
	v_fmaak_f64 v[60:61], v[52:53], v[60:61], 0x3fc2bb9cbee5f2f7
	s_delay_alu instid0(VALU_DEP_1) | instskip(NEXT) | instid1(VALU_DEP_1)
	v_fmaak_f64 v[60:61], v[52:53], v[60:61], 0x3fd4d98f4f139f59
	v_fmaak_f64 v[60:61], v[52:53], v[60:61], 0x3fcb848b36e20878
	v_add_f64_e32 v[56:57], v[56:57], v[58:59]
	v_fmamk_f64 v[58:59], v[52:53], 0x3edebaf7a5b38140, v[18:19]
	v_add_f64_e32 v[66:67], v[68:69], v[64:65]
	s_delay_alu instid0(VALU_DEP_4) | instskip(NEXT) | instid1(VALU_DEP_3)
	v_fmaak_f64 v[60:61], v[52:53], v[60:61], 0xbfb3c467e37db0c8
	v_fmaak_f64 v[58:59], v[52:53], v[58:59], 0x3f9317ea742ed475
	s_delay_alu instid0(VALU_DEP_2) | instskip(NEXT) | instid1(VALU_DEP_2)
	v_mul_f64_e32 v[60:61], v[52:53], v[60:61]
	v_fmaak_f64 v[58:59], v[52:53], v[58:59], 0x3fc601edccfbdf27
	s_delay_alu instid0(VALU_DEP_1) | instskip(NEXT) | instid1(VALU_DEP_1)
	v_fmaak_f64 v[58:59], v[52:53], v[58:59], 0x3fe71a1893d3dcdc
	v_fmaak_f64 v[58:59], v[52:53], v[58:59], 0x3ff645a762c4ab74
	v_add_f64_e32 v[70:71], v[62:63], v[56:57]
	v_add_f64_e64 v[68:69], v[66:67], -v[68:69]
	s_delay_alu instid0(VALU_DEP_3) | instskip(NEXT) | instid1(VALU_DEP_3)
	v_fma_f64 v[58:59], v[52:53], v[58:59], 1.0
	v_add_f64_e32 v[72:73], v[66:67], v[70:71]
	v_add_f64_e64 v[62:63], v[70:71], -v[62:63]
	s_delay_alu instid0(VALU_DEP_4) | instskip(NEXT) | instid1(VALU_DEP_4)
	v_add_f64_e64 v[64:65], v[64:65], -v[68:69]
	v_div_scale_f64 v[74:75], null, v[58:59], v[58:59], v[60:61]
	s_delay_alu instid0(VALU_DEP_4) | instskip(NEXT) | instid1(VALU_DEP_4)
	v_add_f64_e64 v[76:77], v[72:73], -v[66:67]
	v_add_f64_e64 v[56:57], v[56:57], -v[62:63]
	s_delay_alu instid0(VALU_DEP_3) | instskip(NEXT) | instid1(VALU_DEP_2)
	v_rcp_f64_e32 v[78:79], v[74:75]
	v_add_f64_e64 v[80:81], v[72:73], -v[76:77]
	v_add_f64_e64 v[62:63], v[70:71], -v[76:77]
	s_delay_alu instid0(VALU_DEP_3) | instskip(SKIP_1) | instid1(TRANS32_DEP_1)
	v_add_f64_e32 v[68:69], v[64:65], v[56:57]
	v_div_scale_f64 v[76:77], vcc_lo, v[60:61], v[58:59], v[60:61]
	v_fma_f64 v[82:83], -v[74:75], v[78:79], 1.0
	v_add_f64_e64 v[66:67], v[66:67], -v[80:81]
	s_delay_alu instid0(VALU_DEP_4) | instskip(NEXT) | instid1(VALU_DEP_3)
	v_add_f64_e64 v[70:71], v[68:69], -v[64:65]
	v_fmac_f64_e32 v[78:79], v[78:79], v[82:83]
	s_delay_alu instid0(VALU_DEP_3) | instskip(NEXT) | instid1(VALU_DEP_3)
	v_add_f64_e32 v[62:63], v[62:63], v[66:67]
	v_add_f64_e64 v[56:57], v[56:57], -v[70:71]
	s_delay_alu instid0(VALU_DEP_3) | instskip(NEXT) | instid1(VALU_DEP_3)
	v_fma_f64 v[66:67], -v[74:75], v[78:79], 1.0
	v_add_f64_e32 v[62:63], v[68:69], v[62:63]
	s_delay_alu instid0(VALU_DEP_2) | instskip(SKIP_1) | instid1(VALU_DEP_3)
	v_fmac_f64_e32 v[78:79], v[78:79], v[66:67]
	v_add_f64_e64 v[66:67], v[68:69], -v[70:71]
	v_add_f64_e32 v[68:69], v[72:73], v[62:63]
	s_delay_alu instid0(VALU_DEP_3) | instskip(NEXT) | instid1(VALU_DEP_3)
	v_mul_f64_e32 v[80:81], v[76:77], v[78:79]
	v_add_f64_e64 v[64:65], v[64:65], -v[66:67]
	s_delay_alu instid0(VALU_DEP_3) | instskip(NEXT) | instid1(VALU_DEP_3)
	v_add_f64_e64 v[66:67], v[68:69], -v[72:73]
	v_fma_f64 v[70:71], -v[74:75], v[80:81], v[76:77]
	s_delay_alu instid0(VALU_DEP_3) | instskip(NEXT) | instid1(VALU_DEP_3)
	v_add_f64_e32 v[56:57], v[56:57], v[64:65]
	v_add_f64_e64 v[62:63], v[62:63], -v[66:67]
	s_delay_alu instid0(VALU_DEP_3) | instskip(SKIP_1) | instid1(VALU_DEP_3)
	v_div_fmas_f64 v[64:65], v[70:71], v[78:79], v[80:81]
	v_cmp_class_f64_e64 vcc_lo, v[54:55], 0x204
	v_add_f64_e32 v[56:57], v[56:57], v[62:63]
	s_delay_alu instid0(VALU_DEP_3) | instskip(NEXT) | instid1(VALU_DEP_2)
	v_div_fixup_f64 v[58:59], v[64:65], v[58:59], v[60:61]
	v_add_f64_e32 v[56:57], v[68:69], v[56:57]
	s_delay_alu instid0(VALU_DEP_2) | instskip(NEXT) | instid1(VALU_DEP_2)
	v_fmac_f64_e32 v[58:59], 0.5, v[52:53]
	v_dual_cndmask_b32 v1, v56, v54 :: v_dual_cndmask_b32 v42, v57, v55
	v_cmp_ngt_f64_e32 vcc_lo, 0, v[54:55]
	s_delay_alu instid0(VALU_DEP_2) | instskip(SKIP_1) | instid1(VALU_DEP_4)
	v_cndmask_b32_e32 v42, 0x7ff80000, v42, vcc_lo
	v_cmp_nge_f64_e32 vcc_lo, 0, v[54:55]
	v_cndmask_b32_e32 v52, 0, v1, vcc_lo
	v_cmp_neq_f64_e32 vcc_lo, 0, v[54:55]
	s_delay_alu instid0(VALU_DEP_4) | instskip(NEXT) | instid1(VALU_DEP_1)
	v_cndmask_b32_e32 v53, 0xfff00000, v42, vcc_lo
	v_add_f64_e32 v[52:53], v[58:59], v[52:53]
.LBB8_83:                               ;   in Loop: Header=BB8_5 Depth=1
	s_or_b32 exec_lo, exec_lo, s4
.LBB8_84:                               ;   in Loop: Header=BB8_5 Depth=1
	s_and_not1_saveexec_b32 s6, s3
	s_cbranch_execz .LBB8_98
; %bb.85:                               ;   in Loop: Header=BB8_5 Depth=1
                                        ; implicit-def: $vgpr1
                                        ; implicit-def: $vgpr54_vgpr55
	s_mov_b32 s2, exec_lo
	v_cmpx_lt_u32_e32 0x3feccccc, v51
	s_xor_b32 s3, exec_lo, s2
	s_cbranch_execz .LBB8_87
; %bb.86:                               ;   in Loop: Header=BB8_5 Depth=1
	v_add_f64_e64 v[52:53], -|v[2:3]|, 2.0
	v_add_f64_e64 v[54:55], |v[2:3]|, s[26:27]
	v_add_f64_e64 v[56:57], |v[2:3]|, -1.0
	v_cmp_gt_u32_e32 vcc_lo, 0x3ffbb4c3, v51
	v_cmp_gt_u32_e64 s2, 0x3ff3b4c4, v51
	v_cndmask_b32_e64 v46, 0, 1, vcc_lo
	v_dual_cndmask_b32 v1, v52, v54 :: v_dual_cndmask_b32 v42, v53, v55
	s_delay_alu instid0(VALU_DEP_1) | instskip(NEXT) | instid1(VALU_DEP_3)
	v_dual_cndmask_b32 v54, v1, v56, s2 :: v_dual_cndmask_b32 v55, v42, v57, s2
	v_cndmask_b32_e64 v1, v46, 2, s2
.LBB8_87:                               ;   in Loop: Header=BB8_5 Depth=1
	s_or_saveexec_b32 s7, s3
	v_mov_b64_e32 v[52:53], 0
	s_xor_b32 exec_lo, exec_lo, s7
	s_cbranch_execz .LBB8_89
; %bb.88:                               ;   in Loop: Header=BB8_5 Depth=1
	v_frexp_mant_f64_e64 v[52:53], |v[2:3]|
	v_and_b32_e32 v42, 0x7fffffff, v3
	v_cmp_gt_u32_e64 s4, 0x3fcda661, v51
	v_cmp_gt_u32_e64 s3, 0x3fe76944, v51
	v_cmp_neq_f64_e64 s2, 0, v[2:3]
	v_cmp_gt_f64_e32 vcc_lo, s[22:23], v[52:53]
	v_cndmask_b32_e64 v1, 0, 1, vcc_lo
	s_delay_alu instid0(VALU_DEP_1) | instskip(SKIP_1) | instid1(VALU_DEP_2)
	v_ldexp_f64 v[52:53], v[52:53], v1
	v_frexp_exp_i32_f64_e32 v1, v[2:3]
	v_add_f64_e32 v[54:55], 1.0, v[52:53]
	v_add_f64_e32 v[60:61], -1.0, v[52:53]
	s_delay_alu instid0(VALU_DEP_3) | instskip(SKIP_1) | instid1(VALU_DEP_4)
	v_subrev_co_ci_u32_e64 v1, null, 0, v1, vcc_lo
	v_cmp_neq_f64_e64 vcc_lo, 0x7ff00000, |v[2:3]|
	v_rcp_f64_e32 v[56:57], v[54:55]
	v_add_f64_e32 v[62:63], -1.0, v[54:55]
	s_delay_alu instid0(VALU_DEP_1) | instskip(NEXT) | instid1(TRANS32_DEP_1)
	v_add_f64_e64 v[52:53], v[52:53], -v[62:63]
	v_fma_f64 v[58:59], -v[54:55], v[56:57], 1.0
	s_delay_alu instid0(VALU_DEP_1) | instskip(NEXT) | instid1(VALU_DEP_1)
	v_fmac_f64_e32 v[56:57], v[58:59], v[56:57]
	v_fma_f64 v[58:59], -v[54:55], v[56:57], 1.0
	s_delay_alu instid0(VALU_DEP_1) | instskip(NEXT) | instid1(VALU_DEP_1)
	v_fmac_f64_e32 v[56:57], v[58:59], v[56:57]
	v_mul_f64_e32 v[58:59], v[60:61], v[56:57]
	s_delay_alu instid0(VALU_DEP_1) | instskip(NEXT) | instid1(VALU_DEP_1)
	v_mul_f64_e32 v[64:65], v[54:55], v[58:59]
	v_fma_f64 v[54:55], v[58:59], v[54:55], -v[64:65]
	s_delay_alu instid0(VALU_DEP_1) | instskip(NEXT) | instid1(VALU_DEP_1)
	v_fmac_f64_e32 v[54:55], v[58:59], v[52:53]
	v_add_f64_e32 v[52:53], v[64:65], v[54:55]
	s_delay_alu instid0(VALU_DEP_1) | instskip(SKIP_1) | instid1(VALU_DEP_2)
	v_add_f64_e64 v[62:63], v[60:61], -v[52:53]
	v_add_f64_e64 v[64:65], v[52:53], -v[64:65]
	;; [unrolled: 1-line block ×3, first 2 shown]
	s_delay_alu instid0(VALU_DEP_2) | instskip(NEXT) | instid1(VALU_DEP_2)
	v_add_f64_e64 v[54:55], v[64:65], -v[54:55]
	v_add_f64_e64 v[52:53], v[60:61], -v[52:53]
	s_delay_alu instid0(VALU_DEP_1) | instskip(NEXT) | instid1(VALU_DEP_1)
	v_add_f64_e32 v[52:53], v[54:55], v[52:53]
	v_add_f64_e32 v[52:53], v[62:63], v[52:53]
	s_delay_alu instid0(VALU_DEP_1) | instskip(NEXT) | instid1(VALU_DEP_1)
	v_mul_f64_e32 v[52:53], v[56:57], v[52:53]
	v_add_f64_e32 v[54:55], v[58:59], v[52:53]
	s_delay_alu instid0(VALU_DEP_1) | instskip(NEXT) | instid1(VALU_DEP_1)
	v_mul_f64_e32 v[56:57], v[54:55], v[54:55]
	v_fmamk_f64 v[60:61], v[56:57], 0x3fc3ab76bf559e2b, v[12:13]
	v_mul_f64_e32 v[62:63], v[54:55], v[56:57]
	s_delay_alu instid0(VALU_DEP_2) | instskip(NEXT) | instid1(VALU_DEP_1)
	v_fmaak_f64 v[60:61], v[56:57], v[60:61], 0x3fc7474dd7f4df2e
	v_fmaak_f64 v[60:61], v[56:57], v[60:61], 0x3fcc71c016291751
	s_delay_alu instid0(VALU_DEP_1) | instskip(NEXT) | instid1(VALU_DEP_1)
	v_fmaak_f64 v[60:61], v[56:57], v[60:61], 0x3fd249249b27acf1
	v_fmaak_f64 v[60:61], v[56:57], v[60:61], 0x3fd99999998ef7b6
	s_delay_alu instid0(VALU_DEP_1) | instskip(SKIP_2) | instid1(VALU_DEP_3)
	v_fmaak_f64 v[56:57], v[56:57], v[60:61], 0x3fe5555555555780
	v_ldexp_f64 v[60:61], v[54:55], 1
	v_add_f64_e64 v[54:55], v[54:55], -v[58:59]
	v_mul_f64_e32 v[56:57], v[62:63], v[56:57]
	v_cvt_f64_i32_e32 v[62:63], v1
	s_delay_alu instid0(VALU_DEP_3) | instskip(NEXT) | instid1(VALU_DEP_3)
	v_add_f64_e64 v[52:53], v[52:53], -v[54:55]
	v_add_f64_e32 v[58:59], v[60:61], v[56:57]
	s_delay_alu instid0(VALU_DEP_3) | instskip(NEXT) | instid1(VALU_DEP_3)
	v_mul_f64_e32 v[64:65], 0x3fe62e42fefa39ef, v[62:63]
	v_ldexp_f64 v[52:53], v[52:53], 1
	s_delay_alu instid0(VALU_DEP_3) | instskip(NEXT) | instid1(VALU_DEP_3)
	v_add_f64_e64 v[54:55], v[58:59], -v[60:61]
	v_fma_f64 v[60:61], v[62:63], s[24:25], -v[64:65]
	s_delay_alu instid0(VALU_DEP_2) | instskip(NEXT) | instid1(VALU_DEP_2)
	v_add_f64_e64 v[54:55], v[56:57], -v[54:55]
	v_fmac_f64_e32 v[60:61], 0x3c7abc9e3b39803f, v[62:63]
	s_delay_alu instid0(VALU_DEP_2) | instskip(NEXT) | instid1(VALU_DEP_2)
	v_add_f64_e32 v[52:53], v[52:53], v[54:55]
	v_add_f64_e32 v[54:55], v[64:65], v[60:61]
	s_delay_alu instid0(VALU_DEP_2) | instskip(NEXT) | instid1(VALU_DEP_2)
	v_add_f64_e32 v[56:57], v[58:59], v[52:53]
	v_add_f64_e64 v[64:65], v[54:55], -v[64:65]
	s_delay_alu instid0(VALU_DEP_2) | instskip(SKIP_1) | instid1(VALU_DEP_3)
	v_add_f64_e32 v[62:63], v[54:55], v[56:57]
	v_add_f64_e64 v[58:59], v[56:57], -v[58:59]
	v_add_f64_e64 v[60:61], v[60:61], -v[64:65]
	s_delay_alu instid0(VALU_DEP_3) | instskip(NEXT) | instid1(VALU_DEP_3)
	v_add_f64_e64 v[66:67], v[62:63], -v[54:55]
	v_add_f64_e64 v[52:53], v[52:53], -v[58:59]
	s_delay_alu instid0(VALU_DEP_2) | instskip(SKIP_1) | instid1(VALU_DEP_3)
	v_add_f64_e64 v[68:69], v[62:63], -v[66:67]
	v_add_f64_e64 v[56:57], v[56:57], -v[66:67]
	v_add_f64_e32 v[58:59], v[60:61], v[52:53]
	s_delay_alu instid0(VALU_DEP_3) | instskip(NEXT) | instid1(VALU_DEP_1)
	v_add_f64_e64 v[54:55], v[54:55], -v[68:69]
	v_add_f64_e32 v[54:55], v[56:57], v[54:55]
	s_delay_alu instid0(VALU_DEP_3) | instskip(NEXT) | instid1(VALU_DEP_2)
	v_add_f64_e64 v[56:57], v[58:59], -v[60:61]
	v_add_f64_e32 v[54:55], v[58:59], v[54:55]
	s_delay_alu instid0(VALU_DEP_2) | instskip(SKIP_1) | instid1(VALU_DEP_3)
	v_add_f64_e64 v[58:59], v[58:59], -v[56:57]
	v_add_f64_e64 v[52:53], v[52:53], -v[56:57]
	v_add_f64_e32 v[64:65], v[62:63], v[54:55]
	s_delay_alu instid0(VALU_DEP_3) | instskip(NEXT) | instid1(VALU_DEP_2)
	v_add_f64_e64 v[56:57], v[60:61], -v[58:59]
	v_add_f64_e64 v[58:59], v[64:65], -v[62:63]
	s_delay_alu instid0(VALU_DEP_2) | instskip(SKIP_1) | instid1(VALU_DEP_3)
	v_add_f64_e32 v[52:53], v[52:53], v[56:57]
	v_add_f64_e64 v[56:57], |v[2:3]|, s[28:29]
	v_add_f64_e64 v[54:55], v[54:55], -v[58:59]
	s_delay_alu instid0(VALU_DEP_1) | instskip(SKIP_1) | instid1(VALU_DEP_2)
	v_add_f64_e32 v[52:53], v[52:53], v[54:55]
	v_add_f64_e64 v[54:55], -|v[2:3]|, 1.0
	v_add_f64_e32 v[52:53], v[64:65], v[52:53]
	s_delay_alu instid0(VALU_DEP_2) | instskip(SKIP_1) | instid1(VALU_DEP_2)
	v_dual_cndmask_b32 v46, v54, v56, s3 :: v_dual_cndmask_b32 v50, v55, v57, s3
	v_cndmask_b32_e64 v56, 0, 1, s3
	v_cndmask_b32_e64 v54, v46, v2, s4
	s_delay_alu instid0(VALU_DEP_3) | instskip(SKIP_1) | instid1(VALU_DEP_1)
	v_cndmask_b32_e64 v55, v50, v42, s4
	v_xor_b32_e32 v1, 0x80000000, v53
	v_cndmask_b32_e32 v1, 0xfff00000, v1, vcc_lo
	s_and_b32 vcc_lo, s2, vcc_lo
	v_cndmask_b32_e32 v52, 0, v52, vcc_lo
	s_delay_alu instid0(VALU_DEP_2)
	v_cndmask_b32_e64 v53, 0x7ff00000, v1, s2
	v_cndmask_b32_e64 v1, v56, 2, s4
.LBB8_89:                               ;   in Loop: Header=BB8_5 Depth=1
	s_or_b32 exec_lo, exec_lo, s7
	s_delay_alu instid0(SALU_CYCLE_1) | instskip(NEXT) | instid1(VALU_DEP_1)
	s_mov_b32 s2, exec_lo
                                        ; implicit-def: $vgpr56_vgpr57
	v_cmpx_lt_i32_e32 1, v1
	s_xor_b32 s2, exec_lo, s2
	s_cbranch_execz .LBB8_91
; %bb.90:                               ;   in Loop: Header=BB8_5 Depth=1
	v_fmamk_f64 v[56:57], v[54:55], 0x3f8b678bbf2bab09, v[20:21]
	v_fmamk_f64 v[58:59], v[54:55], 0x3f6a5abb57d0cf61, v[22:23]
                                        ; implicit-def: $vgpr1
	s_delay_alu instid0(VALU_DEP_2) | instskip(NEXT) | instid1(VALU_DEP_2)
	v_fmaak_f64 v[56:57], v[54:55], v[56:57], 0x3fef497644ea8450
	v_fmaak_f64 v[58:59], v[54:55], v[58:59], 0x3fe89dfbe45050af
	s_delay_alu instid0(VALU_DEP_2) | instskip(NEXT) | instid1(VALU_DEP_2)
	v_fmaak_f64 v[56:57], v[54:55], v[56:57], 0x3ff7475cd119bd6f
	v_fmaak_f64 v[58:59], v[54:55], v[58:59], 0x40010725a42b18f5
	;; [unrolled: 3-line block ×3, first 2 shown]
	s_delay_alu instid0(VALU_DEP_2) | instskip(NEXT) | instid1(VALU_DEP_2)
	v_fmaak_f64 v[56:57], v[54:55], v[56:57], 0xbfb3c467e37db0c8
	v_fma_f64 v[58:59], v[54:55], v[58:59], 1.0
	s_delay_alu instid0(VALU_DEP_2) | instskip(NEXT) | instid1(VALU_DEP_1)
	v_mul_f64_e32 v[56:57], v[54:55], v[56:57]
	v_div_scale_f64 v[60:61], null, v[58:59], v[58:59], v[56:57]
	s_delay_alu instid0(VALU_DEP_1) | instskip(SKIP_1) | instid1(TRANS32_DEP_1)
	v_rcp_f64_e32 v[62:63], v[60:61]
	v_nop
	v_fma_f64 v[64:65], -v[60:61], v[62:63], 1.0
	s_delay_alu instid0(VALU_DEP_1) | instskip(NEXT) | instid1(VALU_DEP_1)
	v_fmac_f64_e32 v[62:63], v[62:63], v[64:65]
	v_fma_f64 v[64:65], -v[60:61], v[62:63], 1.0
	s_delay_alu instid0(VALU_DEP_1) | instskip(SKIP_1) | instid1(VALU_DEP_1)
	v_fmac_f64_e32 v[62:63], v[62:63], v[64:65]
	v_div_scale_f64 v[64:65], vcc_lo, v[56:57], v[58:59], v[56:57]
	v_mul_f64_e32 v[66:67], v[64:65], v[62:63]
	s_delay_alu instid0(VALU_DEP_1) | instskip(NEXT) | instid1(VALU_DEP_1)
	v_fma_f64 v[60:61], -v[60:61], v[66:67], v[64:65]
	v_div_fmas_f64 v[60:61], v[60:61], v[62:63], v[66:67]
	s_delay_alu instid0(VALU_DEP_1) | instskip(NEXT) | instid1(VALU_DEP_1)
	v_div_fixup_f64 v[56:57], v[60:61], v[58:59], v[56:57]
	v_fmac_f64_e32 v[56:57], -0.5, v[54:55]
                                        ; implicit-def: $vgpr54_vgpr55
.LBB8_91:                               ;   in Loop: Header=BB8_5 Depth=1
	s_and_not1_saveexec_b32 s2, s2
	s_cbranch_execz .LBB8_97
; %bb.92:                               ;   in Loop: Header=BB8_5 Depth=1
	v_mul_f64_e32 v[58:59], v[54:55], v[54:55]
	s_mov_b32 s3, exec_lo
                                        ; implicit-def: $vgpr56_vgpr57
	v_cmpx_ne_u32_e32 1, v1
	s_xor_b32 s3, exec_lo, s3
	s_cbranch_execz .LBB8_94
; %bb.93:                               ;   in Loop: Header=BB8_5 Depth=1
	s_delay_alu instid0(VALU_DEP_2) | instskip(SKIP_1) | instid1(VALU_DEP_2)
	v_fmamk_f64 v[56:57], v[58:59], 0x3f07858e90a45837, v[26:27]
	v_fmamk_f64 v[60:61], v[58:59], 0x3efa7074428cfa52, v[24:25]
	v_fmaak_f64 v[56:57], v[58:59], v[56:57], 0x3f40b6c689b99c00
	s_delay_alu instid0(VALU_DEP_2) | instskip(NEXT) | instid1(VALU_DEP_2)
	v_fmaak_f64 v[60:61], v[58:59], v[60:61], 0x3f538a94116f3f5d
	v_fmaak_f64 v[56:57], v[58:59], v[56:57], 0x3f67add8ccb7926b
	s_delay_alu instid0(VALU_DEP_2) | instskip(NEXT) | instid1(VALU_DEP_2)
	v_fmaak_f64 v[60:61], v[58:59], v[60:61], 0x3f7e404fb68fefe8
	;; [unrolled: 3-line block ×3, first 2 shown]
	v_fmaak_f64 v[56:57], v[58:59], v[56:57], 0x3fd4a34cc4a60fad
	s_delay_alu instid0(VALU_DEP_1) | instskip(NEXT) | instid1(VALU_DEP_3)
	v_mul_f64_e32 v[56:57], v[58:59], v[56:57]
	v_fmaak_f64 v[58:59], v[58:59], v[60:61], 0x3fb3c467e37db0c8
	s_delay_alu instid0(VALU_DEP_1) | instskip(NEXT) | instid1(VALU_DEP_1)
	v_fmac_f64_e32 v[56:57], v[54:55], v[58:59]
                                        ; implicit-def: $vgpr58_vgpr59
	v_fmac_f64_e32 v[56:57], -0.5, v[54:55]
                                        ; implicit-def: $vgpr54_vgpr55
.LBB8_94:                               ;   in Loop: Header=BB8_5 Depth=1
	s_and_not1_saveexec_b32 s3, s3
	s_cbranch_execz .LBB8_96
; %bb.95:                               ;   in Loop: Header=BB8_5 Depth=1
	s_delay_alu instid0(VALU_DEP_2) | instskip(NEXT) | instid1(VALU_DEP_1)
	v_mul_f64_e32 v[56:57], v[54:55], v[58:59]
	v_fmamk_f64 v[60:61], v[56:57], 0xbf347f24ecc38c38, v[30:31]
	v_fmamk_f64 v[62:63], v[56:57], 0x3f35fd3ee8c2d3f4, v[32:33]
	s_delay_alu instid0(VALU_DEP_2) | instskip(NEXT) | instid1(VALU_DEP_2)
	v_fmaak_f64 v[60:61], v[56:57], v[60:61], 0xbf6e2effb3e914d7
	v_fmaak_f64 v[62:63], v[56:57], v[62:63], 0x3f6282d32e15c915
	s_delay_alu instid0(VALU_DEP_2) | instskip(NEXT) | instid1(VALU_DEP_2)
	v_fmaak_f64 v[60:61], v[56:57], v[60:61], 0x3f9266e7970af9ec
	v_fmaak_f64 v[62:63], v[56:57], v[62:63], 0xbf851f9fba91ec6a
	;; [unrolled: 3-line block ×3, first 2 shown]
	s_delay_alu instid0(VALU_DEP_1) | instskip(NEXT) | instid1(VALU_DEP_1)
	v_fmac_f64_e32 v[60:61], v[54:55], v[62:63]
	v_fma_f64 v[54:55], v[56:57], -v[60:61], s[30:31]
	v_fmamk_f64 v[60:61], v[56:57], 0x3f34af6d6c0ebbf7, v[28:29]
	s_delay_alu instid0(VALU_DEP_1) | instskip(NEXT) | instid1(VALU_DEP_1)
	v_fmaak_f64 v[60:61], v[56:57], v[60:61], 0x3f78fce0e370e344
	v_fmaak_f64 v[60:61], v[56:57], v[60:61], 0xbfa0c9a8df35b713
	s_delay_alu instid0(VALU_DEP_1) | instskip(NEXT) | instid1(VALU_DEP_1)
	v_fmaak_f64 v[56:57], v[56:57], v[60:61], 0x3fdef72bc8ee38a2
	v_fma_f64 v[54:55], v[58:59], v[56:57], -v[54:55]
	s_delay_alu instid0(VALU_DEP_1)
	v_add_f64_e32 v[56:57], 0xbfbf19b9bcc38a42, v[54:55]
.LBB8_96:                               ;   in Loop: Header=BB8_5 Depth=1
	s_or_b32 exec_lo, exec_lo, s3
.LBB8_97:                               ;   in Loop: Header=BB8_5 Depth=1
	s_delay_alu instid0(SALU_CYCLE_1) | instskip(NEXT) | instid1(VALU_DEP_1)
	s_or_b32 exec_lo, exec_lo, s2
	v_add_f64_e32 v[52:53], v[52:53], v[56:57]
.LBB8_98:                               ;   in Loop: Header=BB8_5 Depth=1
	s_or_b32 exec_lo, exec_lo, s6
.LBB8_99:                               ;   in Loop: Header=BB8_5 Depth=1
	s_and_not1_saveexec_b32 s3, s5
	s_cbranch_execz .LBB8_101
; %bb.100:                              ;   in Loop: Header=BB8_5 Depth=1
	v_frexp_mant_f64_e64 v[52:53], |v[2:3]|
	v_cmp_neq_f64_e64 s2, 0, v[2:3]
	s_delay_alu instid0(VALU_DEP_2) | instskip(SKIP_1) | instid1(VALU_DEP_1)
	v_cmp_gt_f64_e32 vcc_lo, s[22:23], v[52:53]
	v_cndmask_b32_e64 v1, 0, 1, vcc_lo
	v_ldexp_f64 v[52:53], v[52:53], v1
	v_frexp_exp_i32_f64_e32 v1, v[2:3]
	s_delay_alu instid0(VALU_DEP_2) | instskip(SKIP_1) | instid1(VALU_DEP_3)
	v_add_f64_e32 v[54:55], 1.0, v[52:53]
	v_add_f64_e32 v[60:61], -1.0, v[52:53]
	v_subrev_co_ci_u32_e64 v1, null, 0, v1, vcc_lo
	v_cmp_neq_f64_e64 vcc_lo, 0x7ff00000, |v[2:3]|
	s_delay_alu instid0(VALU_DEP_4) | instskip(SKIP_1) | instid1(VALU_DEP_1)
	v_rcp_f64_e32 v[56:57], v[54:55]
	v_add_f64_e32 v[62:63], -1.0, v[54:55]
	v_add_f64_e64 v[52:53], v[52:53], -v[62:63]
	s_delay_alu instid0(TRANS32_DEP_1) | instskip(NEXT) | instid1(VALU_DEP_1)
	v_fma_f64 v[58:59], -v[54:55], v[56:57], 1.0
	v_fmac_f64_e32 v[56:57], v[58:59], v[56:57]
	s_delay_alu instid0(VALU_DEP_1) | instskip(NEXT) | instid1(VALU_DEP_1)
	v_fma_f64 v[58:59], -v[54:55], v[56:57], 1.0
	v_fmac_f64_e32 v[56:57], v[58:59], v[56:57]
	s_delay_alu instid0(VALU_DEP_1) | instskip(NEXT) | instid1(VALU_DEP_1)
	v_mul_f64_e32 v[58:59], v[60:61], v[56:57]
	v_mul_f64_e32 v[64:65], v[54:55], v[58:59]
	s_delay_alu instid0(VALU_DEP_1) | instskip(NEXT) | instid1(VALU_DEP_1)
	v_fma_f64 v[54:55], v[58:59], v[54:55], -v[64:65]
	v_fmac_f64_e32 v[54:55], v[58:59], v[52:53]
	s_delay_alu instid0(VALU_DEP_1) | instskip(NEXT) | instid1(VALU_DEP_1)
	v_add_f64_e32 v[52:53], v[64:65], v[54:55]
	v_add_f64_e64 v[62:63], v[60:61], -v[52:53]
	v_add_f64_e64 v[64:65], v[52:53], -v[64:65]
	s_delay_alu instid0(VALU_DEP_2) | instskip(NEXT) | instid1(VALU_DEP_2)
	v_add_f64_e64 v[60:61], v[60:61], -v[62:63]
	v_add_f64_e64 v[54:55], v[64:65], -v[54:55]
	s_delay_alu instid0(VALU_DEP_2) | instskip(NEXT) | instid1(VALU_DEP_1)
	v_add_f64_e64 v[52:53], v[60:61], -v[52:53]
	v_add_f64_e32 v[52:53], v[54:55], v[52:53]
	s_delay_alu instid0(VALU_DEP_1) | instskip(NEXT) | instid1(VALU_DEP_1)
	v_add_f64_e32 v[52:53], v[62:63], v[52:53]
	v_mul_f64_e32 v[52:53], v[56:57], v[52:53]
	s_delay_alu instid0(VALU_DEP_1) | instskip(NEXT) | instid1(VALU_DEP_1)
	v_add_f64_e32 v[54:55], v[58:59], v[52:53]
	v_mul_f64_e32 v[56:57], v[54:55], v[54:55]
	s_delay_alu instid0(VALU_DEP_1) | instskip(SKIP_1) | instid1(VALU_DEP_2)
	v_fmamk_f64 v[60:61], v[56:57], 0x3fc3ab76bf559e2b, v[12:13]
	v_mul_f64_e32 v[62:63], v[54:55], v[56:57]
	v_fmaak_f64 v[60:61], v[56:57], v[60:61], 0x3fc7474dd7f4df2e
	s_delay_alu instid0(VALU_DEP_1) | instskip(NEXT) | instid1(VALU_DEP_1)
	v_fmaak_f64 v[60:61], v[56:57], v[60:61], 0x3fcc71c016291751
	v_fmaak_f64 v[60:61], v[56:57], v[60:61], 0x3fd249249b27acf1
	s_delay_alu instid0(VALU_DEP_1) | instskip(NEXT) | instid1(VALU_DEP_1)
	v_fmaak_f64 v[60:61], v[56:57], v[60:61], 0x3fd99999998ef7b6
	v_fmaak_f64 v[56:57], v[56:57], v[60:61], 0x3fe5555555555780
	v_ldexp_f64 v[60:61], v[54:55], 1
	v_add_f64_e64 v[54:55], v[54:55], -v[58:59]
	s_delay_alu instid0(VALU_DEP_3) | instskip(SKIP_1) | instid1(VALU_DEP_3)
	v_mul_f64_e32 v[56:57], v[62:63], v[56:57]
	v_cvt_f64_i32_e32 v[62:63], v1
	v_add_f64_e64 v[52:53], v[52:53], -v[54:55]
	s_delay_alu instid0(VALU_DEP_3) | instskip(NEXT) | instid1(VALU_DEP_3)
	v_add_f64_e32 v[58:59], v[60:61], v[56:57]
	v_mul_f64_e32 v[64:65], 0x3fe62e42fefa39ef, v[62:63]
	s_delay_alu instid0(VALU_DEP_3) | instskip(NEXT) | instid1(VALU_DEP_3)
	v_ldexp_f64 v[52:53], v[52:53], 1
	v_add_f64_e64 v[54:55], v[58:59], -v[60:61]
	s_delay_alu instid0(VALU_DEP_3) | instskip(NEXT) | instid1(VALU_DEP_2)
	v_fma_f64 v[60:61], v[62:63], s[24:25], -v[64:65]
	v_add_f64_e64 v[54:55], v[56:57], -v[54:55]
	s_delay_alu instid0(VALU_DEP_2) | instskip(NEXT) | instid1(VALU_DEP_2)
	v_fmac_f64_e32 v[60:61], 0x3c7abc9e3b39803f, v[62:63]
	v_add_f64_e32 v[52:53], v[52:53], v[54:55]
	s_delay_alu instid0(VALU_DEP_2) | instskip(NEXT) | instid1(VALU_DEP_2)
	v_add_f64_e32 v[54:55], v[64:65], v[60:61]
	v_add_f64_e32 v[56:57], v[58:59], v[52:53]
	s_delay_alu instid0(VALU_DEP_2) | instskip(NEXT) | instid1(VALU_DEP_2)
	v_add_f64_e64 v[64:65], v[54:55], -v[64:65]
	v_add_f64_e32 v[62:63], v[54:55], v[56:57]
	v_add_f64_e64 v[58:59], v[56:57], -v[58:59]
	s_delay_alu instid0(VALU_DEP_3) | instskip(NEXT) | instid1(VALU_DEP_3)
	v_add_f64_e64 v[60:61], v[60:61], -v[64:65]
	v_add_f64_e64 v[66:67], v[62:63], -v[54:55]
	s_delay_alu instid0(VALU_DEP_3) | instskip(NEXT) | instid1(VALU_DEP_2)
	v_add_f64_e64 v[52:53], v[52:53], -v[58:59]
	v_add_f64_e64 v[68:69], v[62:63], -v[66:67]
	;; [unrolled: 1-line block ×3, first 2 shown]
	s_delay_alu instid0(VALU_DEP_3) | instskip(NEXT) | instid1(VALU_DEP_3)
	v_add_f64_e32 v[58:59], v[60:61], v[52:53]
	v_add_f64_e64 v[54:55], v[54:55], -v[68:69]
	s_delay_alu instid0(VALU_DEP_1) | instskip(NEXT) | instid1(VALU_DEP_3)
	v_add_f64_e32 v[54:55], v[56:57], v[54:55]
	v_add_f64_e64 v[56:57], v[58:59], -v[60:61]
	s_delay_alu instid0(VALU_DEP_2) | instskip(NEXT) | instid1(VALU_DEP_2)
	v_add_f64_e32 v[54:55], v[58:59], v[54:55]
	v_add_f64_e64 v[58:59], v[58:59], -v[56:57]
	v_add_f64_e64 v[52:53], v[52:53], -v[56:57]
	s_delay_alu instid0(VALU_DEP_3) | instskip(NEXT) | instid1(VALU_DEP_3)
	v_add_f64_e32 v[64:65], v[62:63], v[54:55]
	v_add_f64_e64 v[56:57], v[60:61], -v[58:59]
	s_delay_alu instid0(VALU_DEP_2) | instskip(NEXT) | instid1(VALU_DEP_2)
	v_add_f64_e64 v[58:59], v[64:65], -v[62:63]
	v_add_f64_e32 v[52:53], v[52:53], v[56:57]
	v_fma_f64 v[56:57], |v[2:3]|, s[36:37], s[34:35]
	s_delay_alu instid0(VALU_DEP_3) | instskip(NEXT) | instid1(VALU_DEP_1)
	v_add_f64_e64 v[54:55], v[54:55], -v[58:59]
	v_add_f64_e32 v[52:53], v[52:53], v[54:55]
	s_delay_alu instid0(VALU_DEP_3) | instskip(NEXT) | instid1(VALU_DEP_2)
	v_fma_f64 v[54:55], |v[2:3]|, v[56:57], s[38:39]
	v_add_f64_e32 v[52:53], v[64:65], v[52:53]
	s_delay_alu instid0(VALU_DEP_2) | instskip(NEXT) | instid1(VALU_DEP_2)
	v_fma_f64 v[54:55], |v[2:3]|, v[54:55], s[40:41]
	v_xor_b32_e32 v1, 0x80000000, v53
	s_delay_alu instid0(VALU_DEP_2) | instskip(NEXT) | instid1(VALU_DEP_2)
	v_fma_f64 v[54:55], |v[2:3]|, v[54:55], s[42:43]
	v_cndmask_b32_e32 v1, 0xfff00000, v1, vcc_lo
	s_and_b32 vcc_lo, s2, vcc_lo
	v_cndmask_b32_e32 v52, 0, v52, vcc_lo
	s_delay_alu instid0(VALU_DEP_2) | instskip(NEXT) | instid1(VALU_DEP_1)
	v_cndmask_b32_e64 v53, 0x7ff00000, v1, s2
	v_fma_f64 v[52:53], |v[2:3]|, v[54:55], v[52:53]
.LBB8_101:                              ;   in Loop: Header=BB8_5 Depth=1
	s_or_b32 exec_lo, exec_lo, s3
	s_delay_alu instid0(SALU_CYCLE_1)
	s_mov_b32 s2, exec_lo
	v_cmpx_le_f64_e32 0, v[2:3]
	s_xor_b32 s3, exec_lo, s2
	s_cbranch_execz .LBB8_103
; %bb.102:                              ;   in Loop: Header=BB8_5 Depth=1
	v_cmp_eq_f64_e32 vcc_lo, 1.0, v[2:3]
	v_cmp_eq_f64_e64 s2, 2.0, v[2:3]
	s_or_b32 s2, vcc_lo, s2
	s_delay_alu instid0(SALU_CYCLE_1)
	v_cndmask_b32_e64 v53, v53, 0, s2
	v_cndmask_b32_e64 v52, v52, 0, s2
.LBB8_103:                              ;   in Loop: Header=BB8_5 Depth=1
	s_and_not1_saveexec_b32 s3, s3
	s_cbranch_execz .LBB8_107
; %bb.104:                              ;   in Loop: Header=BB8_5 Depth=1
	v_add_nc_u32_e32 v1, 0xc32fffff, v51
	s_mov_b32 s4, exec_lo
	s_delay_alu instid0(VALU_DEP_1)
	v_cmpx_gt_u32_e32 0x65fffff, v1
	s_cbranch_execz .LBB8_106
; %bb.105:                              ;   in Loop: Header=BB8_5 Depth=1
	v_mul_f64_e64 v[54:55], |v[2:3]|, 0.5
	v_and_b32_e32 v1, 0x7fffffff, v3
	v_cmp_class_f64_e64 s2, v[2:3], 0x1f8
	s_delay_alu instid0(VALU_DEP_3) | instskip(SKIP_1) | instid1(VALU_DEP_2)
	v_fract_f64_e32 v[56:57], v[54:55]
	v_cmp_neq_f64_e64 vcc_lo, 0x7ff00000, |v[54:55]|
	v_add_f64_e32 v[56:57], v[56:57], v[56:57]
	s_delay_alu instid0(VALU_DEP_1) | instskip(SKIP_1) | instid1(VALU_DEP_2)
	v_dual_cndmask_b32 v42, 0, v56, vcc_lo :: v_dual_cndmask_b32 v46, 0, v57, vcc_lo
	v_cmp_gt_f64_e64 vcc_lo, |v[2:3]|, 1.0
	v_cndmask_b32_e32 v55, v1, v46, vcc_lo
	s_delay_alu instid0(VALU_DEP_3) | instskip(NEXT) | instid1(VALU_DEP_1)
	v_cndmask_b32_e32 v54, v2, v42, vcc_lo
	v_add_f64_e32 v[56:57], v[54:55], v[54:55]
	s_delay_alu instid0(VALU_DEP_1) | instskip(NEXT) | instid1(VALU_DEP_1)
	v_rndne_f64_e32 v[56:57], v[56:57]
	v_cvt_i32_f64_e32 v1, v[56:57]
	v_fmac_f64_e32 v[54:55], -0.5, v[56:57]
	s_delay_alu instid0(VALU_DEP_2) | instskip(NEXT) | instid1(VALU_DEP_1)
	v_dual_lshlrev_b32 v1, 30, v1 :: v_dual_bitop2_b32 v42, 1, v1 bitop3:0x40
	v_cmp_eq_u32_e32 vcc_lo, 0, v42
	s_delay_alu instid0(VALU_DEP_3) | instskip(NEXT) | instid1(VALU_DEP_1)
	v_mul_f64_e32 v[58:59], v[54:55], v[54:55]
	v_fmamk_f64 v[60:61], v[58:59], 0x3f3e357ef99eb0bb, v[34:35]
	v_mul_f64_e32 v[62:63], v[54:55], v[58:59]
	v_fmamk_f64 v[64:65], v[58:59], 0xbf1b167302e21c33, v[36:37]
	s_delay_alu instid0(VALU_DEP_3) | instskip(NEXT) | instid1(VALU_DEP_2)
	v_fmaak_f64 v[60:61], v[58:59], v[60:61], 0x3fb50782d5f14825
	v_fmaak_f64 v[64:65], v[58:59], v[64:65], 0xbf9a6d1e7294bff9
	s_delay_alu instid0(VALU_DEP_2) | instskip(NEXT) | instid1(VALU_DEP_1)
	v_fmaak_f64 v[60:61], v[58:59], v[60:61], 0xbfe32d2ccdfe9424
	v_fmaak_f64 v[60:61], v[58:59], v[60:61], 0x400466bc67754fff
	s_delay_alu instid0(VALU_DEP_1) | instskip(NEXT) | instid1(VALU_DEP_1)
	v_fmaak_f64 v[60:61], v[58:59], v[60:61], 0xc014abbce625be09
	v_mul_f64_e32 v[60:61], v[62:63], v[60:61]
	v_fmaak_f64 v[62:63], v[58:59], v[64:65], 0x3fce1f5067b90b37
	s_delay_alu instid0(VALU_DEP_1) | instskip(NEXT) | instid1(VALU_DEP_1)
	v_fmaak_f64 v[62:63], v[58:59], v[62:63], 0xbff55d3c7e3c325b
	v_fmaak_f64 v[62:63], v[58:59], v[62:63], 0x40103c1f081b5a67
	s_delay_alu instid0(VALU_DEP_1) | instskip(NEXT) | instid1(VALU_DEP_1)
	v_fmaak_f64 v[62:63], v[58:59], v[62:63], 0xc013bd3cc9be45de
	v_fma_f64 v[56:57], v[58:59], v[62:63], 1.0
	v_fmac_f64_e32 v[60:61], 0x400921fb54442d18, v[54:55]
	s_delay_alu instid0(VALU_DEP_1) | instskip(NEXT) | instid1(VALU_DEP_1)
	v_dual_cndmask_b32 v42, v56, v60, vcc_lo :: v_dual_bitop2_b32 v1, v1, v3 bitop3:0x14
	v_dual_cndmask_b32 v54, 0, v42, s2 :: v_dual_cndmask_b32 v46, v57, v61, vcc_lo
	s_delay_alu instid0(VALU_DEP_1) | instskip(NEXT) | instid1(VALU_DEP_1)
	v_bitop3_b32 v1, v46, v1, 0x80000000 bitop3:0x78
	v_cndmask_b32_e64 v55, 0x7ff80000, v1, s2
	v_cmp_class_f64_e64 s2, v[2:3], 0x204
	s_delay_alu instid0(VALU_DEP_2) | instskip(NEXT) | instid1(VALU_DEP_1)
	v_mul_f64_e32 v[54:55], v[2:3], v[54:55]
	v_and_b32_e32 v57, 0x7fffffff, v55
	s_delay_alu instid0(VALU_DEP_2) | instskip(NEXT) | instid1(VALU_DEP_1)
	v_mov_b32_e32 v56, v54
	v_div_scale_f64 v[58:59], null, v[56:57], v[56:57], s[44:45]
	v_div_scale_f64 v[56:57], vcc_lo, s[44:45], v[56:57], s[44:45]
	s_delay_alu instid0(VALU_DEP_2) | instskip(SKIP_1) | instid1(TRANS32_DEP_1)
	v_rcp_f64_e32 v[60:61], v[58:59]
	v_nop
	v_fma_f64 v[62:63], -v[58:59], v[60:61], 1.0
	s_delay_alu instid0(VALU_DEP_1) | instskip(NEXT) | instid1(VALU_DEP_1)
	v_fmac_f64_e32 v[60:61], v[60:61], v[62:63]
	v_fma_f64 v[62:63], -v[58:59], v[60:61], 1.0
	s_delay_alu instid0(VALU_DEP_1) | instskip(NEXT) | instid1(VALU_DEP_1)
	v_fmac_f64_e32 v[60:61], v[60:61], v[62:63]
	v_mul_f64_e32 v[62:63], v[56:57], v[60:61]
	s_delay_alu instid0(VALU_DEP_1) | instskip(NEXT) | instid1(VALU_DEP_1)
	v_fma_f64 v[56:57], -v[58:59], v[62:63], v[56:57]
	v_div_fmas_f64 v[56:57], v[56:57], v[60:61], v[62:63]
	s_delay_alu instid0(VALU_DEP_1) | instskip(NEXT) | instid1(VALU_DEP_1)
	v_div_fixup_f64 v[54:55], v[56:57], |v[54:55]|, s[44:45]
	v_frexp_mant_f64_e32 v[56:57], v[54:55]
	s_delay_alu instid0(VALU_DEP_1) | instskip(SKIP_1) | instid1(VALU_DEP_1)
	v_cmp_gt_f64_e32 vcc_lo, s[22:23], v[56:57]
	v_cndmask_b32_e64 v1, 0, 1, vcc_lo
	v_ldexp_f64 v[56:57], v[56:57], v1
	v_frexp_exp_i32_f64_e32 v1, v[54:55]
	s_delay_alu instid0(VALU_DEP_1) | instskip(SKIP_1) | instid1(VALU_DEP_4)
	v_subrev_co_ci_u32_e64 v1, null, 0, v1, vcc_lo
	v_cmp_class_f64_e64 vcc_lo, v[54:55], 0x204
	v_add_f64_e32 v[58:59], 1.0, v[56:57]
	v_add_f64_e32 v[64:65], -1.0, v[56:57]
	s_delay_alu instid0(VALU_DEP_2) | instskip(SKIP_1) | instid1(VALU_DEP_1)
	v_rcp_f64_e32 v[60:61], v[58:59]
	v_add_f64_e32 v[66:67], -1.0, v[58:59]
	v_add_f64_e64 v[56:57], v[56:57], -v[66:67]
	s_delay_alu instid0(TRANS32_DEP_1) | instskip(NEXT) | instid1(VALU_DEP_1)
	v_fma_f64 v[62:63], -v[58:59], v[60:61], 1.0
	v_fmac_f64_e32 v[60:61], v[62:63], v[60:61]
	s_delay_alu instid0(VALU_DEP_1) | instskip(NEXT) | instid1(VALU_DEP_1)
	v_fma_f64 v[62:63], -v[58:59], v[60:61], 1.0
	v_fmac_f64_e32 v[60:61], v[62:63], v[60:61]
	s_delay_alu instid0(VALU_DEP_1) | instskip(NEXT) | instid1(VALU_DEP_1)
	v_mul_f64_e32 v[62:63], v[64:65], v[60:61]
	v_mul_f64_e32 v[68:69], v[58:59], v[62:63]
	s_delay_alu instid0(VALU_DEP_1) | instskip(NEXT) | instid1(VALU_DEP_1)
	v_fma_f64 v[58:59], v[62:63], v[58:59], -v[68:69]
	v_fmac_f64_e32 v[58:59], v[62:63], v[56:57]
	s_delay_alu instid0(VALU_DEP_1) | instskip(NEXT) | instid1(VALU_DEP_1)
	v_add_f64_e32 v[56:57], v[68:69], v[58:59]
	v_add_f64_e64 v[66:67], v[64:65], -v[56:57]
	v_add_f64_e64 v[68:69], v[56:57], -v[68:69]
	s_delay_alu instid0(VALU_DEP_2) | instskip(NEXT) | instid1(VALU_DEP_2)
	v_add_f64_e64 v[64:65], v[64:65], -v[66:67]
	v_add_f64_e64 v[58:59], v[68:69], -v[58:59]
	s_delay_alu instid0(VALU_DEP_2) | instskip(NEXT) | instid1(VALU_DEP_1)
	v_add_f64_e64 v[56:57], v[64:65], -v[56:57]
	v_add_f64_e32 v[56:57], v[58:59], v[56:57]
	s_delay_alu instid0(VALU_DEP_1) | instskip(NEXT) | instid1(VALU_DEP_1)
	v_add_f64_e32 v[56:57], v[66:67], v[56:57]
	v_mul_f64_e32 v[56:57], v[60:61], v[56:57]
	s_delay_alu instid0(VALU_DEP_1) | instskip(NEXT) | instid1(VALU_DEP_1)
	v_add_f64_e32 v[58:59], v[62:63], v[56:57]
	v_mul_f64_e32 v[60:61], v[58:59], v[58:59]
	s_delay_alu instid0(VALU_DEP_1) | instskip(SKIP_1) | instid1(VALU_DEP_2)
	v_fmamk_f64 v[64:65], v[60:61], 0x3fc3ab76bf559e2b, v[12:13]
	v_mul_f64_e32 v[66:67], v[58:59], v[60:61]
	v_fmaak_f64 v[64:65], v[60:61], v[64:65], 0x3fc7474dd7f4df2e
	s_delay_alu instid0(VALU_DEP_1) | instskip(NEXT) | instid1(VALU_DEP_1)
	v_fmaak_f64 v[64:65], v[60:61], v[64:65], 0x3fcc71c016291751
	v_fmaak_f64 v[64:65], v[60:61], v[64:65], 0x3fd249249b27acf1
	s_delay_alu instid0(VALU_DEP_1) | instskip(NEXT) | instid1(VALU_DEP_1)
	v_fmaak_f64 v[64:65], v[60:61], v[64:65], 0x3fd99999998ef7b6
	v_fmaak_f64 v[60:61], v[60:61], v[64:65], 0x3fe5555555555780
	v_ldexp_f64 v[64:65], v[58:59], 1
	v_add_f64_e64 v[58:59], v[58:59], -v[62:63]
	s_delay_alu instid0(VALU_DEP_3) | instskip(SKIP_1) | instid1(VALU_DEP_3)
	v_mul_f64_e32 v[60:61], v[66:67], v[60:61]
	v_cvt_f64_i32_e32 v[66:67], v1
	v_add_f64_e64 v[56:57], v[56:57], -v[58:59]
	s_delay_alu instid0(VALU_DEP_3) | instskip(NEXT) | instid1(VALU_DEP_3)
	v_add_f64_e32 v[62:63], v[64:65], v[60:61]
	v_mul_f64_e32 v[68:69], 0x3fe62e42fefa39ef, v[66:67]
	s_delay_alu instid0(VALU_DEP_3) | instskip(NEXT) | instid1(VALU_DEP_3)
	v_ldexp_f64 v[56:57], v[56:57], 1
	v_add_f64_e64 v[58:59], v[62:63], -v[64:65]
	s_delay_alu instid0(VALU_DEP_3) | instskip(NEXT) | instid1(VALU_DEP_2)
	v_fma_f64 v[64:65], v[66:67], s[24:25], -v[68:69]
	v_add_f64_e64 v[58:59], v[60:61], -v[58:59]
	s_delay_alu instid0(VALU_DEP_2) | instskip(NEXT) | instid1(VALU_DEP_2)
	v_fmac_f64_e32 v[64:65], 0x3c7abc9e3b39803f, v[66:67]
	v_add_f64_e32 v[56:57], v[56:57], v[58:59]
	s_delay_alu instid0(VALU_DEP_2) | instskip(NEXT) | instid1(VALU_DEP_2)
	v_add_f64_e32 v[58:59], v[68:69], v[64:65]
	v_add_f64_e32 v[60:61], v[62:63], v[56:57]
	s_delay_alu instid0(VALU_DEP_2) | instskip(NEXT) | instid1(VALU_DEP_2)
	v_add_f64_e64 v[68:69], v[58:59], -v[68:69]
	v_add_f64_e32 v[66:67], v[58:59], v[60:61]
	v_add_f64_e64 v[62:63], v[60:61], -v[62:63]
	s_delay_alu instid0(VALU_DEP_3) | instskip(NEXT) | instid1(VALU_DEP_3)
	v_add_f64_e64 v[64:65], v[64:65], -v[68:69]
	v_add_f64_e64 v[70:71], v[66:67], -v[58:59]
	s_delay_alu instid0(VALU_DEP_3) | instskip(NEXT) | instid1(VALU_DEP_2)
	v_add_f64_e64 v[56:57], v[56:57], -v[62:63]
	v_add_f64_e64 v[72:73], v[66:67], -v[70:71]
	;; [unrolled: 1-line block ×3, first 2 shown]
	s_delay_alu instid0(VALU_DEP_3) | instskip(NEXT) | instid1(VALU_DEP_3)
	v_add_f64_e32 v[62:63], v[64:65], v[56:57]
	v_add_f64_e64 v[58:59], v[58:59], -v[72:73]
	s_delay_alu instid0(VALU_DEP_1) | instskip(NEXT) | instid1(VALU_DEP_3)
	v_add_f64_e32 v[58:59], v[60:61], v[58:59]
	v_add_f64_e64 v[60:61], v[62:63], -v[64:65]
	s_delay_alu instid0(VALU_DEP_2) | instskip(NEXT) | instid1(VALU_DEP_2)
	v_add_f64_e32 v[58:59], v[62:63], v[58:59]
	v_add_f64_e64 v[62:63], v[62:63], -v[60:61]
	v_add_f64_e64 v[56:57], v[56:57], -v[60:61]
	s_delay_alu instid0(VALU_DEP_3) | instskip(NEXT) | instid1(VALU_DEP_3)
	v_add_f64_e32 v[68:69], v[66:67], v[58:59]
	v_add_f64_e64 v[60:61], v[64:65], -v[62:63]
	s_delay_alu instid0(VALU_DEP_2) | instskip(NEXT) | instid1(VALU_DEP_2)
	v_add_f64_e64 v[62:63], v[68:69], -v[66:67]
	v_add_f64_e32 v[56:57], v[56:57], v[60:61]
	s_delay_alu instid0(VALU_DEP_2) | instskip(NEXT) | instid1(VALU_DEP_1)
	v_add_f64_e64 v[58:59], v[58:59], -v[62:63]
	v_add_f64_e32 v[56:57], v[56:57], v[58:59]
	s_delay_alu instid0(VALU_DEP_1) | instskip(NEXT) | instid1(VALU_DEP_1)
	v_add_f64_e32 v[56:57], v[68:69], v[56:57]
	v_dual_cndmask_b32 v1, v56, v54 :: v_dual_cndmask_b32 v42, v57, v55
	v_cmp_neq_f64_e32 vcc_lo, 0, v[54:55]
	v_fract_f64_e32 v[54:55], v[2:3]
	s_delay_alu instid0(VALU_DEP_3) | instskip(NEXT) | instid1(VALU_DEP_4)
	v_cndmask_b32_e32 v57, 0xfff00000, v42, vcc_lo
	v_cndmask_b32_e32 v56, 0, v1, vcc_lo
	s_delay_alu instid0(VALU_DEP_3) | instskip(NEXT) | instid1(VALU_DEP_2)
	v_cmp_eq_f64_e32 vcc_lo, 0, v[54:55]
	v_add_f64_e64 v[52:53], v[56:57], -v[52:53]
	s_or_b32 s2, s2, vcc_lo
	s_delay_alu instid0(VALU_DEP_1) | instid1(SALU_CYCLE_1)
	v_cndmask_b32_e64 v53, v53, 0x7ff00000, s2
	s_delay_alu instid0(VALU_DEP_2)
	v_cndmask_b32_e64 v52, v52, 0, s2
.LBB8_106:                              ;   in Loop: Header=BB8_5 Depth=1
	s_or_b32 exec_lo, exec_lo, s4
.LBB8_107:                              ;   in Loop: Header=BB8_5 Depth=1
	s_delay_alu instid0(SALU_CYCLE_1) | instskip(SKIP_3) | instid1(VALU_DEP_2)
	s_or_b32 exec_lo, exec_lo, s3
	v_and_b32_e32 v55, 0x7fffffff, v5
	v_mov_b32_e32 v54, v4
                                        ; implicit-def: $vgpr56_vgpr57
	s_mov_b32 s2, exec_lo
	v_cmpx_lt_u32_e32 0x3f6fffff, v55
	s_xor_b32 s5, exec_lo, s2
	s_cbranch_execz .LBB8_133
; %bb.108:                              ;   in Loop: Header=BB8_5 Depth=1
                                        ; implicit-def: $vgpr56_vgpr57
	s_mov_b32 s2, exec_lo
	v_cmpx_lt_u32_e32 0x3fffffff, v55
	s_xor_b32 s3, exec_lo, s2
	s_cbranch_execz .LBB8_118
; %bb.109:                              ;   in Loop: Header=BB8_5 Depth=1
	;; [unrolled: 6-line block ×4, first 2 shown]
	v_frexp_mant_f64_e64 v[56:57], |v[4:5]|
	v_cmp_neq_f64_e64 s2, 0, v[4:5]
	s_delay_alu instid0(VALU_DEP_2) | instskip(SKIP_1) | instid1(VALU_DEP_1)
	v_cmp_gt_f64_e32 vcc_lo, s[22:23], v[56:57]
	v_cndmask_b32_e64 v1, 0, 1, vcc_lo
	v_ldexp_f64 v[56:57], v[56:57], v1
	v_frexp_exp_i32_f64_e32 v1, v[4:5]
	s_delay_alu instid0(VALU_DEP_2) | instskip(SKIP_1) | instid1(VALU_DEP_3)
	v_add_f64_e32 v[58:59], 1.0, v[56:57]
	v_add_f64_e32 v[64:65], -1.0, v[56:57]
	v_subrev_co_ci_u32_e64 v1, null, 0, v1, vcc_lo
	v_cmp_neq_f64_e64 vcc_lo, 0x7ff00000, |v[4:5]|
	s_delay_alu instid0(VALU_DEP_4) | instskip(SKIP_1) | instid1(VALU_DEP_1)
	v_rcp_f64_e32 v[60:61], v[58:59]
	v_add_f64_e32 v[66:67], -1.0, v[58:59]
	v_add_f64_e64 v[56:57], v[56:57], -v[66:67]
	s_delay_alu instid0(TRANS32_DEP_1) | instskip(NEXT) | instid1(VALU_DEP_1)
	v_fma_f64 v[62:63], -v[58:59], v[60:61], 1.0
	v_fmac_f64_e32 v[60:61], v[62:63], v[60:61]
	s_delay_alu instid0(VALU_DEP_1) | instskip(NEXT) | instid1(VALU_DEP_1)
	v_fma_f64 v[62:63], -v[58:59], v[60:61], 1.0
	v_fmac_f64_e32 v[60:61], v[62:63], v[60:61]
	s_delay_alu instid0(VALU_DEP_1) | instskip(NEXT) | instid1(VALU_DEP_1)
	v_mul_f64_e32 v[62:63], v[64:65], v[60:61]
	v_mul_f64_e32 v[68:69], v[58:59], v[62:63]
	s_delay_alu instid0(VALU_DEP_1) | instskip(NEXT) | instid1(VALU_DEP_1)
	v_fma_f64 v[58:59], v[62:63], v[58:59], -v[68:69]
	v_fmac_f64_e32 v[58:59], v[62:63], v[56:57]
	s_delay_alu instid0(VALU_DEP_1) | instskip(NEXT) | instid1(VALU_DEP_1)
	v_add_f64_e32 v[56:57], v[68:69], v[58:59]
	v_add_f64_e64 v[66:67], v[64:65], -v[56:57]
	v_add_f64_e64 v[68:69], v[56:57], -v[68:69]
	s_delay_alu instid0(VALU_DEP_2) | instskip(NEXT) | instid1(VALU_DEP_2)
	v_add_f64_e64 v[64:65], v[64:65], -v[66:67]
	v_add_f64_e64 v[58:59], v[68:69], -v[58:59]
	s_delay_alu instid0(VALU_DEP_2) | instskip(NEXT) | instid1(VALU_DEP_1)
	v_add_f64_e64 v[56:57], v[64:65], -v[56:57]
	v_add_f64_e32 v[56:57], v[58:59], v[56:57]
	s_delay_alu instid0(VALU_DEP_1) | instskip(NEXT) | instid1(VALU_DEP_1)
	v_add_f64_e32 v[56:57], v[66:67], v[56:57]
	v_mul_f64_e32 v[56:57], v[60:61], v[56:57]
	s_delay_alu instid0(VALU_DEP_1) | instskip(NEXT) | instid1(VALU_DEP_1)
	v_add_f64_e32 v[58:59], v[62:63], v[56:57]
	v_mul_f64_e32 v[60:61], v[58:59], v[58:59]
	s_delay_alu instid0(VALU_DEP_1) | instskip(SKIP_1) | instid1(VALU_DEP_2)
	v_fmamk_f64 v[64:65], v[60:61], 0x3fc3ab76bf559e2b, v[12:13]
	v_mul_f64_e32 v[66:67], v[58:59], v[60:61]
	v_fmaak_f64 v[64:65], v[60:61], v[64:65], 0x3fc7474dd7f4df2e
	s_delay_alu instid0(VALU_DEP_1) | instskip(NEXT) | instid1(VALU_DEP_1)
	v_fmaak_f64 v[64:65], v[60:61], v[64:65], 0x3fcc71c016291751
	v_fmaak_f64 v[64:65], v[60:61], v[64:65], 0x3fd249249b27acf1
	s_delay_alu instid0(VALU_DEP_1) | instskip(NEXT) | instid1(VALU_DEP_1)
	v_fmaak_f64 v[64:65], v[60:61], v[64:65], 0x3fd99999998ef7b6
	v_fmaak_f64 v[60:61], v[60:61], v[64:65], 0x3fe5555555555780
	v_ldexp_f64 v[64:65], v[58:59], 1
	v_add_f64_e64 v[58:59], v[58:59], -v[62:63]
	s_delay_alu instid0(VALU_DEP_3) | instskip(SKIP_1) | instid1(VALU_DEP_3)
	v_mul_f64_e32 v[60:61], v[66:67], v[60:61]
	v_cvt_f64_i32_e32 v[66:67], v1
	v_add_f64_e64 v[56:57], v[56:57], -v[58:59]
	s_delay_alu instid0(VALU_DEP_3) | instskip(NEXT) | instid1(VALU_DEP_3)
	v_add_f64_e32 v[62:63], v[64:65], v[60:61]
	v_mul_f64_e32 v[68:69], 0x3fe62e42fefa39ef, v[66:67]
	s_delay_alu instid0(VALU_DEP_3) | instskip(NEXT) | instid1(VALU_DEP_3)
	v_ldexp_f64 v[56:57], v[56:57], 1
	v_add_f64_e64 v[58:59], v[62:63], -v[64:65]
	s_delay_alu instid0(VALU_DEP_3) | instskip(NEXT) | instid1(VALU_DEP_2)
	v_fma_f64 v[64:65], v[66:67], s[24:25], -v[68:69]
	v_add_f64_e64 v[58:59], v[60:61], -v[58:59]
	s_delay_alu instid0(VALU_DEP_2) | instskip(NEXT) | instid1(VALU_DEP_2)
	v_fmac_f64_e32 v[64:65], 0x3c7abc9e3b39803f, v[66:67]
	v_add_f64_e32 v[56:57], v[56:57], v[58:59]
	s_delay_alu instid0(VALU_DEP_2) | instskip(NEXT) | instid1(VALU_DEP_2)
	v_add_f64_e32 v[58:59], v[68:69], v[64:65]
	v_add_f64_e32 v[60:61], v[62:63], v[56:57]
	s_delay_alu instid0(VALU_DEP_2) | instskip(NEXT) | instid1(VALU_DEP_2)
	v_add_f64_e64 v[68:69], v[58:59], -v[68:69]
	v_add_f64_e32 v[66:67], v[58:59], v[60:61]
	v_add_f64_e64 v[62:63], v[60:61], -v[62:63]
	s_delay_alu instid0(VALU_DEP_3) | instskip(NEXT) | instid1(VALU_DEP_3)
	v_add_f64_e64 v[64:65], v[64:65], -v[68:69]
	v_add_f64_e64 v[70:71], v[66:67], -v[58:59]
	s_delay_alu instid0(VALU_DEP_3) | instskip(NEXT) | instid1(VALU_DEP_2)
	v_add_f64_e64 v[56:57], v[56:57], -v[62:63]
	v_add_f64_e64 v[72:73], v[66:67], -v[70:71]
	;; [unrolled: 1-line block ×3, first 2 shown]
	s_delay_alu instid0(VALU_DEP_3) | instskip(NEXT) | instid1(VALU_DEP_3)
	v_add_f64_e32 v[62:63], v[64:65], v[56:57]
	v_add_f64_e64 v[58:59], v[58:59], -v[72:73]
	s_delay_alu instid0(VALU_DEP_1) | instskip(NEXT) | instid1(VALU_DEP_3)
	v_add_f64_e32 v[58:59], v[60:61], v[58:59]
	v_add_f64_e64 v[60:61], v[62:63], -v[64:65]
	s_delay_alu instid0(VALU_DEP_2) | instskip(NEXT) | instid1(VALU_DEP_2)
	v_add_f64_e32 v[58:59], v[62:63], v[58:59]
	v_add_f64_e64 v[62:63], v[62:63], -v[60:61]
	v_add_f64_e64 v[56:57], v[56:57], -v[60:61]
	s_delay_alu instid0(VALU_DEP_3) | instskip(NEXT) | instid1(VALU_DEP_3)
	v_add_f64_e32 v[68:69], v[66:67], v[58:59]
	v_add_f64_e64 v[60:61], v[64:65], -v[62:63]
	s_delay_alu instid0(VALU_DEP_2) | instskip(NEXT) | instid1(VALU_DEP_2)
	v_add_f64_e64 v[62:63], v[68:69], -v[66:67]
	v_add_f64_e32 v[56:57], v[56:57], v[60:61]
	s_delay_alu instid0(VALU_DEP_2) | instskip(NEXT) | instid1(VALU_DEP_1)
	v_add_f64_e64 v[58:59], v[58:59], -v[62:63]
	v_add_f64_e32 v[56:57], v[56:57], v[58:59]
	s_delay_alu instid0(VALU_DEP_1) | instskip(NEXT) | instid1(VALU_DEP_1)
	v_add_f64_e32 v[56:57], v[68:69], v[56:57]
	v_cndmask_b32_e32 v1, 0x7ff00000, v57, vcc_lo
	s_and_b32 vcc_lo, s2, vcc_lo
	s_delay_alu instid0(VALU_DEP_2) | instskip(NEXT) | instid1(VALU_DEP_2)
	v_cndmask_b32_e32 v56, 0, v56, vcc_lo
	v_cndmask_b32_e64 v57, 0xfff00000, v1, s2
	s_delay_alu instid0(VALU_DEP_1)
	v_fma_f64 v[56:57], |v[4:5]|, v[56:57], -|v[4:5]|
.LBB8_112:                              ;   in Loop: Header=BB8_5 Depth=1
	s_and_not1_saveexec_b32 s6, s6
	s_cbranch_execz .LBB8_114
; %bb.113:                              ;   in Loop: Header=BB8_5 Depth=1
	v_frexp_mant_f64_e64 v[56:57], |v[4:5]|
	v_and_b32_e32 v71, 0x7fffffff, v5
	v_cmp_neq_f64_e64 s2, 0, v[4:5]
	v_mov_b32_e32 v70, v4
	s_delay_alu instid0(VALU_DEP_1) | instskip(SKIP_1) | instid1(VALU_DEP_2)
	v_div_scale_f64 v[72:73], null, v[70:71], v[70:71], 1.0
	v_cmp_gt_f64_e32 vcc_lo, s[22:23], v[56:57]
	v_rcp_f64_e32 v[76:77], v[72:73]
	v_cndmask_b32_e64 v1, 0, 1, vcc_lo
	s_delay_alu instid0(VALU_DEP_1) | instskip(SKIP_1) | instid1(TRANS32_DEP_1)
	v_ldexp_f64 v[56:57], v[56:57], v1
	v_frexp_exp_i32_f64_e32 v1, v[4:5]
	v_fma_f64 v[80:81], -v[72:73], v[76:77], 1.0
	s_delay_alu instid0(VALU_DEP_3) | instskip(SKIP_1) | instid1(VALU_DEP_4)
	v_add_f64_e32 v[58:59], 1.0, v[56:57]
	v_add_f64_e32 v[64:65], -1.0, v[56:57]
	v_subrev_co_ci_u32_e64 v1, null, 0, v1, vcc_lo
	v_div_scale_f64 v[70:71], vcc_lo, 1.0, v[70:71], 1.0
	v_fmac_f64_e32 v[76:77], v[76:77], v[80:81]
	v_rcp_f64_e32 v[60:61], v[58:59]
	v_add_f64_e32 v[66:67], -1.0, v[58:59]
	s_delay_alu instid0(VALU_DEP_1) | instskip(NEXT) | instid1(TRANS32_DEP_1)
	v_add_f64_e64 v[56:57], v[56:57], -v[66:67]
	v_fma_f64 v[62:63], -v[58:59], v[60:61], 1.0
	s_delay_alu instid0(VALU_DEP_1) | instskip(NEXT) | instid1(VALU_DEP_1)
	v_fmac_f64_e32 v[60:61], v[62:63], v[60:61]
	v_fma_f64 v[62:63], -v[58:59], v[60:61], 1.0
	s_delay_alu instid0(VALU_DEP_1) | instskip(NEXT) | instid1(VALU_DEP_1)
	v_fmac_f64_e32 v[60:61], v[62:63], v[60:61]
	v_mul_f64_e32 v[62:63], v[64:65], v[60:61]
	s_delay_alu instid0(VALU_DEP_1) | instskip(NEXT) | instid1(VALU_DEP_1)
	v_mul_f64_e32 v[68:69], v[58:59], v[62:63]
	v_fma_f64 v[58:59], v[62:63], v[58:59], -v[68:69]
	s_delay_alu instid0(VALU_DEP_1) | instskip(NEXT) | instid1(VALU_DEP_1)
	v_fmac_f64_e32 v[58:59], v[62:63], v[56:57]
	v_add_f64_e32 v[56:57], v[68:69], v[58:59]
	s_delay_alu instid0(VALU_DEP_1) | instskip(SKIP_1) | instid1(VALU_DEP_2)
	v_add_f64_e64 v[66:67], v[64:65], -v[56:57]
	v_add_f64_e64 v[68:69], v[56:57], -v[68:69]
	;; [unrolled: 1-line block ×3, first 2 shown]
	s_delay_alu instid0(VALU_DEP_2) | instskip(NEXT) | instid1(VALU_DEP_2)
	v_add_f64_e64 v[58:59], v[68:69], -v[58:59]
	v_add_f64_e64 v[56:57], v[64:65], -v[56:57]
	s_delay_alu instid0(VALU_DEP_1) | instskip(NEXT) | instid1(VALU_DEP_1)
	v_add_f64_e32 v[56:57], v[58:59], v[56:57]
	v_add_f64_e32 v[56:57], v[66:67], v[56:57]
	s_delay_alu instid0(VALU_DEP_1) | instskip(NEXT) | instid1(VALU_DEP_1)
	v_mul_f64_e32 v[56:57], v[60:61], v[56:57]
	v_add_f64_e32 v[58:59], v[62:63], v[56:57]
	s_delay_alu instid0(VALU_DEP_1) | instskip(NEXT) | instid1(VALU_DEP_1)
	v_mul_f64_e32 v[60:61], v[58:59], v[58:59]
	v_fmamk_f64 v[64:65], v[60:61], 0x3fc3ab76bf559e2b, v[12:13]
	v_mul_f64_e32 v[66:67], v[58:59], v[60:61]
	s_delay_alu instid0(VALU_DEP_2) | instskip(NEXT) | instid1(VALU_DEP_1)
	v_fmaak_f64 v[64:65], v[60:61], v[64:65], 0x3fc7474dd7f4df2e
	v_fmaak_f64 v[64:65], v[60:61], v[64:65], 0x3fcc71c016291751
	s_delay_alu instid0(VALU_DEP_1) | instskip(NEXT) | instid1(VALU_DEP_1)
	v_fmaak_f64 v[64:65], v[60:61], v[64:65], 0x3fd249249b27acf1
	v_fmaak_f64 v[64:65], v[60:61], v[64:65], 0x3fd99999998ef7b6
	s_delay_alu instid0(VALU_DEP_1) | instskip(SKIP_2) | instid1(VALU_DEP_3)
	v_fmaak_f64 v[60:61], v[60:61], v[64:65], 0x3fe5555555555780
	v_ldexp_f64 v[64:65], v[58:59], 1
	v_add_f64_e64 v[58:59], v[58:59], -v[62:63]
	v_mul_f64_e32 v[60:61], v[66:67], v[60:61]
	v_cvt_f64_i32_e32 v[66:67], v1
	s_delay_alu instid0(VALU_DEP_3) | instskip(NEXT) | instid1(VALU_DEP_3)
	v_add_f64_e64 v[56:57], v[56:57], -v[58:59]
	v_add_f64_e32 v[62:63], v[64:65], v[60:61]
	s_delay_alu instid0(VALU_DEP_3) | instskip(NEXT) | instid1(VALU_DEP_3)
	v_mul_f64_e32 v[68:69], 0x3fe62e42fefa39ef, v[66:67]
	v_ldexp_f64 v[56:57], v[56:57], 1
	s_delay_alu instid0(VALU_DEP_3) | instskip(NEXT) | instid1(VALU_DEP_3)
	v_add_f64_e64 v[58:59], v[62:63], -v[64:65]
	v_fma_f64 v[64:65], v[66:67], s[24:25], -v[68:69]
	s_delay_alu instid0(VALU_DEP_2) | instskip(NEXT) | instid1(VALU_DEP_2)
	v_add_f64_e64 v[58:59], v[60:61], -v[58:59]
	v_fmac_f64_e32 v[64:65], 0x3c7abc9e3b39803f, v[66:67]
	s_delay_alu instid0(VALU_DEP_2) | instskip(NEXT) | instid1(VALU_DEP_2)
	v_add_f64_e32 v[56:57], v[56:57], v[58:59]
	v_add_f64_e32 v[58:59], v[68:69], v[64:65]
	s_delay_alu instid0(VALU_DEP_2) | instskip(NEXT) | instid1(VALU_DEP_2)
	v_add_f64_e32 v[60:61], v[62:63], v[56:57]
	v_add_f64_e64 v[68:69], v[58:59], -v[68:69]
	s_delay_alu instid0(VALU_DEP_2) | instskip(SKIP_1) | instid1(VALU_DEP_3)
	v_add_f64_e32 v[66:67], v[58:59], v[60:61]
	v_add_f64_e64 v[62:63], v[60:61], -v[62:63]
	v_add_f64_e64 v[64:65], v[64:65], -v[68:69]
	s_delay_alu instid0(VALU_DEP_3) | instskip(NEXT) | instid1(VALU_DEP_3)
	v_add_f64_e64 v[74:75], v[66:67], -v[58:59]
	v_add_f64_e64 v[56:57], v[56:57], -v[62:63]
	s_delay_alu instid0(VALU_DEP_2) | instskip(SKIP_1) | instid1(VALU_DEP_3)
	v_add_f64_e64 v[78:79], v[66:67], -v[74:75]
	v_add_f64_e64 v[60:61], v[60:61], -v[74:75]
	v_add_f64_e32 v[62:63], v[64:65], v[56:57]
	s_delay_alu instid0(VALU_DEP_3) | instskip(NEXT) | instid1(VALU_DEP_2)
	v_add_f64_e64 v[58:59], v[58:59], -v[78:79]
	v_add_f64_e64 v[68:69], v[62:63], -v[64:65]
	s_delay_alu instid0(VALU_DEP_2) | instskip(SKIP_1) | instid1(VALU_DEP_3)
	v_add_f64_e32 v[58:59], v[60:61], v[58:59]
	v_fma_f64 v[60:61], -v[72:73], v[76:77], 1.0
	v_add_f64_e64 v[56:57], v[56:57], -v[68:69]
	s_delay_alu instid0(VALU_DEP_3) | instskip(NEXT) | instid1(VALU_DEP_3)
	v_add_f64_e32 v[58:59], v[62:63], v[58:59]
	v_fmac_f64_e32 v[76:77], v[76:77], v[60:61]
	v_add_f64_e64 v[60:61], v[62:63], -v[68:69]
	s_delay_alu instid0(VALU_DEP_3) | instskip(NEXT) | instid1(VALU_DEP_3)
	v_add_f64_e32 v[62:63], v[66:67], v[58:59]
	v_mul_f64_e32 v[74:75], v[70:71], v[76:77]
	s_delay_alu instid0(VALU_DEP_3) | instskip(NEXT) | instid1(VALU_DEP_3)
	v_add_f64_e64 v[60:61], v[64:65], -v[60:61]
	v_add_f64_e64 v[64:65], v[62:63], -v[66:67]
	s_delay_alu instid0(VALU_DEP_3) | instskip(NEXT) | instid1(VALU_DEP_3)
	v_fma_f64 v[66:67], -v[72:73], v[74:75], v[70:71]
	v_add_f64_e32 v[56:57], v[56:57], v[60:61]
	s_delay_alu instid0(VALU_DEP_3) | instskip(NEXT) | instid1(VALU_DEP_3)
	v_add_f64_e64 v[58:59], v[58:59], -v[64:65]
	v_div_fmas_f64 v[60:61], v[66:67], v[76:77], v[74:75]
	v_cmp_neq_f64_e64 vcc_lo, 0x7ff00000, |v[4:5]|
	v_add_f64_e64 v[64:65], |v[4:5]|, -0.5
	s_delay_alu instid0(VALU_DEP_4) | instskip(NEXT) | instid1(VALU_DEP_4)
	v_add_f64_e32 v[56:57], v[56:57], v[58:59]
	v_div_fixup_f64 v[58:59], v[60:61], |v[4:5]|, 1.0
	s_delay_alu instid0(VALU_DEP_2) | instskip(NEXT) | instid1(VALU_DEP_2)
	v_add_f64_e32 v[56:57], v[62:63], v[56:57]
	v_mul_f64_e32 v[60:61], v[58:59], v[58:59]
	s_delay_alu instid0(VALU_DEP_2) | instskip(NEXT) | instid1(VALU_DEP_2)
	v_add_f64_e32 v[62:63], -1.0, v[56:57]
	v_fmamk_f64 v[56:57], v[60:61], 0xbf5ab89d0b9e43e4, v[14:15]
	s_delay_alu instid0(VALU_DEP_1) | instskip(NEXT) | instid1(VALU_DEP_1)
	v_fmaak_f64 v[56:57], v[60:61], v[56:57], 0xbf4380cb8c0fe741
	v_fmaak_f64 v[56:57], v[60:61], v[56:57], 0x3f4a019f98cf38b6
	s_delay_alu instid0(VALU_DEP_1) | instskip(NEXT) | instid1(VALU_DEP_1)
	v_fmaak_f64 v[56:57], v[60:61], v[56:57], 0xbf66c16c16b02e5c
	v_fmaak_f64 v[56:57], v[60:61], v[56:57], 0x3fb555555555553b
	v_cndmask_b32_e32 v1, 0x7ff00000, v63, vcc_lo
	s_and_b32 vcc_lo, s2, vcc_lo
	s_delay_alu instid0(VALU_DEP_2) | instskip(NEXT) | instid1(VALU_DEP_2)
	v_fmaak_f64 v[56:57], v[58:59], v[56:57], 0x3fdacfe390c97d69
	v_cndmask_b32_e64 v59, 0xfff00000, v1, s2
	v_cndmask_b32_e32 v58, 0, v62, vcc_lo
	s_delay_alu instid0(VALU_DEP_1)
	v_fmac_f64_e32 v[56:57], v[64:65], v[58:59]
.LBB8_114:                              ;   in Loop: Header=BB8_5 Depth=1
	s_or_b32 exec_lo, exec_lo, s6
.LBB8_115:                              ;   in Loop: Header=BB8_5 Depth=1
	s_and_not1_saveexec_b32 s4, s4
	s_cbranch_execz .LBB8_117
; %bb.116:                              ;   in Loop: Header=BB8_5 Depth=1
	v_cvt_i32_f64_e32 v1, v[54:55]
	s_delay_alu instid0(VALU_DEP_1) | instskip(SKIP_2) | instid1(VALU_DEP_3)
	v_cvt_f64_i32_e32 v[56:57], v1
	v_cmp_lt_i32_e32 vcc_lo, 2, v1
	v_cmp_lt_i32_e64 s2, 3, v1
	v_add_f64_e64 v[56:57], |v[4:5]|, -v[56:57]
	s_delay_alu instid0(VALU_DEP_1) | instskip(SKIP_2) | instid1(VALU_DEP_2)
	v_add_f64_e32 v[62:63], 4.0, v[56:57]
	v_add_f64_e32 v[58:59], 2.0, v[56:57]
	v_add_f64_e32 v[60:61], 0x40080000, v[56:57]
	v_cndmask_b32_e32 v59, 0x3ff00000, v59, vcc_lo
	s_delay_alu instid0(VALU_DEP_3) | instskip(SKIP_1) | instid1(VALU_DEP_4)
	v_cndmask_b32_e32 v58, 0, v58, vcc_lo
	v_cmp_lt_i32_e32 vcc_lo, 4, v1
	v_cndmask_b32_e64 v61, 0x3ff00000, v61, s2
	v_cndmask_b32_e32 v63, 0x3ff00000, v63, vcc_lo
	v_dual_cndmask_b32 v62, 0, v62, vcc_lo :: v_dual_cndmask_b32 v60, 0, v60, s2
	v_cmp_lt_i32_e32 vcc_lo, 5, v1
	s_delay_alu instid0(VALU_DEP_2) | instskip(SKIP_1) | instid1(VALU_DEP_2)
	v_mul_f64_e32 v[58:59], v[58:59], v[60:61]
	v_add_f64_e32 v[60:61], 0x40140000, v[56:57]
	v_mul_f64_e32 v[58:59], v[62:63], v[58:59]
	v_add_f64_e32 v[62:63], 0x40180000, v[56:57]
	s_delay_alu instid0(VALU_DEP_3) | instskip(NEXT) | instid1(VALU_DEP_4)
	v_cndmask_b32_e32 v61, 0x3ff00000, v61, vcc_lo
	v_cndmask_b32_e32 v60, 0, v60, vcc_lo
	v_cmp_lt_i32_e32 vcc_lo, 6, v1
	s_delay_alu instid0(VALU_DEP_2) | instskip(SKIP_2) | instid1(VALU_DEP_1)
	v_mul_f64_e32 v[58:59], v[60:61], v[58:59]
	v_cndmask_b32_e32 v61, 0x3ff00000, v63, vcc_lo
	v_cndmask_b32_e32 v60, 0, v62, vcc_lo
	v_mul_f64_e32 v[58:59], v[60:61], v[58:59]
	s_delay_alu instid0(VALU_DEP_1) | instskip(NEXT) | instid1(VALU_DEP_1)
	v_frexp_mant_f64_e32 v[60:61], v[58:59]
	v_cmp_gt_f64_e32 vcc_lo, s[22:23], v[60:61]
	v_cndmask_b32_e64 v1, 0, 1, vcc_lo
	s_delay_alu instid0(VALU_DEP_1) | instskip(SKIP_1) | instid1(VALU_DEP_2)
	v_ldexp_f64 v[60:61], v[60:61], v1
	v_frexp_exp_i32_f64_e32 v1, v[58:59]
	v_add_f64_e32 v[62:63], 1.0, v[60:61]
	v_add_f64_e32 v[68:69], -1.0, v[60:61]
	s_delay_alu instid0(VALU_DEP_3) | instskip(NEXT) | instid1(VALU_DEP_3)
	v_subrev_co_ci_u32_e64 v1, null, 0, v1, vcc_lo
	v_rcp_f64_e32 v[64:65], v[62:63]
	v_add_f64_e32 v[70:71], -1.0, v[62:63]
	s_delay_alu instid0(VALU_DEP_1) | instskip(NEXT) | instid1(TRANS32_DEP_1)
	v_add_f64_e64 v[60:61], v[60:61], -v[70:71]
	v_fma_f64 v[66:67], -v[62:63], v[64:65], 1.0
	s_delay_alu instid0(VALU_DEP_1) | instskip(NEXT) | instid1(VALU_DEP_1)
	v_fmac_f64_e32 v[64:65], v[66:67], v[64:65]
	v_fma_f64 v[66:67], -v[62:63], v[64:65], 1.0
	s_delay_alu instid0(VALU_DEP_1) | instskip(NEXT) | instid1(VALU_DEP_1)
	v_fmac_f64_e32 v[64:65], v[66:67], v[64:65]
	v_mul_f64_e32 v[66:67], v[68:69], v[64:65]
	s_delay_alu instid0(VALU_DEP_1) | instskip(NEXT) | instid1(VALU_DEP_1)
	v_mul_f64_e32 v[72:73], v[62:63], v[66:67]
	v_fma_f64 v[62:63], v[66:67], v[62:63], -v[72:73]
	s_delay_alu instid0(VALU_DEP_1) | instskip(NEXT) | instid1(VALU_DEP_1)
	v_fmac_f64_e32 v[62:63], v[66:67], v[60:61]
	v_add_f64_e32 v[60:61], v[72:73], v[62:63]
	s_delay_alu instid0(VALU_DEP_1) | instskip(SKIP_1) | instid1(VALU_DEP_2)
	v_add_f64_e64 v[70:71], v[68:69], -v[60:61]
	v_add_f64_e64 v[72:73], v[60:61], -v[72:73]
	;; [unrolled: 1-line block ×3, first 2 shown]
	s_delay_alu instid0(VALU_DEP_2) | instskip(NEXT) | instid1(VALU_DEP_2)
	v_add_f64_e64 v[62:63], v[72:73], -v[62:63]
	v_add_f64_e64 v[60:61], v[68:69], -v[60:61]
	s_delay_alu instid0(VALU_DEP_1) | instskip(NEXT) | instid1(VALU_DEP_1)
	v_add_f64_e32 v[60:61], v[62:63], v[60:61]
	v_add_f64_e32 v[60:61], v[70:71], v[60:61]
	s_delay_alu instid0(VALU_DEP_1) | instskip(NEXT) | instid1(VALU_DEP_1)
	v_mul_f64_e32 v[60:61], v[64:65], v[60:61]
	v_add_f64_e32 v[62:63], v[66:67], v[60:61]
	s_delay_alu instid0(VALU_DEP_1) | instskip(NEXT) | instid1(VALU_DEP_1)
	v_mul_f64_e32 v[64:65], v[62:63], v[62:63]
	v_fmamk_f64 v[68:69], v[64:65], 0x3fc3ab76bf559e2b, v[12:13]
	v_mul_f64_e32 v[70:71], v[62:63], v[64:65]
	s_delay_alu instid0(VALU_DEP_2) | instskip(NEXT) | instid1(VALU_DEP_1)
	v_fmaak_f64 v[68:69], v[64:65], v[68:69], 0x3fc7474dd7f4df2e
	v_fmaak_f64 v[68:69], v[64:65], v[68:69], 0x3fcc71c016291751
	s_delay_alu instid0(VALU_DEP_1) | instskip(NEXT) | instid1(VALU_DEP_1)
	v_fmaak_f64 v[68:69], v[64:65], v[68:69], 0x3fd249249b27acf1
	v_fmaak_f64 v[68:69], v[64:65], v[68:69], 0x3fd99999998ef7b6
	s_delay_alu instid0(VALU_DEP_1) | instskip(SKIP_2) | instid1(VALU_DEP_3)
	v_fmaak_f64 v[64:65], v[64:65], v[68:69], 0x3fe5555555555780
	v_ldexp_f64 v[68:69], v[62:63], 1
	v_add_f64_e64 v[62:63], v[62:63], -v[66:67]
	v_mul_f64_e32 v[64:65], v[70:71], v[64:65]
	v_cvt_f64_i32_e32 v[70:71], v1
	s_delay_alu instid0(VALU_DEP_3) | instskip(NEXT) | instid1(VALU_DEP_3)
	v_add_f64_e64 v[60:61], v[60:61], -v[62:63]
	v_add_f64_e32 v[66:67], v[68:69], v[64:65]
	s_delay_alu instid0(VALU_DEP_3) | instskip(NEXT) | instid1(VALU_DEP_3)
	v_mul_f64_e32 v[72:73], 0x3fe62e42fefa39ef, v[70:71]
	v_ldexp_f64 v[60:61], v[60:61], 1
	s_delay_alu instid0(VALU_DEP_3) | instskip(NEXT) | instid1(VALU_DEP_3)
	v_add_f64_e64 v[62:63], v[66:67], -v[68:69]
	v_fma_f64 v[68:69], v[70:71], s[24:25], -v[72:73]
	s_delay_alu instid0(VALU_DEP_2) | instskip(NEXT) | instid1(VALU_DEP_2)
	v_add_f64_e64 v[62:63], v[64:65], -v[62:63]
	v_fmac_f64_e32 v[68:69], 0x3c7abc9e3b39803f, v[70:71]
	v_fmamk_f64 v[64:65], v[56:57], 0x3f00bfecdd17e945, v[16:17]
	s_delay_alu instid0(VALU_DEP_1) | instskip(NEXT) | instid1(VALU_DEP_1)
	v_fmaak_f64 v[64:65], v[56:57], v[64:65], 0x3f9b481c7e939961
	v_fmaak_f64 v[64:65], v[56:57], v[64:65], 0x3fc2bb9cbee5f2f7
	s_delay_alu instid0(VALU_DEP_1) | instskip(NEXT) | instid1(VALU_DEP_1)
	v_fmaak_f64 v[64:65], v[56:57], v[64:65], 0x3fd4d98f4f139f59
	v_fmaak_f64 v[64:65], v[56:57], v[64:65], 0x3fcb848b36e20878
	v_add_f64_e32 v[60:61], v[60:61], v[62:63]
	v_fmamk_f64 v[62:63], v[56:57], 0x3edebaf7a5b38140, v[18:19]
	v_add_f64_e32 v[70:71], v[72:73], v[68:69]
	s_delay_alu instid0(VALU_DEP_4) | instskip(NEXT) | instid1(VALU_DEP_3)
	v_fmaak_f64 v[64:65], v[56:57], v[64:65], 0xbfb3c467e37db0c8
	v_fmaak_f64 v[62:63], v[56:57], v[62:63], 0x3f9317ea742ed475
	s_delay_alu instid0(VALU_DEP_2) | instskip(NEXT) | instid1(VALU_DEP_2)
	v_mul_f64_e32 v[64:65], v[56:57], v[64:65]
	v_fmaak_f64 v[62:63], v[56:57], v[62:63], 0x3fc601edccfbdf27
	s_delay_alu instid0(VALU_DEP_1) | instskip(NEXT) | instid1(VALU_DEP_1)
	v_fmaak_f64 v[62:63], v[56:57], v[62:63], 0x3fe71a1893d3dcdc
	v_fmaak_f64 v[62:63], v[56:57], v[62:63], 0x3ff645a762c4ab74
	v_add_f64_e32 v[74:75], v[66:67], v[60:61]
	v_add_f64_e64 v[72:73], v[70:71], -v[72:73]
	s_delay_alu instid0(VALU_DEP_3) | instskip(NEXT) | instid1(VALU_DEP_3)
	v_fma_f64 v[62:63], v[56:57], v[62:63], 1.0
	v_add_f64_e32 v[76:77], v[70:71], v[74:75]
	v_add_f64_e64 v[66:67], v[74:75], -v[66:67]
	s_delay_alu instid0(VALU_DEP_4) | instskip(NEXT) | instid1(VALU_DEP_4)
	v_add_f64_e64 v[68:69], v[68:69], -v[72:73]
	v_div_scale_f64 v[78:79], null, v[62:63], v[62:63], v[64:65]
	s_delay_alu instid0(VALU_DEP_4) | instskip(NEXT) | instid1(VALU_DEP_4)
	v_add_f64_e64 v[80:81], v[76:77], -v[70:71]
	v_add_f64_e64 v[60:61], v[60:61], -v[66:67]
	s_delay_alu instid0(VALU_DEP_3) | instskip(NEXT) | instid1(VALU_DEP_2)
	v_rcp_f64_e32 v[82:83], v[78:79]
	v_add_f64_e64 v[84:85], v[76:77], -v[80:81]
	v_add_f64_e64 v[66:67], v[74:75], -v[80:81]
	s_delay_alu instid0(VALU_DEP_3) | instskip(SKIP_1) | instid1(TRANS32_DEP_1)
	v_add_f64_e32 v[72:73], v[68:69], v[60:61]
	v_div_scale_f64 v[80:81], vcc_lo, v[64:65], v[62:63], v[64:65]
	v_fma_f64 v[86:87], -v[78:79], v[82:83], 1.0
	v_add_f64_e64 v[70:71], v[70:71], -v[84:85]
	s_delay_alu instid0(VALU_DEP_4) | instskip(NEXT) | instid1(VALU_DEP_3)
	v_add_f64_e64 v[74:75], v[72:73], -v[68:69]
	v_fmac_f64_e32 v[82:83], v[82:83], v[86:87]
	s_delay_alu instid0(VALU_DEP_3) | instskip(NEXT) | instid1(VALU_DEP_3)
	v_add_f64_e32 v[66:67], v[66:67], v[70:71]
	v_add_f64_e64 v[60:61], v[60:61], -v[74:75]
	s_delay_alu instid0(VALU_DEP_3) | instskip(NEXT) | instid1(VALU_DEP_3)
	v_fma_f64 v[70:71], -v[78:79], v[82:83], 1.0
	v_add_f64_e32 v[66:67], v[72:73], v[66:67]
	s_delay_alu instid0(VALU_DEP_2) | instskip(SKIP_1) | instid1(VALU_DEP_3)
	v_fmac_f64_e32 v[82:83], v[82:83], v[70:71]
	v_add_f64_e64 v[70:71], v[72:73], -v[74:75]
	v_add_f64_e32 v[72:73], v[76:77], v[66:67]
	s_delay_alu instid0(VALU_DEP_3) | instskip(NEXT) | instid1(VALU_DEP_3)
	v_mul_f64_e32 v[84:85], v[80:81], v[82:83]
	v_add_f64_e64 v[68:69], v[68:69], -v[70:71]
	s_delay_alu instid0(VALU_DEP_3) | instskip(NEXT) | instid1(VALU_DEP_3)
	v_add_f64_e64 v[70:71], v[72:73], -v[76:77]
	v_fma_f64 v[74:75], -v[78:79], v[84:85], v[80:81]
	s_delay_alu instid0(VALU_DEP_3) | instskip(NEXT) | instid1(VALU_DEP_3)
	v_add_f64_e32 v[60:61], v[60:61], v[68:69]
	v_add_f64_e64 v[66:67], v[66:67], -v[70:71]
	s_delay_alu instid0(VALU_DEP_3) | instskip(SKIP_1) | instid1(VALU_DEP_3)
	v_div_fmas_f64 v[68:69], v[74:75], v[82:83], v[84:85]
	v_cmp_class_f64_e64 vcc_lo, v[58:59], 0x204
	v_add_f64_e32 v[60:61], v[60:61], v[66:67]
	s_delay_alu instid0(VALU_DEP_3) | instskip(NEXT) | instid1(VALU_DEP_2)
	v_div_fixup_f64 v[62:63], v[68:69], v[62:63], v[64:65]
	v_add_f64_e32 v[60:61], v[72:73], v[60:61]
	s_delay_alu instid0(VALU_DEP_2) | instskip(NEXT) | instid1(VALU_DEP_2)
	v_fmac_f64_e32 v[62:63], 0.5, v[56:57]
	v_dual_cndmask_b32 v1, v60, v58 :: v_dual_cndmask_b32 v42, v61, v59
	v_cmp_ngt_f64_e32 vcc_lo, 0, v[58:59]
	s_delay_alu instid0(VALU_DEP_2) | instskip(SKIP_1) | instid1(VALU_DEP_4)
	v_cndmask_b32_e32 v42, 0x7ff80000, v42, vcc_lo
	v_cmp_nge_f64_e32 vcc_lo, 0, v[58:59]
	v_cndmask_b32_e32 v56, 0, v1, vcc_lo
	v_cmp_neq_f64_e32 vcc_lo, 0, v[58:59]
	s_delay_alu instid0(VALU_DEP_4) | instskip(NEXT) | instid1(VALU_DEP_1)
	v_cndmask_b32_e32 v57, 0xfff00000, v42, vcc_lo
	v_add_f64_e32 v[56:57], v[62:63], v[56:57]
.LBB8_117:                              ;   in Loop: Header=BB8_5 Depth=1
	s_or_b32 exec_lo, exec_lo, s4
.LBB8_118:                              ;   in Loop: Header=BB8_5 Depth=1
	s_and_not1_saveexec_b32 s6, s3
	s_cbranch_execz .LBB8_132
; %bb.119:                              ;   in Loop: Header=BB8_5 Depth=1
                                        ; implicit-def: $vgpr1
                                        ; implicit-def: $vgpr58_vgpr59
	s_mov_b32 s2, exec_lo
	v_cmpx_lt_u32_e32 0x3feccccc, v55
	s_xor_b32 s3, exec_lo, s2
	s_cbranch_execz .LBB8_121
; %bb.120:                              ;   in Loop: Header=BB8_5 Depth=1
	v_add_f64_e64 v[56:57], -|v[4:5]|, 2.0
	v_add_f64_e64 v[58:59], |v[4:5]|, s[26:27]
	v_add_f64_e64 v[60:61], |v[4:5]|, -1.0
	v_cmp_gt_u32_e32 vcc_lo, 0x3ffbb4c3, v55
	v_cmp_gt_u32_e64 s2, 0x3ff3b4c4, v55
	v_cndmask_b32_e64 v46, 0, 1, vcc_lo
	v_dual_cndmask_b32 v1, v56, v58 :: v_dual_cndmask_b32 v42, v57, v59
	s_delay_alu instid0(VALU_DEP_1) | instskip(NEXT) | instid1(VALU_DEP_3)
	v_dual_cndmask_b32 v58, v1, v60, s2 :: v_dual_cndmask_b32 v59, v42, v61, s2
	v_cndmask_b32_e64 v1, v46, 2, s2
.LBB8_121:                              ;   in Loop: Header=BB8_5 Depth=1
	s_or_saveexec_b32 s7, s3
	v_mov_b64_e32 v[56:57], 0
	s_xor_b32 exec_lo, exec_lo, s7
	s_cbranch_execz .LBB8_123
; %bb.122:                              ;   in Loop: Header=BB8_5 Depth=1
	v_frexp_mant_f64_e64 v[56:57], |v[4:5]|
	v_and_b32_e32 v42, 0x7fffffff, v5
	v_cmp_gt_u32_e64 s4, 0x3fcda661, v55
	v_cmp_gt_u32_e64 s3, 0x3fe76944, v55
	v_cmp_neq_f64_e64 s2, 0, v[4:5]
	s_delay_alu instid0(VALU_DEP_2) | instskip(SKIP_2) | instid1(VALU_DEP_1)
	v_cndmask_b32_e64 v54, 0, 1, s3
	v_cmp_gt_f64_e32 vcc_lo, s[22:23], v[56:57]
	v_cndmask_b32_e64 v1, 0, 1, vcc_lo
	v_ldexp_f64 v[56:57], v[56:57], v1
	v_frexp_exp_i32_f64_e32 v1, v[4:5]
	s_delay_alu instid0(VALU_DEP_2) | instskip(SKIP_1) | instid1(VALU_DEP_3)
	v_add_f64_e32 v[58:59], 1.0, v[56:57]
	v_add_f64_e32 v[64:65], -1.0, v[56:57]
	v_subrev_co_ci_u32_e64 v1, null, 0, v1, vcc_lo
	v_cmp_neq_f64_e64 vcc_lo, 0x7ff00000, |v[4:5]|
	s_delay_alu instid0(VALU_DEP_4) | instskip(SKIP_1) | instid1(VALU_DEP_1)
	v_rcp_f64_e32 v[60:61], v[58:59]
	v_add_f64_e32 v[66:67], -1.0, v[58:59]
	v_add_f64_e64 v[56:57], v[56:57], -v[66:67]
	s_delay_alu instid0(TRANS32_DEP_1) | instskip(NEXT) | instid1(VALU_DEP_1)
	v_fma_f64 v[62:63], -v[58:59], v[60:61], 1.0
	v_fmac_f64_e32 v[60:61], v[62:63], v[60:61]
	s_delay_alu instid0(VALU_DEP_1) | instskip(NEXT) | instid1(VALU_DEP_1)
	v_fma_f64 v[62:63], -v[58:59], v[60:61], 1.0
	v_fmac_f64_e32 v[60:61], v[62:63], v[60:61]
	s_delay_alu instid0(VALU_DEP_1) | instskip(NEXT) | instid1(VALU_DEP_1)
	v_mul_f64_e32 v[62:63], v[64:65], v[60:61]
	v_mul_f64_e32 v[68:69], v[58:59], v[62:63]
	s_delay_alu instid0(VALU_DEP_1) | instskip(NEXT) | instid1(VALU_DEP_1)
	v_fma_f64 v[58:59], v[62:63], v[58:59], -v[68:69]
	v_fmac_f64_e32 v[58:59], v[62:63], v[56:57]
	s_delay_alu instid0(VALU_DEP_1) | instskip(NEXT) | instid1(VALU_DEP_1)
	v_add_f64_e32 v[56:57], v[68:69], v[58:59]
	v_add_f64_e64 v[66:67], v[64:65], -v[56:57]
	v_add_f64_e64 v[68:69], v[56:57], -v[68:69]
	s_delay_alu instid0(VALU_DEP_2) | instskip(NEXT) | instid1(VALU_DEP_2)
	v_add_f64_e64 v[64:65], v[64:65], -v[66:67]
	v_add_f64_e64 v[58:59], v[68:69], -v[58:59]
	s_delay_alu instid0(VALU_DEP_2) | instskip(NEXT) | instid1(VALU_DEP_1)
	v_add_f64_e64 v[56:57], v[64:65], -v[56:57]
	v_add_f64_e32 v[56:57], v[58:59], v[56:57]
	s_delay_alu instid0(VALU_DEP_1) | instskip(NEXT) | instid1(VALU_DEP_1)
	v_add_f64_e32 v[56:57], v[66:67], v[56:57]
	v_mul_f64_e32 v[56:57], v[60:61], v[56:57]
	s_delay_alu instid0(VALU_DEP_1) | instskip(NEXT) | instid1(VALU_DEP_1)
	v_add_f64_e32 v[58:59], v[62:63], v[56:57]
	v_mul_f64_e32 v[60:61], v[58:59], v[58:59]
	s_delay_alu instid0(VALU_DEP_1) | instskip(SKIP_1) | instid1(VALU_DEP_2)
	v_fmamk_f64 v[64:65], v[60:61], 0x3fc3ab76bf559e2b, v[12:13]
	v_mul_f64_e32 v[66:67], v[58:59], v[60:61]
	v_fmaak_f64 v[64:65], v[60:61], v[64:65], 0x3fc7474dd7f4df2e
	s_delay_alu instid0(VALU_DEP_1) | instskip(NEXT) | instid1(VALU_DEP_1)
	v_fmaak_f64 v[64:65], v[60:61], v[64:65], 0x3fcc71c016291751
	v_fmaak_f64 v[64:65], v[60:61], v[64:65], 0x3fd249249b27acf1
	s_delay_alu instid0(VALU_DEP_1) | instskip(NEXT) | instid1(VALU_DEP_1)
	v_fmaak_f64 v[64:65], v[60:61], v[64:65], 0x3fd99999998ef7b6
	v_fmaak_f64 v[60:61], v[60:61], v[64:65], 0x3fe5555555555780
	v_ldexp_f64 v[64:65], v[58:59], 1
	v_add_f64_e64 v[58:59], v[58:59], -v[62:63]
	s_delay_alu instid0(VALU_DEP_3) | instskip(SKIP_1) | instid1(VALU_DEP_3)
	v_mul_f64_e32 v[60:61], v[66:67], v[60:61]
	v_cvt_f64_i32_e32 v[66:67], v1
	v_add_f64_e64 v[56:57], v[56:57], -v[58:59]
	s_delay_alu instid0(VALU_DEP_3) | instskip(NEXT) | instid1(VALU_DEP_3)
	v_add_f64_e32 v[62:63], v[64:65], v[60:61]
	v_mul_f64_e32 v[68:69], 0x3fe62e42fefa39ef, v[66:67]
	s_delay_alu instid0(VALU_DEP_3) | instskip(NEXT) | instid1(VALU_DEP_3)
	v_ldexp_f64 v[56:57], v[56:57], 1
	v_add_f64_e64 v[58:59], v[62:63], -v[64:65]
	s_delay_alu instid0(VALU_DEP_3) | instskip(NEXT) | instid1(VALU_DEP_2)
	v_fma_f64 v[64:65], v[66:67], s[24:25], -v[68:69]
	v_add_f64_e64 v[58:59], v[60:61], -v[58:59]
	s_delay_alu instid0(VALU_DEP_2) | instskip(NEXT) | instid1(VALU_DEP_2)
	v_fmac_f64_e32 v[64:65], 0x3c7abc9e3b39803f, v[66:67]
	v_add_f64_e32 v[56:57], v[56:57], v[58:59]
	s_delay_alu instid0(VALU_DEP_2) | instskip(NEXT) | instid1(VALU_DEP_2)
	v_add_f64_e32 v[58:59], v[68:69], v[64:65]
	v_add_f64_e32 v[60:61], v[62:63], v[56:57]
	s_delay_alu instid0(VALU_DEP_2) | instskip(NEXT) | instid1(VALU_DEP_2)
	v_add_f64_e64 v[68:69], v[58:59], -v[68:69]
	v_add_f64_e32 v[66:67], v[58:59], v[60:61]
	v_add_f64_e64 v[62:63], v[60:61], -v[62:63]
	s_delay_alu instid0(VALU_DEP_3) | instskip(NEXT) | instid1(VALU_DEP_3)
	v_add_f64_e64 v[64:65], v[64:65], -v[68:69]
	v_add_f64_e64 v[70:71], v[66:67], -v[58:59]
	s_delay_alu instid0(VALU_DEP_3) | instskip(NEXT) | instid1(VALU_DEP_2)
	v_add_f64_e64 v[56:57], v[56:57], -v[62:63]
	v_add_f64_e64 v[72:73], v[66:67], -v[70:71]
	;; [unrolled: 1-line block ×3, first 2 shown]
	s_delay_alu instid0(VALU_DEP_3) | instskip(NEXT) | instid1(VALU_DEP_3)
	v_add_f64_e32 v[62:63], v[64:65], v[56:57]
	v_add_f64_e64 v[58:59], v[58:59], -v[72:73]
	s_delay_alu instid0(VALU_DEP_1) | instskip(NEXT) | instid1(VALU_DEP_3)
	v_add_f64_e32 v[58:59], v[60:61], v[58:59]
	v_add_f64_e64 v[60:61], v[62:63], -v[64:65]
	s_delay_alu instid0(VALU_DEP_2) | instskip(NEXT) | instid1(VALU_DEP_2)
	v_add_f64_e32 v[58:59], v[62:63], v[58:59]
	v_add_f64_e64 v[62:63], v[62:63], -v[60:61]
	v_add_f64_e64 v[56:57], v[56:57], -v[60:61]
	s_delay_alu instid0(VALU_DEP_3) | instskip(NEXT) | instid1(VALU_DEP_3)
	v_add_f64_e32 v[68:69], v[66:67], v[58:59]
	v_add_f64_e64 v[60:61], v[64:65], -v[62:63]
	s_delay_alu instid0(VALU_DEP_2) | instskip(NEXT) | instid1(VALU_DEP_2)
	v_add_f64_e64 v[62:63], v[68:69], -v[66:67]
	v_add_f64_e32 v[56:57], v[56:57], v[60:61]
	v_add_f64_e64 v[60:61], |v[4:5]|, s[28:29]
	s_delay_alu instid0(VALU_DEP_3) | instskip(NEXT) | instid1(VALU_DEP_1)
	v_add_f64_e64 v[58:59], v[58:59], -v[62:63]
	v_add_f64_e32 v[56:57], v[56:57], v[58:59]
	v_add_f64_e64 v[58:59], -|v[4:5]|, 1.0
	s_delay_alu instid0(VALU_DEP_2) | instskip(NEXT) | instid1(VALU_DEP_2)
	v_add_f64_e32 v[56:57], v[68:69], v[56:57]
	v_dual_cndmask_b32 v46, v58, v60, s3 :: v_dual_cndmask_b32 v50, v59, v61, s3
	s_delay_alu instid0(VALU_DEP_1) | instskip(NEXT) | instid1(VALU_DEP_2)
	v_cndmask_b32_e64 v58, v46, v4, s4
	v_cndmask_b32_e64 v59, v50, v42, s4
	s_delay_alu instid0(VALU_DEP_4) | instskip(NEXT) | instid1(VALU_DEP_1)
	v_xor_b32_e32 v1, 0x80000000, v57
	v_cndmask_b32_e32 v1, 0xfff00000, v1, vcc_lo
	s_and_b32 vcc_lo, s2, vcc_lo
	v_cndmask_b32_e32 v56, 0, v56, vcc_lo
	s_delay_alu instid0(VALU_DEP_2)
	v_cndmask_b32_e64 v57, 0x7ff00000, v1, s2
	v_cndmask_b32_e64 v1, v54, 2, s4
.LBB8_123:                              ;   in Loop: Header=BB8_5 Depth=1
	s_or_b32 exec_lo, exec_lo, s7
	s_delay_alu instid0(SALU_CYCLE_1) | instskip(NEXT) | instid1(VALU_DEP_1)
	s_mov_b32 s2, exec_lo
                                        ; implicit-def: $vgpr60_vgpr61
	v_cmpx_lt_i32_e32 1, v1
	s_xor_b32 s2, exec_lo, s2
	s_cbranch_execz .LBB8_125
; %bb.124:                              ;   in Loop: Header=BB8_5 Depth=1
	v_fmamk_f64 v[60:61], v[58:59], 0x3f8b678bbf2bab09, v[20:21]
	v_fmamk_f64 v[62:63], v[58:59], 0x3f6a5abb57d0cf61, v[22:23]
                                        ; implicit-def: $vgpr1
	s_delay_alu instid0(VALU_DEP_2) | instskip(NEXT) | instid1(VALU_DEP_2)
	v_fmaak_f64 v[60:61], v[58:59], v[60:61], 0x3fef497644ea8450
	v_fmaak_f64 v[62:63], v[58:59], v[62:63], 0x3fe89dfbe45050af
	s_delay_alu instid0(VALU_DEP_2) | instskip(NEXT) | instid1(VALU_DEP_2)
	v_fmaak_f64 v[60:61], v[58:59], v[60:61], 0x3ff7475cd119bd6f
	v_fmaak_f64 v[62:63], v[58:59], v[62:63], 0x40010725a42b18f5
	;; [unrolled: 3-line block ×3, first 2 shown]
	s_delay_alu instid0(VALU_DEP_2) | instskip(NEXT) | instid1(VALU_DEP_2)
	v_fmaak_f64 v[60:61], v[58:59], v[60:61], 0xbfb3c467e37db0c8
	v_fma_f64 v[62:63], v[58:59], v[62:63], 1.0
	s_delay_alu instid0(VALU_DEP_2) | instskip(NEXT) | instid1(VALU_DEP_1)
	v_mul_f64_e32 v[60:61], v[58:59], v[60:61]
	v_div_scale_f64 v[64:65], null, v[62:63], v[62:63], v[60:61]
	s_delay_alu instid0(VALU_DEP_1) | instskip(SKIP_1) | instid1(TRANS32_DEP_1)
	v_rcp_f64_e32 v[66:67], v[64:65]
	v_nop
	v_fma_f64 v[68:69], -v[64:65], v[66:67], 1.0
	s_delay_alu instid0(VALU_DEP_1) | instskip(NEXT) | instid1(VALU_DEP_1)
	v_fmac_f64_e32 v[66:67], v[66:67], v[68:69]
	v_fma_f64 v[68:69], -v[64:65], v[66:67], 1.0
	s_delay_alu instid0(VALU_DEP_1) | instskip(SKIP_1) | instid1(VALU_DEP_1)
	v_fmac_f64_e32 v[66:67], v[66:67], v[68:69]
	v_div_scale_f64 v[68:69], vcc_lo, v[60:61], v[62:63], v[60:61]
	v_mul_f64_e32 v[70:71], v[68:69], v[66:67]
	s_delay_alu instid0(VALU_DEP_1) | instskip(NEXT) | instid1(VALU_DEP_1)
	v_fma_f64 v[64:65], -v[64:65], v[70:71], v[68:69]
	v_div_fmas_f64 v[64:65], v[64:65], v[66:67], v[70:71]
	s_delay_alu instid0(VALU_DEP_1) | instskip(NEXT) | instid1(VALU_DEP_1)
	v_div_fixup_f64 v[60:61], v[64:65], v[62:63], v[60:61]
	v_fmac_f64_e32 v[60:61], -0.5, v[58:59]
                                        ; implicit-def: $vgpr58_vgpr59
.LBB8_125:                              ;   in Loop: Header=BB8_5 Depth=1
	s_and_not1_saveexec_b32 s2, s2
	s_cbranch_execz .LBB8_131
; %bb.126:                              ;   in Loop: Header=BB8_5 Depth=1
	v_mul_f64_e32 v[62:63], v[58:59], v[58:59]
	s_mov_b32 s3, exec_lo
                                        ; implicit-def: $vgpr60_vgpr61
	v_cmpx_ne_u32_e32 1, v1
	s_xor_b32 s3, exec_lo, s3
	s_cbranch_execz .LBB8_128
; %bb.127:                              ;   in Loop: Header=BB8_5 Depth=1
	s_delay_alu instid0(VALU_DEP_2) | instskip(SKIP_1) | instid1(VALU_DEP_2)
	v_fmamk_f64 v[60:61], v[62:63], 0x3f07858e90a45837, v[26:27]
	v_fmamk_f64 v[64:65], v[62:63], 0x3efa7074428cfa52, v[24:25]
	v_fmaak_f64 v[60:61], v[62:63], v[60:61], 0x3f40b6c689b99c00
	s_delay_alu instid0(VALU_DEP_2) | instskip(NEXT) | instid1(VALU_DEP_2)
	v_fmaak_f64 v[64:65], v[62:63], v[64:65], 0x3f538a94116f3f5d
	v_fmaak_f64 v[60:61], v[62:63], v[60:61], 0x3f67add8ccb7926b
	s_delay_alu instid0(VALU_DEP_2) | instskip(NEXT) | instid1(VALU_DEP_2)
	v_fmaak_f64 v[64:65], v[62:63], v[64:65], 0x3f7e404fb68fefe8
	;; [unrolled: 3-line block ×3, first 2 shown]
	v_fmaak_f64 v[60:61], v[62:63], v[60:61], 0x3fd4a34cc4a60fad
	s_delay_alu instid0(VALU_DEP_1) | instskip(NEXT) | instid1(VALU_DEP_3)
	v_mul_f64_e32 v[60:61], v[62:63], v[60:61]
	v_fmaak_f64 v[62:63], v[62:63], v[64:65], 0x3fb3c467e37db0c8
	s_delay_alu instid0(VALU_DEP_1) | instskip(NEXT) | instid1(VALU_DEP_1)
	v_fmac_f64_e32 v[60:61], v[58:59], v[62:63]
                                        ; implicit-def: $vgpr62_vgpr63
	v_fmac_f64_e32 v[60:61], -0.5, v[58:59]
                                        ; implicit-def: $vgpr58_vgpr59
.LBB8_128:                              ;   in Loop: Header=BB8_5 Depth=1
	s_and_not1_saveexec_b32 s3, s3
	s_cbranch_execz .LBB8_130
; %bb.129:                              ;   in Loop: Header=BB8_5 Depth=1
	s_delay_alu instid0(VALU_DEP_2) | instskip(NEXT) | instid1(VALU_DEP_1)
	v_mul_f64_e32 v[60:61], v[58:59], v[62:63]
	v_fmamk_f64 v[64:65], v[60:61], 0xbf347f24ecc38c38, v[30:31]
	v_fmamk_f64 v[66:67], v[60:61], 0x3f35fd3ee8c2d3f4, v[32:33]
	s_delay_alu instid0(VALU_DEP_2) | instskip(NEXT) | instid1(VALU_DEP_2)
	v_fmaak_f64 v[64:65], v[60:61], v[64:65], 0xbf6e2effb3e914d7
	v_fmaak_f64 v[66:67], v[60:61], v[66:67], 0x3f6282d32e15c915
	s_delay_alu instid0(VALU_DEP_2) | instskip(NEXT) | instid1(VALU_DEP_2)
	v_fmaak_f64 v[64:65], v[60:61], v[64:65], 0x3f9266e7970af9ec
	v_fmaak_f64 v[66:67], v[60:61], v[66:67], 0xbf851f9fba91ec6a
	;; [unrolled: 3-line block ×3, first 2 shown]
	s_delay_alu instid0(VALU_DEP_1) | instskip(NEXT) | instid1(VALU_DEP_1)
	v_fmac_f64_e32 v[64:65], v[58:59], v[66:67]
	v_fma_f64 v[58:59], v[60:61], -v[64:65], s[30:31]
	v_fmamk_f64 v[64:65], v[60:61], 0x3f34af6d6c0ebbf7, v[28:29]
	s_delay_alu instid0(VALU_DEP_1) | instskip(NEXT) | instid1(VALU_DEP_1)
	v_fmaak_f64 v[64:65], v[60:61], v[64:65], 0x3f78fce0e370e344
	v_fmaak_f64 v[64:65], v[60:61], v[64:65], 0xbfa0c9a8df35b713
	s_delay_alu instid0(VALU_DEP_1) | instskip(NEXT) | instid1(VALU_DEP_1)
	v_fmaak_f64 v[60:61], v[60:61], v[64:65], 0x3fdef72bc8ee38a2
	v_fma_f64 v[58:59], v[62:63], v[60:61], -v[58:59]
	s_delay_alu instid0(VALU_DEP_1)
	v_add_f64_e32 v[60:61], 0xbfbf19b9bcc38a42, v[58:59]
.LBB8_130:                              ;   in Loop: Header=BB8_5 Depth=1
	s_or_b32 exec_lo, exec_lo, s3
.LBB8_131:                              ;   in Loop: Header=BB8_5 Depth=1
	s_delay_alu instid0(SALU_CYCLE_1) | instskip(NEXT) | instid1(VALU_DEP_1)
	s_or_b32 exec_lo, exec_lo, s2
	v_add_f64_e32 v[56:57], v[56:57], v[60:61]
.LBB8_132:                              ;   in Loop: Header=BB8_5 Depth=1
	s_or_b32 exec_lo, exec_lo, s6
.LBB8_133:                              ;   in Loop: Header=BB8_5 Depth=1
	s_and_not1_saveexec_b32 s3, s5
	s_cbranch_execz .LBB8_135
; %bb.134:                              ;   in Loop: Header=BB8_5 Depth=1
	v_frexp_mant_f64_e64 v[56:57], |v[4:5]|
	v_cmp_neq_f64_e64 s2, 0, v[4:5]
	s_delay_alu instid0(VALU_DEP_2) | instskip(SKIP_1) | instid1(VALU_DEP_1)
	v_cmp_gt_f64_e32 vcc_lo, s[22:23], v[56:57]
	v_cndmask_b32_e64 v1, 0, 1, vcc_lo
	v_ldexp_f64 v[56:57], v[56:57], v1
	v_frexp_exp_i32_f64_e32 v1, v[4:5]
	s_delay_alu instid0(VALU_DEP_2) | instskip(SKIP_1) | instid1(VALU_DEP_3)
	v_add_f64_e32 v[58:59], 1.0, v[56:57]
	v_add_f64_e32 v[64:65], -1.0, v[56:57]
	v_subrev_co_ci_u32_e64 v1, null, 0, v1, vcc_lo
	v_cmp_neq_f64_e64 vcc_lo, 0x7ff00000, |v[4:5]|
	s_delay_alu instid0(VALU_DEP_4) | instskip(SKIP_1) | instid1(VALU_DEP_1)
	v_rcp_f64_e32 v[60:61], v[58:59]
	v_add_f64_e32 v[66:67], -1.0, v[58:59]
	v_add_f64_e64 v[56:57], v[56:57], -v[66:67]
	s_delay_alu instid0(TRANS32_DEP_1) | instskip(NEXT) | instid1(VALU_DEP_1)
	v_fma_f64 v[62:63], -v[58:59], v[60:61], 1.0
	v_fmac_f64_e32 v[60:61], v[62:63], v[60:61]
	s_delay_alu instid0(VALU_DEP_1) | instskip(NEXT) | instid1(VALU_DEP_1)
	v_fma_f64 v[62:63], -v[58:59], v[60:61], 1.0
	v_fmac_f64_e32 v[60:61], v[62:63], v[60:61]
	s_delay_alu instid0(VALU_DEP_1) | instskip(NEXT) | instid1(VALU_DEP_1)
	v_mul_f64_e32 v[62:63], v[64:65], v[60:61]
	v_mul_f64_e32 v[68:69], v[58:59], v[62:63]
	s_delay_alu instid0(VALU_DEP_1) | instskip(NEXT) | instid1(VALU_DEP_1)
	v_fma_f64 v[58:59], v[62:63], v[58:59], -v[68:69]
	v_fmac_f64_e32 v[58:59], v[62:63], v[56:57]
	s_delay_alu instid0(VALU_DEP_1) | instskip(NEXT) | instid1(VALU_DEP_1)
	v_add_f64_e32 v[56:57], v[68:69], v[58:59]
	v_add_f64_e64 v[66:67], v[64:65], -v[56:57]
	v_add_f64_e64 v[68:69], v[56:57], -v[68:69]
	s_delay_alu instid0(VALU_DEP_2) | instskip(NEXT) | instid1(VALU_DEP_2)
	v_add_f64_e64 v[64:65], v[64:65], -v[66:67]
	v_add_f64_e64 v[58:59], v[68:69], -v[58:59]
	s_delay_alu instid0(VALU_DEP_2) | instskip(NEXT) | instid1(VALU_DEP_1)
	v_add_f64_e64 v[56:57], v[64:65], -v[56:57]
	v_add_f64_e32 v[56:57], v[58:59], v[56:57]
	s_delay_alu instid0(VALU_DEP_1) | instskip(NEXT) | instid1(VALU_DEP_1)
	v_add_f64_e32 v[56:57], v[66:67], v[56:57]
	v_mul_f64_e32 v[56:57], v[60:61], v[56:57]
	s_delay_alu instid0(VALU_DEP_1) | instskip(NEXT) | instid1(VALU_DEP_1)
	v_add_f64_e32 v[58:59], v[62:63], v[56:57]
	v_mul_f64_e32 v[60:61], v[58:59], v[58:59]
	s_delay_alu instid0(VALU_DEP_1) | instskip(SKIP_1) | instid1(VALU_DEP_2)
	v_fmamk_f64 v[64:65], v[60:61], 0x3fc3ab76bf559e2b, v[12:13]
	v_mul_f64_e32 v[66:67], v[58:59], v[60:61]
	v_fmaak_f64 v[64:65], v[60:61], v[64:65], 0x3fc7474dd7f4df2e
	s_delay_alu instid0(VALU_DEP_1) | instskip(NEXT) | instid1(VALU_DEP_1)
	v_fmaak_f64 v[64:65], v[60:61], v[64:65], 0x3fcc71c016291751
	v_fmaak_f64 v[64:65], v[60:61], v[64:65], 0x3fd249249b27acf1
	s_delay_alu instid0(VALU_DEP_1) | instskip(NEXT) | instid1(VALU_DEP_1)
	v_fmaak_f64 v[64:65], v[60:61], v[64:65], 0x3fd99999998ef7b6
	v_fmaak_f64 v[60:61], v[60:61], v[64:65], 0x3fe5555555555780
	v_ldexp_f64 v[64:65], v[58:59], 1
	v_add_f64_e64 v[58:59], v[58:59], -v[62:63]
	s_delay_alu instid0(VALU_DEP_3) | instskip(SKIP_1) | instid1(VALU_DEP_3)
	v_mul_f64_e32 v[60:61], v[66:67], v[60:61]
	v_cvt_f64_i32_e32 v[66:67], v1
	v_add_f64_e64 v[56:57], v[56:57], -v[58:59]
	s_delay_alu instid0(VALU_DEP_3) | instskip(NEXT) | instid1(VALU_DEP_3)
	v_add_f64_e32 v[62:63], v[64:65], v[60:61]
	v_mul_f64_e32 v[68:69], 0x3fe62e42fefa39ef, v[66:67]
	s_delay_alu instid0(VALU_DEP_3) | instskip(NEXT) | instid1(VALU_DEP_3)
	v_ldexp_f64 v[56:57], v[56:57], 1
	v_add_f64_e64 v[58:59], v[62:63], -v[64:65]
	s_delay_alu instid0(VALU_DEP_3) | instskip(NEXT) | instid1(VALU_DEP_2)
	v_fma_f64 v[64:65], v[66:67], s[24:25], -v[68:69]
	v_add_f64_e64 v[58:59], v[60:61], -v[58:59]
	s_delay_alu instid0(VALU_DEP_2) | instskip(NEXT) | instid1(VALU_DEP_2)
	v_fmac_f64_e32 v[64:65], 0x3c7abc9e3b39803f, v[66:67]
	v_add_f64_e32 v[56:57], v[56:57], v[58:59]
	s_delay_alu instid0(VALU_DEP_2) | instskip(NEXT) | instid1(VALU_DEP_2)
	v_add_f64_e32 v[58:59], v[68:69], v[64:65]
	v_add_f64_e32 v[60:61], v[62:63], v[56:57]
	s_delay_alu instid0(VALU_DEP_2) | instskip(NEXT) | instid1(VALU_DEP_2)
	v_add_f64_e64 v[68:69], v[58:59], -v[68:69]
	v_add_f64_e32 v[66:67], v[58:59], v[60:61]
	v_add_f64_e64 v[62:63], v[60:61], -v[62:63]
	s_delay_alu instid0(VALU_DEP_3) | instskip(NEXT) | instid1(VALU_DEP_3)
	v_add_f64_e64 v[64:65], v[64:65], -v[68:69]
	v_add_f64_e64 v[70:71], v[66:67], -v[58:59]
	s_delay_alu instid0(VALU_DEP_3) | instskip(NEXT) | instid1(VALU_DEP_2)
	v_add_f64_e64 v[56:57], v[56:57], -v[62:63]
	v_add_f64_e64 v[72:73], v[66:67], -v[70:71]
	;; [unrolled: 1-line block ×3, first 2 shown]
	s_delay_alu instid0(VALU_DEP_3) | instskip(NEXT) | instid1(VALU_DEP_3)
	v_add_f64_e32 v[62:63], v[64:65], v[56:57]
	v_add_f64_e64 v[58:59], v[58:59], -v[72:73]
	s_delay_alu instid0(VALU_DEP_1) | instskip(NEXT) | instid1(VALU_DEP_3)
	v_add_f64_e32 v[58:59], v[60:61], v[58:59]
	v_add_f64_e64 v[60:61], v[62:63], -v[64:65]
	s_delay_alu instid0(VALU_DEP_2) | instskip(NEXT) | instid1(VALU_DEP_2)
	v_add_f64_e32 v[58:59], v[62:63], v[58:59]
	v_add_f64_e64 v[62:63], v[62:63], -v[60:61]
	v_add_f64_e64 v[56:57], v[56:57], -v[60:61]
	s_delay_alu instid0(VALU_DEP_3) | instskip(NEXT) | instid1(VALU_DEP_3)
	v_add_f64_e32 v[68:69], v[66:67], v[58:59]
	v_add_f64_e64 v[60:61], v[64:65], -v[62:63]
	s_delay_alu instid0(VALU_DEP_2) | instskip(NEXT) | instid1(VALU_DEP_2)
	v_add_f64_e64 v[62:63], v[68:69], -v[66:67]
	v_add_f64_e32 v[56:57], v[56:57], v[60:61]
	v_fma_f64 v[60:61], |v[4:5]|, s[36:37], s[34:35]
	s_delay_alu instid0(VALU_DEP_3) | instskip(NEXT) | instid1(VALU_DEP_1)
	v_add_f64_e64 v[58:59], v[58:59], -v[62:63]
	v_add_f64_e32 v[56:57], v[56:57], v[58:59]
	s_delay_alu instid0(VALU_DEP_3) | instskip(NEXT) | instid1(VALU_DEP_2)
	v_fma_f64 v[58:59], |v[4:5]|, v[60:61], s[38:39]
	v_add_f64_e32 v[56:57], v[68:69], v[56:57]
	s_delay_alu instid0(VALU_DEP_2) | instskip(NEXT) | instid1(VALU_DEP_2)
	v_fma_f64 v[58:59], |v[4:5]|, v[58:59], s[40:41]
	v_xor_b32_e32 v1, 0x80000000, v57
	s_delay_alu instid0(VALU_DEP_2) | instskip(NEXT) | instid1(VALU_DEP_2)
	v_fma_f64 v[58:59], |v[4:5]|, v[58:59], s[42:43]
	v_cndmask_b32_e32 v1, 0xfff00000, v1, vcc_lo
	s_and_b32 vcc_lo, s2, vcc_lo
	v_cndmask_b32_e32 v56, 0, v56, vcc_lo
	s_delay_alu instid0(VALU_DEP_2) | instskip(NEXT) | instid1(VALU_DEP_1)
	v_cndmask_b32_e64 v57, 0x7ff00000, v1, s2
	v_fma_f64 v[56:57], |v[4:5]|, v[58:59], v[56:57]
.LBB8_135:                              ;   in Loop: Header=BB8_5 Depth=1
	s_or_b32 exec_lo, exec_lo, s3
	s_delay_alu instid0(SALU_CYCLE_1)
	s_mov_b32 s2, exec_lo
	v_cmpx_le_f64_e32 0, v[4:5]
	s_xor_b32 s3, exec_lo, s2
	s_cbranch_execz .LBB8_137
; %bb.136:                              ;   in Loop: Header=BB8_5 Depth=1
	v_cmp_eq_f64_e32 vcc_lo, 1.0, v[4:5]
	v_cmp_eq_f64_e64 s2, 2.0, v[4:5]
	s_or_b32 s2, vcc_lo, s2
	s_delay_alu instid0(SALU_CYCLE_1)
	v_cndmask_b32_e64 v57, v57, 0, s2
	v_cndmask_b32_e64 v56, v56, 0, s2
.LBB8_137:                              ;   in Loop: Header=BB8_5 Depth=1
	s_and_not1_saveexec_b32 s3, s3
	s_cbranch_execz .LBB8_4
; %bb.138:                              ;   in Loop: Header=BB8_5 Depth=1
	v_add_nc_u32_e32 v1, 0xc32fffff, v55
	s_mov_b32 s4, exec_lo
	s_delay_alu instid0(VALU_DEP_1)
	v_cmpx_gt_u32_e32 0x65fffff, v1
	s_cbranch_execz .LBB8_3
; %bb.139:                              ;   in Loop: Header=BB8_5 Depth=1
	v_mul_f64_e64 v[58:59], |v[4:5]|, 0.5
	v_cmp_class_f64_e64 s2, v[4:5], 0x1f8
	v_and_b32_e32 v1, 0x7fffffff, v5
	s_delay_alu instid0(VALU_DEP_3) | instskip(SKIP_1) | instid1(VALU_DEP_2)
	v_fract_f64_e32 v[60:61], v[58:59]
	v_cmp_neq_f64_e64 vcc_lo, 0x7ff00000, |v[58:59]|
	v_add_f64_e32 v[60:61], v[60:61], v[60:61]
	s_delay_alu instid0(VALU_DEP_1) | instskip(SKIP_1) | instid1(VALU_DEP_2)
	v_dual_cndmask_b32 v42, 0, v60, vcc_lo :: v_dual_cndmask_b32 v46, 0, v61, vcc_lo
	v_cmp_gt_f64_e64 vcc_lo, |v[4:5]|, 1.0
	v_cndmask_b32_e32 v59, v1, v46, vcc_lo
	s_delay_alu instid0(VALU_DEP_3) | instskip(NEXT) | instid1(VALU_DEP_1)
	v_cndmask_b32_e32 v58, v4, v42, vcc_lo
	v_add_f64_e32 v[60:61], v[58:59], v[58:59]
	s_delay_alu instid0(VALU_DEP_1) | instskip(NEXT) | instid1(VALU_DEP_1)
	v_rndne_f64_e32 v[60:61], v[60:61]
	v_cvt_i32_f64_e32 v1, v[60:61]
	s_delay_alu instid0(VALU_DEP_1) | instskip(SKIP_2) | instid1(VALU_DEP_3)
	v_and_b32_e32 v42, 1, v1
	v_fmac_f64_e32 v[58:59], -0.5, v[60:61]
	v_lshlrev_b32_e32 v1, 30, v1
	v_cmp_eq_u32_e32 vcc_lo, 0, v42
	s_delay_alu instid0(VALU_DEP_2) | instskip(NEXT) | instid1(VALU_DEP_1)
	v_dual_mul_f64 v[62:63], v[58:59], v[58:59] :: v_dual_bitop2_b32 v1, v1, v5 bitop3:0x14
	v_fmamk_f64 v[64:65], v[62:63], 0x3f3e357ef99eb0bb, v[34:35]
	v_mul_f64_e32 v[66:67], v[58:59], v[62:63]
	v_fmamk_f64 v[68:69], v[62:63], 0xbf1b167302e21c33, v[36:37]
	s_delay_alu instid0(VALU_DEP_3) | instskip(NEXT) | instid1(VALU_DEP_2)
	v_fmaak_f64 v[64:65], v[62:63], v[64:65], 0x3fb50782d5f14825
	v_fmaak_f64 v[68:69], v[62:63], v[68:69], 0xbf9a6d1e7294bff9
	s_delay_alu instid0(VALU_DEP_2) | instskip(NEXT) | instid1(VALU_DEP_1)
	v_fmaak_f64 v[64:65], v[62:63], v[64:65], 0xbfe32d2ccdfe9424
	v_fmaak_f64 v[64:65], v[62:63], v[64:65], 0x400466bc67754fff
	s_delay_alu instid0(VALU_DEP_1) | instskip(NEXT) | instid1(VALU_DEP_1)
	v_fmaak_f64 v[64:65], v[62:63], v[64:65], 0xc014abbce625be09
	v_mul_f64_e32 v[64:65], v[66:67], v[64:65]
	v_fmaak_f64 v[66:67], v[62:63], v[68:69], 0x3fce1f5067b90b37
	s_delay_alu instid0(VALU_DEP_1) | instskip(NEXT) | instid1(VALU_DEP_1)
	v_fmaak_f64 v[66:67], v[62:63], v[66:67], 0xbff55d3c7e3c325b
	v_fmaak_f64 v[66:67], v[62:63], v[66:67], 0x40103c1f081b5a67
	s_delay_alu instid0(VALU_DEP_1) | instskip(NEXT) | instid1(VALU_DEP_1)
	v_fmaak_f64 v[66:67], v[62:63], v[66:67], 0xc013bd3cc9be45de
	v_fma_f64 v[60:61], v[62:63], v[66:67], 1.0
	v_fmac_f64_e32 v[64:65], 0x400921fb54442d18, v[58:59]
	s_delay_alu instid0(VALU_DEP_1) | instskip(NEXT) | instid1(VALU_DEP_1)
	v_dual_cndmask_b32 v46, v61, v65, vcc_lo :: v_dual_cndmask_b32 v42, v60, v64, vcc_lo
	v_bitop3_b32 v1, v46, v1, 0x80000000 bitop3:0x78
	s_delay_alu instid0(VALU_DEP_2) | instskip(NEXT) | instid1(VALU_DEP_2)
	v_cndmask_b32_e64 v58, 0, v42, s2
	v_cndmask_b32_e64 v59, 0x7ff80000, v1, s2
	v_cmp_class_f64_e64 s2, v[4:5], 0x204
	s_delay_alu instid0(VALU_DEP_2) | instskip(NEXT) | instid1(VALU_DEP_1)
	v_mul_f64_e32 v[58:59], v[4:5], v[58:59]
	v_and_b32_e32 v61, 0x7fffffff, v59
	s_delay_alu instid0(VALU_DEP_2) | instskip(NEXT) | instid1(VALU_DEP_1)
	v_mov_b32_e32 v60, v58
	v_div_scale_f64 v[62:63], null, v[60:61], v[60:61], s[44:45]
	v_div_scale_f64 v[60:61], vcc_lo, s[44:45], v[60:61], s[44:45]
	s_delay_alu instid0(VALU_DEP_2) | instskip(SKIP_1) | instid1(TRANS32_DEP_1)
	v_rcp_f64_e32 v[64:65], v[62:63]
	v_nop
	v_fma_f64 v[66:67], -v[62:63], v[64:65], 1.0
	s_delay_alu instid0(VALU_DEP_1) | instskip(NEXT) | instid1(VALU_DEP_1)
	v_fmac_f64_e32 v[64:65], v[64:65], v[66:67]
	v_fma_f64 v[66:67], -v[62:63], v[64:65], 1.0
	s_delay_alu instid0(VALU_DEP_1) | instskip(NEXT) | instid1(VALU_DEP_1)
	v_fmac_f64_e32 v[64:65], v[64:65], v[66:67]
	v_mul_f64_e32 v[66:67], v[60:61], v[64:65]
	s_delay_alu instid0(VALU_DEP_1) | instskip(NEXT) | instid1(VALU_DEP_1)
	v_fma_f64 v[60:61], -v[62:63], v[66:67], v[60:61]
	v_div_fmas_f64 v[60:61], v[60:61], v[64:65], v[66:67]
	s_delay_alu instid0(VALU_DEP_1) | instskip(NEXT) | instid1(VALU_DEP_1)
	v_div_fixup_f64 v[58:59], v[60:61], |v[58:59]|, s[44:45]
	v_frexp_mant_f64_e32 v[60:61], v[58:59]
	s_delay_alu instid0(VALU_DEP_1) | instskip(SKIP_1) | instid1(VALU_DEP_1)
	v_cmp_gt_f64_e32 vcc_lo, s[22:23], v[60:61]
	v_cndmask_b32_e64 v1, 0, 1, vcc_lo
	v_ldexp_f64 v[60:61], v[60:61], v1
	v_frexp_exp_i32_f64_e32 v1, v[58:59]
	s_delay_alu instid0(VALU_DEP_1) | instskip(SKIP_1) | instid1(VALU_DEP_4)
	v_subrev_co_ci_u32_e64 v1, null, 0, v1, vcc_lo
	v_cmp_class_f64_e64 vcc_lo, v[58:59], 0x204
	v_add_f64_e32 v[62:63], 1.0, v[60:61]
	v_add_f64_e32 v[68:69], -1.0, v[60:61]
	s_delay_alu instid0(VALU_DEP_2) | instskip(SKIP_1) | instid1(VALU_DEP_1)
	v_rcp_f64_e32 v[64:65], v[62:63]
	v_add_f64_e32 v[70:71], -1.0, v[62:63]
	v_add_f64_e64 v[60:61], v[60:61], -v[70:71]
	s_delay_alu instid0(TRANS32_DEP_1) | instskip(NEXT) | instid1(VALU_DEP_1)
	v_fma_f64 v[66:67], -v[62:63], v[64:65], 1.0
	v_fmac_f64_e32 v[64:65], v[66:67], v[64:65]
	s_delay_alu instid0(VALU_DEP_1) | instskip(NEXT) | instid1(VALU_DEP_1)
	v_fma_f64 v[66:67], -v[62:63], v[64:65], 1.0
	v_fmac_f64_e32 v[64:65], v[66:67], v[64:65]
	s_delay_alu instid0(VALU_DEP_1) | instskip(NEXT) | instid1(VALU_DEP_1)
	v_mul_f64_e32 v[66:67], v[68:69], v[64:65]
	v_mul_f64_e32 v[72:73], v[62:63], v[66:67]
	s_delay_alu instid0(VALU_DEP_1) | instskip(NEXT) | instid1(VALU_DEP_1)
	v_fma_f64 v[62:63], v[66:67], v[62:63], -v[72:73]
	v_fmac_f64_e32 v[62:63], v[66:67], v[60:61]
	s_delay_alu instid0(VALU_DEP_1) | instskip(NEXT) | instid1(VALU_DEP_1)
	v_add_f64_e32 v[60:61], v[72:73], v[62:63]
	v_add_f64_e64 v[70:71], v[68:69], -v[60:61]
	v_add_f64_e64 v[72:73], v[60:61], -v[72:73]
	s_delay_alu instid0(VALU_DEP_2) | instskip(NEXT) | instid1(VALU_DEP_2)
	v_add_f64_e64 v[68:69], v[68:69], -v[70:71]
	v_add_f64_e64 v[62:63], v[72:73], -v[62:63]
	s_delay_alu instid0(VALU_DEP_2) | instskip(NEXT) | instid1(VALU_DEP_1)
	v_add_f64_e64 v[60:61], v[68:69], -v[60:61]
	v_add_f64_e32 v[60:61], v[62:63], v[60:61]
	s_delay_alu instid0(VALU_DEP_1) | instskip(NEXT) | instid1(VALU_DEP_1)
	v_add_f64_e32 v[60:61], v[70:71], v[60:61]
	v_mul_f64_e32 v[60:61], v[64:65], v[60:61]
	s_delay_alu instid0(VALU_DEP_1) | instskip(NEXT) | instid1(VALU_DEP_1)
	v_add_f64_e32 v[62:63], v[66:67], v[60:61]
	v_mul_f64_e32 v[64:65], v[62:63], v[62:63]
	s_delay_alu instid0(VALU_DEP_1) | instskip(SKIP_1) | instid1(VALU_DEP_2)
	v_fmamk_f64 v[68:69], v[64:65], 0x3fc3ab76bf559e2b, v[12:13]
	v_mul_f64_e32 v[70:71], v[62:63], v[64:65]
	v_fmaak_f64 v[68:69], v[64:65], v[68:69], 0x3fc7474dd7f4df2e
	s_delay_alu instid0(VALU_DEP_1) | instskip(NEXT) | instid1(VALU_DEP_1)
	v_fmaak_f64 v[68:69], v[64:65], v[68:69], 0x3fcc71c016291751
	v_fmaak_f64 v[68:69], v[64:65], v[68:69], 0x3fd249249b27acf1
	s_delay_alu instid0(VALU_DEP_1) | instskip(NEXT) | instid1(VALU_DEP_1)
	v_fmaak_f64 v[68:69], v[64:65], v[68:69], 0x3fd99999998ef7b6
	v_fmaak_f64 v[64:65], v[64:65], v[68:69], 0x3fe5555555555780
	v_ldexp_f64 v[68:69], v[62:63], 1
	v_add_f64_e64 v[62:63], v[62:63], -v[66:67]
	s_delay_alu instid0(VALU_DEP_3) | instskip(SKIP_1) | instid1(VALU_DEP_3)
	v_mul_f64_e32 v[64:65], v[70:71], v[64:65]
	v_cvt_f64_i32_e32 v[70:71], v1
	v_add_f64_e64 v[60:61], v[60:61], -v[62:63]
	s_delay_alu instid0(VALU_DEP_3) | instskip(NEXT) | instid1(VALU_DEP_3)
	v_add_f64_e32 v[66:67], v[68:69], v[64:65]
	v_mul_f64_e32 v[72:73], 0x3fe62e42fefa39ef, v[70:71]
	s_delay_alu instid0(VALU_DEP_3) | instskip(NEXT) | instid1(VALU_DEP_3)
	v_ldexp_f64 v[60:61], v[60:61], 1
	v_add_f64_e64 v[62:63], v[66:67], -v[68:69]
	s_delay_alu instid0(VALU_DEP_3) | instskip(NEXT) | instid1(VALU_DEP_2)
	v_fma_f64 v[68:69], v[70:71], s[24:25], -v[72:73]
	v_add_f64_e64 v[62:63], v[64:65], -v[62:63]
	s_delay_alu instid0(VALU_DEP_2) | instskip(NEXT) | instid1(VALU_DEP_2)
	v_fmac_f64_e32 v[68:69], 0x3c7abc9e3b39803f, v[70:71]
	v_add_f64_e32 v[60:61], v[60:61], v[62:63]
	s_delay_alu instid0(VALU_DEP_2) | instskip(NEXT) | instid1(VALU_DEP_2)
	v_add_f64_e32 v[62:63], v[72:73], v[68:69]
	v_add_f64_e32 v[64:65], v[66:67], v[60:61]
	s_delay_alu instid0(VALU_DEP_2) | instskip(NEXT) | instid1(VALU_DEP_2)
	v_add_f64_e64 v[72:73], v[62:63], -v[72:73]
	v_add_f64_e32 v[70:71], v[62:63], v[64:65]
	v_add_f64_e64 v[66:67], v[64:65], -v[66:67]
	s_delay_alu instid0(VALU_DEP_3) | instskip(NEXT) | instid1(VALU_DEP_3)
	v_add_f64_e64 v[68:69], v[68:69], -v[72:73]
	v_add_f64_e64 v[74:75], v[70:71], -v[62:63]
	s_delay_alu instid0(VALU_DEP_3) | instskip(NEXT) | instid1(VALU_DEP_2)
	v_add_f64_e64 v[60:61], v[60:61], -v[66:67]
	v_add_f64_e64 v[76:77], v[70:71], -v[74:75]
	;; [unrolled: 1-line block ×3, first 2 shown]
	s_delay_alu instid0(VALU_DEP_3) | instskip(NEXT) | instid1(VALU_DEP_3)
	v_add_f64_e32 v[66:67], v[68:69], v[60:61]
	v_add_f64_e64 v[62:63], v[62:63], -v[76:77]
	s_delay_alu instid0(VALU_DEP_1) | instskip(NEXT) | instid1(VALU_DEP_3)
	v_add_f64_e32 v[62:63], v[64:65], v[62:63]
	v_add_f64_e64 v[64:65], v[66:67], -v[68:69]
	s_delay_alu instid0(VALU_DEP_2) | instskip(NEXT) | instid1(VALU_DEP_2)
	v_add_f64_e32 v[62:63], v[66:67], v[62:63]
	v_add_f64_e64 v[66:67], v[66:67], -v[64:65]
	v_add_f64_e64 v[60:61], v[60:61], -v[64:65]
	s_delay_alu instid0(VALU_DEP_3) | instskip(NEXT) | instid1(VALU_DEP_3)
	v_add_f64_e32 v[72:73], v[70:71], v[62:63]
	v_add_f64_e64 v[64:65], v[68:69], -v[66:67]
	s_delay_alu instid0(VALU_DEP_2) | instskip(NEXT) | instid1(VALU_DEP_2)
	v_add_f64_e64 v[66:67], v[72:73], -v[70:71]
	v_add_f64_e32 v[60:61], v[60:61], v[64:65]
	s_delay_alu instid0(VALU_DEP_2) | instskip(NEXT) | instid1(VALU_DEP_1)
	v_add_f64_e64 v[62:63], v[62:63], -v[66:67]
	v_add_f64_e32 v[60:61], v[60:61], v[62:63]
	s_delay_alu instid0(VALU_DEP_1) | instskip(NEXT) | instid1(VALU_DEP_1)
	v_add_f64_e32 v[60:61], v[72:73], v[60:61]
	v_dual_cndmask_b32 v1, v60, v58 :: v_dual_cndmask_b32 v42, v61, v59
	v_cmp_neq_f64_e32 vcc_lo, 0, v[58:59]
	v_fract_f64_e32 v[58:59], v[4:5]
	s_delay_alu instid0(VALU_DEP_3) | instskip(NEXT) | instid1(VALU_DEP_4)
	v_cndmask_b32_e32 v61, 0xfff00000, v42, vcc_lo
	v_cndmask_b32_e32 v60, 0, v1, vcc_lo
	s_delay_alu instid0(VALU_DEP_3) | instskip(NEXT) | instid1(VALU_DEP_2)
	v_cmp_eq_f64_e32 vcc_lo, 0, v[58:59]
	v_add_f64_e64 v[56:57], v[60:61], -v[56:57]
	s_or_b32 s2, s2, vcc_lo
	s_delay_alu instid0(VALU_DEP_1) | instid1(SALU_CYCLE_1)
	v_cndmask_b32_e64 v57, v57, 0x7ff00000, s2
	s_delay_alu instid0(VALU_DEP_2)
	v_cndmask_b32_e64 v56, v56, 0, s2
	s_branch .LBB8_3
.LBB8_140:
	s_or_b32 exec_lo, exec_lo, s33
	s_mov_b32 s2, 0
.LBB8_141:
	s_delay_alu instid0(SALU_CYCLE_1)
	s_and_not1_b32 vcc_lo, exec_lo, s2
	s_cbranch_vccnz .LBB8_297
; %bb.142:
	v_cmp_lt_i64_e64 s2, s[16:17], 1
	s_and_b32 vcc_lo, exec_lo, s2
	s_cbranch_vccnz .LBB8_297
; %bb.143:
	s_load_b32 s0, s[0:1], 0xc5c
	v_min_i64 v[2:3], 0x10000, s[16:17]
	v_min_u64 v[4:5], 0x10000, s[16:17]
	v_dual_mov_b32 v1, 0 :: v_dual_lshlrev_b32 v14, 3, v0
	s_mov_b32 s37, 0
	v_mov_b64_e32 v[6:7], 0x3fc385386b47b09a
	s_mov_b32 s5, s37
	s_delay_alu instid0(VALU_DEP_2)
	v_dual_mov_b32 v15, v1 :: v_dual_mov_b32 v31, v1
	s_wait_xcnt 0x0
	s_mov_b32 s1, s37
	s_mov_b32 s3, s37
	v_mov_b64_e32 v[8:9], 0x3f4b67ba4cdad5d1
	v_add_nc_u64_e32 v[10:11], s[12:13], v[14:15]
	v_mov_b64_e32 v[32:33], 0x3f5e26b67368f239
	v_mov_b64_e32 v[34:35], 0x3f497ddaca41a95b
	;; [unrolled: 1-line block ×6, first 2 shown]
	s_wait_kmcnt 0x0
	s_and_b32 s36, s0, 0xffff
	v_mov_b64_e32 v[44:45], 0xbf56fe8ebf2d1af1
	v_add_nc_u64_e32 v[12:13], s[36:37], v[0:1]
	v_mad_nc_u64_u32 v[26:27], s36, 24, v[14:15]
	s_lshl_b32 s4, s36, 4
	s_mul_i32 s2, s36, 3
	v_add_nc_u64_e32 v[22:23], s[4:5], v[14:15]
	s_lshl_b32 s0, s36, 1
	v_add_nc_u64_e32 v[14:15], s[14:15], v[14:15]
	v_lshlrev_b32_e32 v30, 3, v12
	v_add_nc_u64_e32 v[16:17], s[2:3], v[0:1]
	v_add_nc_u64_e32 v[18:19], s[0:1], v[0:1]
	v_mov_b64_e32 v[46:47], 0x3f4cdf0cef61a8e9
	v_add_nc_u64_e32 v[20:21], s[12:13], v[22:23]
	v_add_nc_u64_e32 v[22:23], s[14:15], v[22:23]
	;; [unrolled: 1-line block ×6, first 2 shown]
	v_mov_b64_e32 v[48:49], 0xbf41a6109c73e0ec
	v_mov_b64_e32 v[50:51], 0xbf7e2fe76fdffd2b
	;; [unrolled: 1-line block ×3, first 2 shown]
	s_mov_b64 s[8:9], 0x3fe5555555555555
	s_mov_b64 s[16:17], 0x3fe62e42fefa39ef
	;; [unrolled: 1-line block ×11, first 2 shown]
	s_lshl_b32 s34, s36, 2
	s_mov_b32 s35, s37
	s_lshl_b32 s36, s36, 5
	s_mov_b64 s[38:39], 0
                                        ; implicit-def: $vgpr54_vgpr55
                                        ; implicit-def: $vgpr54_vgpr55
	;; [unrolled: 1-line block ×51, first 2 shown]
	s_branch .LBB8_145
.LBB8_144:                              ;   in Loop: Header=BB8_145 Depth=1
	s_wait_xcnt 0x0
	s_or_b32 exec_lo, exec_lo, s1
	s_add_nc_u64 s[38:39], s[38:39], s[34:35]
	v_add_nc_u64_e32 v[10:11], s[36:37], v[10:11]
	v_cmp_ge_i64_e32 vcc_lo, s[38:39], v[2:3]
	v_add_nc_u64_e32 v[14:15], s[36:37], v[14:15]
	v_add_nc_u64_e32 v[24:25], s[36:37], v[24:25]
	;; [unrolled: 1-line block ×7, first 2 shown]
	s_cbranch_vccnz .LBB8_297
.LBB8_145:                              ; =>This Inner Loop Header: Depth=1
	v_add_nc_u64_e32 v[54:55], s[38:39], v[0:1]
	v_mov_b64_e32 v[56:57], 0
	v_mov_b64_e32 v[60:61], 0
	s_delay_alu instid0(VALU_DEP_3)
	v_cmp_lt_u64_e64 s3, v[54:55], v[4:5]
	s_and_saveexec_b32 s0, s3
	s_cbranch_execz .LBB8_147
; %bb.146:                              ;   in Loop: Header=BB8_145 Depth=1
	v_add_nc_u64_e32 v[54:55], s[10:11], v[10:11]
	global_load_b64 v[60:61], v[54:55], off
.LBB8_147:                              ;   in Loop: Header=BB8_145 Depth=1
	s_wait_xcnt 0x0
	s_or_b32 exec_lo, exec_lo, s0
	v_add_nc_u64_e32 v[54:55], s[38:39], v[12:13]
	s_delay_alu instid0(VALU_DEP_1)
	v_cmp_lt_u64_e64 s2, v[54:55], v[4:5]
	s_and_saveexec_b32 s0, s2
	s_cbranch_execz .LBB8_149
; %bb.148:                              ;   in Loop: Header=BB8_145 Depth=1
	v_add_nc_u64_e32 v[54:55], s[10:11], v[28:29]
	global_load_b64 v[56:57], v[54:55], off
.LBB8_149:                              ;   in Loop: Header=BB8_145 Depth=1
	s_wait_xcnt 0x0
	s_or_b32 exec_lo, exec_lo, s0
	v_add_nc_u64_e32 v[58:59], s[38:39], v[18:19]
	v_mov_b64_e32 v[54:55], 0
	s_delay_alu instid0(VALU_DEP_2)
	v_cmp_lt_u64_e64 s1, v[58:59], v[4:5]
	v_mov_b64_e32 v[58:59], 0
	s_and_saveexec_b32 s0, s1
	s_cbranch_execz .LBB8_151
; %bb.150:                              ;   in Loop: Header=BB8_145 Depth=1
	v_add_nc_u64_e32 v[58:59], s[10:11], v[20:21]
	global_load_b64 v[58:59], v[58:59], off
.LBB8_151:                              ;   in Loop: Header=BB8_145 Depth=1
	s_wait_xcnt 0x0
	s_or_b32 exec_lo, exec_lo, s0
	v_add_nc_u64_e32 v[62:63], s[38:39], v[16:17]
	s_delay_alu instid0(VALU_DEP_1)
	v_cmp_lt_u64_e64 s0, v[62:63], v[4:5]
	s_and_saveexec_b32 s4, s0
	s_cbranch_execz .LBB8_153
; %bb.152:                              ;   in Loop: Header=BB8_145 Depth=1
	v_add_nc_u64_e32 v[54:55], s[10:11], v[24:25]
	global_load_b64 v[54:55], v[54:55], off
.LBB8_153:                              ;   in Loop: Header=BB8_145 Depth=1
	s_wait_xcnt 0x0
	s_or_b32 exec_lo, exec_lo, s4
	s_wait_loadcnt 0x0
	v_and_b32_e32 v63, 0x7fffffff, v61
	v_mov_b32_e32 v62, v60
                                        ; implicit-def: $vgpr64_vgpr65
	s_mov_b32 s4, exec_lo
	s_delay_alu instid0(VALU_DEP_2)
	v_cmpx_lt_u32_e32 0x3f6fffff, v63
	s_xor_b32 s7, exec_lo, s4
	s_cbranch_execz .LBB8_179
; %bb.154:                              ;   in Loop: Header=BB8_145 Depth=1
                                        ; implicit-def: $vgpr64_vgpr65
	s_mov_b32 s4, exec_lo
	v_cmpx_lt_u32_e32 0x3fffffff, v63
	s_xor_b32 s5, exec_lo, s4
	s_cbranch_execz .LBB8_164
; %bb.155:                              ;   in Loop: Header=BB8_145 Depth=1
                                        ; implicit-def: $vgpr64_vgpr65
	s_mov_b32 s4, exec_lo
	;; [unrolled: 6-line block ×3, first 2 shown]
	v_cmpx_lt_u32_e32 0x438fffff, v63
	s_xor_b32 s33, exec_lo, s4
	s_cbranch_execz .LBB8_158
; %bb.157:                              ;   in Loop: Header=BB8_145 Depth=1
	v_frexp_mant_f64_e64 v[64:65], |v[60:61]|
	v_cmp_neq_f64_e64 s4, 0, v[60:61]
	s_delay_alu instid0(VALU_DEP_2) | instskip(SKIP_1) | instid1(VALU_DEP_1)
	v_cmp_gt_f64_e32 vcc_lo, s[8:9], v[64:65]
	v_cndmask_b32_e64 v62, 0, 1, vcc_lo
	v_ldexp_f64 v[64:65], v[64:65], v62
	v_frexp_exp_i32_f64_e32 v62, v[60:61]
	s_delay_alu instid0(VALU_DEP_2) | instskip(SKIP_1) | instid1(VALU_DEP_3)
	v_add_f64_e32 v[66:67], 1.0, v[64:65]
	v_add_f64_e32 v[72:73], -1.0, v[64:65]
	v_subrev_co_ci_u32_e64 v62, null, 0, v62, vcc_lo
	v_cmp_neq_f64_e64 vcc_lo, 0x7ff00000, |v[60:61]|
	s_delay_alu instid0(VALU_DEP_4) | instskip(SKIP_1) | instid1(VALU_DEP_1)
	v_rcp_f64_e32 v[68:69], v[66:67]
	v_add_f64_e32 v[74:75], -1.0, v[66:67]
	v_add_f64_e64 v[64:65], v[64:65], -v[74:75]
	s_delay_alu instid0(TRANS32_DEP_1) | instskip(NEXT) | instid1(VALU_DEP_1)
	v_fma_f64 v[70:71], -v[66:67], v[68:69], 1.0
	v_fmac_f64_e32 v[68:69], v[70:71], v[68:69]
	s_delay_alu instid0(VALU_DEP_1) | instskip(NEXT) | instid1(VALU_DEP_1)
	v_fma_f64 v[70:71], -v[66:67], v[68:69], 1.0
	v_fmac_f64_e32 v[68:69], v[70:71], v[68:69]
	s_delay_alu instid0(VALU_DEP_1) | instskip(NEXT) | instid1(VALU_DEP_1)
	v_mul_f64_e32 v[70:71], v[72:73], v[68:69]
	v_mul_f64_e32 v[76:77], v[66:67], v[70:71]
	s_delay_alu instid0(VALU_DEP_1) | instskip(NEXT) | instid1(VALU_DEP_1)
	v_fma_f64 v[66:67], v[70:71], v[66:67], -v[76:77]
	v_fmac_f64_e32 v[66:67], v[70:71], v[64:65]
	s_delay_alu instid0(VALU_DEP_1) | instskip(NEXT) | instid1(VALU_DEP_1)
	v_add_f64_e32 v[64:65], v[76:77], v[66:67]
	v_add_f64_e64 v[74:75], v[72:73], -v[64:65]
	v_add_f64_e64 v[76:77], v[64:65], -v[76:77]
	s_delay_alu instid0(VALU_DEP_2) | instskip(NEXT) | instid1(VALU_DEP_2)
	v_add_f64_e64 v[72:73], v[72:73], -v[74:75]
	v_add_f64_e64 v[66:67], v[76:77], -v[66:67]
	s_delay_alu instid0(VALU_DEP_2) | instskip(NEXT) | instid1(VALU_DEP_1)
	v_add_f64_e64 v[64:65], v[72:73], -v[64:65]
	v_add_f64_e32 v[64:65], v[66:67], v[64:65]
	s_delay_alu instid0(VALU_DEP_1) | instskip(NEXT) | instid1(VALU_DEP_1)
	v_add_f64_e32 v[64:65], v[74:75], v[64:65]
	v_mul_f64_e32 v[64:65], v[68:69], v[64:65]
	s_delay_alu instid0(VALU_DEP_1) | instskip(NEXT) | instid1(VALU_DEP_1)
	v_add_f64_e32 v[66:67], v[70:71], v[64:65]
	v_mul_f64_e32 v[68:69], v[66:67], v[66:67]
	s_delay_alu instid0(VALU_DEP_1) | instskip(SKIP_1) | instid1(VALU_DEP_2)
	v_fmamk_f64 v[72:73], v[68:69], 0x3fc3ab76bf559e2b, v[6:7]
	v_mul_f64_e32 v[74:75], v[66:67], v[68:69]
	v_fmaak_f64 v[72:73], v[68:69], v[72:73], 0x3fc7474dd7f4df2e
	s_delay_alu instid0(VALU_DEP_1) | instskip(NEXT) | instid1(VALU_DEP_1)
	v_fmaak_f64 v[72:73], v[68:69], v[72:73], 0x3fcc71c016291751
	v_fmaak_f64 v[72:73], v[68:69], v[72:73], 0x3fd249249b27acf1
	s_delay_alu instid0(VALU_DEP_1) | instskip(NEXT) | instid1(VALU_DEP_1)
	v_fmaak_f64 v[72:73], v[68:69], v[72:73], 0x3fd99999998ef7b6
	v_fmaak_f64 v[68:69], v[68:69], v[72:73], 0x3fe5555555555780
	v_ldexp_f64 v[72:73], v[66:67], 1
	v_add_f64_e64 v[66:67], v[66:67], -v[70:71]
	s_delay_alu instid0(VALU_DEP_3) | instskip(SKIP_1) | instid1(VALU_DEP_3)
	v_mul_f64_e32 v[68:69], v[74:75], v[68:69]
	v_cvt_f64_i32_e32 v[74:75], v62
	v_add_f64_e64 v[64:65], v[64:65], -v[66:67]
	s_delay_alu instid0(VALU_DEP_3) | instskip(NEXT) | instid1(VALU_DEP_3)
	v_add_f64_e32 v[70:71], v[72:73], v[68:69]
	v_mul_f64_e32 v[76:77], 0x3fe62e42fefa39ef, v[74:75]
	s_delay_alu instid0(VALU_DEP_3) | instskip(NEXT) | instid1(VALU_DEP_3)
	v_ldexp_f64 v[64:65], v[64:65], 1
	v_add_f64_e64 v[66:67], v[70:71], -v[72:73]
	s_delay_alu instid0(VALU_DEP_3) | instskip(NEXT) | instid1(VALU_DEP_2)
	v_fma_f64 v[72:73], v[74:75], s[16:17], -v[76:77]
	v_add_f64_e64 v[66:67], v[68:69], -v[66:67]
	s_delay_alu instid0(VALU_DEP_2) | instskip(NEXT) | instid1(VALU_DEP_2)
	v_fmac_f64_e32 v[72:73], 0x3c7abc9e3b39803f, v[74:75]
	v_add_f64_e32 v[64:65], v[64:65], v[66:67]
	s_delay_alu instid0(VALU_DEP_2) | instskip(NEXT) | instid1(VALU_DEP_2)
	v_add_f64_e32 v[66:67], v[76:77], v[72:73]
	v_add_f64_e32 v[68:69], v[70:71], v[64:65]
	s_delay_alu instid0(VALU_DEP_2) | instskip(NEXT) | instid1(VALU_DEP_2)
	v_add_f64_e64 v[76:77], v[66:67], -v[76:77]
	v_add_f64_e32 v[74:75], v[66:67], v[68:69]
	v_add_f64_e64 v[70:71], v[68:69], -v[70:71]
	s_delay_alu instid0(VALU_DEP_3) | instskip(NEXT) | instid1(VALU_DEP_3)
	v_add_f64_e64 v[72:73], v[72:73], -v[76:77]
	v_add_f64_e64 v[78:79], v[74:75], -v[66:67]
	s_delay_alu instid0(VALU_DEP_3) | instskip(NEXT) | instid1(VALU_DEP_2)
	v_add_f64_e64 v[64:65], v[64:65], -v[70:71]
	v_add_f64_e64 v[80:81], v[74:75], -v[78:79]
	;; [unrolled: 1-line block ×3, first 2 shown]
	s_delay_alu instid0(VALU_DEP_3) | instskip(NEXT) | instid1(VALU_DEP_3)
	v_add_f64_e32 v[70:71], v[72:73], v[64:65]
	v_add_f64_e64 v[66:67], v[66:67], -v[80:81]
	s_delay_alu instid0(VALU_DEP_1) | instskip(NEXT) | instid1(VALU_DEP_3)
	v_add_f64_e32 v[66:67], v[68:69], v[66:67]
	v_add_f64_e64 v[68:69], v[70:71], -v[72:73]
	s_delay_alu instid0(VALU_DEP_2) | instskip(NEXT) | instid1(VALU_DEP_2)
	v_add_f64_e32 v[66:67], v[70:71], v[66:67]
	v_add_f64_e64 v[70:71], v[70:71], -v[68:69]
	v_add_f64_e64 v[64:65], v[64:65], -v[68:69]
	s_delay_alu instid0(VALU_DEP_3) | instskip(NEXT) | instid1(VALU_DEP_3)
	v_add_f64_e32 v[76:77], v[74:75], v[66:67]
	v_add_f64_e64 v[68:69], v[72:73], -v[70:71]
	s_delay_alu instid0(VALU_DEP_2) | instskip(NEXT) | instid1(VALU_DEP_2)
	v_add_f64_e64 v[70:71], v[76:77], -v[74:75]
	v_add_f64_e32 v[64:65], v[64:65], v[68:69]
	s_delay_alu instid0(VALU_DEP_2) | instskip(NEXT) | instid1(VALU_DEP_1)
	v_add_f64_e64 v[66:67], v[66:67], -v[70:71]
	v_add_f64_e32 v[64:65], v[64:65], v[66:67]
	s_delay_alu instid0(VALU_DEP_1) | instskip(NEXT) | instid1(VALU_DEP_1)
	v_add_f64_e32 v[64:65], v[76:77], v[64:65]
	v_cndmask_b32_e32 v62, 0x7ff00000, v65, vcc_lo
	s_and_b32 vcc_lo, s4, vcc_lo
	s_delay_alu instid0(VALU_DEP_2) | instskip(NEXT) | instid1(VALU_DEP_2)
	v_cndmask_b32_e32 v64, 0, v64, vcc_lo
	v_cndmask_b32_e64 v65, 0xfff00000, v62, s4
	s_delay_alu instid0(VALU_DEP_1)
	v_fma_f64 v[64:65], |v[60:61]|, v[64:65], -|v[60:61]|
.LBB8_158:                              ;   in Loop: Header=BB8_145 Depth=1
	s_and_not1_saveexec_b32 s33, s33
	s_cbranch_execz .LBB8_160
; %bb.159:                              ;   in Loop: Header=BB8_145 Depth=1
	v_frexp_mant_f64_e64 v[64:65], |v[60:61]|
	v_cmp_neq_f64_e64 s4, 0, v[60:61]
	s_delay_alu instid0(VALU_DEP_2) | instskip(SKIP_1) | instid1(VALU_DEP_1)
	v_cmp_gt_f64_e32 vcc_lo, s[8:9], v[64:65]
	v_cndmask_b32_e64 v62, 0, 1, vcc_lo
	v_ldexp_f64 v[64:65], v[64:65], v62
	v_frexp_exp_i32_f64_e32 v62, v[60:61]
	s_delay_alu instid0(VALU_DEP_2) | instskip(SKIP_1) | instid1(VALU_DEP_3)
	v_add_f64_e32 v[66:67], 1.0, v[64:65]
	v_add_f64_e32 v[72:73], -1.0, v[64:65]
	v_subrev_co_ci_u32_e64 v62, null, 0, v62, vcc_lo
	s_delay_alu instid0(VALU_DEP_3) | instskip(SKIP_1) | instid1(VALU_DEP_1)
	v_rcp_f64_e32 v[68:69], v[66:67]
	v_add_f64_e32 v[74:75], -1.0, v[66:67]
	v_add_f64_e64 v[64:65], v[64:65], -v[74:75]
	s_delay_alu instid0(TRANS32_DEP_1) | instskip(NEXT) | instid1(VALU_DEP_1)
	v_fma_f64 v[70:71], -v[66:67], v[68:69], 1.0
	v_fmac_f64_e32 v[68:69], v[70:71], v[68:69]
	s_delay_alu instid0(VALU_DEP_1) | instskip(NEXT) | instid1(VALU_DEP_1)
	v_fma_f64 v[70:71], -v[66:67], v[68:69], 1.0
	v_fmac_f64_e32 v[68:69], v[70:71], v[68:69]
	s_delay_alu instid0(VALU_DEP_1) | instskip(NEXT) | instid1(VALU_DEP_1)
	v_mul_f64_e32 v[70:71], v[72:73], v[68:69]
	v_mul_f64_e32 v[76:77], v[66:67], v[70:71]
	s_delay_alu instid0(VALU_DEP_1) | instskip(NEXT) | instid1(VALU_DEP_1)
	v_fma_f64 v[66:67], v[70:71], v[66:67], -v[76:77]
	v_fmac_f64_e32 v[66:67], v[70:71], v[64:65]
	s_delay_alu instid0(VALU_DEP_1) | instskip(NEXT) | instid1(VALU_DEP_1)
	v_add_f64_e32 v[64:65], v[76:77], v[66:67]
	v_add_f64_e64 v[74:75], v[72:73], -v[64:65]
	v_add_f64_e64 v[76:77], v[64:65], -v[76:77]
	s_delay_alu instid0(VALU_DEP_2) | instskip(NEXT) | instid1(VALU_DEP_2)
	v_add_f64_e64 v[72:73], v[72:73], -v[74:75]
	v_add_f64_e64 v[66:67], v[76:77], -v[66:67]
	s_delay_alu instid0(VALU_DEP_2) | instskip(NEXT) | instid1(VALU_DEP_1)
	v_add_f64_e64 v[64:65], v[72:73], -v[64:65]
	v_add_f64_e32 v[64:65], v[66:67], v[64:65]
	s_delay_alu instid0(VALU_DEP_1) | instskip(NEXT) | instid1(VALU_DEP_1)
	v_add_f64_e32 v[64:65], v[74:75], v[64:65]
	v_mul_f64_e32 v[64:65], v[68:69], v[64:65]
	s_delay_alu instid0(VALU_DEP_1) | instskip(NEXT) | instid1(VALU_DEP_1)
	v_add_f64_e32 v[66:67], v[70:71], v[64:65]
	v_mul_f64_e32 v[68:69], v[66:67], v[66:67]
	s_delay_alu instid0(VALU_DEP_1) | instskip(SKIP_1) | instid1(VALU_DEP_2)
	v_fmamk_f64 v[72:73], v[68:69], 0x3fc3ab76bf559e2b, v[6:7]
	v_mul_f64_e32 v[74:75], v[66:67], v[68:69]
	v_fmaak_f64 v[72:73], v[68:69], v[72:73], 0x3fc7474dd7f4df2e
	s_delay_alu instid0(VALU_DEP_1) | instskip(NEXT) | instid1(VALU_DEP_1)
	v_fmaak_f64 v[72:73], v[68:69], v[72:73], 0x3fcc71c016291751
	v_fmaak_f64 v[72:73], v[68:69], v[72:73], 0x3fd249249b27acf1
	s_delay_alu instid0(VALU_DEP_1) | instskip(NEXT) | instid1(VALU_DEP_1)
	v_fmaak_f64 v[72:73], v[68:69], v[72:73], 0x3fd99999998ef7b6
	v_fmaak_f64 v[68:69], v[68:69], v[72:73], 0x3fe5555555555780
	v_ldexp_f64 v[72:73], v[66:67], 1
	v_add_f64_e64 v[66:67], v[66:67], -v[70:71]
	s_delay_alu instid0(VALU_DEP_3) | instskip(SKIP_2) | instid1(VALU_DEP_1)
	v_mul_f64_e32 v[68:69], v[74:75], v[68:69]
	v_cvt_f64_i32_e32 v[74:75], v62
	v_mov_b32_e32 v62, v60
	v_div_scale_f64 v[78:79], null, v[62:63], v[62:63], 1.0
	v_add_f64_e64 v[64:65], v[64:65], -v[66:67]
	v_add_f64_e32 v[70:71], v[72:73], v[68:69]
	v_mul_f64_e32 v[76:77], 0x3fe62e42fefa39ef, v[74:75]
	s_delay_alu instid0(VALU_DEP_4) | instskip(NEXT) | instid1(VALU_DEP_3)
	v_rcp_f64_e32 v[82:83], v[78:79]
	v_ldexp_f64 v[64:65], v[64:65], 1
	s_delay_alu instid0(VALU_DEP_3) | instskip(NEXT) | instid1(VALU_DEP_3)
	v_add_f64_e64 v[66:67], v[70:71], -v[72:73]
	v_fma_f64 v[72:73], v[74:75], s[16:17], -v[76:77]
	s_delay_alu instid0(TRANS32_DEP_1) | instskip(NEXT) | instid1(VALU_DEP_3)
	v_fma_f64 v[86:87], -v[78:79], v[82:83], 1.0
	v_add_f64_e64 v[66:67], v[68:69], -v[66:67]
	s_delay_alu instid0(VALU_DEP_3) | instskip(NEXT) | instid1(VALU_DEP_3)
	v_fmac_f64_e32 v[72:73], 0x3c7abc9e3b39803f, v[74:75]
	v_fmac_f64_e32 v[82:83], v[82:83], v[86:87]
	s_delay_alu instid0(VALU_DEP_3) | instskip(NEXT) | instid1(VALU_DEP_3)
	v_add_f64_e32 v[64:65], v[64:65], v[66:67]
	v_add_f64_e32 v[66:67], v[76:77], v[72:73]
	s_delay_alu instid0(VALU_DEP_2) | instskip(NEXT) | instid1(VALU_DEP_2)
	v_add_f64_e32 v[68:69], v[70:71], v[64:65]
	v_add_f64_e64 v[76:77], v[66:67], -v[76:77]
	s_delay_alu instid0(VALU_DEP_2) | instskip(SKIP_1) | instid1(VALU_DEP_3)
	v_add_f64_e32 v[74:75], v[66:67], v[68:69]
	v_add_f64_e64 v[70:71], v[68:69], -v[70:71]
	v_add_f64_e64 v[72:73], v[72:73], -v[76:77]
	s_delay_alu instid0(VALU_DEP_3) | instskip(NEXT) | instid1(VALU_DEP_3)
	v_add_f64_e64 v[80:81], v[74:75], -v[66:67]
	v_add_f64_e64 v[64:65], v[64:65], -v[70:71]
	s_delay_alu instid0(VALU_DEP_2) | instskip(SKIP_1) | instid1(VALU_DEP_3)
	v_add_f64_e64 v[84:85], v[74:75], -v[80:81]
	v_add_f64_e64 v[68:69], v[68:69], -v[80:81]
	v_add_f64_e32 v[70:71], v[72:73], v[64:65]
	v_div_scale_f64 v[80:81], vcc_lo, 1.0, v[62:63], 1.0
	s_delay_alu instid0(VALU_DEP_4) | instskip(NEXT) | instid1(VALU_DEP_3)
	v_add_f64_e64 v[66:67], v[66:67], -v[84:85]
	v_add_f64_e64 v[76:77], v[70:71], -v[72:73]
	s_delay_alu instid0(VALU_DEP_2) | instskip(SKIP_1) | instid1(VALU_DEP_3)
	v_add_f64_e32 v[66:67], v[68:69], v[66:67]
	v_fma_f64 v[68:69], -v[78:79], v[82:83], 1.0
	v_add_f64_e64 v[64:65], v[64:65], -v[76:77]
	s_delay_alu instid0(VALU_DEP_3) | instskip(NEXT) | instid1(VALU_DEP_3)
	v_add_f64_e32 v[66:67], v[70:71], v[66:67]
	v_fmac_f64_e32 v[82:83], v[82:83], v[68:69]
	v_add_f64_e64 v[68:69], v[70:71], -v[76:77]
	s_delay_alu instid0(VALU_DEP_3) | instskip(NEXT) | instid1(VALU_DEP_3)
	v_add_f64_e32 v[70:71], v[74:75], v[66:67]
	v_mul_f64_e32 v[84:85], v[80:81], v[82:83]
	s_delay_alu instid0(VALU_DEP_3) | instskip(NEXT) | instid1(VALU_DEP_3)
	v_add_f64_e64 v[68:69], v[72:73], -v[68:69]
	v_add_f64_e64 v[72:73], v[70:71], -v[74:75]
	s_delay_alu instid0(VALU_DEP_3) | instskip(NEXT) | instid1(VALU_DEP_3)
	v_fma_f64 v[74:75], -v[78:79], v[84:85], v[80:81]
	v_add_f64_e32 v[64:65], v[64:65], v[68:69]
	s_delay_alu instid0(VALU_DEP_3) | instskip(NEXT) | instid1(VALU_DEP_3)
	v_add_f64_e64 v[66:67], v[66:67], -v[72:73]
	v_div_fmas_f64 v[68:69], v[74:75], v[82:83], v[84:85]
	v_cmp_neq_f64_e64 vcc_lo, 0x7ff00000, |v[60:61]|
	v_add_f64_e64 v[72:73], |v[60:61]|, -0.5
	s_delay_alu instid0(VALU_DEP_4) | instskip(NEXT) | instid1(VALU_DEP_4)
	v_add_f64_e32 v[64:65], v[64:65], v[66:67]
	v_div_fixup_f64 v[66:67], v[68:69], |v[60:61]|, 1.0
	s_delay_alu instid0(VALU_DEP_2) | instskip(NEXT) | instid1(VALU_DEP_2)
	v_add_f64_e32 v[64:65], v[70:71], v[64:65]
	v_mul_f64_e32 v[68:69], v[66:67], v[66:67]
	s_delay_alu instid0(VALU_DEP_2) | instskip(NEXT) | instid1(VALU_DEP_2)
	v_add_f64_e32 v[70:71], -1.0, v[64:65]
	v_fmamk_f64 v[64:65], v[68:69], 0xbf5ab89d0b9e43e4, v[8:9]
	s_delay_alu instid0(VALU_DEP_1) | instskip(NEXT) | instid1(VALU_DEP_1)
	v_fmaak_f64 v[64:65], v[68:69], v[64:65], 0xbf4380cb8c0fe741
	v_fmaak_f64 v[64:65], v[68:69], v[64:65], 0x3f4a019f98cf38b6
	s_delay_alu instid0(VALU_DEP_1) | instskip(NEXT) | instid1(VALU_DEP_1)
	v_fmaak_f64 v[64:65], v[68:69], v[64:65], 0xbf66c16c16b02e5c
	v_fmaak_f64 v[64:65], v[68:69], v[64:65], 0x3fb555555555553b
	v_cndmask_b32_e32 v62, 0x7ff00000, v71, vcc_lo
	s_and_b32 vcc_lo, s4, vcc_lo
	s_delay_alu instid0(VALU_DEP_2) | instskip(NEXT) | instid1(VALU_DEP_2)
	v_fmaak_f64 v[64:65], v[66:67], v[64:65], 0x3fdacfe390c97d69
	v_cndmask_b32_e64 v67, 0xfff00000, v62, s4
	v_cndmask_b32_e32 v66, 0, v70, vcc_lo
	s_delay_alu instid0(VALU_DEP_1)
	v_fmac_f64_e32 v[64:65], v[72:73], v[66:67]
.LBB8_160:                              ;   in Loop: Header=BB8_145 Depth=1
	s_or_b32 exec_lo, exec_lo, s33
.LBB8_161:                              ;   in Loop: Header=BB8_145 Depth=1
	s_and_not1_saveexec_b32 s6, s6
	s_cbranch_execz .LBB8_163
; %bb.162:                              ;   in Loop: Header=BB8_145 Depth=1
	v_cvt_i32_f64_e32 v62, v[62:63]
	s_delay_alu instid0(VALU_DEP_1) | instskip(SKIP_2) | instid1(VALU_DEP_3)
	v_cvt_f64_i32_e32 v[64:65], v62
	v_cmp_lt_i32_e32 vcc_lo, 2, v62
	v_cmp_lt_i32_e64 s4, 3, v62
	v_add_f64_e64 v[64:65], |v[60:61]|, -v[64:65]
	s_delay_alu instid0(VALU_DEP_1) | instskip(SKIP_2) | instid1(VALU_DEP_2)
	v_add_f64_e32 v[70:71], 4.0, v[64:65]
	v_add_f64_e32 v[66:67], 2.0, v[64:65]
	v_add_f64_e32 v[68:69], 0x40080000, v[64:65]
	v_cndmask_b32_e32 v67, 0x3ff00000, v67, vcc_lo
	s_delay_alu instid0(VALU_DEP_3) | instskip(SKIP_1) | instid1(VALU_DEP_4)
	v_cndmask_b32_e32 v66, 0, v66, vcc_lo
	v_cmp_lt_i32_e32 vcc_lo, 4, v62
	v_cndmask_b32_e64 v69, 0x3ff00000, v69, s4
	v_cndmask_b32_e32 v71, 0x3ff00000, v71, vcc_lo
	v_dual_cndmask_b32 v70, 0, v70, vcc_lo :: v_dual_cndmask_b32 v68, 0, v68, s4
	v_cmp_lt_i32_e32 vcc_lo, 5, v62
	s_delay_alu instid0(VALU_DEP_2) | instskip(SKIP_1) | instid1(VALU_DEP_2)
	v_mul_f64_e32 v[66:67], v[66:67], v[68:69]
	v_add_f64_e32 v[68:69], 0x40140000, v[64:65]
	v_mul_f64_e32 v[66:67], v[70:71], v[66:67]
	v_add_f64_e32 v[70:71], 0x40180000, v[64:65]
	s_delay_alu instid0(VALU_DEP_3) | instskip(NEXT) | instid1(VALU_DEP_4)
	v_cndmask_b32_e32 v69, 0x3ff00000, v69, vcc_lo
	v_cndmask_b32_e32 v68, 0, v68, vcc_lo
	v_cmp_lt_i32_e32 vcc_lo, 6, v62
	s_delay_alu instid0(VALU_DEP_2) | instskip(SKIP_2) | instid1(VALU_DEP_1)
	v_mul_f64_e32 v[66:67], v[68:69], v[66:67]
	v_cndmask_b32_e32 v69, 0x3ff00000, v71, vcc_lo
	v_cndmask_b32_e32 v68, 0, v70, vcc_lo
	v_mul_f64_e32 v[66:67], v[68:69], v[66:67]
	s_delay_alu instid0(VALU_DEP_1) | instskip(NEXT) | instid1(VALU_DEP_1)
	v_frexp_mant_f64_e32 v[68:69], v[66:67]
	v_cmp_gt_f64_e32 vcc_lo, s[8:9], v[68:69]
	v_cndmask_b32_e64 v62, 0, 1, vcc_lo
	s_delay_alu instid0(VALU_DEP_1) | instskip(SKIP_1) | instid1(VALU_DEP_2)
	v_ldexp_f64 v[68:69], v[68:69], v62
	v_frexp_exp_i32_f64_e32 v62, v[66:67]
	v_add_f64_e32 v[70:71], 1.0, v[68:69]
	v_add_f64_e32 v[76:77], -1.0, v[68:69]
	s_delay_alu instid0(VALU_DEP_3) | instskip(NEXT) | instid1(VALU_DEP_3)
	v_subrev_co_ci_u32_e64 v62, null, 0, v62, vcc_lo
	v_rcp_f64_e32 v[72:73], v[70:71]
	v_add_f64_e32 v[78:79], -1.0, v[70:71]
	s_delay_alu instid0(VALU_DEP_1) | instskip(NEXT) | instid1(TRANS32_DEP_1)
	v_add_f64_e64 v[68:69], v[68:69], -v[78:79]
	v_fma_f64 v[74:75], -v[70:71], v[72:73], 1.0
	s_delay_alu instid0(VALU_DEP_1) | instskip(NEXT) | instid1(VALU_DEP_1)
	v_fmac_f64_e32 v[72:73], v[74:75], v[72:73]
	v_fma_f64 v[74:75], -v[70:71], v[72:73], 1.0
	s_delay_alu instid0(VALU_DEP_1) | instskip(NEXT) | instid1(VALU_DEP_1)
	v_fmac_f64_e32 v[72:73], v[74:75], v[72:73]
	v_mul_f64_e32 v[74:75], v[76:77], v[72:73]
	s_delay_alu instid0(VALU_DEP_1) | instskip(NEXT) | instid1(VALU_DEP_1)
	v_mul_f64_e32 v[80:81], v[70:71], v[74:75]
	v_fma_f64 v[70:71], v[74:75], v[70:71], -v[80:81]
	s_delay_alu instid0(VALU_DEP_1) | instskip(NEXT) | instid1(VALU_DEP_1)
	v_fmac_f64_e32 v[70:71], v[74:75], v[68:69]
	v_add_f64_e32 v[68:69], v[80:81], v[70:71]
	s_delay_alu instid0(VALU_DEP_1) | instskip(SKIP_1) | instid1(VALU_DEP_2)
	v_add_f64_e64 v[78:79], v[76:77], -v[68:69]
	v_add_f64_e64 v[80:81], v[68:69], -v[80:81]
	;; [unrolled: 1-line block ×3, first 2 shown]
	s_delay_alu instid0(VALU_DEP_2) | instskip(NEXT) | instid1(VALU_DEP_2)
	v_add_f64_e64 v[70:71], v[80:81], -v[70:71]
	v_add_f64_e64 v[68:69], v[76:77], -v[68:69]
	s_delay_alu instid0(VALU_DEP_1) | instskip(NEXT) | instid1(VALU_DEP_1)
	v_add_f64_e32 v[68:69], v[70:71], v[68:69]
	v_add_f64_e32 v[68:69], v[78:79], v[68:69]
	s_delay_alu instid0(VALU_DEP_1) | instskip(NEXT) | instid1(VALU_DEP_1)
	v_mul_f64_e32 v[68:69], v[72:73], v[68:69]
	v_add_f64_e32 v[70:71], v[74:75], v[68:69]
	s_delay_alu instid0(VALU_DEP_1) | instskip(NEXT) | instid1(VALU_DEP_1)
	v_mul_f64_e32 v[72:73], v[70:71], v[70:71]
	v_fmamk_f64 v[76:77], v[72:73], 0x3fc3ab76bf559e2b, v[6:7]
	v_mul_f64_e32 v[78:79], v[70:71], v[72:73]
	s_delay_alu instid0(VALU_DEP_2) | instskip(NEXT) | instid1(VALU_DEP_1)
	v_fmaak_f64 v[76:77], v[72:73], v[76:77], 0x3fc7474dd7f4df2e
	v_fmaak_f64 v[76:77], v[72:73], v[76:77], 0x3fcc71c016291751
	s_delay_alu instid0(VALU_DEP_1) | instskip(NEXT) | instid1(VALU_DEP_1)
	v_fmaak_f64 v[76:77], v[72:73], v[76:77], 0x3fd249249b27acf1
	v_fmaak_f64 v[76:77], v[72:73], v[76:77], 0x3fd99999998ef7b6
	s_delay_alu instid0(VALU_DEP_1) | instskip(SKIP_2) | instid1(VALU_DEP_3)
	v_fmaak_f64 v[72:73], v[72:73], v[76:77], 0x3fe5555555555780
	v_ldexp_f64 v[76:77], v[70:71], 1
	v_add_f64_e64 v[70:71], v[70:71], -v[74:75]
	v_mul_f64_e32 v[72:73], v[78:79], v[72:73]
	v_cvt_f64_i32_e32 v[78:79], v62
	s_delay_alu instid0(VALU_DEP_3) | instskip(NEXT) | instid1(VALU_DEP_3)
	v_add_f64_e64 v[68:69], v[68:69], -v[70:71]
	v_add_f64_e32 v[74:75], v[76:77], v[72:73]
	s_delay_alu instid0(VALU_DEP_3) | instskip(NEXT) | instid1(VALU_DEP_3)
	v_mul_f64_e32 v[80:81], 0x3fe62e42fefa39ef, v[78:79]
	v_ldexp_f64 v[68:69], v[68:69], 1
	s_delay_alu instid0(VALU_DEP_3) | instskip(NEXT) | instid1(VALU_DEP_3)
	v_add_f64_e64 v[70:71], v[74:75], -v[76:77]
	v_fma_f64 v[76:77], v[78:79], s[16:17], -v[80:81]
	s_delay_alu instid0(VALU_DEP_2) | instskip(NEXT) | instid1(VALU_DEP_2)
	v_add_f64_e64 v[70:71], v[72:73], -v[70:71]
	v_fmac_f64_e32 v[76:77], 0x3c7abc9e3b39803f, v[78:79]
	v_fmamk_f64 v[72:73], v[64:65], 0x3f00bfecdd17e945, v[32:33]
	s_delay_alu instid0(VALU_DEP_1) | instskip(NEXT) | instid1(VALU_DEP_1)
	v_fmaak_f64 v[72:73], v[64:65], v[72:73], 0x3f9b481c7e939961
	v_fmaak_f64 v[72:73], v[64:65], v[72:73], 0x3fc2bb9cbee5f2f7
	s_delay_alu instid0(VALU_DEP_1) | instskip(NEXT) | instid1(VALU_DEP_1)
	v_fmaak_f64 v[72:73], v[64:65], v[72:73], 0x3fd4d98f4f139f59
	v_fmaak_f64 v[72:73], v[64:65], v[72:73], 0x3fcb848b36e20878
	v_add_f64_e32 v[68:69], v[68:69], v[70:71]
	v_fmamk_f64 v[70:71], v[64:65], 0x3edebaf7a5b38140, v[34:35]
	v_add_f64_e32 v[78:79], v[80:81], v[76:77]
	s_delay_alu instid0(VALU_DEP_4) | instskip(NEXT) | instid1(VALU_DEP_3)
	v_fmaak_f64 v[72:73], v[64:65], v[72:73], 0xbfb3c467e37db0c8
	v_fmaak_f64 v[70:71], v[64:65], v[70:71], 0x3f9317ea742ed475
	s_delay_alu instid0(VALU_DEP_2) | instskip(NEXT) | instid1(VALU_DEP_2)
	v_mul_f64_e32 v[72:73], v[64:65], v[72:73]
	v_fmaak_f64 v[70:71], v[64:65], v[70:71], 0x3fc601edccfbdf27
	s_delay_alu instid0(VALU_DEP_1) | instskip(NEXT) | instid1(VALU_DEP_1)
	v_fmaak_f64 v[70:71], v[64:65], v[70:71], 0x3fe71a1893d3dcdc
	v_fmaak_f64 v[70:71], v[64:65], v[70:71], 0x3ff645a762c4ab74
	v_add_f64_e32 v[82:83], v[74:75], v[68:69]
	v_add_f64_e64 v[80:81], v[78:79], -v[80:81]
	s_delay_alu instid0(VALU_DEP_3) | instskip(NEXT) | instid1(VALU_DEP_3)
	v_fma_f64 v[70:71], v[64:65], v[70:71], 1.0
	v_add_f64_e32 v[84:85], v[78:79], v[82:83]
	v_add_f64_e64 v[74:75], v[82:83], -v[74:75]
	s_delay_alu instid0(VALU_DEP_4) | instskip(NEXT) | instid1(VALU_DEP_4)
	v_add_f64_e64 v[76:77], v[76:77], -v[80:81]
	v_div_scale_f64 v[86:87], null, v[70:71], v[70:71], v[72:73]
	s_delay_alu instid0(VALU_DEP_4) | instskip(NEXT) | instid1(VALU_DEP_4)
	v_add_f64_e64 v[88:89], v[84:85], -v[78:79]
	v_add_f64_e64 v[68:69], v[68:69], -v[74:75]
	s_delay_alu instid0(VALU_DEP_3) | instskip(NEXT) | instid1(VALU_DEP_2)
	v_rcp_f64_e32 v[90:91], v[86:87]
	v_add_f64_e64 v[92:93], v[84:85], -v[88:89]
	v_add_f64_e64 v[74:75], v[82:83], -v[88:89]
	s_delay_alu instid0(VALU_DEP_3) | instskip(SKIP_1) | instid1(TRANS32_DEP_1)
	v_add_f64_e32 v[80:81], v[76:77], v[68:69]
	v_div_scale_f64 v[88:89], vcc_lo, v[72:73], v[70:71], v[72:73]
	v_fma_f64 v[94:95], -v[86:87], v[90:91], 1.0
	v_add_f64_e64 v[78:79], v[78:79], -v[92:93]
	s_delay_alu instid0(VALU_DEP_4) | instskip(NEXT) | instid1(VALU_DEP_3)
	v_add_f64_e64 v[82:83], v[80:81], -v[76:77]
	v_fmac_f64_e32 v[90:91], v[90:91], v[94:95]
	s_delay_alu instid0(VALU_DEP_3) | instskip(NEXT) | instid1(VALU_DEP_3)
	v_add_f64_e32 v[74:75], v[74:75], v[78:79]
	v_add_f64_e64 v[68:69], v[68:69], -v[82:83]
	s_delay_alu instid0(VALU_DEP_3) | instskip(NEXT) | instid1(VALU_DEP_3)
	v_fma_f64 v[78:79], -v[86:87], v[90:91], 1.0
	v_add_f64_e32 v[74:75], v[80:81], v[74:75]
	s_delay_alu instid0(VALU_DEP_2) | instskip(SKIP_1) | instid1(VALU_DEP_3)
	v_fmac_f64_e32 v[90:91], v[90:91], v[78:79]
	v_add_f64_e64 v[78:79], v[80:81], -v[82:83]
	v_add_f64_e32 v[80:81], v[84:85], v[74:75]
	s_delay_alu instid0(VALU_DEP_3) | instskip(NEXT) | instid1(VALU_DEP_3)
	v_mul_f64_e32 v[92:93], v[88:89], v[90:91]
	v_add_f64_e64 v[76:77], v[76:77], -v[78:79]
	s_delay_alu instid0(VALU_DEP_3) | instskip(NEXT) | instid1(VALU_DEP_3)
	v_add_f64_e64 v[78:79], v[80:81], -v[84:85]
	v_fma_f64 v[82:83], -v[86:87], v[92:93], v[88:89]
	s_delay_alu instid0(VALU_DEP_3) | instskip(NEXT) | instid1(VALU_DEP_3)
	v_add_f64_e32 v[68:69], v[68:69], v[76:77]
	v_add_f64_e64 v[74:75], v[74:75], -v[78:79]
	s_delay_alu instid0(VALU_DEP_3) | instskip(SKIP_1) | instid1(VALU_DEP_3)
	v_div_fmas_f64 v[76:77], v[82:83], v[90:91], v[92:93]
	v_cmp_class_f64_e64 vcc_lo, v[66:67], 0x204
	v_add_f64_e32 v[68:69], v[68:69], v[74:75]
	s_delay_alu instid0(VALU_DEP_3) | instskip(NEXT) | instid1(VALU_DEP_2)
	v_div_fixup_f64 v[70:71], v[76:77], v[70:71], v[72:73]
	v_add_f64_e32 v[68:69], v[80:81], v[68:69]
	s_delay_alu instid0(VALU_DEP_2) | instskip(NEXT) | instid1(VALU_DEP_2)
	v_fmac_f64_e32 v[70:71], 0.5, v[64:65]
	v_dual_cndmask_b32 v62, v68, v66, vcc_lo :: v_dual_cndmask_b32 v64, v69, v67, vcc_lo
	v_cmp_ngt_f64_e32 vcc_lo, 0, v[66:67]
	s_delay_alu instid0(VALU_DEP_2) | instskip(SKIP_1) | instid1(VALU_DEP_4)
	v_cndmask_b32_e32 v65, 0x7ff80000, v64, vcc_lo
	v_cmp_nge_f64_e32 vcc_lo, 0, v[66:67]
	v_cndmask_b32_e32 v64, 0, v62, vcc_lo
	v_cmp_neq_f64_e32 vcc_lo, 0, v[66:67]
	s_delay_alu instid0(VALU_DEP_4) | instskip(NEXT) | instid1(VALU_DEP_1)
	v_cndmask_b32_e32 v65, 0xfff00000, v65, vcc_lo
	v_add_f64_e32 v[64:65], v[70:71], v[64:65]
.LBB8_163:                              ;   in Loop: Header=BB8_145 Depth=1
	s_or_b32 exec_lo, exec_lo, s6
.LBB8_164:                              ;   in Loop: Header=BB8_145 Depth=1
	s_and_not1_saveexec_b32 s33, s5
	s_cbranch_execz .LBB8_178
; %bb.165:                              ;   in Loop: Header=BB8_145 Depth=1
                                        ; implicit-def: $vgpr62
                                        ; implicit-def: $vgpr64_vgpr65
	s_mov_b32 s4, exec_lo
	v_cmpx_lt_u32_e32 0x3feccccc, v63
	s_xor_b32 s5, exec_lo, s4
	s_cbranch_execz .LBB8_167
; %bb.166:                              ;   in Loop: Header=BB8_145 Depth=1
	v_add_f64_e64 v[64:65], -|v[60:61]|, 2.0
	v_add_f64_e64 v[66:67], |v[60:61]|, s[12:13]
	v_add_f64_e64 v[68:69], |v[60:61]|, -1.0
	v_cmp_gt_u32_e32 vcc_lo, 0x3ffbb4c3, v63
	v_cmp_gt_u32_e64 s4, 0x3ff3b4c4, v63
	s_delay_alu instid0(VALU_DEP_4) | instskip(SKIP_1) | instid1(VALU_DEP_2)
	v_dual_cndmask_b32 v62, v64, v66, vcc_lo :: v_dual_cndmask_b32 v64, v65, v67, vcc_lo
	v_cndmask_b32_e64 v66, 0, 1, vcc_lo
	v_dual_cndmask_b32 v65, v64, v69, s4 :: v_dual_cndmask_b32 v64, v62, v68, s4
	s_delay_alu instid0(VALU_DEP_2)
	v_cndmask_b32_e64 v62, v66, 2, s4
.LBB8_167:                              ;   in Loop: Header=BB8_145 Depth=1
	s_or_saveexec_b32 s40, s5
	v_mov_b64_e32 v[66:67], 0
	s_xor_b32 exec_lo, exec_lo, s40
	s_cbranch_execz .LBB8_169
; %bb.168:                              ;   in Loop: Header=BB8_145 Depth=1
	v_frexp_mant_f64_e64 v[64:65], |v[60:61]|
	v_cmp_gt_u32_e64 s6, 0x3fcda661, v63
	v_cmp_gt_u32_e64 s5, 0x3fe76944, v63
	v_cmp_neq_f64_e64 s4, 0, v[60:61]
	s_delay_alu instid0(VALU_DEP_4) | instskip(SKIP_1) | instid1(VALU_DEP_1)
	v_cmp_gt_f64_e32 vcc_lo, s[8:9], v[64:65]
	v_cndmask_b32_e64 v62, 0, 1, vcc_lo
	v_ldexp_f64 v[64:65], v[64:65], v62
	v_frexp_exp_i32_f64_e32 v62, v[60:61]
	s_delay_alu instid0(VALU_DEP_2) | instskip(SKIP_1) | instid1(VALU_DEP_3)
	v_add_f64_e32 v[66:67], 1.0, v[64:65]
	v_add_f64_e32 v[72:73], -1.0, v[64:65]
	v_subrev_co_ci_u32_e64 v62, null, 0, v62, vcc_lo
	v_cmp_neq_f64_e64 vcc_lo, 0x7ff00000, |v[60:61]|
	s_delay_alu instid0(VALU_DEP_4) | instskip(SKIP_1) | instid1(VALU_DEP_1)
	v_rcp_f64_e32 v[68:69], v[66:67]
	v_add_f64_e32 v[74:75], -1.0, v[66:67]
	v_add_f64_e64 v[64:65], v[64:65], -v[74:75]
	s_delay_alu instid0(TRANS32_DEP_1) | instskip(NEXT) | instid1(VALU_DEP_1)
	v_fma_f64 v[70:71], -v[66:67], v[68:69], 1.0
	v_fmac_f64_e32 v[68:69], v[70:71], v[68:69]
	s_delay_alu instid0(VALU_DEP_1) | instskip(NEXT) | instid1(VALU_DEP_1)
	v_fma_f64 v[70:71], -v[66:67], v[68:69], 1.0
	v_fmac_f64_e32 v[68:69], v[70:71], v[68:69]
	s_delay_alu instid0(VALU_DEP_1) | instskip(NEXT) | instid1(VALU_DEP_1)
	v_mul_f64_e32 v[70:71], v[72:73], v[68:69]
	v_mul_f64_e32 v[76:77], v[66:67], v[70:71]
	s_delay_alu instid0(VALU_DEP_1) | instskip(NEXT) | instid1(VALU_DEP_1)
	v_fma_f64 v[66:67], v[70:71], v[66:67], -v[76:77]
	v_fmac_f64_e32 v[66:67], v[70:71], v[64:65]
	s_delay_alu instid0(VALU_DEP_1) | instskip(NEXT) | instid1(VALU_DEP_1)
	v_add_f64_e32 v[64:65], v[76:77], v[66:67]
	v_add_f64_e64 v[74:75], v[72:73], -v[64:65]
	v_add_f64_e64 v[76:77], v[64:65], -v[76:77]
	s_delay_alu instid0(VALU_DEP_2) | instskip(NEXT) | instid1(VALU_DEP_2)
	v_add_f64_e64 v[72:73], v[72:73], -v[74:75]
	v_add_f64_e64 v[66:67], v[76:77], -v[66:67]
	s_delay_alu instid0(VALU_DEP_2) | instskip(NEXT) | instid1(VALU_DEP_1)
	v_add_f64_e64 v[64:65], v[72:73], -v[64:65]
	v_add_f64_e32 v[64:65], v[66:67], v[64:65]
	s_delay_alu instid0(VALU_DEP_1) | instskip(NEXT) | instid1(VALU_DEP_1)
	v_add_f64_e32 v[64:65], v[74:75], v[64:65]
	v_mul_f64_e32 v[64:65], v[68:69], v[64:65]
	s_delay_alu instid0(VALU_DEP_1) | instskip(NEXT) | instid1(VALU_DEP_1)
	v_add_f64_e32 v[66:67], v[70:71], v[64:65]
	v_mul_f64_e32 v[68:69], v[66:67], v[66:67]
	s_delay_alu instid0(VALU_DEP_1) | instskip(SKIP_1) | instid1(VALU_DEP_2)
	v_fmamk_f64 v[72:73], v[68:69], 0x3fc3ab76bf559e2b, v[6:7]
	v_mul_f64_e32 v[74:75], v[66:67], v[68:69]
	v_fmaak_f64 v[72:73], v[68:69], v[72:73], 0x3fc7474dd7f4df2e
	s_delay_alu instid0(VALU_DEP_1) | instskip(NEXT) | instid1(VALU_DEP_1)
	v_fmaak_f64 v[72:73], v[68:69], v[72:73], 0x3fcc71c016291751
	v_fmaak_f64 v[72:73], v[68:69], v[72:73], 0x3fd249249b27acf1
	s_delay_alu instid0(VALU_DEP_1) | instskip(NEXT) | instid1(VALU_DEP_1)
	v_fmaak_f64 v[72:73], v[68:69], v[72:73], 0x3fd99999998ef7b6
	v_fmaak_f64 v[68:69], v[68:69], v[72:73], 0x3fe5555555555780
	v_ldexp_f64 v[72:73], v[66:67], 1
	v_add_f64_e64 v[66:67], v[66:67], -v[70:71]
	s_delay_alu instid0(VALU_DEP_3) | instskip(SKIP_1) | instid1(VALU_DEP_3)
	v_mul_f64_e32 v[68:69], v[74:75], v[68:69]
	v_cvt_f64_i32_e32 v[74:75], v62
	v_add_f64_e64 v[64:65], v[64:65], -v[66:67]
	s_delay_alu instid0(VALU_DEP_3) | instskip(NEXT) | instid1(VALU_DEP_3)
	v_add_f64_e32 v[70:71], v[72:73], v[68:69]
	v_mul_f64_e32 v[76:77], 0x3fe62e42fefa39ef, v[74:75]
	s_delay_alu instid0(VALU_DEP_3) | instskip(NEXT) | instid1(VALU_DEP_3)
	v_ldexp_f64 v[64:65], v[64:65], 1
	v_add_f64_e64 v[66:67], v[70:71], -v[72:73]
	s_delay_alu instid0(VALU_DEP_3) | instskip(NEXT) | instid1(VALU_DEP_2)
	v_fma_f64 v[72:73], v[74:75], s[16:17], -v[76:77]
	v_add_f64_e64 v[66:67], v[68:69], -v[66:67]
	s_delay_alu instid0(VALU_DEP_2) | instskip(NEXT) | instid1(VALU_DEP_2)
	v_fmac_f64_e32 v[72:73], 0x3c7abc9e3b39803f, v[74:75]
	v_add_f64_e32 v[64:65], v[64:65], v[66:67]
	s_delay_alu instid0(VALU_DEP_2) | instskip(NEXT) | instid1(VALU_DEP_2)
	v_add_f64_e32 v[66:67], v[76:77], v[72:73]
	v_add_f64_e32 v[68:69], v[70:71], v[64:65]
	s_delay_alu instid0(VALU_DEP_2) | instskip(NEXT) | instid1(VALU_DEP_2)
	v_add_f64_e64 v[76:77], v[66:67], -v[76:77]
	v_add_f64_e32 v[74:75], v[66:67], v[68:69]
	v_add_f64_e64 v[70:71], v[68:69], -v[70:71]
	s_delay_alu instid0(VALU_DEP_3) | instskip(NEXT) | instid1(VALU_DEP_3)
	v_add_f64_e64 v[72:73], v[72:73], -v[76:77]
	v_add_f64_e64 v[78:79], v[74:75], -v[66:67]
	s_delay_alu instid0(VALU_DEP_3) | instskip(NEXT) | instid1(VALU_DEP_2)
	v_add_f64_e64 v[64:65], v[64:65], -v[70:71]
	v_add_f64_e64 v[80:81], v[74:75], -v[78:79]
	;; [unrolled: 1-line block ×3, first 2 shown]
	s_delay_alu instid0(VALU_DEP_3) | instskip(NEXT) | instid1(VALU_DEP_3)
	v_add_f64_e32 v[70:71], v[72:73], v[64:65]
	v_add_f64_e64 v[66:67], v[66:67], -v[80:81]
	s_delay_alu instid0(VALU_DEP_1) | instskip(NEXT) | instid1(VALU_DEP_3)
	v_add_f64_e32 v[66:67], v[68:69], v[66:67]
	v_add_f64_e64 v[68:69], v[70:71], -v[72:73]
	s_delay_alu instid0(VALU_DEP_2) | instskip(NEXT) | instid1(VALU_DEP_2)
	v_add_f64_e32 v[66:67], v[70:71], v[66:67]
	v_add_f64_e64 v[70:71], v[70:71], -v[68:69]
	v_add_f64_e64 v[64:65], v[64:65], -v[68:69]
	s_delay_alu instid0(VALU_DEP_3) | instskip(NEXT) | instid1(VALU_DEP_3)
	v_add_f64_e32 v[76:77], v[74:75], v[66:67]
	v_add_f64_e64 v[68:69], v[72:73], -v[70:71]
	s_delay_alu instid0(VALU_DEP_2) | instskip(NEXT) | instid1(VALU_DEP_2)
	v_add_f64_e64 v[70:71], v[76:77], -v[74:75]
	v_add_f64_e32 v[64:65], v[64:65], v[68:69]
	v_add_f64_e64 v[68:69], |v[60:61]|, s[14:15]
	s_delay_alu instid0(VALU_DEP_3) | instskip(NEXT) | instid1(VALU_DEP_1)
	v_add_f64_e64 v[66:67], v[66:67], -v[70:71]
	v_add_f64_e32 v[64:65], v[64:65], v[66:67]
	s_delay_alu instid0(VALU_DEP_1) | instskip(SKIP_1) | instid1(VALU_DEP_2)
	v_add_f64_e32 v[66:67], v[76:77], v[64:65]
	v_add_f64_e64 v[64:65], -|v[60:61]|, 1.0
	v_xor_b32_e32 v62, 0x80000000, v67
	s_delay_alu instid0(VALU_DEP_2) | instskip(SKIP_1) | instid1(VALU_DEP_3)
	v_dual_cndmask_b32 v64, v64, v68, s5 :: v_dual_cndmask_b32 v65, v65, v69, s5
	v_cndmask_b32_e64 v68, 0, 1, s5
	v_cndmask_b32_e32 v62, 0xfff00000, v62, vcc_lo
	s_and_b32 vcc_lo, s4, vcc_lo
	s_delay_alu instid0(VALU_DEP_3) | instskip(SKIP_1) | instid1(VALU_DEP_3)
	v_dual_cndmask_b32 v65, v65, v63, s6 :: v_dual_cndmask_b32 v64, v64, v60, s6
	v_cndmask_b32_e32 v66, 0, v66, vcc_lo
	v_cndmask_b32_e64 v67, 0x7ff00000, v62, s4
	v_cndmask_b32_e64 v62, v68, 2, s6
.LBB8_169:                              ;   in Loop: Header=BB8_145 Depth=1
	s_or_b32 exec_lo, exec_lo, s40
	s_delay_alu instid0(SALU_CYCLE_1) | instskip(NEXT) | instid1(VALU_DEP_1)
	s_mov_b32 s4, exec_lo
                                        ; implicit-def: $vgpr68_vgpr69
	v_cmpx_lt_i32_e32 1, v62
	s_xor_b32 s4, exec_lo, s4
	s_cbranch_execz .LBB8_171
; %bb.170:                              ;   in Loop: Header=BB8_145 Depth=1
	s_delay_alu instid0(VALU_DEP_4) | instskip(SKIP_1) | instid1(VALU_DEP_2)
	v_fmamk_f64 v[68:69], v[64:65], 0x3f8b678bbf2bab09, v[36:37]
	v_fmamk_f64 v[70:71], v[64:65], 0x3f6a5abb57d0cf61, v[38:39]
                                        ; implicit-def: $vgpr62
	v_fmaak_f64 v[68:69], v[64:65], v[68:69], 0x3fef497644ea8450
	s_delay_alu instid0(VALU_DEP_2) | instskip(NEXT) | instid1(VALU_DEP_2)
	v_fmaak_f64 v[70:71], v[64:65], v[70:71], 0x3fe89dfbe45050af
	v_fmaak_f64 v[68:69], v[64:65], v[68:69], 0x3ff7475cd119bd6f
	s_delay_alu instid0(VALU_DEP_2) | instskip(NEXT) | instid1(VALU_DEP_2)
	v_fmaak_f64 v[70:71], v[64:65], v[70:71], 0x40010725a42b18f5
	;; [unrolled: 3-line block ×3, first 2 shown]
	v_fmaak_f64 v[68:69], v[64:65], v[68:69], 0xbfb3c467e37db0c8
	s_delay_alu instid0(VALU_DEP_2) | instskip(NEXT) | instid1(VALU_DEP_2)
	v_fma_f64 v[70:71], v[64:65], v[70:71], 1.0
	v_mul_f64_e32 v[68:69], v[64:65], v[68:69]
	s_delay_alu instid0(VALU_DEP_1) | instskip(NEXT) | instid1(VALU_DEP_1)
	v_div_scale_f64 v[72:73], null, v[70:71], v[70:71], v[68:69]
	v_rcp_f64_e32 v[74:75], v[72:73]
	v_nop
	s_delay_alu instid0(TRANS32_DEP_1) | instskip(NEXT) | instid1(VALU_DEP_1)
	v_fma_f64 v[76:77], -v[72:73], v[74:75], 1.0
	v_fmac_f64_e32 v[74:75], v[74:75], v[76:77]
	s_delay_alu instid0(VALU_DEP_1) | instskip(NEXT) | instid1(VALU_DEP_1)
	v_fma_f64 v[76:77], -v[72:73], v[74:75], 1.0
	v_fmac_f64_e32 v[74:75], v[74:75], v[76:77]
	v_div_scale_f64 v[76:77], vcc_lo, v[68:69], v[70:71], v[68:69]
	s_delay_alu instid0(VALU_DEP_1) | instskip(NEXT) | instid1(VALU_DEP_1)
	v_mul_f64_e32 v[78:79], v[76:77], v[74:75]
	v_fma_f64 v[72:73], -v[72:73], v[78:79], v[76:77]
	s_delay_alu instid0(VALU_DEP_1) | instskip(NEXT) | instid1(VALU_DEP_1)
	v_div_fmas_f64 v[72:73], v[72:73], v[74:75], v[78:79]
	v_div_fixup_f64 v[68:69], v[72:73], v[70:71], v[68:69]
	s_delay_alu instid0(VALU_DEP_1)
	v_fmac_f64_e32 v[68:69], -0.5, v[64:65]
                                        ; implicit-def: $vgpr64_vgpr65
.LBB8_171:                              ;   in Loop: Header=BB8_145 Depth=1
	s_and_not1_saveexec_b32 s4, s4
	s_cbranch_execz .LBB8_177
; %bb.172:                              ;   in Loop: Header=BB8_145 Depth=1
	s_mov_b32 s5, exec_lo
                                        ; implicit-def: $vgpr68_vgpr69
	v_cmpx_ne_u32_e32 1, v62
	s_xor_b32 s5, exec_lo, s5
	s_cbranch_execz .LBB8_174
; %bb.173:                              ;   in Loop: Header=BB8_145 Depth=1
	v_mul_f64_e32 v[70:71], v[64:65], v[64:65]
	s_delay_alu instid0(VALU_DEP_1) | instskip(SKIP_1) | instid1(VALU_DEP_2)
	v_fmamk_f64 v[68:69], v[70:71], 0x3f07858e90a45837, v[42:43]
	v_fmamk_f64 v[72:73], v[70:71], 0x3efa7074428cfa52, v[40:41]
	v_fmaak_f64 v[68:69], v[70:71], v[68:69], 0x3f40b6c689b99c00
	s_delay_alu instid0(VALU_DEP_2) | instskip(NEXT) | instid1(VALU_DEP_2)
	v_fmaak_f64 v[72:73], v[70:71], v[72:73], 0x3f538a94116f3f5d
	v_fmaak_f64 v[68:69], v[70:71], v[68:69], 0x3f67add8ccb7926b
	s_delay_alu instid0(VALU_DEP_2) | instskip(NEXT) | instid1(VALU_DEP_2)
	v_fmaak_f64 v[72:73], v[70:71], v[72:73], 0x3f7e404fb68fefe8
	v_fmaak_f64 v[68:69], v[70:71], v[68:69], 0x3f951322ac92547b
	s_delay_alu instid0(VALU_DEP_2) | instskip(NEXT) | instid1(VALU_DEP_2)
	v_fmaak_f64 v[72:73], v[70:71], v[72:73], 0x3fb13e001a5562a7
	v_fmaak_f64 v[68:69], v[70:71], v[68:69], 0x3fd4a34cc4a60fad
	s_delay_alu instid0(VALU_DEP_1) | instskip(NEXT) | instid1(VALU_DEP_3)
	v_mul_f64_e32 v[68:69], v[70:71], v[68:69]
	v_fmaak_f64 v[70:71], v[70:71], v[72:73], 0x3fb3c467e37db0c8
	s_delay_alu instid0(VALU_DEP_1) | instskip(NEXT) | instid1(VALU_DEP_1)
	v_fmac_f64_e32 v[68:69], v[64:65], v[70:71]
	v_fmac_f64_e32 v[68:69], -0.5, v[64:65]
                                        ; implicit-def: $vgpr64_vgpr65
.LBB8_174:                              ;   in Loop: Header=BB8_145 Depth=1
	s_and_not1_saveexec_b32 s5, s5
	s_cbranch_execz .LBB8_176
; %bb.175:                              ;   in Loop: Header=BB8_145 Depth=1
	v_mul_f64_e32 v[68:69], v[64:65], v[64:65]
	s_delay_alu instid0(VALU_DEP_1) | instskip(NEXT) | instid1(VALU_DEP_1)
	v_mul_f64_e32 v[70:71], v[64:65], v[68:69]
	v_fmamk_f64 v[72:73], v[70:71], 0xbf347f24ecc38c38, v[46:47]
	v_fmamk_f64 v[74:75], v[70:71], 0x3f35fd3ee8c2d3f4, v[48:49]
	s_delay_alu instid0(VALU_DEP_2) | instskip(NEXT) | instid1(VALU_DEP_2)
	v_fmaak_f64 v[72:73], v[70:71], v[72:73], 0xbf6e2effb3e914d7
	v_fmaak_f64 v[74:75], v[70:71], v[74:75], 0x3f6282d32e15c915
	s_delay_alu instid0(VALU_DEP_2) | instskip(NEXT) | instid1(VALU_DEP_2)
	v_fmaak_f64 v[72:73], v[70:71], v[72:73], 0x3f9266e7970af9ec
	v_fmaak_f64 v[74:75], v[70:71], v[74:75], 0xbf851f9fba91ec6a
	;; [unrolled: 3-line block ×3, first 2 shown]
	s_delay_alu instid0(VALU_DEP_1) | instskip(NEXT) | instid1(VALU_DEP_1)
	v_fmac_f64_e32 v[72:73], v[64:65], v[74:75]
	v_fma_f64 v[64:65], v[70:71], -v[72:73], s[18:19]
	v_fmamk_f64 v[72:73], v[70:71], 0x3f34af6d6c0ebbf7, v[44:45]
	s_delay_alu instid0(VALU_DEP_1) | instskip(NEXT) | instid1(VALU_DEP_1)
	v_fmaak_f64 v[72:73], v[70:71], v[72:73], 0x3f78fce0e370e344
	v_fmaak_f64 v[72:73], v[70:71], v[72:73], 0xbfa0c9a8df35b713
	s_delay_alu instid0(VALU_DEP_1) | instskip(NEXT) | instid1(VALU_DEP_1)
	v_fmaak_f64 v[70:71], v[70:71], v[72:73], 0x3fdef72bc8ee38a2
	v_fma_f64 v[64:65], v[68:69], v[70:71], -v[64:65]
	s_delay_alu instid0(VALU_DEP_1)
	v_add_f64_e32 v[68:69], 0xbfbf19b9bcc38a42, v[64:65]
.LBB8_176:                              ;   in Loop: Header=BB8_145 Depth=1
	s_or_b32 exec_lo, exec_lo, s5
.LBB8_177:                              ;   in Loop: Header=BB8_145 Depth=1
	s_delay_alu instid0(SALU_CYCLE_1) | instskip(NEXT) | instid1(VALU_DEP_1)
	s_or_b32 exec_lo, exec_lo, s4
	v_add_f64_e32 v[64:65], v[66:67], v[68:69]
.LBB8_178:                              ;   in Loop: Header=BB8_145 Depth=1
	s_or_b32 exec_lo, exec_lo, s33
.LBB8_179:                              ;   in Loop: Header=BB8_145 Depth=1
	s_and_not1_saveexec_b32 s5, s7
	s_cbranch_execz .LBB8_181
; %bb.180:                              ;   in Loop: Header=BB8_145 Depth=1
	v_frexp_mant_f64_e64 v[64:65], |v[60:61]|
	v_cmp_neq_f64_e64 s4, 0, v[60:61]
	s_delay_alu instid0(VALU_DEP_2) | instskip(SKIP_1) | instid1(VALU_DEP_1)
	v_cmp_gt_f64_e32 vcc_lo, s[8:9], v[64:65]
	v_cndmask_b32_e64 v62, 0, 1, vcc_lo
	v_ldexp_f64 v[64:65], v[64:65], v62
	v_frexp_exp_i32_f64_e32 v62, v[60:61]
	s_delay_alu instid0(VALU_DEP_2) | instskip(SKIP_1) | instid1(VALU_DEP_3)
	v_add_f64_e32 v[66:67], 1.0, v[64:65]
	v_add_f64_e32 v[72:73], -1.0, v[64:65]
	v_subrev_co_ci_u32_e64 v62, null, 0, v62, vcc_lo
	v_cmp_neq_f64_e64 vcc_lo, 0x7ff00000, |v[60:61]|
	s_delay_alu instid0(VALU_DEP_4) | instskip(SKIP_1) | instid1(VALU_DEP_1)
	v_rcp_f64_e32 v[68:69], v[66:67]
	v_add_f64_e32 v[74:75], -1.0, v[66:67]
	v_add_f64_e64 v[64:65], v[64:65], -v[74:75]
	s_delay_alu instid0(TRANS32_DEP_1) | instskip(NEXT) | instid1(VALU_DEP_1)
	v_fma_f64 v[70:71], -v[66:67], v[68:69], 1.0
	v_fmac_f64_e32 v[68:69], v[70:71], v[68:69]
	s_delay_alu instid0(VALU_DEP_1) | instskip(NEXT) | instid1(VALU_DEP_1)
	v_fma_f64 v[70:71], -v[66:67], v[68:69], 1.0
	v_fmac_f64_e32 v[68:69], v[70:71], v[68:69]
	s_delay_alu instid0(VALU_DEP_1) | instskip(NEXT) | instid1(VALU_DEP_1)
	v_mul_f64_e32 v[70:71], v[72:73], v[68:69]
	v_mul_f64_e32 v[76:77], v[66:67], v[70:71]
	s_delay_alu instid0(VALU_DEP_1) | instskip(NEXT) | instid1(VALU_DEP_1)
	v_fma_f64 v[66:67], v[70:71], v[66:67], -v[76:77]
	v_fmac_f64_e32 v[66:67], v[70:71], v[64:65]
	s_delay_alu instid0(VALU_DEP_1) | instskip(NEXT) | instid1(VALU_DEP_1)
	v_add_f64_e32 v[64:65], v[76:77], v[66:67]
	v_add_f64_e64 v[74:75], v[72:73], -v[64:65]
	v_add_f64_e64 v[76:77], v[64:65], -v[76:77]
	s_delay_alu instid0(VALU_DEP_2) | instskip(NEXT) | instid1(VALU_DEP_2)
	v_add_f64_e64 v[72:73], v[72:73], -v[74:75]
	v_add_f64_e64 v[66:67], v[76:77], -v[66:67]
	s_delay_alu instid0(VALU_DEP_2) | instskip(NEXT) | instid1(VALU_DEP_1)
	v_add_f64_e64 v[64:65], v[72:73], -v[64:65]
	v_add_f64_e32 v[64:65], v[66:67], v[64:65]
	s_delay_alu instid0(VALU_DEP_1) | instskip(NEXT) | instid1(VALU_DEP_1)
	v_add_f64_e32 v[64:65], v[74:75], v[64:65]
	v_mul_f64_e32 v[64:65], v[68:69], v[64:65]
	s_delay_alu instid0(VALU_DEP_1) | instskip(NEXT) | instid1(VALU_DEP_1)
	v_add_f64_e32 v[66:67], v[70:71], v[64:65]
	v_mul_f64_e32 v[68:69], v[66:67], v[66:67]
	s_delay_alu instid0(VALU_DEP_1) | instskip(SKIP_1) | instid1(VALU_DEP_2)
	v_fmamk_f64 v[72:73], v[68:69], 0x3fc3ab76bf559e2b, v[6:7]
	v_mul_f64_e32 v[74:75], v[66:67], v[68:69]
	v_fmaak_f64 v[72:73], v[68:69], v[72:73], 0x3fc7474dd7f4df2e
	s_delay_alu instid0(VALU_DEP_1) | instskip(NEXT) | instid1(VALU_DEP_1)
	v_fmaak_f64 v[72:73], v[68:69], v[72:73], 0x3fcc71c016291751
	v_fmaak_f64 v[72:73], v[68:69], v[72:73], 0x3fd249249b27acf1
	s_delay_alu instid0(VALU_DEP_1) | instskip(NEXT) | instid1(VALU_DEP_1)
	v_fmaak_f64 v[72:73], v[68:69], v[72:73], 0x3fd99999998ef7b6
	v_fmaak_f64 v[68:69], v[68:69], v[72:73], 0x3fe5555555555780
	v_ldexp_f64 v[72:73], v[66:67], 1
	v_add_f64_e64 v[66:67], v[66:67], -v[70:71]
	s_delay_alu instid0(VALU_DEP_3) | instskip(SKIP_1) | instid1(VALU_DEP_3)
	v_mul_f64_e32 v[68:69], v[74:75], v[68:69]
	v_cvt_f64_i32_e32 v[74:75], v62
	v_add_f64_e64 v[64:65], v[64:65], -v[66:67]
	s_delay_alu instid0(VALU_DEP_3) | instskip(NEXT) | instid1(VALU_DEP_3)
	v_add_f64_e32 v[70:71], v[72:73], v[68:69]
	v_mul_f64_e32 v[76:77], 0x3fe62e42fefa39ef, v[74:75]
	s_delay_alu instid0(VALU_DEP_3) | instskip(NEXT) | instid1(VALU_DEP_3)
	v_ldexp_f64 v[64:65], v[64:65], 1
	v_add_f64_e64 v[66:67], v[70:71], -v[72:73]
	s_delay_alu instid0(VALU_DEP_3) | instskip(NEXT) | instid1(VALU_DEP_2)
	v_fma_f64 v[72:73], v[74:75], s[16:17], -v[76:77]
	v_add_f64_e64 v[66:67], v[68:69], -v[66:67]
	s_delay_alu instid0(VALU_DEP_2) | instskip(NEXT) | instid1(VALU_DEP_2)
	v_fmac_f64_e32 v[72:73], 0x3c7abc9e3b39803f, v[74:75]
	v_add_f64_e32 v[64:65], v[64:65], v[66:67]
	s_delay_alu instid0(VALU_DEP_2) | instskip(NEXT) | instid1(VALU_DEP_2)
	v_add_f64_e32 v[66:67], v[76:77], v[72:73]
	v_add_f64_e32 v[68:69], v[70:71], v[64:65]
	s_delay_alu instid0(VALU_DEP_2) | instskip(NEXT) | instid1(VALU_DEP_2)
	v_add_f64_e64 v[76:77], v[66:67], -v[76:77]
	v_add_f64_e32 v[74:75], v[66:67], v[68:69]
	v_add_f64_e64 v[70:71], v[68:69], -v[70:71]
	s_delay_alu instid0(VALU_DEP_3) | instskip(NEXT) | instid1(VALU_DEP_3)
	v_add_f64_e64 v[72:73], v[72:73], -v[76:77]
	v_add_f64_e64 v[78:79], v[74:75], -v[66:67]
	s_delay_alu instid0(VALU_DEP_3) | instskip(NEXT) | instid1(VALU_DEP_2)
	v_add_f64_e64 v[64:65], v[64:65], -v[70:71]
	v_add_f64_e64 v[80:81], v[74:75], -v[78:79]
	;; [unrolled: 1-line block ×3, first 2 shown]
	s_delay_alu instid0(VALU_DEP_3) | instskip(NEXT) | instid1(VALU_DEP_3)
	v_add_f64_e32 v[70:71], v[72:73], v[64:65]
	v_add_f64_e64 v[66:67], v[66:67], -v[80:81]
	s_delay_alu instid0(VALU_DEP_1) | instskip(NEXT) | instid1(VALU_DEP_3)
	v_add_f64_e32 v[66:67], v[68:69], v[66:67]
	v_add_f64_e64 v[68:69], v[70:71], -v[72:73]
	s_delay_alu instid0(VALU_DEP_2) | instskip(NEXT) | instid1(VALU_DEP_2)
	v_add_f64_e32 v[66:67], v[70:71], v[66:67]
	v_add_f64_e64 v[70:71], v[70:71], -v[68:69]
	v_add_f64_e64 v[64:65], v[64:65], -v[68:69]
	s_delay_alu instid0(VALU_DEP_3) | instskip(NEXT) | instid1(VALU_DEP_3)
	v_add_f64_e32 v[76:77], v[74:75], v[66:67]
	v_add_f64_e64 v[68:69], v[72:73], -v[70:71]
	s_delay_alu instid0(VALU_DEP_2) | instskip(NEXT) | instid1(VALU_DEP_2)
	v_add_f64_e64 v[70:71], v[76:77], -v[74:75]
	v_add_f64_e32 v[64:65], v[64:65], v[68:69]
	v_fma_f64 v[68:69], |v[60:61]|, s[22:23], s[20:21]
	s_delay_alu instid0(VALU_DEP_3) | instskip(NEXT) | instid1(VALU_DEP_1)
	v_add_f64_e64 v[66:67], v[66:67], -v[70:71]
	v_add_f64_e32 v[64:65], v[64:65], v[66:67]
	s_delay_alu instid0(VALU_DEP_3) | instskip(NEXT) | instid1(VALU_DEP_2)
	v_fma_f64 v[66:67], |v[60:61]|, v[68:69], s[24:25]
	v_add_f64_e32 v[64:65], v[76:77], v[64:65]
	s_delay_alu instid0(VALU_DEP_2) | instskip(NEXT) | instid1(VALU_DEP_2)
	v_fma_f64 v[66:67], |v[60:61]|, v[66:67], s[26:27]
	v_xor_b32_e32 v62, 0x80000000, v65
	s_delay_alu instid0(VALU_DEP_2) | instskip(NEXT) | instid1(VALU_DEP_2)
	v_fma_f64 v[66:67], |v[60:61]|, v[66:67], s[28:29]
	v_cndmask_b32_e32 v62, 0xfff00000, v62, vcc_lo
	s_and_b32 vcc_lo, s4, vcc_lo
	v_cndmask_b32_e32 v64, 0, v64, vcc_lo
	s_delay_alu instid0(VALU_DEP_2) | instskip(NEXT) | instid1(VALU_DEP_1)
	v_cndmask_b32_e64 v65, 0x7ff00000, v62, s4
	v_fma_f64 v[64:65], |v[60:61]|, v[66:67], v[64:65]
.LBB8_181:                              ;   in Loop: Header=BB8_145 Depth=1
	s_or_b32 exec_lo, exec_lo, s5
	s_delay_alu instid0(SALU_CYCLE_1)
	s_mov_b32 s4, exec_lo
	v_cmpx_le_f64_e32 0, v[60:61]
	s_xor_b32 s5, exec_lo, s4
	s_cbranch_execz .LBB8_183
; %bb.182:                              ;   in Loop: Header=BB8_145 Depth=1
	v_cmp_eq_f64_e32 vcc_lo, 1.0, v[60:61]
	v_cmp_eq_f64_e64 s4, 2.0, v[60:61]
	s_or_b32 s4, vcc_lo, s4
	s_delay_alu instid0(SALU_CYCLE_1)
	v_cndmask_b32_e64 v65, v65, 0, s4
	v_cndmask_b32_e64 v64, v64, 0, s4
.LBB8_183:                              ;   in Loop: Header=BB8_145 Depth=1
	s_and_not1_saveexec_b32 s5, s5
	s_cbranch_execz .LBB8_187
; %bb.184:                              ;   in Loop: Header=BB8_145 Depth=1
	v_add_nc_u32_e32 v62, 0xc32fffff, v63
	s_mov_b32 s6, exec_lo
	s_delay_alu instid0(VALU_DEP_1)
	v_cmpx_gt_u32_e32 0x65fffff, v62
	s_cbranch_execz .LBB8_186
; %bb.185:                              ;   in Loop: Header=BB8_145 Depth=1
	v_mul_f64_e64 v[66:67], |v[60:61]|, 0.5
	v_cmp_class_f64_e64 s4, v[60:61], 0x1f8
	s_delay_alu instid0(VALU_DEP_2) | instskip(SKIP_1) | instid1(VALU_DEP_2)
	v_fract_f64_e32 v[68:69], v[66:67]
	v_cmp_neq_f64_e64 vcc_lo, 0x7ff00000, |v[66:67]|
	v_add_f64_e32 v[68:69], v[68:69], v[68:69]
	s_delay_alu instid0(VALU_DEP_1) | instskip(SKIP_1) | instid1(VALU_DEP_2)
	v_dual_cndmask_b32 v62, 0, v68, vcc_lo :: v_dual_cndmask_b32 v66, 0, v69, vcc_lo
	v_cmp_gt_f64_e64 vcc_lo, |v[60:61]|, 1.0
	v_cndmask_b32_e32 v67, v63, v66, vcc_lo
	s_delay_alu instid0(VALU_DEP_3) | instskip(NEXT) | instid1(VALU_DEP_1)
	v_cndmask_b32_e32 v66, v60, v62, vcc_lo
	v_add_f64_e32 v[68:69], v[66:67], v[66:67]
	s_delay_alu instid0(VALU_DEP_1) | instskip(NEXT) | instid1(VALU_DEP_1)
	v_rndne_f64_e32 v[68:69], v[68:69]
	v_fmac_f64_e32 v[66:67], -0.5, v[68:69]
	v_cvt_i32_f64_e32 v62, v[68:69]
	s_delay_alu instid0(VALU_DEP_2) | instskip(NEXT) | instid1(VALU_DEP_1)
	v_mul_f64_e32 v[70:71], v[66:67], v[66:67]
	v_fmamk_f64 v[72:73], v[70:71], 0x3f3e357ef99eb0bb, v[50:51]
	v_mul_f64_e32 v[74:75], v[66:67], v[70:71]
	v_fmamk_f64 v[76:77], v[70:71], 0xbf1b167302e21c33, v[52:53]
	s_delay_alu instid0(VALU_DEP_3) | instskip(NEXT) | instid1(VALU_DEP_2)
	v_fmaak_f64 v[72:73], v[70:71], v[72:73], 0x3fb50782d5f14825
	v_fmaak_f64 v[76:77], v[70:71], v[76:77], 0xbf9a6d1e7294bff9
	s_delay_alu instid0(VALU_DEP_2) | instskip(NEXT) | instid1(VALU_DEP_1)
	v_fmaak_f64 v[72:73], v[70:71], v[72:73], 0xbfe32d2ccdfe9424
	v_fmaak_f64 v[72:73], v[70:71], v[72:73], 0x400466bc67754fff
	s_delay_alu instid0(VALU_DEP_1) | instskip(NEXT) | instid1(VALU_DEP_1)
	v_fmaak_f64 v[72:73], v[70:71], v[72:73], 0xc014abbce625be09
	v_mul_f64_e32 v[72:73], v[74:75], v[72:73]
	v_fmaak_f64 v[74:75], v[70:71], v[76:77], 0x3fce1f5067b90b37
	s_delay_alu instid0(VALU_DEP_1) | instskip(NEXT) | instid1(VALU_DEP_1)
	v_fmaak_f64 v[74:75], v[70:71], v[74:75], 0xbff55d3c7e3c325b
	v_fmaak_f64 v[74:75], v[70:71], v[74:75], 0x40103c1f081b5a67
	s_delay_alu instid0(VALU_DEP_1) | instskip(NEXT) | instid1(VALU_DEP_1)
	v_fmaak_f64 v[74:75], v[70:71], v[74:75], 0xc013bd3cc9be45de
	v_fma_f64 v[68:69], v[70:71], v[74:75], 1.0
	v_fmac_f64_e32 v[72:73], 0x400921fb54442d18, v[66:67]
	v_dual_lshlrev_b32 v62, 30, v62 :: v_dual_bitop2_b32 v66, 1, v62 bitop3:0x40
	s_delay_alu instid0(VALU_DEP_1) | instskip(NEXT) | instid1(VALU_DEP_2)
	v_cmp_eq_u32_e32 vcc_lo, 0, v66
	v_dual_cndmask_b32 v66, v68, v72, vcc_lo :: v_dual_bitop2_b32 v62, v62, v61 bitop3:0x14
	s_delay_alu instid0(VALU_DEP_1) | instskip(NEXT) | instid1(VALU_DEP_1)
	v_dual_cndmask_b32 v67, v69, v73, vcc_lo :: v_dual_cndmask_b32 v66, 0, v66, s4
	v_bitop3_b32 v62, v67, v62, 0x80000000 bitop3:0x78
	s_delay_alu instid0(VALU_DEP_1) | instskip(SKIP_1) | instid1(VALU_DEP_2)
	v_cndmask_b32_e64 v67, 0x7ff80000, v62, s4
	v_cmp_class_f64_e64 s4, v[60:61], 0x204
	v_mul_f64_e32 v[66:67], v[60:61], v[66:67]
	s_delay_alu instid0(VALU_DEP_1) | instskip(NEXT) | instid1(VALU_DEP_2)
	v_and_b32_e32 v69, 0x7fffffff, v67
	v_mov_b32_e32 v68, v66
	s_delay_alu instid0(VALU_DEP_1) | instskip(SKIP_1) | instid1(VALU_DEP_2)
	v_div_scale_f64 v[70:71], null, v[68:69], v[68:69], s[30:31]
	v_div_scale_f64 v[68:69], vcc_lo, s[30:31], v[68:69], s[30:31]
	v_rcp_f64_e32 v[72:73], v[70:71]
	v_nop
	s_delay_alu instid0(TRANS32_DEP_1) | instskip(NEXT) | instid1(VALU_DEP_1)
	v_fma_f64 v[74:75], -v[70:71], v[72:73], 1.0
	v_fmac_f64_e32 v[72:73], v[72:73], v[74:75]
	s_delay_alu instid0(VALU_DEP_1) | instskip(NEXT) | instid1(VALU_DEP_1)
	v_fma_f64 v[74:75], -v[70:71], v[72:73], 1.0
	v_fmac_f64_e32 v[72:73], v[72:73], v[74:75]
	s_delay_alu instid0(VALU_DEP_1) | instskip(NEXT) | instid1(VALU_DEP_1)
	v_mul_f64_e32 v[74:75], v[68:69], v[72:73]
	v_fma_f64 v[68:69], -v[70:71], v[74:75], v[68:69]
	s_delay_alu instid0(VALU_DEP_1) | instskip(NEXT) | instid1(VALU_DEP_1)
	v_div_fmas_f64 v[68:69], v[68:69], v[72:73], v[74:75]
	v_div_fixup_f64 v[66:67], v[68:69], |v[66:67]|, s[30:31]
	s_delay_alu instid0(VALU_DEP_1) | instskip(NEXT) | instid1(VALU_DEP_1)
	v_frexp_mant_f64_e32 v[68:69], v[66:67]
	v_cmp_gt_f64_e32 vcc_lo, s[8:9], v[68:69]
	v_cndmask_b32_e64 v62, 0, 1, vcc_lo
	s_delay_alu instid0(VALU_DEP_1) | instskip(SKIP_1) | instid1(VALU_DEP_1)
	v_ldexp_f64 v[68:69], v[68:69], v62
	v_frexp_exp_i32_f64_e32 v62, v[66:67]
	v_subrev_co_ci_u32_e64 v62, null, 0, v62, vcc_lo
	v_cmp_class_f64_e64 vcc_lo, v[66:67], 0x204
	s_delay_alu instid0(VALU_DEP_4) | instskip(SKIP_1) | instid1(VALU_DEP_2)
	v_add_f64_e32 v[70:71], 1.0, v[68:69]
	v_add_f64_e32 v[76:77], -1.0, v[68:69]
	v_rcp_f64_e32 v[72:73], v[70:71]
	v_add_f64_e32 v[78:79], -1.0, v[70:71]
	s_delay_alu instid0(VALU_DEP_1) | instskip(NEXT) | instid1(TRANS32_DEP_1)
	v_add_f64_e64 v[68:69], v[68:69], -v[78:79]
	v_fma_f64 v[74:75], -v[70:71], v[72:73], 1.0
	s_delay_alu instid0(VALU_DEP_1) | instskip(NEXT) | instid1(VALU_DEP_1)
	v_fmac_f64_e32 v[72:73], v[74:75], v[72:73]
	v_fma_f64 v[74:75], -v[70:71], v[72:73], 1.0
	s_delay_alu instid0(VALU_DEP_1) | instskip(NEXT) | instid1(VALU_DEP_1)
	v_fmac_f64_e32 v[72:73], v[74:75], v[72:73]
	v_mul_f64_e32 v[74:75], v[76:77], v[72:73]
	s_delay_alu instid0(VALU_DEP_1) | instskip(NEXT) | instid1(VALU_DEP_1)
	v_mul_f64_e32 v[80:81], v[70:71], v[74:75]
	v_fma_f64 v[70:71], v[74:75], v[70:71], -v[80:81]
	s_delay_alu instid0(VALU_DEP_1) | instskip(NEXT) | instid1(VALU_DEP_1)
	v_fmac_f64_e32 v[70:71], v[74:75], v[68:69]
	v_add_f64_e32 v[68:69], v[80:81], v[70:71]
	s_delay_alu instid0(VALU_DEP_1) | instskip(SKIP_1) | instid1(VALU_DEP_2)
	v_add_f64_e64 v[78:79], v[76:77], -v[68:69]
	v_add_f64_e64 v[80:81], v[68:69], -v[80:81]
	;; [unrolled: 1-line block ×3, first 2 shown]
	s_delay_alu instid0(VALU_DEP_2) | instskip(NEXT) | instid1(VALU_DEP_2)
	v_add_f64_e64 v[70:71], v[80:81], -v[70:71]
	v_add_f64_e64 v[68:69], v[76:77], -v[68:69]
	s_delay_alu instid0(VALU_DEP_1) | instskip(NEXT) | instid1(VALU_DEP_1)
	v_add_f64_e32 v[68:69], v[70:71], v[68:69]
	v_add_f64_e32 v[68:69], v[78:79], v[68:69]
	s_delay_alu instid0(VALU_DEP_1) | instskip(NEXT) | instid1(VALU_DEP_1)
	v_mul_f64_e32 v[68:69], v[72:73], v[68:69]
	v_add_f64_e32 v[70:71], v[74:75], v[68:69]
	s_delay_alu instid0(VALU_DEP_1) | instskip(NEXT) | instid1(VALU_DEP_1)
	v_mul_f64_e32 v[72:73], v[70:71], v[70:71]
	v_fmamk_f64 v[76:77], v[72:73], 0x3fc3ab76bf559e2b, v[6:7]
	v_mul_f64_e32 v[78:79], v[70:71], v[72:73]
	s_delay_alu instid0(VALU_DEP_2) | instskip(NEXT) | instid1(VALU_DEP_1)
	v_fmaak_f64 v[76:77], v[72:73], v[76:77], 0x3fc7474dd7f4df2e
	v_fmaak_f64 v[76:77], v[72:73], v[76:77], 0x3fcc71c016291751
	s_delay_alu instid0(VALU_DEP_1) | instskip(NEXT) | instid1(VALU_DEP_1)
	v_fmaak_f64 v[76:77], v[72:73], v[76:77], 0x3fd249249b27acf1
	v_fmaak_f64 v[76:77], v[72:73], v[76:77], 0x3fd99999998ef7b6
	s_delay_alu instid0(VALU_DEP_1) | instskip(SKIP_2) | instid1(VALU_DEP_3)
	v_fmaak_f64 v[72:73], v[72:73], v[76:77], 0x3fe5555555555780
	v_ldexp_f64 v[76:77], v[70:71], 1
	v_add_f64_e64 v[70:71], v[70:71], -v[74:75]
	v_mul_f64_e32 v[72:73], v[78:79], v[72:73]
	v_cvt_f64_i32_e32 v[78:79], v62
	s_delay_alu instid0(VALU_DEP_3) | instskip(NEXT) | instid1(VALU_DEP_3)
	v_add_f64_e64 v[68:69], v[68:69], -v[70:71]
	v_add_f64_e32 v[74:75], v[76:77], v[72:73]
	s_delay_alu instid0(VALU_DEP_3) | instskip(NEXT) | instid1(VALU_DEP_3)
	v_mul_f64_e32 v[80:81], 0x3fe62e42fefa39ef, v[78:79]
	v_ldexp_f64 v[68:69], v[68:69], 1
	s_delay_alu instid0(VALU_DEP_3) | instskip(NEXT) | instid1(VALU_DEP_3)
	v_add_f64_e64 v[70:71], v[74:75], -v[76:77]
	v_fma_f64 v[76:77], v[78:79], s[16:17], -v[80:81]
	s_delay_alu instid0(VALU_DEP_2) | instskip(NEXT) | instid1(VALU_DEP_2)
	v_add_f64_e64 v[70:71], v[72:73], -v[70:71]
	v_fmac_f64_e32 v[76:77], 0x3c7abc9e3b39803f, v[78:79]
	s_delay_alu instid0(VALU_DEP_2) | instskip(NEXT) | instid1(VALU_DEP_2)
	v_add_f64_e32 v[68:69], v[68:69], v[70:71]
	v_add_f64_e32 v[70:71], v[80:81], v[76:77]
	s_delay_alu instid0(VALU_DEP_2) | instskip(NEXT) | instid1(VALU_DEP_2)
	v_add_f64_e32 v[72:73], v[74:75], v[68:69]
	v_add_f64_e64 v[80:81], v[70:71], -v[80:81]
	s_delay_alu instid0(VALU_DEP_2) | instskip(SKIP_1) | instid1(VALU_DEP_3)
	v_add_f64_e32 v[78:79], v[70:71], v[72:73]
	v_add_f64_e64 v[74:75], v[72:73], -v[74:75]
	v_add_f64_e64 v[76:77], v[76:77], -v[80:81]
	s_delay_alu instid0(VALU_DEP_3) | instskip(NEXT) | instid1(VALU_DEP_3)
	v_add_f64_e64 v[82:83], v[78:79], -v[70:71]
	v_add_f64_e64 v[68:69], v[68:69], -v[74:75]
	s_delay_alu instid0(VALU_DEP_2) | instskip(SKIP_1) | instid1(VALU_DEP_3)
	v_add_f64_e64 v[84:85], v[78:79], -v[82:83]
	v_add_f64_e64 v[72:73], v[72:73], -v[82:83]
	v_add_f64_e32 v[74:75], v[76:77], v[68:69]
	s_delay_alu instid0(VALU_DEP_3) | instskip(NEXT) | instid1(VALU_DEP_1)
	v_add_f64_e64 v[70:71], v[70:71], -v[84:85]
	v_add_f64_e32 v[70:71], v[72:73], v[70:71]
	s_delay_alu instid0(VALU_DEP_3) | instskip(NEXT) | instid1(VALU_DEP_2)
	v_add_f64_e64 v[72:73], v[74:75], -v[76:77]
	v_add_f64_e32 v[70:71], v[74:75], v[70:71]
	s_delay_alu instid0(VALU_DEP_2) | instskip(SKIP_1) | instid1(VALU_DEP_3)
	v_add_f64_e64 v[74:75], v[74:75], -v[72:73]
	v_add_f64_e64 v[68:69], v[68:69], -v[72:73]
	v_add_f64_e32 v[80:81], v[78:79], v[70:71]
	s_delay_alu instid0(VALU_DEP_3) | instskip(NEXT) | instid1(VALU_DEP_2)
	v_add_f64_e64 v[72:73], v[76:77], -v[74:75]
	v_add_f64_e64 v[74:75], v[80:81], -v[78:79]
	s_delay_alu instid0(VALU_DEP_2) | instskip(NEXT) | instid1(VALU_DEP_2)
	v_add_f64_e32 v[68:69], v[68:69], v[72:73]
	v_add_f64_e64 v[70:71], v[70:71], -v[74:75]
	s_delay_alu instid0(VALU_DEP_1) | instskip(NEXT) | instid1(VALU_DEP_1)
	v_add_f64_e32 v[68:69], v[68:69], v[70:71]
	v_add_f64_e32 v[68:69], v[80:81], v[68:69]
	s_delay_alu instid0(VALU_DEP_1) | instskip(SKIP_2) | instid1(VALU_DEP_3)
	v_dual_cndmask_b32 v62, v68, v66, vcc_lo :: v_dual_cndmask_b32 v68, v69, v67, vcc_lo
	v_cmp_neq_f64_e32 vcc_lo, 0, v[66:67]
	v_fract_f64_e32 v[66:67], v[60:61]
	v_cndmask_b32_e32 v69, 0xfff00000, v68, vcc_lo
	s_delay_alu instid0(VALU_DEP_4) | instskip(NEXT) | instid1(VALU_DEP_3)
	v_cndmask_b32_e32 v68, 0, v62, vcc_lo
	v_cmp_eq_f64_e32 vcc_lo, 0, v[66:67]
	s_delay_alu instid0(VALU_DEP_2)
	v_add_f64_e64 v[64:65], v[68:69], -v[64:65]
	s_or_b32 s4, s4, vcc_lo
	s_delay_alu instid0(VALU_DEP_1) | instid1(SALU_CYCLE_1)
	v_cndmask_b32_e64 v65, v65, 0x7ff00000, s4
	s_delay_alu instid0(VALU_DEP_2)
	v_cndmask_b32_e64 v64, v64, 0, s4
.LBB8_186:                              ;   in Loop: Header=BB8_145 Depth=1
	s_or_b32 exec_lo, exec_lo, s6
.LBB8_187:                              ;   in Loop: Header=BB8_145 Depth=1
	s_delay_alu instid0(SALU_CYCLE_1) | instskip(SKIP_3) | instid1(VALU_DEP_2)
	s_or_b32 exec_lo, exec_lo, s5
	v_and_b32_e32 v67, 0x7fffffff, v57
	v_mov_b32_e32 v66, v56
                                        ; implicit-def: $vgpr68_vgpr69
	s_mov_b32 s4, exec_lo
	v_cmpx_lt_u32_e32 0x3f6fffff, v67
	s_xor_b32 s7, exec_lo, s4
	s_cbranch_execz .LBB8_213
; %bb.188:                              ;   in Loop: Header=BB8_145 Depth=1
                                        ; implicit-def: $vgpr68_vgpr69
	s_mov_b32 s4, exec_lo
	v_cmpx_lt_u32_e32 0x3fffffff, v67
	s_xor_b32 s5, exec_lo, s4
	s_cbranch_execz .LBB8_198
; %bb.189:                              ;   in Loop: Header=BB8_145 Depth=1
	;; [unrolled: 6-line block ×4, first 2 shown]
	v_frexp_mant_f64_e64 v[68:69], |v[56:57]|
	v_cmp_neq_f64_e64 s4, 0, v[56:57]
	s_delay_alu instid0(VALU_DEP_2) | instskip(SKIP_1) | instid1(VALU_DEP_1)
	v_cmp_gt_f64_e32 vcc_lo, s[8:9], v[68:69]
	v_cndmask_b32_e64 v62, 0, 1, vcc_lo
	v_ldexp_f64 v[68:69], v[68:69], v62
	v_frexp_exp_i32_f64_e32 v62, v[56:57]
	s_delay_alu instid0(VALU_DEP_2) | instskip(SKIP_1) | instid1(VALU_DEP_3)
	v_add_f64_e32 v[70:71], 1.0, v[68:69]
	v_add_f64_e32 v[76:77], -1.0, v[68:69]
	v_subrev_co_ci_u32_e64 v62, null, 0, v62, vcc_lo
	v_cmp_neq_f64_e64 vcc_lo, 0x7ff00000, |v[56:57]|
	s_delay_alu instid0(VALU_DEP_4) | instskip(SKIP_1) | instid1(VALU_DEP_1)
	v_rcp_f64_e32 v[72:73], v[70:71]
	v_add_f64_e32 v[78:79], -1.0, v[70:71]
	v_add_f64_e64 v[68:69], v[68:69], -v[78:79]
	s_delay_alu instid0(TRANS32_DEP_1) | instskip(NEXT) | instid1(VALU_DEP_1)
	v_fma_f64 v[74:75], -v[70:71], v[72:73], 1.0
	v_fmac_f64_e32 v[72:73], v[74:75], v[72:73]
	s_delay_alu instid0(VALU_DEP_1) | instskip(NEXT) | instid1(VALU_DEP_1)
	v_fma_f64 v[74:75], -v[70:71], v[72:73], 1.0
	v_fmac_f64_e32 v[72:73], v[74:75], v[72:73]
	s_delay_alu instid0(VALU_DEP_1) | instskip(NEXT) | instid1(VALU_DEP_1)
	v_mul_f64_e32 v[74:75], v[76:77], v[72:73]
	v_mul_f64_e32 v[80:81], v[70:71], v[74:75]
	s_delay_alu instid0(VALU_DEP_1) | instskip(NEXT) | instid1(VALU_DEP_1)
	v_fma_f64 v[70:71], v[74:75], v[70:71], -v[80:81]
	v_fmac_f64_e32 v[70:71], v[74:75], v[68:69]
	s_delay_alu instid0(VALU_DEP_1) | instskip(NEXT) | instid1(VALU_DEP_1)
	v_add_f64_e32 v[68:69], v[80:81], v[70:71]
	v_add_f64_e64 v[78:79], v[76:77], -v[68:69]
	v_add_f64_e64 v[80:81], v[68:69], -v[80:81]
	s_delay_alu instid0(VALU_DEP_2) | instskip(NEXT) | instid1(VALU_DEP_2)
	v_add_f64_e64 v[76:77], v[76:77], -v[78:79]
	v_add_f64_e64 v[70:71], v[80:81], -v[70:71]
	s_delay_alu instid0(VALU_DEP_2) | instskip(NEXT) | instid1(VALU_DEP_1)
	v_add_f64_e64 v[68:69], v[76:77], -v[68:69]
	v_add_f64_e32 v[68:69], v[70:71], v[68:69]
	s_delay_alu instid0(VALU_DEP_1) | instskip(NEXT) | instid1(VALU_DEP_1)
	v_add_f64_e32 v[68:69], v[78:79], v[68:69]
	v_mul_f64_e32 v[68:69], v[72:73], v[68:69]
	s_delay_alu instid0(VALU_DEP_1) | instskip(NEXT) | instid1(VALU_DEP_1)
	v_add_f64_e32 v[70:71], v[74:75], v[68:69]
	v_mul_f64_e32 v[72:73], v[70:71], v[70:71]
	s_delay_alu instid0(VALU_DEP_1) | instskip(SKIP_1) | instid1(VALU_DEP_2)
	v_fmamk_f64 v[76:77], v[72:73], 0x3fc3ab76bf559e2b, v[6:7]
	v_mul_f64_e32 v[78:79], v[70:71], v[72:73]
	v_fmaak_f64 v[76:77], v[72:73], v[76:77], 0x3fc7474dd7f4df2e
	s_delay_alu instid0(VALU_DEP_1) | instskip(NEXT) | instid1(VALU_DEP_1)
	v_fmaak_f64 v[76:77], v[72:73], v[76:77], 0x3fcc71c016291751
	v_fmaak_f64 v[76:77], v[72:73], v[76:77], 0x3fd249249b27acf1
	s_delay_alu instid0(VALU_DEP_1) | instskip(NEXT) | instid1(VALU_DEP_1)
	v_fmaak_f64 v[76:77], v[72:73], v[76:77], 0x3fd99999998ef7b6
	v_fmaak_f64 v[72:73], v[72:73], v[76:77], 0x3fe5555555555780
	v_ldexp_f64 v[76:77], v[70:71], 1
	v_add_f64_e64 v[70:71], v[70:71], -v[74:75]
	s_delay_alu instid0(VALU_DEP_3) | instskip(SKIP_1) | instid1(VALU_DEP_3)
	v_mul_f64_e32 v[72:73], v[78:79], v[72:73]
	v_cvt_f64_i32_e32 v[78:79], v62
	v_add_f64_e64 v[68:69], v[68:69], -v[70:71]
	s_delay_alu instid0(VALU_DEP_3) | instskip(NEXT) | instid1(VALU_DEP_3)
	v_add_f64_e32 v[74:75], v[76:77], v[72:73]
	v_mul_f64_e32 v[80:81], 0x3fe62e42fefa39ef, v[78:79]
	s_delay_alu instid0(VALU_DEP_3) | instskip(NEXT) | instid1(VALU_DEP_3)
	v_ldexp_f64 v[68:69], v[68:69], 1
	v_add_f64_e64 v[70:71], v[74:75], -v[76:77]
	s_delay_alu instid0(VALU_DEP_3) | instskip(NEXT) | instid1(VALU_DEP_2)
	v_fma_f64 v[76:77], v[78:79], s[16:17], -v[80:81]
	v_add_f64_e64 v[70:71], v[72:73], -v[70:71]
	s_delay_alu instid0(VALU_DEP_2) | instskip(NEXT) | instid1(VALU_DEP_2)
	v_fmac_f64_e32 v[76:77], 0x3c7abc9e3b39803f, v[78:79]
	v_add_f64_e32 v[68:69], v[68:69], v[70:71]
	s_delay_alu instid0(VALU_DEP_2) | instskip(NEXT) | instid1(VALU_DEP_2)
	v_add_f64_e32 v[70:71], v[80:81], v[76:77]
	v_add_f64_e32 v[72:73], v[74:75], v[68:69]
	s_delay_alu instid0(VALU_DEP_2) | instskip(NEXT) | instid1(VALU_DEP_2)
	v_add_f64_e64 v[80:81], v[70:71], -v[80:81]
	v_add_f64_e32 v[78:79], v[70:71], v[72:73]
	v_add_f64_e64 v[74:75], v[72:73], -v[74:75]
	s_delay_alu instid0(VALU_DEP_3) | instskip(NEXT) | instid1(VALU_DEP_3)
	v_add_f64_e64 v[76:77], v[76:77], -v[80:81]
	v_add_f64_e64 v[82:83], v[78:79], -v[70:71]
	s_delay_alu instid0(VALU_DEP_3) | instskip(NEXT) | instid1(VALU_DEP_2)
	v_add_f64_e64 v[68:69], v[68:69], -v[74:75]
	v_add_f64_e64 v[84:85], v[78:79], -v[82:83]
	;; [unrolled: 1-line block ×3, first 2 shown]
	s_delay_alu instid0(VALU_DEP_3) | instskip(NEXT) | instid1(VALU_DEP_3)
	v_add_f64_e32 v[74:75], v[76:77], v[68:69]
	v_add_f64_e64 v[70:71], v[70:71], -v[84:85]
	s_delay_alu instid0(VALU_DEP_1) | instskip(NEXT) | instid1(VALU_DEP_3)
	v_add_f64_e32 v[70:71], v[72:73], v[70:71]
	v_add_f64_e64 v[72:73], v[74:75], -v[76:77]
	s_delay_alu instid0(VALU_DEP_2) | instskip(NEXT) | instid1(VALU_DEP_2)
	v_add_f64_e32 v[70:71], v[74:75], v[70:71]
	v_add_f64_e64 v[74:75], v[74:75], -v[72:73]
	v_add_f64_e64 v[68:69], v[68:69], -v[72:73]
	s_delay_alu instid0(VALU_DEP_3) | instskip(NEXT) | instid1(VALU_DEP_3)
	v_add_f64_e32 v[80:81], v[78:79], v[70:71]
	v_add_f64_e64 v[72:73], v[76:77], -v[74:75]
	s_delay_alu instid0(VALU_DEP_2) | instskip(NEXT) | instid1(VALU_DEP_2)
	v_add_f64_e64 v[74:75], v[80:81], -v[78:79]
	v_add_f64_e32 v[68:69], v[68:69], v[72:73]
	s_delay_alu instid0(VALU_DEP_2) | instskip(NEXT) | instid1(VALU_DEP_1)
	v_add_f64_e64 v[70:71], v[70:71], -v[74:75]
	v_add_f64_e32 v[68:69], v[68:69], v[70:71]
	s_delay_alu instid0(VALU_DEP_1) | instskip(NEXT) | instid1(VALU_DEP_1)
	v_add_f64_e32 v[68:69], v[80:81], v[68:69]
	v_cndmask_b32_e32 v62, 0x7ff00000, v69, vcc_lo
	s_and_b32 vcc_lo, s4, vcc_lo
	s_delay_alu instid0(VALU_DEP_2) | instskip(NEXT) | instid1(VALU_DEP_2)
	v_cndmask_b32_e32 v68, 0, v68, vcc_lo
	v_cndmask_b32_e64 v69, 0xfff00000, v62, s4
	s_delay_alu instid0(VALU_DEP_1)
	v_fma_f64 v[68:69], |v[56:57]|, v[68:69], -|v[56:57]|
.LBB8_192:                              ;   in Loop: Header=BB8_145 Depth=1
	s_and_not1_saveexec_b32 s33, s33
	s_cbranch_execz .LBB8_194
; %bb.193:                              ;   in Loop: Header=BB8_145 Depth=1
	v_frexp_mant_f64_e64 v[68:69], |v[56:57]|
	v_cmp_neq_f64_e64 s4, 0, v[56:57]
	v_mov_b32_e32 v66, v56
	s_delay_alu instid0(VALU_DEP_1) | instskip(NEXT) | instid1(VALU_DEP_4)
	v_div_scale_f64 v[82:83], null, v[66:67], v[66:67], 1.0
	v_cmp_gt_f64_e32 vcc_lo, s[8:9], v[68:69]
	s_delay_alu instid0(VALU_DEP_2) | instskip(SKIP_1) | instid1(VALU_DEP_1)
	v_rcp_f64_e32 v[86:87], v[82:83]
	v_cndmask_b32_e64 v62, 0, 1, vcc_lo
	v_ldexp_f64 v[68:69], v[68:69], v62
	v_frexp_exp_i32_f64_e32 v62, v[56:57]
	s_delay_alu instid0(TRANS32_DEP_1) | instskip(NEXT) | instid1(VALU_DEP_3)
	v_fma_f64 v[90:91], -v[82:83], v[86:87], 1.0
	v_add_f64_e32 v[70:71], 1.0, v[68:69]
	v_add_f64_e32 v[76:77], -1.0, v[68:69]
	s_delay_alu instid0(VALU_DEP_4) | instskip(NEXT) | instid1(VALU_DEP_4)
	v_subrev_co_ci_u32_e64 v62, null, 0, v62, vcc_lo
	v_fmac_f64_e32 v[86:87], v[86:87], v[90:91]
	s_delay_alu instid0(VALU_DEP_4) | instskip(SKIP_1) | instid1(VALU_DEP_1)
	v_rcp_f64_e32 v[72:73], v[70:71]
	v_add_f64_e32 v[78:79], -1.0, v[70:71]
	v_add_f64_e64 v[68:69], v[68:69], -v[78:79]
	s_delay_alu instid0(TRANS32_DEP_1) | instskip(NEXT) | instid1(VALU_DEP_1)
	v_fma_f64 v[74:75], -v[70:71], v[72:73], 1.0
	v_fmac_f64_e32 v[72:73], v[74:75], v[72:73]
	s_delay_alu instid0(VALU_DEP_1) | instskip(NEXT) | instid1(VALU_DEP_1)
	v_fma_f64 v[74:75], -v[70:71], v[72:73], 1.0
	v_fmac_f64_e32 v[72:73], v[74:75], v[72:73]
	s_delay_alu instid0(VALU_DEP_1) | instskip(NEXT) | instid1(VALU_DEP_1)
	v_mul_f64_e32 v[74:75], v[76:77], v[72:73]
	v_mul_f64_e32 v[80:81], v[70:71], v[74:75]
	s_delay_alu instid0(VALU_DEP_1) | instskip(NEXT) | instid1(VALU_DEP_1)
	v_fma_f64 v[70:71], v[74:75], v[70:71], -v[80:81]
	v_fmac_f64_e32 v[70:71], v[74:75], v[68:69]
	s_delay_alu instid0(VALU_DEP_1) | instskip(NEXT) | instid1(VALU_DEP_1)
	v_add_f64_e32 v[68:69], v[80:81], v[70:71]
	v_add_f64_e64 v[78:79], v[76:77], -v[68:69]
	v_add_f64_e64 v[80:81], v[68:69], -v[80:81]
	s_delay_alu instid0(VALU_DEP_2) | instskip(NEXT) | instid1(VALU_DEP_2)
	v_add_f64_e64 v[76:77], v[76:77], -v[78:79]
	v_add_f64_e64 v[70:71], v[80:81], -v[70:71]
	s_delay_alu instid0(VALU_DEP_2) | instskip(NEXT) | instid1(VALU_DEP_1)
	v_add_f64_e64 v[68:69], v[76:77], -v[68:69]
	v_add_f64_e32 v[68:69], v[70:71], v[68:69]
	s_delay_alu instid0(VALU_DEP_1) | instskip(NEXT) | instid1(VALU_DEP_1)
	v_add_f64_e32 v[68:69], v[78:79], v[68:69]
	v_mul_f64_e32 v[68:69], v[72:73], v[68:69]
	s_delay_alu instid0(VALU_DEP_1) | instskip(NEXT) | instid1(VALU_DEP_1)
	v_add_f64_e32 v[70:71], v[74:75], v[68:69]
	v_mul_f64_e32 v[72:73], v[70:71], v[70:71]
	s_delay_alu instid0(VALU_DEP_1) | instskip(SKIP_1) | instid1(VALU_DEP_2)
	v_fmamk_f64 v[76:77], v[72:73], 0x3fc3ab76bf559e2b, v[6:7]
	v_mul_f64_e32 v[78:79], v[70:71], v[72:73]
	v_fmaak_f64 v[76:77], v[72:73], v[76:77], 0x3fc7474dd7f4df2e
	s_delay_alu instid0(VALU_DEP_1) | instskip(NEXT) | instid1(VALU_DEP_1)
	v_fmaak_f64 v[76:77], v[72:73], v[76:77], 0x3fcc71c016291751
	v_fmaak_f64 v[76:77], v[72:73], v[76:77], 0x3fd249249b27acf1
	s_delay_alu instid0(VALU_DEP_1) | instskip(NEXT) | instid1(VALU_DEP_1)
	v_fmaak_f64 v[76:77], v[72:73], v[76:77], 0x3fd99999998ef7b6
	v_fmaak_f64 v[72:73], v[72:73], v[76:77], 0x3fe5555555555780
	v_ldexp_f64 v[76:77], v[70:71], 1
	v_add_f64_e64 v[70:71], v[70:71], -v[74:75]
	s_delay_alu instid0(VALU_DEP_3) | instskip(SKIP_1) | instid1(VALU_DEP_3)
	v_mul_f64_e32 v[72:73], v[78:79], v[72:73]
	v_cvt_f64_i32_e32 v[78:79], v62
	v_add_f64_e64 v[68:69], v[68:69], -v[70:71]
	s_delay_alu instid0(VALU_DEP_3) | instskip(NEXT) | instid1(VALU_DEP_3)
	v_add_f64_e32 v[74:75], v[76:77], v[72:73]
	v_mul_f64_e32 v[80:81], 0x3fe62e42fefa39ef, v[78:79]
	s_delay_alu instid0(VALU_DEP_3) | instskip(NEXT) | instid1(VALU_DEP_3)
	v_ldexp_f64 v[68:69], v[68:69], 1
	v_add_f64_e64 v[70:71], v[74:75], -v[76:77]
	s_delay_alu instid0(VALU_DEP_3) | instskip(NEXT) | instid1(VALU_DEP_2)
	v_fma_f64 v[76:77], v[78:79], s[16:17], -v[80:81]
	v_add_f64_e64 v[70:71], v[72:73], -v[70:71]
	s_delay_alu instid0(VALU_DEP_2) | instskip(NEXT) | instid1(VALU_DEP_2)
	v_fmac_f64_e32 v[76:77], 0x3c7abc9e3b39803f, v[78:79]
	v_add_f64_e32 v[68:69], v[68:69], v[70:71]
	s_delay_alu instid0(VALU_DEP_2) | instskip(NEXT) | instid1(VALU_DEP_2)
	v_add_f64_e32 v[70:71], v[80:81], v[76:77]
	v_add_f64_e32 v[72:73], v[74:75], v[68:69]
	s_delay_alu instid0(VALU_DEP_2) | instskip(NEXT) | instid1(VALU_DEP_2)
	v_add_f64_e64 v[80:81], v[70:71], -v[80:81]
	v_add_f64_e32 v[78:79], v[70:71], v[72:73]
	v_add_f64_e64 v[74:75], v[72:73], -v[74:75]
	s_delay_alu instid0(VALU_DEP_3) | instskip(NEXT) | instid1(VALU_DEP_3)
	v_add_f64_e64 v[76:77], v[76:77], -v[80:81]
	v_add_f64_e64 v[84:85], v[78:79], -v[70:71]
	s_delay_alu instid0(VALU_DEP_3) | instskip(NEXT) | instid1(VALU_DEP_2)
	v_add_f64_e64 v[68:69], v[68:69], -v[74:75]
	v_add_f64_e64 v[88:89], v[78:79], -v[84:85]
	;; [unrolled: 1-line block ×3, first 2 shown]
	s_delay_alu instid0(VALU_DEP_3) | instskip(SKIP_1) | instid1(VALU_DEP_4)
	v_add_f64_e32 v[74:75], v[76:77], v[68:69]
	v_div_scale_f64 v[84:85], vcc_lo, 1.0, v[66:67], 1.0
	v_add_f64_e64 v[70:71], v[70:71], -v[88:89]
	s_delay_alu instid0(VALU_DEP_3) | instskip(NEXT) | instid1(VALU_DEP_2)
	v_add_f64_e64 v[80:81], v[74:75], -v[76:77]
	v_add_f64_e32 v[70:71], v[72:73], v[70:71]
	v_fma_f64 v[72:73], -v[82:83], v[86:87], 1.0
	s_delay_alu instid0(VALU_DEP_3) | instskip(NEXT) | instid1(VALU_DEP_3)
	v_add_f64_e64 v[68:69], v[68:69], -v[80:81]
	v_add_f64_e32 v[70:71], v[74:75], v[70:71]
	s_delay_alu instid0(VALU_DEP_3) | instskip(SKIP_1) | instid1(VALU_DEP_3)
	v_fmac_f64_e32 v[86:87], v[86:87], v[72:73]
	v_add_f64_e64 v[72:73], v[74:75], -v[80:81]
	v_add_f64_e32 v[74:75], v[78:79], v[70:71]
	s_delay_alu instid0(VALU_DEP_3) | instskip(NEXT) | instid1(VALU_DEP_3)
	v_mul_f64_e32 v[88:89], v[84:85], v[86:87]
	v_add_f64_e64 v[72:73], v[76:77], -v[72:73]
	s_delay_alu instid0(VALU_DEP_3) | instskip(NEXT) | instid1(VALU_DEP_3)
	v_add_f64_e64 v[76:77], v[74:75], -v[78:79]
	v_fma_f64 v[78:79], -v[82:83], v[88:89], v[84:85]
	s_delay_alu instid0(VALU_DEP_3) | instskip(NEXT) | instid1(VALU_DEP_3)
	v_add_f64_e32 v[68:69], v[68:69], v[72:73]
	v_add_f64_e64 v[70:71], v[70:71], -v[76:77]
	s_delay_alu instid0(VALU_DEP_3) | instskip(SKIP_2) | instid1(VALU_DEP_4)
	v_div_fmas_f64 v[72:73], v[78:79], v[86:87], v[88:89]
	v_cmp_neq_f64_e64 vcc_lo, 0x7ff00000, |v[56:57]|
	v_add_f64_e64 v[76:77], |v[56:57]|, -0.5
	v_add_f64_e32 v[68:69], v[68:69], v[70:71]
	s_delay_alu instid0(VALU_DEP_4) | instskip(NEXT) | instid1(VALU_DEP_2)
	v_div_fixup_f64 v[70:71], v[72:73], |v[56:57]|, 1.0
	v_add_f64_e32 v[68:69], v[74:75], v[68:69]
	s_delay_alu instid0(VALU_DEP_2) | instskip(NEXT) | instid1(VALU_DEP_2)
	v_mul_f64_e32 v[72:73], v[70:71], v[70:71]
	v_add_f64_e32 v[74:75], -1.0, v[68:69]
	s_delay_alu instid0(VALU_DEP_2) | instskip(NEXT) | instid1(VALU_DEP_1)
	v_fmamk_f64 v[68:69], v[72:73], 0xbf5ab89d0b9e43e4, v[8:9]
	v_fmaak_f64 v[68:69], v[72:73], v[68:69], 0xbf4380cb8c0fe741
	s_delay_alu instid0(VALU_DEP_1) | instskip(NEXT) | instid1(VALU_DEP_1)
	v_fmaak_f64 v[68:69], v[72:73], v[68:69], 0x3f4a019f98cf38b6
	v_fmaak_f64 v[68:69], v[72:73], v[68:69], 0xbf66c16c16b02e5c
	s_delay_alu instid0(VALU_DEP_1) | instskip(SKIP_2) | instid1(VALU_DEP_2)
	v_fmaak_f64 v[68:69], v[72:73], v[68:69], 0x3fb555555555553b
	v_cndmask_b32_e32 v62, 0x7ff00000, v75, vcc_lo
	s_and_b32 vcc_lo, s4, vcc_lo
	v_fmaak_f64 v[68:69], v[70:71], v[68:69], 0x3fdacfe390c97d69
	s_delay_alu instid0(VALU_DEP_2) | instskip(SKIP_1) | instid1(VALU_DEP_1)
	v_cndmask_b32_e64 v71, 0xfff00000, v62, s4
	v_cndmask_b32_e32 v70, 0, v74, vcc_lo
	v_fmac_f64_e32 v[68:69], v[76:77], v[70:71]
.LBB8_194:                              ;   in Loop: Header=BB8_145 Depth=1
	s_or_b32 exec_lo, exec_lo, s33
.LBB8_195:                              ;   in Loop: Header=BB8_145 Depth=1
	s_and_not1_saveexec_b32 s6, s6
	s_cbranch_execz .LBB8_197
; %bb.196:                              ;   in Loop: Header=BB8_145 Depth=1
	v_cvt_i32_f64_e32 v62, v[66:67]
	s_delay_alu instid0(VALU_DEP_1) | instskip(SKIP_2) | instid1(VALU_DEP_3)
	v_cvt_f64_i32_e32 v[68:69], v62
	v_cmp_lt_i32_e32 vcc_lo, 2, v62
	v_cmp_lt_i32_e64 s4, 3, v62
	v_add_f64_e64 v[68:69], |v[56:57]|, -v[68:69]
	s_delay_alu instid0(VALU_DEP_1) | instskip(SKIP_2) | instid1(VALU_DEP_2)
	v_add_f64_e32 v[74:75], 4.0, v[68:69]
	v_add_f64_e32 v[70:71], 2.0, v[68:69]
	v_add_f64_e32 v[72:73], 0x40080000, v[68:69]
	v_cndmask_b32_e32 v71, 0x3ff00000, v71, vcc_lo
	s_delay_alu instid0(VALU_DEP_3) | instskip(SKIP_1) | instid1(VALU_DEP_4)
	v_cndmask_b32_e32 v70, 0, v70, vcc_lo
	v_cmp_lt_i32_e32 vcc_lo, 4, v62
	v_cndmask_b32_e64 v73, 0x3ff00000, v73, s4
	v_cndmask_b32_e32 v75, 0x3ff00000, v75, vcc_lo
	v_dual_cndmask_b32 v74, 0, v74, vcc_lo :: v_dual_cndmask_b32 v72, 0, v72, s4
	v_cmp_lt_i32_e32 vcc_lo, 5, v62
	s_delay_alu instid0(VALU_DEP_2) | instskip(SKIP_1) | instid1(VALU_DEP_2)
	v_mul_f64_e32 v[70:71], v[70:71], v[72:73]
	v_add_f64_e32 v[72:73], 0x40140000, v[68:69]
	v_mul_f64_e32 v[70:71], v[74:75], v[70:71]
	v_add_f64_e32 v[74:75], 0x40180000, v[68:69]
	s_delay_alu instid0(VALU_DEP_3) | instskip(NEXT) | instid1(VALU_DEP_4)
	v_cndmask_b32_e32 v73, 0x3ff00000, v73, vcc_lo
	v_cndmask_b32_e32 v72, 0, v72, vcc_lo
	v_cmp_lt_i32_e32 vcc_lo, 6, v62
	s_delay_alu instid0(VALU_DEP_2) | instskip(SKIP_2) | instid1(VALU_DEP_1)
	v_mul_f64_e32 v[70:71], v[72:73], v[70:71]
	v_cndmask_b32_e32 v73, 0x3ff00000, v75, vcc_lo
	v_cndmask_b32_e32 v72, 0, v74, vcc_lo
	v_mul_f64_e32 v[70:71], v[72:73], v[70:71]
	s_delay_alu instid0(VALU_DEP_1) | instskip(NEXT) | instid1(VALU_DEP_1)
	v_frexp_mant_f64_e32 v[72:73], v[70:71]
	v_cmp_gt_f64_e32 vcc_lo, s[8:9], v[72:73]
	v_cndmask_b32_e64 v62, 0, 1, vcc_lo
	s_delay_alu instid0(VALU_DEP_1) | instskip(SKIP_1) | instid1(VALU_DEP_2)
	v_ldexp_f64 v[72:73], v[72:73], v62
	v_frexp_exp_i32_f64_e32 v62, v[70:71]
	v_add_f64_e32 v[74:75], 1.0, v[72:73]
	v_add_f64_e32 v[80:81], -1.0, v[72:73]
	s_delay_alu instid0(VALU_DEP_3) | instskip(NEXT) | instid1(VALU_DEP_3)
	v_subrev_co_ci_u32_e64 v62, null, 0, v62, vcc_lo
	v_rcp_f64_e32 v[76:77], v[74:75]
	v_add_f64_e32 v[82:83], -1.0, v[74:75]
	s_delay_alu instid0(VALU_DEP_1) | instskip(NEXT) | instid1(TRANS32_DEP_1)
	v_add_f64_e64 v[72:73], v[72:73], -v[82:83]
	v_fma_f64 v[78:79], -v[74:75], v[76:77], 1.0
	s_delay_alu instid0(VALU_DEP_1) | instskip(NEXT) | instid1(VALU_DEP_1)
	v_fmac_f64_e32 v[76:77], v[78:79], v[76:77]
	v_fma_f64 v[78:79], -v[74:75], v[76:77], 1.0
	s_delay_alu instid0(VALU_DEP_1) | instskip(NEXT) | instid1(VALU_DEP_1)
	v_fmac_f64_e32 v[76:77], v[78:79], v[76:77]
	v_mul_f64_e32 v[78:79], v[80:81], v[76:77]
	s_delay_alu instid0(VALU_DEP_1) | instskip(NEXT) | instid1(VALU_DEP_1)
	v_mul_f64_e32 v[84:85], v[74:75], v[78:79]
	v_fma_f64 v[74:75], v[78:79], v[74:75], -v[84:85]
	s_delay_alu instid0(VALU_DEP_1) | instskip(NEXT) | instid1(VALU_DEP_1)
	v_fmac_f64_e32 v[74:75], v[78:79], v[72:73]
	v_add_f64_e32 v[72:73], v[84:85], v[74:75]
	s_delay_alu instid0(VALU_DEP_1) | instskip(SKIP_1) | instid1(VALU_DEP_2)
	v_add_f64_e64 v[82:83], v[80:81], -v[72:73]
	v_add_f64_e64 v[84:85], v[72:73], -v[84:85]
	v_add_f64_e64 v[80:81], v[80:81], -v[82:83]
	s_delay_alu instid0(VALU_DEP_2) | instskip(NEXT) | instid1(VALU_DEP_2)
	v_add_f64_e64 v[74:75], v[84:85], -v[74:75]
	v_add_f64_e64 v[72:73], v[80:81], -v[72:73]
	s_delay_alu instid0(VALU_DEP_1) | instskip(NEXT) | instid1(VALU_DEP_1)
	v_add_f64_e32 v[72:73], v[74:75], v[72:73]
	v_add_f64_e32 v[72:73], v[82:83], v[72:73]
	s_delay_alu instid0(VALU_DEP_1) | instskip(NEXT) | instid1(VALU_DEP_1)
	v_mul_f64_e32 v[72:73], v[76:77], v[72:73]
	v_add_f64_e32 v[74:75], v[78:79], v[72:73]
	s_delay_alu instid0(VALU_DEP_1) | instskip(NEXT) | instid1(VALU_DEP_1)
	v_mul_f64_e32 v[76:77], v[74:75], v[74:75]
	v_fmamk_f64 v[80:81], v[76:77], 0x3fc3ab76bf559e2b, v[6:7]
	v_mul_f64_e32 v[82:83], v[74:75], v[76:77]
	s_delay_alu instid0(VALU_DEP_2) | instskip(NEXT) | instid1(VALU_DEP_1)
	v_fmaak_f64 v[80:81], v[76:77], v[80:81], 0x3fc7474dd7f4df2e
	v_fmaak_f64 v[80:81], v[76:77], v[80:81], 0x3fcc71c016291751
	s_delay_alu instid0(VALU_DEP_1) | instskip(NEXT) | instid1(VALU_DEP_1)
	v_fmaak_f64 v[80:81], v[76:77], v[80:81], 0x3fd249249b27acf1
	v_fmaak_f64 v[80:81], v[76:77], v[80:81], 0x3fd99999998ef7b6
	s_delay_alu instid0(VALU_DEP_1) | instskip(SKIP_2) | instid1(VALU_DEP_3)
	v_fmaak_f64 v[76:77], v[76:77], v[80:81], 0x3fe5555555555780
	v_ldexp_f64 v[80:81], v[74:75], 1
	v_add_f64_e64 v[74:75], v[74:75], -v[78:79]
	v_mul_f64_e32 v[76:77], v[82:83], v[76:77]
	v_cvt_f64_i32_e32 v[82:83], v62
	s_delay_alu instid0(VALU_DEP_3) | instskip(NEXT) | instid1(VALU_DEP_3)
	v_add_f64_e64 v[72:73], v[72:73], -v[74:75]
	v_add_f64_e32 v[78:79], v[80:81], v[76:77]
	s_delay_alu instid0(VALU_DEP_3) | instskip(NEXT) | instid1(VALU_DEP_3)
	v_mul_f64_e32 v[84:85], 0x3fe62e42fefa39ef, v[82:83]
	v_ldexp_f64 v[72:73], v[72:73], 1
	s_delay_alu instid0(VALU_DEP_3) | instskip(NEXT) | instid1(VALU_DEP_3)
	v_add_f64_e64 v[74:75], v[78:79], -v[80:81]
	v_fma_f64 v[80:81], v[82:83], s[16:17], -v[84:85]
	s_delay_alu instid0(VALU_DEP_2) | instskip(NEXT) | instid1(VALU_DEP_2)
	v_add_f64_e64 v[74:75], v[76:77], -v[74:75]
	v_fmac_f64_e32 v[80:81], 0x3c7abc9e3b39803f, v[82:83]
	v_fmamk_f64 v[76:77], v[68:69], 0x3f00bfecdd17e945, v[32:33]
	s_delay_alu instid0(VALU_DEP_1) | instskip(NEXT) | instid1(VALU_DEP_1)
	v_fmaak_f64 v[76:77], v[68:69], v[76:77], 0x3f9b481c7e939961
	v_fmaak_f64 v[76:77], v[68:69], v[76:77], 0x3fc2bb9cbee5f2f7
	s_delay_alu instid0(VALU_DEP_1) | instskip(NEXT) | instid1(VALU_DEP_1)
	v_fmaak_f64 v[76:77], v[68:69], v[76:77], 0x3fd4d98f4f139f59
	v_fmaak_f64 v[76:77], v[68:69], v[76:77], 0x3fcb848b36e20878
	v_add_f64_e32 v[72:73], v[72:73], v[74:75]
	v_fmamk_f64 v[74:75], v[68:69], 0x3edebaf7a5b38140, v[34:35]
	v_add_f64_e32 v[82:83], v[84:85], v[80:81]
	s_delay_alu instid0(VALU_DEP_4) | instskip(NEXT) | instid1(VALU_DEP_3)
	v_fmaak_f64 v[76:77], v[68:69], v[76:77], 0xbfb3c467e37db0c8
	v_fmaak_f64 v[74:75], v[68:69], v[74:75], 0x3f9317ea742ed475
	s_delay_alu instid0(VALU_DEP_2) | instskip(NEXT) | instid1(VALU_DEP_2)
	v_mul_f64_e32 v[76:77], v[68:69], v[76:77]
	v_fmaak_f64 v[74:75], v[68:69], v[74:75], 0x3fc601edccfbdf27
	s_delay_alu instid0(VALU_DEP_1) | instskip(NEXT) | instid1(VALU_DEP_1)
	v_fmaak_f64 v[74:75], v[68:69], v[74:75], 0x3fe71a1893d3dcdc
	v_fmaak_f64 v[74:75], v[68:69], v[74:75], 0x3ff645a762c4ab74
	v_add_f64_e32 v[86:87], v[78:79], v[72:73]
	v_add_f64_e64 v[84:85], v[82:83], -v[84:85]
	s_delay_alu instid0(VALU_DEP_3) | instskip(NEXT) | instid1(VALU_DEP_3)
	v_fma_f64 v[74:75], v[68:69], v[74:75], 1.0
	v_add_f64_e32 v[88:89], v[82:83], v[86:87]
	v_add_f64_e64 v[78:79], v[86:87], -v[78:79]
	s_delay_alu instid0(VALU_DEP_4) | instskip(NEXT) | instid1(VALU_DEP_4)
	v_add_f64_e64 v[80:81], v[80:81], -v[84:85]
	v_div_scale_f64 v[90:91], null, v[74:75], v[74:75], v[76:77]
	s_delay_alu instid0(VALU_DEP_4) | instskip(NEXT) | instid1(VALU_DEP_4)
	v_add_f64_e64 v[92:93], v[88:89], -v[82:83]
	v_add_f64_e64 v[72:73], v[72:73], -v[78:79]
	s_delay_alu instid0(VALU_DEP_3) | instskip(NEXT) | instid1(VALU_DEP_2)
	v_rcp_f64_e32 v[94:95], v[90:91]
	v_add_f64_e64 v[96:97], v[88:89], -v[92:93]
	v_add_f64_e64 v[78:79], v[86:87], -v[92:93]
	s_delay_alu instid0(VALU_DEP_3) | instskip(SKIP_1) | instid1(TRANS32_DEP_1)
	v_add_f64_e32 v[84:85], v[80:81], v[72:73]
	v_div_scale_f64 v[92:93], vcc_lo, v[76:77], v[74:75], v[76:77]
	v_fma_f64 v[98:99], -v[90:91], v[94:95], 1.0
	v_add_f64_e64 v[82:83], v[82:83], -v[96:97]
	s_delay_alu instid0(VALU_DEP_4) | instskip(NEXT) | instid1(VALU_DEP_3)
	v_add_f64_e64 v[86:87], v[84:85], -v[80:81]
	v_fmac_f64_e32 v[94:95], v[94:95], v[98:99]
	s_delay_alu instid0(VALU_DEP_3) | instskip(NEXT) | instid1(VALU_DEP_3)
	v_add_f64_e32 v[78:79], v[78:79], v[82:83]
	v_add_f64_e64 v[72:73], v[72:73], -v[86:87]
	s_delay_alu instid0(VALU_DEP_3) | instskip(NEXT) | instid1(VALU_DEP_3)
	v_fma_f64 v[82:83], -v[90:91], v[94:95], 1.0
	v_add_f64_e32 v[78:79], v[84:85], v[78:79]
	s_delay_alu instid0(VALU_DEP_2) | instskip(SKIP_1) | instid1(VALU_DEP_3)
	v_fmac_f64_e32 v[94:95], v[94:95], v[82:83]
	v_add_f64_e64 v[82:83], v[84:85], -v[86:87]
	v_add_f64_e32 v[84:85], v[88:89], v[78:79]
	s_delay_alu instid0(VALU_DEP_3) | instskip(NEXT) | instid1(VALU_DEP_3)
	v_mul_f64_e32 v[96:97], v[92:93], v[94:95]
	v_add_f64_e64 v[80:81], v[80:81], -v[82:83]
	s_delay_alu instid0(VALU_DEP_3) | instskip(NEXT) | instid1(VALU_DEP_3)
	v_add_f64_e64 v[82:83], v[84:85], -v[88:89]
	v_fma_f64 v[86:87], -v[90:91], v[96:97], v[92:93]
	s_delay_alu instid0(VALU_DEP_3) | instskip(NEXT) | instid1(VALU_DEP_3)
	v_add_f64_e32 v[72:73], v[72:73], v[80:81]
	v_add_f64_e64 v[78:79], v[78:79], -v[82:83]
	s_delay_alu instid0(VALU_DEP_3) | instskip(SKIP_1) | instid1(VALU_DEP_3)
	v_div_fmas_f64 v[80:81], v[86:87], v[94:95], v[96:97]
	v_cmp_class_f64_e64 vcc_lo, v[70:71], 0x204
	v_add_f64_e32 v[72:73], v[72:73], v[78:79]
	s_delay_alu instid0(VALU_DEP_3) | instskip(NEXT) | instid1(VALU_DEP_2)
	v_div_fixup_f64 v[74:75], v[80:81], v[74:75], v[76:77]
	v_add_f64_e32 v[72:73], v[84:85], v[72:73]
	s_delay_alu instid0(VALU_DEP_2) | instskip(NEXT) | instid1(VALU_DEP_2)
	v_fmac_f64_e32 v[74:75], 0.5, v[68:69]
	v_dual_cndmask_b32 v62, v72, v70, vcc_lo :: v_dual_cndmask_b32 v66, v73, v71, vcc_lo
	v_cmp_ngt_f64_e32 vcc_lo, 0, v[70:71]
	s_delay_alu instid0(VALU_DEP_2) | instskip(SKIP_1) | instid1(VALU_DEP_4)
	v_cndmask_b32_e32 v66, 0x7ff80000, v66, vcc_lo
	v_cmp_nge_f64_e32 vcc_lo, 0, v[70:71]
	v_cndmask_b32_e32 v68, 0, v62, vcc_lo
	v_cmp_neq_f64_e32 vcc_lo, 0, v[70:71]
	s_delay_alu instid0(VALU_DEP_4) | instskip(NEXT) | instid1(VALU_DEP_1)
	v_cndmask_b32_e32 v69, 0xfff00000, v66, vcc_lo
	v_add_f64_e32 v[68:69], v[74:75], v[68:69]
.LBB8_197:                              ;   in Loop: Header=BB8_145 Depth=1
	s_or_b32 exec_lo, exec_lo, s6
.LBB8_198:                              ;   in Loop: Header=BB8_145 Depth=1
	s_and_not1_saveexec_b32 s33, s5
	s_cbranch_execz .LBB8_212
; %bb.199:                              ;   in Loop: Header=BB8_145 Depth=1
                                        ; implicit-def: $vgpr62
                                        ; implicit-def: $vgpr70_vgpr71
	s_mov_b32 s4, exec_lo
	v_cmpx_lt_u32_e32 0x3feccccc, v67
	s_xor_b32 s5, exec_lo, s4
	s_cbranch_execz .LBB8_201
; %bb.200:                              ;   in Loop: Header=BB8_145 Depth=1
	v_add_f64_e64 v[68:69], -|v[56:57]|, 2.0
	v_add_f64_e64 v[70:71], |v[56:57]|, s[12:13]
	v_add_f64_e64 v[72:73], |v[56:57]|, -1.0
	v_cmp_gt_u32_e32 vcc_lo, 0x3ffbb4c3, v67
	v_cmp_gt_u32_e64 s4, 0x3ff3b4c4, v67
	s_delay_alu instid0(VALU_DEP_4) | instskip(SKIP_1) | instid1(VALU_DEP_2)
	v_dual_cndmask_b32 v62, v68, v70, vcc_lo :: v_dual_cndmask_b32 v66, v69, v71, vcc_lo
	v_cndmask_b32_e64 v68, 0, 1, vcc_lo
	v_cndmask_b32_e64 v70, v62, v72, s4
	s_delay_alu instid0(VALU_DEP_3) | instskip(NEXT) | instid1(VALU_DEP_3)
	v_cndmask_b32_e64 v71, v66, v73, s4
	v_cndmask_b32_e64 v62, v68, 2, s4
.LBB8_201:                              ;   in Loop: Header=BB8_145 Depth=1
	s_or_saveexec_b32 s40, s5
	v_mov_b64_e32 v[68:69], 0
	s_xor_b32 exec_lo, exec_lo, s40
	s_cbranch_execz .LBB8_203
; %bb.202:                              ;   in Loop: Header=BB8_145 Depth=1
	v_frexp_mant_f64_e64 v[68:69], |v[56:57]|
	v_cmp_gt_u32_e64 s6, 0x3fcda661, v67
	v_cmp_gt_u32_e64 s5, 0x3fe76944, v67
	v_cmp_neq_f64_e64 s4, 0, v[56:57]
	s_delay_alu instid0(VALU_DEP_4) | instskip(SKIP_1) | instid1(VALU_DEP_1)
	v_cmp_gt_f64_e32 vcc_lo, s[8:9], v[68:69]
	v_cndmask_b32_e64 v62, 0, 1, vcc_lo
	v_ldexp_f64 v[68:69], v[68:69], v62
	v_frexp_exp_i32_f64_e32 v62, v[56:57]
	s_delay_alu instid0(VALU_DEP_2) | instskip(SKIP_1) | instid1(VALU_DEP_3)
	v_add_f64_e32 v[70:71], 1.0, v[68:69]
	v_add_f64_e32 v[76:77], -1.0, v[68:69]
	v_subrev_co_ci_u32_e64 v62, null, 0, v62, vcc_lo
	v_cmp_neq_f64_e64 vcc_lo, 0x7ff00000, |v[56:57]|
	s_delay_alu instid0(VALU_DEP_4) | instskip(SKIP_1) | instid1(VALU_DEP_1)
	v_rcp_f64_e32 v[72:73], v[70:71]
	v_add_f64_e32 v[78:79], -1.0, v[70:71]
	v_add_f64_e64 v[68:69], v[68:69], -v[78:79]
	s_delay_alu instid0(TRANS32_DEP_1) | instskip(NEXT) | instid1(VALU_DEP_1)
	v_fma_f64 v[74:75], -v[70:71], v[72:73], 1.0
	v_fmac_f64_e32 v[72:73], v[74:75], v[72:73]
	s_delay_alu instid0(VALU_DEP_1) | instskip(NEXT) | instid1(VALU_DEP_1)
	v_fma_f64 v[74:75], -v[70:71], v[72:73], 1.0
	v_fmac_f64_e32 v[72:73], v[74:75], v[72:73]
	s_delay_alu instid0(VALU_DEP_1) | instskip(NEXT) | instid1(VALU_DEP_1)
	v_mul_f64_e32 v[74:75], v[76:77], v[72:73]
	v_mul_f64_e32 v[80:81], v[70:71], v[74:75]
	s_delay_alu instid0(VALU_DEP_1) | instskip(NEXT) | instid1(VALU_DEP_1)
	v_fma_f64 v[70:71], v[74:75], v[70:71], -v[80:81]
	v_fmac_f64_e32 v[70:71], v[74:75], v[68:69]
	s_delay_alu instid0(VALU_DEP_1) | instskip(NEXT) | instid1(VALU_DEP_1)
	v_add_f64_e32 v[68:69], v[80:81], v[70:71]
	v_add_f64_e64 v[78:79], v[76:77], -v[68:69]
	v_add_f64_e64 v[80:81], v[68:69], -v[80:81]
	s_delay_alu instid0(VALU_DEP_2) | instskip(NEXT) | instid1(VALU_DEP_2)
	v_add_f64_e64 v[76:77], v[76:77], -v[78:79]
	v_add_f64_e64 v[70:71], v[80:81], -v[70:71]
	s_delay_alu instid0(VALU_DEP_2) | instskip(NEXT) | instid1(VALU_DEP_1)
	v_add_f64_e64 v[68:69], v[76:77], -v[68:69]
	v_add_f64_e32 v[68:69], v[70:71], v[68:69]
	s_delay_alu instid0(VALU_DEP_1) | instskip(NEXT) | instid1(VALU_DEP_1)
	v_add_f64_e32 v[68:69], v[78:79], v[68:69]
	v_mul_f64_e32 v[68:69], v[72:73], v[68:69]
	s_delay_alu instid0(VALU_DEP_1) | instskip(NEXT) | instid1(VALU_DEP_1)
	v_add_f64_e32 v[70:71], v[74:75], v[68:69]
	v_mul_f64_e32 v[72:73], v[70:71], v[70:71]
	s_delay_alu instid0(VALU_DEP_1) | instskip(SKIP_1) | instid1(VALU_DEP_2)
	v_fmamk_f64 v[76:77], v[72:73], 0x3fc3ab76bf559e2b, v[6:7]
	v_mul_f64_e32 v[78:79], v[70:71], v[72:73]
	v_fmaak_f64 v[76:77], v[72:73], v[76:77], 0x3fc7474dd7f4df2e
	s_delay_alu instid0(VALU_DEP_1) | instskip(NEXT) | instid1(VALU_DEP_1)
	v_fmaak_f64 v[76:77], v[72:73], v[76:77], 0x3fcc71c016291751
	v_fmaak_f64 v[76:77], v[72:73], v[76:77], 0x3fd249249b27acf1
	s_delay_alu instid0(VALU_DEP_1) | instskip(NEXT) | instid1(VALU_DEP_1)
	v_fmaak_f64 v[76:77], v[72:73], v[76:77], 0x3fd99999998ef7b6
	v_fmaak_f64 v[72:73], v[72:73], v[76:77], 0x3fe5555555555780
	v_ldexp_f64 v[76:77], v[70:71], 1
	v_add_f64_e64 v[70:71], v[70:71], -v[74:75]
	s_delay_alu instid0(VALU_DEP_3) | instskip(SKIP_1) | instid1(VALU_DEP_3)
	v_mul_f64_e32 v[72:73], v[78:79], v[72:73]
	v_cvt_f64_i32_e32 v[78:79], v62
	v_add_f64_e64 v[68:69], v[68:69], -v[70:71]
	s_delay_alu instid0(VALU_DEP_3) | instskip(NEXT) | instid1(VALU_DEP_3)
	v_add_f64_e32 v[74:75], v[76:77], v[72:73]
	v_mul_f64_e32 v[80:81], 0x3fe62e42fefa39ef, v[78:79]
	s_delay_alu instid0(VALU_DEP_3) | instskip(NEXT) | instid1(VALU_DEP_3)
	v_ldexp_f64 v[68:69], v[68:69], 1
	v_add_f64_e64 v[70:71], v[74:75], -v[76:77]
	s_delay_alu instid0(VALU_DEP_3) | instskip(NEXT) | instid1(VALU_DEP_2)
	v_fma_f64 v[76:77], v[78:79], s[16:17], -v[80:81]
	v_add_f64_e64 v[70:71], v[72:73], -v[70:71]
	s_delay_alu instid0(VALU_DEP_2) | instskip(NEXT) | instid1(VALU_DEP_2)
	v_fmac_f64_e32 v[76:77], 0x3c7abc9e3b39803f, v[78:79]
	v_add_f64_e32 v[68:69], v[68:69], v[70:71]
	s_delay_alu instid0(VALU_DEP_2) | instskip(NEXT) | instid1(VALU_DEP_2)
	v_add_f64_e32 v[70:71], v[80:81], v[76:77]
	v_add_f64_e32 v[72:73], v[74:75], v[68:69]
	s_delay_alu instid0(VALU_DEP_2) | instskip(NEXT) | instid1(VALU_DEP_2)
	v_add_f64_e64 v[80:81], v[70:71], -v[80:81]
	v_add_f64_e32 v[78:79], v[70:71], v[72:73]
	v_add_f64_e64 v[74:75], v[72:73], -v[74:75]
	s_delay_alu instid0(VALU_DEP_3) | instskip(NEXT) | instid1(VALU_DEP_3)
	v_add_f64_e64 v[76:77], v[76:77], -v[80:81]
	v_add_f64_e64 v[82:83], v[78:79], -v[70:71]
	s_delay_alu instid0(VALU_DEP_3) | instskip(NEXT) | instid1(VALU_DEP_2)
	v_add_f64_e64 v[68:69], v[68:69], -v[74:75]
	v_add_f64_e64 v[84:85], v[78:79], -v[82:83]
	;; [unrolled: 1-line block ×3, first 2 shown]
	s_delay_alu instid0(VALU_DEP_3) | instskip(NEXT) | instid1(VALU_DEP_3)
	v_add_f64_e32 v[74:75], v[76:77], v[68:69]
	v_add_f64_e64 v[70:71], v[70:71], -v[84:85]
	s_delay_alu instid0(VALU_DEP_1) | instskip(NEXT) | instid1(VALU_DEP_3)
	v_add_f64_e32 v[70:71], v[72:73], v[70:71]
	v_add_f64_e64 v[72:73], v[74:75], -v[76:77]
	s_delay_alu instid0(VALU_DEP_2) | instskip(NEXT) | instid1(VALU_DEP_2)
	v_add_f64_e32 v[70:71], v[74:75], v[70:71]
	v_add_f64_e64 v[74:75], v[74:75], -v[72:73]
	v_add_f64_e64 v[68:69], v[68:69], -v[72:73]
	s_delay_alu instid0(VALU_DEP_3) | instskip(NEXT) | instid1(VALU_DEP_3)
	v_add_f64_e32 v[80:81], v[78:79], v[70:71]
	v_add_f64_e64 v[72:73], v[76:77], -v[74:75]
	s_delay_alu instid0(VALU_DEP_2) | instskip(NEXT) | instid1(VALU_DEP_2)
	v_add_f64_e64 v[74:75], v[80:81], -v[78:79]
	v_add_f64_e32 v[68:69], v[68:69], v[72:73]
	v_add_f64_e64 v[72:73], |v[56:57]|, s[14:15]
	s_delay_alu instid0(VALU_DEP_3) | instskip(NEXT) | instid1(VALU_DEP_1)
	v_add_f64_e64 v[70:71], v[70:71], -v[74:75]
	v_add_f64_e32 v[68:69], v[68:69], v[70:71]
	v_add_f64_e64 v[70:71], -|v[56:57]|, 1.0
	s_delay_alu instid0(VALU_DEP_2) | instskip(NEXT) | instid1(VALU_DEP_2)
	v_add_f64_e32 v[68:69], v[80:81], v[68:69]
	v_cndmask_b32_e64 v66, v70, v72, s5
	v_cndmask_b32_e64 v72, 0, 1, s5
	s_delay_alu instid0(VALU_DEP_2) | instskip(NEXT) | instid1(VALU_DEP_4)
	v_cndmask_b32_e64 v70, v66, v56, s6
	v_xor_b32_e32 v62, 0x80000000, v69
	v_cndmask_b32_e64 v69, v71, v73, s5
	s_delay_alu instid0(VALU_DEP_2)
	v_cndmask_b32_e32 v62, 0xfff00000, v62, vcc_lo
	s_and_b32 vcc_lo, s4, vcc_lo
	s_delay_alu instid0(VALU_DEP_2) | instid1(SALU_CYCLE_1)
	v_dual_cndmask_b32 v71, v69, v67, s6 :: v_dual_cndmask_b32 v68, 0, v68, vcc_lo
	s_delay_alu instid0(VALU_DEP_2)
	v_cndmask_b32_e64 v69, 0x7ff00000, v62, s4
	v_cndmask_b32_e64 v62, v72, 2, s6
.LBB8_203:                              ;   in Loop: Header=BB8_145 Depth=1
	s_or_b32 exec_lo, exec_lo, s40
	s_delay_alu instid0(SALU_CYCLE_1) | instskip(NEXT) | instid1(VALU_DEP_1)
	s_mov_b32 s4, exec_lo
                                        ; implicit-def: $vgpr72_vgpr73
	v_cmpx_lt_i32_e32 1, v62
	s_xor_b32 s4, exec_lo, s4
	s_cbranch_execz .LBB8_205
; %bb.204:                              ;   in Loop: Header=BB8_145 Depth=1
	v_fmamk_f64 v[72:73], v[70:71], 0x3f8b678bbf2bab09, v[36:37]
	v_fmamk_f64 v[74:75], v[70:71], 0x3f6a5abb57d0cf61, v[38:39]
                                        ; implicit-def: $vgpr62
	s_delay_alu instid0(VALU_DEP_2) | instskip(NEXT) | instid1(VALU_DEP_2)
	v_fmaak_f64 v[72:73], v[70:71], v[72:73], 0x3fef497644ea8450
	v_fmaak_f64 v[74:75], v[70:71], v[74:75], 0x3fe89dfbe45050af
	s_delay_alu instid0(VALU_DEP_2) | instskip(NEXT) | instid1(VALU_DEP_2)
	v_fmaak_f64 v[72:73], v[70:71], v[72:73], 0x3ff7475cd119bd6f
	v_fmaak_f64 v[74:75], v[70:71], v[74:75], 0x40010725a42b18f5
	;; [unrolled: 3-line block ×3, first 2 shown]
	s_delay_alu instid0(VALU_DEP_2) | instskip(NEXT) | instid1(VALU_DEP_2)
	v_fmaak_f64 v[72:73], v[70:71], v[72:73], 0xbfb3c467e37db0c8
	v_fma_f64 v[74:75], v[70:71], v[74:75], 1.0
	s_delay_alu instid0(VALU_DEP_2) | instskip(NEXT) | instid1(VALU_DEP_1)
	v_mul_f64_e32 v[72:73], v[70:71], v[72:73]
	v_div_scale_f64 v[76:77], null, v[74:75], v[74:75], v[72:73]
	s_delay_alu instid0(VALU_DEP_1) | instskip(SKIP_1) | instid1(TRANS32_DEP_1)
	v_rcp_f64_e32 v[78:79], v[76:77]
	v_nop
	v_fma_f64 v[80:81], -v[76:77], v[78:79], 1.0
	s_delay_alu instid0(VALU_DEP_1) | instskip(NEXT) | instid1(VALU_DEP_1)
	v_fmac_f64_e32 v[78:79], v[78:79], v[80:81]
	v_fma_f64 v[80:81], -v[76:77], v[78:79], 1.0
	s_delay_alu instid0(VALU_DEP_1) | instskip(SKIP_1) | instid1(VALU_DEP_1)
	v_fmac_f64_e32 v[78:79], v[78:79], v[80:81]
	v_div_scale_f64 v[80:81], vcc_lo, v[72:73], v[74:75], v[72:73]
	v_mul_f64_e32 v[82:83], v[80:81], v[78:79]
	s_delay_alu instid0(VALU_DEP_1) | instskip(NEXT) | instid1(VALU_DEP_1)
	v_fma_f64 v[76:77], -v[76:77], v[82:83], v[80:81]
	v_div_fmas_f64 v[76:77], v[76:77], v[78:79], v[82:83]
	s_delay_alu instid0(VALU_DEP_1) | instskip(NEXT) | instid1(VALU_DEP_1)
	v_div_fixup_f64 v[72:73], v[76:77], v[74:75], v[72:73]
	v_fmac_f64_e32 v[72:73], -0.5, v[70:71]
                                        ; implicit-def: $vgpr70_vgpr71
.LBB8_205:                              ;   in Loop: Header=BB8_145 Depth=1
	s_and_not1_saveexec_b32 s4, s4
	s_cbranch_execz .LBB8_211
; %bb.206:                              ;   in Loop: Header=BB8_145 Depth=1
	s_mov_b32 s5, exec_lo
                                        ; implicit-def: $vgpr72_vgpr73
	v_cmpx_ne_u32_e32 1, v62
	s_xor_b32 s5, exec_lo, s5
	s_cbranch_execz .LBB8_208
; %bb.207:                              ;   in Loop: Header=BB8_145 Depth=1
	v_mul_f64_e32 v[74:75], v[70:71], v[70:71]
	s_delay_alu instid0(VALU_DEP_1) | instskip(SKIP_1) | instid1(VALU_DEP_2)
	v_fmamk_f64 v[72:73], v[74:75], 0x3f07858e90a45837, v[42:43]
	v_fmamk_f64 v[76:77], v[74:75], 0x3efa7074428cfa52, v[40:41]
	v_fmaak_f64 v[72:73], v[74:75], v[72:73], 0x3f40b6c689b99c00
	s_delay_alu instid0(VALU_DEP_2) | instskip(NEXT) | instid1(VALU_DEP_2)
	v_fmaak_f64 v[76:77], v[74:75], v[76:77], 0x3f538a94116f3f5d
	v_fmaak_f64 v[72:73], v[74:75], v[72:73], 0x3f67add8ccb7926b
	s_delay_alu instid0(VALU_DEP_2) | instskip(NEXT) | instid1(VALU_DEP_2)
	v_fmaak_f64 v[76:77], v[74:75], v[76:77], 0x3f7e404fb68fefe8
	;; [unrolled: 3-line block ×3, first 2 shown]
	v_fmaak_f64 v[72:73], v[74:75], v[72:73], 0x3fd4a34cc4a60fad
	s_delay_alu instid0(VALU_DEP_1) | instskip(NEXT) | instid1(VALU_DEP_3)
	v_mul_f64_e32 v[72:73], v[74:75], v[72:73]
	v_fmaak_f64 v[74:75], v[74:75], v[76:77], 0x3fb3c467e37db0c8
	s_delay_alu instid0(VALU_DEP_1) | instskip(NEXT) | instid1(VALU_DEP_1)
	v_fmac_f64_e32 v[72:73], v[70:71], v[74:75]
	v_fmac_f64_e32 v[72:73], -0.5, v[70:71]
                                        ; implicit-def: $vgpr70_vgpr71
.LBB8_208:                              ;   in Loop: Header=BB8_145 Depth=1
	s_and_not1_saveexec_b32 s5, s5
	s_cbranch_execz .LBB8_210
; %bb.209:                              ;   in Loop: Header=BB8_145 Depth=1
	v_mul_f64_e32 v[72:73], v[70:71], v[70:71]
	s_delay_alu instid0(VALU_DEP_1) | instskip(NEXT) | instid1(VALU_DEP_1)
	v_mul_f64_e32 v[74:75], v[70:71], v[72:73]
	v_fmamk_f64 v[76:77], v[74:75], 0xbf347f24ecc38c38, v[46:47]
	v_fmamk_f64 v[78:79], v[74:75], 0x3f35fd3ee8c2d3f4, v[48:49]
	s_delay_alu instid0(VALU_DEP_2) | instskip(NEXT) | instid1(VALU_DEP_2)
	v_fmaak_f64 v[76:77], v[74:75], v[76:77], 0xbf6e2effb3e914d7
	v_fmaak_f64 v[78:79], v[74:75], v[78:79], 0x3f6282d32e15c915
	s_delay_alu instid0(VALU_DEP_2) | instskip(NEXT) | instid1(VALU_DEP_2)
	v_fmaak_f64 v[76:77], v[74:75], v[76:77], 0x3f9266e7970af9ec
	v_fmaak_f64 v[78:79], v[74:75], v[78:79], 0xbf851f9fba91ec6a
	;; [unrolled: 3-line block ×3, first 2 shown]
	s_delay_alu instid0(VALU_DEP_1) | instskip(NEXT) | instid1(VALU_DEP_1)
	v_fmac_f64_e32 v[76:77], v[70:71], v[78:79]
	v_fma_f64 v[70:71], v[74:75], -v[76:77], s[18:19]
	v_fmamk_f64 v[76:77], v[74:75], 0x3f34af6d6c0ebbf7, v[44:45]
	s_delay_alu instid0(VALU_DEP_1) | instskip(NEXT) | instid1(VALU_DEP_1)
	v_fmaak_f64 v[76:77], v[74:75], v[76:77], 0x3f78fce0e370e344
	v_fmaak_f64 v[76:77], v[74:75], v[76:77], 0xbfa0c9a8df35b713
	s_delay_alu instid0(VALU_DEP_1) | instskip(NEXT) | instid1(VALU_DEP_1)
	v_fmaak_f64 v[74:75], v[74:75], v[76:77], 0x3fdef72bc8ee38a2
	v_fma_f64 v[70:71], v[72:73], v[74:75], -v[70:71]
	s_delay_alu instid0(VALU_DEP_1)
	v_add_f64_e32 v[72:73], 0xbfbf19b9bcc38a42, v[70:71]
.LBB8_210:                              ;   in Loop: Header=BB8_145 Depth=1
	s_or_b32 exec_lo, exec_lo, s5
.LBB8_211:                              ;   in Loop: Header=BB8_145 Depth=1
	s_delay_alu instid0(SALU_CYCLE_1) | instskip(NEXT) | instid1(VALU_DEP_1)
	s_or_b32 exec_lo, exec_lo, s4
	v_add_f64_e32 v[68:69], v[68:69], v[72:73]
.LBB8_212:                              ;   in Loop: Header=BB8_145 Depth=1
	s_or_b32 exec_lo, exec_lo, s33
.LBB8_213:                              ;   in Loop: Header=BB8_145 Depth=1
	s_and_not1_saveexec_b32 s5, s7
	s_cbranch_execz .LBB8_215
; %bb.214:                              ;   in Loop: Header=BB8_145 Depth=1
	v_frexp_mant_f64_e64 v[68:69], |v[56:57]|
	v_cmp_neq_f64_e64 s4, 0, v[56:57]
	s_delay_alu instid0(VALU_DEP_2) | instskip(SKIP_1) | instid1(VALU_DEP_1)
	v_cmp_gt_f64_e32 vcc_lo, s[8:9], v[68:69]
	v_cndmask_b32_e64 v62, 0, 1, vcc_lo
	v_ldexp_f64 v[68:69], v[68:69], v62
	v_frexp_exp_i32_f64_e32 v62, v[56:57]
	s_delay_alu instid0(VALU_DEP_2) | instskip(SKIP_1) | instid1(VALU_DEP_3)
	v_add_f64_e32 v[70:71], 1.0, v[68:69]
	v_add_f64_e32 v[76:77], -1.0, v[68:69]
	v_subrev_co_ci_u32_e64 v62, null, 0, v62, vcc_lo
	v_cmp_neq_f64_e64 vcc_lo, 0x7ff00000, |v[56:57]|
	s_delay_alu instid0(VALU_DEP_4) | instskip(SKIP_1) | instid1(VALU_DEP_1)
	v_rcp_f64_e32 v[72:73], v[70:71]
	v_add_f64_e32 v[78:79], -1.0, v[70:71]
	v_add_f64_e64 v[68:69], v[68:69], -v[78:79]
	s_delay_alu instid0(TRANS32_DEP_1) | instskip(NEXT) | instid1(VALU_DEP_1)
	v_fma_f64 v[74:75], -v[70:71], v[72:73], 1.0
	v_fmac_f64_e32 v[72:73], v[74:75], v[72:73]
	s_delay_alu instid0(VALU_DEP_1) | instskip(NEXT) | instid1(VALU_DEP_1)
	v_fma_f64 v[74:75], -v[70:71], v[72:73], 1.0
	v_fmac_f64_e32 v[72:73], v[74:75], v[72:73]
	s_delay_alu instid0(VALU_DEP_1) | instskip(NEXT) | instid1(VALU_DEP_1)
	v_mul_f64_e32 v[74:75], v[76:77], v[72:73]
	v_mul_f64_e32 v[80:81], v[70:71], v[74:75]
	s_delay_alu instid0(VALU_DEP_1) | instskip(NEXT) | instid1(VALU_DEP_1)
	v_fma_f64 v[70:71], v[74:75], v[70:71], -v[80:81]
	v_fmac_f64_e32 v[70:71], v[74:75], v[68:69]
	s_delay_alu instid0(VALU_DEP_1) | instskip(NEXT) | instid1(VALU_DEP_1)
	v_add_f64_e32 v[68:69], v[80:81], v[70:71]
	v_add_f64_e64 v[78:79], v[76:77], -v[68:69]
	v_add_f64_e64 v[80:81], v[68:69], -v[80:81]
	s_delay_alu instid0(VALU_DEP_2) | instskip(NEXT) | instid1(VALU_DEP_2)
	v_add_f64_e64 v[76:77], v[76:77], -v[78:79]
	v_add_f64_e64 v[70:71], v[80:81], -v[70:71]
	s_delay_alu instid0(VALU_DEP_2) | instskip(NEXT) | instid1(VALU_DEP_1)
	v_add_f64_e64 v[68:69], v[76:77], -v[68:69]
	v_add_f64_e32 v[68:69], v[70:71], v[68:69]
	s_delay_alu instid0(VALU_DEP_1) | instskip(NEXT) | instid1(VALU_DEP_1)
	v_add_f64_e32 v[68:69], v[78:79], v[68:69]
	v_mul_f64_e32 v[68:69], v[72:73], v[68:69]
	s_delay_alu instid0(VALU_DEP_1) | instskip(NEXT) | instid1(VALU_DEP_1)
	v_add_f64_e32 v[70:71], v[74:75], v[68:69]
	v_mul_f64_e32 v[72:73], v[70:71], v[70:71]
	s_delay_alu instid0(VALU_DEP_1) | instskip(SKIP_1) | instid1(VALU_DEP_2)
	v_fmamk_f64 v[76:77], v[72:73], 0x3fc3ab76bf559e2b, v[6:7]
	v_mul_f64_e32 v[78:79], v[70:71], v[72:73]
	v_fmaak_f64 v[76:77], v[72:73], v[76:77], 0x3fc7474dd7f4df2e
	s_delay_alu instid0(VALU_DEP_1) | instskip(NEXT) | instid1(VALU_DEP_1)
	v_fmaak_f64 v[76:77], v[72:73], v[76:77], 0x3fcc71c016291751
	v_fmaak_f64 v[76:77], v[72:73], v[76:77], 0x3fd249249b27acf1
	s_delay_alu instid0(VALU_DEP_1) | instskip(NEXT) | instid1(VALU_DEP_1)
	v_fmaak_f64 v[76:77], v[72:73], v[76:77], 0x3fd99999998ef7b6
	v_fmaak_f64 v[72:73], v[72:73], v[76:77], 0x3fe5555555555780
	v_ldexp_f64 v[76:77], v[70:71], 1
	v_add_f64_e64 v[70:71], v[70:71], -v[74:75]
	s_delay_alu instid0(VALU_DEP_3) | instskip(SKIP_1) | instid1(VALU_DEP_3)
	v_mul_f64_e32 v[72:73], v[78:79], v[72:73]
	v_cvt_f64_i32_e32 v[78:79], v62
	v_add_f64_e64 v[68:69], v[68:69], -v[70:71]
	s_delay_alu instid0(VALU_DEP_3) | instskip(NEXT) | instid1(VALU_DEP_3)
	v_add_f64_e32 v[74:75], v[76:77], v[72:73]
	v_mul_f64_e32 v[80:81], 0x3fe62e42fefa39ef, v[78:79]
	s_delay_alu instid0(VALU_DEP_3) | instskip(NEXT) | instid1(VALU_DEP_3)
	v_ldexp_f64 v[68:69], v[68:69], 1
	v_add_f64_e64 v[70:71], v[74:75], -v[76:77]
	s_delay_alu instid0(VALU_DEP_3) | instskip(NEXT) | instid1(VALU_DEP_2)
	v_fma_f64 v[76:77], v[78:79], s[16:17], -v[80:81]
	v_add_f64_e64 v[70:71], v[72:73], -v[70:71]
	s_delay_alu instid0(VALU_DEP_2) | instskip(NEXT) | instid1(VALU_DEP_2)
	v_fmac_f64_e32 v[76:77], 0x3c7abc9e3b39803f, v[78:79]
	v_add_f64_e32 v[68:69], v[68:69], v[70:71]
	s_delay_alu instid0(VALU_DEP_2) | instskip(NEXT) | instid1(VALU_DEP_2)
	v_add_f64_e32 v[70:71], v[80:81], v[76:77]
	v_add_f64_e32 v[72:73], v[74:75], v[68:69]
	s_delay_alu instid0(VALU_DEP_2) | instskip(NEXT) | instid1(VALU_DEP_2)
	v_add_f64_e64 v[80:81], v[70:71], -v[80:81]
	v_add_f64_e32 v[78:79], v[70:71], v[72:73]
	v_add_f64_e64 v[74:75], v[72:73], -v[74:75]
	s_delay_alu instid0(VALU_DEP_3) | instskip(NEXT) | instid1(VALU_DEP_3)
	v_add_f64_e64 v[76:77], v[76:77], -v[80:81]
	v_add_f64_e64 v[82:83], v[78:79], -v[70:71]
	s_delay_alu instid0(VALU_DEP_3) | instskip(NEXT) | instid1(VALU_DEP_2)
	v_add_f64_e64 v[68:69], v[68:69], -v[74:75]
	v_add_f64_e64 v[84:85], v[78:79], -v[82:83]
	;; [unrolled: 1-line block ×3, first 2 shown]
	s_delay_alu instid0(VALU_DEP_3) | instskip(NEXT) | instid1(VALU_DEP_3)
	v_add_f64_e32 v[74:75], v[76:77], v[68:69]
	v_add_f64_e64 v[70:71], v[70:71], -v[84:85]
	s_delay_alu instid0(VALU_DEP_1) | instskip(NEXT) | instid1(VALU_DEP_3)
	v_add_f64_e32 v[70:71], v[72:73], v[70:71]
	v_add_f64_e64 v[72:73], v[74:75], -v[76:77]
	s_delay_alu instid0(VALU_DEP_2) | instskip(NEXT) | instid1(VALU_DEP_2)
	v_add_f64_e32 v[70:71], v[74:75], v[70:71]
	v_add_f64_e64 v[74:75], v[74:75], -v[72:73]
	v_add_f64_e64 v[68:69], v[68:69], -v[72:73]
	s_delay_alu instid0(VALU_DEP_3) | instskip(NEXT) | instid1(VALU_DEP_3)
	v_add_f64_e32 v[80:81], v[78:79], v[70:71]
	v_add_f64_e64 v[72:73], v[76:77], -v[74:75]
	s_delay_alu instid0(VALU_DEP_2) | instskip(NEXT) | instid1(VALU_DEP_2)
	v_add_f64_e64 v[74:75], v[80:81], -v[78:79]
	v_add_f64_e32 v[68:69], v[68:69], v[72:73]
	v_fma_f64 v[72:73], |v[56:57]|, s[22:23], s[20:21]
	s_delay_alu instid0(VALU_DEP_3) | instskip(NEXT) | instid1(VALU_DEP_1)
	v_add_f64_e64 v[70:71], v[70:71], -v[74:75]
	v_add_f64_e32 v[68:69], v[68:69], v[70:71]
	s_delay_alu instid0(VALU_DEP_3) | instskip(NEXT) | instid1(VALU_DEP_2)
	v_fma_f64 v[70:71], |v[56:57]|, v[72:73], s[24:25]
	v_add_f64_e32 v[68:69], v[80:81], v[68:69]
	s_delay_alu instid0(VALU_DEP_2) | instskip(NEXT) | instid1(VALU_DEP_2)
	v_fma_f64 v[70:71], |v[56:57]|, v[70:71], s[26:27]
	v_xor_b32_e32 v62, 0x80000000, v69
	s_delay_alu instid0(VALU_DEP_2) | instskip(NEXT) | instid1(VALU_DEP_2)
	v_fma_f64 v[70:71], |v[56:57]|, v[70:71], s[28:29]
	v_cndmask_b32_e32 v62, 0xfff00000, v62, vcc_lo
	s_and_b32 vcc_lo, s4, vcc_lo
	v_cndmask_b32_e32 v68, 0, v68, vcc_lo
	s_delay_alu instid0(VALU_DEP_2) | instskip(NEXT) | instid1(VALU_DEP_1)
	v_cndmask_b32_e64 v69, 0x7ff00000, v62, s4
	v_fma_f64 v[68:69], |v[56:57]|, v[70:71], v[68:69]
.LBB8_215:                              ;   in Loop: Header=BB8_145 Depth=1
	s_or_b32 exec_lo, exec_lo, s5
	s_delay_alu instid0(SALU_CYCLE_1)
	s_mov_b32 s4, exec_lo
	v_cmpx_le_f64_e32 0, v[56:57]
	s_xor_b32 s5, exec_lo, s4
	s_cbranch_execz .LBB8_217
; %bb.216:                              ;   in Loop: Header=BB8_145 Depth=1
	v_cmp_eq_f64_e32 vcc_lo, 1.0, v[56:57]
	v_cmp_eq_f64_e64 s4, 2.0, v[56:57]
	s_or_b32 s4, vcc_lo, s4
	s_delay_alu instid0(SALU_CYCLE_1)
	v_cndmask_b32_e64 v69, v69, 0, s4
	v_cndmask_b32_e64 v68, v68, 0, s4
.LBB8_217:                              ;   in Loop: Header=BB8_145 Depth=1
	s_and_not1_saveexec_b32 s5, s5
	s_cbranch_execz .LBB8_221
; %bb.218:                              ;   in Loop: Header=BB8_145 Depth=1
	v_add_nc_u32_e32 v62, 0xc32fffff, v67
	s_mov_b32 s6, exec_lo
	s_delay_alu instid0(VALU_DEP_1)
	v_cmpx_gt_u32_e32 0x65fffff, v62
	s_cbranch_execz .LBB8_220
; %bb.219:                              ;   in Loop: Header=BB8_145 Depth=1
	v_mul_f64_e64 v[70:71], |v[56:57]|, 0.5
	v_cmp_class_f64_e64 s4, v[56:57], 0x1f8
	s_delay_alu instid0(VALU_DEP_2) | instskip(SKIP_1) | instid1(VALU_DEP_2)
	v_fract_f64_e32 v[72:73], v[70:71]
	v_cmp_neq_f64_e64 vcc_lo, 0x7ff00000, |v[70:71]|
	v_add_f64_e32 v[72:73], v[72:73], v[72:73]
	s_delay_alu instid0(VALU_DEP_1) | instskip(SKIP_1) | instid1(VALU_DEP_2)
	v_dual_cndmask_b32 v62, 0, v72, vcc_lo :: v_dual_cndmask_b32 v66, 0, v73, vcc_lo
	v_cmp_gt_f64_e64 vcc_lo, |v[56:57]|, 1.0
	v_cndmask_b32_e32 v71, v67, v66, vcc_lo
	s_delay_alu instid0(VALU_DEP_3) | instskip(NEXT) | instid1(VALU_DEP_1)
	v_cndmask_b32_e32 v70, v56, v62, vcc_lo
	v_add_f64_e32 v[72:73], v[70:71], v[70:71]
	s_delay_alu instid0(VALU_DEP_1) | instskip(NEXT) | instid1(VALU_DEP_1)
	v_rndne_f64_e32 v[72:73], v[72:73]
	v_cvt_i32_f64_e32 v62, v[72:73]
	v_fmac_f64_e32 v[70:71], -0.5, v[72:73]
	s_delay_alu instid0(VALU_DEP_2) | instskip(NEXT) | instid1(VALU_DEP_1)
	v_dual_lshlrev_b32 v62, 30, v62 :: v_dual_bitop2_b32 v66, 1, v62 bitop3:0x40
	v_cmp_eq_u32_e32 vcc_lo, 0, v66
	s_delay_alu instid0(VALU_DEP_3) | instskip(NEXT) | instid1(VALU_DEP_1)
	v_mul_f64_e32 v[74:75], v[70:71], v[70:71]
	v_fmamk_f64 v[76:77], v[74:75], 0x3f3e357ef99eb0bb, v[50:51]
	v_mul_f64_e32 v[78:79], v[70:71], v[74:75]
	v_fmamk_f64 v[80:81], v[74:75], 0xbf1b167302e21c33, v[52:53]
	s_delay_alu instid0(VALU_DEP_3) | instskip(NEXT) | instid1(VALU_DEP_2)
	v_fmaak_f64 v[76:77], v[74:75], v[76:77], 0x3fb50782d5f14825
	v_fmaak_f64 v[80:81], v[74:75], v[80:81], 0xbf9a6d1e7294bff9
	s_delay_alu instid0(VALU_DEP_2) | instskip(NEXT) | instid1(VALU_DEP_1)
	v_fmaak_f64 v[76:77], v[74:75], v[76:77], 0xbfe32d2ccdfe9424
	v_fmaak_f64 v[76:77], v[74:75], v[76:77], 0x400466bc67754fff
	s_delay_alu instid0(VALU_DEP_1) | instskip(NEXT) | instid1(VALU_DEP_1)
	v_fmaak_f64 v[76:77], v[74:75], v[76:77], 0xc014abbce625be09
	v_mul_f64_e32 v[76:77], v[78:79], v[76:77]
	v_fmaak_f64 v[78:79], v[74:75], v[80:81], 0x3fce1f5067b90b37
	s_delay_alu instid0(VALU_DEP_1) | instskip(NEXT) | instid1(VALU_DEP_1)
	v_fmaak_f64 v[78:79], v[74:75], v[78:79], 0xbff55d3c7e3c325b
	v_fmaak_f64 v[78:79], v[74:75], v[78:79], 0x40103c1f081b5a67
	s_delay_alu instid0(VALU_DEP_1) | instskip(NEXT) | instid1(VALU_DEP_1)
	v_fmaak_f64 v[78:79], v[74:75], v[78:79], 0xc013bd3cc9be45de
	v_fma_f64 v[72:73], v[74:75], v[78:79], 1.0
	v_fmac_f64_e32 v[76:77], 0x400921fb54442d18, v[70:71]
	s_delay_alu instid0(VALU_DEP_1) | instskip(NEXT) | instid1(VALU_DEP_2)
	v_dual_cndmask_b32 v66, v72, v76, vcc_lo :: v_dual_bitop2_b32 v62, v62, v57 bitop3:0x14
	v_cndmask_b32_e32 v70, v73, v77, vcc_lo
	s_delay_alu instid0(VALU_DEP_1) | instskip(NEXT) | instid1(VALU_DEP_3)
	v_bitop3_b32 v62, v70, v62, 0x80000000 bitop3:0x78
	v_cndmask_b32_e64 v70, 0, v66, s4
	s_delay_alu instid0(VALU_DEP_2) | instskip(SKIP_1) | instid1(VALU_DEP_2)
	v_cndmask_b32_e64 v71, 0x7ff80000, v62, s4
	v_cmp_class_f64_e64 s4, v[56:57], 0x204
	v_mul_f64_e32 v[70:71], v[56:57], v[70:71]
	s_delay_alu instid0(VALU_DEP_1) | instskip(NEXT) | instid1(VALU_DEP_2)
	v_and_b32_e32 v73, 0x7fffffff, v71
	v_mov_b32_e32 v72, v70
	s_delay_alu instid0(VALU_DEP_1) | instskip(SKIP_1) | instid1(VALU_DEP_2)
	v_div_scale_f64 v[74:75], null, v[72:73], v[72:73], s[30:31]
	v_div_scale_f64 v[72:73], vcc_lo, s[30:31], v[72:73], s[30:31]
	v_rcp_f64_e32 v[76:77], v[74:75]
	v_nop
	s_delay_alu instid0(TRANS32_DEP_1) | instskip(NEXT) | instid1(VALU_DEP_1)
	v_fma_f64 v[78:79], -v[74:75], v[76:77], 1.0
	v_fmac_f64_e32 v[76:77], v[76:77], v[78:79]
	s_delay_alu instid0(VALU_DEP_1) | instskip(NEXT) | instid1(VALU_DEP_1)
	v_fma_f64 v[78:79], -v[74:75], v[76:77], 1.0
	v_fmac_f64_e32 v[76:77], v[76:77], v[78:79]
	s_delay_alu instid0(VALU_DEP_1) | instskip(NEXT) | instid1(VALU_DEP_1)
	v_mul_f64_e32 v[78:79], v[72:73], v[76:77]
	v_fma_f64 v[72:73], -v[74:75], v[78:79], v[72:73]
	s_delay_alu instid0(VALU_DEP_1) | instskip(NEXT) | instid1(VALU_DEP_1)
	v_div_fmas_f64 v[72:73], v[72:73], v[76:77], v[78:79]
	v_div_fixup_f64 v[70:71], v[72:73], |v[70:71]|, s[30:31]
	s_delay_alu instid0(VALU_DEP_1) | instskip(NEXT) | instid1(VALU_DEP_1)
	v_frexp_mant_f64_e32 v[72:73], v[70:71]
	v_cmp_gt_f64_e32 vcc_lo, s[8:9], v[72:73]
	v_cndmask_b32_e64 v62, 0, 1, vcc_lo
	s_delay_alu instid0(VALU_DEP_1) | instskip(SKIP_1) | instid1(VALU_DEP_1)
	v_ldexp_f64 v[72:73], v[72:73], v62
	v_frexp_exp_i32_f64_e32 v62, v[70:71]
	v_subrev_co_ci_u32_e64 v62, null, 0, v62, vcc_lo
	v_cmp_class_f64_e64 vcc_lo, v[70:71], 0x204
	s_delay_alu instid0(VALU_DEP_4) | instskip(SKIP_1) | instid1(VALU_DEP_2)
	v_add_f64_e32 v[74:75], 1.0, v[72:73]
	v_add_f64_e32 v[80:81], -1.0, v[72:73]
	v_rcp_f64_e32 v[76:77], v[74:75]
	v_add_f64_e32 v[82:83], -1.0, v[74:75]
	s_delay_alu instid0(VALU_DEP_1) | instskip(NEXT) | instid1(TRANS32_DEP_1)
	v_add_f64_e64 v[72:73], v[72:73], -v[82:83]
	v_fma_f64 v[78:79], -v[74:75], v[76:77], 1.0
	s_delay_alu instid0(VALU_DEP_1) | instskip(NEXT) | instid1(VALU_DEP_1)
	v_fmac_f64_e32 v[76:77], v[78:79], v[76:77]
	v_fma_f64 v[78:79], -v[74:75], v[76:77], 1.0
	s_delay_alu instid0(VALU_DEP_1) | instskip(NEXT) | instid1(VALU_DEP_1)
	v_fmac_f64_e32 v[76:77], v[78:79], v[76:77]
	v_mul_f64_e32 v[78:79], v[80:81], v[76:77]
	s_delay_alu instid0(VALU_DEP_1) | instskip(NEXT) | instid1(VALU_DEP_1)
	v_mul_f64_e32 v[84:85], v[74:75], v[78:79]
	v_fma_f64 v[74:75], v[78:79], v[74:75], -v[84:85]
	s_delay_alu instid0(VALU_DEP_1) | instskip(NEXT) | instid1(VALU_DEP_1)
	v_fmac_f64_e32 v[74:75], v[78:79], v[72:73]
	v_add_f64_e32 v[72:73], v[84:85], v[74:75]
	s_delay_alu instid0(VALU_DEP_1) | instskip(SKIP_1) | instid1(VALU_DEP_2)
	v_add_f64_e64 v[82:83], v[80:81], -v[72:73]
	v_add_f64_e64 v[84:85], v[72:73], -v[84:85]
	;; [unrolled: 1-line block ×3, first 2 shown]
	s_delay_alu instid0(VALU_DEP_2) | instskip(NEXT) | instid1(VALU_DEP_2)
	v_add_f64_e64 v[74:75], v[84:85], -v[74:75]
	v_add_f64_e64 v[72:73], v[80:81], -v[72:73]
	s_delay_alu instid0(VALU_DEP_1) | instskip(NEXT) | instid1(VALU_DEP_1)
	v_add_f64_e32 v[72:73], v[74:75], v[72:73]
	v_add_f64_e32 v[72:73], v[82:83], v[72:73]
	s_delay_alu instid0(VALU_DEP_1) | instskip(NEXT) | instid1(VALU_DEP_1)
	v_mul_f64_e32 v[72:73], v[76:77], v[72:73]
	v_add_f64_e32 v[74:75], v[78:79], v[72:73]
	s_delay_alu instid0(VALU_DEP_1) | instskip(NEXT) | instid1(VALU_DEP_1)
	v_mul_f64_e32 v[76:77], v[74:75], v[74:75]
	v_fmamk_f64 v[80:81], v[76:77], 0x3fc3ab76bf559e2b, v[6:7]
	v_mul_f64_e32 v[82:83], v[74:75], v[76:77]
	s_delay_alu instid0(VALU_DEP_2) | instskip(NEXT) | instid1(VALU_DEP_1)
	v_fmaak_f64 v[80:81], v[76:77], v[80:81], 0x3fc7474dd7f4df2e
	v_fmaak_f64 v[80:81], v[76:77], v[80:81], 0x3fcc71c016291751
	s_delay_alu instid0(VALU_DEP_1) | instskip(NEXT) | instid1(VALU_DEP_1)
	v_fmaak_f64 v[80:81], v[76:77], v[80:81], 0x3fd249249b27acf1
	v_fmaak_f64 v[80:81], v[76:77], v[80:81], 0x3fd99999998ef7b6
	s_delay_alu instid0(VALU_DEP_1) | instskip(SKIP_2) | instid1(VALU_DEP_3)
	v_fmaak_f64 v[76:77], v[76:77], v[80:81], 0x3fe5555555555780
	v_ldexp_f64 v[80:81], v[74:75], 1
	v_add_f64_e64 v[74:75], v[74:75], -v[78:79]
	v_mul_f64_e32 v[76:77], v[82:83], v[76:77]
	v_cvt_f64_i32_e32 v[82:83], v62
	s_delay_alu instid0(VALU_DEP_3) | instskip(NEXT) | instid1(VALU_DEP_3)
	v_add_f64_e64 v[72:73], v[72:73], -v[74:75]
	v_add_f64_e32 v[78:79], v[80:81], v[76:77]
	s_delay_alu instid0(VALU_DEP_3) | instskip(NEXT) | instid1(VALU_DEP_3)
	v_mul_f64_e32 v[84:85], 0x3fe62e42fefa39ef, v[82:83]
	v_ldexp_f64 v[72:73], v[72:73], 1
	s_delay_alu instid0(VALU_DEP_3) | instskip(NEXT) | instid1(VALU_DEP_3)
	v_add_f64_e64 v[74:75], v[78:79], -v[80:81]
	v_fma_f64 v[80:81], v[82:83], s[16:17], -v[84:85]
	s_delay_alu instid0(VALU_DEP_2) | instskip(NEXT) | instid1(VALU_DEP_2)
	v_add_f64_e64 v[74:75], v[76:77], -v[74:75]
	v_fmac_f64_e32 v[80:81], 0x3c7abc9e3b39803f, v[82:83]
	s_delay_alu instid0(VALU_DEP_2) | instskip(NEXT) | instid1(VALU_DEP_2)
	v_add_f64_e32 v[72:73], v[72:73], v[74:75]
	v_add_f64_e32 v[74:75], v[84:85], v[80:81]
	s_delay_alu instid0(VALU_DEP_2) | instskip(NEXT) | instid1(VALU_DEP_2)
	v_add_f64_e32 v[76:77], v[78:79], v[72:73]
	v_add_f64_e64 v[84:85], v[74:75], -v[84:85]
	s_delay_alu instid0(VALU_DEP_2) | instskip(SKIP_1) | instid1(VALU_DEP_3)
	v_add_f64_e32 v[82:83], v[74:75], v[76:77]
	v_add_f64_e64 v[78:79], v[76:77], -v[78:79]
	v_add_f64_e64 v[80:81], v[80:81], -v[84:85]
	s_delay_alu instid0(VALU_DEP_3) | instskip(NEXT) | instid1(VALU_DEP_3)
	v_add_f64_e64 v[86:87], v[82:83], -v[74:75]
	v_add_f64_e64 v[72:73], v[72:73], -v[78:79]
	s_delay_alu instid0(VALU_DEP_2) | instskip(SKIP_1) | instid1(VALU_DEP_3)
	v_add_f64_e64 v[88:89], v[82:83], -v[86:87]
	v_add_f64_e64 v[76:77], v[76:77], -v[86:87]
	v_add_f64_e32 v[78:79], v[80:81], v[72:73]
	s_delay_alu instid0(VALU_DEP_3) | instskip(NEXT) | instid1(VALU_DEP_1)
	v_add_f64_e64 v[74:75], v[74:75], -v[88:89]
	v_add_f64_e32 v[74:75], v[76:77], v[74:75]
	s_delay_alu instid0(VALU_DEP_3) | instskip(NEXT) | instid1(VALU_DEP_2)
	v_add_f64_e64 v[76:77], v[78:79], -v[80:81]
	v_add_f64_e32 v[74:75], v[78:79], v[74:75]
	s_delay_alu instid0(VALU_DEP_2) | instskip(SKIP_1) | instid1(VALU_DEP_3)
	v_add_f64_e64 v[78:79], v[78:79], -v[76:77]
	v_add_f64_e64 v[72:73], v[72:73], -v[76:77]
	v_add_f64_e32 v[84:85], v[82:83], v[74:75]
	s_delay_alu instid0(VALU_DEP_3) | instskip(NEXT) | instid1(VALU_DEP_2)
	v_add_f64_e64 v[76:77], v[80:81], -v[78:79]
	v_add_f64_e64 v[78:79], v[84:85], -v[82:83]
	s_delay_alu instid0(VALU_DEP_2) | instskip(NEXT) | instid1(VALU_DEP_2)
	v_add_f64_e32 v[72:73], v[72:73], v[76:77]
	v_add_f64_e64 v[74:75], v[74:75], -v[78:79]
	s_delay_alu instid0(VALU_DEP_1) | instskip(NEXT) | instid1(VALU_DEP_1)
	v_add_f64_e32 v[72:73], v[72:73], v[74:75]
	v_add_f64_e32 v[72:73], v[84:85], v[72:73]
	s_delay_alu instid0(VALU_DEP_1) | instskip(SKIP_2) | instid1(VALU_DEP_3)
	v_dual_cndmask_b32 v62, v72, v70, vcc_lo :: v_dual_cndmask_b32 v66, v73, v71, vcc_lo
	v_cmp_neq_f64_e32 vcc_lo, 0, v[70:71]
	v_fract_f64_e32 v[70:71], v[56:57]
	v_cndmask_b32_e32 v73, 0xfff00000, v66, vcc_lo
	s_delay_alu instid0(VALU_DEP_4) | instskip(NEXT) | instid1(VALU_DEP_3)
	v_cndmask_b32_e32 v72, 0, v62, vcc_lo
	v_cmp_eq_f64_e32 vcc_lo, 0, v[70:71]
	s_delay_alu instid0(VALU_DEP_2)
	v_add_f64_e64 v[68:69], v[72:73], -v[68:69]
	s_or_b32 s4, s4, vcc_lo
	s_delay_alu instid0(VALU_DEP_1) | instid1(SALU_CYCLE_1)
	v_cndmask_b32_e64 v69, v69, 0x7ff00000, s4
	s_delay_alu instid0(VALU_DEP_2)
	v_cndmask_b32_e64 v68, v68, 0, s4
.LBB8_220:                              ;   in Loop: Header=BB8_145 Depth=1
	s_or_b32 exec_lo, exec_lo, s6
.LBB8_221:                              ;   in Loop: Header=BB8_145 Depth=1
	s_delay_alu instid0(SALU_CYCLE_1) | instskip(SKIP_3) | instid1(VALU_DEP_2)
	s_or_b32 exec_lo, exec_lo, s5
	v_and_b32_e32 v71, 0x7fffffff, v59
	v_mov_b32_e32 v70, v58
                                        ; implicit-def: $vgpr72_vgpr73
	s_mov_b32 s4, exec_lo
	v_cmpx_lt_u32_e32 0x3f6fffff, v71
	s_xor_b32 s7, exec_lo, s4
	s_cbranch_execz .LBB8_247
; %bb.222:                              ;   in Loop: Header=BB8_145 Depth=1
                                        ; implicit-def: $vgpr72_vgpr73
	s_mov_b32 s4, exec_lo
	v_cmpx_lt_u32_e32 0x3fffffff, v71
	s_xor_b32 s5, exec_lo, s4
	s_cbranch_execz .LBB8_232
; %bb.223:                              ;   in Loop: Header=BB8_145 Depth=1
	;; [unrolled: 6-line block ×4, first 2 shown]
	v_frexp_mant_f64_e64 v[72:73], |v[58:59]|
	v_cmp_neq_f64_e64 s4, 0, v[58:59]
	s_delay_alu instid0(VALU_DEP_2) | instskip(SKIP_1) | instid1(VALU_DEP_1)
	v_cmp_gt_f64_e32 vcc_lo, s[8:9], v[72:73]
	v_cndmask_b32_e64 v62, 0, 1, vcc_lo
	v_ldexp_f64 v[72:73], v[72:73], v62
	v_frexp_exp_i32_f64_e32 v62, v[58:59]
	s_delay_alu instid0(VALU_DEP_2) | instskip(SKIP_1) | instid1(VALU_DEP_3)
	v_add_f64_e32 v[74:75], 1.0, v[72:73]
	v_add_f64_e32 v[80:81], -1.0, v[72:73]
	v_subrev_co_ci_u32_e64 v62, null, 0, v62, vcc_lo
	v_cmp_neq_f64_e64 vcc_lo, 0x7ff00000, |v[58:59]|
	s_delay_alu instid0(VALU_DEP_4) | instskip(SKIP_1) | instid1(VALU_DEP_1)
	v_rcp_f64_e32 v[76:77], v[74:75]
	v_add_f64_e32 v[82:83], -1.0, v[74:75]
	v_add_f64_e64 v[72:73], v[72:73], -v[82:83]
	s_delay_alu instid0(TRANS32_DEP_1) | instskip(NEXT) | instid1(VALU_DEP_1)
	v_fma_f64 v[78:79], -v[74:75], v[76:77], 1.0
	v_fmac_f64_e32 v[76:77], v[78:79], v[76:77]
	s_delay_alu instid0(VALU_DEP_1) | instskip(NEXT) | instid1(VALU_DEP_1)
	v_fma_f64 v[78:79], -v[74:75], v[76:77], 1.0
	v_fmac_f64_e32 v[76:77], v[78:79], v[76:77]
	s_delay_alu instid0(VALU_DEP_1) | instskip(NEXT) | instid1(VALU_DEP_1)
	v_mul_f64_e32 v[78:79], v[80:81], v[76:77]
	v_mul_f64_e32 v[84:85], v[74:75], v[78:79]
	s_delay_alu instid0(VALU_DEP_1) | instskip(NEXT) | instid1(VALU_DEP_1)
	v_fma_f64 v[74:75], v[78:79], v[74:75], -v[84:85]
	v_fmac_f64_e32 v[74:75], v[78:79], v[72:73]
	s_delay_alu instid0(VALU_DEP_1) | instskip(NEXT) | instid1(VALU_DEP_1)
	v_add_f64_e32 v[72:73], v[84:85], v[74:75]
	v_add_f64_e64 v[82:83], v[80:81], -v[72:73]
	v_add_f64_e64 v[84:85], v[72:73], -v[84:85]
	s_delay_alu instid0(VALU_DEP_2) | instskip(NEXT) | instid1(VALU_DEP_2)
	v_add_f64_e64 v[80:81], v[80:81], -v[82:83]
	v_add_f64_e64 v[74:75], v[84:85], -v[74:75]
	s_delay_alu instid0(VALU_DEP_2) | instskip(NEXT) | instid1(VALU_DEP_1)
	v_add_f64_e64 v[72:73], v[80:81], -v[72:73]
	v_add_f64_e32 v[72:73], v[74:75], v[72:73]
	s_delay_alu instid0(VALU_DEP_1) | instskip(NEXT) | instid1(VALU_DEP_1)
	v_add_f64_e32 v[72:73], v[82:83], v[72:73]
	v_mul_f64_e32 v[72:73], v[76:77], v[72:73]
	s_delay_alu instid0(VALU_DEP_1) | instskip(NEXT) | instid1(VALU_DEP_1)
	v_add_f64_e32 v[74:75], v[78:79], v[72:73]
	v_mul_f64_e32 v[76:77], v[74:75], v[74:75]
	s_delay_alu instid0(VALU_DEP_1) | instskip(SKIP_1) | instid1(VALU_DEP_2)
	v_fmamk_f64 v[80:81], v[76:77], 0x3fc3ab76bf559e2b, v[6:7]
	v_mul_f64_e32 v[82:83], v[74:75], v[76:77]
	v_fmaak_f64 v[80:81], v[76:77], v[80:81], 0x3fc7474dd7f4df2e
	s_delay_alu instid0(VALU_DEP_1) | instskip(NEXT) | instid1(VALU_DEP_1)
	v_fmaak_f64 v[80:81], v[76:77], v[80:81], 0x3fcc71c016291751
	v_fmaak_f64 v[80:81], v[76:77], v[80:81], 0x3fd249249b27acf1
	s_delay_alu instid0(VALU_DEP_1) | instskip(NEXT) | instid1(VALU_DEP_1)
	v_fmaak_f64 v[80:81], v[76:77], v[80:81], 0x3fd99999998ef7b6
	v_fmaak_f64 v[76:77], v[76:77], v[80:81], 0x3fe5555555555780
	v_ldexp_f64 v[80:81], v[74:75], 1
	v_add_f64_e64 v[74:75], v[74:75], -v[78:79]
	s_delay_alu instid0(VALU_DEP_3) | instskip(SKIP_1) | instid1(VALU_DEP_3)
	v_mul_f64_e32 v[76:77], v[82:83], v[76:77]
	v_cvt_f64_i32_e32 v[82:83], v62
	v_add_f64_e64 v[72:73], v[72:73], -v[74:75]
	s_delay_alu instid0(VALU_DEP_3) | instskip(NEXT) | instid1(VALU_DEP_3)
	v_add_f64_e32 v[78:79], v[80:81], v[76:77]
	v_mul_f64_e32 v[84:85], 0x3fe62e42fefa39ef, v[82:83]
	s_delay_alu instid0(VALU_DEP_3) | instskip(NEXT) | instid1(VALU_DEP_3)
	v_ldexp_f64 v[72:73], v[72:73], 1
	v_add_f64_e64 v[74:75], v[78:79], -v[80:81]
	s_delay_alu instid0(VALU_DEP_3) | instskip(NEXT) | instid1(VALU_DEP_2)
	v_fma_f64 v[80:81], v[82:83], s[16:17], -v[84:85]
	v_add_f64_e64 v[74:75], v[76:77], -v[74:75]
	s_delay_alu instid0(VALU_DEP_2) | instskip(NEXT) | instid1(VALU_DEP_2)
	v_fmac_f64_e32 v[80:81], 0x3c7abc9e3b39803f, v[82:83]
	v_add_f64_e32 v[72:73], v[72:73], v[74:75]
	s_delay_alu instid0(VALU_DEP_2) | instskip(NEXT) | instid1(VALU_DEP_2)
	v_add_f64_e32 v[74:75], v[84:85], v[80:81]
	v_add_f64_e32 v[76:77], v[78:79], v[72:73]
	s_delay_alu instid0(VALU_DEP_2) | instskip(NEXT) | instid1(VALU_DEP_2)
	v_add_f64_e64 v[84:85], v[74:75], -v[84:85]
	v_add_f64_e32 v[82:83], v[74:75], v[76:77]
	v_add_f64_e64 v[78:79], v[76:77], -v[78:79]
	s_delay_alu instid0(VALU_DEP_3) | instskip(NEXT) | instid1(VALU_DEP_3)
	v_add_f64_e64 v[80:81], v[80:81], -v[84:85]
	v_add_f64_e64 v[86:87], v[82:83], -v[74:75]
	s_delay_alu instid0(VALU_DEP_3) | instskip(NEXT) | instid1(VALU_DEP_2)
	v_add_f64_e64 v[72:73], v[72:73], -v[78:79]
	v_add_f64_e64 v[88:89], v[82:83], -v[86:87]
	;; [unrolled: 1-line block ×3, first 2 shown]
	s_delay_alu instid0(VALU_DEP_3) | instskip(NEXT) | instid1(VALU_DEP_3)
	v_add_f64_e32 v[78:79], v[80:81], v[72:73]
	v_add_f64_e64 v[74:75], v[74:75], -v[88:89]
	s_delay_alu instid0(VALU_DEP_1) | instskip(NEXT) | instid1(VALU_DEP_3)
	v_add_f64_e32 v[74:75], v[76:77], v[74:75]
	v_add_f64_e64 v[76:77], v[78:79], -v[80:81]
	s_delay_alu instid0(VALU_DEP_2) | instskip(NEXT) | instid1(VALU_DEP_2)
	v_add_f64_e32 v[74:75], v[78:79], v[74:75]
	v_add_f64_e64 v[78:79], v[78:79], -v[76:77]
	v_add_f64_e64 v[72:73], v[72:73], -v[76:77]
	s_delay_alu instid0(VALU_DEP_3) | instskip(NEXT) | instid1(VALU_DEP_3)
	v_add_f64_e32 v[84:85], v[82:83], v[74:75]
	v_add_f64_e64 v[76:77], v[80:81], -v[78:79]
	s_delay_alu instid0(VALU_DEP_2) | instskip(NEXT) | instid1(VALU_DEP_2)
	v_add_f64_e64 v[78:79], v[84:85], -v[82:83]
	v_add_f64_e32 v[72:73], v[72:73], v[76:77]
	s_delay_alu instid0(VALU_DEP_2) | instskip(NEXT) | instid1(VALU_DEP_1)
	v_add_f64_e64 v[74:75], v[74:75], -v[78:79]
	v_add_f64_e32 v[72:73], v[72:73], v[74:75]
	s_delay_alu instid0(VALU_DEP_1) | instskip(NEXT) | instid1(VALU_DEP_1)
	v_add_f64_e32 v[72:73], v[84:85], v[72:73]
	v_cndmask_b32_e32 v62, 0x7ff00000, v73, vcc_lo
	s_and_b32 vcc_lo, s4, vcc_lo
	s_delay_alu instid0(VALU_DEP_2) | instskip(NEXT) | instid1(VALU_DEP_2)
	v_cndmask_b32_e32 v72, 0, v72, vcc_lo
	v_cndmask_b32_e64 v73, 0xfff00000, v62, s4
	s_delay_alu instid0(VALU_DEP_1)
	v_fma_f64 v[72:73], |v[58:59]|, v[72:73], -|v[58:59]|
.LBB8_226:                              ;   in Loop: Header=BB8_145 Depth=1
	s_and_not1_saveexec_b32 s33, s33
	s_cbranch_execz .LBB8_228
; %bb.227:                              ;   in Loop: Header=BB8_145 Depth=1
	v_frexp_mant_f64_e64 v[72:73], |v[58:59]|
	v_cmp_neq_f64_e64 s4, 0, v[58:59]
	v_mov_b32_e32 v70, v58
	s_delay_alu instid0(VALU_DEP_1) | instskip(NEXT) | instid1(VALU_DEP_4)
	v_div_scale_f64 v[86:87], null, v[70:71], v[70:71], 1.0
	v_cmp_gt_f64_e32 vcc_lo, s[8:9], v[72:73]
	s_delay_alu instid0(VALU_DEP_2) | instskip(SKIP_1) | instid1(VALU_DEP_1)
	v_rcp_f64_e32 v[90:91], v[86:87]
	v_cndmask_b32_e64 v62, 0, 1, vcc_lo
	v_ldexp_f64 v[72:73], v[72:73], v62
	v_frexp_exp_i32_f64_e32 v62, v[58:59]
	s_delay_alu instid0(TRANS32_DEP_1) | instskip(NEXT) | instid1(VALU_DEP_3)
	v_fma_f64 v[94:95], -v[86:87], v[90:91], 1.0
	v_add_f64_e32 v[74:75], 1.0, v[72:73]
	v_add_f64_e32 v[80:81], -1.0, v[72:73]
	s_delay_alu instid0(VALU_DEP_4) | instskip(NEXT) | instid1(VALU_DEP_4)
	v_subrev_co_ci_u32_e64 v62, null, 0, v62, vcc_lo
	v_fmac_f64_e32 v[90:91], v[90:91], v[94:95]
	s_delay_alu instid0(VALU_DEP_4) | instskip(SKIP_1) | instid1(VALU_DEP_1)
	v_rcp_f64_e32 v[76:77], v[74:75]
	v_add_f64_e32 v[82:83], -1.0, v[74:75]
	v_add_f64_e64 v[72:73], v[72:73], -v[82:83]
	s_delay_alu instid0(TRANS32_DEP_1) | instskip(NEXT) | instid1(VALU_DEP_1)
	v_fma_f64 v[78:79], -v[74:75], v[76:77], 1.0
	v_fmac_f64_e32 v[76:77], v[78:79], v[76:77]
	s_delay_alu instid0(VALU_DEP_1) | instskip(NEXT) | instid1(VALU_DEP_1)
	v_fma_f64 v[78:79], -v[74:75], v[76:77], 1.0
	v_fmac_f64_e32 v[76:77], v[78:79], v[76:77]
	s_delay_alu instid0(VALU_DEP_1) | instskip(NEXT) | instid1(VALU_DEP_1)
	v_mul_f64_e32 v[78:79], v[80:81], v[76:77]
	v_mul_f64_e32 v[84:85], v[74:75], v[78:79]
	s_delay_alu instid0(VALU_DEP_1) | instskip(NEXT) | instid1(VALU_DEP_1)
	v_fma_f64 v[74:75], v[78:79], v[74:75], -v[84:85]
	v_fmac_f64_e32 v[74:75], v[78:79], v[72:73]
	s_delay_alu instid0(VALU_DEP_1) | instskip(NEXT) | instid1(VALU_DEP_1)
	v_add_f64_e32 v[72:73], v[84:85], v[74:75]
	v_add_f64_e64 v[82:83], v[80:81], -v[72:73]
	v_add_f64_e64 v[84:85], v[72:73], -v[84:85]
	s_delay_alu instid0(VALU_DEP_2) | instskip(NEXT) | instid1(VALU_DEP_2)
	v_add_f64_e64 v[80:81], v[80:81], -v[82:83]
	v_add_f64_e64 v[74:75], v[84:85], -v[74:75]
	s_delay_alu instid0(VALU_DEP_2) | instskip(NEXT) | instid1(VALU_DEP_1)
	v_add_f64_e64 v[72:73], v[80:81], -v[72:73]
	v_add_f64_e32 v[72:73], v[74:75], v[72:73]
	s_delay_alu instid0(VALU_DEP_1) | instskip(NEXT) | instid1(VALU_DEP_1)
	v_add_f64_e32 v[72:73], v[82:83], v[72:73]
	v_mul_f64_e32 v[72:73], v[76:77], v[72:73]
	s_delay_alu instid0(VALU_DEP_1) | instskip(NEXT) | instid1(VALU_DEP_1)
	v_add_f64_e32 v[74:75], v[78:79], v[72:73]
	v_mul_f64_e32 v[76:77], v[74:75], v[74:75]
	s_delay_alu instid0(VALU_DEP_1) | instskip(SKIP_1) | instid1(VALU_DEP_2)
	v_fmamk_f64 v[80:81], v[76:77], 0x3fc3ab76bf559e2b, v[6:7]
	v_mul_f64_e32 v[82:83], v[74:75], v[76:77]
	v_fmaak_f64 v[80:81], v[76:77], v[80:81], 0x3fc7474dd7f4df2e
	s_delay_alu instid0(VALU_DEP_1) | instskip(NEXT) | instid1(VALU_DEP_1)
	v_fmaak_f64 v[80:81], v[76:77], v[80:81], 0x3fcc71c016291751
	v_fmaak_f64 v[80:81], v[76:77], v[80:81], 0x3fd249249b27acf1
	s_delay_alu instid0(VALU_DEP_1) | instskip(NEXT) | instid1(VALU_DEP_1)
	v_fmaak_f64 v[80:81], v[76:77], v[80:81], 0x3fd99999998ef7b6
	v_fmaak_f64 v[76:77], v[76:77], v[80:81], 0x3fe5555555555780
	v_ldexp_f64 v[80:81], v[74:75], 1
	v_add_f64_e64 v[74:75], v[74:75], -v[78:79]
	s_delay_alu instid0(VALU_DEP_3) | instskip(SKIP_1) | instid1(VALU_DEP_3)
	v_mul_f64_e32 v[76:77], v[82:83], v[76:77]
	v_cvt_f64_i32_e32 v[82:83], v62
	v_add_f64_e64 v[72:73], v[72:73], -v[74:75]
	s_delay_alu instid0(VALU_DEP_3) | instskip(NEXT) | instid1(VALU_DEP_3)
	v_add_f64_e32 v[78:79], v[80:81], v[76:77]
	v_mul_f64_e32 v[84:85], 0x3fe62e42fefa39ef, v[82:83]
	s_delay_alu instid0(VALU_DEP_3) | instskip(NEXT) | instid1(VALU_DEP_3)
	v_ldexp_f64 v[72:73], v[72:73], 1
	v_add_f64_e64 v[74:75], v[78:79], -v[80:81]
	s_delay_alu instid0(VALU_DEP_3) | instskip(NEXT) | instid1(VALU_DEP_2)
	v_fma_f64 v[80:81], v[82:83], s[16:17], -v[84:85]
	v_add_f64_e64 v[74:75], v[76:77], -v[74:75]
	s_delay_alu instid0(VALU_DEP_2) | instskip(NEXT) | instid1(VALU_DEP_2)
	v_fmac_f64_e32 v[80:81], 0x3c7abc9e3b39803f, v[82:83]
	v_add_f64_e32 v[72:73], v[72:73], v[74:75]
	s_delay_alu instid0(VALU_DEP_2) | instskip(NEXT) | instid1(VALU_DEP_2)
	v_add_f64_e32 v[74:75], v[84:85], v[80:81]
	v_add_f64_e32 v[76:77], v[78:79], v[72:73]
	s_delay_alu instid0(VALU_DEP_2) | instskip(NEXT) | instid1(VALU_DEP_2)
	v_add_f64_e64 v[84:85], v[74:75], -v[84:85]
	v_add_f64_e32 v[82:83], v[74:75], v[76:77]
	v_add_f64_e64 v[78:79], v[76:77], -v[78:79]
	s_delay_alu instid0(VALU_DEP_3) | instskip(NEXT) | instid1(VALU_DEP_3)
	v_add_f64_e64 v[80:81], v[80:81], -v[84:85]
	v_add_f64_e64 v[88:89], v[82:83], -v[74:75]
	s_delay_alu instid0(VALU_DEP_3) | instskip(NEXT) | instid1(VALU_DEP_2)
	v_add_f64_e64 v[72:73], v[72:73], -v[78:79]
	v_add_f64_e64 v[92:93], v[82:83], -v[88:89]
	;; [unrolled: 1-line block ×3, first 2 shown]
	s_delay_alu instid0(VALU_DEP_3) | instskip(SKIP_1) | instid1(VALU_DEP_4)
	v_add_f64_e32 v[78:79], v[80:81], v[72:73]
	v_div_scale_f64 v[88:89], vcc_lo, 1.0, v[70:71], 1.0
	v_add_f64_e64 v[74:75], v[74:75], -v[92:93]
	s_delay_alu instid0(VALU_DEP_3) | instskip(NEXT) | instid1(VALU_DEP_2)
	v_add_f64_e64 v[84:85], v[78:79], -v[80:81]
	v_add_f64_e32 v[74:75], v[76:77], v[74:75]
	v_fma_f64 v[76:77], -v[86:87], v[90:91], 1.0
	s_delay_alu instid0(VALU_DEP_3) | instskip(NEXT) | instid1(VALU_DEP_3)
	v_add_f64_e64 v[72:73], v[72:73], -v[84:85]
	v_add_f64_e32 v[74:75], v[78:79], v[74:75]
	s_delay_alu instid0(VALU_DEP_3) | instskip(SKIP_1) | instid1(VALU_DEP_3)
	v_fmac_f64_e32 v[90:91], v[90:91], v[76:77]
	v_add_f64_e64 v[76:77], v[78:79], -v[84:85]
	v_add_f64_e32 v[78:79], v[82:83], v[74:75]
	s_delay_alu instid0(VALU_DEP_3) | instskip(NEXT) | instid1(VALU_DEP_3)
	v_mul_f64_e32 v[92:93], v[88:89], v[90:91]
	v_add_f64_e64 v[76:77], v[80:81], -v[76:77]
	s_delay_alu instid0(VALU_DEP_3) | instskip(NEXT) | instid1(VALU_DEP_3)
	v_add_f64_e64 v[80:81], v[78:79], -v[82:83]
	v_fma_f64 v[82:83], -v[86:87], v[92:93], v[88:89]
	s_delay_alu instid0(VALU_DEP_3) | instskip(NEXT) | instid1(VALU_DEP_3)
	v_add_f64_e32 v[72:73], v[72:73], v[76:77]
	v_add_f64_e64 v[74:75], v[74:75], -v[80:81]
	s_delay_alu instid0(VALU_DEP_3) | instskip(SKIP_2) | instid1(VALU_DEP_4)
	v_div_fmas_f64 v[76:77], v[82:83], v[90:91], v[92:93]
	v_cmp_neq_f64_e64 vcc_lo, 0x7ff00000, |v[58:59]|
	v_add_f64_e64 v[80:81], |v[58:59]|, -0.5
	v_add_f64_e32 v[72:73], v[72:73], v[74:75]
	s_delay_alu instid0(VALU_DEP_4) | instskip(NEXT) | instid1(VALU_DEP_2)
	v_div_fixup_f64 v[74:75], v[76:77], |v[58:59]|, 1.0
	v_add_f64_e32 v[72:73], v[78:79], v[72:73]
	s_delay_alu instid0(VALU_DEP_2) | instskip(NEXT) | instid1(VALU_DEP_2)
	v_mul_f64_e32 v[76:77], v[74:75], v[74:75]
	v_add_f64_e32 v[78:79], -1.0, v[72:73]
	s_delay_alu instid0(VALU_DEP_2) | instskip(NEXT) | instid1(VALU_DEP_1)
	v_fmamk_f64 v[72:73], v[76:77], 0xbf5ab89d0b9e43e4, v[8:9]
	v_fmaak_f64 v[72:73], v[76:77], v[72:73], 0xbf4380cb8c0fe741
	s_delay_alu instid0(VALU_DEP_1) | instskip(NEXT) | instid1(VALU_DEP_1)
	v_fmaak_f64 v[72:73], v[76:77], v[72:73], 0x3f4a019f98cf38b6
	v_fmaak_f64 v[72:73], v[76:77], v[72:73], 0xbf66c16c16b02e5c
	s_delay_alu instid0(VALU_DEP_1) | instskip(SKIP_2) | instid1(VALU_DEP_2)
	v_fmaak_f64 v[72:73], v[76:77], v[72:73], 0x3fb555555555553b
	v_cndmask_b32_e32 v62, 0x7ff00000, v79, vcc_lo
	s_and_b32 vcc_lo, s4, vcc_lo
	v_fmaak_f64 v[72:73], v[74:75], v[72:73], 0x3fdacfe390c97d69
	s_delay_alu instid0(VALU_DEP_2) | instskip(SKIP_1) | instid1(VALU_DEP_1)
	v_cndmask_b32_e64 v75, 0xfff00000, v62, s4
	v_cndmask_b32_e32 v74, 0, v78, vcc_lo
	v_fmac_f64_e32 v[72:73], v[80:81], v[74:75]
.LBB8_228:                              ;   in Loop: Header=BB8_145 Depth=1
	s_or_b32 exec_lo, exec_lo, s33
.LBB8_229:                              ;   in Loop: Header=BB8_145 Depth=1
	s_and_not1_saveexec_b32 s6, s6
	s_cbranch_execz .LBB8_231
; %bb.230:                              ;   in Loop: Header=BB8_145 Depth=1
	v_cvt_i32_f64_e32 v62, v[70:71]
	s_delay_alu instid0(VALU_DEP_1) | instskip(SKIP_2) | instid1(VALU_DEP_3)
	v_cvt_f64_i32_e32 v[72:73], v62
	v_cmp_lt_i32_e32 vcc_lo, 2, v62
	v_cmp_lt_i32_e64 s4, 3, v62
	v_add_f64_e64 v[72:73], |v[58:59]|, -v[72:73]
	s_delay_alu instid0(VALU_DEP_1) | instskip(SKIP_2) | instid1(VALU_DEP_2)
	v_add_f64_e32 v[78:79], 4.0, v[72:73]
	v_add_f64_e32 v[74:75], 2.0, v[72:73]
	v_add_f64_e32 v[76:77], 0x40080000, v[72:73]
	v_cndmask_b32_e32 v75, 0x3ff00000, v75, vcc_lo
	s_delay_alu instid0(VALU_DEP_3) | instskip(SKIP_1) | instid1(VALU_DEP_4)
	v_cndmask_b32_e32 v74, 0, v74, vcc_lo
	v_cmp_lt_i32_e32 vcc_lo, 4, v62
	v_cndmask_b32_e64 v77, 0x3ff00000, v77, s4
	v_cndmask_b32_e32 v79, 0x3ff00000, v79, vcc_lo
	v_dual_cndmask_b32 v78, 0, v78, vcc_lo :: v_dual_cndmask_b32 v76, 0, v76, s4
	v_cmp_lt_i32_e32 vcc_lo, 5, v62
	s_delay_alu instid0(VALU_DEP_2) | instskip(SKIP_1) | instid1(VALU_DEP_2)
	v_mul_f64_e32 v[74:75], v[74:75], v[76:77]
	v_add_f64_e32 v[76:77], 0x40140000, v[72:73]
	v_mul_f64_e32 v[74:75], v[78:79], v[74:75]
	v_add_f64_e32 v[78:79], 0x40180000, v[72:73]
	s_delay_alu instid0(VALU_DEP_3) | instskip(NEXT) | instid1(VALU_DEP_4)
	v_cndmask_b32_e32 v77, 0x3ff00000, v77, vcc_lo
	v_cndmask_b32_e32 v76, 0, v76, vcc_lo
	v_cmp_lt_i32_e32 vcc_lo, 6, v62
	s_delay_alu instid0(VALU_DEP_2) | instskip(SKIP_2) | instid1(VALU_DEP_1)
	v_mul_f64_e32 v[74:75], v[76:77], v[74:75]
	v_cndmask_b32_e32 v77, 0x3ff00000, v79, vcc_lo
	v_cndmask_b32_e32 v76, 0, v78, vcc_lo
	v_mul_f64_e32 v[74:75], v[76:77], v[74:75]
	s_delay_alu instid0(VALU_DEP_1) | instskip(NEXT) | instid1(VALU_DEP_1)
	v_frexp_mant_f64_e32 v[76:77], v[74:75]
	v_cmp_gt_f64_e32 vcc_lo, s[8:9], v[76:77]
	v_cndmask_b32_e64 v62, 0, 1, vcc_lo
	s_delay_alu instid0(VALU_DEP_1) | instskip(SKIP_1) | instid1(VALU_DEP_2)
	v_ldexp_f64 v[76:77], v[76:77], v62
	v_frexp_exp_i32_f64_e32 v62, v[74:75]
	v_add_f64_e32 v[78:79], 1.0, v[76:77]
	v_add_f64_e32 v[84:85], -1.0, v[76:77]
	s_delay_alu instid0(VALU_DEP_3) | instskip(NEXT) | instid1(VALU_DEP_3)
	v_subrev_co_ci_u32_e64 v62, null, 0, v62, vcc_lo
	v_rcp_f64_e32 v[80:81], v[78:79]
	v_add_f64_e32 v[86:87], -1.0, v[78:79]
	s_delay_alu instid0(VALU_DEP_1) | instskip(NEXT) | instid1(TRANS32_DEP_1)
	v_add_f64_e64 v[76:77], v[76:77], -v[86:87]
	v_fma_f64 v[82:83], -v[78:79], v[80:81], 1.0
	s_delay_alu instid0(VALU_DEP_1) | instskip(NEXT) | instid1(VALU_DEP_1)
	v_fmac_f64_e32 v[80:81], v[82:83], v[80:81]
	v_fma_f64 v[82:83], -v[78:79], v[80:81], 1.0
	s_delay_alu instid0(VALU_DEP_1) | instskip(NEXT) | instid1(VALU_DEP_1)
	v_fmac_f64_e32 v[80:81], v[82:83], v[80:81]
	v_mul_f64_e32 v[82:83], v[84:85], v[80:81]
	s_delay_alu instid0(VALU_DEP_1) | instskip(NEXT) | instid1(VALU_DEP_1)
	v_mul_f64_e32 v[88:89], v[78:79], v[82:83]
	v_fma_f64 v[78:79], v[82:83], v[78:79], -v[88:89]
	s_delay_alu instid0(VALU_DEP_1) | instskip(NEXT) | instid1(VALU_DEP_1)
	v_fmac_f64_e32 v[78:79], v[82:83], v[76:77]
	v_add_f64_e32 v[76:77], v[88:89], v[78:79]
	s_delay_alu instid0(VALU_DEP_1) | instskip(SKIP_1) | instid1(VALU_DEP_2)
	v_add_f64_e64 v[86:87], v[84:85], -v[76:77]
	v_add_f64_e64 v[88:89], v[76:77], -v[88:89]
	;; [unrolled: 1-line block ×3, first 2 shown]
	s_delay_alu instid0(VALU_DEP_2) | instskip(NEXT) | instid1(VALU_DEP_2)
	v_add_f64_e64 v[78:79], v[88:89], -v[78:79]
	v_add_f64_e64 v[76:77], v[84:85], -v[76:77]
	s_delay_alu instid0(VALU_DEP_1) | instskip(NEXT) | instid1(VALU_DEP_1)
	v_add_f64_e32 v[76:77], v[78:79], v[76:77]
	v_add_f64_e32 v[76:77], v[86:87], v[76:77]
	s_delay_alu instid0(VALU_DEP_1) | instskip(NEXT) | instid1(VALU_DEP_1)
	v_mul_f64_e32 v[76:77], v[80:81], v[76:77]
	v_add_f64_e32 v[78:79], v[82:83], v[76:77]
	s_delay_alu instid0(VALU_DEP_1) | instskip(NEXT) | instid1(VALU_DEP_1)
	v_mul_f64_e32 v[80:81], v[78:79], v[78:79]
	v_fmamk_f64 v[84:85], v[80:81], 0x3fc3ab76bf559e2b, v[6:7]
	v_mul_f64_e32 v[86:87], v[78:79], v[80:81]
	s_delay_alu instid0(VALU_DEP_2) | instskip(NEXT) | instid1(VALU_DEP_1)
	v_fmaak_f64 v[84:85], v[80:81], v[84:85], 0x3fc7474dd7f4df2e
	v_fmaak_f64 v[84:85], v[80:81], v[84:85], 0x3fcc71c016291751
	s_delay_alu instid0(VALU_DEP_1) | instskip(NEXT) | instid1(VALU_DEP_1)
	v_fmaak_f64 v[84:85], v[80:81], v[84:85], 0x3fd249249b27acf1
	v_fmaak_f64 v[84:85], v[80:81], v[84:85], 0x3fd99999998ef7b6
	s_delay_alu instid0(VALU_DEP_1) | instskip(SKIP_2) | instid1(VALU_DEP_3)
	v_fmaak_f64 v[80:81], v[80:81], v[84:85], 0x3fe5555555555780
	v_ldexp_f64 v[84:85], v[78:79], 1
	v_add_f64_e64 v[78:79], v[78:79], -v[82:83]
	v_mul_f64_e32 v[80:81], v[86:87], v[80:81]
	v_cvt_f64_i32_e32 v[86:87], v62
	s_delay_alu instid0(VALU_DEP_3) | instskip(NEXT) | instid1(VALU_DEP_3)
	v_add_f64_e64 v[76:77], v[76:77], -v[78:79]
	v_add_f64_e32 v[82:83], v[84:85], v[80:81]
	s_delay_alu instid0(VALU_DEP_3) | instskip(NEXT) | instid1(VALU_DEP_3)
	v_mul_f64_e32 v[88:89], 0x3fe62e42fefa39ef, v[86:87]
	v_ldexp_f64 v[76:77], v[76:77], 1
	s_delay_alu instid0(VALU_DEP_3) | instskip(NEXT) | instid1(VALU_DEP_3)
	v_add_f64_e64 v[78:79], v[82:83], -v[84:85]
	v_fma_f64 v[84:85], v[86:87], s[16:17], -v[88:89]
	s_delay_alu instid0(VALU_DEP_2) | instskip(NEXT) | instid1(VALU_DEP_2)
	v_add_f64_e64 v[78:79], v[80:81], -v[78:79]
	v_fmac_f64_e32 v[84:85], 0x3c7abc9e3b39803f, v[86:87]
	v_fmamk_f64 v[80:81], v[72:73], 0x3f00bfecdd17e945, v[32:33]
	s_delay_alu instid0(VALU_DEP_1) | instskip(NEXT) | instid1(VALU_DEP_1)
	v_fmaak_f64 v[80:81], v[72:73], v[80:81], 0x3f9b481c7e939961
	v_fmaak_f64 v[80:81], v[72:73], v[80:81], 0x3fc2bb9cbee5f2f7
	s_delay_alu instid0(VALU_DEP_1) | instskip(NEXT) | instid1(VALU_DEP_1)
	v_fmaak_f64 v[80:81], v[72:73], v[80:81], 0x3fd4d98f4f139f59
	v_fmaak_f64 v[80:81], v[72:73], v[80:81], 0x3fcb848b36e20878
	v_add_f64_e32 v[76:77], v[76:77], v[78:79]
	v_fmamk_f64 v[78:79], v[72:73], 0x3edebaf7a5b38140, v[34:35]
	v_add_f64_e32 v[86:87], v[88:89], v[84:85]
	s_delay_alu instid0(VALU_DEP_4) | instskip(NEXT) | instid1(VALU_DEP_3)
	v_fmaak_f64 v[80:81], v[72:73], v[80:81], 0xbfb3c467e37db0c8
	v_fmaak_f64 v[78:79], v[72:73], v[78:79], 0x3f9317ea742ed475
	s_delay_alu instid0(VALU_DEP_2) | instskip(NEXT) | instid1(VALU_DEP_2)
	v_mul_f64_e32 v[80:81], v[72:73], v[80:81]
	v_fmaak_f64 v[78:79], v[72:73], v[78:79], 0x3fc601edccfbdf27
	s_delay_alu instid0(VALU_DEP_1) | instskip(NEXT) | instid1(VALU_DEP_1)
	v_fmaak_f64 v[78:79], v[72:73], v[78:79], 0x3fe71a1893d3dcdc
	v_fmaak_f64 v[78:79], v[72:73], v[78:79], 0x3ff645a762c4ab74
	v_add_f64_e32 v[90:91], v[82:83], v[76:77]
	v_add_f64_e64 v[88:89], v[86:87], -v[88:89]
	s_delay_alu instid0(VALU_DEP_3) | instskip(NEXT) | instid1(VALU_DEP_3)
	v_fma_f64 v[78:79], v[72:73], v[78:79], 1.0
	v_add_f64_e32 v[92:93], v[86:87], v[90:91]
	v_add_f64_e64 v[82:83], v[90:91], -v[82:83]
	s_delay_alu instid0(VALU_DEP_4) | instskip(NEXT) | instid1(VALU_DEP_4)
	v_add_f64_e64 v[84:85], v[84:85], -v[88:89]
	v_div_scale_f64 v[94:95], null, v[78:79], v[78:79], v[80:81]
	s_delay_alu instid0(VALU_DEP_4) | instskip(NEXT) | instid1(VALU_DEP_4)
	v_add_f64_e64 v[96:97], v[92:93], -v[86:87]
	v_add_f64_e64 v[76:77], v[76:77], -v[82:83]
	s_delay_alu instid0(VALU_DEP_3) | instskip(NEXT) | instid1(VALU_DEP_2)
	v_rcp_f64_e32 v[98:99], v[94:95]
	v_add_f64_e64 v[100:101], v[92:93], -v[96:97]
	v_add_f64_e64 v[82:83], v[90:91], -v[96:97]
	s_delay_alu instid0(VALU_DEP_3) | instskip(SKIP_1) | instid1(TRANS32_DEP_1)
	v_add_f64_e32 v[88:89], v[84:85], v[76:77]
	v_div_scale_f64 v[96:97], vcc_lo, v[80:81], v[78:79], v[80:81]
	v_fma_f64 v[102:103], -v[94:95], v[98:99], 1.0
	v_add_f64_e64 v[86:87], v[86:87], -v[100:101]
	s_delay_alu instid0(VALU_DEP_4) | instskip(NEXT) | instid1(VALU_DEP_3)
	v_add_f64_e64 v[90:91], v[88:89], -v[84:85]
	v_fmac_f64_e32 v[98:99], v[98:99], v[102:103]
	s_delay_alu instid0(VALU_DEP_3) | instskip(NEXT) | instid1(VALU_DEP_3)
	v_add_f64_e32 v[82:83], v[82:83], v[86:87]
	v_add_f64_e64 v[76:77], v[76:77], -v[90:91]
	s_delay_alu instid0(VALU_DEP_3) | instskip(NEXT) | instid1(VALU_DEP_3)
	v_fma_f64 v[86:87], -v[94:95], v[98:99], 1.0
	v_add_f64_e32 v[82:83], v[88:89], v[82:83]
	s_delay_alu instid0(VALU_DEP_2) | instskip(SKIP_1) | instid1(VALU_DEP_3)
	v_fmac_f64_e32 v[98:99], v[98:99], v[86:87]
	v_add_f64_e64 v[86:87], v[88:89], -v[90:91]
	v_add_f64_e32 v[88:89], v[92:93], v[82:83]
	s_delay_alu instid0(VALU_DEP_3) | instskip(NEXT) | instid1(VALU_DEP_3)
	v_mul_f64_e32 v[100:101], v[96:97], v[98:99]
	v_add_f64_e64 v[84:85], v[84:85], -v[86:87]
	s_delay_alu instid0(VALU_DEP_3) | instskip(NEXT) | instid1(VALU_DEP_3)
	v_add_f64_e64 v[86:87], v[88:89], -v[92:93]
	v_fma_f64 v[90:91], -v[94:95], v[100:101], v[96:97]
	s_delay_alu instid0(VALU_DEP_3) | instskip(NEXT) | instid1(VALU_DEP_3)
	v_add_f64_e32 v[76:77], v[76:77], v[84:85]
	v_add_f64_e64 v[82:83], v[82:83], -v[86:87]
	s_delay_alu instid0(VALU_DEP_3) | instskip(SKIP_1) | instid1(VALU_DEP_3)
	v_div_fmas_f64 v[84:85], v[90:91], v[98:99], v[100:101]
	v_cmp_class_f64_e64 vcc_lo, v[74:75], 0x204
	v_add_f64_e32 v[76:77], v[76:77], v[82:83]
	s_delay_alu instid0(VALU_DEP_3) | instskip(NEXT) | instid1(VALU_DEP_2)
	v_div_fixup_f64 v[78:79], v[84:85], v[78:79], v[80:81]
	v_add_f64_e32 v[76:77], v[88:89], v[76:77]
	s_delay_alu instid0(VALU_DEP_2) | instskip(NEXT) | instid1(VALU_DEP_2)
	v_fmac_f64_e32 v[78:79], 0.5, v[72:73]
	v_dual_cndmask_b32 v62, v76, v74, vcc_lo :: v_dual_cndmask_b32 v66, v77, v75, vcc_lo
	v_cmp_ngt_f64_e32 vcc_lo, 0, v[74:75]
	s_delay_alu instid0(VALU_DEP_2) | instskip(SKIP_1) | instid1(VALU_DEP_4)
	v_cndmask_b32_e32 v66, 0x7ff80000, v66, vcc_lo
	v_cmp_nge_f64_e32 vcc_lo, 0, v[74:75]
	v_cndmask_b32_e32 v72, 0, v62, vcc_lo
	v_cmp_neq_f64_e32 vcc_lo, 0, v[74:75]
	s_delay_alu instid0(VALU_DEP_4) | instskip(NEXT) | instid1(VALU_DEP_1)
	v_cndmask_b32_e32 v73, 0xfff00000, v66, vcc_lo
	v_add_f64_e32 v[72:73], v[78:79], v[72:73]
.LBB8_231:                              ;   in Loop: Header=BB8_145 Depth=1
	s_or_b32 exec_lo, exec_lo, s6
.LBB8_232:                              ;   in Loop: Header=BB8_145 Depth=1
	s_and_not1_saveexec_b32 s33, s5
	s_cbranch_execz .LBB8_246
; %bb.233:                              ;   in Loop: Header=BB8_145 Depth=1
                                        ; implicit-def: $vgpr62
                                        ; implicit-def: $vgpr74_vgpr75
	s_mov_b32 s4, exec_lo
	v_cmpx_lt_u32_e32 0x3feccccc, v71
	s_xor_b32 s5, exec_lo, s4
	s_cbranch_execz .LBB8_235
; %bb.234:                              ;   in Loop: Header=BB8_145 Depth=1
	v_add_f64_e64 v[72:73], -|v[58:59]|, 2.0
	v_add_f64_e64 v[74:75], |v[58:59]|, s[12:13]
	v_add_f64_e64 v[76:77], |v[58:59]|, -1.0
	v_cmp_gt_u32_e32 vcc_lo, 0x3ffbb4c3, v71
	v_cmp_gt_u32_e64 s4, 0x3ff3b4c4, v71
	v_cndmask_b32_e64 v70, 0, 1, vcc_lo
	v_dual_cndmask_b32 v62, v72, v74, vcc_lo :: v_dual_cndmask_b32 v66, v73, v75, vcc_lo
	s_delay_alu instid0(VALU_DEP_1) | instskip(NEXT) | instid1(VALU_DEP_2)
	v_cndmask_b32_e64 v74, v62, v76, s4
	v_cndmask_b32_e64 v75, v66, v77, s4
	s_delay_alu instid0(VALU_DEP_4)
	v_cndmask_b32_e64 v62, v70, 2, s4
.LBB8_235:                              ;   in Loop: Header=BB8_145 Depth=1
	s_or_saveexec_b32 s40, s5
	v_mov_b64_e32 v[72:73], 0
	s_xor_b32 exec_lo, exec_lo, s40
	s_cbranch_execz .LBB8_237
; %bb.236:                              ;   in Loop: Header=BB8_145 Depth=1
	v_frexp_mant_f64_e64 v[72:73], |v[58:59]|
	v_cmp_gt_u32_e64 s6, 0x3fcda661, v71
	v_cmp_gt_u32_e64 s5, 0x3fe76944, v71
	v_cmp_neq_f64_e64 s4, 0, v[58:59]
	s_delay_alu instid0(VALU_DEP_4) | instskip(SKIP_1) | instid1(VALU_DEP_1)
	v_cmp_gt_f64_e32 vcc_lo, s[8:9], v[72:73]
	v_cndmask_b32_e64 v62, 0, 1, vcc_lo
	v_ldexp_f64 v[72:73], v[72:73], v62
	v_frexp_exp_i32_f64_e32 v62, v[58:59]
	s_delay_alu instid0(VALU_DEP_2) | instskip(SKIP_1) | instid1(VALU_DEP_3)
	v_add_f64_e32 v[74:75], 1.0, v[72:73]
	v_add_f64_e32 v[80:81], -1.0, v[72:73]
	v_subrev_co_ci_u32_e64 v62, null, 0, v62, vcc_lo
	v_cmp_neq_f64_e64 vcc_lo, 0x7ff00000, |v[58:59]|
	s_delay_alu instid0(VALU_DEP_4) | instskip(SKIP_1) | instid1(VALU_DEP_1)
	v_rcp_f64_e32 v[76:77], v[74:75]
	v_add_f64_e32 v[82:83], -1.0, v[74:75]
	v_add_f64_e64 v[72:73], v[72:73], -v[82:83]
	s_delay_alu instid0(TRANS32_DEP_1) | instskip(NEXT) | instid1(VALU_DEP_1)
	v_fma_f64 v[78:79], -v[74:75], v[76:77], 1.0
	v_fmac_f64_e32 v[76:77], v[78:79], v[76:77]
	s_delay_alu instid0(VALU_DEP_1) | instskip(NEXT) | instid1(VALU_DEP_1)
	v_fma_f64 v[78:79], -v[74:75], v[76:77], 1.0
	v_fmac_f64_e32 v[76:77], v[78:79], v[76:77]
	s_delay_alu instid0(VALU_DEP_1) | instskip(NEXT) | instid1(VALU_DEP_1)
	v_mul_f64_e32 v[78:79], v[80:81], v[76:77]
	v_mul_f64_e32 v[84:85], v[74:75], v[78:79]
	s_delay_alu instid0(VALU_DEP_1) | instskip(NEXT) | instid1(VALU_DEP_1)
	v_fma_f64 v[74:75], v[78:79], v[74:75], -v[84:85]
	v_fmac_f64_e32 v[74:75], v[78:79], v[72:73]
	s_delay_alu instid0(VALU_DEP_1) | instskip(NEXT) | instid1(VALU_DEP_1)
	v_add_f64_e32 v[72:73], v[84:85], v[74:75]
	v_add_f64_e64 v[82:83], v[80:81], -v[72:73]
	v_add_f64_e64 v[84:85], v[72:73], -v[84:85]
	s_delay_alu instid0(VALU_DEP_2) | instskip(NEXT) | instid1(VALU_DEP_2)
	v_add_f64_e64 v[80:81], v[80:81], -v[82:83]
	v_add_f64_e64 v[74:75], v[84:85], -v[74:75]
	s_delay_alu instid0(VALU_DEP_2) | instskip(NEXT) | instid1(VALU_DEP_1)
	v_add_f64_e64 v[72:73], v[80:81], -v[72:73]
	v_add_f64_e32 v[72:73], v[74:75], v[72:73]
	s_delay_alu instid0(VALU_DEP_1) | instskip(NEXT) | instid1(VALU_DEP_1)
	v_add_f64_e32 v[72:73], v[82:83], v[72:73]
	v_mul_f64_e32 v[72:73], v[76:77], v[72:73]
	s_delay_alu instid0(VALU_DEP_1) | instskip(NEXT) | instid1(VALU_DEP_1)
	v_add_f64_e32 v[74:75], v[78:79], v[72:73]
	v_mul_f64_e32 v[76:77], v[74:75], v[74:75]
	s_delay_alu instid0(VALU_DEP_1) | instskip(SKIP_1) | instid1(VALU_DEP_2)
	v_fmamk_f64 v[80:81], v[76:77], 0x3fc3ab76bf559e2b, v[6:7]
	v_mul_f64_e32 v[82:83], v[74:75], v[76:77]
	v_fmaak_f64 v[80:81], v[76:77], v[80:81], 0x3fc7474dd7f4df2e
	s_delay_alu instid0(VALU_DEP_1) | instskip(NEXT) | instid1(VALU_DEP_1)
	v_fmaak_f64 v[80:81], v[76:77], v[80:81], 0x3fcc71c016291751
	v_fmaak_f64 v[80:81], v[76:77], v[80:81], 0x3fd249249b27acf1
	s_delay_alu instid0(VALU_DEP_1) | instskip(NEXT) | instid1(VALU_DEP_1)
	v_fmaak_f64 v[80:81], v[76:77], v[80:81], 0x3fd99999998ef7b6
	v_fmaak_f64 v[76:77], v[76:77], v[80:81], 0x3fe5555555555780
	v_ldexp_f64 v[80:81], v[74:75], 1
	v_add_f64_e64 v[74:75], v[74:75], -v[78:79]
	s_delay_alu instid0(VALU_DEP_3) | instskip(SKIP_1) | instid1(VALU_DEP_3)
	v_mul_f64_e32 v[76:77], v[82:83], v[76:77]
	v_cvt_f64_i32_e32 v[82:83], v62
	v_add_f64_e64 v[72:73], v[72:73], -v[74:75]
	s_delay_alu instid0(VALU_DEP_3) | instskip(NEXT) | instid1(VALU_DEP_3)
	v_add_f64_e32 v[78:79], v[80:81], v[76:77]
	v_mul_f64_e32 v[84:85], 0x3fe62e42fefa39ef, v[82:83]
	s_delay_alu instid0(VALU_DEP_3) | instskip(NEXT) | instid1(VALU_DEP_3)
	v_ldexp_f64 v[72:73], v[72:73], 1
	v_add_f64_e64 v[74:75], v[78:79], -v[80:81]
	s_delay_alu instid0(VALU_DEP_3) | instskip(NEXT) | instid1(VALU_DEP_2)
	v_fma_f64 v[80:81], v[82:83], s[16:17], -v[84:85]
	v_add_f64_e64 v[74:75], v[76:77], -v[74:75]
	s_delay_alu instid0(VALU_DEP_2) | instskip(NEXT) | instid1(VALU_DEP_2)
	v_fmac_f64_e32 v[80:81], 0x3c7abc9e3b39803f, v[82:83]
	v_add_f64_e32 v[72:73], v[72:73], v[74:75]
	s_delay_alu instid0(VALU_DEP_2) | instskip(NEXT) | instid1(VALU_DEP_2)
	v_add_f64_e32 v[74:75], v[84:85], v[80:81]
	v_add_f64_e32 v[76:77], v[78:79], v[72:73]
	s_delay_alu instid0(VALU_DEP_2) | instskip(NEXT) | instid1(VALU_DEP_2)
	v_add_f64_e64 v[84:85], v[74:75], -v[84:85]
	v_add_f64_e32 v[82:83], v[74:75], v[76:77]
	v_add_f64_e64 v[78:79], v[76:77], -v[78:79]
	s_delay_alu instid0(VALU_DEP_3) | instskip(NEXT) | instid1(VALU_DEP_3)
	v_add_f64_e64 v[80:81], v[80:81], -v[84:85]
	v_add_f64_e64 v[86:87], v[82:83], -v[74:75]
	s_delay_alu instid0(VALU_DEP_3) | instskip(NEXT) | instid1(VALU_DEP_2)
	v_add_f64_e64 v[72:73], v[72:73], -v[78:79]
	v_add_f64_e64 v[88:89], v[82:83], -v[86:87]
	;; [unrolled: 1-line block ×3, first 2 shown]
	s_delay_alu instid0(VALU_DEP_3) | instskip(NEXT) | instid1(VALU_DEP_3)
	v_add_f64_e32 v[78:79], v[80:81], v[72:73]
	v_add_f64_e64 v[74:75], v[74:75], -v[88:89]
	s_delay_alu instid0(VALU_DEP_1) | instskip(NEXT) | instid1(VALU_DEP_3)
	v_add_f64_e32 v[74:75], v[76:77], v[74:75]
	v_add_f64_e64 v[76:77], v[78:79], -v[80:81]
	s_delay_alu instid0(VALU_DEP_2) | instskip(NEXT) | instid1(VALU_DEP_2)
	v_add_f64_e32 v[74:75], v[78:79], v[74:75]
	v_add_f64_e64 v[78:79], v[78:79], -v[76:77]
	v_add_f64_e64 v[72:73], v[72:73], -v[76:77]
	s_delay_alu instid0(VALU_DEP_3) | instskip(NEXT) | instid1(VALU_DEP_3)
	v_add_f64_e32 v[84:85], v[82:83], v[74:75]
	v_add_f64_e64 v[76:77], v[80:81], -v[78:79]
	s_delay_alu instid0(VALU_DEP_2) | instskip(NEXT) | instid1(VALU_DEP_2)
	v_add_f64_e64 v[78:79], v[84:85], -v[82:83]
	v_add_f64_e32 v[72:73], v[72:73], v[76:77]
	v_add_f64_e64 v[76:77], |v[58:59]|, s[14:15]
	s_delay_alu instid0(VALU_DEP_3) | instskip(NEXT) | instid1(VALU_DEP_1)
	v_add_f64_e64 v[74:75], v[74:75], -v[78:79]
	v_add_f64_e32 v[72:73], v[72:73], v[74:75]
	v_add_f64_e64 v[74:75], -|v[58:59]|, 1.0
	s_delay_alu instid0(VALU_DEP_2) | instskip(NEXT) | instid1(VALU_DEP_2)
	v_add_f64_e32 v[72:73], v[84:85], v[72:73]
	v_dual_cndmask_b32 v66, v74, v76, s5 :: v_dual_cndmask_b32 v70, v75, v77, s5
	v_cndmask_b32_e64 v76, 0, 1, s5
	s_delay_alu instid0(VALU_DEP_2) | instskip(NEXT) | instid1(VALU_DEP_3)
	v_cndmask_b32_e64 v74, v66, v58, s6
	v_cndmask_b32_e64 v75, v70, v71, s6
	v_xor_b32_e32 v62, 0x80000000, v73
	s_delay_alu instid0(VALU_DEP_1) | instskip(SKIP_2) | instid1(VALU_DEP_2)
	v_cndmask_b32_e32 v62, 0xfff00000, v62, vcc_lo
	s_and_b32 vcc_lo, s4, vcc_lo
	v_cndmask_b32_e32 v72, 0, v72, vcc_lo
	v_cndmask_b32_e64 v73, 0x7ff00000, v62, s4
	v_cndmask_b32_e64 v62, v76, 2, s6
.LBB8_237:                              ;   in Loop: Header=BB8_145 Depth=1
	s_or_b32 exec_lo, exec_lo, s40
	s_delay_alu instid0(SALU_CYCLE_1) | instskip(NEXT) | instid1(VALU_DEP_1)
	s_mov_b32 s4, exec_lo
                                        ; implicit-def: $vgpr76_vgpr77
	v_cmpx_lt_i32_e32 1, v62
	s_xor_b32 s4, exec_lo, s4
	s_cbranch_execz .LBB8_239
; %bb.238:                              ;   in Loop: Header=BB8_145 Depth=1
	v_fmamk_f64 v[76:77], v[74:75], 0x3f8b678bbf2bab09, v[36:37]
	v_fmamk_f64 v[78:79], v[74:75], 0x3f6a5abb57d0cf61, v[38:39]
                                        ; implicit-def: $vgpr62
	s_delay_alu instid0(VALU_DEP_2) | instskip(NEXT) | instid1(VALU_DEP_2)
	v_fmaak_f64 v[76:77], v[74:75], v[76:77], 0x3fef497644ea8450
	v_fmaak_f64 v[78:79], v[74:75], v[78:79], 0x3fe89dfbe45050af
	s_delay_alu instid0(VALU_DEP_2) | instskip(NEXT) | instid1(VALU_DEP_2)
	v_fmaak_f64 v[76:77], v[74:75], v[76:77], 0x3ff7475cd119bd6f
	v_fmaak_f64 v[78:79], v[74:75], v[78:79], 0x40010725a42b18f5
	;; [unrolled: 3-line block ×3, first 2 shown]
	s_delay_alu instid0(VALU_DEP_2) | instskip(NEXT) | instid1(VALU_DEP_2)
	v_fmaak_f64 v[76:77], v[74:75], v[76:77], 0xbfb3c467e37db0c8
	v_fma_f64 v[78:79], v[74:75], v[78:79], 1.0
	s_delay_alu instid0(VALU_DEP_2) | instskip(NEXT) | instid1(VALU_DEP_1)
	v_mul_f64_e32 v[76:77], v[74:75], v[76:77]
	v_div_scale_f64 v[80:81], null, v[78:79], v[78:79], v[76:77]
	s_delay_alu instid0(VALU_DEP_1) | instskip(SKIP_1) | instid1(TRANS32_DEP_1)
	v_rcp_f64_e32 v[82:83], v[80:81]
	v_nop
	v_fma_f64 v[84:85], -v[80:81], v[82:83], 1.0
	s_delay_alu instid0(VALU_DEP_1) | instskip(NEXT) | instid1(VALU_DEP_1)
	v_fmac_f64_e32 v[82:83], v[82:83], v[84:85]
	v_fma_f64 v[84:85], -v[80:81], v[82:83], 1.0
	s_delay_alu instid0(VALU_DEP_1) | instskip(SKIP_1) | instid1(VALU_DEP_1)
	v_fmac_f64_e32 v[82:83], v[82:83], v[84:85]
	v_div_scale_f64 v[84:85], vcc_lo, v[76:77], v[78:79], v[76:77]
	v_mul_f64_e32 v[86:87], v[84:85], v[82:83]
	s_delay_alu instid0(VALU_DEP_1) | instskip(NEXT) | instid1(VALU_DEP_1)
	v_fma_f64 v[80:81], -v[80:81], v[86:87], v[84:85]
	v_div_fmas_f64 v[80:81], v[80:81], v[82:83], v[86:87]
	s_delay_alu instid0(VALU_DEP_1) | instskip(NEXT) | instid1(VALU_DEP_1)
	v_div_fixup_f64 v[76:77], v[80:81], v[78:79], v[76:77]
	v_fmac_f64_e32 v[76:77], -0.5, v[74:75]
                                        ; implicit-def: $vgpr74_vgpr75
.LBB8_239:                              ;   in Loop: Header=BB8_145 Depth=1
	s_and_not1_saveexec_b32 s4, s4
	s_cbranch_execz .LBB8_245
; %bb.240:                              ;   in Loop: Header=BB8_145 Depth=1
	s_mov_b32 s5, exec_lo
                                        ; implicit-def: $vgpr76_vgpr77
	v_cmpx_ne_u32_e32 1, v62
	s_xor_b32 s5, exec_lo, s5
	s_cbranch_execz .LBB8_242
; %bb.241:                              ;   in Loop: Header=BB8_145 Depth=1
	v_mul_f64_e32 v[78:79], v[74:75], v[74:75]
	s_delay_alu instid0(VALU_DEP_1) | instskip(SKIP_1) | instid1(VALU_DEP_2)
	v_fmamk_f64 v[76:77], v[78:79], 0x3f07858e90a45837, v[42:43]
	v_fmamk_f64 v[80:81], v[78:79], 0x3efa7074428cfa52, v[40:41]
	v_fmaak_f64 v[76:77], v[78:79], v[76:77], 0x3f40b6c689b99c00
	s_delay_alu instid0(VALU_DEP_2) | instskip(NEXT) | instid1(VALU_DEP_2)
	v_fmaak_f64 v[80:81], v[78:79], v[80:81], 0x3f538a94116f3f5d
	v_fmaak_f64 v[76:77], v[78:79], v[76:77], 0x3f67add8ccb7926b
	s_delay_alu instid0(VALU_DEP_2) | instskip(NEXT) | instid1(VALU_DEP_2)
	v_fmaak_f64 v[80:81], v[78:79], v[80:81], 0x3f7e404fb68fefe8
	v_fmaak_f64 v[76:77], v[78:79], v[76:77], 0x3f951322ac92547b
	s_delay_alu instid0(VALU_DEP_2) | instskip(NEXT) | instid1(VALU_DEP_2)
	v_fmaak_f64 v[80:81], v[78:79], v[80:81], 0x3fb13e001a5562a7
	v_fmaak_f64 v[76:77], v[78:79], v[76:77], 0x3fd4a34cc4a60fad
	s_delay_alu instid0(VALU_DEP_1) | instskip(NEXT) | instid1(VALU_DEP_3)
	v_mul_f64_e32 v[76:77], v[78:79], v[76:77]
	v_fmaak_f64 v[78:79], v[78:79], v[80:81], 0x3fb3c467e37db0c8
	s_delay_alu instid0(VALU_DEP_1) | instskip(NEXT) | instid1(VALU_DEP_1)
	v_fmac_f64_e32 v[76:77], v[74:75], v[78:79]
	v_fmac_f64_e32 v[76:77], -0.5, v[74:75]
                                        ; implicit-def: $vgpr74_vgpr75
.LBB8_242:                              ;   in Loop: Header=BB8_145 Depth=1
	s_and_not1_saveexec_b32 s5, s5
	s_cbranch_execz .LBB8_244
; %bb.243:                              ;   in Loop: Header=BB8_145 Depth=1
	v_mul_f64_e32 v[76:77], v[74:75], v[74:75]
	s_delay_alu instid0(VALU_DEP_1) | instskip(NEXT) | instid1(VALU_DEP_1)
	v_mul_f64_e32 v[78:79], v[74:75], v[76:77]
	v_fmamk_f64 v[80:81], v[78:79], 0xbf347f24ecc38c38, v[46:47]
	v_fmamk_f64 v[82:83], v[78:79], 0x3f35fd3ee8c2d3f4, v[48:49]
	s_delay_alu instid0(VALU_DEP_2) | instskip(NEXT) | instid1(VALU_DEP_2)
	v_fmaak_f64 v[80:81], v[78:79], v[80:81], 0xbf6e2effb3e914d7
	v_fmaak_f64 v[82:83], v[78:79], v[82:83], 0x3f6282d32e15c915
	s_delay_alu instid0(VALU_DEP_2) | instskip(NEXT) | instid1(VALU_DEP_2)
	v_fmaak_f64 v[80:81], v[78:79], v[80:81], 0x3f9266e7970af9ec
	v_fmaak_f64 v[82:83], v[78:79], v[82:83], 0xbf851f9fba91ec6a
	;; [unrolled: 3-line block ×3, first 2 shown]
	s_delay_alu instid0(VALU_DEP_1) | instskip(NEXT) | instid1(VALU_DEP_1)
	v_fmac_f64_e32 v[80:81], v[74:75], v[82:83]
	v_fma_f64 v[74:75], v[78:79], -v[80:81], s[18:19]
	v_fmamk_f64 v[80:81], v[78:79], 0x3f34af6d6c0ebbf7, v[44:45]
	s_delay_alu instid0(VALU_DEP_1) | instskip(NEXT) | instid1(VALU_DEP_1)
	v_fmaak_f64 v[80:81], v[78:79], v[80:81], 0x3f78fce0e370e344
	v_fmaak_f64 v[80:81], v[78:79], v[80:81], 0xbfa0c9a8df35b713
	s_delay_alu instid0(VALU_DEP_1) | instskip(NEXT) | instid1(VALU_DEP_1)
	v_fmaak_f64 v[78:79], v[78:79], v[80:81], 0x3fdef72bc8ee38a2
	v_fma_f64 v[74:75], v[76:77], v[78:79], -v[74:75]
	s_delay_alu instid0(VALU_DEP_1)
	v_add_f64_e32 v[76:77], 0xbfbf19b9bcc38a42, v[74:75]
.LBB8_244:                              ;   in Loop: Header=BB8_145 Depth=1
	s_or_b32 exec_lo, exec_lo, s5
.LBB8_245:                              ;   in Loop: Header=BB8_145 Depth=1
	s_delay_alu instid0(SALU_CYCLE_1) | instskip(NEXT) | instid1(VALU_DEP_1)
	s_or_b32 exec_lo, exec_lo, s4
	v_add_f64_e32 v[72:73], v[72:73], v[76:77]
.LBB8_246:                              ;   in Loop: Header=BB8_145 Depth=1
	s_or_b32 exec_lo, exec_lo, s33
.LBB8_247:                              ;   in Loop: Header=BB8_145 Depth=1
	s_and_not1_saveexec_b32 s5, s7
	s_cbranch_execz .LBB8_249
; %bb.248:                              ;   in Loop: Header=BB8_145 Depth=1
	v_frexp_mant_f64_e64 v[72:73], |v[58:59]|
	v_cmp_neq_f64_e64 s4, 0, v[58:59]
	s_delay_alu instid0(VALU_DEP_2) | instskip(SKIP_1) | instid1(VALU_DEP_1)
	v_cmp_gt_f64_e32 vcc_lo, s[8:9], v[72:73]
	v_cndmask_b32_e64 v62, 0, 1, vcc_lo
	v_ldexp_f64 v[72:73], v[72:73], v62
	v_frexp_exp_i32_f64_e32 v62, v[58:59]
	s_delay_alu instid0(VALU_DEP_2) | instskip(SKIP_1) | instid1(VALU_DEP_3)
	v_add_f64_e32 v[74:75], 1.0, v[72:73]
	v_add_f64_e32 v[80:81], -1.0, v[72:73]
	v_subrev_co_ci_u32_e64 v62, null, 0, v62, vcc_lo
	v_cmp_neq_f64_e64 vcc_lo, 0x7ff00000, |v[58:59]|
	s_delay_alu instid0(VALU_DEP_4) | instskip(SKIP_1) | instid1(VALU_DEP_1)
	v_rcp_f64_e32 v[76:77], v[74:75]
	v_add_f64_e32 v[82:83], -1.0, v[74:75]
	v_add_f64_e64 v[72:73], v[72:73], -v[82:83]
	s_delay_alu instid0(TRANS32_DEP_1) | instskip(NEXT) | instid1(VALU_DEP_1)
	v_fma_f64 v[78:79], -v[74:75], v[76:77], 1.0
	v_fmac_f64_e32 v[76:77], v[78:79], v[76:77]
	s_delay_alu instid0(VALU_DEP_1) | instskip(NEXT) | instid1(VALU_DEP_1)
	v_fma_f64 v[78:79], -v[74:75], v[76:77], 1.0
	v_fmac_f64_e32 v[76:77], v[78:79], v[76:77]
	s_delay_alu instid0(VALU_DEP_1) | instskip(NEXT) | instid1(VALU_DEP_1)
	v_mul_f64_e32 v[78:79], v[80:81], v[76:77]
	v_mul_f64_e32 v[84:85], v[74:75], v[78:79]
	s_delay_alu instid0(VALU_DEP_1) | instskip(NEXT) | instid1(VALU_DEP_1)
	v_fma_f64 v[74:75], v[78:79], v[74:75], -v[84:85]
	v_fmac_f64_e32 v[74:75], v[78:79], v[72:73]
	s_delay_alu instid0(VALU_DEP_1) | instskip(NEXT) | instid1(VALU_DEP_1)
	v_add_f64_e32 v[72:73], v[84:85], v[74:75]
	v_add_f64_e64 v[82:83], v[80:81], -v[72:73]
	v_add_f64_e64 v[84:85], v[72:73], -v[84:85]
	s_delay_alu instid0(VALU_DEP_2) | instskip(NEXT) | instid1(VALU_DEP_2)
	v_add_f64_e64 v[80:81], v[80:81], -v[82:83]
	v_add_f64_e64 v[74:75], v[84:85], -v[74:75]
	s_delay_alu instid0(VALU_DEP_2) | instskip(NEXT) | instid1(VALU_DEP_1)
	v_add_f64_e64 v[72:73], v[80:81], -v[72:73]
	v_add_f64_e32 v[72:73], v[74:75], v[72:73]
	s_delay_alu instid0(VALU_DEP_1) | instskip(NEXT) | instid1(VALU_DEP_1)
	v_add_f64_e32 v[72:73], v[82:83], v[72:73]
	v_mul_f64_e32 v[72:73], v[76:77], v[72:73]
	s_delay_alu instid0(VALU_DEP_1) | instskip(NEXT) | instid1(VALU_DEP_1)
	v_add_f64_e32 v[74:75], v[78:79], v[72:73]
	v_mul_f64_e32 v[76:77], v[74:75], v[74:75]
	s_delay_alu instid0(VALU_DEP_1) | instskip(SKIP_1) | instid1(VALU_DEP_2)
	v_fmamk_f64 v[80:81], v[76:77], 0x3fc3ab76bf559e2b, v[6:7]
	v_mul_f64_e32 v[82:83], v[74:75], v[76:77]
	v_fmaak_f64 v[80:81], v[76:77], v[80:81], 0x3fc7474dd7f4df2e
	s_delay_alu instid0(VALU_DEP_1) | instskip(NEXT) | instid1(VALU_DEP_1)
	v_fmaak_f64 v[80:81], v[76:77], v[80:81], 0x3fcc71c016291751
	v_fmaak_f64 v[80:81], v[76:77], v[80:81], 0x3fd249249b27acf1
	s_delay_alu instid0(VALU_DEP_1) | instskip(NEXT) | instid1(VALU_DEP_1)
	v_fmaak_f64 v[80:81], v[76:77], v[80:81], 0x3fd99999998ef7b6
	v_fmaak_f64 v[76:77], v[76:77], v[80:81], 0x3fe5555555555780
	v_ldexp_f64 v[80:81], v[74:75], 1
	v_add_f64_e64 v[74:75], v[74:75], -v[78:79]
	s_delay_alu instid0(VALU_DEP_3) | instskip(SKIP_1) | instid1(VALU_DEP_3)
	v_mul_f64_e32 v[76:77], v[82:83], v[76:77]
	v_cvt_f64_i32_e32 v[82:83], v62
	v_add_f64_e64 v[72:73], v[72:73], -v[74:75]
	s_delay_alu instid0(VALU_DEP_3) | instskip(NEXT) | instid1(VALU_DEP_3)
	v_add_f64_e32 v[78:79], v[80:81], v[76:77]
	v_mul_f64_e32 v[84:85], 0x3fe62e42fefa39ef, v[82:83]
	s_delay_alu instid0(VALU_DEP_3) | instskip(NEXT) | instid1(VALU_DEP_3)
	v_ldexp_f64 v[72:73], v[72:73], 1
	v_add_f64_e64 v[74:75], v[78:79], -v[80:81]
	s_delay_alu instid0(VALU_DEP_3) | instskip(NEXT) | instid1(VALU_DEP_2)
	v_fma_f64 v[80:81], v[82:83], s[16:17], -v[84:85]
	v_add_f64_e64 v[74:75], v[76:77], -v[74:75]
	s_delay_alu instid0(VALU_DEP_2) | instskip(NEXT) | instid1(VALU_DEP_2)
	v_fmac_f64_e32 v[80:81], 0x3c7abc9e3b39803f, v[82:83]
	v_add_f64_e32 v[72:73], v[72:73], v[74:75]
	s_delay_alu instid0(VALU_DEP_2) | instskip(NEXT) | instid1(VALU_DEP_2)
	v_add_f64_e32 v[74:75], v[84:85], v[80:81]
	v_add_f64_e32 v[76:77], v[78:79], v[72:73]
	s_delay_alu instid0(VALU_DEP_2) | instskip(NEXT) | instid1(VALU_DEP_2)
	v_add_f64_e64 v[84:85], v[74:75], -v[84:85]
	v_add_f64_e32 v[82:83], v[74:75], v[76:77]
	v_add_f64_e64 v[78:79], v[76:77], -v[78:79]
	s_delay_alu instid0(VALU_DEP_3) | instskip(NEXT) | instid1(VALU_DEP_3)
	v_add_f64_e64 v[80:81], v[80:81], -v[84:85]
	v_add_f64_e64 v[86:87], v[82:83], -v[74:75]
	s_delay_alu instid0(VALU_DEP_3) | instskip(NEXT) | instid1(VALU_DEP_2)
	v_add_f64_e64 v[72:73], v[72:73], -v[78:79]
	v_add_f64_e64 v[88:89], v[82:83], -v[86:87]
	;; [unrolled: 1-line block ×3, first 2 shown]
	s_delay_alu instid0(VALU_DEP_3) | instskip(NEXT) | instid1(VALU_DEP_3)
	v_add_f64_e32 v[78:79], v[80:81], v[72:73]
	v_add_f64_e64 v[74:75], v[74:75], -v[88:89]
	s_delay_alu instid0(VALU_DEP_1) | instskip(NEXT) | instid1(VALU_DEP_3)
	v_add_f64_e32 v[74:75], v[76:77], v[74:75]
	v_add_f64_e64 v[76:77], v[78:79], -v[80:81]
	s_delay_alu instid0(VALU_DEP_2) | instskip(NEXT) | instid1(VALU_DEP_2)
	v_add_f64_e32 v[74:75], v[78:79], v[74:75]
	v_add_f64_e64 v[78:79], v[78:79], -v[76:77]
	v_add_f64_e64 v[72:73], v[72:73], -v[76:77]
	s_delay_alu instid0(VALU_DEP_3) | instskip(NEXT) | instid1(VALU_DEP_3)
	v_add_f64_e32 v[84:85], v[82:83], v[74:75]
	v_add_f64_e64 v[76:77], v[80:81], -v[78:79]
	s_delay_alu instid0(VALU_DEP_2) | instskip(NEXT) | instid1(VALU_DEP_2)
	v_add_f64_e64 v[78:79], v[84:85], -v[82:83]
	v_add_f64_e32 v[72:73], v[72:73], v[76:77]
	v_fma_f64 v[76:77], |v[58:59]|, s[22:23], s[20:21]
	s_delay_alu instid0(VALU_DEP_3) | instskip(NEXT) | instid1(VALU_DEP_1)
	v_add_f64_e64 v[74:75], v[74:75], -v[78:79]
	v_add_f64_e32 v[72:73], v[72:73], v[74:75]
	s_delay_alu instid0(VALU_DEP_3) | instskip(NEXT) | instid1(VALU_DEP_2)
	v_fma_f64 v[74:75], |v[58:59]|, v[76:77], s[24:25]
	v_add_f64_e32 v[72:73], v[84:85], v[72:73]
	s_delay_alu instid0(VALU_DEP_2) | instskip(NEXT) | instid1(VALU_DEP_2)
	v_fma_f64 v[74:75], |v[58:59]|, v[74:75], s[26:27]
	v_xor_b32_e32 v62, 0x80000000, v73
	s_delay_alu instid0(VALU_DEP_2) | instskip(NEXT) | instid1(VALU_DEP_2)
	v_fma_f64 v[74:75], |v[58:59]|, v[74:75], s[28:29]
	v_cndmask_b32_e32 v62, 0xfff00000, v62, vcc_lo
	s_and_b32 vcc_lo, s4, vcc_lo
	v_cndmask_b32_e32 v72, 0, v72, vcc_lo
	s_delay_alu instid0(VALU_DEP_2) | instskip(NEXT) | instid1(VALU_DEP_1)
	v_cndmask_b32_e64 v73, 0x7ff00000, v62, s4
	v_fma_f64 v[72:73], |v[58:59]|, v[74:75], v[72:73]
.LBB8_249:                              ;   in Loop: Header=BB8_145 Depth=1
	s_or_b32 exec_lo, exec_lo, s5
	s_delay_alu instid0(SALU_CYCLE_1)
	s_mov_b32 s4, exec_lo
	v_cmpx_le_f64_e32 0, v[58:59]
	s_xor_b32 s5, exec_lo, s4
	s_cbranch_execz .LBB8_251
; %bb.250:                              ;   in Loop: Header=BB8_145 Depth=1
	v_cmp_eq_f64_e32 vcc_lo, 1.0, v[58:59]
	v_cmp_eq_f64_e64 s4, 2.0, v[58:59]
	s_or_b32 s4, vcc_lo, s4
	s_delay_alu instid0(SALU_CYCLE_1)
	v_cndmask_b32_e64 v73, v73, 0, s4
	v_cndmask_b32_e64 v72, v72, 0, s4
.LBB8_251:                              ;   in Loop: Header=BB8_145 Depth=1
	s_and_not1_saveexec_b32 s5, s5
	s_cbranch_execz .LBB8_255
; %bb.252:                              ;   in Loop: Header=BB8_145 Depth=1
	v_add_nc_u32_e32 v62, 0xc32fffff, v71
	s_mov_b32 s6, exec_lo
	s_delay_alu instid0(VALU_DEP_1)
	v_cmpx_gt_u32_e32 0x65fffff, v62
	s_cbranch_execz .LBB8_254
; %bb.253:                              ;   in Loop: Header=BB8_145 Depth=1
	v_mul_f64_e64 v[74:75], |v[58:59]|, 0.5
	v_cmp_class_f64_e64 s4, v[58:59], 0x1f8
	s_delay_alu instid0(VALU_DEP_2) | instskip(SKIP_1) | instid1(VALU_DEP_2)
	v_fract_f64_e32 v[76:77], v[74:75]
	v_cmp_neq_f64_e64 vcc_lo, 0x7ff00000, |v[74:75]|
	v_add_f64_e32 v[76:77], v[76:77], v[76:77]
	s_delay_alu instid0(VALU_DEP_1) | instskip(SKIP_1) | instid1(VALU_DEP_2)
	v_dual_cndmask_b32 v62, 0, v76, vcc_lo :: v_dual_cndmask_b32 v66, 0, v77, vcc_lo
	v_cmp_gt_f64_e64 vcc_lo, |v[58:59]|, 1.0
	v_cndmask_b32_e32 v75, v71, v66, vcc_lo
	s_delay_alu instid0(VALU_DEP_3) | instskip(NEXT) | instid1(VALU_DEP_1)
	v_cndmask_b32_e32 v74, v58, v62, vcc_lo
	v_add_f64_e32 v[76:77], v[74:75], v[74:75]
	s_delay_alu instid0(VALU_DEP_1) | instskip(NEXT) | instid1(VALU_DEP_1)
	v_rndne_f64_e32 v[76:77], v[76:77]
	v_cvt_i32_f64_e32 v62, v[76:77]
	s_delay_alu instid0(VALU_DEP_1) | instskip(SKIP_2) | instid1(VALU_DEP_3)
	v_and_b32_e32 v66, 1, v62
	v_fmac_f64_e32 v[74:75], -0.5, v[76:77]
	v_lshlrev_b32_e32 v62, 30, v62
	v_cmp_eq_u32_e32 vcc_lo, 0, v66
	s_delay_alu instid0(VALU_DEP_3) | instskip(NEXT) | instid1(VALU_DEP_1)
	v_mul_f64_e32 v[78:79], v[74:75], v[74:75]
	v_fmamk_f64 v[80:81], v[78:79], 0x3f3e357ef99eb0bb, v[50:51]
	v_mul_f64_e32 v[82:83], v[74:75], v[78:79]
	v_fmamk_f64 v[84:85], v[78:79], 0xbf1b167302e21c33, v[52:53]
	s_delay_alu instid0(VALU_DEP_3) | instskip(NEXT) | instid1(VALU_DEP_2)
	v_fmaak_f64 v[80:81], v[78:79], v[80:81], 0x3fb50782d5f14825
	v_fmaak_f64 v[84:85], v[78:79], v[84:85], 0xbf9a6d1e7294bff9
	s_delay_alu instid0(VALU_DEP_2) | instskip(NEXT) | instid1(VALU_DEP_1)
	v_fmaak_f64 v[80:81], v[78:79], v[80:81], 0xbfe32d2ccdfe9424
	v_fmaak_f64 v[80:81], v[78:79], v[80:81], 0x400466bc67754fff
	s_delay_alu instid0(VALU_DEP_1) | instskip(NEXT) | instid1(VALU_DEP_1)
	v_fmaak_f64 v[80:81], v[78:79], v[80:81], 0xc014abbce625be09
	v_mul_f64_e32 v[80:81], v[82:83], v[80:81]
	v_fmaak_f64 v[82:83], v[78:79], v[84:85], 0x3fce1f5067b90b37
	s_delay_alu instid0(VALU_DEP_1) | instskip(NEXT) | instid1(VALU_DEP_1)
	v_fmaak_f64 v[82:83], v[78:79], v[82:83], 0xbff55d3c7e3c325b
	v_fmaak_f64 v[82:83], v[78:79], v[82:83], 0x40103c1f081b5a67
	s_delay_alu instid0(VALU_DEP_1) | instskip(NEXT) | instid1(VALU_DEP_1)
	v_fmaak_f64 v[82:83], v[78:79], v[82:83], 0xc013bd3cc9be45de
	v_fma_f64 v[76:77], v[78:79], v[82:83], 1.0
	v_fmac_f64_e32 v[80:81], 0x400921fb54442d18, v[74:75]
	s_delay_alu instid0(VALU_DEP_1) | instskip(NEXT) | instid1(VALU_DEP_1)
	v_dual_cndmask_b32 v66, v76, v80, vcc_lo :: v_dual_bitop2_b32 v62, v62, v59 bitop3:0x14
	v_dual_cndmask_b32 v70, v77, v81, vcc_lo :: v_dual_cndmask_b32 v74, 0, v66, s4
	s_delay_alu instid0(VALU_DEP_1) | instskip(NEXT) | instid1(VALU_DEP_1)
	v_bitop3_b32 v62, v70, v62, 0x80000000 bitop3:0x78
	v_cndmask_b32_e64 v75, 0x7ff80000, v62, s4
	v_cmp_class_f64_e64 s4, v[58:59], 0x204
	s_delay_alu instid0(VALU_DEP_2) | instskip(NEXT) | instid1(VALU_DEP_1)
	v_mul_f64_e32 v[74:75], v[58:59], v[74:75]
	v_and_b32_e32 v77, 0x7fffffff, v75
	s_delay_alu instid0(VALU_DEP_2) | instskip(NEXT) | instid1(VALU_DEP_1)
	v_mov_b32_e32 v76, v74
	v_div_scale_f64 v[78:79], null, v[76:77], v[76:77], s[30:31]
	v_div_scale_f64 v[76:77], vcc_lo, s[30:31], v[76:77], s[30:31]
	s_delay_alu instid0(VALU_DEP_2) | instskip(SKIP_1) | instid1(TRANS32_DEP_1)
	v_rcp_f64_e32 v[80:81], v[78:79]
	v_nop
	v_fma_f64 v[82:83], -v[78:79], v[80:81], 1.0
	s_delay_alu instid0(VALU_DEP_1) | instskip(NEXT) | instid1(VALU_DEP_1)
	v_fmac_f64_e32 v[80:81], v[80:81], v[82:83]
	v_fma_f64 v[82:83], -v[78:79], v[80:81], 1.0
	s_delay_alu instid0(VALU_DEP_1) | instskip(NEXT) | instid1(VALU_DEP_1)
	v_fmac_f64_e32 v[80:81], v[80:81], v[82:83]
	v_mul_f64_e32 v[82:83], v[76:77], v[80:81]
	s_delay_alu instid0(VALU_DEP_1) | instskip(NEXT) | instid1(VALU_DEP_1)
	v_fma_f64 v[76:77], -v[78:79], v[82:83], v[76:77]
	v_div_fmas_f64 v[76:77], v[76:77], v[80:81], v[82:83]
	s_delay_alu instid0(VALU_DEP_1) | instskip(NEXT) | instid1(VALU_DEP_1)
	v_div_fixup_f64 v[74:75], v[76:77], |v[74:75]|, s[30:31]
	v_frexp_mant_f64_e32 v[76:77], v[74:75]
	s_delay_alu instid0(VALU_DEP_1) | instskip(SKIP_1) | instid1(VALU_DEP_1)
	v_cmp_gt_f64_e32 vcc_lo, s[8:9], v[76:77]
	v_cndmask_b32_e64 v62, 0, 1, vcc_lo
	v_ldexp_f64 v[76:77], v[76:77], v62
	v_frexp_exp_i32_f64_e32 v62, v[74:75]
	s_delay_alu instid0(VALU_DEP_1) | instskip(SKIP_1) | instid1(VALU_DEP_4)
	v_subrev_co_ci_u32_e64 v62, null, 0, v62, vcc_lo
	v_cmp_class_f64_e64 vcc_lo, v[74:75], 0x204
	v_add_f64_e32 v[78:79], 1.0, v[76:77]
	v_add_f64_e32 v[84:85], -1.0, v[76:77]
	s_delay_alu instid0(VALU_DEP_2) | instskip(SKIP_1) | instid1(VALU_DEP_1)
	v_rcp_f64_e32 v[80:81], v[78:79]
	v_add_f64_e32 v[86:87], -1.0, v[78:79]
	v_add_f64_e64 v[76:77], v[76:77], -v[86:87]
	s_delay_alu instid0(TRANS32_DEP_1) | instskip(NEXT) | instid1(VALU_DEP_1)
	v_fma_f64 v[82:83], -v[78:79], v[80:81], 1.0
	v_fmac_f64_e32 v[80:81], v[82:83], v[80:81]
	s_delay_alu instid0(VALU_DEP_1) | instskip(NEXT) | instid1(VALU_DEP_1)
	v_fma_f64 v[82:83], -v[78:79], v[80:81], 1.0
	v_fmac_f64_e32 v[80:81], v[82:83], v[80:81]
	s_delay_alu instid0(VALU_DEP_1) | instskip(NEXT) | instid1(VALU_DEP_1)
	v_mul_f64_e32 v[82:83], v[84:85], v[80:81]
	v_mul_f64_e32 v[88:89], v[78:79], v[82:83]
	s_delay_alu instid0(VALU_DEP_1) | instskip(NEXT) | instid1(VALU_DEP_1)
	v_fma_f64 v[78:79], v[82:83], v[78:79], -v[88:89]
	v_fmac_f64_e32 v[78:79], v[82:83], v[76:77]
	s_delay_alu instid0(VALU_DEP_1) | instskip(NEXT) | instid1(VALU_DEP_1)
	v_add_f64_e32 v[76:77], v[88:89], v[78:79]
	v_add_f64_e64 v[86:87], v[84:85], -v[76:77]
	v_add_f64_e64 v[88:89], v[76:77], -v[88:89]
	s_delay_alu instid0(VALU_DEP_2) | instskip(NEXT) | instid1(VALU_DEP_2)
	v_add_f64_e64 v[84:85], v[84:85], -v[86:87]
	v_add_f64_e64 v[78:79], v[88:89], -v[78:79]
	s_delay_alu instid0(VALU_DEP_2) | instskip(NEXT) | instid1(VALU_DEP_1)
	v_add_f64_e64 v[76:77], v[84:85], -v[76:77]
	v_add_f64_e32 v[76:77], v[78:79], v[76:77]
	s_delay_alu instid0(VALU_DEP_1) | instskip(NEXT) | instid1(VALU_DEP_1)
	v_add_f64_e32 v[76:77], v[86:87], v[76:77]
	v_mul_f64_e32 v[76:77], v[80:81], v[76:77]
	s_delay_alu instid0(VALU_DEP_1) | instskip(NEXT) | instid1(VALU_DEP_1)
	v_add_f64_e32 v[78:79], v[82:83], v[76:77]
	v_mul_f64_e32 v[80:81], v[78:79], v[78:79]
	s_delay_alu instid0(VALU_DEP_1) | instskip(SKIP_1) | instid1(VALU_DEP_2)
	v_fmamk_f64 v[84:85], v[80:81], 0x3fc3ab76bf559e2b, v[6:7]
	v_mul_f64_e32 v[86:87], v[78:79], v[80:81]
	v_fmaak_f64 v[84:85], v[80:81], v[84:85], 0x3fc7474dd7f4df2e
	s_delay_alu instid0(VALU_DEP_1) | instskip(NEXT) | instid1(VALU_DEP_1)
	v_fmaak_f64 v[84:85], v[80:81], v[84:85], 0x3fcc71c016291751
	v_fmaak_f64 v[84:85], v[80:81], v[84:85], 0x3fd249249b27acf1
	s_delay_alu instid0(VALU_DEP_1) | instskip(NEXT) | instid1(VALU_DEP_1)
	v_fmaak_f64 v[84:85], v[80:81], v[84:85], 0x3fd99999998ef7b6
	v_fmaak_f64 v[80:81], v[80:81], v[84:85], 0x3fe5555555555780
	v_ldexp_f64 v[84:85], v[78:79], 1
	v_add_f64_e64 v[78:79], v[78:79], -v[82:83]
	s_delay_alu instid0(VALU_DEP_3) | instskip(SKIP_1) | instid1(VALU_DEP_3)
	v_mul_f64_e32 v[80:81], v[86:87], v[80:81]
	v_cvt_f64_i32_e32 v[86:87], v62
	v_add_f64_e64 v[76:77], v[76:77], -v[78:79]
	s_delay_alu instid0(VALU_DEP_3) | instskip(NEXT) | instid1(VALU_DEP_3)
	v_add_f64_e32 v[82:83], v[84:85], v[80:81]
	v_mul_f64_e32 v[88:89], 0x3fe62e42fefa39ef, v[86:87]
	s_delay_alu instid0(VALU_DEP_3) | instskip(NEXT) | instid1(VALU_DEP_3)
	v_ldexp_f64 v[76:77], v[76:77], 1
	v_add_f64_e64 v[78:79], v[82:83], -v[84:85]
	s_delay_alu instid0(VALU_DEP_3) | instskip(NEXT) | instid1(VALU_DEP_2)
	v_fma_f64 v[84:85], v[86:87], s[16:17], -v[88:89]
	v_add_f64_e64 v[78:79], v[80:81], -v[78:79]
	s_delay_alu instid0(VALU_DEP_2) | instskip(NEXT) | instid1(VALU_DEP_2)
	v_fmac_f64_e32 v[84:85], 0x3c7abc9e3b39803f, v[86:87]
	v_add_f64_e32 v[76:77], v[76:77], v[78:79]
	s_delay_alu instid0(VALU_DEP_2) | instskip(NEXT) | instid1(VALU_DEP_2)
	v_add_f64_e32 v[78:79], v[88:89], v[84:85]
	v_add_f64_e32 v[80:81], v[82:83], v[76:77]
	s_delay_alu instid0(VALU_DEP_2) | instskip(NEXT) | instid1(VALU_DEP_2)
	v_add_f64_e64 v[88:89], v[78:79], -v[88:89]
	v_add_f64_e32 v[86:87], v[78:79], v[80:81]
	v_add_f64_e64 v[82:83], v[80:81], -v[82:83]
	s_delay_alu instid0(VALU_DEP_3) | instskip(NEXT) | instid1(VALU_DEP_3)
	v_add_f64_e64 v[84:85], v[84:85], -v[88:89]
	v_add_f64_e64 v[90:91], v[86:87], -v[78:79]
	s_delay_alu instid0(VALU_DEP_3) | instskip(NEXT) | instid1(VALU_DEP_2)
	v_add_f64_e64 v[76:77], v[76:77], -v[82:83]
	v_add_f64_e64 v[92:93], v[86:87], -v[90:91]
	;; [unrolled: 1-line block ×3, first 2 shown]
	s_delay_alu instid0(VALU_DEP_3) | instskip(NEXT) | instid1(VALU_DEP_3)
	v_add_f64_e32 v[82:83], v[84:85], v[76:77]
	v_add_f64_e64 v[78:79], v[78:79], -v[92:93]
	s_delay_alu instid0(VALU_DEP_1) | instskip(NEXT) | instid1(VALU_DEP_3)
	v_add_f64_e32 v[78:79], v[80:81], v[78:79]
	v_add_f64_e64 v[80:81], v[82:83], -v[84:85]
	s_delay_alu instid0(VALU_DEP_2) | instskip(NEXT) | instid1(VALU_DEP_2)
	v_add_f64_e32 v[78:79], v[82:83], v[78:79]
	v_add_f64_e64 v[82:83], v[82:83], -v[80:81]
	v_add_f64_e64 v[76:77], v[76:77], -v[80:81]
	s_delay_alu instid0(VALU_DEP_3) | instskip(NEXT) | instid1(VALU_DEP_3)
	v_add_f64_e32 v[88:89], v[86:87], v[78:79]
	v_add_f64_e64 v[80:81], v[84:85], -v[82:83]
	s_delay_alu instid0(VALU_DEP_2) | instskip(NEXT) | instid1(VALU_DEP_2)
	v_add_f64_e64 v[82:83], v[88:89], -v[86:87]
	v_add_f64_e32 v[76:77], v[76:77], v[80:81]
	s_delay_alu instid0(VALU_DEP_2) | instskip(NEXT) | instid1(VALU_DEP_1)
	v_add_f64_e64 v[78:79], v[78:79], -v[82:83]
	v_add_f64_e32 v[76:77], v[76:77], v[78:79]
	s_delay_alu instid0(VALU_DEP_1) | instskip(NEXT) | instid1(VALU_DEP_1)
	v_add_f64_e32 v[76:77], v[88:89], v[76:77]
	v_dual_cndmask_b32 v62, v76, v74, vcc_lo :: v_dual_cndmask_b32 v66, v77, v75, vcc_lo
	v_cmp_neq_f64_e32 vcc_lo, 0, v[74:75]
	v_fract_f64_e32 v[74:75], v[58:59]
	s_delay_alu instid0(VALU_DEP_3) | instskip(NEXT) | instid1(VALU_DEP_4)
	v_cndmask_b32_e32 v77, 0xfff00000, v66, vcc_lo
	v_cndmask_b32_e32 v76, 0, v62, vcc_lo
	s_delay_alu instid0(VALU_DEP_3) | instskip(NEXT) | instid1(VALU_DEP_2)
	v_cmp_eq_f64_e32 vcc_lo, 0, v[74:75]
	v_add_f64_e64 v[72:73], v[76:77], -v[72:73]
	s_or_b32 s4, s4, vcc_lo
	s_delay_alu instid0(VALU_DEP_1) | instid1(SALU_CYCLE_1)
	v_cndmask_b32_e64 v73, v73, 0x7ff00000, s4
	s_delay_alu instid0(VALU_DEP_2)
	v_cndmask_b32_e64 v72, v72, 0, s4
.LBB8_254:                              ;   in Loop: Header=BB8_145 Depth=1
	s_or_b32 exec_lo, exec_lo, s6
.LBB8_255:                              ;   in Loop: Header=BB8_145 Depth=1
	s_delay_alu instid0(SALU_CYCLE_1) | instskip(SKIP_3) | instid1(VALU_DEP_2)
	s_or_b32 exec_lo, exec_lo, s5
	v_and_b32_e32 v75, 0x7fffffff, v55
	v_mov_b32_e32 v74, v54
                                        ; implicit-def: $vgpr76_vgpr77
	s_mov_b32 s4, exec_lo
	v_cmpx_lt_u32_e32 0x3f6fffff, v75
	s_xor_b32 s7, exec_lo, s4
	s_cbranch_execz .LBB8_281
; %bb.256:                              ;   in Loop: Header=BB8_145 Depth=1
                                        ; implicit-def: $vgpr76_vgpr77
	s_mov_b32 s4, exec_lo
	v_cmpx_lt_u32_e32 0x3fffffff, v75
	s_xor_b32 s5, exec_lo, s4
	s_cbranch_execz .LBB8_266
; %bb.257:                              ;   in Loop: Header=BB8_145 Depth=1
	;; [unrolled: 6-line block ×4, first 2 shown]
	v_frexp_mant_f64_e64 v[76:77], |v[54:55]|
	v_cmp_neq_f64_e64 s4, 0, v[54:55]
	s_delay_alu instid0(VALU_DEP_2) | instskip(SKIP_1) | instid1(VALU_DEP_1)
	v_cmp_gt_f64_e32 vcc_lo, s[8:9], v[76:77]
	v_cndmask_b32_e64 v62, 0, 1, vcc_lo
	v_ldexp_f64 v[76:77], v[76:77], v62
	v_frexp_exp_i32_f64_e32 v62, v[54:55]
	s_delay_alu instid0(VALU_DEP_2) | instskip(SKIP_1) | instid1(VALU_DEP_3)
	v_add_f64_e32 v[78:79], 1.0, v[76:77]
	v_add_f64_e32 v[84:85], -1.0, v[76:77]
	v_subrev_co_ci_u32_e64 v62, null, 0, v62, vcc_lo
	v_cmp_neq_f64_e64 vcc_lo, 0x7ff00000, |v[54:55]|
	s_delay_alu instid0(VALU_DEP_4) | instskip(SKIP_1) | instid1(VALU_DEP_1)
	v_rcp_f64_e32 v[80:81], v[78:79]
	v_add_f64_e32 v[86:87], -1.0, v[78:79]
	v_add_f64_e64 v[76:77], v[76:77], -v[86:87]
	s_delay_alu instid0(TRANS32_DEP_1) | instskip(NEXT) | instid1(VALU_DEP_1)
	v_fma_f64 v[82:83], -v[78:79], v[80:81], 1.0
	v_fmac_f64_e32 v[80:81], v[82:83], v[80:81]
	s_delay_alu instid0(VALU_DEP_1) | instskip(NEXT) | instid1(VALU_DEP_1)
	v_fma_f64 v[82:83], -v[78:79], v[80:81], 1.0
	v_fmac_f64_e32 v[80:81], v[82:83], v[80:81]
	s_delay_alu instid0(VALU_DEP_1) | instskip(NEXT) | instid1(VALU_DEP_1)
	v_mul_f64_e32 v[82:83], v[84:85], v[80:81]
	v_mul_f64_e32 v[88:89], v[78:79], v[82:83]
	s_delay_alu instid0(VALU_DEP_1) | instskip(NEXT) | instid1(VALU_DEP_1)
	v_fma_f64 v[78:79], v[82:83], v[78:79], -v[88:89]
	v_fmac_f64_e32 v[78:79], v[82:83], v[76:77]
	s_delay_alu instid0(VALU_DEP_1) | instskip(NEXT) | instid1(VALU_DEP_1)
	v_add_f64_e32 v[76:77], v[88:89], v[78:79]
	v_add_f64_e64 v[86:87], v[84:85], -v[76:77]
	v_add_f64_e64 v[88:89], v[76:77], -v[88:89]
	s_delay_alu instid0(VALU_DEP_2) | instskip(NEXT) | instid1(VALU_DEP_2)
	v_add_f64_e64 v[84:85], v[84:85], -v[86:87]
	v_add_f64_e64 v[78:79], v[88:89], -v[78:79]
	s_delay_alu instid0(VALU_DEP_2) | instskip(NEXT) | instid1(VALU_DEP_1)
	v_add_f64_e64 v[76:77], v[84:85], -v[76:77]
	v_add_f64_e32 v[76:77], v[78:79], v[76:77]
	s_delay_alu instid0(VALU_DEP_1) | instskip(NEXT) | instid1(VALU_DEP_1)
	v_add_f64_e32 v[76:77], v[86:87], v[76:77]
	v_mul_f64_e32 v[76:77], v[80:81], v[76:77]
	s_delay_alu instid0(VALU_DEP_1) | instskip(NEXT) | instid1(VALU_DEP_1)
	v_add_f64_e32 v[78:79], v[82:83], v[76:77]
	v_mul_f64_e32 v[80:81], v[78:79], v[78:79]
	s_delay_alu instid0(VALU_DEP_1) | instskip(SKIP_1) | instid1(VALU_DEP_2)
	v_fmamk_f64 v[84:85], v[80:81], 0x3fc3ab76bf559e2b, v[6:7]
	v_mul_f64_e32 v[86:87], v[78:79], v[80:81]
	v_fmaak_f64 v[84:85], v[80:81], v[84:85], 0x3fc7474dd7f4df2e
	s_delay_alu instid0(VALU_DEP_1) | instskip(NEXT) | instid1(VALU_DEP_1)
	v_fmaak_f64 v[84:85], v[80:81], v[84:85], 0x3fcc71c016291751
	v_fmaak_f64 v[84:85], v[80:81], v[84:85], 0x3fd249249b27acf1
	s_delay_alu instid0(VALU_DEP_1) | instskip(NEXT) | instid1(VALU_DEP_1)
	v_fmaak_f64 v[84:85], v[80:81], v[84:85], 0x3fd99999998ef7b6
	v_fmaak_f64 v[80:81], v[80:81], v[84:85], 0x3fe5555555555780
	v_ldexp_f64 v[84:85], v[78:79], 1
	v_add_f64_e64 v[78:79], v[78:79], -v[82:83]
	s_delay_alu instid0(VALU_DEP_3) | instskip(SKIP_1) | instid1(VALU_DEP_3)
	v_mul_f64_e32 v[80:81], v[86:87], v[80:81]
	v_cvt_f64_i32_e32 v[86:87], v62
	v_add_f64_e64 v[76:77], v[76:77], -v[78:79]
	s_delay_alu instid0(VALU_DEP_3) | instskip(NEXT) | instid1(VALU_DEP_3)
	v_add_f64_e32 v[82:83], v[84:85], v[80:81]
	v_mul_f64_e32 v[88:89], 0x3fe62e42fefa39ef, v[86:87]
	s_delay_alu instid0(VALU_DEP_3) | instskip(NEXT) | instid1(VALU_DEP_3)
	v_ldexp_f64 v[76:77], v[76:77], 1
	v_add_f64_e64 v[78:79], v[82:83], -v[84:85]
	s_delay_alu instid0(VALU_DEP_3) | instskip(NEXT) | instid1(VALU_DEP_2)
	v_fma_f64 v[84:85], v[86:87], s[16:17], -v[88:89]
	v_add_f64_e64 v[78:79], v[80:81], -v[78:79]
	s_delay_alu instid0(VALU_DEP_2) | instskip(NEXT) | instid1(VALU_DEP_2)
	v_fmac_f64_e32 v[84:85], 0x3c7abc9e3b39803f, v[86:87]
	v_add_f64_e32 v[76:77], v[76:77], v[78:79]
	s_delay_alu instid0(VALU_DEP_2) | instskip(NEXT) | instid1(VALU_DEP_2)
	v_add_f64_e32 v[78:79], v[88:89], v[84:85]
	v_add_f64_e32 v[80:81], v[82:83], v[76:77]
	s_delay_alu instid0(VALU_DEP_2) | instskip(NEXT) | instid1(VALU_DEP_2)
	v_add_f64_e64 v[88:89], v[78:79], -v[88:89]
	v_add_f64_e32 v[86:87], v[78:79], v[80:81]
	v_add_f64_e64 v[82:83], v[80:81], -v[82:83]
	s_delay_alu instid0(VALU_DEP_3) | instskip(NEXT) | instid1(VALU_DEP_3)
	v_add_f64_e64 v[84:85], v[84:85], -v[88:89]
	v_add_f64_e64 v[90:91], v[86:87], -v[78:79]
	s_delay_alu instid0(VALU_DEP_3) | instskip(NEXT) | instid1(VALU_DEP_2)
	v_add_f64_e64 v[76:77], v[76:77], -v[82:83]
	v_add_f64_e64 v[92:93], v[86:87], -v[90:91]
	v_add_f64_e64 v[80:81], v[80:81], -v[90:91]
	s_delay_alu instid0(VALU_DEP_3) | instskip(NEXT) | instid1(VALU_DEP_3)
	v_add_f64_e32 v[82:83], v[84:85], v[76:77]
	v_add_f64_e64 v[78:79], v[78:79], -v[92:93]
	s_delay_alu instid0(VALU_DEP_1) | instskip(NEXT) | instid1(VALU_DEP_3)
	v_add_f64_e32 v[78:79], v[80:81], v[78:79]
	v_add_f64_e64 v[80:81], v[82:83], -v[84:85]
	s_delay_alu instid0(VALU_DEP_2) | instskip(NEXT) | instid1(VALU_DEP_2)
	v_add_f64_e32 v[78:79], v[82:83], v[78:79]
	v_add_f64_e64 v[82:83], v[82:83], -v[80:81]
	v_add_f64_e64 v[76:77], v[76:77], -v[80:81]
	s_delay_alu instid0(VALU_DEP_3) | instskip(NEXT) | instid1(VALU_DEP_3)
	v_add_f64_e32 v[88:89], v[86:87], v[78:79]
	v_add_f64_e64 v[80:81], v[84:85], -v[82:83]
	s_delay_alu instid0(VALU_DEP_2) | instskip(NEXT) | instid1(VALU_DEP_2)
	v_add_f64_e64 v[82:83], v[88:89], -v[86:87]
	v_add_f64_e32 v[76:77], v[76:77], v[80:81]
	s_delay_alu instid0(VALU_DEP_2) | instskip(NEXT) | instid1(VALU_DEP_1)
	v_add_f64_e64 v[78:79], v[78:79], -v[82:83]
	v_add_f64_e32 v[76:77], v[76:77], v[78:79]
	s_delay_alu instid0(VALU_DEP_1) | instskip(NEXT) | instid1(VALU_DEP_1)
	v_add_f64_e32 v[76:77], v[88:89], v[76:77]
	v_cndmask_b32_e32 v62, 0x7ff00000, v77, vcc_lo
	s_and_b32 vcc_lo, s4, vcc_lo
	s_delay_alu instid0(VALU_DEP_2) | instskip(NEXT) | instid1(VALU_DEP_2)
	v_cndmask_b32_e32 v76, 0, v76, vcc_lo
	v_cndmask_b32_e64 v77, 0xfff00000, v62, s4
	s_delay_alu instid0(VALU_DEP_1)
	v_fma_f64 v[76:77], |v[54:55]|, v[76:77], -|v[54:55]|
.LBB8_260:                              ;   in Loop: Header=BB8_145 Depth=1
	s_and_not1_saveexec_b32 s33, s33
	s_cbranch_execz .LBB8_262
; %bb.261:                              ;   in Loop: Header=BB8_145 Depth=1
	v_frexp_mant_f64_e64 v[76:77], |v[54:55]|
	v_cmp_neq_f64_e64 s4, 0, v[54:55]
	v_mov_b32_e32 v74, v54
	s_delay_alu instid0(VALU_DEP_1) | instskip(NEXT) | instid1(VALU_DEP_4)
	v_div_scale_f64 v[90:91], null, v[74:75], v[74:75], 1.0
	v_cmp_gt_f64_e32 vcc_lo, s[8:9], v[76:77]
	s_delay_alu instid0(VALU_DEP_2) | instskip(SKIP_1) | instid1(VALU_DEP_1)
	v_rcp_f64_e32 v[94:95], v[90:91]
	v_cndmask_b32_e64 v62, 0, 1, vcc_lo
	v_ldexp_f64 v[76:77], v[76:77], v62
	v_frexp_exp_i32_f64_e32 v62, v[54:55]
	s_delay_alu instid0(TRANS32_DEP_1) | instskip(NEXT) | instid1(VALU_DEP_3)
	v_fma_f64 v[98:99], -v[90:91], v[94:95], 1.0
	v_add_f64_e32 v[78:79], 1.0, v[76:77]
	v_add_f64_e32 v[84:85], -1.0, v[76:77]
	s_delay_alu instid0(VALU_DEP_4) | instskip(NEXT) | instid1(VALU_DEP_4)
	v_subrev_co_ci_u32_e64 v62, null, 0, v62, vcc_lo
	v_fmac_f64_e32 v[94:95], v[94:95], v[98:99]
	s_delay_alu instid0(VALU_DEP_4) | instskip(SKIP_1) | instid1(VALU_DEP_1)
	v_rcp_f64_e32 v[80:81], v[78:79]
	v_add_f64_e32 v[86:87], -1.0, v[78:79]
	v_add_f64_e64 v[76:77], v[76:77], -v[86:87]
	s_delay_alu instid0(TRANS32_DEP_1) | instskip(NEXT) | instid1(VALU_DEP_1)
	v_fma_f64 v[82:83], -v[78:79], v[80:81], 1.0
	v_fmac_f64_e32 v[80:81], v[82:83], v[80:81]
	s_delay_alu instid0(VALU_DEP_1) | instskip(NEXT) | instid1(VALU_DEP_1)
	v_fma_f64 v[82:83], -v[78:79], v[80:81], 1.0
	v_fmac_f64_e32 v[80:81], v[82:83], v[80:81]
	s_delay_alu instid0(VALU_DEP_1) | instskip(NEXT) | instid1(VALU_DEP_1)
	v_mul_f64_e32 v[82:83], v[84:85], v[80:81]
	v_mul_f64_e32 v[88:89], v[78:79], v[82:83]
	s_delay_alu instid0(VALU_DEP_1) | instskip(NEXT) | instid1(VALU_DEP_1)
	v_fma_f64 v[78:79], v[82:83], v[78:79], -v[88:89]
	v_fmac_f64_e32 v[78:79], v[82:83], v[76:77]
	s_delay_alu instid0(VALU_DEP_1) | instskip(NEXT) | instid1(VALU_DEP_1)
	v_add_f64_e32 v[76:77], v[88:89], v[78:79]
	v_add_f64_e64 v[86:87], v[84:85], -v[76:77]
	v_add_f64_e64 v[88:89], v[76:77], -v[88:89]
	s_delay_alu instid0(VALU_DEP_2) | instskip(NEXT) | instid1(VALU_DEP_2)
	v_add_f64_e64 v[84:85], v[84:85], -v[86:87]
	v_add_f64_e64 v[78:79], v[88:89], -v[78:79]
	s_delay_alu instid0(VALU_DEP_2) | instskip(NEXT) | instid1(VALU_DEP_1)
	v_add_f64_e64 v[76:77], v[84:85], -v[76:77]
	v_add_f64_e32 v[76:77], v[78:79], v[76:77]
	s_delay_alu instid0(VALU_DEP_1) | instskip(NEXT) | instid1(VALU_DEP_1)
	v_add_f64_e32 v[76:77], v[86:87], v[76:77]
	v_mul_f64_e32 v[76:77], v[80:81], v[76:77]
	s_delay_alu instid0(VALU_DEP_1) | instskip(NEXT) | instid1(VALU_DEP_1)
	v_add_f64_e32 v[78:79], v[82:83], v[76:77]
	v_mul_f64_e32 v[80:81], v[78:79], v[78:79]
	s_delay_alu instid0(VALU_DEP_1) | instskip(SKIP_1) | instid1(VALU_DEP_2)
	v_fmamk_f64 v[84:85], v[80:81], 0x3fc3ab76bf559e2b, v[6:7]
	v_mul_f64_e32 v[86:87], v[78:79], v[80:81]
	v_fmaak_f64 v[84:85], v[80:81], v[84:85], 0x3fc7474dd7f4df2e
	s_delay_alu instid0(VALU_DEP_1) | instskip(NEXT) | instid1(VALU_DEP_1)
	v_fmaak_f64 v[84:85], v[80:81], v[84:85], 0x3fcc71c016291751
	v_fmaak_f64 v[84:85], v[80:81], v[84:85], 0x3fd249249b27acf1
	s_delay_alu instid0(VALU_DEP_1) | instskip(NEXT) | instid1(VALU_DEP_1)
	v_fmaak_f64 v[84:85], v[80:81], v[84:85], 0x3fd99999998ef7b6
	v_fmaak_f64 v[80:81], v[80:81], v[84:85], 0x3fe5555555555780
	v_ldexp_f64 v[84:85], v[78:79], 1
	v_add_f64_e64 v[78:79], v[78:79], -v[82:83]
	s_delay_alu instid0(VALU_DEP_3) | instskip(SKIP_1) | instid1(VALU_DEP_3)
	v_mul_f64_e32 v[80:81], v[86:87], v[80:81]
	v_cvt_f64_i32_e32 v[86:87], v62
	v_add_f64_e64 v[76:77], v[76:77], -v[78:79]
	s_delay_alu instid0(VALU_DEP_3) | instskip(NEXT) | instid1(VALU_DEP_3)
	v_add_f64_e32 v[82:83], v[84:85], v[80:81]
	v_mul_f64_e32 v[88:89], 0x3fe62e42fefa39ef, v[86:87]
	s_delay_alu instid0(VALU_DEP_3) | instskip(NEXT) | instid1(VALU_DEP_3)
	v_ldexp_f64 v[76:77], v[76:77], 1
	v_add_f64_e64 v[78:79], v[82:83], -v[84:85]
	s_delay_alu instid0(VALU_DEP_3) | instskip(NEXT) | instid1(VALU_DEP_2)
	v_fma_f64 v[84:85], v[86:87], s[16:17], -v[88:89]
	v_add_f64_e64 v[78:79], v[80:81], -v[78:79]
	s_delay_alu instid0(VALU_DEP_2) | instskip(NEXT) | instid1(VALU_DEP_2)
	v_fmac_f64_e32 v[84:85], 0x3c7abc9e3b39803f, v[86:87]
	v_add_f64_e32 v[76:77], v[76:77], v[78:79]
	s_delay_alu instid0(VALU_DEP_2) | instskip(NEXT) | instid1(VALU_DEP_2)
	v_add_f64_e32 v[78:79], v[88:89], v[84:85]
	v_add_f64_e32 v[80:81], v[82:83], v[76:77]
	s_delay_alu instid0(VALU_DEP_2) | instskip(NEXT) | instid1(VALU_DEP_2)
	v_add_f64_e64 v[88:89], v[78:79], -v[88:89]
	v_add_f64_e32 v[86:87], v[78:79], v[80:81]
	v_add_f64_e64 v[82:83], v[80:81], -v[82:83]
	s_delay_alu instid0(VALU_DEP_3) | instskip(NEXT) | instid1(VALU_DEP_3)
	v_add_f64_e64 v[84:85], v[84:85], -v[88:89]
	v_add_f64_e64 v[92:93], v[86:87], -v[78:79]
	s_delay_alu instid0(VALU_DEP_3) | instskip(NEXT) | instid1(VALU_DEP_2)
	v_add_f64_e64 v[76:77], v[76:77], -v[82:83]
	v_add_f64_e64 v[96:97], v[86:87], -v[92:93]
	;; [unrolled: 1-line block ×3, first 2 shown]
	s_delay_alu instid0(VALU_DEP_3) | instskip(SKIP_1) | instid1(VALU_DEP_4)
	v_add_f64_e32 v[82:83], v[84:85], v[76:77]
	v_div_scale_f64 v[92:93], vcc_lo, 1.0, v[74:75], 1.0
	v_add_f64_e64 v[78:79], v[78:79], -v[96:97]
	s_delay_alu instid0(VALU_DEP_3) | instskip(NEXT) | instid1(VALU_DEP_2)
	v_add_f64_e64 v[88:89], v[82:83], -v[84:85]
	v_add_f64_e32 v[78:79], v[80:81], v[78:79]
	v_fma_f64 v[80:81], -v[90:91], v[94:95], 1.0
	s_delay_alu instid0(VALU_DEP_3) | instskip(NEXT) | instid1(VALU_DEP_3)
	v_add_f64_e64 v[76:77], v[76:77], -v[88:89]
	v_add_f64_e32 v[78:79], v[82:83], v[78:79]
	s_delay_alu instid0(VALU_DEP_3) | instskip(SKIP_1) | instid1(VALU_DEP_3)
	v_fmac_f64_e32 v[94:95], v[94:95], v[80:81]
	v_add_f64_e64 v[80:81], v[82:83], -v[88:89]
	v_add_f64_e32 v[82:83], v[86:87], v[78:79]
	s_delay_alu instid0(VALU_DEP_3) | instskip(NEXT) | instid1(VALU_DEP_3)
	v_mul_f64_e32 v[96:97], v[92:93], v[94:95]
	v_add_f64_e64 v[80:81], v[84:85], -v[80:81]
	s_delay_alu instid0(VALU_DEP_3) | instskip(NEXT) | instid1(VALU_DEP_3)
	v_add_f64_e64 v[84:85], v[82:83], -v[86:87]
	v_fma_f64 v[86:87], -v[90:91], v[96:97], v[92:93]
	s_delay_alu instid0(VALU_DEP_3) | instskip(NEXT) | instid1(VALU_DEP_3)
	v_add_f64_e32 v[76:77], v[76:77], v[80:81]
	v_add_f64_e64 v[78:79], v[78:79], -v[84:85]
	s_delay_alu instid0(VALU_DEP_3) | instskip(SKIP_2) | instid1(VALU_DEP_4)
	v_div_fmas_f64 v[80:81], v[86:87], v[94:95], v[96:97]
	v_cmp_neq_f64_e64 vcc_lo, 0x7ff00000, |v[54:55]|
	v_add_f64_e64 v[84:85], |v[54:55]|, -0.5
	v_add_f64_e32 v[76:77], v[76:77], v[78:79]
	s_delay_alu instid0(VALU_DEP_4) | instskip(NEXT) | instid1(VALU_DEP_2)
	v_div_fixup_f64 v[78:79], v[80:81], |v[54:55]|, 1.0
	v_add_f64_e32 v[76:77], v[82:83], v[76:77]
	s_delay_alu instid0(VALU_DEP_2) | instskip(NEXT) | instid1(VALU_DEP_2)
	v_mul_f64_e32 v[80:81], v[78:79], v[78:79]
	v_add_f64_e32 v[82:83], -1.0, v[76:77]
	s_delay_alu instid0(VALU_DEP_2) | instskip(NEXT) | instid1(VALU_DEP_1)
	v_fmamk_f64 v[76:77], v[80:81], 0xbf5ab89d0b9e43e4, v[8:9]
	v_fmaak_f64 v[76:77], v[80:81], v[76:77], 0xbf4380cb8c0fe741
	s_delay_alu instid0(VALU_DEP_1) | instskip(NEXT) | instid1(VALU_DEP_1)
	v_fmaak_f64 v[76:77], v[80:81], v[76:77], 0x3f4a019f98cf38b6
	v_fmaak_f64 v[76:77], v[80:81], v[76:77], 0xbf66c16c16b02e5c
	s_delay_alu instid0(VALU_DEP_1) | instskip(SKIP_2) | instid1(VALU_DEP_2)
	v_fmaak_f64 v[76:77], v[80:81], v[76:77], 0x3fb555555555553b
	v_cndmask_b32_e32 v62, 0x7ff00000, v83, vcc_lo
	s_and_b32 vcc_lo, s4, vcc_lo
	v_fmaak_f64 v[76:77], v[78:79], v[76:77], 0x3fdacfe390c97d69
	s_delay_alu instid0(VALU_DEP_2) | instskip(SKIP_1) | instid1(VALU_DEP_1)
	v_cndmask_b32_e64 v79, 0xfff00000, v62, s4
	v_cndmask_b32_e32 v78, 0, v82, vcc_lo
	v_fmac_f64_e32 v[76:77], v[84:85], v[78:79]
.LBB8_262:                              ;   in Loop: Header=BB8_145 Depth=1
	s_or_b32 exec_lo, exec_lo, s33
.LBB8_263:                              ;   in Loop: Header=BB8_145 Depth=1
	s_and_not1_saveexec_b32 s6, s6
	s_cbranch_execz .LBB8_265
; %bb.264:                              ;   in Loop: Header=BB8_145 Depth=1
	v_cvt_i32_f64_e32 v62, v[74:75]
	s_delay_alu instid0(VALU_DEP_1) | instskip(SKIP_2) | instid1(VALU_DEP_3)
	v_cvt_f64_i32_e32 v[76:77], v62
	v_cmp_lt_i32_e32 vcc_lo, 2, v62
	v_cmp_lt_i32_e64 s4, 3, v62
	v_add_f64_e64 v[76:77], |v[54:55]|, -v[76:77]
	s_delay_alu instid0(VALU_DEP_1) | instskip(SKIP_2) | instid1(VALU_DEP_2)
	v_add_f64_e32 v[82:83], 4.0, v[76:77]
	v_add_f64_e32 v[78:79], 2.0, v[76:77]
	v_add_f64_e32 v[80:81], 0x40080000, v[76:77]
	v_cndmask_b32_e32 v79, 0x3ff00000, v79, vcc_lo
	s_delay_alu instid0(VALU_DEP_3) | instskip(SKIP_1) | instid1(VALU_DEP_4)
	v_cndmask_b32_e32 v78, 0, v78, vcc_lo
	v_cmp_lt_i32_e32 vcc_lo, 4, v62
	v_cndmask_b32_e64 v81, 0x3ff00000, v81, s4
	v_cndmask_b32_e32 v83, 0x3ff00000, v83, vcc_lo
	v_dual_cndmask_b32 v82, 0, v82, vcc_lo :: v_dual_cndmask_b32 v80, 0, v80, s4
	v_cmp_lt_i32_e32 vcc_lo, 5, v62
	s_delay_alu instid0(VALU_DEP_2) | instskip(SKIP_1) | instid1(VALU_DEP_2)
	v_mul_f64_e32 v[78:79], v[78:79], v[80:81]
	v_add_f64_e32 v[80:81], 0x40140000, v[76:77]
	v_mul_f64_e32 v[78:79], v[82:83], v[78:79]
	v_add_f64_e32 v[82:83], 0x40180000, v[76:77]
	s_delay_alu instid0(VALU_DEP_3) | instskip(NEXT) | instid1(VALU_DEP_4)
	v_cndmask_b32_e32 v81, 0x3ff00000, v81, vcc_lo
	v_cndmask_b32_e32 v80, 0, v80, vcc_lo
	v_cmp_lt_i32_e32 vcc_lo, 6, v62
	s_delay_alu instid0(VALU_DEP_2) | instskip(SKIP_2) | instid1(VALU_DEP_1)
	v_mul_f64_e32 v[78:79], v[80:81], v[78:79]
	v_cndmask_b32_e32 v81, 0x3ff00000, v83, vcc_lo
	v_cndmask_b32_e32 v80, 0, v82, vcc_lo
	v_mul_f64_e32 v[78:79], v[80:81], v[78:79]
	s_delay_alu instid0(VALU_DEP_1) | instskip(NEXT) | instid1(VALU_DEP_1)
	v_frexp_mant_f64_e32 v[80:81], v[78:79]
	v_cmp_gt_f64_e32 vcc_lo, s[8:9], v[80:81]
	v_cndmask_b32_e64 v62, 0, 1, vcc_lo
	s_delay_alu instid0(VALU_DEP_1) | instskip(SKIP_1) | instid1(VALU_DEP_2)
	v_ldexp_f64 v[80:81], v[80:81], v62
	v_frexp_exp_i32_f64_e32 v62, v[78:79]
	v_add_f64_e32 v[82:83], 1.0, v[80:81]
	v_add_f64_e32 v[88:89], -1.0, v[80:81]
	s_delay_alu instid0(VALU_DEP_3) | instskip(NEXT) | instid1(VALU_DEP_3)
	v_subrev_co_ci_u32_e64 v62, null, 0, v62, vcc_lo
	v_rcp_f64_e32 v[84:85], v[82:83]
	v_add_f64_e32 v[90:91], -1.0, v[82:83]
	s_delay_alu instid0(VALU_DEP_1) | instskip(NEXT) | instid1(TRANS32_DEP_1)
	v_add_f64_e64 v[80:81], v[80:81], -v[90:91]
	v_fma_f64 v[86:87], -v[82:83], v[84:85], 1.0
	s_delay_alu instid0(VALU_DEP_1) | instskip(NEXT) | instid1(VALU_DEP_1)
	v_fmac_f64_e32 v[84:85], v[86:87], v[84:85]
	v_fma_f64 v[86:87], -v[82:83], v[84:85], 1.0
	s_delay_alu instid0(VALU_DEP_1) | instskip(NEXT) | instid1(VALU_DEP_1)
	v_fmac_f64_e32 v[84:85], v[86:87], v[84:85]
	v_mul_f64_e32 v[86:87], v[88:89], v[84:85]
	s_delay_alu instid0(VALU_DEP_1) | instskip(NEXT) | instid1(VALU_DEP_1)
	v_mul_f64_e32 v[92:93], v[82:83], v[86:87]
	v_fma_f64 v[82:83], v[86:87], v[82:83], -v[92:93]
	s_delay_alu instid0(VALU_DEP_1) | instskip(NEXT) | instid1(VALU_DEP_1)
	v_fmac_f64_e32 v[82:83], v[86:87], v[80:81]
	v_add_f64_e32 v[80:81], v[92:93], v[82:83]
	s_delay_alu instid0(VALU_DEP_1) | instskip(SKIP_1) | instid1(VALU_DEP_2)
	v_add_f64_e64 v[90:91], v[88:89], -v[80:81]
	v_add_f64_e64 v[92:93], v[80:81], -v[92:93]
	;; [unrolled: 1-line block ×3, first 2 shown]
	s_delay_alu instid0(VALU_DEP_2) | instskip(NEXT) | instid1(VALU_DEP_2)
	v_add_f64_e64 v[82:83], v[92:93], -v[82:83]
	v_add_f64_e64 v[80:81], v[88:89], -v[80:81]
	s_delay_alu instid0(VALU_DEP_1) | instskip(NEXT) | instid1(VALU_DEP_1)
	v_add_f64_e32 v[80:81], v[82:83], v[80:81]
	v_add_f64_e32 v[80:81], v[90:91], v[80:81]
	s_delay_alu instid0(VALU_DEP_1) | instskip(NEXT) | instid1(VALU_DEP_1)
	v_mul_f64_e32 v[80:81], v[84:85], v[80:81]
	v_add_f64_e32 v[82:83], v[86:87], v[80:81]
	s_delay_alu instid0(VALU_DEP_1) | instskip(NEXT) | instid1(VALU_DEP_1)
	v_mul_f64_e32 v[84:85], v[82:83], v[82:83]
	v_fmamk_f64 v[88:89], v[84:85], 0x3fc3ab76bf559e2b, v[6:7]
	v_mul_f64_e32 v[90:91], v[82:83], v[84:85]
	s_delay_alu instid0(VALU_DEP_2) | instskip(NEXT) | instid1(VALU_DEP_1)
	v_fmaak_f64 v[88:89], v[84:85], v[88:89], 0x3fc7474dd7f4df2e
	v_fmaak_f64 v[88:89], v[84:85], v[88:89], 0x3fcc71c016291751
	s_delay_alu instid0(VALU_DEP_1) | instskip(NEXT) | instid1(VALU_DEP_1)
	v_fmaak_f64 v[88:89], v[84:85], v[88:89], 0x3fd249249b27acf1
	v_fmaak_f64 v[88:89], v[84:85], v[88:89], 0x3fd99999998ef7b6
	s_delay_alu instid0(VALU_DEP_1) | instskip(SKIP_2) | instid1(VALU_DEP_3)
	v_fmaak_f64 v[84:85], v[84:85], v[88:89], 0x3fe5555555555780
	v_ldexp_f64 v[88:89], v[82:83], 1
	v_add_f64_e64 v[82:83], v[82:83], -v[86:87]
	v_mul_f64_e32 v[84:85], v[90:91], v[84:85]
	v_cvt_f64_i32_e32 v[90:91], v62
	s_delay_alu instid0(VALU_DEP_3) | instskip(NEXT) | instid1(VALU_DEP_3)
	v_add_f64_e64 v[80:81], v[80:81], -v[82:83]
	v_add_f64_e32 v[86:87], v[88:89], v[84:85]
	s_delay_alu instid0(VALU_DEP_3) | instskip(NEXT) | instid1(VALU_DEP_3)
	v_mul_f64_e32 v[92:93], 0x3fe62e42fefa39ef, v[90:91]
	v_ldexp_f64 v[80:81], v[80:81], 1
	s_delay_alu instid0(VALU_DEP_3) | instskip(NEXT) | instid1(VALU_DEP_3)
	v_add_f64_e64 v[82:83], v[86:87], -v[88:89]
	v_fma_f64 v[88:89], v[90:91], s[16:17], -v[92:93]
	s_delay_alu instid0(VALU_DEP_2) | instskip(NEXT) | instid1(VALU_DEP_2)
	v_add_f64_e64 v[82:83], v[84:85], -v[82:83]
	v_fmac_f64_e32 v[88:89], 0x3c7abc9e3b39803f, v[90:91]
	v_fmamk_f64 v[84:85], v[76:77], 0x3f00bfecdd17e945, v[32:33]
	s_delay_alu instid0(VALU_DEP_1) | instskip(NEXT) | instid1(VALU_DEP_1)
	v_fmaak_f64 v[84:85], v[76:77], v[84:85], 0x3f9b481c7e939961
	v_fmaak_f64 v[84:85], v[76:77], v[84:85], 0x3fc2bb9cbee5f2f7
	s_delay_alu instid0(VALU_DEP_1) | instskip(NEXT) | instid1(VALU_DEP_1)
	v_fmaak_f64 v[84:85], v[76:77], v[84:85], 0x3fd4d98f4f139f59
	v_fmaak_f64 v[84:85], v[76:77], v[84:85], 0x3fcb848b36e20878
	v_add_f64_e32 v[80:81], v[80:81], v[82:83]
	v_fmamk_f64 v[82:83], v[76:77], 0x3edebaf7a5b38140, v[34:35]
	v_add_f64_e32 v[90:91], v[92:93], v[88:89]
	s_delay_alu instid0(VALU_DEP_4) | instskip(NEXT) | instid1(VALU_DEP_3)
	v_fmaak_f64 v[84:85], v[76:77], v[84:85], 0xbfb3c467e37db0c8
	v_fmaak_f64 v[82:83], v[76:77], v[82:83], 0x3f9317ea742ed475
	s_delay_alu instid0(VALU_DEP_2) | instskip(NEXT) | instid1(VALU_DEP_2)
	v_mul_f64_e32 v[84:85], v[76:77], v[84:85]
	v_fmaak_f64 v[82:83], v[76:77], v[82:83], 0x3fc601edccfbdf27
	s_delay_alu instid0(VALU_DEP_1) | instskip(NEXT) | instid1(VALU_DEP_1)
	v_fmaak_f64 v[82:83], v[76:77], v[82:83], 0x3fe71a1893d3dcdc
	v_fmaak_f64 v[82:83], v[76:77], v[82:83], 0x3ff645a762c4ab74
	v_add_f64_e32 v[94:95], v[86:87], v[80:81]
	v_add_f64_e64 v[92:93], v[90:91], -v[92:93]
	s_delay_alu instid0(VALU_DEP_3) | instskip(NEXT) | instid1(VALU_DEP_3)
	v_fma_f64 v[82:83], v[76:77], v[82:83], 1.0
	v_add_f64_e32 v[96:97], v[90:91], v[94:95]
	v_add_f64_e64 v[86:87], v[94:95], -v[86:87]
	s_delay_alu instid0(VALU_DEP_4) | instskip(NEXT) | instid1(VALU_DEP_4)
	v_add_f64_e64 v[88:89], v[88:89], -v[92:93]
	v_div_scale_f64 v[98:99], null, v[82:83], v[82:83], v[84:85]
	s_delay_alu instid0(VALU_DEP_4) | instskip(NEXT) | instid1(VALU_DEP_4)
	v_add_f64_e64 v[100:101], v[96:97], -v[90:91]
	v_add_f64_e64 v[80:81], v[80:81], -v[86:87]
	s_delay_alu instid0(VALU_DEP_3) | instskip(NEXT) | instid1(VALU_DEP_2)
	v_rcp_f64_e32 v[102:103], v[98:99]
	v_add_f64_e64 v[104:105], v[96:97], -v[100:101]
	v_add_f64_e64 v[86:87], v[94:95], -v[100:101]
	s_delay_alu instid0(VALU_DEP_3) | instskip(SKIP_1) | instid1(TRANS32_DEP_1)
	v_add_f64_e32 v[92:93], v[88:89], v[80:81]
	v_div_scale_f64 v[100:101], vcc_lo, v[84:85], v[82:83], v[84:85]
	v_fma_f64 v[106:107], -v[98:99], v[102:103], 1.0
	v_add_f64_e64 v[90:91], v[90:91], -v[104:105]
	s_delay_alu instid0(VALU_DEP_4) | instskip(NEXT) | instid1(VALU_DEP_3)
	v_add_f64_e64 v[94:95], v[92:93], -v[88:89]
	v_fmac_f64_e32 v[102:103], v[102:103], v[106:107]
	s_delay_alu instid0(VALU_DEP_3) | instskip(NEXT) | instid1(VALU_DEP_3)
	v_add_f64_e32 v[86:87], v[86:87], v[90:91]
	v_add_f64_e64 v[80:81], v[80:81], -v[94:95]
	s_delay_alu instid0(VALU_DEP_3) | instskip(NEXT) | instid1(VALU_DEP_3)
	v_fma_f64 v[90:91], -v[98:99], v[102:103], 1.0
	v_add_f64_e32 v[86:87], v[92:93], v[86:87]
	s_delay_alu instid0(VALU_DEP_2) | instskip(SKIP_1) | instid1(VALU_DEP_3)
	v_fmac_f64_e32 v[102:103], v[102:103], v[90:91]
	v_add_f64_e64 v[90:91], v[92:93], -v[94:95]
	v_add_f64_e32 v[92:93], v[96:97], v[86:87]
	s_delay_alu instid0(VALU_DEP_3) | instskip(NEXT) | instid1(VALU_DEP_3)
	v_mul_f64_e32 v[104:105], v[100:101], v[102:103]
	v_add_f64_e64 v[88:89], v[88:89], -v[90:91]
	s_delay_alu instid0(VALU_DEP_3) | instskip(NEXT) | instid1(VALU_DEP_3)
	v_add_f64_e64 v[90:91], v[92:93], -v[96:97]
	v_fma_f64 v[94:95], -v[98:99], v[104:105], v[100:101]
	s_delay_alu instid0(VALU_DEP_3) | instskip(NEXT) | instid1(VALU_DEP_3)
	v_add_f64_e32 v[80:81], v[80:81], v[88:89]
	v_add_f64_e64 v[86:87], v[86:87], -v[90:91]
	s_delay_alu instid0(VALU_DEP_3) | instskip(SKIP_1) | instid1(VALU_DEP_3)
	v_div_fmas_f64 v[88:89], v[94:95], v[102:103], v[104:105]
	v_cmp_class_f64_e64 vcc_lo, v[78:79], 0x204
	v_add_f64_e32 v[80:81], v[80:81], v[86:87]
	s_delay_alu instid0(VALU_DEP_3) | instskip(NEXT) | instid1(VALU_DEP_2)
	v_div_fixup_f64 v[82:83], v[88:89], v[82:83], v[84:85]
	v_add_f64_e32 v[80:81], v[92:93], v[80:81]
	s_delay_alu instid0(VALU_DEP_2) | instskip(NEXT) | instid1(VALU_DEP_2)
	v_fmac_f64_e32 v[82:83], 0.5, v[76:77]
	v_dual_cndmask_b32 v62, v80, v78, vcc_lo :: v_dual_cndmask_b32 v66, v81, v79, vcc_lo
	v_cmp_ngt_f64_e32 vcc_lo, 0, v[78:79]
	s_delay_alu instid0(VALU_DEP_2) | instskip(SKIP_1) | instid1(VALU_DEP_4)
	v_cndmask_b32_e32 v66, 0x7ff80000, v66, vcc_lo
	v_cmp_nge_f64_e32 vcc_lo, 0, v[78:79]
	v_cndmask_b32_e32 v76, 0, v62, vcc_lo
	v_cmp_neq_f64_e32 vcc_lo, 0, v[78:79]
	s_delay_alu instid0(VALU_DEP_4) | instskip(NEXT) | instid1(VALU_DEP_1)
	v_cndmask_b32_e32 v77, 0xfff00000, v66, vcc_lo
	v_add_f64_e32 v[76:77], v[82:83], v[76:77]
.LBB8_265:                              ;   in Loop: Header=BB8_145 Depth=1
	s_or_b32 exec_lo, exec_lo, s6
.LBB8_266:                              ;   in Loop: Header=BB8_145 Depth=1
	s_and_not1_saveexec_b32 s33, s5
	s_cbranch_execz .LBB8_280
; %bb.267:                              ;   in Loop: Header=BB8_145 Depth=1
                                        ; implicit-def: $vgpr62
                                        ; implicit-def: $vgpr78_vgpr79
	s_mov_b32 s4, exec_lo
	v_cmpx_lt_u32_e32 0x3feccccc, v75
	s_xor_b32 s5, exec_lo, s4
	s_cbranch_execz .LBB8_269
; %bb.268:                              ;   in Loop: Header=BB8_145 Depth=1
	v_add_f64_e64 v[76:77], -|v[54:55]|, 2.0
	v_add_f64_e64 v[78:79], |v[54:55]|, s[12:13]
	v_add_f64_e64 v[80:81], |v[54:55]|, -1.0
	v_cmp_gt_u32_e32 vcc_lo, 0x3ffbb4c3, v75
	v_cmp_gt_u32_e64 s4, 0x3ff3b4c4, v75
	v_cndmask_b32_e64 v70, 0, 1, vcc_lo
	v_dual_cndmask_b32 v62, v76, v78, vcc_lo :: v_dual_cndmask_b32 v66, v77, v79, vcc_lo
	s_delay_alu instid0(VALU_DEP_1) | instskip(NEXT) | instid1(VALU_DEP_2)
	v_cndmask_b32_e64 v78, v62, v80, s4
	v_cndmask_b32_e64 v79, v66, v81, s4
	s_delay_alu instid0(VALU_DEP_4)
	v_cndmask_b32_e64 v62, v70, 2, s4
.LBB8_269:                              ;   in Loop: Header=BB8_145 Depth=1
	s_or_saveexec_b32 s40, s5
	v_mov_b64_e32 v[76:77], 0
	s_xor_b32 exec_lo, exec_lo, s40
	s_cbranch_execz .LBB8_271
; %bb.270:                              ;   in Loop: Header=BB8_145 Depth=1
	v_frexp_mant_f64_e64 v[76:77], |v[54:55]|
	v_cmp_gt_u32_e64 s6, 0x3fcda661, v75
	v_cmp_gt_u32_e64 s5, 0x3fe76944, v75
	v_cmp_neq_f64_e64 s4, 0, v[54:55]
	s_delay_alu instid0(VALU_DEP_2) | instskip(SKIP_2) | instid1(VALU_DEP_1)
	v_cndmask_b32_e64 v74, 0, 1, s5
	v_cmp_gt_f64_e32 vcc_lo, s[8:9], v[76:77]
	v_cndmask_b32_e64 v62, 0, 1, vcc_lo
	v_ldexp_f64 v[76:77], v[76:77], v62
	v_frexp_exp_i32_f64_e32 v62, v[54:55]
	s_delay_alu instid0(VALU_DEP_2) | instskip(SKIP_1) | instid1(VALU_DEP_3)
	v_add_f64_e32 v[78:79], 1.0, v[76:77]
	v_add_f64_e32 v[84:85], -1.0, v[76:77]
	v_subrev_co_ci_u32_e64 v62, null, 0, v62, vcc_lo
	v_cmp_neq_f64_e64 vcc_lo, 0x7ff00000, |v[54:55]|
	s_delay_alu instid0(VALU_DEP_4) | instskip(SKIP_1) | instid1(VALU_DEP_1)
	v_rcp_f64_e32 v[80:81], v[78:79]
	v_add_f64_e32 v[86:87], -1.0, v[78:79]
	v_add_f64_e64 v[76:77], v[76:77], -v[86:87]
	s_delay_alu instid0(TRANS32_DEP_1) | instskip(NEXT) | instid1(VALU_DEP_1)
	v_fma_f64 v[82:83], -v[78:79], v[80:81], 1.0
	v_fmac_f64_e32 v[80:81], v[82:83], v[80:81]
	s_delay_alu instid0(VALU_DEP_1) | instskip(NEXT) | instid1(VALU_DEP_1)
	v_fma_f64 v[82:83], -v[78:79], v[80:81], 1.0
	v_fmac_f64_e32 v[80:81], v[82:83], v[80:81]
	s_delay_alu instid0(VALU_DEP_1) | instskip(NEXT) | instid1(VALU_DEP_1)
	v_mul_f64_e32 v[82:83], v[84:85], v[80:81]
	v_mul_f64_e32 v[88:89], v[78:79], v[82:83]
	s_delay_alu instid0(VALU_DEP_1) | instskip(NEXT) | instid1(VALU_DEP_1)
	v_fma_f64 v[78:79], v[82:83], v[78:79], -v[88:89]
	v_fmac_f64_e32 v[78:79], v[82:83], v[76:77]
	s_delay_alu instid0(VALU_DEP_1) | instskip(NEXT) | instid1(VALU_DEP_1)
	v_add_f64_e32 v[76:77], v[88:89], v[78:79]
	v_add_f64_e64 v[86:87], v[84:85], -v[76:77]
	v_add_f64_e64 v[88:89], v[76:77], -v[88:89]
	s_delay_alu instid0(VALU_DEP_2) | instskip(NEXT) | instid1(VALU_DEP_2)
	v_add_f64_e64 v[84:85], v[84:85], -v[86:87]
	v_add_f64_e64 v[78:79], v[88:89], -v[78:79]
	s_delay_alu instid0(VALU_DEP_2) | instskip(NEXT) | instid1(VALU_DEP_1)
	v_add_f64_e64 v[76:77], v[84:85], -v[76:77]
	v_add_f64_e32 v[76:77], v[78:79], v[76:77]
	s_delay_alu instid0(VALU_DEP_1) | instskip(NEXT) | instid1(VALU_DEP_1)
	v_add_f64_e32 v[76:77], v[86:87], v[76:77]
	v_mul_f64_e32 v[76:77], v[80:81], v[76:77]
	s_delay_alu instid0(VALU_DEP_1) | instskip(NEXT) | instid1(VALU_DEP_1)
	v_add_f64_e32 v[78:79], v[82:83], v[76:77]
	v_mul_f64_e32 v[80:81], v[78:79], v[78:79]
	s_delay_alu instid0(VALU_DEP_1) | instskip(SKIP_1) | instid1(VALU_DEP_2)
	v_fmamk_f64 v[84:85], v[80:81], 0x3fc3ab76bf559e2b, v[6:7]
	v_mul_f64_e32 v[86:87], v[78:79], v[80:81]
	v_fmaak_f64 v[84:85], v[80:81], v[84:85], 0x3fc7474dd7f4df2e
	s_delay_alu instid0(VALU_DEP_1) | instskip(NEXT) | instid1(VALU_DEP_1)
	v_fmaak_f64 v[84:85], v[80:81], v[84:85], 0x3fcc71c016291751
	v_fmaak_f64 v[84:85], v[80:81], v[84:85], 0x3fd249249b27acf1
	s_delay_alu instid0(VALU_DEP_1) | instskip(NEXT) | instid1(VALU_DEP_1)
	v_fmaak_f64 v[84:85], v[80:81], v[84:85], 0x3fd99999998ef7b6
	v_fmaak_f64 v[80:81], v[80:81], v[84:85], 0x3fe5555555555780
	v_ldexp_f64 v[84:85], v[78:79], 1
	v_add_f64_e64 v[78:79], v[78:79], -v[82:83]
	s_delay_alu instid0(VALU_DEP_3) | instskip(SKIP_1) | instid1(VALU_DEP_3)
	v_mul_f64_e32 v[80:81], v[86:87], v[80:81]
	v_cvt_f64_i32_e32 v[86:87], v62
	v_add_f64_e64 v[76:77], v[76:77], -v[78:79]
	s_delay_alu instid0(VALU_DEP_3) | instskip(NEXT) | instid1(VALU_DEP_3)
	v_add_f64_e32 v[82:83], v[84:85], v[80:81]
	v_mul_f64_e32 v[88:89], 0x3fe62e42fefa39ef, v[86:87]
	s_delay_alu instid0(VALU_DEP_3) | instskip(NEXT) | instid1(VALU_DEP_3)
	v_ldexp_f64 v[76:77], v[76:77], 1
	v_add_f64_e64 v[78:79], v[82:83], -v[84:85]
	s_delay_alu instid0(VALU_DEP_3) | instskip(NEXT) | instid1(VALU_DEP_2)
	v_fma_f64 v[84:85], v[86:87], s[16:17], -v[88:89]
	v_add_f64_e64 v[78:79], v[80:81], -v[78:79]
	s_delay_alu instid0(VALU_DEP_2) | instskip(NEXT) | instid1(VALU_DEP_2)
	v_fmac_f64_e32 v[84:85], 0x3c7abc9e3b39803f, v[86:87]
	v_add_f64_e32 v[76:77], v[76:77], v[78:79]
	s_delay_alu instid0(VALU_DEP_2) | instskip(NEXT) | instid1(VALU_DEP_2)
	v_add_f64_e32 v[78:79], v[88:89], v[84:85]
	v_add_f64_e32 v[80:81], v[82:83], v[76:77]
	s_delay_alu instid0(VALU_DEP_2) | instskip(NEXT) | instid1(VALU_DEP_2)
	v_add_f64_e64 v[88:89], v[78:79], -v[88:89]
	v_add_f64_e32 v[86:87], v[78:79], v[80:81]
	v_add_f64_e64 v[82:83], v[80:81], -v[82:83]
	s_delay_alu instid0(VALU_DEP_3) | instskip(NEXT) | instid1(VALU_DEP_3)
	v_add_f64_e64 v[84:85], v[84:85], -v[88:89]
	v_add_f64_e64 v[90:91], v[86:87], -v[78:79]
	s_delay_alu instid0(VALU_DEP_3) | instskip(NEXT) | instid1(VALU_DEP_2)
	v_add_f64_e64 v[76:77], v[76:77], -v[82:83]
	v_add_f64_e64 v[92:93], v[86:87], -v[90:91]
	;; [unrolled: 1-line block ×3, first 2 shown]
	s_delay_alu instid0(VALU_DEP_3) | instskip(NEXT) | instid1(VALU_DEP_3)
	v_add_f64_e32 v[82:83], v[84:85], v[76:77]
	v_add_f64_e64 v[78:79], v[78:79], -v[92:93]
	s_delay_alu instid0(VALU_DEP_1) | instskip(NEXT) | instid1(VALU_DEP_3)
	v_add_f64_e32 v[78:79], v[80:81], v[78:79]
	v_add_f64_e64 v[80:81], v[82:83], -v[84:85]
	s_delay_alu instid0(VALU_DEP_2) | instskip(NEXT) | instid1(VALU_DEP_2)
	v_add_f64_e32 v[78:79], v[82:83], v[78:79]
	v_add_f64_e64 v[82:83], v[82:83], -v[80:81]
	v_add_f64_e64 v[76:77], v[76:77], -v[80:81]
	s_delay_alu instid0(VALU_DEP_3) | instskip(NEXT) | instid1(VALU_DEP_3)
	v_add_f64_e32 v[88:89], v[86:87], v[78:79]
	v_add_f64_e64 v[80:81], v[84:85], -v[82:83]
	s_delay_alu instid0(VALU_DEP_2) | instskip(NEXT) | instid1(VALU_DEP_2)
	v_add_f64_e64 v[82:83], v[88:89], -v[86:87]
	v_add_f64_e32 v[76:77], v[76:77], v[80:81]
	v_add_f64_e64 v[80:81], |v[54:55]|, s[14:15]
	s_delay_alu instid0(VALU_DEP_3) | instskip(NEXT) | instid1(VALU_DEP_1)
	v_add_f64_e64 v[78:79], v[78:79], -v[82:83]
	v_add_f64_e32 v[76:77], v[76:77], v[78:79]
	v_add_f64_e64 v[78:79], -|v[54:55]|, 1.0
	s_delay_alu instid0(VALU_DEP_2) | instskip(NEXT) | instid1(VALU_DEP_2)
	v_add_f64_e32 v[76:77], v[88:89], v[76:77]
	v_dual_cndmask_b32 v66, v78, v80, s5 :: v_dual_cndmask_b32 v70, v79, v81, s5
	s_delay_alu instid0(VALU_DEP_1) | instskip(NEXT) | instid1(VALU_DEP_2)
	v_cndmask_b32_e64 v78, v66, v54, s6
	v_cndmask_b32_e64 v79, v70, v75, s6
	s_delay_alu instid0(VALU_DEP_4) | instskip(NEXT) | instid1(VALU_DEP_1)
	v_xor_b32_e32 v62, 0x80000000, v77
	v_cndmask_b32_e32 v62, 0xfff00000, v62, vcc_lo
	s_and_b32 vcc_lo, s4, vcc_lo
	v_cndmask_b32_e32 v76, 0, v76, vcc_lo
	s_delay_alu instid0(VALU_DEP_2)
	v_cndmask_b32_e64 v77, 0x7ff00000, v62, s4
	v_cndmask_b32_e64 v62, v74, 2, s6
.LBB8_271:                              ;   in Loop: Header=BB8_145 Depth=1
	s_or_b32 exec_lo, exec_lo, s40
	s_delay_alu instid0(SALU_CYCLE_1) | instskip(NEXT) | instid1(VALU_DEP_1)
	s_mov_b32 s4, exec_lo
                                        ; implicit-def: $vgpr80_vgpr81
	v_cmpx_lt_i32_e32 1, v62
	s_xor_b32 s4, exec_lo, s4
	s_cbranch_execz .LBB8_273
; %bb.272:                              ;   in Loop: Header=BB8_145 Depth=1
	v_fmamk_f64 v[80:81], v[78:79], 0x3f8b678bbf2bab09, v[36:37]
	v_fmamk_f64 v[82:83], v[78:79], 0x3f6a5abb57d0cf61, v[38:39]
                                        ; implicit-def: $vgpr62
	s_delay_alu instid0(VALU_DEP_2) | instskip(NEXT) | instid1(VALU_DEP_2)
	v_fmaak_f64 v[80:81], v[78:79], v[80:81], 0x3fef497644ea8450
	v_fmaak_f64 v[82:83], v[78:79], v[82:83], 0x3fe89dfbe45050af
	s_delay_alu instid0(VALU_DEP_2) | instskip(NEXT) | instid1(VALU_DEP_2)
	v_fmaak_f64 v[80:81], v[78:79], v[80:81], 0x3ff7475cd119bd6f
	v_fmaak_f64 v[82:83], v[78:79], v[82:83], 0x40010725a42b18f5
	;; [unrolled: 3-line block ×3, first 2 shown]
	s_delay_alu instid0(VALU_DEP_2) | instskip(NEXT) | instid1(VALU_DEP_2)
	v_fmaak_f64 v[80:81], v[78:79], v[80:81], 0xbfb3c467e37db0c8
	v_fma_f64 v[82:83], v[78:79], v[82:83], 1.0
	s_delay_alu instid0(VALU_DEP_2) | instskip(NEXT) | instid1(VALU_DEP_1)
	v_mul_f64_e32 v[80:81], v[78:79], v[80:81]
	v_div_scale_f64 v[84:85], null, v[82:83], v[82:83], v[80:81]
	s_delay_alu instid0(VALU_DEP_1) | instskip(SKIP_1) | instid1(TRANS32_DEP_1)
	v_rcp_f64_e32 v[86:87], v[84:85]
	v_nop
	v_fma_f64 v[88:89], -v[84:85], v[86:87], 1.0
	s_delay_alu instid0(VALU_DEP_1) | instskip(NEXT) | instid1(VALU_DEP_1)
	v_fmac_f64_e32 v[86:87], v[86:87], v[88:89]
	v_fma_f64 v[88:89], -v[84:85], v[86:87], 1.0
	s_delay_alu instid0(VALU_DEP_1) | instskip(SKIP_1) | instid1(VALU_DEP_1)
	v_fmac_f64_e32 v[86:87], v[86:87], v[88:89]
	v_div_scale_f64 v[88:89], vcc_lo, v[80:81], v[82:83], v[80:81]
	v_mul_f64_e32 v[90:91], v[88:89], v[86:87]
	s_delay_alu instid0(VALU_DEP_1) | instskip(NEXT) | instid1(VALU_DEP_1)
	v_fma_f64 v[84:85], -v[84:85], v[90:91], v[88:89]
	v_div_fmas_f64 v[84:85], v[84:85], v[86:87], v[90:91]
	s_delay_alu instid0(VALU_DEP_1) | instskip(NEXT) | instid1(VALU_DEP_1)
	v_div_fixup_f64 v[80:81], v[84:85], v[82:83], v[80:81]
	v_fmac_f64_e32 v[80:81], -0.5, v[78:79]
                                        ; implicit-def: $vgpr78_vgpr79
.LBB8_273:                              ;   in Loop: Header=BB8_145 Depth=1
	s_and_not1_saveexec_b32 s4, s4
	s_cbranch_execz .LBB8_279
; %bb.274:                              ;   in Loop: Header=BB8_145 Depth=1
	s_mov_b32 s5, exec_lo
                                        ; implicit-def: $vgpr80_vgpr81
	v_cmpx_ne_u32_e32 1, v62
	s_xor_b32 s5, exec_lo, s5
	s_cbranch_execz .LBB8_276
; %bb.275:                              ;   in Loop: Header=BB8_145 Depth=1
	v_mul_f64_e32 v[82:83], v[78:79], v[78:79]
	s_delay_alu instid0(VALU_DEP_1) | instskip(SKIP_1) | instid1(VALU_DEP_2)
	v_fmamk_f64 v[80:81], v[82:83], 0x3f07858e90a45837, v[42:43]
	v_fmamk_f64 v[84:85], v[82:83], 0x3efa7074428cfa52, v[40:41]
	v_fmaak_f64 v[80:81], v[82:83], v[80:81], 0x3f40b6c689b99c00
	s_delay_alu instid0(VALU_DEP_2) | instskip(NEXT) | instid1(VALU_DEP_2)
	v_fmaak_f64 v[84:85], v[82:83], v[84:85], 0x3f538a94116f3f5d
	v_fmaak_f64 v[80:81], v[82:83], v[80:81], 0x3f67add8ccb7926b
	s_delay_alu instid0(VALU_DEP_2) | instskip(NEXT) | instid1(VALU_DEP_2)
	v_fmaak_f64 v[84:85], v[82:83], v[84:85], 0x3f7e404fb68fefe8
	;; [unrolled: 3-line block ×3, first 2 shown]
	v_fmaak_f64 v[80:81], v[82:83], v[80:81], 0x3fd4a34cc4a60fad
	s_delay_alu instid0(VALU_DEP_1) | instskip(NEXT) | instid1(VALU_DEP_3)
	v_mul_f64_e32 v[80:81], v[82:83], v[80:81]
	v_fmaak_f64 v[82:83], v[82:83], v[84:85], 0x3fb3c467e37db0c8
	s_delay_alu instid0(VALU_DEP_1) | instskip(NEXT) | instid1(VALU_DEP_1)
	v_fmac_f64_e32 v[80:81], v[78:79], v[82:83]
	v_fmac_f64_e32 v[80:81], -0.5, v[78:79]
                                        ; implicit-def: $vgpr78_vgpr79
.LBB8_276:                              ;   in Loop: Header=BB8_145 Depth=1
	s_and_not1_saveexec_b32 s5, s5
	s_cbranch_execz .LBB8_278
; %bb.277:                              ;   in Loop: Header=BB8_145 Depth=1
	v_mul_f64_e32 v[80:81], v[78:79], v[78:79]
	s_delay_alu instid0(VALU_DEP_1) | instskip(NEXT) | instid1(VALU_DEP_1)
	v_mul_f64_e32 v[82:83], v[78:79], v[80:81]
	v_fmamk_f64 v[84:85], v[82:83], 0xbf347f24ecc38c38, v[46:47]
	v_fmamk_f64 v[86:87], v[82:83], 0x3f35fd3ee8c2d3f4, v[48:49]
	s_delay_alu instid0(VALU_DEP_2) | instskip(NEXT) | instid1(VALU_DEP_2)
	v_fmaak_f64 v[84:85], v[82:83], v[84:85], 0xbf6e2effb3e914d7
	v_fmaak_f64 v[86:87], v[82:83], v[86:87], 0x3f6282d32e15c915
	s_delay_alu instid0(VALU_DEP_2) | instskip(NEXT) | instid1(VALU_DEP_2)
	v_fmaak_f64 v[84:85], v[82:83], v[84:85], 0x3f9266e7970af9ec
	v_fmaak_f64 v[86:87], v[82:83], v[86:87], 0xbf851f9fba91ec6a
	s_delay_alu instid0(VALU_DEP_2) | instskip(NEXT) | instid1(VALU_DEP_2)
	v_fmaak_f64 v[84:85], v[82:83], v[84:85], 0xbfc2e4278dc6c509
	v_fmaak_f64 v[86:87], v[82:83], v[86:87], 0x3fb08b4294d5419b
	s_delay_alu instid0(VALU_DEP_1) | instskip(NEXT) | instid1(VALU_DEP_1)
	v_fmac_f64_e32 v[84:85], v[78:79], v[86:87]
	v_fma_f64 v[78:79], v[82:83], -v[84:85], s[18:19]
	v_fmamk_f64 v[84:85], v[82:83], 0x3f34af6d6c0ebbf7, v[44:45]
	s_delay_alu instid0(VALU_DEP_1) | instskip(NEXT) | instid1(VALU_DEP_1)
	v_fmaak_f64 v[84:85], v[82:83], v[84:85], 0x3f78fce0e370e344
	v_fmaak_f64 v[84:85], v[82:83], v[84:85], 0xbfa0c9a8df35b713
	s_delay_alu instid0(VALU_DEP_1) | instskip(NEXT) | instid1(VALU_DEP_1)
	v_fmaak_f64 v[82:83], v[82:83], v[84:85], 0x3fdef72bc8ee38a2
	v_fma_f64 v[78:79], v[80:81], v[82:83], -v[78:79]
	s_delay_alu instid0(VALU_DEP_1)
	v_add_f64_e32 v[80:81], 0xbfbf19b9bcc38a42, v[78:79]
.LBB8_278:                              ;   in Loop: Header=BB8_145 Depth=1
	s_or_b32 exec_lo, exec_lo, s5
.LBB8_279:                              ;   in Loop: Header=BB8_145 Depth=1
	s_delay_alu instid0(SALU_CYCLE_1) | instskip(NEXT) | instid1(VALU_DEP_1)
	s_or_b32 exec_lo, exec_lo, s4
	v_add_f64_e32 v[76:77], v[76:77], v[80:81]
.LBB8_280:                              ;   in Loop: Header=BB8_145 Depth=1
	s_or_b32 exec_lo, exec_lo, s33
.LBB8_281:                              ;   in Loop: Header=BB8_145 Depth=1
	s_and_not1_saveexec_b32 s5, s7
	s_cbranch_execz .LBB8_283
; %bb.282:                              ;   in Loop: Header=BB8_145 Depth=1
	v_frexp_mant_f64_e64 v[76:77], |v[54:55]|
	v_cmp_neq_f64_e64 s4, 0, v[54:55]
	s_delay_alu instid0(VALU_DEP_2) | instskip(SKIP_1) | instid1(VALU_DEP_1)
	v_cmp_gt_f64_e32 vcc_lo, s[8:9], v[76:77]
	v_cndmask_b32_e64 v62, 0, 1, vcc_lo
	v_ldexp_f64 v[76:77], v[76:77], v62
	v_frexp_exp_i32_f64_e32 v62, v[54:55]
	s_delay_alu instid0(VALU_DEP_2) | instskip(SKIP_1) | instid1(VALU_DEP_3)
	v_add_f64_e32 v[78:79], 1.0, v[76:77]
	v_add_f64_e32 v[84:85], -1.0, v[76:77]
	v_subrev_co_ci_u32_e64 v62, null, 0, v62, vcc_lo
	v_cmp_neq_f64_e64 vcc_lo, 0x7ff00000, |v[54:55]|
	s_delay_alu instid0(VALU_DEP_4) | instskip(SKIP_1) | instid1(VALU_DEP_1)
	v_rcp_f64_e32 v[80:81], v[78:79]
	v_add_f64_e32 v[86:87], -1.0, v[78:79]
	v_add_f64_e64 v[76:77], v[76:77], -v[86:87]
	s_delay_alu instid0(TRANS32_DEP_1) | instskip(NEXT) | instid1(VALU_DEP_1)
	v_fma_f64 v[82:83], -v[78:79], v[80:81], 1.0
	v_fmac_f64_e32 v[80:81], v[82:83], v[80:81]
	s_delay_alu instid0(VALU_DEP_1) | instskip(NEXT) | instid1(VALU_DEP_1)
	v_fma_f64 v[82:83], -v[78:79], v[80:81], 1.0
	v_fmac_f64_e32 v[80:81], v[82:83], v[80:81]
	s_delay_alu instid0(VALU_DEP_1) | instskip(NEXT) | instid1(VALU_DEP_1)
	v_mul_f64_e32 v[82:83], v[84:85], v[80:81]
	v_mul_f64_e32 v[88:89], v[78:79], v[82:83]
	s_delay_alu instid0(VALU_DEP_1) | instskip(NEXT) | instid1(VALU_DEP_1)
	v_fma_f64 v[78:79], v[82:83], v[78:79], -v[88:89]
	v_fmac_f64_e32 v[78:79], v[82:83], v[76:77]
	s_delay_alu instid0(VALU_DEP_1) | instskip(NEXT) | instid1(VALU_DEP_1)
	v_add_f64_e32 v[76:77], v[88:89], v[78:79]
	v_add_f64_e64 v[86:87], v[84:85], -v[76:77]
	v_add_f64_e64 v[88:89], v[76:77], -v[88:89]
	s_delay_alu instid0(VALU_DEP_2) | instskip(NEXT) | instid1(VALU_DEP_2)
	v_add_f64_e64 v[84:85], v[84:85], -v[86:87]
	v_add_f64_e64 v[78:79], v[88:89], -v[78:79]
	s_delay_alu instid0(VALU_DEP_2) | instskip(NEXT) | instid1(VALU_DEP_1)
	v_add_f64_e64 v[76:77], v[84:85], -v[76:77]
	v_add_f64_e32 v[76:77], v[78:79], v[76:77]
	s_delay_alu instid0(VALU_DEP_1) | instskip(NEXT) | instid1(VALU_DEP_1)
	v_add_f64_e32 v[76:77], v[86:87], v[76:77]
	v_mul_f64_e32 v[76:77], v[80:81], v[76:77]
	s_delay_alu instid0(VALU_DEP_1) | instskip(NEXT) | instid1(VALU_DEP_1)
	v_add_f64_e32 v[78:79], v[82:83], v[76:77]
	v_mul_f64_e32 v[80:81], v[78:79], v[78:79]
	s_delay_alu instid0(VALU_DEP_1) | instskip(SKIP_1) | instid1(VALU_DEP_2)
	v_fmamk_f64 v[84:85], v[80:81], 0x3fc3ab76bf559e2b, v[6:7]
	v_mul_f64_e32 v[86:87], v[78:79], v[80:81]
	v_fmaak_f64 v[84:85], v[80:81], v[84:85], 0x3fc7474dd7f4df2e
	s_delay_alu instid0(VALU_DEP_1) | instskip(NEXT) | instid1(VALU_DEP_1)
	v_fmaak_f64 v[84:85], v[80:81], v[84:85], 0x3fcc71c016291751
	v_fmaak_f64 v[84:85], v[80:81], v[84:85], 0x3fd249249b27acf1
	s_delay_alu instid0(VALU_DEP_1) | instskip(NEXT) | instid1(VALU_DEP_1)
	v_fmaak_f64 v[84:85], v[80:81], v[84:85], 0x3fd99999998ef7b6
	v_fmaak_f64 v[80:81], v[80:81], v[84:85], 0x3fe5555555555780
	v_ldexp_f64 v[84:85], v[78:79], 1
	v_add_f64_e64 v[78:79], v[78:79], -v[82:83]
	s_delay_alu instid0(VALU_DEP_3) | instskip(SKIP_1) | instid1(VALU_DEP_3)
	v_mul_f64_e32 v[80:81], v[86:87], v[80:81]
	v_cvt_f64_i32_e32 v[86:87], v62
	v_add_f64_e64 v[76:77], v[76:77], -v[78:79]
	s_delay_alu instid0(VALU_DEP_3) | instskip(NEXT) | instid1(VALU_DEP_3)
	v_add_f64_e32 v[82:83], v[84:85], v[80:81]
	v_mul_f64_e32 v[88:89], 0x3fe62e42fefa39ef, v[86:87]
	s_delay_alu instid0(VALU_DEP_3) | instskip(NEXT) | instid1(VALU_DEP_3)
	v_ldexp_f64 v[76:77], v[76:77], 1
	v_add_f64_e64 v[78:79], v[82:83], -v[84:85]
	s_delay_alu instid0(VALU_DEP_3) | instskip(NEXT) | instid1(VALU_DEP_2)
	v_fma_f64 v[84:85], v[86:87], s[16:17], -v[88:89]
	v_add_f64_e64 v[78:79], v[80:81], -v[78:79]
	s_delay_alu instid0(VALU_DEP_2) | instskip(NEXT) | instid1(VALU_DEP_2)
	v_fmac_f64_e32 v[84:85], 0x3c7abc9e3b39803f, v[86:87]
	v_add_f64_e32 v[76:77], v[76:77], v[78:79]
	s_delay_alu instid0(VALU_DEP_2) | instskip(NEXT) | instid1(VALU_DEP_2)
	v_add_f64_e32 v[78:79], v[88:89], v[84:85]
	v_add_f64_e32 v[80:81], v[82:83], v[76:77]
	s_delay_alu instid0(VALU_DEP_2) | instskip(NEXT) | instid1(VALU_DEP_2)
	v_add_f64_e64 v[88:89], v[78:79], -v[88:89]
	v_add_f64_e32 v[86:87], v[78:79], v[80:81]
	v_add_f64_e64 v[82:83], v[80:81], -v[82:83]
	s_delay_alu instid0(VALU_DEP_3) | instskip(NEXT) | instid1(VALU_DEP_3)
	v_add_f64_e64 v[84:85], v[84:85], -v[88:89]
	v_add_f64_e64 v[90:91], v[86:87], -v[78:79]
	s_delay_alu instid0(VALU_DEP_3) | instskip(NEXT) | instid1(VALU_DEP_2)
	v_add_f64_e64 v[76:77], v[76:77], -v[82:83]
	v_add_f64_e64 v[92:93], v[86:87], -v[90:91]
	;; [unrolled: 1-line block ×3, first 2 shown]
	s_delay_alu instid0(VALU_DEP_3) | instskip(NEXT) | instid1(VALU_DEP_3)
	v_add_f64_e32 v[82:83], v[84:85], v[76:77]
	v_add_f64_e64 v[78:79], v[78:79], -v[92:93]
	s_delay_alu instid0(VALU_DEP_1) | instskip(NEXT) | instid1(VALU_DEP_3)
	v_add_f64_e32 v[78:79], v[80:81], v[78:79]
	v_add_f64_e64 v[80:81], v[82:83], -v[84:85]
	s_delay_alu instid0(VALU_DEP_2) | instskip(NEXT) | instid1(VALU_DEP_2)
	v_add_f64_e32 v[78:79], v[82:83], v[78:79]
	v_add_f64_e64 v[82:83], v[82:83], -v[80:81]
	v_add_f64_e64 v[76:77], v[76:77], -v[80:81]
	s_delay_alu instid0(VALU_DEP_3) | instskip(NEXT) | instid1(VALU_DEP_3)
	v_add_f64_e32 v[88:89], v[86:87], v[78:79]
	v_add_f64_e64 v[80:81], v[84:85], -v[82:83]
	s_delay_alu instid0(VALU_DEP_2) | instskip(NEXT) | instid1(VALU_DEP_2)
	v_add_f64_e64 v[82:83], v[88:89], -v[86:87]
	v_add_f64_e32 v[76:77], v[76:77], v[80:81]
	v_fma_f64 v[80:81], |v[54:55]|, s[22:23], s[20:21]
	s_delay_alu instid0(VALU_DEP_3) | instskip(NEXT) | instid1(VALU_DEP_1)
	v_add_f64_e64 v[78:79], v[78:79], -v[82:83]
	v_add_f64_e32 v[76:77], v[76:77], v[78:79]
	s_delay_alu instid0(VALU_DEP_3) | instskip(NEXT) | instid1(VALU_DEP_2)
	v_fma_f64 v[78:79], |v[54:55]|, v[80:81], s[24:25]
	v_add_f64_e32 v[76:77], v[88:89], v[76:77]
	s_delay_alu instid0(VALU_DEP_2) | instskip(NEXT) | instid1(VALU_DEP_2)
	v_fma_f64 v[78:79], |v[54:55]|, v[78:79], s[26:27]
	v_xor_b32_e32 v62, 0x80000000, v77
	s_delay_alu instid0(VALU_DEP_2) | instskip(NEXT) | instid1(VALU_DEP_2)
	v_fma_f64 v[78:79], |v[54:55]|, v[78:79], s[28:29]
	v_cndmask_b32_e32 v62, 0xfff00000, v62, vcc_lo
	s_and_b32 vcc_lo, s4, vcc_lo
	v_cndmask_b32_e32 v76, 0, v76, vcc_lo
	s_delay_alu instid0(VALU_DEP_2) | instskip(NEXT) | instid1(VALU_DEP_1)
	v_cndmask_b32_e64 v77, 0x7ff00000, v62, s4
	v_fma_f64 v[76:77], |v[54:55]|, v[78:79], v[76:77]
.LBB8_283:                              ;   in Loop: Header=BB8_145 Depth=1
	s_or_b32 exec_lo, exec_lo, s5
	s_delay_alu instid0(SALU_CYCLE_1)
	s_mov_b32 s4, exec_lo
	v_cmpx_le_f64_e32 0, v[54:55]
	s_xor_b32 s5, exec_lo, s4
	s_cbranch_execnz .LBB8_289
; %bb.284:                              ;   in Loop: Header=BB8_145 Depth=1
	s_and_not1_saveexec_b32 s5, s5
	s_cbranch_execnz .LBB8_290
.LBB8_285:                              ;   in Loop: Header=BB8_145 Depth=1
	s_or_b32 exec_lo, exec_lo, s5
	s_and_saveexec_b32 s4, s3
	s_delay_alu instid0(SALU_CYCLE_1)
	s_xor_b32 s4, exec_lo, s4
	s_cbranch_execnz .LBB8_293
.LBB8_286:                              ;   in Loop: Header=BB8_145 Depth=1
	s_or_b32 exec_lo, exec_lo, s4
	s_and_saveexec_b32 s3, s2
	s_cbranch_execnz .LBB8_294
.LBB8_287:                              ;   in Loop: Header=BB8_145 Depth=1
	s_or_b32 exec_lo, exec_lo, s3
	s_and_saveexec_b32 s2, s1
	s_cbranch_execnz .LBB8_295
.LBB8_288:                              ;   in Loop: Header=BB8_145 Depth=1
	s_or_b32 exec_lo, exec_lo, s2
	s_and_saveexec_b32 s1, s0
	s_cbranch_execz .LBB8_144
	s_branch .LBB8_296
.LBB8_289:                              ;   in Loop: Header=BB8_145 Depth=1
	v_cmp_eq_f64_e32 vcc_lo, 1.0, v[54:55]
	v_cmp_eq_f64_e64 s4, 2.0, v[54:55]
	s_or_b32 s4, vcc_lo, s4
	s_delay_alu instid0(SALU_CYCLE_1)
	v_cndmask_b32_e64 v77, v77, 0, s4
	v_cndmask_b32_e64 v76, v76, 0, s4
	s_and_not1_saveexec_b32 s5, s5
	s_cbranch_execz .LBB8_285
.LBB8_290:                              ;   in Loop: Header=BB8_145 Depth=1
	v_add_nc_u32_e32 v62, 0xc32fffff, v75
	s_mov_b32 s6, exec_lo
	s_delay_alu instid0(VALU_DEP_1)
	v_cmpx_gt_u32_e32 0x65fffff, v62
	s_cbranch_execz .LBB8_292
; %bb.291:                              ;   in Loop: Header=BB8_145 Depth=1
	v_mul_f64_e64 v[78:79], |v[54:55]|, 0.5
	v_cmp_class_f64_e64 s4, v[54:55], 0x1f8
	s_delay_alu instid0(VALU_DEP_2) | instskip(SKIP_1) | instid1(VALU_DEP_2)
	v_fract_f64_e32 v[80:81], v[78:79]
	v_cmp_neq_f64_e64 vcc_lo, 0x7ff00000, |v[78:79]|
	v_add_f64_e32 v[80:81], v[80:81], v[80:81]
	s_delay_alu instid0(VALU_DEP_1) | instskip(SKIP_1) | instid1(VALU_DEP_2)
	v_dual_cndmask_b32 v62, 0, v80, vcc_lo :: v_dual_cndmask_b32 v66, 0, v81, vcc_lo
	v_cmp_gt_f64_e64 vcc_lo, |v[54:55]|, 1.0
	v_cndmask_b32_e32 v79, v75, v66, vcc_lo
	s_delay_alu instid0(VALU_DEP_3) | instskip(NEXT) | instid1(VALU_DEP_1)
	v_cndmask_b32_e32 v78, v54, v62, vcc_lo
	v_add_f64_e32 v[80:81], v[78:79], v[78:79]
	s_delay_alu instid0(VALU_DEP_1) | instskip(NEXT) | instid1(VALU_DEP_1)
	v_rndne_f64_e32 v[80:81], v[80:81]
	v_cvt_i32_f64_e32 v62, v[80:81]
	s_delay_alu instid0(VALU_DEP_1) | instskip(SKIP_2) | instid1(VALU_DEP_3)
	v_and_b32_e32 v66, 1, v62
	v_fmac_f64_e32 v[78:79], -0.5, v[80:81]
	v_lshlrev_b32_e32 v62, 30, v62
	v_cmp_eq_u32_e32 vcc_lo, 0, v66
	s_delay_alu instid0(VALU_DEP_3) | instskip(NEXT) | instid1(VALU_DEP_1)
	v_mul_f64_e32 v[82:83], v[78:79], v[78:79]
	v_fmamk_f64 v[84:85], v[82:83], 0x3f3e357ef99eb0bb, v[50:51]
	v_mul_f64_e32 v[86:87], v[78:79], v[82:83]
	v_fmamk_f64 v[88:89], v[82:83], 0xbf1b167302e21c33, v[52:53]
	s_delay_alu instid0(VALU_DEP_3) | instskip(NEXT) | instid1(VALU_DEP_2)
	v_fmaak_f64 v[84:85], v[82:83], v[84:85], 0x3fb50782d5f14825
	v_fmaak_f64 v[88:89], v[82:83], v[88:89], 0xbf9a6d1e7294bff9
	s_delay_alu instid0(VALU_DEP_2) | instskip(NEXT) | instid1(VALU_DEP_1)
	v_fmaak_f64 v[84:85], v[82:83], v[84:85], 0xbfe32d2ccdfe9424
	v_fmaak_f64 v[84:85], v[82:83], v[84:85], 0x400466bc67754fff
	s_delay_alu instid0(VALU_DEP_1) | instskip(NEXT) | instid1(VALU_DEP_1)
	v_fmaak_f64 v[84:85], v[82:83], v[84:85], 0xc014abbce625be09
	v_mul_f64_e32 v[84:85], v[86:87], v[84:85]
	v_fmaak_f64 v[86:87], v[82:83], v[88:89], 0x3fce1f5067b90b37
	s_delay_alu instid0(VALU_DEP_1) | instskip(NEXT) | instid1(VALU_DEP_1)
	v_fmaak_f64 v[86:87], v[82:83], v[86:87], 0xbff55d3c7e3c325b
	v_fmaak_f64 v[86:87], v[82:83], v[86:87], 0x40103c1f081b5a67
	s_delay_alu instid0(VALU_DEP_1) | instskip(NEXT) | instid1(VALU_DEP_1)
	v_fmaak_f64 v[86:87], v[82:83], v[86:87], 0xc013bd3cc9be45de
	v_fma_f64 v[80:81], v[82:83], v[86:87], 1.0
	v_fmac_f64_e32 v[84:85], 0x400921fb54442d18, v[78:79]
	s_delay_alu instid0(VALU_DEP_1) | instskip(NEXT) | instid1(VALU_DEP_1)
	v_dual_cndmask_b32 v66, v80, v84, vcc_lo :: v_dual_bitop2_b32 v62, v62, v55 bitop3:0x14
	v_dual_cndmask_b32 v70, v81, v85, vcc_lo :: v_dual_cndmask_b32 v78, 0, v66, s4
	s_delay_alu instid0(VALU_DEP_1) | instskip(NEXT) | instid1(VALU_DEP_1)
	v_bitop3_b32 v62, v70, v62, 0x80000000 bitop3:0x78
	v_cndmask_b32_e64 v79, 0x7ff80000, v62, s4
	v_cmp_class_f64_e64 s4, v[54:55], 0x204
	s_delay_alu instid0(VALU_DEP_2) | instskip(NEXT) | instid1(VALU_DEP_1)
	v_mul_f64_e32 v[78:79], v[54:55], v[78:79]
	v_and_b32_e32 v81, 0x7fffffff, v79
	s_delay_alu instid0(VALU_DEP_2) | instskip(NEXT) | instid1(VALU_DEP_1)
	v_mov_b32_e32 v80, v78
	v_div_scale_f64 v[82:83], null, v[80:81], v[80:81], s[30:31]
	v_div_scale_f64 v[80:81], vcc_lo, s[30:31], v[80:81], s[30:31]
	s_delay_alu instid0(VALU_DEP_2) | instskip(SKIP_1) | instid1(TRANS32_DEP_1)
	v_rcp_f64_e32 v[84:85], v[82:83]
	v_nop
	v_fma_f64 v[86:87], -v[82:83], v[84:85], 1.0
	s_delay_alu instid0(VALU_DEP_1) | instskip(NEXT) | instid1(VALU_DEP_1)
	v_fmac_f64_e32 v[84:85], v[84:85], v[86:87]
	v_fma_f64 v[86:87], -v[82:83], v[84:85], 1.0
	s_delay_alu instid0(VALU_DEP_1) | instskip(NEXT) | instid1(VALU_DEP_1)
	v_fmac_f64_e32 v[84:85], v[84:85], v[86:87]
	v_mul_f64_e32 v[86:87], v[80:81], v[84:85]
	s_delay_alu instid0(VALU_DEP_1) | instskip(NEXT) | instid1(VALU_DEP_1)
	v_fma_f64 v[80:81], -v[82:83], v[86:87], v[80:81]
	v_div_fmas_f64 v[80:81], v[80:81], v[84:85], v[86:87]
	s_delay_alu instid0(VALU_DEP_1) | instskip(NEXT) | instid1(VALU_DEP_1)
	v_div_fixup_f64 v[78:79], v[80:81], |v[78:79]|, s[30:31]
	v_frexp_mant_f64_e32 v[80:81], v[78:79]
	s_delay_alu instid0(VALU_DEP_1) | instskip(SKIP_1) | instid1(VALU_DEP_1)
	v_cmp_gt_f64_e32 vcc_lo, s[8:9], v[80:81]
	v_cndmask_b32_e64 v62, 0, 1, vcc_lo
	v_ldexp_f64 v[80:81], v[80:81], v62
	v_frexp_exp_i32_f64_e32 v62, v[78:79]
	s_delay_alu instid0(VALU_DEP_1) | instskip(SKIP_1) | instid1(VALU_DEP_4)
	v_subrev_co_ci_u32_e64 v62, null, 0, v62, vcc_lo
	v_cmp_class_f64_e64 vcc_lo, v[78:79], 0x204
	v_add_f64_e32 v[82:83], 1.0, v[80:81]
	v_add_f64_e32 v[88:89], -1.0, v[80:81]
	s_delay_alu instid0(VALU_DEP_2) | instskip(SKIP_1) | instid1(VALU_DEP_1)
	v_rcp_f64_e32 v[84:85], v[82:83]
	v_add_f64_e32 v[90:91], -1.0, v[82:83]
	v_add_f64_e64 v[80:81], v[80:81], -v[90:91]
	s_delay_alu instid0(TRANS32_DEP_1) | instskip(NEXT) | instid1(VALU_DEP_1)
	v_fma_f64 v[86:87], -v[82:83], v[84:85], 1.0
	v_fmac_f64_e32 v[84:85], v[86:87], v[84:85]
	s_delay_alu instid0(VALU_DEP_1) | instskip(NEXT) | instid1(VALU_DEP_1)
	v_fma_f64 v[86:87], -v[82:83], v[84:85], 1.0
	v_fmac_f64_e32 v[84:85], v[86:87], v[84:85]
	s_delay_alu instid0(VALU_DEP_1) | instskip(NEXT) | instid1(VALU_DEP_1)
	v_mul_f64_e32 v[86:87], v[88:89], v[84:85]
	v_mul_f64_e32 v[92:93], v[82:83], v[86:87]
	s_delay_alu instid0(VALU_DEP_1) | instskip(NEXT) | instid1(VALU_DEP_1)
	v_fma_f64 v[82:83], v[86:87], v[82:83], -v[92:93]
	v_fmac_f64_e32 v[82:83], v[86:87], v[80:81]
	s_delay_alu instid0(VALU_DEP_1) | instskip(NEXT) | instid1(VALU_DEP_1)
	v_add_f64_e32 v[80:81], v[92:93], v[82:83]
	v_add_f64_e64 v[90:91], v[88:89], -v[80:81]
	v_add_f64_e64 v[92:93], v[80:81], -v[92:93]
	s_delay_alu instid0(VALU_DEP_2) | instskip(NEXT) | instid1(VALU_DEP_2)
	v_add_f64_e64 v[88:89], v[88:89], -v[90:91]
	v_add_f64_e64 v[82:83], v[92:93], -v[82:83]
	s_delay_alu instid0(VALU_DEP_2) | instskip(NEXT) | instid1(VALU_DEP_1)
	v_add_f64_e64 v[80:81], v[88:89], -v[80:81]
	v_add_f64_e32 v[80:81], v[82:83], v[80:81]
	s_delay_alu instid0(VALU_DEP_1) | instskip(NEXT) | instid1(VALU_DEP_1)
	v_add_f64_e32 v[80:81], v[90:91], v[80:81]
	v_mul_f64_e32 v[80:81], v[84:85], v[80:81]
	s_delay_alu instid0(VALU_DEP_1) | instskip(NEXT) | instid1(VALU_DEP_1)
	v_add_f64_e32 v[82:83], v[86:87], v[80:81]
	v_mul_f64_e32 v[84:85], v[82:83], v[82:83]
	s_delay_alu instid0(VALU_DEP_1) | instskip(SKIP_1) | instid1(VALU_DEP_2)
	v_fmamk_f64 v[88:89], v[84:85], 0x3fc3ab76bf559e2b, v[6:7]
	v_mul_f64_e32 v[90:91], v[82:83], v[84:85]
	v_fmaak_f64 v[88:89], v[84:85], v[88:89], 0x3fc7474dd7f4df2e
	s_delay_alu instid0(VALU_DEP_1) | instskip(NEXT) | instid1(VALU_DEP_1)
	v_fmaak_f64 v[88:89], v[84:85], v[88:89], 0x3fcc71c016291751
	v_fmaak_f64 v[88:89], v[84:85], v[88:89], 0x3fd249249b27acf1
	s_delay_alu instid0(VALU_DEP_1) | instskip(NEXT) | instid1(VALU_DEP_1)
	v_fmaak_f64 v[88:89], v[84:85], v[88:89], 0x3fd99999998ef7b6
	v_fmaak_f64 v[84:85], v[84:85], v[88:89], 0x3fe5555555555780
	v_ldexp_f64 v[88:89], v[82:83], 1
	v_add_f64_e64 v[82:83], v[82:83], -v[86:87]
	s_delay_alu instid0(VALU_DEP_3) | instskip(SKIP_1) | instid1(VALU_DEP_3)
	v_mul_f64_e32 v[84:85], v[90:91], v[84:85]
	v_cvt_f64_i32_e32 v[90:91], v62
	v_add_f64_e64 v[80:81], v[80:81], -v[82:83]
	s_delay_alu instid0(VALU_DEP_3) | instskip(NEXT) | instid1(VALU_DEP_3)
	v_add_f64_e32 v[86:87], v[88:89], v[84:85]
	v_mul_f64_e32 v[92:93], 0x3fe62e42fefa39ef, v[90:91]
	s_delay_alu instid0(VALU_DEP_3) | instskip(NEXT) | instid1(VALU_DEP_3)
	v_ldexp_f64 v[80:81], v[80:81], 1
	v_add_f64_e64 v[82:83], v[86:87], -v[88:89]
	s_delay_alu instid0(VALU_DEP_3) | instskip(NEXT) | instid1(VALU_DEP_2)
	v_fma_f64 v[88:89], v[90:91], s[16:17], -v[92:93]
	v_add_f64_e64 v[82:83], v[84:85], -v[82:83]
	s_delay_alu instid0(VALU_DEP_2) | instskip(NEXT) | instid1(VALU_DEP_2)
	v_fmac_f64_e32 v[88:89], 0x3c7abc9e3b39803f, v[90:91]
	v_add_f64_e32 v[80:81], v[80:81], v[82:83]
	s_delay_alu instid0(VALU_DEP_2) | instskip(NEXT) | instid1(VALU_DEP_2)
	v_add_f64_e32 v[82:83], v[92:93], v[88:89]
	v_add_f64_e32 v[84:85], v[86:87], v[80:81]
	s_delay_alu instid0(VALU_DEP_2) | instskip(NEXT) | instid1(VALU_DEP_2)
	v_add_f64_e64 v[92:93], v[82:83], -v[92:93]
	v_add_f64_e32 v[90:91], v[82:83], v[84:85]
	v_add_f64_e64 v[86:87], v[84:85], -v[86:87]
	s_delay_alu instid0(VALU_DEP_3) | instskip(NEXT) | instid1(VALU_DEP_3)
	v_add_f64_e64 v[88:89], v[88:89], -v[92:93]
	v_add_f64_e64 v[94:95], v[90:91], -v[82:83]
	s_delay_alu instid0(VALU_DEP_3) | instskip(NEXT) | instid1(VALU_DEP_2)
	v_add_f64_e64 v[80:81], v[80:81], -v[86:87]
	v_add_f64_e64 v[96:97], v[90:91], -v[94:95]
	;; [unrolled: 1-line block ×3, first 2 shown]
	s_delay_alu instid0(VALU_DEP_3) | instskip(NEXT) | instid1(VALU_DEP_3)
	v_add_f64_e32 v[86:87], v[88:89], v[80:81]
	v_add_f64_e64 v[82:83], v[82:83], -v[96:97]
	s_delay_alu instid0(VALU_DEP_1) | instskip(NEXT) | instid1(VALU_DEP_3)
	v_add_f64_e32 v[82:83], v[84:85], v[82:83]
	v_add_f64_e64 v[84:85], v[86:87], -v[88:89]
	s_delay_alu instid0(VALU_DEP_2) | instskip(NEXT) | instid1(VALU_DEP_2)
	v_add_f64_e32 v[82:83], v[86:87], v[82:83]
	v_add_f64_e64 v[86:87], v[86:87], -v[84:85]
	v_add_f64_e64 v[80:81], v[80:81], -v[84:85]
	s_delay_alu instid0(VALU_DEP_3) | instskip(NEXT) | instid1(VALU_DEP_3)
	v_add_f64_e32 v[92:93], v[90:91], v[82:83]
	v_add_f64_e64 v[84:85], v[88:89], -v[86:87]
	s_delay_alu instid0(VALU_DEP_2) | instskip(NEXT) | instid1(VALU_DEP_2)
	v_add_f64_e64 v[86:87], v[92:93], -v[90:91]
	v_add_f64_e32 v[80:81], v[80:81], v[84:85]
	s_delay_alu instid0(VALU_DEP_2) | instskip(NEXT) | instid1(VALU_DEP_1)
	v_add_f64_e64 v[82:83], v[82:83], -v[86:87]
	v_add_f64_e32 v[80:81], v[80:81], v[82:83]
	s_delay_alu instid0(VALU_DEP_1) | instskip(NEXT) | instid1(VALU_DEP_1)
	v_add_f64_e32 v[80:81], v[92:93], v[80:81]
	v_dual_cndmask_b32 v62, v80, v78, vcc_lo :: v_dual_cndmask_b32 v66, v81, v79, vcc_lo
	v_cmp_neq_f64_e32 vcc_lo, 0, v[78:79]
	v_fract_f64_e32 v[78:79], v[54:55]
	s_delay_alu instid0(VALU_DEP_3) | instskip(NEXT) | instid1(VALU_DEP_4)
	v_cndmask_b32_e32 v81, 0xfff00000, v66, vcc_lo
	v_cndmask_b32_e32 v80, 0, v62, vcc_lo
	s_delay_alu instid0(VALU_DEP_3) | instskip(NEXT) | instid1(VALU_DEP_2)
	v_cmp_eq_f64_e32 vcc_lo, 0, v[78:79]
	v_add_f64_e64 v[76:77], v[80:81], -v[76:77]
	s_or_b32 s4, s4, vcc_lo
	s_delay_alu instid0(VALU_DEP_1) | instid1(SALU_CYCLE_1)
	v_cndmask_b32_e64 v77, v77, 0x7ff00000, s4
	s_delay_alu instid0(VALU_DEP_2)
	v_cndmask_b32_e64 v76, v76, 0, s4
.LBB8_292:                              ;   in Loop: Header=BB8_145 Depth=1
	s_or_b32 exec_lo, exec_lo, s6
	s_delay_alu instid0(SALU_CYCLE_1) | instskip(SKIP_1) | instid1(SALU_CYCLE_1)
	s_or_b32 exec_lo, exec_lo, s5
	s_and_saveexec_b32 s4, s3
	s_xor_b32 s4, exec_lo, s4
	s_cbranch_execz .LBB8_286
.LBB8_293:                              ;   in Loop: Header=BB8_145 Depth=1
	v_cmp_gt_f64_e32 vcc_lo, 0, v[60:61]
	v_cmp_class_f64_e64 s5, v[60:61], 0x264
	v_cmp_lt_u32_e64 s3, 0x432fffff, v63
	v_add_nc_u64_e32 v[62:63], s[10:11], v[14:15]
	s_and_b32 s3, vcc_lo, s3
	v_cmp_u_f64_e32 vcc_lo, v[60:61], v[60:61]
	s_or_b32 s3, s5, s3
	s_delay_alu instid0(SALU_CYCLE_1) | instskip(SKIP_1) | instid1(VALU_DEP_1)
	v_cndmask_b32_e64 v64, v64, 0, s3
	v_cndmask_b32_e64 v65, v65, 0x7ff00000, s3
	v_dual_cndmask_b32 v61, v65, v61 :: v_dual_cndmask_b32 v60, v64, v60
	global_store_b64 v[62:63], v[60:61], off
	s_wait_xcnt 0x0
	s_or_b32 exec_lo, exec_lo, s4
	s_and_saveexec_b32 s3, s2
	s_cbranch_execz .LBB8_287
.LBB8_294:                              ;   in Loop: Header=BB8_145 Depth=1
	v_cmp_gt_f64_e32 vcc_lo, 0, v[56:57]
	v_cmp_class_f64_e64 s4, v[56:57], 0x264
	v_cmp_lt_u32_e64 s2, 0x432fffff, v67
	v_add_nc_u64_e32 v[60:61], s[10:11], v[30:31]
	s_and_b32 s2, vcc_lo, s2
	v_cmp_u_f64_e32 vcc_lo, v[56:57], v[56:57]
	s_or_b32 s2, s4, s2
	s_delay_alu instid0(SALU_CYCLE_1) | instskip(SKIP_1) | instid1(VALU_DEP_1)
	v_cndmask_b32_e64 v62, v68, 0, s2
	v_cndmask_b32_e64 v63, v69, 0x7ff00000, s2
	v_dual_cndmask_b32 v57, v63, v57 :: v_dual_cndmask_b32 v56, v62, v56
	global_store_b64 v[60:61], v[56:57], off
	s_wait_xcnt 0x0
	s_or_b32 exec_lo, exec_lo, s3
	s_and_saveexec_b32 s2, s1
	s_cbranch_execz .LBB8_288
.LBB8_295:                              ;   in Loop: Header=BB8_145 Depth=1
	v_cmp_gt_f64_e32 vcc_lo, 0, v[58:59]
	v_cmp_class_f64_e64 s3, v[58:59], 0x264
	v_cmp_lt_u32_e64 s1, 0x432fffff, v71
	v_add_nc_u64_e32 v[56:57], s[10:11], v[22:23]
	s_and_b32 s1, vcc_lo, s1
	v_cmp_u_f64_e32 vcc_lo, v[58:59], v[58:59]
	s_or_b32 s1, s3, s1
	s_delay_alu instid0(SALU_CYCLE_1) | instskip(SKIP_1) | instid1(VALU_DEP_1)
	v_cndmask_b32_e64 v60, v72, 0, s1
	v_cndmask_b32_e64 v61, v73, 0x7ff00000, s1
	v_dual_cndmask_b32 v59, v61, v59 :: v_dual_cndmask_b32 v58, v60, v58
	global_store_b64 v[56:57], v[58:59], off
	s_wait_xcnt 0x0
	s_or_b32 exec_lo, exec_lo, s2
	s_and_saveexec_b32 s1, s0
	s_cbranch_execz .LBB8_144
.LBB8_296:                              ;   in Loop: Header=BB8_145 Depth=1
	v_cmp_gt_f64_e32 vcc_lo, 0, v[54:55]
	v_cmp_class_f64_e64 s2, v[54:55], 0x264
	v_cmp_lt_u32_e64 s0, 0x432fffff, v75
	v_add_nc_u64_e32 v[56:57], s[10:11], v[26:27]
	s_and_b32 s0, vcc_lo, s0
	v_cmp_u_f64_e32 vcc_lo, v[54:55], v[54:55]
	s_or_b32 s0, s2, s0
	s_delay_alu instid0(SALU_CYCLE_1) | instskip(SKIP_1) | instid1(VALU_DEP_1)
	v_cndmask_b32_e64 v58, v76, 0, s0
	v_cndmask_b32_e64 v59, v77, 0x7ff00000, s0
	v_dual_cndmask_b32 v55, v59, v55 :: v_dual_cndmask_b32 v54, v58, v54
	global_store_b64 v[56:57], v[54:55], off
	s_branch .LBB8_144
.LBB8_297:
	s_sendmsg sendmsg(MSG_DEALLOC_VGPRS)
	s_endpgm
	.section	.rodata,"a",@progbits
	.p2align	6, 0x0
	.amdhsa_kernel _ZN2at6native12_GLOBAL__N_125multi_tensor_apply_kernelINS1_18TensorListMetadataILi2EEENS1_14UnaryOpFunctorIdLi2ELi1ELi1EEEJNS0_6LgammaIdEEEEEvT_T0_DpT1_
		.amdhsa_group_segment_fixed_size 0
		.amdhsa_private_segment_fixed_size 0
		.amdhsa_kernarg_size 3408
		.amdhsa_user_sgpr_count 2
		.amdhsa_user_sgpr_dispatch_ptr 0
		.amdhsa_user_sgpr_queue_ptr 0
		.amdhsa_user_sgpr_kernarg_segment_ptr 1
		.amdhsa_user_sgpr_dispatch_id 0
		.amdhsa_user_sgpr_kernarg_preload_length 0
		.amdhsa_user_sgpr_kernarg_preload_offset 0
		.amdhsa_user_sgpr_private_segment_size 0
		.amdhsa_wavefront_size32 1
		.amdhsa_uses_dynamic_stack 0
		.amdhsa_enable_private_segment 0
		.amdhsa_system_sgpr_workgroup_id_x 1
		.amdhsa_system_sgpr_workgroup_id_y 0
		.amdhsa_system_sgpr_workgroup_id_z 0
		.amdhsa_system_sgpr_workgroup_info 0
		.amdhsa_system_vgpr_workitem_id 0
		.amdhsa_next_free_vgpr 108
		.amdhsa_next_free_sgpr 53
		.amdhsa_named_barrier_count 0
		.amdhsa_reserve_vcc 1
		.amdhsa_float_round_mode_32 0
		.amdhsa_float_round_mode_16_64 0
		.amdhsa_float_denorm_mode_32 3
		.amdhsa_float_denorm_mode_16_64 3
		.amdhsa_fp16_overflow 0
		.amdhsa_memory_ordered 1
		.amdhsa_forward_progress 1
		.amdhsa_inst_pref_size 255
		.amdhsa_round_robin_scheduling 0
		.amdhsa_exception_fp_ieee_invalid_op 0
		.amdhsa_exception_fp_denorm_src 0
		.amdhsa_exception_fp_ieee_div_zero 0
		.amdhsa_exception_fp_ieee_overflow 0
		.amdhsa_exception_fp_ieee_underflow 0
		.amdhsa_exception_fp_ieee_inexact 0
		.amdhsa_exception_int_div_zero 0
	.end_amdhsa_kernel
	.section	.text._ZN2at6native12_GLOBAL__N_125multi_tensor_apply_kernelINS1_18TensorListMetadataILi2EEENS1_14UnaryOpFunctorIdLi2ELi1ELi1EEEJNS0_6LgammaIdEEEEEvT_T0_DpT1_,"axG",@progbits,_ZN2at6native12_GLOBAL__N_125multi_tensor_apply_kernelINS1_18TensorListMetadataILi2EEENS1_14UnaryOpFunctorIdLi2ELi1ELi1EEEJNS0_6LgammaIdEEEEEvT_T0_DpT1_,comdat
.Lfunc_end8:
	.size	_ZN2at6native12_GLOBAL__N_125multi_tensor_apply_kernelINS1_18TensorListMetadataILi2EEENS1_14UnaryOpFunctorIdLi2ELi1ELi1EEEJNS0_6LgammaIdEEEEEvT_T0_DpT1_, .Lfunc_end8-_ZN2at6native12_GLOBAL__N_125multi_tensor_apply_kernelINS1_18TensorListMetadataILi2EEENS1_14UnaryOpFunctorIdLi2ELi1ELi1EEEJNS0_6LgammaIdEEEEEvT_T0_DpT1_
                                        ; -- End function
	.set _ZN2at6native12_GLOBAL__N_125multi_tensor_apply_kernelINS1_18TensorListMetadataILi2EEENS1_14UnaryOpFunctorIdLi2ELi1ELi1EEEJNS0_6LgammaIdEEEEEvT_T0_DpT1_.num_vgpr, 108
	.set _ZN2at6native12_GLOBAL__N_125multi_tensor_apply_kernelINS1_18TensorListMetadataILi2EEENS1_14UnaryOpFunctorIdLi2ELi1ELi1EEEJNS0_6LgammaIdEEEEEvT_T0_DpT1_.num_agpr, 0
	.set _ZN2at6native12_GLOBAL__N_125multi_tensor_apply_kernelINS1_18TensorListMetadataILi2EEENS1_14UnaryOpFunctorIdLi2ELi1ELi1EEEJNS0_6LgammaIdEEEEEvT_T0_DpT1_.numbered_sgpr, 53
	.set _ZN2at6native12_GLOBAL__N_125multi_tensor_apply_kernelINS1_18TensorListMetadataILi2EEENS1_14UnaryOpFunctorIdLi2ELi1ELi1EEEJNS0_6LgammaIdEEEEEvT_T0_DpT1_.num_named_barrier, 0
	.set _ZN2at6native12_GLOBAL__N_125multi_tensor_apply_kernelINS1_18TensorListMetadataILi2EEENS1_14UnaryOpFunctorIdLi2ELi1ELi1EEEJNS0_6LgammaIdEEEEEvT_T0_DpT1_.private_seg_size, 0
	.set _ZN2at6native12_GLOBAL__N_125multi_tensor_apply_kernelINS1_18TensorListMetadataILi2EEENS1_14UnaryOpFunctorIdLi2ELi1ELi1EEEJNS0_6LgammaIdEEEEEvT_T0_DpT1_.uses_vcc, 1
	.set _ZN2at6native12_GLOBAL__N_125multi_tensor_apply_kernelINS1_18TensorListMetadataILi2EEENS1_14UnaryOpFunctorIdLi2ELi1ELi1EEEJNS0_6LgammaIdEEEEEvT_T0_DpT1_.uses_flat_scratch, 0
	.set _ZN2at6native12_GLOBAL__N_125multi_tensor_apply_kernelINS1_18TensorListMetadataILi2EEENS1_14UnaryOpFunctorIdLi2ELi1ELi1EEEJNS0_6LgammaIdEEEEEvT_T0_DpT1_.has_dyn_sized_stack, 0
	.set _ZN2at6native12_GLOBAL__N_125multi_tensor_apply_kernelINS1_18TensorListMetadataILi2EEENS1_14UnaryOpFunctorIdLi2ELi1ELi1EEEJNS0_6LgammaIdEEEEEvT_T0_DpT1_.has_recursion, 0
	.set _ZN2at6native12_GLOBAL__N_125multi_tensor_apply_kernelINS1_18TensorListMetadataILi2EEENS1_14UnaryOpFunctorIdLi2ELi1ELi1EEEJNS0_6LgammaIdEEEEEvT_T0_DpT1_.has_indirect_call, 0
	.section	.AMDGPU.csdata,"",@progbits
; Kernel info:
; codeLenInByte = 53820
; TotalNumSgprs: 55
; NumVgprs: 108
; ScratchSize: 0
; MemoryBound: 1
; FloatMode: 240
; IeeeMode: 1
; LDSByteSize: 0 bytes/workgroup (compile time only)
; SGPRBlocks: 0
; VGPRBlocks: 6
; NumSGPRsForWavesPerEU: 55
; NumVGPRsForWavesPerEU: 108
; NamedBarCnt: 0
; Occupancy: 9
; WaveLimiterHint : 0
; COMPUTE_PGM_RSRC2:SCRATCH_EN: 0
; COMPUTE_PGM_RSRC2:USER_SGPR: 2
; COMPUTE_PGM_RSRC2:TRAP_HANDLER: 0
; COMPUTE_PGM_RSRC2:TGID_X_EN: 1
; COMPUTE_PGM_RSRC2:TGID_Y_EN: 0
; COMPUTE_PGM_RSRC2:TGID_Z_EN: 0
; COMPUTE_PGM_RSRC2:TIDIG_COMP_CNT: 0
	.section	.text._ZN2at6native12_GLOBAL__N_125multi_tensor_apply_kernelINS1_18TensorListMetadataILi2EEENS1_14UnaryOpFunctorIfLi2ELi1ELi1EEEJNS0_6LgammaIfEEEEEvT_T0_DpT1_,"axG",@progbits,_ZN2at6native12_GLOBAL__N_125multi_tensor_apply_kernelINS1_18TensorListMetadataILi2EEENS1_14UnaryOpFunctorIfLi2ELi1ELi1EEEJNS0_6LgammaIfEEEEEvT_T0_DpT1_,comdat
	.globl	_ZN2at6native12_GLOBAL__N_125multi_tensor_apply_kernelINS1_18TensorListMetadataILi2EEENS1_14UnaryOpFunctorIfLi2ELi1ELi1EEEJNS0_6LgammaIfEEEEEvT_T0_DpT1_ ; -- Begin function _ZN2at6native12_GLOBAL__N_125multi_tensor_apply_kernelINS1_18TensorListMetadataILi2EEENS1_14UnaryOpFunctorIfLi2ELi1ELi1EEEJNS0_6LgammaIfEEEEEvT_T0_DpT1_
	.p2align	8
	.type	_ZN2at6native12_GLOBAL__N_125multi_tensor_apply_kernelINS1_18TensorListMetadataILi2EEENS1_14UnaryOpFunctorIfLi2ELi1ELi1EEEJNS0_6LgammaIfEEEEEvT_T0_DpT1_,@function
_ZN2at6native12_GLOBAL__N_125multi_tensor_apply_kernelINS1_18TensorListMetadataILi2EEENS1_14UnaryOpFunctorIfLi2ELi1ELi1EEEJNS0_6LgammaIfEEEEEvT_T0_DpT1_: ; @_ZN2at6native12_GLOBAL__N_125multi_tensor_apply_kernelINS1_18TensorListMetadataILi2EEENS1_14UnaryOpFunctorIfLi2ELi1ELi1EEEJNS0_6LgammaIfEEEEEvT_T0_DpT1_
; %bb.0:
	s_bfe_u32 s2, ttmp6, 0x4000c
	s_and_b32 s3, ttmp6, 15
	s_add_co_i32 s2, s2, 1
	s_getreg_b32 s4, hwreg(HW_REG_IB_STS2, 6, 4)
	s_mul_i32 s2, ttmp9, s2
	s_delay_alu instid0(SALU_CYCLE_1)
	s_add_co_i32 s3, s3, s2
	s_cmp_eq_u32 s4, 0
	s_cselect_b32 s2, ttmp9, s3
	s_mov_b32 s3, 0
	s_load_u8 s10, s[0:1], s2 offset:0x600
	s_add_nc_u64 s[4:5], s[0:1], s[2:3]
	s_mul_u64 s[6:7], s[2:3], 3
	s_delay_alu instid0(SALU_CYCLE_1)
	s_add_nc_u64 s[4:5], s[4:5], s[6:7]
	s_load_b32 s6, s[4:5], 0x740
	s_wait_kmcnt 0x0
	s_clause 0x2
	s_load_b64 s[8:9], s[0:1], s10 offset:0x0 scale_offset
	s_load_b64 s[12:13], s[0:1], s10 offset:0x200 scale_offset
	;; [unrolled: 1-line block ×3, first 2 shown]
	s_mov_b32 s5, s3
	s_ashr_i32 s7, s6, 31
	s_wait_xcnt 0x0
	s_lshl_b64 s[10:11], s[6:7], 18
	s_wait_kmcnt 0x0
	s_and_b64 s[18:19], s[12:13], 15
	s_add_nc_u64 s[16:17], s[8:9], s[10:11]
	s_and_b32 s4, s14, 3
	s_and_b32 s2, s16, 15
	s_or_b64 s[4:5], s[18:19], s[4:5]
	s_lshl_b64 s[6:7], s[6:7], 16
	s_or_b64 s[2:3], s[4:5], s[2:3]
	s_sub_nc_u64 s[14:15], s[14:15], s[6:7]
	s_cmp_eq_u64 s[2:3], 0
	s_mov_b32 s2, -1
	s_cbranch_scc0 .LBB9_157
; %bb.1:
	v_min_i64 v[6:7], 0x10000, s[14:15]
	v_dual_mov_b32 v3, 0 :: v_dual_lshlrev_b32 v2, 2, v0
	s_mov_b32 s7, exec_lo
	s_delay_alu instid0(VALU_DEP_1)
	v_cmpx_lt_i64_e64 v[2:3], v[6:7]
	s_cbranch_execz .LBB9_156
; %bb.2:
	s_load_b32 s2, s[0:1], 0xc5c
	v_dual_mov_b32 v1, v3 :: v_dual_lshlrev_b32 v2, 4, v0
	v_mov_b64_e32 v[8:9], 0x4040000040000000
	s_mov_b32 s17, 0
	s_mov_b32 s20, 0xbad5c4e8
	s_delay_alu instid0(VALU_DEP_2)
	v_mov_b64_e32 v[12:13], v[0:1]
	v_add_nc_u64_e32 v[10:11], s[10:11], v[2:3]
	s_mov_b32 s21, 0x3805ff67
	s_mov_b32 s22, 0x36f5d7bd
	s_mov_b32 s23, 0x3c5b3c5e
	s_mov_b32 s24, 0x3b52d5db
	s_mov_b32 s25, 0x39a57b6b
	s_mov_b32 s26, 0xb9a3f927
	s_mov_b32 s27, 0x39afe9f7
	s_mov_b32 s28, 0x37d383a2
	s_mov_b32 s29, 0x383c2c75
	s_mov_b32 s30, 0x3e8a8991
	s_mov_b32 s31, 0x3e75aa41
	s_mov_b32 s33, 0x3d4be544
	s_wait_kmcnt 0x0
	s_and_b32 s16, s2, 0xffff
	s_mov_b32 s19, s17
	s_lshl_b32 s18, s16, 4
	s_mov_b32 s34, s17
	s_branch .LBB9_4
.LBB9_3:                                ;   in Loop: Header=BB9_4 Depth=1
	s_or_b32 exec_lo, exec_lo, s35
	v_cmp_gt_f32_e64 s5, 0x4b000000, |v4|
	v_cmp_gt_f32_e64 s6, 0x4b000000, |v3|
	v_cmp_class_f32_e64 s35, v4, 0x264
	v_add_nc_u64_e32 v[12:13], s[16:17], v[12:13]
	s_or_b32 s3, s3, s5
	s_or_b32 s2, s2, s6
	v_cndmask_b32_e64 v15, 0x7f800000, v15, s3
	v_cmp_gt_f32_e64 s3, 0x4b000000, |v2|
	v_cmp_gt_f32_e64 s5, 0x4b000000, |v5|
	v_cndmask_b32_e64 v14, 0x7f800000, v14, s2
	v_cmp_class_f32_e64 s2, v3, 0x264
	v_cndmask_b32_e64 v15, v15, 0x7f800000, s35
	s_or_b32 vcc_lo, vcc_lo, s3
	v_cndmask_b32_e32 v1, 0x7f800000, v1, vcc_lo
	v_cmp_u_f32_e32 vcc_lo, v4, v4
	v_cndmask_b32_e64 v16, v14, 0x7f800000, s2
	v_cmp_class_f32_e64 s2, v2, 0x264
	v_cndmask_b32_e32 v4, v15, v4, vcc_lo
	s_or_b32 vcc_lo, s4, s5
	v_lshlrev_b64_e32 v[14:15], 2, v[12:13]
	v_cndmask_b32_e32 v17, 0x7f800000, v17, vcc_lo
	v_cmp_u_f32_e32 vcc_lo, v3, v3
	v_cndmask_b32_e64 v1, v1, 0x7f800000, s2
	v_cmp_class_f32_e64 s2, v5, 0x264
	v_cndmask_b32_e32 v3, v16, v3, vcc_lo
	v_cmp_u_f32_e32 vcc_lo, v2, v2
	s_delay_alu instid0(VALU_DEP_4) | instskip(NEXT) | instid1(VALU_DEP_4)
	v_cndmask_b32_e32 v2, v1, v2, vcc_lo
	v_cndmask_b32_e64 v1, v17, 0x7f800000, s2
	v_cmp_u_f32_e64 s2, v5, v5
	v_cmp_ge_i64_e32 vcc_lo, v[14:15], v[6:7]
	v_add_nc_u64_e32 v[14:15], s[12:13], v[10:11]
	v_add_nc_u64_e32 v[10:11], s[18:19], v[10:11]
	s_delay_alu instid0(VALU_DEP_4)
	v_cndmask_b32_e64 v5, v1, v5, s2
	s_or_b32 s34, vcc_lo, s34
	global_store_b128 v[14:15], v[2:5], off
	s_wait_xcnt 0x0
	s_and_not1_b32 exec_lo, exec_lo, s34
	s_cbranch_execz .LBB9_156
.LBB9_4:                                ; =>This Inner Loop Header: Depth=1
	v_add_nc_u64_e32 v[2:3], s[8:9], v[10:11]
	s_mov_b32 s3, exec_lo
                                        ; implicit-def: $vgpr1
	global_load_b128 v[2:5], v[2:3], off
	s_wait_loadcnt 0x0
	v_and_b32_e32 v14, 0x7fffffff, v2
	s_wait_xcnt 0x0
	v_cmpx_ngt_f32_e64 0x3c800000, |v2|
	s_xor_b32 s3, exec_lo, s3
	s_cbranch_execz .LBB9_34
; %bb.5:                                ;   in Loop: Header=BB9_4 Depth=1
	s_mov_b32 s4, exec_lo
                                        ; implicit-def: $vgpr1
	v_cmpx_nlt_f32_e64 |v2|, 2.0
	s_xor_b32 s4, exec_lo, s4
	s_cbranch_execz .LBB9_15
; %bb.6:                                ;   in Loop: Header=BB9_4 Depth=1
	v_cmp_ngt_f32_e64 s2, 0x41000000, |v2|
                                        ; implicit-def: $vgpr1
	s_and_saveexec_b32 s5, s2
	s_delay_alu instid0(SALU_CYCLE_1)
	s_xor_b32 s2, exec_lo, s5
	s_cbranch_execz .LBB9_12
; %bb.7:                                ;   in Loop: Header=BB9_4 Depth=1
	v_cmp_ngt_f32_e64 s5, 0x5c800000, |v2|
                                        ; implicit-def: $vgpr1
	s_and_saveexec_b32 s6, s5
	s_delay_alu instid0(SALU_CYCLE_1)
	s_xor_b32 s5, exec_lo, s6
	s_cbranch_execz .LBB9_9
; %bb.8:                                ;   in Loop: Header=BB9_4 Depth=1
	v_cmp_gt_f32_e64 s6, 0x800000, |v2|
	s_delay_alu instid0(VALU_DEP_1) | instskip(NEXT) | instid1(VALU_DEP_1)
	v_cndmask_b32_e64 v1, 0, 32, s6
	v_ldexp_f32 v1, |v2|, v1
	s_delay_alu instid0(VALU_DEP_1) | instskip(SKIP_1) | instid1(TRANS32_DEP_1)
	v_log_f32_e32 v1, v1
	v_nop
	v_mul_f32_e32 v15, 0x3f317217, v1
	v_cmp_gt_f32_e64 vcc_lo, 0x7f800000, |v1|
	s_delay_alu instid0(VALU_DEP_2) | instskip(NEXT) | instid1(VALU_DEP_1)
	v_fma_f32 v16, 0x3f317217, v1, -v15
	v_fmac_f32_e32 v16, 0x3377d1cf, v1
	s_delay_alu instid0(VALU_DEP_1) | instskip(NEXT) | instid1(VALU_DEP_1)
	v_add_f32_e32 v15, v15, v16
	v_cndmask_b32_e32 v1, v1, v15, vcc_lo
	v_cndmask_b32_e64 v15, 0, 0x41b17218, s6
	s_delay_alu instid0(VALU_DEP_1) | instskip(NEXT) | instid1(VALU_DEP_1)
	v_sub_f32_e32 v1, v1, v15
	v_fma_f32 v1, |v2|, v1, -|v2|
.LBB9_9:                                ;   in Loop: Header=BB9_4 Depth=1
	s_and_not1_saveexec_b32 s5, s5
	s_cbranch_execz .LBB9_11
; %bb.10:                               ;   in Loop: Header=BB9_4 Depth=1
	v_cmp_gt_f32_e64 s6, 0x800000, |v2|
	v_rcp_f32_e64 v15, |v2|
	s_delay_alu instid0(VALU_DEP_1) | instskip(NEXT) | instid1(VALU_DEP_1)
	v_cndmask_b32_e64 v1, 0, 32, s6
	v_ldexp_f32 v1, |v2|, v1
	s_delay_alu instid0(VALU_DEP_1) | instskip(SKIP_1) | instid1(TRANS32_DEP_1)
	v_log_f32_e32 v1, v1
	v_nop
	v_dual_mul_f32 v16, v15, v15 :: v_dual_mul_f32 v17, 0x3f317217, v1
	v_cmp_gt_f32_e64 vcc_lo, 0x7f800000, |v1|
	s_delay_alu instid0(VALU_DEP_2) | instskip(NEXT) | instid1(VALU_DEP_1)
	v_fma_f32 v19, 0x3f317217, v1, -v17
	v_fmac_f32_e32 v19, 0x3377d1cf, v1
	s_delay_alu instid0(VALU_DEP_1) | instskip(NEXT) | instid1(VALU_DEP_1)
	v_dual_fmaak_f32 v18, s20, v16, 0x3a5b3dd2 :: v_dual_add_f32 v17, v17, v19
	v_dual_fmaak_f32 v18, v16, v18, 0xba1c065c :: v_dual_cndmask_b32 v1, v1, v17
	v_cndmask_b32_e64 v17, 0, 0x41b17218, s6
	s_delay_alu instid0(VALU_DEP_1) | instskip(NEXT) | instid1(VALU_DEP_1)
	v_dual_fmaak_f32 v18, v16, v18, 0x3a500cfd :: v_dual_sub_f32 v17, v1, v17
	v_fmaak_f32 v18, v16, v18, 0xbb360b61
	s_delay_alu instid0(VALU_DEP_1) | instskip(NEXT) | instid1(VALU_DEP_1)
	v_fmaak_f32 v16, v16, v18, 0x3daaaaab
	v_dual_fmaak_f32 v1, v15, v16, 0x3ed67f1d :: v_dual_add_f32 v16, -1.0, v17
	v_add_f32_e64 v15, |v2|, -0.5
	s_delay_alu instid0(VALU_DEP_1)
	v_fmac_f32_e32 v1, v15, v16
.LBB9_11:                               ;   in Loop: Header=BB9_4 Depth=1
	s_or_b32 exec_lo, exec_lo, s5
.LBB9_12:                               ;   in Loop: Header=BB9_4 Depth=1
	s_and_not1_saveexec_b32 s5, s2
	s_cbranch_execz .LBB9_14
; %bb.13:                               ;   in Loop: Header=BB9_4 Depth=1
	v_cvt_i32_f32_e32 v1, v14
	s_delay_alu instid0(VALU_DEP_1) | instskip(SKIP_1) | instid1(VALU_DEP_2)
	v_cvt_f32_i32_e32 v15, v1
	v_cmp_lt_i32_e32 vcc_lo, 3, v1
	v_sub_f32_e64 v16, |v2|, v15
	s_delay_alu instid0(VALU_DEP_1) | instskip(NEXT) | instid1(VALU_DEP_1)
	v_pk_add_f32 v[18:19], v[16:17], v[8:9] op_sel_hi:[0,1]
	v_dual_add_f32 v15, 4.0, v16 :: v_dual_cndmask_b32 v17, 1.0, v19, vcc_lo
	v_cmp_lt_i32_e32 vcc_lo, 2, v1
	s_delay_alu instid0(VALU_DEP_3) | instskip(SKIP_1) | instid1(VALU_DEP_2)
	v_dual_add_f32 v19, 0x40a00000, v16 :: v_dual_cndmask_b32 v18, 1.0, v18
	v_cmp_lt_i32_e32 vcc_lo, 4, v1
	v_dual_mul_f32 v17, v18, v17 :: v_dual_cndmask_b32 v15, 1.0, v15, vcc_lo
	v_cmp_lt_i32_e32 vcc_lo, 5, v1
	s_delay_alu instid0(VALU_DEP_4) | instskip(SKIP_1) | instid1(VALU_DEP_2)
	v_dual_add_f32 v18, 0x40c00000, v16 :: v_dual_cndmask_b32 v19, 1.0, v19
	v_cmp_lt_i32_e32 vcc_lo, 6, v1
	v_dual_mul_f32 v15, v15, v17 :: v_dual_cndmask_b32 v1, 1.0, v18, vcc_lo
	s_delay_alu instid0(VALU_DEP_1) | instskip(NEXT) | instid1(VALU_DEP_1)
	v_dual_mul_f32 v15, v19, v15 :: v_dual_fmaak_f32 v18, s21, v16, 0x3af135b4
	v_mul_f32_e32 v1, v1, v15
	s_delay_alu instid0(VALU_DEP_1) | instskip(SKIP_1) | instid1(VALU_DEP_1)
	v_cmp_gt_f32_e32 vcc_lo, 0x800000, v1
	v_cndmask_b32_e64 v17, 0, 32, vcc_lo
	v_ldexp_f32 v1, v1, v17
	v_fmaak_f32 v17, v16, v18, 0x3cda40e4
	s_delay_alu instid0(VALU_DEP_2) | instskip(NEXT) | instid1(VALU_DEP_1)
	v_log_f32_e32 v1, v1
	v_fmaak_f32 v17, v16, v17, 0x3e15dce6
	s_delay_alu instid0(VALU_DEP_1) | instskip(NEXT) | instid1(TRANS32_DEP_1)
	v_fmaak_f32 v17, v16, v17, 0x3ea6cc7a
	v_cmp_gt_f32_e64 s2, 0x7f800000, |v1|
	s_delay_alu instid0(VALU_DEP_2) | instskip(NEXT) | instid1(VALU_DEP_1)
	v_fmaak_f32 v17, v16, v17, 0x3e5c245a
	v_fmaak_f32 v17, v16, v17, 0xbd9e233f
	s_delay_alu instid0(VALU_DEP_1) | instskip(SKIP_1) | instid1(VALU_DEP_1)
	v_mul_f32_e32 v17, v16, v17
	v_mul_f32_e32 v18, 0x3f317217, v1
	v_fma_f32 v19, 0x3f317217, v1, -v18
	s_delay_alu instid0(VALU_DEP_1) | instskip(NEXT) | instid1(VALU_DEP_1)
	v_fmac_f32_e32 v19, 0x3377d1cf, v1
	v_dual_fmaak_f32 v15, s22, v16, 0x3a4beed6 :: v_dual_add_f32 v18, v18, v19
	s_delay_alu instid0(VALU_DEP_1) | instskip(NEXT) | instid1(VALU_DEP_1)
	v_fmaak_f32 v15, v16, v15, 0x3c98bf54
	v_fmaak_f32 v15, v16, v15, 0x3e300f6e
	s_delay_alu instid0(VALU_DEP_1) | instskip(NEXT) | instid1(VALU_DEP_1)
	v_fmaak_f32 v15, v16, v15, 0x3f38d0c5
	v_fmaak_f32 v15, v16, v15, 0x3fb22d3b
	s_delay_alu instid0(VALU_DEP_1) | instskip(NEXT) | instid1(VALU_DEP_1)
	v_fma_f32 v15, v16, v15, 1.0
	v_rcp_f32_e32 v15, v15
	v_nop
	s_delay_alu instid0(TRANS32_DEP_1) | instskip(SKIP_2) | instid1(VALU_DEP_1)
	v_mul_f32_e32 v15, v17, v15
	v_cndmask_b32_e64 v1, v1, v18, s2
	v_cndmask_b32_e64 v17, 0, 0x41b17218, vcc_lo
	v_dual_fmac_f32 v15, 0.5, v16 :: v_dual_sub_f32 v1, v1, v17
	s_delay_alu instid0(VALU_DEP_1)
	v_add_f32_e32 v1, v1, v15
.LBB9_14:                               ;   in Loop: Header=BB9_4 Depth=1
	s_or_b32 exec_lo, exec_lo, s5
.LBB9_15:                               ;   in Loop: Header=BB9_4 Depth=1
	s_and_not1_saveexec_b32 s4, s4
	s_cbranch_execz .LBB9_33
; %bb.16:                               ;   in Loop: Header=BB9_4 Depth=1
	s_mov_b32 s5, exec_lo
                                        ; implicit-def: $vgpr1
                                        ; implicit-def: $vgpr16
                                        ; implicit-def: $vgpr15
	v_cmpx_ge_f32_e64 0x3f666666, |v2|
	s_xor_b32 s5, exec_lo, s5
	s_cbranch_execz .LBB9_18
; %bb.17:                               ;   in Loop: Header=BB9_4 Depth=1
	v_cmp_gt_f32_e64 s2, 0x800000, |v2|
	v_sub_f32_e64 v17, 1.0, |v2|
	v_cmp_gt_f32_e64 vcc_lo, 0x3f3b4a23, |v2|
	s_delay_alu instid0(VALU_DEP_3) | instskip(SKIP_1) | instid1(VALU_DEP_2)
	v_cndmask_b32_e64 v1, 0, 32, s2
	v_cndmask_b32_e64 v18, 0, 0x41b17218, s2
	v_ldexp_f32 v1, |v2|, v1
	s_delay_alu instid0(VALU_DEP_1) | instskip(SKIP_1) | instid1(TRANS32_DEP_1)
	v_log_f32_e32 v1, v1
	v_nop
	v_mul_f32_e32 v15, 0x3f317217, v1
	v_cmp_gt_f32_e64 s2, 0x7f800000, |v1|
	s_delay_alu instid0(VALU_DEP_2) | instskip(NEXT) | instid1(VALU_DEP_1)
	v_fma_f32 v16, 0x3f317217, v1, -v15
	v_fmac_f32_e32 v16, 0x3377d1cf, v1
	s_delay_alu instid0(VALU_DEP_1) | instskip(SKIP_1) | instid1(VALU_DEP_2)
	v_add_f32_e32 v15, v15, v16
	v_add_f32_e64 v16, 0xbeec5b0c, |v2|
	v_cndmask_b32_e64 v1, v1, v15, s2
	s_delay_alu instid0(VALU_DEP_2) | instskip(SKIP_2) | instid1(VALU_DEP_4)
	v_cndmask_b32_e32 v15, v17, v16, vcc_lo
	v_cndmask_b32_e64 v16, 0, 1, vcc_lo
	v_cmp_gt_f32_e64 s2, 0x3e6d3309, |v2|
	v_sub_f32_e32 v1, v1, v18
	s_delay_alu instid0(VALU_DEP_2) | instskip(NEXT) | instid1(VALU_DEP_4)
	v_cndmask_b32_e64 v15, v15, |v2|, s2
	v_cndmask_b32_e64 v16, v16, 2, s2
	s_delay_alu instid0(VALU_DEP_3)
	v_xor_b32_e32 v1, 0x80000000, v1
.LBB9_18:                               ;   in Loop: Header=BB9_4 Depth=1
	s_and_not1_saveexec_b32 s2, s5
	s_cbranch_execz .LBB9_20
; %bb.19:                               ;   in Loop: Header=BB9_4 Depth=1
	v_sub_f32_e64 v1, 2.0, |v2|
	v_add_f32_e64 v15, 0xbfbb16c3, |v2|
	v_cmp_gt_f32_e64 vcc_lo, 0x3fdda512, |v2|
	v_add_f32_e64 v16, |v2|, -1.0
	s_delay_alu instid0(VALU_DEP_3) | instskip(NEXT) | instid1(VALU_DEP_3)
	v_cndmask_b32_e32 v15, v1, v15, vcc_lo
	v_cndmask_b32_e64 v1, v1, 1.0, vcc_lo
	v_cmp_gt_f32_e64 vcc_lo, 0x3f9d70a4, |v2|
	s_delay_alu instid0(VALU_DEP_2) | instskip(NEXT) | instid1(VALU_DEP_4)
	v_cvt_i32_f32_e32 v1, v1
	v_cndmask_b32_e32 v15, v15, v16, vcc_lo
	s_delay_alu instid0(VALU_DEP_2)
	v_cndmask_b32_e64 v16, v1, 2, vcc_lo
	v_mov_b32_e32 v1, 0
.LBB9_20:                               ;   in Loop: Header=BB9_4 Depth=1
	s_or_b32 exec_lo, exec_lo, s2
	s_delay_alu instid0(SALU_CYCLE_1) | instskip(NEXT) | instid1(VALU_DEP_2)
	s_mov_b32 s2, exec_lo
	v_cmpx_lt_i32_e32 0, v16
	s_xor_b32 s2, exec_lo, s2
	s_cbranch_execz .LBB9_28
; %bb.21:                               ;   in Loop: Header=BB9_4 Depth=1
	s_mov_b32 s5, exec_lo
	v_cmpx_lt_i32_e32 1, v16
	s_xor_b32 s5, exec_lo, s5
	s_cbranch_execz .LBB9_25
; %bb.22:                               ;   in Loop: Header=BB9_4 Depth=1
	s_mov_b32 s6, exec_lo
	v_cmpx_eq_u32_e32 2, v16
	s_cbranch_execz .LBB9_24
; %bb.23:                               ;   in Loop: Header=BB9_4 Depth=1
	v_fmaak_f32 v17, s23, v15, 0x3e6a7578
	s_delay_alu instid0(VALU_DEP_1) | instskip(NEXT) | instid1(VALU_DEP_1)
	v_fmaak_f32 v17, v15, v17, 0x3f7a4bb2
	v_fmaak_f32 v17, v15, v17, 0x3fba3ae7
	s_delay_alu instid0(VALU_DEP_1) | instskip(NEXT) | instid1(VALU_DEP_1)
	v_fmaak_f32 v17, v15, v17, 0x3f2200f4
	v_fmaak_f32 v17, v15, v17, 0xbd9e233f
	s_delay_alu instid0(VALU_DEP_1) | instskip(NEXT) | instid1(VALU_DEP_1)
	v_dual_fmaak_f32 v16, s24, v15, 0x3dd572af :: v_dual_mul_f32 v17, v15, v17
	v_fmaak_f32 v16, v15, v16, 0x3f44efdf
	s_delay_alu instid0(VALU_DEP_1) | instskip(NEXT) | instid1(VALU_DEP_1)
	v_fmaak_f32 v16, v15, v16, 0x4008392d
	v_fmaak_f32 v16, v15, v16, 0x401d2ebe
	s_delay_alu instid0(VALU_DEP_1) | instskip(NEXT) | instid1(VALU_DEP_1)
	v_fma_f32 v16, v15, v16, 1.0
	v_rcp_f32_e32 v16, v16
	v_nop
	s_delay_alu instid0(TRANS32_DEP_1) | instskip(NEXT) | instid1(VALU_DEP_1)
	v_mul_f32_e32 v16, v17, v16
	v_fmac_f32_e32 v16, -0.5, v15
	s_delay_alu instid0(VALU_DEP_1)
	v_add_f32_e32 v1, v1, v16
.LBB9_24:                               ;   in Loop: Header=BB9_4 Depth=1
	s_or_b32 exec_lo, exec_lo, s6
                                        ; implicit-def: $vgpr15
.LBB9_25:                               ;   in Loop: Header=BB9_4 Depth=1
	s_and_not1_saveexec_b32 s5, s5
	s_cbranch_execz .LBB9_27
; %bb.26:                               ;   in Loop: Header=BB9_4 Depth=1
	v_mul_f32_e32 v16, v15, v15
	s_delay_alu instid0(VALU_DEP_1) | instskip(NEXT) | instid1(VALU_DEP_1)
	v_mul_f32_e32 v17, v15, v16
	v_fmaak_f32 v18, s26, v17, 0x3a66f867
	v_fmaak_f32 v19, s27, v17, 0xba0d3085
	s_delay_alu instid0(VALU_DEP_2) | instskip(NEXT) | instid1(VALU_DEP_2)
	v_fmaak_f32 v18, v17, v18, 0xbb7177fe
	v_fmaak_f32 v19, v17, v19, 0x3b141699
	s_delay_alu instid0(VALU_DEP_2) | instskip(NEXT) | instid1(VALU_DEP_2)
	;; [unrolled: 3-line block ×3, first 2 shown]
	v_fmaak_f32 v18, v17, v18, 0xbe17213c
	v_fmaak_f32 v19, v17, v19, 0x3d845a15
	s_delay_alu instid0(VALU_DEP_1) | instskip(SKIP_1) | instid1(VALU_DEP_1)
	v_fmac_f32_e32 v18, v15, v19
	v_fmaak_f32 v20, s25, v17, 0xbab7f476
	v_fmaak_f32 v20, v17, v20, 0x3bc7e707
	s_delay_alu instid0(VALU_DEP_1) | instskip(NEXT) | instid1(VALU_DEP_1)
	v_fmaak_f32 v20, v17, v20, 0xbd064d47
	v_fmaak_f32 v15, v17, v20, 0x3ef7b95e
	v_fma_f32 v17, v17, -v18, 0xa2863e55
	s_delay_alu instid0(VALU_DEP_1) | instskip(NEXT) | instid1(VALU_DEP_1)
	v_fma_f32 v15, v16, v15, -v17
	v_add_f32_e32 v15, 0xbdf8cdce, v15
	s_delay_alu instid0(VALU_DEP_1)
	v_add_f32_e32 v1, v1, v15
.LBB9_27:                               ;   in Loop: Header=BB9_4 Depth=1
	s_or_b32 exec_lo, exec_lo, s5
                                        ; implicit-def: $vgpr16
                                        ; implicit-def: $vgpr15
.LBB9_28:                               ;   in Loop: Header=BB9_4 Depth=1
	s_and_not1_saveexec_b32 s2, s2
	s_cbranch_execz .LBB9_32
; %bb.29:                               ;   in Loop: Header=BB9_4 Depth=1
	s_mov_b32 s5, exec_lo
	v_cmpx_eq_u32_e32 0, v16
	s_cbranch_execz .LBB9_31
; %bb.30:                               ;   in Loop: Header=BB9_4 Depth=1
	v_mul_f32_e32 v16, v15, v15
	s_delay_alu instid0(VALU_DEP_1) | instskip(NEXT) | instid1(VALU_DEP_1)
	v_fmaak_f32 v18, s28, v16, 0x39679767
	v_fmaak_f32 v18, v16, v18, 0x3a9c54a1
	s_delay_alu instid0(VALU_DEP_1) | instskip(NEXT) | instid1(VALU_DEP_1)
	v_fmaak_f32 v18, v16, v18, 0x3bf2027e
	v_fmaak_f32 v18, v16, v18, 0x3d89f001
	s_delay_alu instid0(VALU_DEP_1) | instskip(SKIP_1) | instid1(VALU_DEP_1)
	v_fmaak_f32 v18, v16, v18, 0x3d9e233f
	v_fmaak_f32 v17, s29, v16, 0x38e28445
	;; [unrolled: 1-line block ×3, first 2 shown]
	s_delay_alu instid0(VALU_DEP_1) | instskip(NEXT) | instid1(VALU_DEP_1)
	v_fmaak_f32 v17, v16, v17, 0x3b3d6ec6
	v_fmaak_f32 v17, v16, v17, 0x3ca89915
	s_delay_alu instid0(VALU_DEP_1) | instskip(NEXT) | instid1(VALU_DEP_1)
	v_fmaak_f32 v17, v16, v17, 0x3ea51a66
	v_mul_f32_e32 v16, v16, v17
	s_delay_alu instid0(VALU_DEP_1) | instskip(NEXT) | instid1(VALU_DEP_1)
	v_fmac_f32_e32 v16, v15, v18
	v_fmac_f32_e32 v16, -0.5, v15
	s_delay_alu instid0(VALU_DEP_1)
	v_add_f32_e32 v1, v1, v16
.LBB9_31:                               ;   in Loop: Header=BB9_4 Depth=1
	s_or_b32 exec_lo, exec_lo, s5
.LBB9_32:                               ;   in Loop: Header=BB9_4 Depth=1
	s_delay_alu instid0(SALU_CYCLE_1)
	s_or_b32 exec_lo, exec_lo, s2
.LBB9_33:                               ;   in Loop: Header=BB9_4 Depth=1
	s_delay_alu instid0(SALU_CYCLE_1)
	s_or_b32 exec_lo, exec_lo, s4
.LBB9_34:                               ;   in Loop: Header=BB9_4 Depth=1
	s_and_not1_saveexec_b32 s2, s3
	s_cbranch_execz .LBB9_36
; %bb.35:                               ;   in Loop: Header=BB9_4 Depth=1
	v_cmp_gt_f32_e64 s3, 0x800000, |v2|
	v_fma_f32 v17, |v2|, s30, 0xbecd26ab
	s_delay_alu instid0(VALU_DEP_2) | instskip(NEXT) | instid1(VALU_DEP_1)
	v_cndmask_b32_e64 v1, 0, 32, s3
	v_ldexp_f32 v1, |v2|, v1
	s_delay_alu instid0(VALU_DEP_1) | instskip(SKIP_1) | instid1(TRANS32_DEP_1)
	v_log_f32_e32 v1, v1
	v_nop
	v_mul_f32_e32 v15, 0x3f317217, v1
	v_cmp_gt_f32_e64 vcc_lo, 0x7f800000, |v1|
	s_delay_alu instid0(VALU_DEP_2) | instskip(NEXT) | instid1(VALU_DEP_1)
	v_fma_f32 v16, 0x3f317217, v1, -v15
	v_fmac_f32_e32 v16, 0x3377d1cf, v1
	s_delay_alu instid0(VALU_DEP_1) | instskip(SKIP_1) | instid1(VALU_DEP_2)
	v_add_f32_e32 v15, v15, v16
	v_fma_f32 v16, |v2|, v17, 0x3f528d33
	v_cndmask_b32_e32 v1, v1, v15, vcc_lo
	v_cndmask_b32_e64 v15, 0, 0x41b17218, s3
	s_delay_alu instid0(VALU_DEP_3) | instskip(NEXT) | instid1(VALU_DEP_2)
	v_fma_f32 v16, |v2|, v16, 0xbf13c468
	v_sub_f32_e32 v1, v1, v15
	s_delay_alu instid0(VALU_DEP_1)
	v_fma_f32 v1, |v2|, v16, -v1
.LBB9_36:                               ;   in Loop: Header=BB9_4 Depth=1
	s_or_b32 exec_lo, exec_lo, s2
	v_cmp_le_f32_e32 vcc_lo, 0, v2
	s_mov_b32 s3, exec_lo
	v_cmpx_nle_f32_e32 0, v2
	s_xor_b32 s4, exec_lo, s3
	s_cbranch_execz .LBB9_40
; %bb.37:                               ;   in Loop: Header=BB9_4 Depth=1
	v_cmp_gt_f32_e64 s2, 0x4b000000, |v2|
	v_cmp_lt_f32_e64 s3, 0x35000000, |v2|
	s_and_b32 s2, s2, s3
	s_delay_alu instid0(SALU_CYCLE_1)
	s_and_saveexec_b32 s5, s2
	s_cbranch_execz .LBB9_39
; %bb.38:                               ;   in Loop: Header=BB9_4 Depth=1
	v_mul_f32_e64 v15, |v2|, 0.5
	v_xor_b32_e32 v14, v14, v2
	s_delay_alu instid0(VALU_DEP_2) | instskip(SKIP_1) | instid1(VALU_DEP_2)
	v_floor_f32_e32 v16, v15
	v_cmp_neq_f32_e64 s2, 0x7f800000, v15
	v_sub_f32_e32 v16, v15, v16
	s_delay_alu instid0(VALU_DEP_1) | instskip(NEXT) | instid1(VALU_DEP_1)
	v_min_num_f32_e32 v16, 0x3f7fffff, v16
	v_add_f32_e32 v16, v16, v16
	s_delay_alu instid0(VALU_DEP_1) | instskip(SKIP_1) | instid1(VALU_DEP_1)
	v_cndmask_b32_e64 v15, 0, v16, s2
	v_cmp_gt_f32_e64 s2, |v2|, 1.0
	v_cndmask_b32_e64 v15, |v2|, v15, s2
	s_delay_alu instid0(VALU_DEP_1) | instskip(NEXT) | instid1(VALU_DEP_1)
	v_add_f32_e32 v16, v15, v15
	v_rndne_f32_e32 v16, v16
	s_delay_alu instid0(VALU_DEP_1) | instskip(SKIP_1) | instid1(VALU_DEP_2)
	v_fmac_f32_e32 v15, -0.5, v16
	v_cvt_i32_f32_e32 v16, v16
	v_mul_f32_e32 v17, v15, v15
	s_delay_alu instid0(VALU_DEP_1) | instskip(SKIP_1) | instid1(VALU_DEP_2)
	v_fmaak_f32 v18, s31, v17, 0xbf1f24be
	v_dual_fmaak_f32 v19, s33, v17, 0x3e642e9d :: v_dual_mul_f32 v20, v15, v17
	v_fmaak_f32 v18, v17, v18, 0x40234736
	s_delay_alu instid0(VALU_DEP_2) | instskip(NEXT) | instid1(VALU_DEP_2)
	v_fmaak_f32 v19, v17, v19, 0xbfaad1da
	v_fmaak_f32 v18, v17, v18, 0xc0a55e0e
	s_delay_alu instid0(VALU_DEP_1) | instskip(NEXT) | instid1(VALU_DEP_1)
	v_mul_f32_e32 v18, v20, v18
	v_fmac_f32_e32 v18, 0x40490fdb, v15
	v_dual_lshlrev_b32 v16, 30, v16 :: v_dual_bitop2_b32 v20, 1, v16 bitop3:0x40
	v_fmaak_f32 v19, v17, v19, 0x4081e0d3
	s_delay_alu instid0(VALU_DEP_2) | instskip(NEXT) | instid1(VALU_DEP_3)
	v_cmp_eq_u32_e64 s2, 0, v20
	v_and_b32_e32 v16, 0x80000000, v16
	s_delay_alu instid0(VALU_DEP_3) | instskip(NEXT) | instid1(VALU_DEP_1)
	v_fmaak_f32 v19, v17, v19, 0xc09de9e6
	v_fma_f32 v15, v17, v19, 1.0
	s_delay_alu instid0(VALU_DEP_1) | instskip(NEXT) | instid1(VALU_DEP_1)
	v_cndmask_b32_e64 v15, v15, v18, s2
	v_xor3_b32 v14, v14, v16, v15
	s_delay_alu instid0(VALU_DEP_1) | instskip(NEXT) | instid1(VALU_DEP_1)
	v_mul_f32_e32 v14, v2, v14
	v_frexp_mant_f32_e64 v15, |v14|
	v_frexp_exp_i32_f32_e32 v14, v14
	s_delay_alu instid0(VALU_DEP_2) | instskip(SKIP_1) | instid1(TRANS32_DEP_1)
	v_rcp_f32_e32 v15, v15
	v_nop
	v_dual_mul_f32 v15, 0x3f490fdb, v15 :: v_dual_sub_nc_u32 v14, 2, v14
	s_delay_alu instid0(VALU_DEP_1) | instskip(NEXT) | instid1(VALU_DEP_1)
	v_ldexp_f32 v14, v15, v14
	v_cmp_gt_f32_e64 s2, 0x800000, v14
	s_delay_alu instid0(VALU_DEP_1) | instskip(NEXT) | instid1(VALU_DEP_1)
	v_cndmask_b32_e64 v15, 0, 32, s2
	v_ldexp_f32 v14, v14, v15
	s_delay_alu instid0(VALU_DEP_1) | instskip(SKIP_1) | instid1(TRANS32_DEP_1)
	v_log_f32_e32 v14, v14
	v_nop
	v_mul_f32_e32 v15, 0x3f317217, v14
	v_cmp_gt_f32_e64 s3, 0x7f800000, |v14|
	s_delay_alu instid0(VALU_DEP_2) | instskip(NEXT) | instid1(VALU_DEP_1)
	v_fma_f32 v16, 0x3f317217, v14, -v15
	v_fmac_f32_e32 v16, 0x3377d1cf, v14
	s_delay_alu instid0(VALU_DEP_1) | instskip(SKIP_1) | instid1(VALU_DEP_2)
	v_add_f32_e32 v15, v15, v16
	v_floor_f32_e32 v16, v2
	v_cndmask_b32_e64 v14, v14, v15, s3
	v_cndmask_b32_e64 v15, 0, 0x41b17218, s2
	s_delay_alu instid0(VALU_DEP_3) | instskip(NEXT) | instid1(VALU_DEP_1)
	v_sub_f32_e32 v16, v2, v16
	v_dual_sub_f32 v14, v14, v15 :: v_dual_min_num_f32 v15, 0x3f7fffff, v16
	s_delay_alu instid0(VALU_DEP_1) | instskip(NEXT) | instid1(VALU_DEP_2)
	v_sub_f32_e32 v1, v14, v1
	v_cmp_neq_f32_e64 s2, 0, v15
	s_delay_alu instid0(VALU_DEP_1)
	v_cndmask_b32_e64 v1, 0x7f800000, v1, s2
.LBB9_39:                               ;   in Loop: Header=BB9_4 Depth=1
	s_or_b32 exec_lo, exec_lo, s5
.LBB9_40:                               ;   in Loop: Header=BB9_4 Depth=1
	s_and_not1_saveexec_b32 s4, s4
; %bb.41:                               ;   in Loop: Header=BB9_4 Depth=1
	v_cmp_eq_f32_e64 s2, 1.0, v2
	v_cmp_eq_f32_e64 s3, 2.0, v2
	s_or_b32 s2, s2, s3
	s_delay_alu instid0(SALU_CYCLE_1)
	v_cndmask_b32_e64 v1, v1, 0, s2
; %bb.42:                               ;   in Loop: Header=BB9_4 Depth=1
	s_or_b32 exec_lo, exec_lo, s4
	v_and_b32_e32 v15, 0x7fffffff, v3
                                        ; implicit-def: $vgpr14
	s_mov_b32 s3, exec_lo
	v_cmpx_ngt_f32_e64 0x3c800000, |v3|
	s_xor_b32 s4, exec_lo, s3
	s_cbranch_execz .LBB9_72
; %bb.43:                               ;   in Loop: Header=BB9_4 Depth=1
                                        ; implicit-def: $vgpr14
	s_mov_b32 s3, exec_lo
	v_cmpx_nlt_f32_e64 |v3|, 2.0
	s_xor_b32 s5, exec_lo, s3
	s_cbranch_execz .LBB9_53
; %bb.44:                               ;   in Loop: Header=BB9_4 Depth=1
	s_mov_b32 s3, exec_lo
                                        ; implicit-def: $vgpr14
	v_cmpx_ngt_f32_e64 0x41000000, |v3|
	s_xor_b32 s3, exec_lo, s3
	s_cbranch_execz .LBB9_50
; %bb.45:                               ;   in Loop: Header=BB9_4 Depth=1
	s_mov_b32 s6, exec_lo
                                        ; implicit-def: $vgpr14
	v_cmpx_ngt_f32_e64 0x5c800000, |v3|
	s_xor_b32 s6, exec_lo, s6
	s_cbranch_execz .LBB9_47
; %bb.46:                               ;   in Loop: Header=BB9_4 Depth=1
	v_cmp_gt_f32_e64 s35, 0x800000, |v3|
	s_delay_alu instid0(VALU_DEP_1) | instskip(NEXT) | instid1(VALU_DEP_1)
	v_cndmask_b32_e64 v14, 0, 32, s35
	v_ldexp_f32 v14, |v3|, v14
	s_delay_alu instid0(VALU_DEP_1) | instskip(SKIP_1) | instid1(TRANS32_DEP_1)
	v_log_f32_e32 v14, v14
	v_nop
	v_mul_f32_e32 v16, 0x3f317217, v14
	v_cmp_gt_f32_e64 s2, 0x7f800000, |v14|
	s_delay_alu instid0(VALU_DEP_2) | instskip(NEXT) | instid1(VALU_DEP_1)
	v_fma_f32 v17, 0x3f317217, v14, -v16
	v_fmac_f32_e32 v17, 0x3377d1cf, v14
	s_delay_alu instid0(VALU_DEP_1) | instskip(NEXT) | instid1(VALU_DEP_1)
	v_add_f32_e32 v16, v16, v17
	v_cndmask_b32_e64 v14, v14, v16, s2
	v_cndmask_b32_e64 v16, 0, 0x41b17218, s35
	s_delay_alu instid0(VALU_DEP_1) | instskip(NEXT) | instid1(VALU_DEP_1)
	v_sub_f32_e32 v14, v14, v16
	v_fma_f32 v14, |v3|, v14, -|v3|
.LBB9_47:                               ;   in Loop: Header=BB9_4 Depth=1
	s_and_not1_saveexec_b32 s6, s6
	s_cbranch_execz .LBB9_49
; %bb.48:                               ;   in Loop: Header=BB9_4 Depth=1
	v_cmp_gt_f32_e64 s35, 0x800000, |v3|
	v_rcp_f32_e64 v16, |v3|
	s_delay_alu instid0(VALU_DEP_1) | instskip(NEXT) | instid1(VALU_DEP_1)
	v_cndmask_b32_e64 v14, 0, 32, s35
	v_ldexp_f32 v14, |v3|, v14
	s_delay_alu instid0(VALU_DEP_1) | instskip(SKIP_1) | instid1(TRANS32_DEP_1)
	v_log_f32_e32 v14, v14
	v_nop
	v_dual_mul_f32 v17, v16, v16 :: v_dual_mul_f32 v18, 0x3f317217, v14
	v_cmp_gt_f32_e64 s2, 0x7f800000, |v14|
	s_delay_alu instid0(VALU_DEP_2) | instskip(NEXT) | instid1(VALU_DEP_1)
	v_fma_f32 v20, 0x3f317217, v14, -v18
	v_fmac_f32_e32 v20, 0x3377d1cf, v14
	s_delay_alu instid0(VALU_DEP_1) | instskip(NEXT) | instid1(VALU_DEP_1)
	v_dual_fmaak_f32 v19, s20, v17, 0x3a5b3dd2 :: v_dual_add_f32 v18, v18, v20
	v_cndmask_b32_e64 v14, v14, v18, s2
	v_cndmask_b32_e64 v18, 0, 0x41b17218, s35
	s_delay_alu instid0(VALU_DEP_1) | instskip(NEXT) | instid1(VALU_DEP_1)
	v_dual_fmaak_f32 v19, v17, v19, 0xba1c065c :: v_dual_sub_f32 v18, v14, v18
	v_fmaak_f32 v19, v17, v19, 0x3a500cfd
	s_delay_alu instid0(VALU_DEP_1) | instskip(NEXT) | instid1(VALU_DEP_1)
	v_fmaak_f32 v19, v17, v19, 0xbb360b61
	v_fmaak_f32 v17, v17, v19, 0x3daaaaab
	s_delay_alu instid0(VALU_DEP_1) | instskip(SKIP_2) | instid1(VALU_DEP_1)
	v_fmaak_f32 v14, v16, v17, 0x3ed67f1d
	v_add_f32_e64 v16, |v3|, -0.5
	v_add_f32_e32 v17, -1.0, v18
	v_fmac_f32_e32 v14, v16, v17
.LBB9_49:                               ;   in Loop: Header=BB9_4 Depth=1
	s_or_b32 exec_lo, exec_lo, s6
.LBB9_50:                               ;   in Loop: Header=BB9_4 Depth=1
	s_and_not1_saveexec_b32 s6, s3
	s_cbranch_execz .LBB9_52
; %bb.51:                               ;   in Loop: Header=BB9_4 Depth=1
	v_cvt_i32_f32_e32 v18, v15
	s_delay_alu instid0(VALU_DEP_1) | instskip(SKIP_1) | instid1(VALU_DEP_2)
	v_cvt_f32_i32_e32 v14, v18
	v_cmp_lt_i32_e64 s2, 3, v18
	v_sub_f32_e64 v14, |v3|, v14
	s_delay_alu instid0(VALU_DEP_1) | instskip(SKIP_1) | instid1(VALU_DEP_2)
	v_pk_add_f32 v[16:17], v[14:15], v[8:9] op_sel_hi:[0,1]
	v_dual_add_f32 v19, 4.0, v14 :: v_dual_add_f32 v20, 0x40a00000, v14
	v_cndmask_b32_e64 v17, 1.0, v17, s2
	v_cmp_lt_i32_e64 s2, 2, v18
	s_delay_alu instid0(VALU_DEP_1) | instskip(SKIP_1) | instid1(VALU_DEP_1)
	v_cndmask_b32_e64 v16, 1.0, v16, s2
	v_cmp_lt_i32_e64 s2, 4, v18
	v_dual_cndmask_b32 v19, 1.0, v19, s2 :: v_dual_mul_f32 v16, v16, v17
	v_add_f32_e32 v17, 0x40c00000, v14
	v_cmp_lt_i32_e64 s2, 5, v18
	s_delay_alu instid0(VALU_DEP_3) | instskip(NEXT) | instid1(VALU_DEP_2)
	v_dual_mul_f32 v16, v19, v16 :: v_dual_fmaak_f32 v19, s21, v14, 0x3af135b4
	v_cndmask_b32_e64 v20, 1.0, v20, s2
	v_cmp_lt_i32_e64 s2, 6, v18
	s_delay_alu instid0(VALU_DEP_1) | instskip(NEXT) | instid1(VALU_DEP_1)
	v_dual_cndmask_b32 v17, 1.0, v17, s2 :: v_dual_mul_f32 v16, v20, v16
	v_dual_mul_f32 v16, v17, v16 :: v_dual_fmaak_f32 v17, s22, v14, 0x3a4beed6
	s_delay_alu instid0(VALU_DEP_1) | instskip(NEXT) | instid1(VALU_DEP_2)
	v_fmaak_f32 v17, v14, v17, 0x3c98bf54
	v_cmp_gt_f32_e64 s2, 0x800000, v16
	s_delay_alu instid0(VALU_DEP_1) | instskip(NEXT) | instid1(VALU_DEP_1)
	v_cndmask_b32_e64 v18, 0, 32, s2
	v_ldexp_f32 v16, v16, v18
	v_fmaak_f32 v18, v14, v19, 0x3cda40e4
	s_delay_alu instid0(VALU_DEP_2) | instskip(SKIP_1) | instid1(TRANS32_DEP_1)
	v_log_f32_e32 v16, v16
	v_nop
	v_mul_f32_e32 v19, 0x3f317217, v16
	v_cmp_gt_f32_e64 s3, 0x7f800000, |v16|
	s_delay_alu instid0(VALU_DEP_2) | instskip(NEXT) | instid1(VALU_DEP_1)
	v_fma_f32 v20, 0x3f317217, v16, -v19
	v_fmac_f32_e32 v20, 0x3377d1cf, v16
	s_delay_alu instid0(VALU_DEP_1) | instskip(NEXT) | instid1(VALU_DEP_1)
	v_dual_add_f32 v19, v19, v20 :: v_dual_fmaak_f32 v18, v14, v18, 0x3e15dce6
	v_cndmask_b32_e64 v16, v16, v19, s3
	s_delay_alu instid0(VALU_DEP_2) | instskip(NEXT) | instid1(VALU_DEP_1)
	v_fmaak_f32 v18, v14, v18, 0x3ea6cc7a
	v_fmaak_f32 v18, v14, v18, 0x3e5c245a
	s_delay_alu instid0(VALU_DEP_1) | instskip(NEXT) | instid1(VALU_DEP_1)
	v_fmaak_f32 v18, v14, v18, 0xbd9e233f
	v_dual_fmaak_f32 v17, v14, v17, 0x3e300f6e :: v_dual_mul_f32 v18, v14, v18
	s_delay_alu instid0(VALU_DEP_1) | instskip(NEXT) | instid1(VALU_DEP_1)
	v_fmaak_f32 v17, v14, v17, 0x3f38d0c5
	v_fmaak_f32 v17, v14, v17, 0x3fb22d3b
	s_delay_alu instid0(VALU_DEP_1) | instskip(NEXT) | instid1(VALU_DEP_1)
	v_fma_f32 v17, v14, v17, 1.0
	v_rcp_f32_e32 v17, v17
	v_nop
	s_delay_alu instid0(TRANS32_DEP_1) | instskip(SKIP_1) | instid1(VALU_DEP_2)
	v_mul_f32_e32 v17, v18, v17
	v_cndmask_b32_e64 v18, 0, 0x41b17218, s2
	v_fmac_f32_e32 v17, 0.5, v14
	s_delay_alu instid0(VALU_DEP_2) | instskip(NEXT) | instid1(VALU_DEP_1)
	v_sub_f32_e32 v14, v16, v18
	v_add_f32_e32 v14, v14, v17
.LBB9_52:                               ;   in Loop: Header=BB9_4 Depth=1
	s_or_b32 exec_lo, exec_lo, s6
.LBB9_53:                               ;   in Loop: Header=BB9_4 Depth=1
	s_and_not1_saveexec_b32 s5, s5
	s_cbranch_execz .LBB9_71
; %bb.54:                               ;   in Loop: Header=BB9_4 Depth=1
                                        ; implicit-def: $vgpr14
                                        ; implicit-def: $vgpr17
                                        ; implicit-def: $vgpr16
	s_mov_b32 s3, exec_lo
	v_cmpx_ge_f32_e64 0x3f666666, |v3|
	s_xor_b32 s6, exec_lo, s3
	s_cbranch_execz .LBB9_56
; %bb.55:                               ;   in Loop: Header=BB9_4 Depth=1
	v_cmp_gt_f32_e64 s3, 0x800000, |v3|
	v_sub_f32_e64 v18, 1.0, |v3|
	v_cmp_gt_f32_e64 s2, 0x3f3b4a23, |v3|
	s_delay_alu instid0(VALU_DEP_3) | instskip(SKIP_1) | instid1(VALU_DEP_2)
	v_cndmask_b32_e64 v14, 0, 32, s3
	v_cndmask_b32_e64 v19, 0, 0x41b17218, s3
	v_ldexp_f32 v14, |v3|, v14
	s_delay_alu instid0(VALU_DEP_1) | instskip(SKIP_1) | instid1(TRANS32_DEP_1)
	v_log_f32_e32 v14, v14
	v_nop
	v_mul_f32_e32 v16, 0x3f317217, v14
	v_cmp_gt_f32_e64 s3, 0x7f800000, |v14|
	s_delay_alu instid0(VALU_DEP_2) | instskip(NEXT) | instid1(VALU_DEP_1)
	v_fma_f32 v17, 0x3f317217, v14, -v16
	v_fmac_f32_e32 v17, 0x3377d1cf, v14
	s_delay_alu instid0(VALU_DEP_1) | instskip(SKIP_1) | instid1(VALU_DEP_2)
	v_add_f32_e32 v16, v16, v17
	v_add_f32_e64 v17, 0xbeec5b0c, |v3|
	v_cndmask_b32_e64 v14, v14, v16, s3
	s_delay_alu instid0(VALU_DEP_2) | instskip(SKIP_2) | instid1(VALU_DEP_4)
	v_cndmask_b32_e64 v16, v18, v17, s2
	v_cndmask_b32_e64 v17, 0, 1, s2
	v_cmp_gt_f32_e64 s2, 0x3e6d3309, |v3|
	v_sub_f32_e32 v14, v14, v19
	s_delay_alu instid0(VALU_DEP_2) | instskip(NEXT) | instid1(VALU_DEP_4)
	v_cndmask_b32_e64 v16, v16, |v3|, s2
	v_cndmask_b32_e64 v17, v17, 2, s2
	s_delay_alu instid0(VALU_DEP_3)
	v_xor_b32_e32 v14, 0x80000000, v14
.LBB9_56:                               ;   in Loop: Header=BB9_4 Depth=1
	s_and_not1_saveexec_b32 s3, s6
	s_cbranch_execz .LBB9_58
; %bb.57:                               ;   in Loop: Header=BB9_4 Depth=1
	v_sub_f32_e64 v14, 2.0, |v3|
	v_add_f32_e64 v16, 0xbfbb16c3, |v3|
	v_cmp_gt_f32_e64 s2, 0x3fdda512, |v3|
	v_add_f32_e64 v17, |v3|, -1.0
	s_delay_alu instid0(VALU_DEP_2) | instskip(SKIP_2) | instid1(VALU_DEP_2)
	v_cndmask_b32_e64 v16, v14, v16, s2
	v_cndmask_b32_e64 v14, v14, 1.0, s2
	v_cmp_gt_f32_e64 s2, 0x3f9d70a4, |v3|
	v_cvt_i32_f32_e32 v14, v14
	s_delay_alu instid0(VALU_DEP_2) | instskip(NEXT) | instid1(VALU_DEP_2)
	v_cndmask_b32_e64 v16, v16, v17, s2
	v_cndmask_b32_e64 v17, v14, 2, s2
	v_mov_b32_e32 v14, 0
.LBB9_58:                               ;   in Loop: Header=BB9_4 Depth=1
	s_or_b32 exec_lo, exec_lo, s3
	s_delay_alu instid0(SALU_CYCLE_1) | instskip(NEXT) | instid1(VALU_DEP_2)
	s_mov_b32 s3, exec_lo
	v_cmpx_lt_i32_e32 0, v17
	s_xor_b32 s3, exec_lo, s3
	s_cbranch_execz .LBB9_66
; %bb.59:                               ;   in Loop: Header=BB9_4 Depth=1
	s_mov_b32 s6, exec_lo
	v_cmpx_lt_i32_e32 1, v17
	s_xor_b32 s6, exec_lo, s6
	s_cbranch_execz .LBB9_63
; %bb.60:                               ;   in Loop: Header=BB9_4 Depth=1
	s_mov_b32 s35, exec_lo
	v_cmpx_eq_u32_e32 2, v17
	s_cbranch_execz .LBB9_62
; %bb.61:                               ;   in Loop: Header=BB9_4 Depth=1
	v_fmaak_f32 v18, s23, v16, 0x3e6a7578
	s_delay_alu instid0(VALU_DEP_1) | instskip(NEXT) | instid1(VALU_DEP_1)
	v_fmaak_f32 v18, v16, v18, 0x3f7a4bb2
	v_fmaak_f32 v18, v16, v18, 0x3fba3ae7
	s_delay_alu instid0(VALU_DEP_1) | instskip(NEXT) | instid1(VALU_DEP_1)
	v_fmaak_f32 v18, v16, v18, 0x3f2200f4
	v_fmaak_f32 v18, v16, v18, 0xbd9e233f
	s_delay_alu instid0(VALU_DEP_1) | instskip(NEXT) | instid1(VALU_DEP_1)
	v_dual_fmaak_f32 v17, s24, v16, 0x3dd572af :: v_dual_mul_f32 v18, v16, v18
	v_fmaak_f32 v17, v16, v17, 0x3f44efdf
	s_delay_alu instid0(VALU_DEP_1) | instskip(NEXT) | instid1(VALU_DEP_1)
	v_fmaak_f32 v17, v16, v17, 0x4008392d
	v_fmaak_f32 v17, v16, v17, 0x401d2ebe
	s_delay_alu instid0(VALU_DEP_1) | instskip(NEXT) | instid1(VALU_DEP_1)
	v_fma_f32 v17, v16, v17, 1.0
	v_rcp_f32_e32 v17, v17
	v_nop
	s_delay_alu instid0(TRANS32_DEP_1) | instskip(NEXT) | instid1(VALU_DEP_1)
	v_mul_f32_e32 v17, v18, v17
	v_fmac_f32_e32 v17, -0.5, v16
	s_delay_alu instid0(VALU_DEP_1)
	v_add_f32_e32 v14, v14, v17
.LBB9_62:                               ;   in Loop: Header=BB9_4 Depth=1
	s_or_b32 exec_lo, exec_lo, s35
                                        ; implicit-def: $vgpr16
.LBB9_63:                               ;   in Loop: Header=BB9_4 Depth=1
	s_and_not1_saveexec_b32 s2, s6
	s_cbranch_execz .LBB9_65
; %bb.64:                               ;   in Loop: Header=BB9_4 Depth=1
	v_mul_f32_e32 v17, v16, v16
	s_delay_alu instid0(VALU_DEP_1) | instskip(NEXT) | instid1(VALU_DEP_1)
	v_mul_f32_e32 v18, v16, v17
	v_fmaak_f32 v19, s26, v18, 0x3a66f867
	v_fmaak_f32 v20, s27, v18, 0xba0d3085
	s_delay_alu instid0(VALU_DEP_2) | instskip(NEXT) | instid1(VALU_DEP_2)
	v_fmaak_f32 v19, v18, v19, 0xbb7177fe
	v_fmaak_f32 v20, v18, v20, 0x3b141699
	s_delay_alu instid0(VALU_DEP_2) | instskip(NEXT) | instid1(VALU_DEP_2)
	;; [unrolled: 3-line block ×3, first 2 shown]
	v_fmaak_f32 v19, v18, v19, 0xbe17213c
	v_fmaak_f32 v20, v18, v20, 0x3d845a15
	s_delay_alu instid0(VALU_DEP_1) | instskip(SKIP_1) | instid1(VALU_DEP_1)
	v_fmac_f32_e32 v19, v16, v20
	v_fmaak_f32 v21, s25, v18, 0xbab7f476
	v_fmaak_f32 v21, v18, v21, 0x3bc7e707
	s_delay_alu instid0(VALU_DEP_1) | instskip(NEXT) | instid1(VALU_DEP_1)
	v_fmaak_f32 v21, v18, v21, 0xbd064d47
	v_fmaak_f32 v16, v18, v21, 0x3ef7b95e
	v_fma_f32 v18, v18, -v19, 0xa2863e55
	s_delay_alu instid0(VALU_DEP_1) | instskip(NEXT) | instid1(VALU_DEP_1)
	v_fma_f32 v16, v17, v16, -v18
	v_add_f32_e32 v16, 0xbdf8cdce, v16
	s_delay_alu instid0(VALU_DEP_1)
	v_add_f32_e32 v14, v14, v16
.LBB9_65:                               ;   in Loop: Header=BB9_4 Depth=1
	s_or_b32 exec_lo, exec_lo, s2
                                        ; implicit-def: $vgpr17
                                        ; implicit-def: $vgpr16
.LBB9_66:                               ;   in Loop: Header=BB9_4 Depth=1
	s_and_not1_saveexec_b32 s3, s3
	s_cbranch_execz .LBB9_70
; %bb.67:                               ;   in Loop: Header=BB9_4 Depth=1
	s_mov_b32 s6, exec_lo
	v_cmpx_eq_u32_e32 0, v17
	s_cbranch_execz .LBB9_69
; %bb.68:                               ;   in Loop: Header=BB9_4 Depth=1
	v_mul_f32_e32 v17, v16, v16
	s_delay_alu instid0(VALU_DEP_1) | instskip(NEXT) | instid1(VALU_DEP_1)
	v_fmaak_f32 v19, s28, v17, 0x39679767
	v_fmaak_f32 v19, v17, v19, 0x3a9c54a1
	s_delay_alu instid0(VALU_DEP_1) | instskip(NEXT) | instid1(VALU_DEP_1)
	v_fmaak_f32 v19, v17, v19, 0x3bf2027e
	v_fmaak_f32 v19, v17, v19, 0x3d89f001
	s_delay_alu instid0(VALU_DEP_1) | instskip(SKIP_1) | instid1(VALU_DEP_1)
	v_fmaak_f32 v19, v17, v19, 0x3d9e233f
	v_fmaak_f32 v18, s29, v17, 0x38e28445
	;; [unrolled: 1-line block ×3, first 2 shown]
	s_delay_alu instid0(VALU_DEP_1) | instskip(NEXT) | instid1(VALU_DEP_1)
	v_fmaak_f32 v18, v17, v18, 0x3b3d6ec6
	v_fmaak_f32 v18, v17, v18, 0x3ca89915
	s_delay_alu instid0(VALU_DEP_1) | instskip(NEXT) | instid1(VALU_DEP_1)
	v_fmaak_f32 v18, v17, v18, 0x3ea51a66
	v_mul_f32_e32 v17, v17, v18
	s_delay_alu instid0(VALU_DEP_1) | instskip(NEXT) | instid1(VALU_DEP_1)
	v_fmac_f32_e32 v17, v16, v19
	v_fmac_f32_e32 v17, -0.5, v16
	s_delay_alu instid0(VALU_DEP_1)
	v_add_f32_e32 v14, v14, v17
.LBB9_69:                               ;   in Loop: Header=BB9_4 Depth=1
	s_or_b32 exec_lo, exec_lo, s6
.LBB9_70:                               ;   in Loop: Header=BB9_4 Depth=1
	s_delay_alu instid0(SALU_CYCLE_1)
	s_or_b32 exec_lo, exec_lo, s3
.LBB9_71:                               ;   in Loop: Header=BB9_4 Depth=1
	s_delay_alu instid0(SALU_CYCLE_1)
	s_or_b32 exec_lo, exec_lo, s5
.LBB9_72:                               ;   in Loop: Header=BB9_4 Depth=1
	s_and_not1_saveexec_b32 s3, s4
	s_cbranch_execz .LBB9_74
; %bb.73:                               ;   in Loop: Header=BB9_4 Depth=1
	v_cmp_gt_f32_e64 s4, 0x800000, |v3|
	v_fma_f32 v18, |v3|, s30, 0xbecd26ab
	s_delay_alu instid0(VALU_DEP_2) | instskip(NEXT) | instid1(VALU_DEP_1)
	v_cndmask_b32_e64 v14, 0, 32, s4
	v_ldexp_f32 v14, |v3|, v14
	s_delay_alu instid0(VALU_DEP_1) | instskip(SKIP_1) | instid1(TRANS32_DEP_1)
	v_log_f32_e32 v14, v14
	v_nop
	v_mul_f32_e32 v16, 0x3f317217, v14
	v_cmp_gt_f32_e64 s2, 0x7f800000, |v14|
	s_delay_alu instid0(VALU_DEP_2) | instskip(NEXT) | instid1(VALU_DEP_1)
	v_fma_f32 v17, 0x3f317217, v14, -v16
	v_fmac_f32_e32 v17, 0x3377d1cf, v14
	s_delay_alu instid0(VALU_DEP_1) | instskip(SKIP_1) | instid1(VALU_DEP_2)
	v_add_f32_e32 v16, v16, v17
	v_fma_f32 v17, |v3|, v18, 0x3f528d33
	v_cndmask_b32_e64 v14, v14, v16, s2
	v_cndmask_b32_e64 v16, 0, 0x41b17218, s4
	s_delay_alu instid0(VALU_DEP_3) | instskip(NEXT) | instid1(VALU_DEP_2)
	v_fma_f32 v17, |v3|, v17, 0xbf13c468
	v_sub_f32_e32 v14, v14, v16
	s_delay_alu instid0(VALU_DEP_1)
	v_fma_f32 v14, |v3|, v17, -v14
.LBB9_74:                               ;   in Loop: Header=BB9_4 Depth=1
	s_or_b32 exec_lo, exec_lo, s3
	v_cmp_le_f32_e64 s2, 0, v3
	s_mov_b32 s4, exec_lo
	v_cmpx_nle_f32_e32 0, v3
	s_xor_b32 s5, exec_lo, s4
	s_cbranch_execz .LBB9_78
; %bb.75:                               ;   in Loop: Header=BB9_4 Depth=1
	v_cmp_gt_f32_e64 s3, 0x4b000000, |v3|
	v_cmp_lt_f32_e64 s4, 0x35000000, |v3|
	s_and_b32 s3, s3, s4
	s_delay_alu instid0(SALU_CYCLE_1)
	s_and_saveexec_b32 s6, s3
	s_cbranch_execz .LBB9_77
; %bb.76:                               ;   in Loop: Header=BB9_4 Depth=1
	v_mul_f32_e64 v16, |v3|, 0.5
	v_xor_b32_e32 v15, v15, v3
	s_delay_alu instid0(VALU_DEP_2) | instskip(SKIP_1) | instid1(VALU_DEP_2)
	v_floor_f32_e32 v17, v16
	v_cmp_neq_f32_e64 s3, 0x7f800000, v16
	v_sub_f32_e32 v17, v16, v17
	s_delay_alu instid0(VALU_DEP_1) | instskip(NEXT) | instid1(VALU_DEP_1)
	v_min_num_f32_e32 v17, 0x3f7fffff, v17
	v_add_f32_e32 v17, v17, v17
	s_delay_alu instid0(VALU_DEP_1) | instskip(SKIP_1) | instid1(VALU_DEP_1)
	v_cndmask_b32_e64 v16, 0, v17, s3
	v_cmp_gt_f32_e64 s3, |v3|, 1.0
	v_cndmask_b32_e64 v16, |v3|, v16, s3
	s_delay_alu instid0(VALU_DEP_1) | instskip(NEXT) | instid1(VALU_DEP_1)
	v_add_f32_e32 v17, v16, v16
	v_rndne_f32_e32 v17, v17
	s_delay_alu instid0(VALU_DEP_1) | instskip(SKIP_1) | instid1(VALU_DEP_2)
	v_fmac_f32_e32 v16, -0.5, v17
	v_cvt_i32_f32_e32 v17, v17
	v_mul_f32_e32 v18, v16, v16
	s_delay_alu instid0(VALU_DEP_1) | instskip(SKIP_1) | instid1(VALU_DEP_2)
	v_fmaak_f32 v19, s31, v18, 0xbf1f24be
	v_dual_fmaak_f32 v20, s33, v18, 0x3e642e9d :: v_dual_mul_f32 v21, v16, v18
	v_fmaak_f32 v19, v18, v19, 0x40234736
	s_delay_alu instid0(VALU_DEP_2) | instskip(NEXT) | instid1(VALU_DEP_2)
	v_fmaak_f32 v20, v18, v20, 0xbfaad1da
	v_fmaak_f32 v19, v18, v19, 0xc0a55e0e
	s_delay_alu instid0(VALU_DEP_1) | instskip(NEXT) | instid1(VALU_DEP_1)
	v_mul_f32_e32 v19, v21, v19
	v_fmac_f32_e32 v19, 0x40490fdb, v16
	v_dual_lshlrev_b32 v17, 30, v17 :: v_dual_bitop2_b32 v21, 1, v17 bitop3:0x40
	v_fmaak_f32 v20, v18, v20, 0x4081e0d3
	s_delay_alu instid0(VALU_DEP_2) | instskip(NEXT) | instid1(VALU_DEP_3)
	v_cmp_eq_u32_e64 s3, 0, v21
	v_and_b32_e32 v17, 0x80000000, v17
	s_delay_alu instid0(VALU_DEP_3) | instskip(NEXT) | instid1(VALU_DEP_1)
	v_fmaak_f32 v20, v18, v20, 0xc09de9e6
	v_fma_f32 v16, v18, v20, 1.0
	s_delay_alu instid0(VALU_DEP_1) | instskip(NEXT) | instid1(VALU_DEP_1)
	v_cndmask_b32_e64 v16, v16, v19, s3
	v_xor3_b32 v15, v15, v17, v16
	s_delay_alu instid0(VALU_DEP_1) | instskip(NEXT) | instid1(VALU_DEP_1)
	v_mul_f32_e32 v15, v3, v15
	v_frexp_mant_f32_e64 v16, |v15|
	v_frexp_exp_i32_f32_e32 v15, v15
	s_delay_alu instid0(VALU_DEP_2) | instskip(SKIP_1) | instid1(TRANS32_DEP_1)
	v_rcp_f32_e32 v16, v16
	v_nop
	v_dual_mul_f32 v16, 0x3f490fdb, v16 :: v_dual_sub_nc_u32 v15, 2, v15
	s_delay_alu instid0(VALU_DEP_1) | instskip(NEXT) | instid1(VALU_DEP_1)
	v_ldexp_f32 v15, v16, v15
	v_cmp_gt_f32_e64 s3, 0x800000, v15
	s_delay_alu instid0(VALU_DEP_1) | instskip(NEXT) | instid1(VALU_DEP_1)
	v_cndmask_b32_e64 v16, 0, 32, s3
	v_ldexp_f32 v15, v15, v16
	s_delay_alu instid0(VALU_DEP_1) | instskip(SKIP_1) | instid1(TRANS32_DEP_1)
	v_log_f32_e32 v15, v15
	v_nop
	v_mul_f32_e32 v16, 0x3f317217, v15
	v_cmp_gt_f32_e64 s4, 0x7f800000, |v15|
	s_delay_alu instid0(VALU_DEP_2) | instskip(NEXT) | instid1(VALU_DEP_1)
	v_fma_f32 v17, 0x3f317217, v15, -v16
	v_fmac_f32_e32 v17, 0x3377d1cf, v15
	s_delay_alu instid0(VALU_DEP_1) | instskip(SKIP_1) | instid1(VALU_DEP_2)
	v_add_f32_e32 v16, v16, v17
	v_floor_f32_e32 v17, v3
	v_cndmask_b32_e64 v15, v15, v16, s4
	v_cndmask_b32_e64 v16, 0, 0x41b17218, s3
	s_delay_alu instid0(VALU_DEP_3) | instskip(NEXT) | instid1(VALU_DEP_1)
	v_sub_f32_e32 v17, v3, v17
	v_dual_sub_f32 v15, v15, v16 :: v_dual_min_num_f32 v16, 0x3f7fffff, v17
	s_delay_alu instid0(VALU_DEP_1) | instskip(NEXT) | instid1(VALU_DEP_2)
	v_sub_f32_e32 v14, v15, v14
	v_cmp_neq_f32_e64 s3, 0, v16
	s_delay_alu instid0(VALU_DEP_1)
	v_cndmask_b32_e64 v14, 0x7f800000, v14, s3
.LBB9_77:                               ;   in Loop: Header=BB9_4 Depth=1
	s_or_b32 exec_lo, exec_lo, s6
.LBB9_78:                               ;   in Loop: Header=BB9_4 Depth=1
	s_and_not1_saveexec_b32 s5, s5
; %bb.79:                               ;   in Loop: Header=BB9_4 Depth=1
	v_cmp_eq_f32_e64 s3, 1.0, v3
	v_cmp_eq_f32_e64 s4, 2.0, v3
	s_or_b32 s3, s3, s4
	s_delay_alu instid0(SALU_CYCLE_1)
	v_cndmask_b32_e64 v14, v14, 0, s3
; %bb.80:                               ;   in Loop: Header=BB9_4 Depth=1
	s_or_b32 exec_lo, exec_lo, s5
	v_and_b32_e32 v16, 0x7fffffff, v4
                                        ; implicit-def: $vgpr15
	s_mov_b32 s4, exec_lo
	v_cmpx_ngt_f32_e64 0x3c800000, |v4|
	s_xor_b32 s5, exec_lo, s4
	s_cbranch_execz .LBB9_110
; %bb.81:                               ;   in Loop: Header=BB9_4 Depth=1
                                        ; implicit-def: $vgpr15
	s_mov_b32 s4, exec_lo
	v_cmpx_nlt_f32_e64 |v4|, 2.0
	s_xor_b32 s6, exec_lo, s4
	s_cbranch_execz .LBB9_91
; %bb.82:                               ;   in Loop: Header=BB9_4 Depth=1
	s_mov_b32 s4, exec_lo
                                        ; implicit-def: $vgpr15
	v_cmpx_ngt_f32_e64 0x41000000, |v4|
	s_xor_b32 s4, exec_lo, s4
	s_cbranch_execz .LBB9_88
; %bb.83:                               ;   in Loop: Header=BB9_4 Depth=1
	s_mov_b32 s35, exec_lo
                                        ; implicit-def: $vgpr15
	v_cmpx_ngt_f32_e64 0x5c800000, |v4|
	s_xor_b32 s35, exec_lo, s35
	s_cbranch_execz .LBB9_85
; %bb.84:                               ;   in Loop: Header=BB9_4 Depth=1
	v_cmp_gt_f32_e64 s36, 0x800000, |v4|
	s_delay_alu instid0(VALU_DEP_1) | instskip(NEXT) | instid1(VALU_DEP_1)
	v_cndmask_b32_e64 v15, 0, 32, s36
	v_ldexp_f32 v15, |v4|, v15
	s_delay_alu instid0(VALU_DEP_1) | instskip(SKIP_1) | instid1(TRANS32_DEP_1)
	v_log_f32_e32 v15, v15
	v_nop
	v_mul_f32_e32 v17, 0x3f317217, v15
	v_cmp_gt_f32_e64 s3, 0x7f800000, |v15|
	s_delay_alu instid0(VALU_DEP_2) | instskip(NEXT) | instid1(VALU_DEP_1)
	v_fma_f32 v18, 0x3f317217, v15, -v17
	v_fmac_f32_e32 v18, 0x3377d1cf, v15
	s_delay_alu instid0(VALU_DEP_1) | instskip(NEXT) | instid1(VALU_DEP_1)
	v_add_f32_e32 v17, v17, v18
	v_cndmask_b32_e64 v15, v15, v17, s3
	v_cndmask_b32_e64 v17, 0, 0x41b17218, s36
	s_delay_alu instid0(VALU_DEP_1) | instskip(NEXT) | instid1(VALU_DEP_1)
	v_sub_f32_e32 v15, v15, v17
	v_fma_f32 v15, |v4|, v15, -|v4|
.LBB9_85:                               ;   in Loop: Header=BB9_4 Depth=1
	s_and_not1_saveexec_b32 s35, s35
	s_cbranch_execz .LBB9_87
; %bb.86:                               ;   in Loop: Header=BB9_4 Depth=1
	v_cmp_gt_f32_e64 s36, 0x800000, |v4|
	v_rcp_f32_e64 v17, |v4|
	s_delay_alu instid0(VALU_DEP_1) | instskip(NEXT) | instid1(VALU_DEP_1)
	v_cndmask_b32_e64 v15, 0, 32, s36
	v_ldexp_f32 v15, |v4|, v15
	s_delay_alu instid0(VALU_DEP_1) | instskip(SKIP_1) | instid1(TRANS32_DEP_1)
	v_log_f32_e32 v15, v15
	v_nop
	v_dual_mul_f32 v18, v17, v17 :: v_dual_mul_f32 v19, 0x3f317217, v15
	v_cmp_gt_f32_e64 s3, 0x7f800000, |v15|
	s_delay_alu instid0(VALU_DEP_2) | instskip(NEXT) | instid1(VALU_DEP_1)
	v_fma_f32 v21, 0x3f317217, v15, -v19
	v_fmac_f32_e32 v21, 0x3377d1cf, v15
	s_delay_alu instid0(VALU_DEP_1) | instskip(NEXT) | instid1(VALU_DEP_1)
	v_dual_fmaak_f32 v20, s20, v18, 0x3a5b3dd2 :: v_dual_add_f32 v19, v19, v21
	v_cndmask_b32_e64 v15, v15, v19, s3
	v_cndmask_b32_e64 v19, 0, 0x41b17218, s36
	s_delay_alu instid0(VALU_DEP_1) | instskip(NEXT) | instid1(VALU_DEP_1)
	v_dual_fmaak_f32 v20, v18, v20, 0xba1c065c :: v_dual_sub_f32 v19, v15, v19
	v_fmaak_f32 v20, v18, v20, 0x3a500cfd
	s_delay_alu instid0(VALU_DEP_1) | instskip(NEXT) | instid1(VALU_DEP_1)
	v_fmaak_f32 v20, v18, v20, 0xbb360b61
	v_fmaak_f32 v18, v18, v20, 0x3daaaaab
	s_delay_alu instid0(VALU_DEP_1) | instskip(SKIP_2) | instid1(VALU_DEP_1)
	v_fmaak_f32 v15, v17, v18, 0x3ed67f1d
	v_add_f32_e64 v17, |v4|, -0.5
	v_add_f32_e32 v18, -1.0, v19
	v_fmac_f32_e32 v15, v17, v18
.LBB9_87:                               ;   in Loop: Header=BB9_4 Depth=1
	s_or_b32 exec_lo, exec_lo, s35
.LBB9_88:                               ;   in Loop: Header=BB9_4 Depth=1
	s_and_not1_saveexec_b32 s35, s4
	s_cbranch_execz .LBB9_90
; %bb.89:                               ;   in Loop: Header=BB9_4 Depth=1
	v_cvt_i32_f32_e32 v15, v16
	s_delay_alu instid0(VALU_DEP_1) | instskip(SKIP_1) | instid1(VALU_DEP_2)
	v_cvt_f32_i32_e32 v17, v15
	v_cmp_lt_i32_e64 s3, 3, v15
	v_sub_f32_e64 v18, |v4|, v17
	s_delay_alu instid0(VALU_DEP_1) | instskip(NEXT) | instid1(VALU_DEP_1)
	v_pk_add_f32 v[20:21], v[18:19], v[8:9] op_sel_hi:[0,1]
	v_dual_add_f32 v17, 4.0, v18 :: v_dual_cndmask_b32 v19, 1.0, v21, s3
	v_cmp_lt_i32_e64 s3, 2, v15
	v_add_f32_e32 v21, 0x40a00000, v18
	s_delay_alu instid0(VALU_DEP_2) | instskip(SKIP_1) | instid1(VALU_DEP_1)
	v_cndmask_b32_e64 v20, 1.0, v20, s3
	v_cmp_lt_i32_e64 s3, 4, v15
	v_dual_cndmask_b32 v17, 1.0, v17, s3 :: v_dual_mul_f32 v19, v20, v19
	v_add_f32_e32 v20, 0x40c00000, v18
	v_cmp_lt_i32_e64 s3, 5, v15
	s_delay_alu instid0(VALU_DEP_1) | instskip(SKIP_1) | instid1(VALU_DEP_1)
	v_dual_mul_f32 v17, v17, v19 :: v_dual_cndmask_b32 v21, 1.0, v21, s3
	v_cmp_lt_i32_e64 s3, 6, v15
	v_dual_mul_f32 v17, v21, v17 :: v_dual_cndmask_b32 v15, 1.0, v20, s3
	s_delay_alu instid0(VALU_DEP_1) | instskip(NEXT) | instid1(VALU_DEP_1)
	v_dual_fmaak_f32 v20, s21, v18, 0x3af135b4 :: v_dual_mul_f32 v15, v15, v17
	v_cmp_gt_f32_e64 s3, 0x800000, v15
	s_delay_alu instid0(VALU_DEP_1) | instskip(NEXT) | instid1(VALU_DEP_1)
	v_cndmask_b32_e64 v19, 0, 32, s3
	v_ldexp_f32 v15, v15, v19
	s_delay_alu instid0(VALU_DEP_4) | instskip(NEXT) | instid1(VALU_DEP_2)
	v_fmaak_f32 v19, v18, v20, 0x3cda40e4
	v_log_f32_e32 v15, v15
	s_delay_alu instid0(VALU_DEP_1) | instskip(NEXT) | instid1(VALU_DEP_1)
	v_fmaak_f32 v19, v18, v19, 0x3e15dce6
	v_fmaak_f32 v19, v18, v19, 0x3ea6cc7a
	s_delay_alu instid0(TRANS32_DEP_1) | instskip(NEXT) | instid1(VALU_DEP_2)
	v_cmp_gt_f32_e64 s4, 0x7f800000, |v15|
	v_fmaak_f32 v19, v18, v19, 0x3e5c245a
	s_delay_alu instid0(VALU_DEP_1) | instskip(NEXT) | instid1(VALU_DEP_1)
	v_fmaak_f32 v19, v18, v19, 0xbd9e233f
	v_mul_f32_e32 v19, v18, v19
	v_mul_f32_e32 v20, 0x3f317217, v15
	s_delay_alu instid0(VALU_DEP_1) | instskip(NEXT) | instid1(VALU_DEP_1)
	v_fma_f32 v21, 0x3f317217, v15, -v20
	v_fmac_f32_e32 v21, 0x3377d1cf, v15
	s_delay_alu instid0(VALU_DEP_1) | instskip(NEXT) | instid1(VALU_DEP_1)
	v_dual_fmaak_f32 v17, s22, v18, 0x3a4beed6 :: v_dual_add_f32 v20, v20, v21
	v_fmaak_f32 v17, v18, v17, 0x3c98bf54
	s_delay_alu instid0(VALU_DEP_2) | instskip(NEXT) | instid1(VALU_DEP_2)
	v_cndmask_b32_e64 v15, v15, v20, s4
	v_fmaak_f32 v17, v18, v17, 0x3e300f6e
	s_delay_alu instid0(VALU_DEP_1) | instskip(NEXT) | instid1(VALU_DEP_1)
	v_fmaak_f32 v17, v18, v17, 0x3f38d0c5
	v_fmaak_f32 v17, v18, v17, 0x3fb22d3b
	s_delay_alu instid0(VALU_DEP_1) | instskip(NEXT) | instid1(VALU_DEP_1)
	v_fma_f32 v17, v18, v17, 1.0
	v_rcp_f32_e32 v17, v17
	v_nop
	s_delay_alu instid0(TRANS32_DEP_1) | instskip(SKIP_1) | instid1(VALU_DEP_1)
	v_mul_f32_e32 v17, v19, v17
	v_cndmask_b32_e64 v19, 0, 0x41b17218, s3
	v_dual_fmac_f32 v17, 0.5, v18 :: v_dual_sub_f32 v15, v15, v19
	s_delay_alu instid0(VALU_DEP_1)
	v_add_f32_e32 v15, v15, v17
.LBB9_90:                               ;   in Loop: Header=BB9_4 Depth=1
	s_or_b32 exec_lo, exec_lo, s35
.LBB9_91:                               ;   in Loop: Header=BB9_4 Depth=1
	s_and_not1_saveexec_b32 s6, s6
	s_cbranch_execz .LBB9_109
; %bb.92:                               ;   in Loop: Header=BB9_4 Depth=1
                                        ; implicit-def: $vgpr15
                                        ; implicit-def: $vgpr18
                                        ; implicit-def: $vgpr17
	s_mov_b32 s4, exec_lo
	v_cmpx_ge_f32_e64 0x3f666666, |v4|
	s_xor_b32 s35, exec_lo, s4
	s_cbranch_execz .LBB9_94
; %bb.93:                               ;   in Loop: Header=BB9_4 Depth=1
	v_cmp_gt_f32_e64 s4, 0x800000, |v4|
	v_sub_f32_e64 v19, 1.0, |v4|
	v_cmp_gt_f32_e64 s3, 0x3f3b4a23, |v4|
	s_delay_alu instid0(VALU_DEP_3) | instskip(SKIP_1) | instid1(VALU_DEP_2)
	v_cndmask_b32_e64 v15, 0, 32, s4
	v_cndmask_b32_e64 v20, 0, 0x41b17218, s4
	v_ldexp_f32 v15, |v4|, v15
	s_delay_alu instid0(VALU_DEP_1) | instskip(SKIP_1) | instid1(TRANS32_DEP_1)
	v_log_f32_e32 v15, v15
	v_nop
	v_mul_f32_e32 v17, 0x3f317217, v15
	v_cmp_gt_f32_e64 s4, 0x7f800000, |v15|
	s_delay_alu instid0(VALU_DEP_2) | instskip(NEXT) | instid1(VALU_DEP_1)
	v_fma_f32 v18, 0x3f317217, v15, -v17
	v_fmac_f32_e32 v18, 0x3377d1cf, v15
	s_delay_alu instid0(VALU_DEP_1) | instskip(SKIP_1) | instid1(VALU_DEP_2)
	v_add_f32_e32 v17, v17, v18
	v_add_f32_e64 v18, 0xbeec5b0c, |v4|
	v_cndmask_b32_e64 v15, v15, v17, s4
	s_delay_alu instid0(VALU_DEP_2) | instskip(SKIP_2) | instid1(VALU_DEP_4)
	v_cndmask_b32_e64 v17, v19, v18, s3
	v_cndmask_b32_e64 v18, 0, 1, s3
	v_cmp_gt_f32_e64 s3, 0x3e6d3309, |v4|
	v_sub_f32_e32 v15, v15, v20
	s_delay_alu instid0(VALU_DEP_2) | instskip(NEXT) | instid1(VALU_DEP_4)
	v_cndmask_b32_e64 v17, v17, |v4|, s3
	v_cndmask_b32_e64 v18, v18, 2, s3
	s_delay_alu instid0(VALU_DEP_3)
	v_xor_b32_e32 v15, 0x80000000, v15
.LBB9_94:                               ;   in Loop: Header=BB9_4 Depth=1
	s_and_not1_saveexec_b32 s4, s35
	s_cbranch_execz .LBB9_96
; %bb.95:                               ;   in Loop: Header=BB9_4 Depth=1
	v_sub_f32_e64 v15, 2.0, |v4|
	v_add_f32_e64 v17, 0xbfbb16c3, |v4|
	v_cmp_gt_f32_e64 s3, 0x3fdda512, |v4|
	v_add_f32_e64 v18, |v4|, -1.0
	s_delay_alu instid0(VALU_DEP_2) | instskip(SKIP_2) | instid1(VALU_DEP_2)
	v_cndmask_b32_e64 v17, v15, v17, s3
	v_cndmask_b32_e64 v15, v15, 1.0, s3
	v_cmp_gt_f32_e64 s3, 0x3f9d70a4, |v4|
	v_cvt_i32_f32_e32 v15, v15
	s_delay_alu instid0(VALU_DEP_2) | instskip(NEXT) | instid1(VALU_DEP_2)
	v_cndmask_b32_e64 v17, v17, v18, s3
	v_cndmask_b32_e64 v18, v15, 2, s3
	v_mov_b32_e32 v15, 0
.LBB9_96:                               ;   in Loop: Header=BB9_4 Depth=1
	s_or_b32 exec_lo, exec_lo, s4
	s_delay_alu instid0(SALU_CYCLE_1) | instskip(NEXT) | instid1(VALU_DEP_2)
	s_mov_b32 s4, exec_lo
	v_cmpx_lt_i32_e32 0, v18
	s_xor_b32 s4, exec_lo, s4
	s_cbranch_execz .LBB9_104
; %bb.97:                               ;   in Loop: Header=BB9_4 Depth=1
	s_mov_b32 s35, exec_lo
	v_cmpx_lt_i32_e32 1, v18
	s_xor_b32 s35, exec_lo, s35
	s_cbranch_execz .LBB9_101
; %bb.98:                               ;   in Loop: Header=BB9_4 Depth=1
	s_mov_b32 s36, exec_lo
	v_cmpx_eq_u32_e32 2, v18
	s_cbranch_execz .LBB9_100
; %bb.99:                               ;   in Loop: Header=BB9_4 Depth=1
	v_fmaak_f32 v19, s23, v17, 0x3e6a7578
	s_delay_alu instid0(VALU_DEP_1) | instskip(NEXT) | instid1(VALU_DEP_1)
	v_fmaak_f32 v19, v17, v19, 0x3f7a4bb2
	v_fmaak_f32 v19, v17, v19, 0x3fba3ae7
	s_delay_alu instid0(VALU_DEP_1) | instskip(NEXT) | instid1(VALU_DEP_1)
	v_fmaak_f32 v19, v17, v19, 0x3f2200f4
	v_fmaak_f32 v19, v17, v19, 0xbd9e233f
	s_delay_alu instid0(VALU_DEP_1) | instskip(NEXT) | instid1(VALU_DEP_1)
	v_dual_fmaak_f32 v18, s24, v17, 0x3dd572af :: v_dual_mul_f32 v19, v17, v19
	v_fmaak_f32 v18, v17, v18, 0x3f44efdf
	s_delay_alu instid0(VALU_DEP_1) | instskip(NEXT) | instid1(VALU_DEP_1)
	v_fmaak_f32 v18, v17, v18, 0x4008392d
	v_fmaak_f32 v18, v17, v18, 0x401d2ebe
	s_delay_alu instid0(VALU_DEP_1) | instskip(NEXT) | instid1(VALU_DEP_1)
	v_fma_f32 v18, v17, v18, 1.0
	v_rcp_f32_e32 v18, v18
	v_nop
	s_delay_alu instid0(TRANS32_DEP_1) | instskip(NEXT) | instid1(VALU_DEP_1)
	v_mul_f32_e32 v18, v19, v18
	v_fmac_f32_e32 v18, -0.5, v17
	s_delay_alu instid0(VALU_DEP_1)
	v_add_f32_e32 v15, v15, v18
.LBB9_100:                              ;   in Loop: Header=BB9_4 Depth=1
	s_or_b32 exec_lo, exec_lo, s36
                                        ; implicit-def: $vgpr17
.LBB9_101:                              ;   in Loop: Header=BB9_4 Depth=1
	s_and_not1_saveexec_b32 s3, s35
	s_cbranch_execz .LBB9_103
; %bb.102:                              ;   in Loop: Header=BB9_4 Depth=1
	v_mul_f32_e32 v18, v17, v17
	s_delay_alu instid0(VALU_DEP_1) | instskip(NEXT) | instid1(VALU_DEP_1)
	v_mul_f32_e32 v19, v17, v18
	v_fmaak_f32 v20, s26, v19, 0x3a66f867
	v_fmaak_f32 v21, s27, v19, 0xba0d3085
	s_delay_alu instid0(VALU_DEP_2) | instskip(NEXT) | instid1(VALU_DEP_2)
	v_fmaak_f32 v20, v19, v20, 0xbb7177fe
	v_fmaak_f32 v21, v19, v21, 0x3b141699
	s_delay_alu instid0(VALU_DEP_2) | instskip(NEXT) | instid1(VALU_DEP_2)
	;; [unrolled: 3-line block ×3, first 2 shown]
	v_fmaak_f32 v20, v19, v20, 0xbe17213c
	v_fmaak_f32 v21, v19, v21, 0x3d845a15
	s_delay_alu instid0(VALU_DEP_1) | instskip(SKIP_1) | instid1(VALU_DEP_1)
	v_fmac_f32_e32 v20, v17, v21
	v_fmaak_f32 v22, s25, v19, 0xbab7f476
	v_fmaak_f32 v22, v19, v22, 0x3bc7e707
	s_delay_alu instid0(VALU_DEP_1) | instskip(NEXT) | instid1(VALU_DEP_1)
	v_fmaak_f32 v22, v19, v22, 0xbd064d47
	v_fmaak_f32 v17, v19, v22, 0x3ef7b95e
	v_fma_f32 v19, v19, -v20, 0xa2863e55
	s_delay_alu instid0(VALU_DEP_1) | instskip(NEXT) | instid1(VALU_DEP_1)
	v_fma_f32 v17, v18, v17, -v19
	v_add_f32_e32 v17, 0xbdf8cdce, v17
	s_delay_alu instid0(VALU_DEP_1)
	v_add_f32_e32 v15, v15, v17
.LBB9_103:                              ;   in Loop: Header=BB9_4 Depth=1
	s_or_b32 exec_lo, exec_lo, s3
                                        ; implicit-def: $vgpr18
                                        ; implicit-def: $vgpr17
.LBB9_104:                              ;   in Loop: Header=BB9_4 Depth=1
	s_and_not1_saveexec_b32 s4, s4
	s_cbranch_execz .LBB9_108
; %bb.105:                              ;   in Loop: Header=BB9_4 Depth=1
	s_mov_b32 s35, exec_lo
	v_cmpx_eq_u32_e32 0, v18
	s_cbranch_execz .LBB9_107
; %bb.106:                              ;   in Loop: Header=BB9_4 Depth=1
	v_mul_f32_e32 v18, v17, v17
	s_delay_alu instid0(VALU_DEP_1) | instskip(NEXT) | instid1(VALU_DEP_1)
	v_fmaak_f32 v20, s28, v18, 0x39679767
	v_fmaak_f32 v20, v18, v20, 0x3a9c54a1
	s_delay_alu instid0(VALU_DEP_1) | instskip(NEXT) | instid1(VALU_DEP_1)
	v_fmaak_f32 v20, v18, v20, 0x3bf2027e
	v_fmaak_f32 v20, v18, v20, 0x3d89f001
	s_delay_alu instid0(VALU_DEP_1) | instskip(SKIP_1) | instid1(VALU_DEP_1)
	v_fmaak_f32 v20, v18, v20, 0x3d9e233f
	v_fmaak_f32 v19, s29, v18, 0x38e28445
	;; [unrolled: 1-line block ×3, first 2 shown]
	s_delay_alu instid0(VALU_DEP_1) | instskip(NEXT) | instid1(VALU_DEP_1)
	v_fmaak_f32 v19, v18, v19, 0x3b3d6ec6
	v_fmaak_f32 v19, v18, v19, 0x3ca89915
	s_delay_alu instid0(VALU_DEP_1) | instskip(NEXT) | instid1(VALU_DEP_1)
	v_fmaak_f32 v19, v18, v19, 0x3ea51a66
	v_mul_f32_e32 v18, v18, v19
	s_delay_alu instid0(VALU_DEP_1) | instskip(NEXT) | instid1(VALU_DEP_1)
	v_fmac_f32_e32 v18, v17, v20
	v_fmac_f32_e32 v18, -0.5, v17
	s_delay_alu instid0(VALU_DEP_1)
	v_add_f32_e32 v15, v15, v18
.LBB9_107:                              ;   in Loop: Header=BB9_4 Depth=1
	s_or_b32 exec_lo, exec_lo, s35
.LBB9_108:                              ;   in Loop: Header=BB9_4 Depth=1
	s_delay_alu instid0(SALU_CYCLE_1)
	s_or_b32 exec_lo, exec_lo, s4
.LBB9_109:                              ;   in Loop: Header=BB9_4 Depth=1
	s_delay_alu instid0(SALU_CYCLE_1)
	s_or_b32 exec_lo, exec_lo, s6
.LBB9_110:                              ;   in Loop: Header=BB9_4 Depth=1
	s_and_not1_saveexec_b32 s4, s5
	s_cbranch_execz .LBB9_112
; %bb.111:                              ;   in Loop: Header=BB9_4 Depth=1
	v_cmp_gt_f32_e64 s5, 0x800000, |v4|
	v_fma_f32 v19, |v4|, s30, 0xbecd26ab
	s_delay_alu instid0(VALU_DEP_2) | instskip(NEXT) | instid1(VALU_DEP_1)
	v_cndmask_b32_e64 v15, 0, 32, s5
	v_ldexp_f32 v15, |v4|, v15
	s_delay_alu instid0(VALU_DEP_1) | instskip(SKIP_1) | instid1(TRANS32_DEP_1)
	v_log_f32_e32 v15, v15
	v_nop
	v_mul_f32_e32 v17, 0x3f317217, v15
	v_cmp_gt_f32_e64 s3, 0x7f800000, |v15|
	s_delay_alu instid0(VALU_DEP_2) | instskip(NEXT) | instid1(VALU_DEP_1)
	v_fma_f32 v18, 0x3f317217, v15, -v17
	v_fmac_f32_e32 v18, 0x3377d1cf, v15
	s_delay_alu instid0(VALU_DEP_1) | instskip(SKIP_1) | instid1(VALU_DEP_2)
	v_add_f32_e32 v17, v17, v18
	v_fma_f32 v18, |v4|, v19, 0x3f528d33
	v_cndmask_b32_e64 v15, v15, v17, s3
	v_cndmask_b32_e64 v17, 0, 0x41b17218, s5
	s_delay_alu instid0(VALU_DEP_3) | instskip(NEXT) | instid1(VALU_DEP_2)
	v_fma_f32 v18, |v4|, v18, 0xbf13c468
	v_sub_f32_e32 v15, v15, v17
	s_delay_alu instid0(VALU_DEP_1)
	v_fma_f32 v15, |v4|, v18, -v15
.LBB9_112:                              ;   in Loop: Header=BB9_4 Depth=1
	s_or_b32 exec_lo, exec_lo, s4
	v_cmp_le_f32_e64 s3, 0, v4
	s_mov_b32 s5, exec_lo
	v_cmpx_nle_f32_e32 0, v4
	s_xor_b32 s6, exec_lo, s5
	s_cbranch_execz .LBB9_116
; %bb.113:                              ;   in Loop: Header=BB9_4 Depth=1
	v_cmp_gt_f32_e64 s4, 0x4b000000, |v4|
	v_cmp_lt_f32_e64 s5, 0x35000000, |v4|
	s_and_b32 s4, s4, s5
	s_delay_alu instid0(SALU_CYCLE_1)
	s_and_saveexec_b32 s35, s4
	s_cbranch_execz .LBB9_115
; %bb.114:                              ;   in Loop: Header=BB9_4 Depth=1
	v_mul_f32_e64 v17, |v4|, 0.5
	v_xor_b32_e32 v16, v16, v4
	s_delay_alu instid0(VALU_DEP_2) | instskip(SKIP_1) | instid1(VALU_DEP_2)
	v_floor_f32_e32 v18, v17
	v_cmp_neq_f32_e64 s4, 0x7f800000, v17
	v_sub_f32_e32 v18, v17, v18
	s_delay_alu instid0(VALU_DEP_1) | instskip(NEXT) | instid1(VALU_DEP_1)
	v_min_num_f32_e32 v18, 0x3f7fffff, v18
	v_add_f32_e32 v18, v18, v18
	s_delay_alu instid0(VALU_DEP_1) | instskip(SKIP_1) | instid1(VALU_DEP_1)
	v_cndmask_b32_e64 v17, 0, v18, s4
	v_cmp_gt_f32_e64 s4, |v4|, 1.0
	v_cndmask_b32_e64 v17, |v4|, v17, s4
	s_delay_alu instid0(VALU_DEP_1) | instskip(NEXT) | instid1(VALU_DEP_1)
	v_add_f32_e32 v18, v17, v17
	v_rndne_f32_e32 v18, v18
	s_delay_alu instid0(VALU_DEP_1) | instskip(SKIP_1) | instid1(VALU_DEP_2)
	v_fmac_f32_e32 v17, -0.5, v18
	v_cvt_i32_f32_e32 v18, v18
	v_mul_f32_e32 v19, v17, v17
	s_delay_alu instid0(VALU_DEP_1) | instskip(SKIP_1) | instid1(VALU_DEP_2)
	v_fmaak_f32 v20, s31, v19, 0xbf1f24be
	v_dual_fmaak_f32 v21, s33, v19, 0x3e642e9d :: v_dual_mul_f32 v22, v17, v19
	v_fmaak_f32 v20, v19, v20, 0x40234736
	s_delay_alu instid0(VALU_DEP_2) | instskip(NEXT) | instid1(VALU_DEP_2)
	v_fmaak_f32 v21, v19, v21, 0xbfaad1da
	v_fmaak_f32 v20, v19, v20, 0xc0a55e0e
	s_delay_alu instid0(VALU_DEP_1) | instskip(NEXT) | instid1(VALU_DEP_1)
	v_mul_f32_e32 v20, v22, v20
	v_fmac_f32_e32 v20, 0x40490fdb, v17
	v_dual_lshlrev_b32 v18, 30, v18 :: v_dual_bitop2_b32 v22, 1, v18 bitop3:0x40
	v_fmaak_f32 v21, v19, v21, 0x4081e0d3
	s_delay_alu instid0(VALU_DEP_2) | instskip(NEXT) | instid1(VALU_DEP_3)
	v_cmp_eq_u32_e64 s4, 0, v22
	v_and_b32_e32 v18, 0x80000000, v18
	s_delay_alu instid0(VALU_DEP_3) | instskip(NEXT) | instid1(VALU_DEP_1)
	v_fmaak_f32 v21, v19, v21, 0xc09de9e6
	v_fma_f32 v17, v19, v21, 1.0
	s_delay_alu instid0(VALU_DEP_1) | instskip(NEXT) | instid1(VALU_DEP_1)
	v_cndmask_b32_e64 v17, v17, v20, s4
	v_xor3_b32 v16, v16, v18, v17
	s_delay_alu instid0(VALU_DEP_1) | instskip(NEXT) | instid1(VALU_DEP_1)
	v_mul_f32_e32 v16, v4, v16
	v_frexp_mant_f32_e64 v17, |v16|
	v_frexp_exp_i32_f32_e32 v16, v16
	s_delay_alu instid0(VALU_DEP_2) | instskip(SKIP_1) | instid1(TRANS32_DEP_1)
	v_rcp_f32_e32 v17, v17
	v_nop
	v_dual_mul_f32 v17, 0x3f490fdb, v17 :: v_dual_sub_nc_u32 v16, 2, v16
	s_delay_alu instid0(VALU_DEP_1) | instskip(NEXT) | instid1(VALU_DEP_1)
	v_ldexp_f32 v16, v17, v16
	v_cmp_gt_f32_e64 s4, 0x800000, v16
	s_delay_alu instid0(VALU_DEP_1) | instskip(NEXT) | instid1(VALU_DEP_1)
	v_cndmask_b32_e64 v17, 0, 32, s4
	v_ldexp_f32 v16, v16, v17
	s_delay_alu instid0(VALU_DEP_1) | instskip(SKIP_1) | instid1(TRANS32_DEP_1)
	v_log_f32_e32 v16, v16
	v_nop
	v_mul_f32_e32 v17, 0x3f317217, v16
	v_cmp_gt_f32_e64 s5, 0x7f800000, |v16|
	s_delay_alu instid0(VALU_DEP_2) | instskip(NEXT) | instid1(VALU_DEP_1)
	v_fma_f32 v18, 0x3f317217, v16, -v17
	v_fmac_f32_e32 v18, 0x3377d1cf, v16
	s_delay_alu instid0(VALU_DEP_1) | instskip(SKIP_1) | instid1(VALU_DEP_2)
	v_add_f32_e32 v17, v17, v18
	v_floor_f32_e32 v18, v4
	v_cndmask_b32_e64 v16, v16, v17, s5
	v_cndmask_b32_e64 v17, 0, 0x41b17218, s4
	s_delay_alu instid0(VALU_DEP_3) | instskip(NEXT) | instid1(VALU_DEP_1)
	v_sub_f32_e32 v18, v4, v18
	v_dual_sub_f32 v16, v16, v17 :: v_dual_min_num_f32 v17, 0x3f7fffff, v18
	s_delay_alu instid0(VALU_DEP_1) | instskip(NEXT) | instid1(VALU_DEP_2)
	v_sub_f32_e32 v15, v16, v15
	v_cmp_neq_f32_e64 s4, 0, v17
	s_delay_alu instid0(VALU_DEP_1)
	v_cndmask_b32_e64 v15, 0x7f800000, v15, s4
.LBB9_115:                              ;   in Loop: Header=BB9_4 Depth=1
	s_or_b32 exec_lo, exec_lo, s35
.LBB9_116:                              ;   in Loop: Header=BB9_4 Depth=1
	s_and_not1_saveexec_b32 s6, s6
; %bb.117:                              ;   in Loop: Header=BB9_4 Depth=1
	v_cmp_eq_f32_e64 s4, 1.0, v4
	v_cmp_eq_f32_e64 s5, 2.0, v4
	s_or_b32 s4, s4, s5
	s_delay_alu instid0(SALU_CYCLE_1)
	v_cndmask_b32_e64 v15, v15, 0, s4
; %bb.118:                              ;   in Loop: Header=BB9_4 Depth=1
	s_or_b32 exec_lo, exec_lo, s6
	v_and_b32_e32 v16, 0x7fffffff, v5
                                        ; implicit-def: $vgpr17
	s_mov_b32 s5, exec_lo
	v_cmpx_ngt_f32_e64 0x3c800000, |v5|
	s_xor_b32 s6, exec_lo, s5
	s_cbranch_execz .LBB9_148
; %bb.119:                              ;   in Loop: Header=BB9_4 Depth=1
                                        ; implicit-def: $vgpr17
	s_mov_b32 s5, exec_lo
	v_cmpx_nlt_f32_e64 |v5|, 2.0
	s_xor_b32 s35, exec_lo, s5
	s_cbranch_execz .LBB9_129
; %bb.120:                              ;   in Loop: Header=BB9_4 Depth=1
	s_mov_b32 s5, exec_lo
                                        ; implicit-def: $vgpr17
	v_cmpx_ngt_f32_e64 0x41000000, |v5|
	s_xor_b32 s5, exec_lo, s5
	s_cbranch_execz .LBB9_126
; %bb.121:                              ;   in Loop: Header=BB9_4 Depth=1
	s_mov_b32 s36, exec_lo
                                        ; implicit-def: $vgpr17
	v_cmpx_ngt_f32_e64 0x5c800000, |v5|
	s_xor_b32 s36, exec_lo, s36
	s_cbranch_execz .LBB9_123
; %bb.122:                              ;   in Loop: Header=BB9_4 Depth=1
	v_cmp_gt_f32_e64 s37, 0x800000, |v5|
	s_delay_alu instid0(VALU_DEP_1) | instskip(NEXT) | instid1(VALU_DEP_1)
	v_cndmask_b32_e64 v17, 0, 32, s37
	v_ldexp_f32 v17, |v5|, v17
	s_delay_alu instid0(VALU_DEP_1) | instskip(SKIP_1) | instid1(TRANS32_DEP_1)
	v_log_f32_e32 v17, v17
	v_nop
	v_mul_f32_e32 v18, 0x3f317217, v17
	v_cmp_gt_f32_e64 s4, 0x7f800000, |v17|
	s_delay_alu instid0(VALU_DEP_2) | instskip(NEXT) | instid1(VALU_DEP_1)
	v_fma_f32 v19, 0x3f317217, v17, -v18
	v_fmac_f32_e32 v19, 0x3377d1cf, v17
	s_delay_alu instid0(VALU_DEP_1) | instskip(NEXT) | instid1(VALU_DEP_1)
	v_add_f32_e32 v18, v18, v19
	v_cndmask_b32_e64 v17, v17, v18, s4
	v_cndmask_b32_e64 v18, 0, 0x41b17218, s37
	s_delay_alu instid0(VALU_DEP_1) | instskip(NEXT) | instid1(VALU_DEP_1)
	v_sub_f32_e32 v17, v17, v18
	v_fma_f32 v17, |v5|, v17, -|v5|
.LBB9_123:                              ;   in Loop: Header=BB9_4 Depth=1
	s_and_not1_saveexec_b32 s36, s36
	s_cbranch_execz .LBB9_125
; %bb.124:                              ;   in Loop: Header=BB9_4 Depth=1
	v_cmp_gt_f32_e64 s37, 0x800000, |v5|
	v_rcp_f32_e64 v18, |v5|
	s_delay_alu instid0(VALU_DEP_1) | instskip(NEXT) | instid1(VALU_DEP_1)
	v_cndmask_b32_e64 v17, 0, 32, s37
	v_ldexp_f32 v17, |v5|, v17
	s_delay_alu instid0(VALU_DEP_1) | instskip(SKIP_1) | instid1(TRANS32_DEP_1)
	v_log_f32_e32 v17, v17
	v_nop
	v_dual_mul_f32 v19, v18, v18 :: v_dual_mul_f32 v20, 0x3f317217, v17
	v_cmp_gt_f32_e64 s4, 0x7f800000, |v17|
	s_delay_alu instid0(VALU_DEP_2) | instskip(NEXT) | instid1(VALU_DEP_1)
	v_fma_f32 v22, 0x3f317217, v17, -v20
	v_fmac_f32_e32 v22, 0x3377d1cf, v17
	s_delay_alu instid0(VALU_DEP_1) | instskip(NEXT) | instid1(VALU_DEP_1)
	v_dual_fmaak_f32 v21, s20, v19, 0x3a5b3dd2 :: v_dual_add_f32 v20, v20, v22
	v_cndmask_b32_e64 v17, v17, v20, s4
	v_cndmask_b32_e64 v20, 0, 0x41b17218, s37
	s_delay_alu instid0(VALU_DEP_1) | instskip(NEXT) | instid1(VALU_DEP_1)
	v_dual_fmaak_f32 v21, v19, v21, 0xba1c065c :: v_dual_sub_f32 v20, v17, v20
	v_fmaak_f32 v21, v19, v21, 0x3a500cfd
	s_delay_alu instid0(VALU_DEP_1) | instskip(NEXT) | instid1(VALU_DEP_1)
	v_fmaak_f32 v21, v19, v21, 0xbb360b61
	v_fmaak_f32 v19, v19, v21, 0x3daaaaab
	s_delay_alu instid0(VALU_DEP_1) | instskip(SKIP_2) | instid1(VALU_DEP_1)
	v_fmaak_f32 v17, v18, v19, 0x3ed67f1d
	v_add_f32_e64 v18, |v5|, -0.5
	v_add_f32_e32 v19, -1.0, v20
	v_fmac_f32_e32 v17, v18, v19
.LBB9_125:                              ;   in Loop: Header=BB9_4 Depth=1
	s_or_b32 exec_lo, exec_lo, s36
.LBB9_126:                              ;   in Loop: Header=BB9_4 Depth=1
	s_and_not1_saveexec_b32 s36, s5
	s_cbranch_execz .LBB9_128
; %bb.127:                              ;   in Loop: Header=BB9_4 Depth=1
	v_cvt_i32_f32_e32 v17, v16
	s_delay_alu instid0(VALU_DEP_1) | instskip(SKIP_1) | instid1(VALU_DEP_2)
	v_cvt_f32_i32_e32 v18, v17
	v_cmp_lt_i32_e64 s4, 3, v17
	v_sub_f32_e64 v18, |v5|, v18
	s_delay_alu instid0(VALU_DEP_1) | instskip(NEXT) | instid1(VALU_DEP_1)
	v_pk_add_f32 v[20:21], v[18:19], v[8:9] op_sel_hi:[0,1]
	v_dual_add_f32 v19, 4.0, v18 :: v_dual_cndmask_b32 v21, 1.0, v21, s4
	v_cmp_lt_i32_e64 s4, 2, v17
	s_delay_alu instid0(VALU_DEP_1) | instskip(SKIP_1) | instid1(VALU_DEP_1)
	v_cndmask_b32_e64 v20, 1.0, v20, s4
	v_cmp_lt_i32_e64 s4, 4, v17
	v_dual_cndmask_b32 v19, 1.0, v19, s4 :: v_dual_mul_f32 v20, v20, v21
	v_add_f32_e32 v21, 0x40c00000, v18
	v_add_f32_e32 v22, 0x40a00000, v18
	v_cmp_lt_i32_e64 s4, 5, v17
	s_delay_alu instid0(VALU_DEP_1) | instskip(SKIP_1) | instid1(VALU_DEP_1)
	v_dual_mul_f32 v19, v19, v20 :: v_dual_cndmask_b32 v22, 1.0, v22, s4
	v_cmp_lt_i32_e64 s4, 6, v17
	v_dual_cndmask_b32 v17, 1.0, v21, s4 :: v_dual_mul_f32 v19, v22, v19
	v_fmaak_f32 v21, s21, v18, 0x3af135b4
	s_delay_alu instid0(VALU_DEP_2) | instskip(NEXT) | instid1(VALU_DEP_1)
	v_mul_f32_e32 v17, v17, v19
	v_cmp_gt_f32_e64 s4, 0x800000, v17
	s_delay_alu instid0(VALU_DEP_1) | instskip(NEXT) | instid1(VALU_DEP_1)
	v_cndmask_b32_e64 v20, 0, 32, s4
	v_ldexp_f32 v17, v17, v20
	v_fmaak_f32 v20, v18, v21, 0x3cda40e4
	s_delay_alu instid0(VALU_DEP_2) | instskip(SKIP_1) | instid1(TRANS32_DEP_1)
	v_log_f32_e32 v17, v17
	v_nop
	v_mul_f32_e32 v21, 0x3f317217, v17
	v_cmp_gt_f32_e64 s5, 0x7f800000, |v17|
	s_delay_alu instid0(VALU_DEP_2) | instskip(NEXT) | instid1(VALU_DEP_1)
	v_fma_f32 v22, 0x3f317217, v17, -v21
	v_fmac_f32_e32 v22, 0x3377d1cf, v17
	s_delay_alu instid0(VALU_DEP_1) | instskip(NEXT) | instid1(VALU_DEP_1)
	v_dual_fmaak_f32 v20, v18, v20, 0x3e15dce6 :: v_dual_add_f32 v21, v21, v22
	v_fmaak_f32 v20, v18, v20, 0x3ea6cc7a
	s_delay_alu instid0(VALU_DEP_2) | instskip(NEXT) | instid1(VALU_DEP_2)
	v_cndmask_b32_e64 v17, v17, v21, s5
	v_fmaak_f32 v20, v18, v20, 0x3e5c245a
	s_delay_alu instid0(VALU_DEP_1) | instskip(NEXT) | instid1(VALU_DEP_1)
	v_fmaak_f32 v20, v18, v20, 0xbd9e233f
	v_dual_fmaak_f32 v19, s22, v18, 0x3a4beed6 :: v_dual_mul_f32 v20, v18, v20
	s_delay_alu instid0(VALU_DEP_1) | instskip(NEXT) | instid1(VALU_DEP_1)
	v_fmaak_f32 v19, v18, v19, 0x3c98bf54
	v_fmaak_f32 v19, v18, v19, 0x3e300f6e
	s_delay_alu instid0(VALU_DEP_1) | instskip(NEXT) | instid1(VALU_DEP_1)
	v_fmaak_f32 v19, v18, v19, 0x3f38d0c5
	v_fmaak_f32 v19, v18, v19, 0x3fb22d3b
	s_delay_alu instid0(VALU_DEP_1) | instskip(NEXT) | instid1(VALU_DEP_1)
	v_fma_f32 v19, v18, v19, 1.0
	v_rcp_f32_e32 v19, v19
	v_nop
	s_delay_alu instid0(TRANS32_DEP_1) | instskip(SKIP_1) | instid1(VALU_DEP_1)
	v_mul_f32_e32 v19, v20, v19
	v_cndmask_b32_e64 v20, 0, 0x41b17218, s4
	v_dual_fmac_f32 v19, 0.5, v18 :: v_dual_sub_f32 v17, v17, v20
	s_delay_alu instid0(VALU_DEP_1)
	v_add_f32_e32 v17, v17, v19
.LBB9_128:                              ;   in Loop: Header=BB9_4 Depth=1
	s_or_b32 exec_lo, exec_lo, s36
.LBB9_129:                              ;   in Loop: Header=BB9_4 Depth=1
	s_and_not1_saveexec_b32 s35, s35
	s_cbranch_execz .LBB9_147
; %bb.130:                              ;   in Loop: Header=BB9_4 Depth=1
                                        ; implicit-def: $vgpr17
                                        ; implicit-def: $vgpr19
                                        ; implicit-def: $vgpr18
	s_mov_b32 s5, exec_lo
	v_cmpx_ge_f32_e64 0x3f666666, |v5|
	s_xor_b32 s36, exec_lo, s5
	s_cbranch_execz .LBB9_132
; %bb.131:                              ;   in Loop: Header=BB9_4 Depth=1
	v_cmp_gt_f32_e64 s5, 0x800000, |v5|
	v_sub_f32_e64 v20, 1.0, |v5|
	v_cmp_gt_f32_e64 s4, 0x3f3b4a23, |v5|
	s_delay_alu instid0(VALU_DEP_3) | instskip(SKIP_1) | instid1(VALU_DEP_2)
	v_cndmask_b32_e64 v17, 0, 32, s5
	v_cndmask_b32_e64 v21, 0, 0x41b17218, s5
	v_ldexp_f32 v17, |v5|, v17
	s_delay_alu instid0(VALU_DEP_1) | instskip(SKIP_1) | instid1(TRANS32_DEP_1)
	v_log_f32_e32 v17, v17
	v_nop
	v_mul_f32_e32 v18, 0x3f317217, v17
	v_cmp_gt_f32_e64 s5, 0x7f800000, |v17|
	s_delay_alu instid0(VALU_DEP_2) | instskip(NEXT) | instid1(VALU_DEP_1)
	v_fma_f32 v19, 0x3f317217, v17, -v18
	v_fmac_f32_e32 v19, 0x3377d1cf, v17
	s_delay_alu instid0(VALU_DEP_1) | instskip(SKIP_1) | instid1(VALU_DEP_1)
	v_add_f32_e32 v18, v18, v19
	v_add_f32_e64 v19, 0xbeec5b0c, |v5|
	v_dual_cndmask_b32 v17, v17, v18, s5 :: v_dual_cndmask_b32 v18, v20, v19, s4
	v_cndmask_b32_e64 v19, 0, 1, s4
	v_cmp_gt_f32_e64 s4, 0x3e6d3309, |v5|
	s_delay_alu instid0(VALU_DEP_3) | instskip(NEXT) | instid1(VALU_DEP_2)
	v_sub_f32_e32 v17, v17, v21
	v_cndmask_b32_e64 v18, v18, |v5|, s4
	s_delay_alu instid0(VALU_DEP_4) | instskip(NEXT) | instid1(VALU_DEP_3)
	v_cndmask_b32_e64 v19, v19, 2, s4
	v_xor_b32_e32 v17, 0x80000000, v17
.LBB9_132:                              ;   in Loop: Header=BB9_4 Depth=1
	s_and_not1_saveexec_b32 s5, s36
	s_cbranch_execz .LBB9_134
; %bb.133:                              ;   in Loop: Header=BB9_4 Depth=1
	v_sub_f32_e64 v17, 2.0, |v5|
	v_add_f32_e64 v18, 0xbfbb16c3, |v5|
	v_cmp_gt_f32_e64 s4, 0x3fdda512, |v5|
	v_add_f32_e64 v19, |v5|, -1.0
	s_delay_alu instid0(VALU_DEP_2) | instskip(SKIP_2) | instid1(VALU_DEP_2)
	v_cndmask_b32_e64 v18, v17, v18, s4
	v_cndmask_b32_e64 v17, v17, 1.0, s4
	v_cmp_gt_f32_e64 s4, 0x3f9d70a4, |v5|
	v_cvt_i32_f32_e32 v17, v17
	s_delay_alu instid0(VALU_DEP_2) | instskip(NEXT) | instid1(VALU_DEP_2)
	v_cndmask_b32_e64 v18, v18, v19, s4
	v_cndmask_b32_e64 v19, v17, 2, s4
	v_mov_b32_e32 v17, 0
.LBB9_134:                              ;   in Loop: Header=BB9_4 Depth=1
	s_or_b32 exec_lo, exec_lo, s5
	s_delay_alu instid0(SALU_CYCLE_1) | instskip(NEXT) | instid1(VALU_DEP_2)
	s_mov_b32 s5, exec_lo
	v_cmpx_lt_i32_e32 0, v19
	s_xor_b32 s5, exec_lo, s5
	s_cbranch_execz .LBB9_142
; %bb.135:                              ;   in Loop: Header=BB9_4 Depth=1
	s_mov_b32 s36, exec_lo
	v_cmpx_lt_i32_e32 1, v19
	s_xor_b32 s36, exec_lo, s36
	s_cbranch_execz .LBB9_139
; %bb.136:                              ;   in Loop: Header=BB9_4 Depth=1
	s_mov_b32 s37, exec_lo
	v_cmpx_eq_u32_e32 2, v19
	s_cbranch_execz .LBB9_138
; %bb.137:                              ;   in Loop: Header=BB9_4 Depth=1
	v_fmaak_f32 v20, s23, v18, 0x3e6a7578
	s_delay_alu instid0(VALU_DEP_1) | instskip(NEXT) | instid1(VALU_DEP_1)
	v_fmaak_f32 v20, v18, v20, 0x3f7a4bb2
	v_fmaak_f32 v20, v18, v20, 0x3fba3ae7
	s_delay_alu instid0(VALU_DEP_1) | instskip(NEXT) | instid1(VALU_DEP_1)
	v_fmaak_f32 v20, v18, v20, 0x3f2200f4
	v_fmaak_f32 v20, v18, v20, 0xbd9e233f
	s_delay_alu instid0(VALU_DEP_1) | instskip(NEXT) | instid1(VALU_DEP_1)
	v_dual_fmaak_f32 v19, s24, v18, 0x3dd572af :: v_dual_mul_f32 v20, v18, v20
	v_fmaak_f32 v19, v18, v19, 0x3f44efdf
	s_delay_alu instid0(VALU_DEP_1) | instskip(NEXT) | instid1(VALU_DEP_1)
	v_fmaak_f32 v19, v18, v19, 0x4008392d
	v_fmaak_f32 v19, v18, v19, 0x401d2ebe
	s_delay_alu instid0(VALU_DEP_1) | instskip(NEXT) | instid1(VALU_DEP_1)
	v_fma_f32 v19, v18, v19, 1.0
	v_rcp_f32_e32 v19, v19
	v_nop
	s_delay_alu instid0(TRANS32_DEP_1) | instskip(NEXT) | instid1(VALU_DEP_1)
	v_mul_f32_e32 v19, v20, v19
	v_fmac_f32_e32 v19, -0.5, v18
	s_delay_alu instid0(VALU_DEP_1)
	v_add_f32_e32 v17, v17, v19
.LBB9_138:                              ;   in Loop: Header=BB9_4 Depth=1
	s_or_b32 exec_lo, exec_lo, s37
                                        ; implicit-def: $vgpr18
.LBB9_139:                              ;   in Loop: Header=BB9_4 Depth=1
	s_and_not1_saveexec_b32 s4, s36
	s_cbranch_execz .LBB9_141
; %bb.140:                              ;   in Loop: Header=BB9_4 Depth=1
	v_mul_f32_e32 v19, v18, v18
	s_delay_alu instid0(VALU_DEP_1) | instskip(NEXT) | instid1(VALU_DEP_1)
	v_mul_f32_e32 v20, v18, v19
	v_fmaak_f32 v21, s26, v20, 0x3a66f867
	v_fmaak_f32 v22, s27, v20, 0xba0d3085
	s_delay_alu instid0(VALU_DEP_2) | instskip(NEXT) | instid1(VALU_DEP_2)
	v_fmaak_f32 v21, v20, v21, 0xbb7177fe
	v_fmaak_f32 v22, v20, v22, 0x3b141699
	s_delay_alu instid0(VALU_DEP_2) | instskip(NEXT) | instid1(VALU_DEP_2)
	v_fmaak_f32 v21, v20, v21, 0x3c93373d
	v_fmaak_f32 v22, v20, v22, 0xbc28fcfe
	s_delay_alu instid0(VALU_DEP_2) | instskip(NEXT) | instid1(VALU_DEP_2)
	v_fmaak_f32 v21, v20, v21, 0xbe17213c
	v_fmaak_f32 v22, v20, v22, 0x3d845a15
	s_delay_alu instid0(VALU_DEP_1) | instskip(SKIP_1) | instid1(VALU_DEP_1)
	v_fmac_f32_e32 v21, v18, v22
	v_fmaak_f32 v23, s25, v20, 0xbab7f476
	v_fmaak_f32 v23, v20, v23, 0x3bc7e707
	s_delay_alu instid0(VALU_DEP_1) | instskip(NEXT) | instid1(VALU_DEP_1)
	v_fmaak_f32 v23, v20, v23, 0xbd064d47
	v_fmaak_f32 v18, v20, v23, 0x3ef7b95e
	v_fma_f32 v20, v20, -v21, 0xa2863e55
	s_delay_alu instid0(VALU_DEP_1) | instskip(NEXT) | instid1(VALU_DEP_1)
	v_fma_f32 v18, v19, v18, -v20
	v_add_f32_e32 v18, 0xbdf8cdce, v18
	s_delay_alu instid0(VALU_DEP_1)
	v_add_f32_e32 v17, v17, v18
.LBB9_141:                              ;   in Loop: Header=BB9_4 Depth=1
	s_or_b32 exec_lo, exec_lo, s4
                                        ; implicit-def: $vgpr19
                                        ; implicit-def: $vgpr18
.LBB9_142:                              ;   in Loop: Header=BB9_4 Depth=1
	s_and_not1_saveexec_b32 s5, s5
	s_cbranch_execz .LBB9_146
; %bb.143:                              ;   in Loop: Header=BB9_4 Depth=1
	s_mov_b32 s36, exec_lo
	v_cmpx_eq_u32_e32 0, v19
	s_cbranch_execz .LBB9_145
; %bb.144:                              ;   in Loop: Header=BB9_4 Depth=1
	v_mul_f32_e32 v19, v18, v18
	s_delay_alu instid0(VALU_DEP_1) | instskip(NEXT) | instid1(VALU_DEP_1)
	v_fmaak_f32 v21, s28, v19, 0x39679767
	v_fmaak_f32 v21, v19, v21, 0x3a9c54a1
	s_delay_alu instid0(VALU_DEP_1) | instskip(NEXT) | instid1(VALU_DEP_1)
	v_fmaak_f32 v21, v19, v21, 0x3bf2027e
	v_fmaak_f32 v21, v19, v21, 0x3d89f001
	s_delay_alu instid0(VALU_DEP_1) | instskip(SKIP_1) | instid1(VALU_DEP_1)
	v_fmaak_f32 v21, v19, v21, 0x3d9e233f
	v_fmaak_f32 v20, s29, v19, 0x38e28445
	;; [unrolled: 1-line block ×3, first 2 shown]
	s_delay_alu instid0(VALU_DEP_1) | instskip(NEXT) | instid1(VALU_DEP_1)
	v_fmaak_f32 v20, v19, v20, 0x3b3d6ec6
	v_fmaak_f32 v20, v19, v20, 0x3ca89915
	s_delay_alu instid0(VALU_DEP_1) | instskip(NEXT) | instid1(VALU_DEP_1)
	v_fmaak_f32 v20, v19, v20, 0x3ea51a66
	v_mul_f32_e32 v19, v19, v20
	s_delay_alu instid0(VALU_DEP_1) | instskip(NEXT) | instid1(VALU_DEP_1)
	v_fmac_f32_e32 v19, v18, v21
	v_fmac_f32_e32 v19, -0.5, v18
	s_delay_alu instid0(VALU_DEP_1)
	v_add_f32_e32 v17, v17, v19
.LBB9_145:                              ;   in Loop: Header=BB9_4 Depth=1
	s_or_b32 exec_lo, exec_lo, s36
.LBB9_146:                              ;   in Loop: Header=BB9_4 Depth=1
	s_delay_alu instid0(SALU_CYCLE_1)
	s_or_b32 exec_lo, exec_lo, s5
.LBB9_147:                              ;   in Loop: Header=BB9_4 Depth=1
	s_delay_alu instid0(SALU_CYCLE_1)
	s_or_b32 exec_lo, exec_lo, s35
.LBB9_148:                              ;   in Loop: Header=BB9_4 Depth=1
	s_and_not1_saveexec_b32 s5, s6
	s_cbranch_execz .LBB9_150
; %bb.149:                              ;   in Loop: Header=BB9_4 Depth=1
	v_cmp_gt_f32_e64 s6, 0x800000, |v5|
	v_fma_f32 v20, |v5|, s30, 0xbecd26ab
	s_delay_alu instid0(VALU_DEP_2) | instskip(NEXT) | instid1(VALU_DEP_1)
	v_cndmask_b32_e64 v17, 0, 32, s6
	v_ldexp_f32 v17, |v5|, v17
	s_delay_alu instid0(VALU_DEP_1) | instskip(SKIP_1) | instid1(TRANS32_DEP_1)
	v_log_f32_e32 v17, v17
	v_nop
	v_mul_f32_e32 v18, 0x3f317217, v17
	v_cmp_gt_f32_e64 s4, 0x7f800000, |v17|
	s_delay_alu instid0(VALU_DEP_2) | instskip(NEXT) | instid1(VALU_DEP_1)
	v_fma_f32 v19, 0x3f317217, v17, -v18
	v_fmac_f32_e32 v19, 0x3377d1cf, v17
	s_delay_alu instid0(VALU_DEP_1) | instskip(SKIP_1) | instid1(VALU_DEP_2)
	v_add_f32_e32 v18, v18, v19
	v_fma_f32 v19, |v5|, v20, 0x3f528d33
	v_cndmask_b32_e64 v17, v17, v18, s4
	v_cndmask_b32_e64 v18, 0, 0x41b17218, s6
	s_delay_alu instid0(VALU_DEP_3) | instskip(NEXT) | instid1(VALU_DEP_2)
	v_fma_f32 v19, |v5|, v19, 0xbf13c468
	v_sub_f32_e32 v17, v17, v18
	s_delay_alu instid0(VALU_DEP_1)
	v_fma_f32 v17, |v5|, v19, -v17
.LBB9_150:                              ;   in Loop: Header=BB9_4 Depth=1
	s_or_b32 exec_lo, exec_lo, s5
	v_cmp_le_f32_e64 s4, 0, v5
	s_mov_b32 s6, exec_lo
	v_cmpx_nle_f32_e32 0, v5
	s_xor_b32 s35, exec_lo, s6
	s_cbranch_execz .LBB9_154
; %bb.151:                              ;   in Loop: Header=BB9_4 Depth=1
	v_cmp_gt_f32_e64 s5, 0x4b000000, |v5|
	v_cmp_lt_f32_e64 s6, 0x35000000, |v5|
	s_and_b32 s5, s5, s6
	s_delay_alu instid0(SALU_CYCLE_1)
	s_and_saveexec_b32 s36, s5
	s_cbranch_execz .LBB9_153
; %bb.152:                              ;   in Loop: Header=BB9_4 Depth=1
	v_mul_f32_e64 v18, |v5|, 0.5
	v_xor_b32_e32 v16, v16, v5
	s_delay_alu instid0(VALU_DEP_2) | instskip(SKIP_1) | instid1(VALU_DEP_2)
	v_floor_f32_e32 v19, v18
	v_cmp_neq_f32_e64 s5, 0x7f800000, v18
	v_sub_f32_e32 v19, v18, v19
	s_delay_alu instid0(VALU_DEP_1) | instskip(NEXT) | instid1(VALU_DEP_1)
	v_min_num_f32_e32 v19, 0x3f7fffff, v19
	v_add_f32_e32 v19, v19, v19
	s_delay_alu instid0(VALU_DEP_1) | instskip(SKIP_1) | instid1(VALU_DEP_1)
	v_cndmask_b32_e64 v18, 0, v19, s5
	v_cmp_gt_f32_e64 s5, |v5|, 1.0
	v_cndmask_b32_e64 v18, |v5|, v18, s5
	s_delay_alu instid0(VALU_DEP_1) | instskip(NEXT) | instid1(VALU_DEP_1)
	v_add_f32_e32 v19, v18, v18
	v_rndne_f32_e32 v19, v19
	s_delay_alu instid0(VALU_DEP_1) | instskip(SKIP_1) | instid1(VALU_DEP_2)
	v_fmac_f32_e32 v18, -0.5, v19
	v_cvt_i32_f32_e32 v19, v19
	v_mul_f32_e32 v20, v18, v18
	s_delay_alu instid0(VALU_DEP_1) | instskip(SKIP_1) | instid1(VALU_DEP_2)
	v_fmaak_f32 v21, s31, v20, 0xbf1f24be
	v_dual_fmaak_f32 v22, s33, v20, 0x3e642e9d :: v_dual_mul_f32 v23, v18, v20
	v_fmaak_f32 v21, v20, v21, 0x40234736
	s_delay_alu instid0(VALU_DEP_2) | instskip(NEXT) | instid1(VALU_DEP_2)
	v_fmaak_f32 v22, v20, v22, 0xbfaad1da
	v_fmaak_f32 v21, v20, v21, 0xc0a55e0e
	s_delay_alu instid0(VALU_DEP_1) | instskip(NEXT) | instid1(VALU_DEP_1)
	v_mul_f32_e32 v21, v23, v21
	v_fmac_f32_e32 v21, 0x40490fdb, v18
	v_dual_lshlrev_b32 v19, 30, v19 :: v_dual_bitop2_b32 v23, 1, v19 bitop3:0x40
	v_fmaak_f32 v22, v20, v22, 0x4081e0d3
	s_delay_alu instid0(VALU_DEP_2) | instskip(NEXT) | instid1(VALU_DEP_3)
	v_cmp_eq_u32_e64 s5, 0, v23
	v_and_b32_e32 v19, 0x80000000, v19
	s_delay_alu instid0(VALU_DEP_3) | instskip(NEXT) | instid1(VALU_DEP_1)
	v_fmaak_f32 v22, v20, v22, 0xc09de9e6
	v_fma_f32 v18, v20, v22, 1.0
	s_delay_alu instid0(VALU_DEP_1) | instskip(NEXT) | instid1(VALU_DEP_1)
	v_cndmask_b32_e64 v18, v18, v21, s5
	v_xor3_b32 v16, v16, v19, v18
	s_delay_alu instid0(VALU_DEP_1) | instskip(NEXT) | instid1(VALU_DEP_1)
	v_mul_f32_e32 v16, v5, v16
	v_frexp_mant_f32_e64 v18, |v16|
	v_frexp_exp_i32_f32_e32 v16, v16
	s_delay_alu instid0(VALU_DEP_2) | instskip(NEXT) | instid1(VALU_DEP_1)
	v_rcp_f32_e32 v18, v18
	v_sub_nc_u32_e32 v16, 2, v16
	s_delay_alu instid0(TRANS32_DEP_1) | instskip(NEXT) | instid1(VALU_DEP_1)
	v_mul_f32_e32 v18, 0x3f490fdb, v18
	v_ldexp_f32 v16, v18, v16
	s_delay_alu instid0(VALU_DEP_1) | instskip(NEXT) | instid1(VALU_DEP_1)
	v_cmp_gt_f32_e64 s5, 0x800000, v16
	v_cndmask_b32_e64 v18, 0, 32, s5
	s_delay_alu instid0(VALU_DEP_1) | instskip(NEXT) | instid1(VALU_DEP_1)
	v_ldexp_f32 v16, v16, v18
	v_log_f32_e32 v16, v16
	v_nop
	s_delay_alu instid0(TRANS32_DEP_1) | instskip(SKIP_1) | instid1(VALU_DEP_2)
	v_mul_f32_e32 v18, 0x3f317217, v16
	v_cmp_gt_f32_e64 s6, 0x7f800000, |v16|
	v_fma_f32 v19, 0x3f317217, v16, -v18
	s_delay_alu instid0(VALU_DEP_1) | instskip(NEXT) | instid1(VALU_DEP_1)
	v_fmac_f32_e32 v19, 0x3377d1cf, v16
	v_add_f32_e32 v18, v18, v19
	v_floor_f32_e32 v19, v5
	s_delay_alu instid0(VALU_DEP_2) | instskip(SKIP_1) | instid1(VALU_DEP_1)
	v_cndmask_b32_e64 v16, v16, v18, s6
	v_cndmask_b32_e64 v18, 0, 0x41b17218, s5
	v_dual_sub_f32 v19, v5, v19 :: v_dual_sub_f32 v16, v16, v18
	s_delay_alu instid0(VALU_DEP_1) | instskip(NEXT) | instid1(VALU_DEP_2)
	v_min_num_f32_e32 v18, 0x3f7fffff, v19
	v_sub_f32_e32 v16, v16, v17
	s_delay_alu instid0(VALU_DEP_2) | instskip(NEXT) | instid1(VALU_DEP_1)
	v_cmp_neq_f32_e64 s5, 0, v18
	v_cndmask_b32_e64 v17, 0x7f800000, v16, s5
.LBB9_153:                              ;   in Loop: Header=BB9_4 Depth=1
	s_or_b32 exec_lo, exec_lo, s36
.LBB9_154:                              ;   in Loop: Header=BB9_4 Depth=1
	s_and_not1_saveexec_b32 s35, s35
	s_cbranch_execz .LBB9_3
; %bb.155:                              ;   in Loop: Header=BB9_4 Depth=1
	v_cmp_eq_f32_e64 s5, 1.0, v5
	v_cmp_eq_f32_e64 s6, 2.0, v5
	s_or_b32 s5, s5, s6
	s_delay_alu instid0(SALU_CYCLE_1)
	v_cndmask_b32_e64 v17, v17, 0, s5
	s_branch .LBB9_3
.LBB9_156:
	s_or_b32 exec_lo, exec_lo, s7
	s_mov_b32 s2, 0
.LBB9_157:
	s_delay_alu instid0(SALU_CYCLE_1)
	s_and_not1_b32 vcc_lo, exec_lo, s2
	s_cbranch_vccnz .LBB9_329
; %bb.158:
	v_cmp_lt_i64_e64 s2, s[14:15], 1
	s_and_b32 vcc_lo, exec_lo, s2
	s_cbranch_vccnz .LBB9_329
; %bb.159:
	s_load_b32 s0, s[0:1], 0xc5c
	v_min_i64 v[2:3], 0x10000, s[14:15]
	v_min_u64 v[4:5], 0x10000, s[14:15]
	v_dual_mov_b32 v1, 0 :: v_dual_lshlrev_b32 v12, 2, v0
	s_wait_xcnt 0x0
	s_mov_b32 s1, 0
	v_mov_b64_e32 v[28:29], 0x4040000040000000
	s_mov_b32 s7, s1
	v_dual_mov_b32 v13, v1 :: v_dual_mov_b32 v27, v1
	s_mov_b32 s3, s1
	s_mov_b32 s5, s1
	s_mov_b64 s[14:15], 0
	s_delay_alu instid0(VALU_DEP_1)
	v_add_nc_u64_e32 v[6:7], s[8:9], v[12:13]
	v_add_nc_u64_e32 v[8:9], s[12:13], v[12:13]
	s_mov_b32 s20, 0xbad5c4e8
	s_mov_b32 s17, s1
	;; [unrolled: 1-line block ×5, first 2 shown]
	s_wait_kmcnt 0x0
	s_and_b32 s0, s0, 0xffff
	s_mov_b32 s23, 0xb9a3f927
	v_add_nc_u64_e32 v[10:11], s[0:1], v[0:1]
	v_mad_nc_u64_u32 v[22:23], s0, 12, v[12:13]
	s_lshl_b32 s6, s0, 3
	s_lshl_b32 s2, s0, 1
	v_add_nc_u64_e32 v[18:19], s[6:7], v[12:13]
	s_mul_i32 s4, s0, 3
	v_add_nc_u64_e32 v[14:15], s[2:3], v[0:1]
	v_lshlrev_b32_e32 v26, 2, v10
	v_add_nc_u64_e32 v[12:13], s[4:5], v[0:1]
	s_lshl_b32 s16, s0, 2
	s_lshl_b32 s18, s0, 4
	v_add_nc_u64_e32 v[16:17], s[8:9], v[18:19]
	v_add_nc_u64_e32 v[18:19], s[12:13], v[18:19]
	;; [unrolled: 1-line block ×6, first 2 shown]
	s_mov_b32 s9, 0x3805ff67
	s_mov_b32 s12, 0x36f5d7bd
	;; [unrolled: 1-line block ×9, first 2 shown]
	s_branch .LBB9_161
.LBB9_160:                              ;   in Loop: Header=BB9_161 Depth=1
	s_wait_xcnt 0x0
	s_or_b32 exec_lo, exec_lo, s0
	s_add_nc_u64 s[14:15], s[14:15], s[16:17]
	v_add_nc_u64_e32 v[6:7], s[18:19], v[6:7]
	v_cmp_ge_i64_e32 vcc_lo, s[14:15], v[2:3]
	v_add_nc_u64_e32 v[8:9], s[18:19], v[8:9]
	v_add_nc_u64_e32 v[20:21], s[18:19], v[20:21]
	v_add_nc_u64_e32 v[22:23], s[18:19], v[22:23]
	v_add_nc_u64_e32 v[16:17], s[18:19], v[16:17]
	v_add_nc_u64_e32 v[18:19], s[18:19], v[18:19]
	v_add_nc_u64_e32 v[24:25], s[18:19], v[24:25]
	v_add_nc_u64_e32 v[26:27], s[18:19], v[26:27]
	s_cbranch_vccnz .LBB9_329
.LBB9_161:                              ; =>This Inner Loop Header: Depth=1
	v_add_nc_u64_e32 v[30:31], s[14:15], v[0:1]
	v_mov_b32_e32 v33, 0
	s_delay_alu instid0(VALU_DEP_2)
	v_cmp_lt_u64_e64 s2, v[30:31], v[4:5]
	s_and_saveexec_b32 s0, s2
	s_cbranch_execz .LBB9_163
; %bb.162:                              ;   in Loop: Header=BB9_161 Depth=1
	v_add_nc_u64_e32 v[30:31], s[10:11], v[6:7]
	global_load_b32 v33, v[30:31], off
.LBB9_163:                              ;   in Loop: Header=BB9_161 Depth=1
	s_wait_xcnt 0x0
	s_or_b32 exec_lo, exec_lo, s0
	v_add_nc_u64_e32 v[30:31], s[14:15], v[10:11]
	v_mov_b32_e32 v32, 0
	s_delay_alu instid0(VALU_DEP_2)
	v_cmp_lt_u64_e64 s1, v[30:31], v[4:5]
	v_mov_b32_e32 v30, 0
	s_and_saveexec_b32 s0, s1
	s_cbranch_execz .LBB9_165
; %bb.164:                              ;   in Loop: Header=BB9_161 Depth=1
	v_add_nc_u64_e32 v[34:35], s[10:11], v[24:25]
	global_load_b32 v32, v[34:35], off
.LBB9_165:                              ;   in Loop: Header=BB9_161 Depth=1
	s_wait_xcnt 0x0
	s_or_b32 exec_lo, exec_lo, s0
	v_add_nc_u64_e32 v[34:35], s[14:15], v[14:15]
	s_delay_alu instid0(VALU_DEP_1)
	v_cmp_lt_u64_e64 s0, v[34:35], v[4:5]
	s_and_saveexec_b32 s3, s0
	s_cbranch_execz .LBB9_167
; %bb.166:                              ;   in Loop: Header=BB9_161 Depth=1
	v_add_nc_u64_e32 v[30:31], s[10:11], v[16:17]
	global_load_b32 v30, v[30:31], off
.LBB9_167:                              ;   in Loop: Header=BB9_161 Depth=1
	s_wait_xcnt 0x0
	s_or_b32 exec_lo, exec_lo, s3
	v_add_nc_u64_e32 v[34:35], s[14:15], v[12:13]
	v_mov_b32_e32 v31, 0
	s_delay_alu instid0(VALU_DEP_2)
	v_cmp_lt_u64_e32 vcc_lo, v[34:35], v[4:5]
	s_and_saveexec_b32 s3, vcc_lo
	s_cbranch_execz .LBB9_169
; %bb.168:                              ;   in Loop: Header=BB9_161 Depth=1
	v_add_nc_u64_e32 v[34:35], s[10:11], v[20:21]
	global_load_b32 v31, v[34:35], off
.LBB9_169:                              ;   in Loop: Header=BB9_161 Depth=1
	s_wait_xcnt 0x0
	s_or_b32 exec_lo, exec_lo, s3
	s_wait_loadcnt 0x0
	v_and_b32_e32 v35, 0x7fffffff, v33
                                        ; implicit-def: $vgpr34
	s_mov_b32 s4, exec_lo
	v_cmpx_ngt_f32_e64 0x3c800000, |v33|
	s_xor_b32 s5, exec_lo, s4
	s_cbranch_execz .LBB9_199
; %bb.170:                              ;   in Loop: Header=BB9_161 Depth=1
                                        ; implicit-def: $vgpr34
	s_mov_b32 s4, exec_lo
	v_cmpx_nlt_f32_e64 |v33|, 2.0
	s_xor_b32 s6, exec_lo, s4
	s_cbranch_execz .LBB9_180
; %bb.171:                              ;   in Loop: Header=BB9_161 Depth=1
	s_mov_b32 s4, exec_lo
                                        ; implicit-def: $vgpr34
	v_cmpx_ngt_f32_e64 0x41000000, |v33|
	s_xor_b32 s4, exec_lo, s4
	s_cbranch_execz .LBB9_177
; %bb.172:                              ;   in Loop: Header=BB9_161 Depth=1
	s_mov_b32 s7, exec_lo
                                        ; implicit-def: $vgpr34
	v_cmpx_ngt_f32_e64 0x5c800000, |v33|
	s_xor_b32 s7, exec_lo, s7
	s_cbranch_execz .LBB9_174
; %bb.173:                              ;   in Loop: Header=BB9_161 Depth=1
	v_cmp_gt_f32_e64 s8, 0x800000, |v33|
	s_delay_alu instid0(VALU_DEP_1) | instskip(NEXT) | instid1(VALU_DEP_1)
	v_cndmask_b32_e64 v34, 0, 32, s8
	v_ldexp_f32 v34, |v33|, v34
	s_delay_alu instid0(VALU_DEP_1) | instskip(SKIP_1) | instid1(TRANS32_DEP_1)
	v_log_f32_e32 v34, v34
	v_nop
	v_mul_f32_e32 v36, 0x3f317217, v34
	v_cmp_gt_f32_e64 s3, 0x7f800000, |v34|
	s_delay_alu instid0(VALU_DEP_2) | instskip(NEXT) | instid1(VALU_DEP_1)
	v_fma_f32 v37, 0x3f317217, v34, -v36
	v_fmac_f32_e32 v37, 0x3377d1cf, v34
	s_delay_alu instid0(VALU_DEP_1) | instskip(NEXT) | instid1(VALU_DEP_1)
	v_add_f32_e32 v36, v36, v37
	v_cndmask_b32_e64 v34, v34, v36, s3
	v_cndmask_b32_e64 v36, 0, 0x41b17218, s8
	s_delay_alu instid0(VALU_DEP_1) | instskip(NEXT) | instid1(VALU_DEP_1)
	v_sub_f32_e32 v34, v34, v36
	v_fma_f32 v34, |v33|, v34, -|v33|
.LBB9_174:                              ;   in Loop: Header=BB9_161 Depth=1
	s_and_not1_saveexec_b32 s7, s7
	s_cbranch_execz .LBB9_176
; %bb.175:                              ;   in Loop: Header=BB9_161 Depth=1
	v_cmp_gt_f32_e64 s8, 0x800000, |v33|
	v_rcp_f32_e64 v36, |v33|
	s_delay_alu instid0(VALU_DEP_1) | instskip(NEXT) | instid1(VALU_DEP_1)
	v_cndmask_b32_e64 v34, 0, 32, s8
	v_ldexp_f32 v34, |v33|, v34
	s_delay_alu instid0(VALU_DEP_1) | instskip(SKIP_1) | instid1(TRANS32_DEP_1)
	v_log_f32_e32 v34, v34
	v_nop
	v_dual_mul_f32 v37, v36, v36 :: v_dual_mul_f32 v38, 0x3f317217, v34
	v_cmp_gt_f32_e64 s3, 0x7f800000, |v34|
	s_delay_alu instid0(VALU_DEP_2) | instskip(NEXT) | instid1(VALU_DEP_1)
	v_fma_f32 v40, 0x3f317217, v34, -v38
	v_fmac_f32_e32 v40, 0x3377d1cf, v34
	s_delay_alu instid0(VALU_DEP_1) | instskip(NEXT) | instid1(VALU_DEP_1)
	v_dual_fmaak_f32 v39, s20, v37, 0x3a5b3dd2 :: v_dual_add_f32 v38, v38, v40
	v_cndmask_b32_e64 v34, v34, v38, s3
	v_cndmask_b32_e64 v38, 0, 0x41b17218, s8
	s_delay_alu instid0(VALU_DEP_1) | instskip(NEXT) | instid1(VALU_DEP_1)
	v_dual_fmaak_f32 v39, v37, v39, 0xba1c065c :: v_dual_sub_f32 v38, v34, v38
	v_fmaak_f32 v39, v37, v39, 0x3a500cfd
	s_delay_alu instid0(VALU_DEP_1) | instskip(NEXT) | instid1(VALU_DEP_1)
	v_fmaak_f32 v39, v37, v39, 0xbb360b61
	v_fmaak_f32 v37, v37, v39, 0x3daaaaab
	s_delay_alu instid0(VALU_DEP_1) | instskip(SKIP_2) | instid1(VALU_DEP_1)
	v_fmaak_f32 v34, v36, v37, 0x3ed67f1d
	v_add_f32_e64 v36, |v33|, -0.5
	v_add_f32_e32 v37, -1.0, v38
	v_fmac_f32_e32 v34, v36, v37
.LBB9_176:                              ;   in Loop: Header=BB9_161 Depth=1
	s_or_b32 exec_lo, exec_lo, s7
.LBB9_177:                              ;   in Loop: Header=BB9_161 Depth=1
	s_and_not1_saveexec_b32 s7, s4
	s_cbranch_execz .LBB9_179
; %bb.178:                              ;   in Loop: Header=BB9_161 Depth=1
	v_cvt_i32_f32_e32 v38, v35
	s_delay_alu instid0(VALU_DEP_1) | instskip(SKIP_1) | instid1(VALU_DEP_2)
	v_cvt_f32_i32_e32 v34, v38
	v_cmp_lt_i32_e64 s3, 3, v38
	v_sub_f32_e64 v34, |v33|, v34
	s_delay_alu instid0(VALU_DEP_1) | instskip(SKIP_1) | instid1(VALU_DEP_2)
	v_pk_add_f32 v[36:37], v[34:35], v[28:29] op_sel_hi:[0,1]
	v_dual_add_f32 v39, 4.0, v34 :: v_dual_add_f32 v40, 0x40a00000, v34
	v_cndmask_b32_e64 v37, 1.0, v37, s3
	v_cmp_lt_i32_e64 s3, 2, v38
	s_delay_alu instid0(VALU_DEP_1) | instskip(SKIP_1) | instid1(VALU_DEP_1)
	v_cndmask_b32_e64 v36, 1.0, v36, s3
	v_cmp_lt_i32_e64 s3, 4, v38
	v_dual_cndmask_b32 v39, 1.0, v39, s3 :: v_dual_mul_f32 v36, v36, v37
	v_add_f32_e32 v37, 0x40c00000, v34
	v_cmp_lt_i32_e64 s3, 5, v38
	s_delay_alu instid0(VALU_DEP_3) | instskip(NEXT) | instid1(VALU_DEP_2)
	v_dual_mul_f32 v36, v39, v36 :: v_dual_fmaak_f32 v39, s9, v34, 0x3af135b4
	v_cndmask_b32_e64 v40, 1.0, v40, s3
	v_cmp_lt_i32_e64 s3, 6, v38
	s_delay_alu instid0(VALU_DEP_1) | instskip(NEXT) | instid1(VALU_DEP_1)
	v_dual_cndmask_b32 v37, 1.0, v37, s3 :: v_dual_mul_f32 v36, v40, v36
	v_dual_mul_f32 v36, v37, v36 :: v_dual_fmaak_f32 v37, s12, v34, 0x3a4beed6
	s_delay_alu instid0(VALU_DEP_1) | instskip(NEXT) | instid1(VALU_DEP_2)
	v_fmaak_f32 v37, v34, v37, 0x3c98bf54
	v_cmp_gt_f32_e64 s3, 0x800000, v36
	s_delay_alu instid0(VALU_DEP_1) | instskip(NEXT) | instid1(VALU_DEP_1)
	v_cndmask_b32_e64 v38, 0, 32, s3
	v_ldexp_f32 v36, v36, v38
	v_fmaak_f32 v38, v34, v39, 0x3cda40e4
	s_delay_alu instid0(VALU_DEP_2) | instskip(SKIP_1) | instid1(TRANS32_DEP_1)
	v_log_f32_e32 v36, v36
	v_nop
	v_mul_f32_e32 v39, 0x3f317217, v36
	v_cmp_gt_f32_e64 s4, 0x7f800000, |v36|
	s_delay_alu instid0(VALU_DEP_2) | instskip(NEXT) | instid1(VALU_DEP_1)
	v_fma_f32 v40, 0x3f317217, v36, -v39
	v_fmac_f32_e32 v40, 0x3377d1cf, v36
	s_delay_alu instid0(VALU_DEP_1) | instskip(NEXT) | instid1(VALU_DEP_1)
	v_dual_add_f32 v39, v39, v40 :: v_dual_fmaak_f32 v38, v34, v38, 0x3e15dce6
	v_cndmask_b32_e64 v36, v36, v39, s4
	s_delay_alu instid0(VALU_DEP_2) | instskip(NEXT) | instid1(VALU_DEP_1)
	v_fmaak_f32 v38, v34, v38, 0x3ea6cc7a
	v_fmaak_f32 v38, v34, v38, 0x3e5c245a
	s_delay_alu instid0(VALU_DEP_1) | instskip(NEXT) | instid1(VALU_DEP_1)
	v_fmaak_f32 v38, v34, v38, 0xbd9e233f
	v_dual_fmaak_f32 v37, v34, v37, 0x3e300f6e :: v_dual_mul_f32 v38, v34, v38
	s_delay_alu instid0(VALU_DEP_1) | instskip(NEXT) | instid1(VALU_DEP_1)
	v_fmaak_f32 v37, v34, v37, 0x3f38d0c5
	v_fmaak_f32 v37, v34, v37, 0x3fb22d3b
	s_delay_alu instid0(VALU_DEP_1) | instskip(NEXT) | instid1(VALU_DEP_1)
	v_fma_f32 v37, v34, v37, 1.0
	v_rcp_f32_e32 v37, v37
	v_nop
	s_delay_alu instid0(TRANS32_DEP_1) | instskip(SKIP_1) | instid1(VALU_DEP_2)
	v_mul_f32_e32 v37, v38, v37
	v_cndmask_b32_e64 v38, 0, 0x41b17218, s3
	v_fmac_f32_e32 v37, 0.5, v34
	s_delay_alu instid0(VALU_DEP_2) | instskip(NEXT) | instid1(VALU_DEP_1)
	v_sub_f32_e32 v34, v36, v38
	v_add_f32_e32 v34, v34, v37
.LBB9_179:                              ;   in Loop: Header=BB9_161 Depth=1
	s_or_b32 exec_lo, exec_lo, s7
.LBB9_180:                              ;   in Loop: Header=BB9_161 Depth=1
	s_and_not1_saveexec_b32 s6, s6
	s_cbranch_execz .LBB9_198
; %bb.181:                              ;   in Loop: Header=BB9_161 Depth=1
                                        ; implicit-def: $vgpr34
                                        ; implicit-def: $vgpr37
                                        ; implicit-def: $vgpr36
	s_mov_b32 s4, exec_lo
	v_cmpx_ge_f32_e64 0x3f666666, |v33|
	s_xor_b32 s7, exec_lo, s4
	s_cbranch_execz .LBB9_183
; %bb.182:                              ;   in Loop: Header=BB9_161 Depth=1
	v_cmp_gt_f32_e64 s4, 0x800000, |v33|
	v_sub_f32_e64 v38, 1.0, |v33|
	v_cmp_gt_f32_e64 s3, 0x3f3b4a23, |v33|
	s_delay_alu instid0(VALU_DEP_3) | instskip(SKIP_1) | instid1(VALU_DEP_2)
	v_cndmask_b32_e64 v34, 0, 32, s4
	v_cndmask_b32_e64 v39, 0, 0x41b17218, s4
	v_ldexp_f32 v34, |v33|, v34
	s_delay_alu instid0(VALU_DEP_1) | instskip(SKIP_1) | instid1(TRANS32_DEP_1)
	v_log_f32_e32 v34, v34
	v_nop
	v_mul_f32_e32 v36, 0x3f317217, v34
	v_cmp_gt_f32_e64 s4, 0x7f800000, |v34|
	s_delay_alu instid0(VALU_DEP_2) | instskip(NEXT) | instid1(VALU_DEP_1)
	v_fma_f32 v37, 0x3f317217, v34, -v36
	v_fmac_f32_e32 v37, 0x3377d1cf, v34
	s_delay_alu instid0(VALU_DEP_1) | instskip(SKIP_1) | instid1(VALU_DEP_2)
	v_add_f32_e32 v36, v36, v37
	v_add_f32_e64 v37, 0xbeec5b0c, |v33|
	v_cndmask_b32_e64 v34, v34, v36, s4
	s_delay_alu instid0(VALU_DEP_2) | instskip(SKIP_2) | instid1(VALU_DEP_4)
	v_cndmask_b32_e64 v36, v38, v37, s3
	v_cndmask_b32_e64 v37, 0, 1, s3
	v_cmp_gt_f32_e64 s3, 0x3e6d3309, |v33|
	v_sub_f32_e32 v34, v34, v39
	s_delay_alu instid0(VALU_DEP_2) | instskip(NEXT) | instid1(VALU_DEP_4)
	v_cndmask_b32_e64 v36, v36, |v33|, s3
	v_cndmask_b32_e64 v37, v37, 2, s3
	s_delay_alu instid0(VALU_DEP_3)
	v_xor_b32_e32 v34, 0x80000000, v34
.LBB9_183:                              ;   in Loop: Header=BB9_161 Depth=1
	s_and_not1_saveexec_b32 s4, s7
	s_cbranch_execz .LBB9_185
; %bb.184:                              ;   in Loop: Header=BB9_161 Depth=1
	v_sub_f32_e64 v34, 2.0, |v33|
	v_add_f32_e64 v36, 0xbfbb16c3, |v33|
	v_cmp_gt_f32_e64 s3, 0x3fdda512, |v33|
	v_add_f32_e64 v37, |v33|, -1.0
	s_delay_alu instid0(VALU_DEP_2) | instskip(SKIP_2) | instid1(VALU_DEP_2)
	v_cndmask_b32_e64 v36, v34, v36, s3
	v_cndmask_b32_e64 v34, v34, 1.0, s3
	v_cmp_gt_f32_e64 s3, 0x3f9d70a4, |v33|
	v_cvt_i32_f32_e32 v34, v34
	s_delay_alu instid0(VALU_DEP_2) | instskip(NEXT) | instid1(VALU_DEP_2)
	v_cndmask_b32_e64 v36, v36, v37, s3
	v_cndmask_b32_e64 v37, v34, 2, s3
	v_mov_b32_e32 v34, 0
.LBB9_185:                              ;   in Loop: Header=BB9_161 Depth=1
	s_or_b32 exec_lo, exec_lo, s4
	s_delay_alu instid0(SALU_CYCLE_1) | instskip(NEXT) | instid1(VALU_DEP_2)
	s_mov_b32 s4, exec_lo
	v_cmpx_lt_i32_e32 0, v37
	s_xor_b32 s4, exec_lo, s4
	s_cbranch_execz .LBB9_193
; %bb.186:                              ;   in Loop: Header=BB9_161 Depth=1
	s_mov_b32 s7, exec_lo
	v_cmpx_lt_i32_e32 1, v37
	s_xor_b32 s7, exec_lo, s7
	s_cbranch_execz .LBB9_190
; %bb.187:                              ;   in Loop: Header=BB9_161 Depth=1
	s_mov_b32 s8, exec_lo
	v_cmpx_eq_u32_e32 2, v37
	s_cbranch_execz .LBB9_189
; %bb.188:                              ;   in Loop: Header=BB9_161 Depth=1
	v_fmaak_f32 v38, s13, v36, 0x3e6a7578
	s_delay_alu instid0(VALU_DEP_1) | instskip(NEXT) | instid1(VALU_DEP_1)
	v_fmaak_f32 v38, v36, v38, 0x3f7a4bb2
	v_fmaak_f32 v38, v36, v38, 0x3fba3ae7
	s_delay_alu instid0(VALU_DEP_1) | instskip(NEXT) | instid1(VALU_DEP_1)
	v_fmaak_f32 v38, v36, v38, 0x3f2200f4
	v_fmaak_f32 v38, v36, v38, 0xbd9e233f
	s_delay_alu instid0(VALU_DEP_1) | instskip(NEXT) | instid1(VALU_DEP_1)
	v_dual_fmaak_f32 v37, s21, v36, 0x3dd572af :: v_dual_mul_f32 v38, v36, v38
	v_fmaak_f32 v37, v36, v37, 0x3f44efdf
	s_delay_alu instid0(VALU_DEP_1) | instskip(NEXT) | instid1(VALU_DEP_1)
	v_fmaak_f32 v37, v36, v37, 0x4008392d
	v_fmaak_f32 v37, v36, v37, 0x401d2ebe
	s_delay_alu instid0(VALU_DEP_1) | instskip(NEXT) | instid1(VALU_DEP_1)
	v_fma_f32 v37, v36, v37, 1.0
	v_rcp_f32_e32 v37, v37
	v_nop
	s_delay_alu instid0(TRANS32_DEP_1) | instskip(NEXT) | instid1(VALU_DEP_1)
	v_mul_f32_e32 v37, v38, v37
	v_fmac_f32_e32 v37, -0.5, v36
	s_delay_alu instid0(VALU_DEP_1)
	v_add_f32_e32 v34, v34, v37
.LBB9_189:                              ;   in Loop: Header=BB9_161 Depth=1
	s_or_b32 exec_lo, exec_lo, s8
                                        ; implicit-def: $vgpr36
.LBB9_190:                              ;   in Loop: Header=BB9_161 Depth=1
	s_and_not1_saveexec_b32 s3, s7
	s_cbranch_execz .LBB9_192
; %bb.191:                              ;   in Loop: Header=BB9_161 Depth=1
	v_mul_f32_e32 v37, v36, v36
	s_delay_alu instid0(VALU_DEP_1) | instskip(NEXT) | instid1(VALU_DEP_1)
	v_mul_f32_e32 v38, v36, v37
	v_fmaak_f32 v39, s23, v38, 0x3a66f867
	v_fmaak_f32 v40, s24, v38, 0xba0d3085
	s_delay_alu instid0(VALU_DEP_2) | instskip(NEXT) | instid1(VALU_DEP_2)
	v_fmaak_f32 v39, v38, v39, 0xbb7177fe
	v_fmaak_f32 v40, v38, v40, 0x3b141699
	s_delay_alu instid0(VALU_DEP_2) | instskip(NEXT) | instid1(VALU_DEP_2)
	;; [unrolled: 3-line block ×3, first 2 shown]
	v_fmaak_f32 v39, v38, v39, 0xbe17213c
	v_fmaak_f32 v40, v38, v40, 0x3d845a15
	s_delay_alu instid0(VALU_DEP_1) | instskip(SKIP_1) | instid1(VALU_DEP_1)
	v_fmac_f32_e32 v39, v36, v40
	v_fmaak_f32 v41, s22, v38, 0xbab7f476
	v_fmaak_f32 v41, v38, v41, 0x3bc7e707
	s_delay_alu instid0(VALU_DEP_1) | instskip(NEXT) | instid1(VALU_DEP_1)
	v_fmaak_f32 v41, v38, v41, 0xbd064d47
	v_fmaak_f32 v36, v38, v41, 0x3ef7b95e
	v_fma_f32 v38, v38, -v39, 0xa2863e55
	s_delay_alu instid0(VALU_DEP_1) | instskip(NEXT) | instid1(VALU_DEP_1)
	v_fma_f32 v36, v37, v36, -v38
	v_add_f32_e32 v36, 0xbdf8cdce, v36
	s_delay_alu instid0(VALU_DEP_1)
	v_add_f32_e32 v34, v34, v36
.LBB9_192:                              ;   in Loop: Header=BB9_161 Depth=1
	s_or_b32 exec_lo, exec_lo, s3
                                        ; implicit-def: $vgpr37
                                        ; implicit-def: $vgpr36
.LBB9_193:                              ;   in Loop: Header=BB9_161 Depth=1
	s_and_not1_saveexec_b32 s4, s4
	s_cbranch_execz .LBB9_197
; %bb.194:                              ;   in Loop: Header=BB9_161 Depth=1
	s_mov_b32 s7, exec_lo
	v_cmpx_eq_u32_e32 0, v37
	s_cbranch_execz .LBB9_196
; %bb.195:                              ;   in Loop: Header=BB9_161 Depth=1
	v_mul_f32_e32 v37, v36, v36
	s_delay_alu instid0(VALU_DEP_1) | instskip(NEXT) | instid1(VALU_DEP_1)
	v_fmaak_f32 v39, s25, v37, 0x39679767
	v_fmaak_f32 v39, v37, v39, 0x3a9c54a1
	s_delay_alu instid0(VALU_DEP_1) | instskip(NEXT) | instid1(VALU_DEP_1)
	v_fmaak_f32 v39, v37, v39, 0x3bf2027e
	v_fmaak_f32 v39, v37, v39, 0x3d89f001
	s_delay_alu instid0(VALU_DEP_1) | instskip(SKIP_1) | instid1(VALU_DEP_1)
	v_fmaak_f32 v39, v37, v39, 0x3d9e233f
	v_fmaak_f32 v38, s26, v37, 0x38e28445
	v_fmaak_f32 v38, v37, v38, 0x3a05b634
	s_delay_alu instid0(VALU_DEP_1) | instskip(NEXT) | instid1(VALU_DEP_1)
	v_fmaak_f32 v38, v37, v38, 0x3b3d6ec6
	v_fmaak_f32 v38, v37, v38, 0x3ca89915
	s_delay_alu instid0(VALU_DEP_1) | instskip(NEXT) | instid1(VALU_DEP_1)
	v_fmaak_f32 v38, v37, v38, 0x3ea51a66
	v_mul_f32_e32 v37, v37, v38
	s_delay_alu instid0(VALU_DEP_1) | instskip(NEXT) | instid1(VALU_DEP_1)
	v_fmac_f32_e32 v37, v36, v39
	v_fmac_f32_e32 v37, -0.5, v36
	s_delay_alu instid0(VALU_DEP_1)
	v_add_f32_e32 v34, v34, v37
.LBB9_196:                              ;   in Loop: Header=BB9_161 Depth=1
	s_or_b32 exec_lo, exec_lo, s7
.LBB9_197:                              ;   in Loop: Header=BB9_161 Depth=1
	s_delay_alu instid0(SALU_CYCLE_1)
	s_or_b32 exec_lo, exec_lo, s4
.LBB9_198:                              ;   in Loop: Header=BB9_161 Depth=1
	s_delay_alu instid0(SALU_CYCLE_1)
	s_or_b32 exec_lo, exec_lo, s6
.LBB9_199:                              ;   in Loop: Header=BB9_161 Depth=1
	s_and_not1_saveexec_b32 s4, s5
	s_cbranch_execz .LBB9_201
; %bb.200:                              ;   in Loop: Header=BB9_161 Depth=1
	v_cmp_gt_f32_e64 s5, 0x800000, |v33|
	v_fma_f32 v38, |v33|, s27, 0xbecd26ab
	s_delay_alu instid0(VALU_DEP_2) | instskip(NEXT) | instid1(VALU_DEP_1)
	v_cndmask_b32_e64 v34, 0, 32, s5
	v_ldexp_f32 v34, |v33|, v34
	s_delay_alu instid0(VALU_DEP_1) | instskip(SKIP_1) | instid1(TRANS32_DEP_1)
	v_log_f32_e32 v34, v34
	v_nop
	v_mul_f32_e32 v36, 0x3f317217, v34
	v_cmp_gt_f32_e64 s3, 0x7f800000, |v34|
	s_delay_alu instid0(VALU_DEP_2) | instskip(NEXT) | instid1(VALU_DEP_1)
	v_fma_f32 v37, 0x3f317217, v34, -v36
	v_fmac_f32_e32 v37, 0x3377d1cf, v34
	s_delay_alu instid0(VALU_DEP_1) | instskip(SKIP_1) | instid1(VALU_DEP_2)
	v_add_f32_e32 v36, v36, v37
	v_fma_f32 v37, |v33|, v38, 0x3f528d33
	v_cndmask_b32_e64 v34, v34, v36, s3
	v_cndmask_b32_e64 v36, 0, 0x41b17218, s5
	s_delay_alu instid0(VALU_DEP_3) | instskip(NEXT) | instid1(VALU_DEP_2)
	v_fma_f32 v37, |v33|, v37, 0xbf13c468
	v_sub_f32_e32 v34, v34, v36
	s_delay_alu instid0(VALU_DEP_1)
	v_fma_f32 v34, |v33|, v37, -v34
.LBB9_201:                              ;   in Loop: Header=BB9_161 Depth=1
	s_or_b32 exec_lo, exec_lo, s4
	v_cmp_le_f32_e64 s3, 0, v33
	s_mov_b32 s5, exec_lo
	v_cmpx_nle_f32_e32 0, v33
	s_xor_b32 s6, exec_lo, s5
	s_cbranch_execz .LBB9_205
; %bb.202:                              ;   in Loop: Header=BB9_161 Depth=1
	v_cmp_gt_f32_e64 s4, 0x4b000000, |v33|
	v_cmp_lt_f32_e64 s5, 0x35000000, |v33|
	s_and_b32 s4, s4, s5
	s_delay_alu instid0(SALU_CYCLE_1)
	s_and_saveexec_b32 s7, s4
	s_cbranch_execz .LBB9_204
; %bb.203:                              ;   in Loop: Header=BB9_161 Depth=1
	v_mul_f32_e64 v36, |v33|, 0.5
	v_xor_b32_e32 v35, v35, v33
	s_delay_alu instid0(VALU_DEP_2) | instskip(SKIP_1) | instid1(VALU_DEP_2)
	v_floor_f32_e32 v37, v36
	v_cmp_neq_f32_e64 s4, 0x7f800000, v36
	v_sub_f32_e32 v37, v36, v37
	s_delay_alu instid0(VALU_DEP_1) | instskip(NEXT) | instid1(VALU_DEP_1)
	v_min_num_f32_e32 v37, 0x3f7fffff, v37
	v_add_f32_e32 v37, v37, v37
	s_delay_alu instid0(VALU_DEP_1) | instskip(SKIP_1) | instid1(VALU_DEP_1)
	v_cndmask_b32_e64 v36, 0, v37, s4
	v_cmp_gt_f32_e64 s4, |v33|, 1.0
	v_cndmask_b32_e64 v36, |v33|, v36, s4
	s_delay_alu instid0(VALU_DEP_1) | instskip(NEXT) | instid1(VALU_DEP_1)
	v_add_f32_e32 v37, v36, v36
	v_rndne_f32_e32 v37, v37
	s_delay_alu instid0(VALU_DEP_1) | instskip(SKIP_1) | instid1(VALU_DEP_2)
	v_fmac_f32_e32 v36, -0.5, v37
	v_cvt_i32_f32_e32 v37, v37
	v_mul_f32_e32 v38, v36, v36
	s_delay_alu instid0(VALU_DEP_1) | instskip(SKIP_1) | instid1(VALU_DEP_2)
	v_fmaak_f32 v39, s28, v38, 0xbf1f24be
	v_dual_fmaak_f32 v40, s29, v38, 0x3e642e9d :: v_dual_mul_f32 v41, v36, v38
	v_fmaak_f32 v39, v38, v39, 0x40234736
	s_delay_alu instid0(VALU_DEP_2) | instskip(NEXT) | instid1(VALU_DEP_2)
	v_fmaak_f32 v40, v38, v40, 0xbfaad1da
	v_fmaak_f32 v39, v38, v39, 0xc0a55e0e
	s_delay_alu instid0(VALU_DEP_1) | instskip(NEXT) | instid1(VALU_DEP_1)
	v_mul_f32_e32 v39, v41, v39
	v_fmac_f32_e32 v39, 0x40490fdb, v36
	v_dual_lshlrev_b32 v37, 30, v37 :: v_dual_bitop2_b32 v41, 1, v37 bitop3:0x40
	v_fmaak_f32 v40, v38, v40, 0x4081e0d3
	s_delay_alu instid0(VALU_DEP_2) | instskip(NEXT) | instid1(VALU_DEP_3)
	v_cmp_eq_u32_e64 s4, 0, v41
	v_and_b32_e32 v37, 0x80000000, v37
	s_delay_alu instid0(VALU_DEP_3) | instskip(NEXT) | instid1(VALU_DEP_1)
	v_fmaak_f32 v40, v38, v40, 0xc09de9e6
	v_fma_f32 v36, v38, v40, 1.0
	s_delay_alu instid0(VALU_DEP_1) | instskip(NEXT) | instid1(VALU_DEP_1)
	v_cndmask_b32_e64 v36, v36, v39, s4
	v_xor3_b32 v35, v35, v37, v36
	s_delay_alu instid0(VALU_DEP_1) | instskip(NEXT) | instid1(VALU_DEP_1)
	v_mul_f32_e32 v35, v33, v35
	v_frexp_mant_f32_e64 v36, |v35|
	v_frexp_exp_i32_f32_e32 v35, v35
	s_delay_alu instid0(VALU_DEP_2) | instskip(SKIP_1) | instid1(TRANS32_DEP_1)
	v_rcp_f32_e32 v36, v36
	v_nop
	v_dual_mul_f32 v36, 0x3f490fdb, v36 :: v_dual_sub_nc_u32 v35, 2, v35
	s_delay_alu instid0(VALU_DEP_1) | instskip(NEXT) | instid1(VALU_DEP_1)
	v_ldexp_f32 v35, v36, v35
	v_cmp_gt_f32_e64 s4, 0x800000, v35
	s_delay_alu instid0(VALU_DEP_1) | instskip(NEXT) | instid1(VALU_DEP_1)
	v_cndmask_b32_e64 v36, 0, 32, s4
	v_ldexp_f32 v35, v35, v36
	s_delay_alu instid0(VALU_DEP_1) | instskip(SKIP_1) | instid1(TRANS32_DEP_1)
	v_log_f32_e32 v35, v35
	v_nop
	v_mul_f32_e32 v36, 0x3f317217, v35
	v_cmp_gt_f32_e64 s5, 0x7f800000, |v35|
	s_delay_alu instid0(VALU_DEP_2) | instskip(NEXT) | instid1(VALU_DEP_1)
	v_fma_f32 v37, 0x3f317217, v35, -v36
	v_fmac_f32_e32 v37, 0x3377d1cf, v35
	s_delay_alu instid0(VALU_DEP_1) | instskip(SKIP_1) | instid1(VALU_DEP_2)
	v_add_f32_e32 v36, v36, v37
	v_floor_f32_e32 v37, v33
	v_cndmask_b32_e64 v35, v35, v36, s5
	v_cndmask_b32_e64 v36, 0, 0x41b17218, s4
	s_delay_alu instid0(VALU_DEP_1) | instskip(NEXT) | instid1(VALU_DEP_1)
	v_dual_sub_f32 v37, v33, v37 :: v_dual_sub_f32 v35, v35, v36
	v_min_num_f32_e32 v36, 0x3f7fffff, v37
	s_delay_alu instid0(VALU_DEP_2) | instskip(NEXT) | instid1(VALU_DEP_2)
	v_sub_f32_e32 v34, v35, v34
	v_cmp_neq_f32_e64 s4, 0, v36
	s_delay_alu instid0(VALU_DEP_1)
	v_cndmask_b32_e64 v34, 0x7f800000, v34, s4
.LBB9_204:                              ;   in Loop: Header=BB9_161 Depth=1
	s_or_b32 exec_lo, exec_lo, s7
.LBB9_205:                              ;   in Loop: Header=BB9_161 Depth=1
	s_and_not1_saveexec_b32 s6, s6
; %bb.206:                              ;   in Loop: Header=BB9_161 Depth=1
	v_cmp_eq_f32_e64 s4, 1.0, v33
	v_cmp_eq_f32_e64 s5, 2.0, v33
	s_or_b32 s4, s4, s5
	s_delay_alu instid0(SALU_CYCLE_1)
	v_cndmask_b32_e64 v34, v34, 0, s4
; %bb.207:                              ;   in Loop: Header=BB9_161 Depth=1
	s_or_b32 exec_lo, exec_lo, s6
	v_and_b32_e32 v36, 0x7fffffff, v32
                                        ; implicit-def: $vgpr35
	s_mov_b32 s5, exec_lo
	v_cmpx_ngt_f32_e64 0x3c800000, |v32|
	s_xor_b32 s6, exec_lo, s5
	s_cbranch_execz .LBB9_237
; %bb.208:                              ;   in Loop: Header=BB9_161 Depth=1
                                        ; implicit-def: $vgpr35
	s_mov_b32 s5, exec_lo
	v_cmpx_nlt_f32_e64 |v32|, 2.0
	s_xor_b32 s7, exec_lo, s5
	s_cbranch_execz .LBB9_218
; %bb.209:                              ;   in Loop: Header=BB9_161 Depth=1
	s_mov_b32 s5, exec_lo
                                        ; implicit-def: $vgpr35
	v_cmpx_ngt_f32_e64 0x41000000, |v32|
	s_xor_b32 s5, exec_lo, s5
	s_cbranch_execz .LBB9_215
; %bb.210:                              ;   in Loop: Header=BB9_161 Depth=1
	s_mov_b32 s8, exec_lo
                                        ; implicit-def: $vgpr35
	v_cmpx_ngt_f32_e64 0x5c800000, |v32|
	s_xor_b32 s8, exec_lo, s8
	s_cbranch_execz .LBB9_212
; %bb.211:                              ;   in Loop: Header=BB9_161 Depth=1
	v_cmp_gt_f32_e64 s30, 0x800000, |v32|
	s_delay_alu instid0(VALU_DEP_1) | instskip(NEXT) | instid1(VALU_DEP_1)
	v_cndmask_b32_e64 v35, 0, 32, s30
	v_ldexp_f32 v35, |v32|, v35
	s_delay_alu instid0(VALU_DEP_1) | instskip(SKIP_1) | instid1(TRANS32_DEP_1)
	v_log_f32_e32 v35, v35
	v_nop
	v_mul_f32_e32 v37, 0x3f317217, v35
	v_cmp_gt_f32_e64 s4, 0x7f800000, |v35|
	s_delay_alu instid0(VALU_DEP_2) | instskip(NEXT) | instid1(VALU_DEP_1)
	v_fma_f32 v38, 0x3f317217, v35, -v37
	v_fmac_f32_e32 v38, 0x3377d1cf, v35
	s_delay_alu instid0(VALU_DEP_1) | instskip(NEXT) | instid1(VALU_DEP_1)
	v_add_f32_e32 v37, v37, v38
	v_cndmask_b32_e64 v35, v35, v37, s4
	v_cndmask_b32_e64 v37, 0, 0x41b17218, s30
	s_delay_alu instid0(VALU_DEP_1) | instskip(NEXT) | instid1(VALU_DEP_1)
	v_sub_f32_e32 v35, v35, v37
	v_fma_f32 v35, |v32|, v35, -|v32|
.LBB9_212:                              ;   in Loop: Header=BB9_161 Depth=1
	s_and_not1_saveexec_b32 s8, s8
	s_cbranch_execz .LBB9_214
; %bb.213:                              ;   in Loop: Header=BB9_161 Depth=1
	v_cmp_gt_f32_e64 s30, 0x800000, |v32|
	v_rcp_f32_e64 v37, |v32|
	s_delay_alu instid0(VALU_DEP_1) | instskip(NEXT) | instid1(VALU_DEP_1)
	v_cndmask_b32_e64 v35, 0, 32, s30
	v_ldexp_f32 v35, |v32|, v35
	s_delay_alu instid0(VALU_DEP_1) | instskip(SKIP_1) | instid1(TRANS32_DEP_1)
	v_log_f32_e32 v35, v35
	v_nop
	v_dual_mul_f32 v38, v37, v37 :: v_dual_mul_f32 v39, 0x3f317217, v35
	v_cmp_gt_f32_e64 s4, 0x7f800000, |v35|
	s_delay_alu instid0(VALU_DEP_2) | instskip(NEXT) | instid1(VALU_DEP_1)
	v_fma_f32 v41, 0x3f317217, v35, -v39
	v_fmac_f32_e32 v41, 0x3377d1cf, v35
	s_delay_alu instid0(VALU_DEP_1) | instskip(NEXT) | instid1(VALU_DEP_1)
	v_dual_fmaak_f32 v40, s20, v38, 0x3a5b3dd2 :: v_dual_add_f32 v39, v39, v41
	v_cndmask_b32_e64 v35, v35, v39, s4
	v_cndmask_b32_e64 v39, 0, 0x41b17218, s30
	s_delay_alu instid0(VALU_DEP_1) | instskip(NEXT) | instid1(VALU_DEP_1)
	v_dual_fmaak_f32 v40, v38, v40, 0xba1c065c :: v_dual_sub_f32 v39, v35, v39
	v_fmaak_f32 v40, v38, v40, 0x3a500cfd
	s_delay_alu instid0(VALU_DEP_1) | instskip(NEXT) | instid1(VALU_DEP_1)
	v_fmaak_f32 v40, v38, v40, 0xbb360b61
	v_fmaak_f32 v38, v38, v40, 0x3daaaaab
	s_delay_alu instid0(VALU_DEP_1) | instskip(SKIP_2) | instid1(VALU_DEP_1)
	v_fmaak_f32 v35, v37, v38, 0x3ed67f1d
	v_add_f32_e64 v37, |v32|, -0.5
	v_add_f32_e32 v38, -1.0, v39
	v_fmac_f32_e32 v35, v37, v38
.LBB9_214:                              ;   in Loop: Header=BB9_161 Depth=1
	s_or_b32 exec_lo, exec_lo, s8
.LBB9_215:                              ;   in Loop: Header=BB9_161 Depth=1
	s_and_not1_saveexec_b32 s8, s5
	s_cbranch_execz .LBB9_217
; %bb.216:                              ;   in Loop: Header=BB9_161 Depth=1
	v_cvt_i32_f32_e32 v35, v36
	s_delay_alu instid0(VALU_DEP_1) | instskip(SKIP_1) | instid1(VALU_DEP_2)
	v_cvt_f32_i32_e32 v37, v35
	v_cmp_lt_i32_e64 s4, 3, v35
	v_sub_f32_e64 v38, |v32|, v37
	s_delay_alu instid0(VALU_DEP_1) | instskip(NEXT) | instid1(VALU_DEP_1)
	v_pk_add_f32 v[40:41], v[38:39], v[28:29] op_sel_hi:[0,1]
	v_dual_add_f32 v37, 4.0, v38 :: v_dual_cndmask_b32 v39, 1.0, v41, s4
	v_cmp_lt_i32_e64 s4, 2, v35
	v_add_f32_e32 v41, 0x40a00000, v38
	s_delay_alu instid0(VALU_DEP_2) | instskip(SKIP_1) | instid1(VALU_DEP_1)
	v_cndmask_b32_e64 v40, 1.0, v40, s4
	v_cmp_lt_i32_e64 s4, 4, v35
	v_dual_cndmask_b32 v37, 1.0, v37, s4 :: v_dual_mul_f32 v39, v40, v39
	v_add_f32_e32 v40, 0x40c00000, v38
	v_cmp_lt_i32_e64 s4, 5, v35
	s_delay_alu instid0(VALU_DEP_1) | instskip(SKIP_1) | instid1(VALU_DEP_1)
	v_dual_mul_f32 v37, v37, v39 :: v_dual_cndmask_b32 v41, 1.0, v41, s4
	v_cmp_lt_i32_e64 s4, 6, v35
	v_dual_mul_f32 v37, v41, v37 :: v_dual_cndmask_b32 v35, 1.0, v40, s4
	s_delay_alu instid0(VALU_DEP_1) | instskip(NEXT) | instid1(VALU_DEP_1)
	v_dual_fmaak_f32 v40, s9, v38, 0x3af135b4 :: v_dual_mul_f32 v35, v35, v37
	v_cmp_gt_f32_e64 s4, 0x800000, v35
	s_delay_alu instid0(VALU_DEP_1) | instskip(NEXT) | instid1(VALU_DEP_1)
	v_cndmask_b32_e64 v39, 0, 32, s4
	v_ldexp_f32 v35, v35, v39
	s_delay_alu instid0(VALU_DEP_4) | instskip(NEXT) | instid1(VALU_DEP_2)
	v_fmaak_f32 v39, v38, v40, 0x3cda40e4
	v_log_f32_e32 v35, v35
	s_delay_alu instid0(VALU_DEP_1) | instskip(NEXT) | instid1(VALU_DEP_1)
	v_fmaak_f32 v39, v38, v39, 0x3e15dce6
	v_fmaak_f32 v39, v38, v39, 0x3ea6cc7a
	s_delay_alu instid0(TRANS32_DEP_1) | instskip(NEXT) | instid1(VALU_DEP_2)
	v_cmp_gt_f32_e64 s5, 0x7f800000, |v35|
	v_fmaak_f32 v39, v38, v39, 0x3e5c245a
	s_delay_alu instid0(VALU_DEP_1) | instskip(NEXT) | instid1(VALU_DEP_1)
	v_fmaak_f32 v39, v38, v39, 0xbd9e233f
	v_mul_f32_e32 v39, v38, v39
	v_mul_f32_e32 v40, 0x3f317217, v35
	s_delay_alu instid0(VALU_DEP_1) | instskip(NEXT) | instid1(VALU_DEP_1)
	v_fma_f32 v41, 0x3f317217, v35, -v40
	v_fmac_f32_e32 v41, 0x3377d1cf, v35
	s_delay_alu instid0(VALU_DEP_1) | instskip(NEXT) | instid1(VALU_DEP_1)
	v_dual_fmaak_f32 v37, s12, v38, 0x3a4beed6 :: v_dual_add_f32 v40, v40, v41
	v_fmaak_f32 v37, v38, v37, 0x3c98bf54
	s_delay_alu instid0(VALU_DEP_2) | instskip(NEXT) | instid1(VALU_DEP_2)
	v_cndmask_b32_e64 v35, v35, v40, s5
	v_fmaak_f32 v37, v38, v37, 0x3e300f6e
	s_delay_alu instid0(VALU_DEP_1) | instskip(NEXT) | instid1(VALU_DEP_1)
	v_fmaak_f32 v37, v38, v37, 0x3f38d0c5
	v_fmaak_f32 v37, v38, v37, 0x3fb22d3b
	s_delay_alu instid0(VALU_DEP_1) | instskip(NEXT) | instid1(VALU_DEP_1)
	v_fma_f32 v37, v38, v37, 1.0
	v_rcp_f32_e32 v37, v37
	v_nop
	s_delay_alu instid0(TRANS32_DEP_1) | instskip(SKIP_1) | instid1(VALU_DEP_1)
	v_mul_f32_e32 v37, v39, v37
	v_cndmask_b32_e64 v39, 0, 0x41b17218, s4
	v_dual_fmac_f32 v37, 0.5, v38 :: v_dual_sub_f32 v35, v35, v39
	s_delay_alu instid0(VALU_DEP_1)
	v_add_f32_e32 v35, v35, v37
.LBB9_217:                              ;   in Loop: Header=BB9_161 Depth=1
	s_or_b32 exec_lo, exec_lo, s8
.LBB9_218:                              ;   in Loop: Header=BB9_161 Depth=1
	s_and_not1_saveexec_b32 s7, s7
	s_cbranch_execz .LBB9_236
; %bb.219:                              ;   in Loop: Header=BB9_161 Depth=1
                                        ; implicit-def: $vgpr35
                                        ; implicit-def: $vgpr38
                                        ; implicit-def: $vgpr37
	s_mov_b32 s5, exec_lo
	v_cmpx_ge_f32_e64 0x3f666666, |v32|
	s_xor_b32 s8, exec_lo, s5
	s_cbranch_execz .LBB9_221
; %bb.220:                              ;   in Loop: Header=BB9_161 Depth=1
	v_cmp_gt_f32_e64 s5, 0x800000, |v32|
	v_sub_f32_e64 v39, 1.0, |v32|
	v_cmp_gt_f32_e64 s4, 0x3f3b4a23, |v32|
	s_delay_alu instid0(VALU_DEP_3) | instskip(SKIP_1) | instid1(VALU_DEP_2)
	v_cndmask_b32_e64 v35, 0, 32, s5
	v_cndmask_b32_e64 v40, 0, 0x41b17218, s5
	v_ldexp_f32 v35, |v32|, v35
	s_delay_alu instid0(VALU_DEP_1) | instskip(SKIP_1) | instid1(TRANS32_DEP_1)
	v_log_f32_e32 v35, v35
	v_nop
	v_mul_f32_e32 v37, 0x3f317217, v35
	v_cmp_gt_f32_e64 s5, 0x7f800000, |v35|
	s_delay_alu instid0(VALU_DEP_2) | instskip(NEXT) | instid1(VALU_DEP_1)
	v_fma_f32 v38, 0x3f317217, v35, -v37
	v_fmac_f32_e32 v38, 0x3377d1cf, v35
	s_delay_alu instid0(VALU_DEP_1) | instskip(SKIP_1) | instid1(VALU_DEP_2)
	v_add_f32_e32 v37, v37, v38
	v_add_f32_e64 v38, 0xbeec5b0c, |v32|
	v_cndmask_b32_e64 v35, v35, v37, s5
	s_delay_alu instid0(VALU_DEP_2) | instskip(SKIP_2) | instid1(VALU_DEP_4)
	v_cndmask_b32_e64 v37, v39, v38, s4
	v_cndmask_b32_e64 v38, 0, 1, s4
	v_cmp_gt_f32_e64 s4, 0x3e6d3309, |v32|
	v_sub_f32_e32 v35, v35, v40
	s_delay_alu instid0(VALU_DEP_2) | instskip(NEXT) | instid1(VALU_DEP_4)
	v_cndmask_b32_e64 v37, v37, |v32|, s4
	v_cndmask_b32_e64 v38, v38, 2, s4
	s_delay_alu instid0(VALU_DEP_3)
	v_xor_b32_e32 v35, 0x80000000, v35
.LBB9_221:                              ;   in Loop: Header=BB9_161 Depth=1
	s_and_not1_saveexec_b32 s5, s8
	s_cbranch_execz .LBB9_223
; %bb.222:                              ;   in Loop: Header=BB9_161 Depth=1
	v_sub_f32_e64 v35, 2.0, |v32|
	v_add_f32_e64 v37, 0xbfbb16c3, |v32|
	v_cmp_gt_f32_e64 s4, 0x3fdda512, |v32|
	v_add_f32_e64 v38, |v32|, -1.0
	s_delay_alu instid0(VALU_DEP_2) | instskip(SKIP_2) | instid1(VALU_DEP_2)
	v_cndmask_b32_e64 v37, v35, v37, s4
	v_cndmask_b32_e64 v35, v35, 1.0, s4
	v_cmp_gt_f32_e64 s4, 0x3f9d70a4, |v32|
	v_cvt_i32_f32_e32 v35, v35
	s_delay_alu instid0(VALU_DEP_2) | instskip(NEXT) | instid1(VALU_DEP_2)
	v_cndmask_b32_e64 v37, v37, v38, s4
	v_cndmask_b32_e64 v38, v35, 2, s4
	v_mov_b32_e32 v35, 0
.LBB9_223:                              ;   in Loop: Header=BB9_161 Depth=1
	s_or_b32 exec_lo, exec_lo, s5
	s_delay_alu instid0(SALU_CYCLE_1) | instskip(NEXT) | instid1(VALU_DEP_2)
	s_mov_b32 s5, exec_lo
	v_cmpx_lt_i32_e32 0, v38
	s_xor_b32 s5, exec_lo, s5
	s_cbranch_execz .LBB9_231
; %bb.224:                              ;   in Loop: Header=BB9_161 Depth=1
	s_mov_b32 s8, exec_lo
	v_cmpx_lt_i32_e32 1, v38
	s_xor_b32 s8, exec_lo, s8
	s_cbranch_execz .LBB9_228
; %bb.225:                              ;   in Loop: Header=BB9_161 Depth=1
	s_mov_b32 s30, exec_lo
	v_cmpx_eq_u32_e32 2, v38
	s_cbranch_execz .LBB9_227
; %bb.226:                              ;   in Loop: Header=BB9_161 Depth=1
	v_fmaak_f32 v39, s13, v37, 0x3e6a7578
	s_delay_alu instid0(VALU_DEP_1) | instskip(NEXT) | instid1(VALU_DEP_1)
	v_fmaak_f32 v39, v37, v39, 0x3f7a4bb2
	v_fmaak_f32 v39, v37, v39, 0x3fba3ae7
	s_delay_alu instid0(VALU_DEP_1) | instskip(NEXT) | instid1(VALU_DEP_1)
	v_fmaak_f32 v39, v37, v39, 0x3f2200f4
	v_fmaak_f32 v39, v37, v39, 0xbd9e233f
	s_delay_alu instid0(VALU_DEP_1) | instskip(NEXT) | instid1(VALU_DEP_1)
	v_dual_fmaak_f32 v38, s21, v37, 0x3dd572af :: v_dual_mul_f32 v39, v37, v39
	v_fmaak_f32 v38, v37, v38, 0x3f44efdf
	s_delay_alu instid0(VALU_DEP_1) | instskip(NEXT) | instid1(VALU_DEP_1)
	v_fmaak_f32 v38, v37, v38, 0x4008392d
	v_fmaak_f32 v38, v37, v38, 0x401d2ebe
	s_delay_alu instid0(VALU_DEP_1) | instskip(NEXT) | instid1(VALU_DEP_1)
	v_fma_f32 v38, v37, v38, 1.0
	v_rcp_f32_e32 v38, v38
	v_nop
	s_delay_alu instid0(TRANS32_DEP_1) | instskip(NEXT) | instid1(VALU_DEP_1)
	v_mul_f32_e32 v38, v39, v38
	v_fmac_f32_e32 v38, -0.5, v37
	s_delay_alu instid0(VALU_DEP_1)
	v_add_f32_e32 v35, v35, v38
.LBB9_227:                              ;   in Loop: Header=BB9_161 Depth=1
	s_or_b32 exec_lo, exec_lo, s30
                                        ; implicit-def: $vgpr37
.LBB9_228:                              ;   in Loop: Header=BB9_161 Depth=1
	s_and_not1_saveexec_b32 s4, s8
	s_cbranch_execz .LBB9_230
; %bb.229:                              ;   in Loop: Header=BB9_161 Depth=1
	v_mul_f32_e32 v38, v37, v37
	s_delay_alu instid0(VALU_DEP_1) | instskip(NEXT) | instid1(VALU_DEP_1)
	v_mul_f32_e32 v39, v37, v38
	v_fmaak_f32 v40, s23, v39, 0x3a66f867
	v_fmaak_f32 v41, s24, v39, 0xba0d3085
	s_delay_alu instid0(VALU_DEP_2) | instskip(NEXT) | instid1(VALU_DEP_2)
	v_fmaak_f32 v40, v39, v40, 0xbb7177fe
	v_fmaak_f32 v41, v39, v41, 0x3b141699
	s_delay_alu instid0(VALU_DEP_2) | instskip(NEXT) | instid1(VALU_DEP_2)
	;; [unrolled: 3-line block ×3, first 2 shown]
	v_fmaak_f32 v40, v39, v40, 0xbe17213c
	v_fmaak_f32 v41, v39, v41, 0x3d845a15
	s_delay_alu instid0(VALU_DEP_1) | instskip(SKIP_1) | instid1(VALU_DEP_1)
	v_fmac_f32_e32 v40, v37, v41
	v_fmaak_f32 v42, s22, v39, 0xbab7f476
	v_fmaak_f32 v42, v39, v42, 0x3bc7e707
	s_delay_alu instid0(VALU_DEP_1) | instskip(NEXT) | instid1(VALU_DEP_1)
	v_fmaak_f32 v42, v39, v42, 0xbd064d47
	v_fmaak_f32 v37, v39, v42, 0x3ef7b95e
	v_fma_f32 v39, v39, -v40, 0xa2863e55
	s_delay_alu instid0(VALU_DEP_1) | instskip(NEXT) | instid1(VALU_DEP_1)
	v_fma_f32 v37, v38, v37, -v39
	v_add_f32_e32 v37, 0xbdf8cdce, v37
	s_delay_alu instid0(VALU_DEP_1)
	v_add_f32_e32 v35, v35, v37
.LBB9_230:                              ;   in Loop: Header=BB9_161 Depth=1
	s_or_b32 exec_lo, exec_lo, s4
                                        ; implicit-def: $vgpr38
                                        ; implicit-def: $vgpr37
.LBB9_231:                              ;   in Loop: Header=BB9_161 Depth=1
	s_and_not1_saveexec_b32 s5, s5
	s_cbranch_execz .LBB9_235
; %bb.232:                              ;   in Loop: Header=BB9_161 Depth=1
	s_mov_b32 s8, exec_lo
	v_cmpx_eq_u32_e32 0, v38
	s_cbranch_execz .LBB9_234
; %bb.233:                              ;   in Loop: Header=BB9_161 Depth=1
	v_mul_f32_e32 v38, v37, v37
	s_delay_alu instid0(VALU_DEP_1) | instskip(NEXT) | instid1(VALU_DEP_1)
	v_fmaak_f32 v40, s25, v38, 0x39679767
	v_fmaak_f32 v40, v38, v40, 0x3a9c54a1
	s_delay_alu instid0(VALU_DEP_1) | instskip(NEXT) | instid1(VALU_DEP_1)
	v_fmaak_f32 v40, v38, v40, 0x3bf2027e
	v_fmaak_f32 v40, v38, v40, 0x3d89f001
	s_delay_alu instid0(VALU_DEP_1) | instskip(SKIP_1) | instid1(VALU_DEP_1)
	v_fmaak_f32 v40, v38, v40, 0x3d9e233f
	v_fmaak_f32 v39, s26, v38, 0x38e28445
	;; [unrolled: 1-line block ×3, first 2 shown]
	s_delay_alu instid0(VALU_DEP_1) | instskip(NEXT) | instid1(VALU_DEP_1)
	v_fmaak_f32 v39, v38, v39, 0x3b3d6ec6
	v_fmaak_f32 v39, v38, v39, 0x3ca89915
	s_delay_alu instid0(VALU_DEP_1) | instskip(NEXT) | instid1(VALU_DEP_1)
	v_fmaak_f32 v39, v38, v39, 0x3ea51a66
	v_mul_f32_e32 v38, v38, v39
	s_delay_alu instid0(VALU_DEP_1) | instskip(NEXT) | instid1(VALU_DEP_1)
	v_fmac_f32_e32 v38, v37, v40
	v_fmac_f32_e32 v38, -0.5, v37
	s_delay_alu instid0(VALU_DEP_1)
	v_add_f32_e32 v35, v35, v38
.LBB9_234:                              ;   in Loop: Header=BB9_161 Depth=1
	s_or_b32 exec_lo, exec_lo, s8
.LBB9_235:                              ;   in Loop: Header=BB9_161 Depth=1
	s_delay_alu instid0(SALU_CYCLE_1)
	s_or_b32 exec_lo, exec_lo, s5
.LBB9_236:                              ;   in Loop: Header=BB9_161 Depth=1
	s_delay_alu instid0(SALU_CYCLE_1)
	s_or_b32 exec_lo, exec_lo, s7
.LBB9_237:                              ;   in Loop: Header=BB9_161 Depth=1
	s_and_not1_saveexec_b32 s5, s6
	s_cbranch_execz .LBB9_239
; %bb.238:                              ;   in Loop: Header=BB9_161 Depth=1
	v_cmp_gt_f32_e64 s6, 0x800000, |v32|
	v_fma_f32 v39, |v32|, s27, 0xbecd26ab
	s_delay_alu instid0(VALU_DEP_2) | instskip(NEXT) | instid1(VALU_DEP_1)
	v_cndmask_b32_e64 v35, 0, 32, s6
	v_ldexp_f32 v35, |v32|, v35
	s_delay_alu instid0(VALU_DEP_1) | instskip(SKIP_1) | instid1(TRANS32_DEP_1)
	v_log_f32_e32 v35, v35
	v_nop
	v_mul_f32_e32 v37, 0x3f317217, v35
	v_cmp_gt_f32_e64 s4, 0x7f800000, |v35|
	s_delay_alu instid0(VALU_DEP_2) | instskip(NEXT) | instid1(VALU_DEP_1)
	v_fma_f32 v38, 0x3f317217, v35, -v37
	v_fmac_f32_e32 v38, 0x3377d1cf, v35
	s_delay_alu instid0(VALU_DEP_1) | instskip(SKIP_1) | instid1(VALU_DEP_2)
	v_add_f32_e32 v37, v37, v38
	v_fma_f32 v38, |v32|, v39, 0x3f528d33
	v_cndmask_b32_e64 v35, v35, v37, s4
	v_cndmask_b32_e64 v37, 0, 0x41b17218, s6
	s_delay_alu instid0(VALU_DEP_3) | instskip(NEXT) | instid1(VALU_DEP_2)
	v_fma_f32 v38, |v32|, v38, 0xbf13c468
	v_sub_f32_e32 v35, v35, v37
	s_delay_alu instid0(VALU_DEP_1)
	v_fma_f32 v35, |v32|, v38, -v35
.LBB9_239:                              ;   in Loop: Header=BB9_161 Depth=1
	s_or_b32 exec_lo, exec_lo, s5
	v_cmp_le_f32_e64 s4, 0, v32
	s_mov_b32 s6, exec_lo
	v_cmpx_nle_f32_e32 0, v32
	s_xor_b32 s7, exec_lo, s6
	s_cbranch_execz .LBB9_243
; %bb.240:                              ;   in Loop: Header=BB9_161 Depth=1
	v_cmp_gt_f32_e64 s5, 0x4b000000, |v32|
	v_cmp_lt_f32_e64 s6, 0x35000000, |v32|
	s_and_b32 s5, s5, s6
	s_delay_alu instid0(SALU_CYCLE_1)
	s_and_saveexec_b32 s8, s5
	s_cbranch_execz .LBB9_242
; %bb.241:                              ;   in Loop: Header=BB9_161 Depth=1
	v_mul_f32_e64 v37, |v32|, 0.5
	v_xor_b32_e32 v36, v36, v32
	s_delay_alu instid0(VALU_DEP_2) | instskip(SKIP_1) | instid1(VALU_DEP_2)
	v_floor_f32_e32 v38, v37
	v_cmp_neq_f32_e64 s5, 0x7f800000, v37
	v_sub_f32_e32 v38, v37, v38
	s_delay_alu instid0(VALU_DEP_1) | instskip(NEXT) | instid1(VALU_DEP_1)
	v_min_num_f32_e32 v38, 0x3f7fffff, v38
	v_add_f32_e32 v38, v38, v38
	s_delay_alu instid0(VALU_DEP_1) | instskip(SKIP_1) | instid1(VALU_DEP_1)
	v_cndmask_b32_e64 v37, 0, v38, s5
	v_cmp_gt_f32_e64 s5, |v32|, 1.0
	v_cndmask_b32_e64 v37, |v32|, v37, s5
	s_delay_alu instid0(VALU_DEP_1) | instskip(NEXT) | instid1(VALU_DEP_1)
	v_add_f32_e32 v38, v37, v37
	v_rndne_f32_e32 v38, v38
	s_delay_alu instid0(VALU_DEP_1) | instskip(SKIP_1) | instid1(VALU_DEP_2)
	v_fmac_f32_e32 v37, -0.5, v38
	v_cvt_i32_f32_e32 v38, v38
	v_mul_f32_e32 v39, v37, v37
	s_delay_alu instid0(VALU_DEP_1) | instskip(SKIP_1) | instid1(VALU_DEP_2)
	v_fmaak_f32 v40, s28, v39, 0xbf1f24be
	v_dual_fmaak_f32 v41, s29, v39, 0x3e642e9d :: v_dual_mul_f32 v42, v37, v39
	v_fmaak_f32 v40, v39, v40, 0x40234736
	s_delay_alu instid0(VALU_DEP_2) | instskip(NEXT) | instid1(VALU_DEP_2)
	v_fmaak_f32 v41, v39, v41, 0xbfaad1da
	v_fmaak_f32 v40, v39, v40, 0xc0a55e0e
	s_delay_alu instid0(VALU_DEP_1) | instskip(NEXT) | instid1(VALU_DEP_1)
	v_mul_f32_e32 v40, v42, v40
	v_fmac_f32_e32 v40, 0x40490fdb, v37
	v_dual_lshlrev_b32 v38, 30, v38 :: v_dual_bitop2_b32 v42, 1, v38 bitop3:0x40
	v_fmaak_f32 v41, v39, v41, 0x4081e0d3
	s_delay_alu instid0(VALU_DEP_2) | instskip(NEXT) | instid1(VALU_DEP_3)
	v_cmp_eq_u32_e64 s5, 0, v42
	v_and_b32_e32 v38, 0x80000000, v38
	s_delay_alu instid0(VALU_DEP_3) | instskip(NEXT) | instid1(VALU_DEP_1)
	v_fmaak_f32 v41, v39, v41, 0xc09de9e6
	v_fma_f32 v37, v39, v41, 1.0
	s_delay_alu instid0(VALU_DEP_1) | instskip(NEXT) | instid1(VALU_DEP_1)
	v_cndmask_b32_e64 v37, v37, v40, s5
	v_xor3_b32 v36, v36, v38, v37
	s_delay_alu instid0(VALU_DEP_1) | instskip(NEXT) | instid1(VALU_DEP_1)
	v_mul_f32_e32 v36, v32, v36
	v_frexp_mant_f32_e64 v37, |v36|
	v_frexp_exp_i32_f32_e32 v36, v36
	s_delay_alu instid0(VALU_DEP_2) | instskip(SKIP_1) | instid1(TRANS32_DEP_1)
	v_rcp_f32_e32 v37, v37
	v_nop
	v_dual_mul_f32 v37, 0x3f490fdb, v37 :: v_dual_sub_nc_u32 v36, 2, v36
	s_delay_alu instid0(VALU_DEP_1) | instskip(NEXT) | instid1(VALU_DEP_1)
	v_ldexp_f32 v36, v37, v36
	v_cmp_gt_f32_e64 s5, 0x800000, v36
	s_delay_alu instid0(VALU_DEP_1) | instskip(NEXT) | instid1(VALU_DEP_1)
	v_cndmask_b32_e64 v37, 0, 32, s5
	v_ldexp_f32 v36, v36, v37
	s_delay_alu instid0(VALU_DEP_1) | instskip(SKIP_1) | instid1(TRANS32_DEP_1)
	v_log_f32_e32 v36, v36
	v_nop
	v_mul_f32_e32 v37, 0x3f317217, v36
	v_cmp_gt_f32_e64 s6, 0x7f800000, |v36|
	s_delay_alu instid0(VALU_DEP_2) | instskip(NEXT) | instid1(VALU_DEP_1)
	v_fma_f32 v38, 0x3f317217, v36, -v37
	v_fmac_f32_e32 v38, 0x3377d1cf, v36
	s_delay_alu instid0(VALU_DEP_1) | instskip(SKIP_1) | instid1(VALU_DEP_2)
	v_add_f32_e32 v37, v37, v38
	v_floor_f32_e32 v38, v32
	v_cndmask_b32_e64 v36, v36, v37, s6
	v_cndmask_b32_e64 v37, 0, 0x41b17218, s5
	s_delay_alu instid0(VALU_DEP_3) | instskip(NEXT) | instid1(VALU_DEP_1)
	v_sub_f32_e32 v38, v32, v38
	v_dual_sub_f32 v36, v36, v37 :: v_dual_min_num_f32 v37, 0x3f7fffff, v38
	s_delay_alu instid0(VALU_DEP_1) | instskip(NEXT) | instid1(VALU_DEP_2)
	v_sub_f32_e32 v35, v36, v35
	v_cmp_neq_f32_e64 s5, 0, v37
	s_delay_alu instid0(VALU_DEP_1)
	v_cndmask_b32_e64 v35, 0x7f800000, v35, s5
.LBB9_242:                              ;   in Loop: Header=BB9_161 Depth=1
	s_or_b32 exec_lo, exec_lo, s8
.LBB9_243:                              ;   in Loop: Header=BB9_161 Depth=1
	s_and_not1_saveexec_b32 s7, s7
; %bb.244:                              ;   in Loop: Header=BB9_161 Depth=1
	v_cmp_eq_f32_e64 s5, 1.0, v32
	v_cmp_eq_f32_e64 s6, 2.0, v32
	s_or_b32 s5, s5, s6
	s_delay_alu instid0(SALU_CYCLE_1)
	v_cndmask_b32_e64 v35, v35, 0, s5
; %bb.245:                              ;   in Loop: Header=BB9_161 Depth=1
	s_or_b32 exec_lo, exec_lo, s7
	v_and_b32_e32 v37, 0x7fffffff, v30
                                        ; implicit-def: $vgpr36
	s_mov_b32 s6, exec_lo
	v_cmpx_ngt_f32_e64 0x3c800000, |v30|
	s_xor_b32 s7, exec_lo, s6
	s_cbranch_execz .LBB9_275
; %bb.246:                              ;   in Loop: Header=BB9_161 Depth=1
                                        ; implicit-def: $vgpr36
	s_mov_b32 s6, exec_lo
	v_cmpx_nlt_f32_e64 |v30|, 2.0
	s_xor_b32 s8, exec_lo, s6
	s_cbranch_execz .LBB9_256
; %bb.247:                              ;   in Loop: Header=BB9_161 Depth=1
	s_mov_b32 s6, exec_lo
                                        ; implicit-def: $vgpr36
	v_cmpx_ngt_f32_e64 0x41000000, |v30|
	s_xor_b32 s6, exec_lo, s6
	s_cbranch_execz .LBB9_253
; %bb.248:                              ;   in Loop: Header=BB9_161 Depth=1
	s_mov_b32 s30, exec_lo
                                        ; implicit-def: $vgpr36
	v_cmpx_ngt_f32_e64 0x5c800000, |v30|
	s_xor_b32 s30, exec_lo, s30
	s_cbranch_execz .LBB9_250
; %bb.249:                              ;   in Loop: Header=BB9_161 Depth=1
	v_cmp_gt_f32_e64 s31, 0x800000, |v30|
	s_delay_alu instid0(VALU_DEP_1) | instskip(NEXT) | instid1(VALU_DEP_1)
	v_cndmask_b32_e64 v36, 0, 32, s31
	v_ldexp_f32 v36, |v30|, v36
	s_delay_alu instid0(VALU_DEP_1) | instskip(SKIP_1) | instid1(TRANS32_DEP_1)
	v_log_f32_e32 v36, v36
	v_nop
	v_mul_f32_e32 v38, 0x3f317217, v36
	v_cmp_gt_f32_e64 s5, 0x7f800000, |v36|
	s_delay_alu instid0(VALU_DEP_2) | instskip(NEXT) | instid1(VALU_DEP_1)
	v_fma_f32 v39, 0x3f317217, v36, -v38
	v_fmac_f32_e32 v39, 0x3377d1cf, v36
	s_delay_alu instid0(VALU_DEP_1) | instskip(NEXT) | instid1(VALU_DEP_1)
	v_add_f32_e32 v38, v38, v39
	v_cndmask_b32_e64 v36, v36, v38, s5
	v_cndmask_b32_e64 v38, 0, 0x41b17218, s31
	s_delay_alu instid0(VALU_DEP_1) | instskip(NEXT) | instid1(VALU_DEP_1)
	v_sub_f32_e32 v36, v36, v38
	v_fma_f32 v36, |v30|, v36, -|v30|
.LBB9_250:                              ;   in Loop: Header=BB9_161 Depth=1
	s_and_not1_saveexec_b32 s30, s30
	s_cbranch_execz .LBB9_252
; %bb.251:                              ;   in Loop: Header=BB9_161 Depth=1
	v_cmp_gt_f32_e64 s31, 0x800000, |v30|
	v_rcp_f32_e64 v38, |v30|
	s_delay_alu instid0(VALU_DEP_1) | instskip(NEXT) | instid1(VALU_DEP_1)
	v_cndmask_b32_e64 v36, 0, 32, s31
	v_ldexp_f32 v36, |v30|, v36
	s_delay_alu instid0(VALU_DEP_1) | instskip(SKIP_1) | instid1(TRANS32_DEP_1)
	v_log_f32_e32 v36, v36
	v_nop
	v_dual_mul_f32 v39, v38, v38 :: v_dual_mul_f32 v40, 0x3f317217, v36
	v_cmp_gt_f32_e64 s5, 0x7f800000, |v36|
	s_delay_alu instid0(VALU_DEP_2) | instskip(NEXT) | instid1(VALU_DEP_1)
	v_fma_f32 v42, 0x3f317217, v36, -v40
	v_fmac_f32_e32 v42, 0x3377d1cf, v36
	s_delay_alu instid0(VALU_DEP_1) | instskip(NEXT) | instid1(VALU_DEP_1)
	v_dual_fmaak_f32 v41, s20, v39, 0x3a5b3dd2 :: v_dual_add_f32 v40, v40, v42
	v_cndmask_b32_e64 v36, v36, v40, s5
	v_cndmask_b32_e64 v40, 0, 0x41b17218, s31
	s_delay_alu instid0(VALU_DEP_1) | instskip(NEXT) | instid1(VALU_DEP_1)
	v_dual_fmaak_f32 v41, v39, v41, 0xba1c065c :: v_dual_sub_f32 v40, v36, v40
	v_fmaak_f32 v41, v39, v41, 0x3a500cfd
	s_delay_alu instid0(VALU_DEP_1) | instskip(NEXT) | instid1(VALU_DEP_1)
	v_fmaak_f32 v41, v39, v41, 0xbb360b61
	v_fmaak_f32 v39, v39, v41, 0x3daaaaab
	s_delay_alu instid0(VALU_DEP_1) | instskip(SKIP_2) | instid1(VALU_DEP_1)
	v_fmaak_f32 v36, v38, v39, 0x3ed67f1d
	v_add_f32_e64 v38, |v30|, -0.5
	v_add_f32_e32 v39, -1.0, v40
	v_fmac_f32_e32 v36, v38, v39
.LBB9_252:                              ;   in Loop: Header=BB9_161 Depth=1
	s_or_b32 exec_lo, exec_lo, s30
.LBB9_253:                              ;   in Loop: Header=BB9_161 Depth=1
	s_and_not1_saveexec_b32 s30, s6
	s_cbranch_execz .LBB9_255
; %bb.254:                              ;   in Loop: Header=BB9_161 Depth=1
	v_cvt_i32_f32_e32 v40, v37
	s_delay_alu instid0(VALU_DEP_1) | instskip(SKIP_1) | instid1(VALU_DEP_2)
	v_cvt_f32_i32_e32 v36, v40
	v_cmp_lt_i32_e64 s5, 3, v40
	v_sub_f32_e64 v36, |v30|, v36
	s_delay_alu instid0(VALU_DEP_1) | instskip(SKIP_1) | instid1(VALU_DEP_2)
	v_pk_add_f32 v[38:39], v[36:37], v[28:29] op_sel_hi:[0,1]
	v_dual_add_f32 v41, 4.0, v36 :: v_dual_add_f32 v42, 0x40a00000, v36
	v_cndmask_b32_e64 v39, 1.0, v39, s5
	v_cmp_lt_i32_e64 s5, 2, v40
	s_delay_alu instid0(VALU_DEP_1) | instskip(SKIP_1) | instid1(VALU_DEP_1)
	v_cndmask_b32_e64 v38, 1.0, v38, s5
	v_cmp_lt_i32_e64 s5, 4, v40
	v_dual_cndmask_b32 v41, 1.0, v41, s5 :: v_dual_mul_f32 v38, v38, v39
	v_add_f32_e32 v39, 0x40c00000, v36
	v_cmp_lt_i32_e64 s5, 5, v40
	s_delay_alu instid0(VALU_DEP_3) | instskip(NEXT) | instid1(VALU_DEP_2)
	v_dual_mul_f32 v38, v41, v38 :: v_dual_fmaak_f32 v41, s9, v36, 0x3af135b4
	v_cndmask_b32_e64 v42, 1.0, v42, s5
	v_cmp_lt_i32_e64 s5, 6, v40
	s_delay_alu instid0(VALU_DEP_1) | instskip(NEXT) | instid1(VALU_DEP_1)
	v_dual_cndmask_b32 v39, 1.0, v39, s5 :: v_dual_mul_f32 v38, v42, v38
	v_dual_mul_f32 v38, v39, v38 :: v_dual_fmaak_f32 v39, s12, v36, 0x3a4beed6
	s_delay_alu instid0(VALU_DEP_1) | instskip(NEXT) | instid1(VALU_DEP_2)
	v_fmaak_f32 v39, v36, v39, 0x3c98bf54
	v_cmp_gt_f32_e64 s5, 0x800000, v38
	s_delay_alu instid0(VALU_DEP_1) | instskip(NEXT) | instid1(VALU_DEP_1)
	v_cndmask_b32_e64 v40, 0, 32, s5
	v_ldexp_f32 v38, v38, v40
	v_fmaak_f32 v40, v36, v41, 0x3cda40e4
	s_delay_alu instid0(VALU_DEP_2) | instskip(SKIP_1) | instid1(TRANS32_DEP_1)
	v_log_f32_e32 v38, v38
	v_nop
	v_mul_f32_e32 v41, 0x3f317217, v38
	v_cmp_gt_f32_e64 s6, 0x7f800000, |v38|
	s_delay_alu instid0(VALU_DEP_2) | instskip(NEXT) | instid1(VALU_DEP_1)
	v_fma_f32 v42, 0x3f317217, v38, -v41
	v_fmac_f32_e32 v42, 0x3377d1cf, v38
	s_delay_alu instid0(VALU_DEP_1) | instskip(NEXT) | instid1(VALU_DEP_1)
	v_dual_add_f32 v41, v41, v42 :: v_dual_fmaak_f32 v40, v36, v40, 0x3e15dce6
	v_cndmask_b32_e64 v38, v38, v41, s6
	s_delay_alu instid0(VALU_DEP_2) | instskip(NEXT) | instid1(VALU_DEP_1)
	v_fmaak_f32 v40, v36, v40, 0x3ea6cc7a
	v_fmaak_f32 v40, v36, v40, 0x3e5c245a
	s_delay_alu instid0(VALU_DEP_1) | instskip(NEXT) | instid1(VALU_DEP_1)
	v_fmaak_f32 v40, v36, v40, 0xbd9e233f
	v_dual_fmaak_f32 v39, v36, v39, 0x3e300f6e :: v_dual_mul_f32 v40, v36, v40
	s_delay_alu instid0(VALU_DEP_1) | instskip(NEXT) | instid1(VALU_DEP_1)
	v_fmaak_f32 v39, v36, v39, 0x3f38d0c5
	v_fmaak_f32 v39, v36, v39, 0x3fb22d3b
	s_delay_alu instid0(VALU_DEP_1) | instskip(NEXT) | instid1(VALU_DEP_1)
	v_fma_f32 v39, v36, v39, 1.0
	v_rcp_f32_e32 v39, v39
	v_nop
	s_delay_alu instid0(TRANS32_DEP_1) | instskip(SKIP_1) | instid1(VALU_DEP_2)
	v_mul_f32_e32 v39, v40, v39
	v_cndmask_b32_e64 v40, 0, 0x41b17218, s5
	v_fmac_f32_e32 v39, 0.5, v36
	s_delay_alu instid0(VALU_DEP_2) | instskip(NEXT) | instid1(VALU_DEP_1)
	v_sub_f32_e32 v36, v38, v40
	v_add_f32_e32 v36, v36, v39
.LBB9_255:                              ;   in Loop: Header=BB9_161 Depth=1
	s_or_b32 exec_lo, exec_lo, s30
.LBB9_256:                              ;   in Loop: Header=BB9_161 Depth=1
	s_and_not1_saveexec_b32 s8, s8
	s_cbranch_execz .LBB9_274
; %bb.257:                              ;   in Loop: Header=BB9_161 Depth=1
                                        ; implicit-def: $vgpr36
                                        ; implicit-def: $vgpr39
                                        ; implicit-def: $vgpr38
	s_mov_b32 s6, exec_lo
	v_cmpx_ge_f32_e64 0x3f666666, |v30|
	s_xor_b32 s30, exec_lo, s6
	s_cbranch_execz .LBB9_259
; %bb.258:                              ;   in Loop: Header=BB9_161 Depth=1
	v_cmp_gt_f32_e64 s6, 0x800000, |v30|
	v_sub_f32_e64 v40, 1.0, |v30|
	v_cmp_gt_f32_e64 s5, 0x3f3b4a23, |v30|
	s_delay_alu instid0(VALU_DEP_3) | instskip(SKIP_1) | instid1(VALU_DEP_2)
	v_cndmask_b32_e64 v36, 0, 32, s6
	v_cndmask_b32_e64 v41, 0, 0x41b17218, s6
	v_ldexp_f32 v36, |v30|, v36
	s_delay_alu instid0(VALU_DEP_1) | instskip(SKIP_1) | instid1(TRANS32_DEP_1)
	v_log_f32_e32 v36, v36
	v_nop
	v_mul_f32_e32 v38, 0x3f317217, v36
	v_cmp_gt_f32_e64 s6, 0x7f800000, |v36|
	s_delay_alu instid0(VALU_DEP_2) | instskip(NEXT) | instid1(VALU_DEP_1)
	v_fma_f32 v39, 0x3f317217, v36, -v38
	v_fmac_f32_e32 v39, 0x3377d1cf, v36
	s_delay_alu instid0(VALU_DEP_1) | instskip(SKIP_1) | instid1(VALU_DEP_2)
	v_add_f32_e32 v38, v38, v39
	v_add_f32_e64 v39, 0xbeec5b0c, |v30|
	v_cndmask_b32_e64 v36, v36, v38, s6
	s_delay_alu instid0(VALU_DEP_2) | instskip(SKIP_2) | instid1(VALU_DEP_4)
	v_cndmask_b32_e64 v38, v40, v39, s5
	v_cndmask_b32_e64 v39, 0, 1, s5
	v_cmp_gt_f32_e64 s5, 0x3e6d3309, |v30|
	v_sub_f32_e32 v36, v36, v41
	s_delay_alu instid0(VALU_DEP_2) | instskip(NEXT) | instid1(VALU_DEP_4)
	v_cndmask_b32_e64 v38, v38, |v30|, s5
	v_cndmask_b32_e64 v39, v39, 2, s5
	s_delay_alu instid0(VALU_DEP_3)
	v_xor_b32_e32 v36, 0x80000000, v36
.LBB9_259:                              ;   in Loop: Header=BB9_161 Depth=1
	s_and_not1_saveexec_b32 s6, s30
	s_cbranch_execz .LBB9_261
; %bb.260:                              ;   in Loop: Header=BB9_161 Depth=1
	v_sub_f32_e64 v36, 2.0, |v30|
	v_add_f32_e64 v38, 0xbfbb16c3, |v30|
	v_cmp_gt_f32_e64 s5, 0x3fdda512, |v30|
	v_add_f32_e64 v39, |v30|, -1.0
	s_delay_alu instid0(VALU_DEP_2) | instskip(SKIP_2) | instid1(VALU_DEP_2)
	v_cndmask_b32_e64 v38, v36, v38, s5
	v_cndmask_b32_e64 v36, v36, 1.0, s5
	v_cmp_gt_f32_e64 s5, 0x3f9d70a4, |v30|
	v_cvt_i32_f32_e32 v36, v36
	s_delay_alu instid0(VALU_DEP_2) | instskip(NEXT) | instid1(VALU_DEP_2)
	v_cndmask_b32_e64 v38, v38, v39, s5
	v_cndmask_b32_e64 v39, v36, 2, s5
	v_mov_b32_e32 v36, 0
.LBB9_261:                              ;   in Loop: Header=BB9_161 Depth=1
	s_or_b32 exec_lo, exec_lo, s6
	s_delay_alu instid0(SALU_CYCLE_1) | instskip(NEXT) | instid1(VALU_DEP_2)
	s_mov_b32 s6, exec_lo
	v_cmpx_lt_i32_e32 0, v39
	s_xor_b32 s6, exec_lo, s6
	s_cbranch_execz .LBB9_269
; %bb.262:                              ;   in Loop: Header=BB9_161 Depth=1
	s_mov_b32 s30, exec_lo
	v_cmpx_lt_i32_e32 1, v39
	s_xor_b32 s30, exec_lo, s30
	s_cbranch_execz .LBB9_266
; %bb.263:                              ;   in Loop: Header=BB9_161 Depth=1
	s_mov_b32 s31, exec_lo
	v_cmpx_eq_u32_e32 2, v39
	s_cbranch_execz .LBB9_265
; %bb.264:                              ;   in Loop: Header=BB9_161 Depth=1
	v_fmaak_f32 v40, s13, v38, 0x3e6a7578
	s_delay_alu instid0(VALU_DEP_1) | instskip(NEXT) | instid1(VALU_DEP_1)
	v_fmaak_f32 v40, v38, v40, 0x3f7a4bb2
	v_fmaak_f32 v40, v38, v40, 0x3fba3ae7
	s_delay_alu instid0(VALU_DEP_1) | instskip(NEXT) | instid1(VALU_DEP_1)
	v_fmaak_f32 v40, v38, v40, 0x3f2200f4
	v_fmaak_f32 v40, v38, v40, 0xbd9e233f
	s_delay_alu instid0(VALU_DEP_1) | instskip(NEXT) | instid1(VALU_DEP_1)
	v_dual_fmaak_f32 v39, s21, v38, 0x3dd572af :: v_dual_mul_f32 v40, v38, v40
	v_fmaak_f32 v39, v38, v39, 0x3f44efdf
	s_delay_alu instid0(VALU_DEP_1) | instskip(NEXT) | instid1(VALU_DEP_1)
	v_fmaak_f32 v39, v38, v39, 0x4008392d
	v_fmaak_f32 v39, v38, v39, 0x401d2ebe
	s_delay_alu instid0(VALU_DEP_1) | instskip(NEXT) | instid1(VALU_DEP_1)
	v_fma_f32 v39, v38, v39, 1.0
	v_rcp_f32_e32 v39, v39
	v_nop
	s_delay_alu instid0(TRANS32_DEP_1) | instskip(NEXT) | instid1(VALU_DEP_1)
	v_mul_f32_e32 v39, v40, v39
	v_fmac_f32_e32 v39, -0.5, v38
	s_delay_alu instid0(VALU_DEP_1)
	v_add_f32_e32 v36, v36, v39
.LBB9_265:                              ;   in Loop: Header=BB9_161 Depth=1
	s_or_b32 exec_lo, exec_lo, s31
                                        ; implicit-def: $vgpr38
.LBB9_266:                              ;   in Loop: Header=BB9_161 Depth=1
	s_and_not1_saveexec_b32 s5, s30
	s_cbranch_execz .LBB9_268
; %bb.267:                              ;   in Loop: Header=BB9_161 Depth=1
	v_mul_f32_e32 v39, v38, v38
	s_delay_alu instid0(VALU_DEP_1) | instskip(NEXT) | instid1(VALU_DEP_1)
	v_mul_f32_e32 v40, v38, v39
	v_fmaak_f32 v41, s23, v40, 0x3a66f867
	v_fmaak_f32 v42, s24, v40, 0xba0d3085
	s_delay_alu instid0(VALU_DEP_2) | instskip(NEXT) | instid1(VALU_DEP_2)
	v_fmaak_f32 v41, v40, v41, 0xbb7177fe
	v_fmaak_f32 v42, v40, v42, 0x3b141699
	s_delay_alu instid0(VALU_DEP_2) | instskip(NEXT) | instid1(VALU_DEP_2)
	;; [unrolled: 3-line block ×3, first 2 shown]
	v_fmaak_f32 v41, v40, v41, 0xbe17213c
	v_fmaak_f32 v42, v40, v42, 0x3d845a15
	s_delay_alu instid0(VALU_DEP_1) | instskip(SKIP_1) | instid1(VALU_DEP_1)
	v_fmac_f32_e32 v41, v38, v42
	v_fmaak_f32 v43, s22, v40, 0xbab7f476
	v_fmaak_f32 v43, v40, v43, 0x3bc7e707
	s_delay_alu instid0(VALU_DEP_1) | instskip(NEXT) | instid1(VALU_DEP_1)
	v_fmaak_f32 v43, v40, v43, 0xbd064d47
	v_fmaak_f32 v38, v40, v43, 0x3ef7b95e
	v_fma_f32 v40, v40, -v41, 0xa2863e55
	s_delay_alu instid0(VALU_DEP_1) | instskip(NEXT) | instid1(VALU_DEP_1)
	v_fma_f32 v38, v39, v38, -v40
	v_add_f32_e32 v38, 0xbdf8cdce, v38
	s_delay_alu instid0(VALU_DEP_1)
	v_add_f32_e32 v36, v36, v38
.LBB9_268:                              ;   in Loop: Header=BB9_161 Depth=1
	s_or_b32 exec_lo, exec_lo, s5
                                        ; implicit-def: $vgpr39
                                        ; implicit-def: $vgpr38
.LBB9_269:                              ;   in Loop: Header=BB9_161 Depth=1
	s_and_not1_saveexec_b32 s6, s6
	s_cbranch_execz .LBB9_273
; %bb.270:                              ;   in Loop: Header=BB9_161 Depth=1
	s_mov_b32 s30, exec_lo
	v_cmpx_eq_u32_e32 0, v39
	s_cbranch_execz .LBB9_272
; %bb.271:                              ;   in Loop: Header=BB9_161 Depth=1
	v_mul_f32_e32 v39, v38, v38
	s_delay_alu instid0(VALU_DEP_1) | instskip(NEXT) | instid1(VALU_DEP_1)
	v_fmaak_f32 v41, s25, v39, 0x39679767
	v_fmaak_f32 v41, v39, v41, 0x3a9c54a1
	s_delay_alu instid0(VALU_DEP_1) | instskip(NEXT) | instid1(VALU_DEP_1)
	v_fmaak_f32 v41, v39, v41, 0x3bf2027e
	v_fmaak_f32 v41, v39, v41, 0x3d89f001
	s_delay_alu instid0(VALU_DEP_1) | instskip(SKIP_1) | instid1(VALU_DEP_1)
	v_fmaak_f32 v41, v39, v41, 0x3d9e233f
	v_fmaak_f32 v40, s26, v39, 0x38e28445
	;; [unrolled: 1-line block ×3, first 2 shown]
	s_delay_alu instid0(VALU_DEP_1) | instskip(NEXT) | instid1(VALU_DEP_1)
	v_fmaak_f32 v40, v39, v40, 0x3b3d6ec6
	v_fmaak_f32 v40, v39, v40, 0x3ca89915
	s_delay_alu instid0(VALU_DEP_1) | instskip(NEXT) | instid1(VALU_DEP_1)
	v_fmaak_f32 v40, v39, v40, 0x3ea51a66
	v_mul_f32_e32 v39, v39, v40
	s_delay_alu instid0(VALU_DEP_1) | instskip(NEXT) | instid1(VALU_DEP_1)
	v_fmac_f32_e32 v39, v38, v41
	v_fmac_f32_e32 v39, -0.5, v38
	s_delay_alu instid0(VALU_DEP_1)
	v_add_f32_e32 v36, v36, v39
.LBB9_272:                              ;   in Loop: Header=BB9_161 Depth=1
	s_or_b32 exec_lo, exec_lo, s30
.LBB9_273:                              ;   in Loop: Header=BB9_161 Depth=1
	s_delay_alu instid0(SALU_CYCLE_1)
	s_or_b32 exec_lo, exec_lo, s6
.LBB9_274:                              ;   in Loop: Header=BB9_161 Depth=1
	s_delay_alu instid0(SALU_CYCLE_1)
	s_or_b32 exec_lo, exec_lo, s8
.LBB9_275:                              ;   in Loop: Header=BB9_161 Depth=1
	s_and_not1_saveexec_b32 s6, s7
	s_cbranch_execz .LBB9_277
; %bb.276:                              ;   in Loop: Header=BB9_161 Depth=1
	v_cmp_gt_f32_e64 s7, 0x800000, |v30|
	v_fma_f32 v40, |v30|, s27, 0xbecd26ab
	s_delay_alu instid0(VALU_DEP_2) | instskip(NEXT) | instid1(VALU_DEP_1)
	v_cndmask_b32_e64 v36, 0, 32, s7
	v_ldexp_f32 v36, |v30|, v36
	s_delay_alu instid0(VALU_DEP_1) | instskip(SKIP_1) | instid1(TRANS32_DEP_1)
	v_log_f32_e32 v36, v36
	v_nop
	v_mul_f32_e32 v38, 0x3f317217, v36
	v_cmp_gt_f32_e64 s5, 0x7f800000, |v36|
	s_delay_alu instid0(VALU_DEP_2) | instskip(NEXT) | instid1(VALU_DEP_1)
	v_fma_f32 v39, 0x3f317217, v36, -v38
	v_fmac_f32_e32 v39, 0x3377d1cf, v36
	s_delay_alu instid0(VALU_DEP_1) | instskip(SKIP_1) | instid1(VALU_DEP_2)
	v_add_f32_e32 v38, v38, v39
	v_fma_f32 v39, |v30|, v40, 0x3f528d33
	v_cndmask_b32_e64 v36, v36, v38, s5
	v_cndmask_b32_e64 v38, 0, 0x41b17218, s7
	s_delay_alu instid0(VALU_DEP_3) | instskip(NEXT) | instid1(VALU_DEP_2)
	v_fma_f32 v39, |v30|, v39, 0xbf13c468
	v_sub_f32_e32 v36, v36, v38
	s_delay_alu instid0(VALU_DEP_1)
	v_fma_f32 v36, |v30|, v39, -v36
.LBB9_277:                              ;   in Loop: Header=BB9_161 Depth=1
	s_or_b32 exec_lo, exec_lo, s6
	v_cmp_le_f32_e64 s5, 0, v30
	s_mov_b32 s7, exec_lo
	v_cmpx_nle_f32_e32 0, v30
	s_xor_b32 s8, exec_lo, s7
	s_cbranch_execz .LBB9_281
; %bb.278:                              ;   in Loop: Header=BB9_161 Depth=1
	v_cmp_gt_f32_e64 s6, 0x4b000000, |v30|
	v_cmp_lt_f32_e64 s7, 0x35000000, |v30|
	s_and_b32 s6, s6, s7
	s_delay_alu instid0(SALU_CYCLE_1)
	s_and_saveexec_b32 s30, s6
	s_cbranch_execz .LBB9_280
; %bb.279:                              ;   in Loop: Header=BB9_161 Depth=1
	v_mul_f32_e64 v38, |v30|, 0.5
	v_xor_b32_e32 v37, v37, v30
	s_delay_alu instid0(VALU_DEP_2) | instskip(SKIP_1) | instid1(VALU_DEP_2)
	v_floor_f32_e32 v39, v38
	v_cmp_neq_f32_e64 s6, 0x7f800000, v38
	v_sub_f32_e32 v39, v38, v39
	s_delay_alu instid0(VALU_DEP_1) | instskip(NEXT) | instid1(VALU_DEP_1)
	v_min_num_f32_e32 v39, 0x3f7fffff, v39
	v_add_f32_e32 v39, v39, v39
	s_delay_alu instid0(VALU_DEP_1) | instskip(SKIP_1) | instid1(VALU_DEP_1)
	v_cndmask_b32_e64 v38, 0, v39, s6
	v_cmp_gt_f32_e64 s6, |v30|, 1.0
	v_cndmask_b32_e64 v38, |v30|, v38, s6
	s_delay_alu instid0(VALU_DEP_1) | instskip(NEXT) | instid1(VALU_DEP_1)
	v_add_f32_e32 v39, v38, v38
	v_rndne_f32_e32 v39, v39
	s_delay_alu instid0(VALU_DEP_1) | instskip(SKIP_1) | instid1(VALU_DEP_2)
	v_fmac_f32_e32 v38, -0.5, v39
	v_cvt_i32_f32_e32 v39, v39
	v_mul_f32_e32 v40, v38, v38
	s_delay_alu instid0(VALU_DEP_1) | instskip(SKIP_1) | instid1(VALU_DEP_2)
	v_fmaak_f32 v41, s28, v40, 0xbf1f24be
	v_dual_fmaak_f32 v42, s29, v40, 0x3e642e9d :: v_dual_mul_f32 v43, v38, v40
	v_fmaak_f32 v41, v40, v41, 0x40234736
	s_delay_alu instid0(VALU_DEP_2) | instskip(NEXT) | instid1(VALU_DEP_2)
	v_fmaak_f32 v42, v40, v42, 0xbfaad1da
	v_fmaak_f32 v41, v40, v41, 0xc0a55e0e
	s_delay_alu instid0(VALU_DEP_1) | instskip(NEXT) | instid1(VALU_DEP_1)
	v_mul_f32_e32 v41, v43, v41
	v_fmac_f32_e32 v41, 0x40490fdb, v38
	v_dual_lshlrev_b32 v39, 30, v39 :: v_dual_bitop2_b32 v43, 1, v39 bitop3:0x40
	v_fmaak_f32 v42, v40, v42, 0x4081e0d3
	s_delay_alu instid0(VALU_DEP_2) | instskip(NEXT) | instid1(VALU_DEP_3)
	v_cmp_eq_u32_e64 s6, 0, v43
	v_and_b32_e32 v39, 0x80000000, v39
	s_delay_alu instid0(VALU_DEP_3) | instskip(NEXT) | instid1(VALU_DEP_1)
	v_fmaak_f32 v42, v40, v42, 0xc09de9e6
	v_fma_f32 v38, v40, v42, 1.0
	s_delay_alu instid0(VALU_DEP_1) | instskip(NEXT) | instid1(VALU_DEP_1)
	v_cndmask_b32_e64 v38, v38, v41, s6
	v_xor3_b32 v37, v37, v39, v38
	s_delay_alu instid0(VALU_DEP_1) | instskip(NEXT) | instid1(VALU_DEP_1)
	v_mul_f32_e32 v37, v30, v37
	v_frexp_mant_f32_e64 v38, |v37|
	v_frexp_exp_i32_f32_e32 v37, v37
	s_delay_alu instid0(VALU_DEP_2) | instskip(SKIP_1) | instid1(TRANS32_DEP_1)
	v_rcp_f32_e32 v38, v38
	v_nop
	v_dual_mul_f32 v38, 0x3f490fdb, v38 :: v_dual_sub_nc_u32 v37, 2, v37
	s_delay_alu instid0(VALU_DEP_1) | instskip(NEXT) | instid1(VALU_DEP_1)
	v_ldexp_f32 v37, v38, v37
	v_cmp_gt_f32_e64 s6, 0x800000, v37
	s_delay_alu instid0(VALU_DEP_1) | instskip(NEXT) | instid1(VALU_DEP_1)
	v_cndmask_b32_e64 v38, 0, 32, s6
	v_ldexp_f32 v37, v37, v38
	s_delay_alu instid0(VALU_DEP_1) | instskip(SKIP_1) | instid1(TRANS32_DEP_1)
	v_log_f32_e32 v37, v37
	v_nop
	v_mul_f32_e32 v38, 0x3f317217, v37
	v_cmp_gt_f32_e64 s7, 0x7f800000, |v37|
	s_delay_alu instid0(VALU_DEP_2) | instskip(NEXT) | instid1(VALU_DEP_1)
	v_fma_f32 v39, 0x3f317217, v37, -v38
	v_fmac_f32_e32 v39, 0x3377d1cf, v37
	s_delay_alu instid0(VALU_DEP_1) | instskip(SKIP_1) | instid1(VALU_DEP_2)
	v_add_f32_e32 v38, v38, v39
	v_floor_f32_e32 v39, v30
	v_cndmask_b32_e64 v37, v37, v38, s7
	v_cndmask_b32_e64 v38, 0, 0x41b17218, s6
	s_delay_alu instid0(VALU_DEP_1) | instskip(NEXT) | instid1(VALU_DEP_1)
	v_dual_sub_f32 v39, v30, v39 :: v_dual_sub_f32 v37, v37, v38
	v_min_num_f32_e32 v38, 0x3f7fffff, v39
	s_delay_alu instid0(VALU_DEP_2) | instskip(NEXT) | instid1(VALU_DEP_2)
	v_sub_f32_e32 v36, v37, v36
	v_cmp_neq_f32_e64 s6, 0, v38
	s_delay_alu instid0(VALU_DEP_1)
	v_cndmask_b32_e64 v36, 0x7f800000, v36, s6
.LBB9_280:                              ;   in Loop: Header=BB9_161 Depth=1
	s_or_b32 exec_lo, exec_lo, s30
.LBB9_281:                              ;   in Loop: Header=BB9_161 Depth=1
	s_and_not1_saveexec_b32 s8, s8
; %bb.282:                              ;   in Loop: Header=BB9_161 Depth=1
	v_cmp_eq_f32_e64 s6, 1.0, v30
	v_cmp_eq_f32_e64 s7, 2.0, v30
	s_or_b32 s6, s6, s7
	s_delay_alu instid0(SALU_CYCLE_1)
	v_cndmask_b32_e64 v36, v36, 0, s6
; %bb.283:                              ;   in Loop: Header=BB9_161 Depth=1
	s_or_b32 exec_lo, exec_lo, s8
	v_and_b32_e32 v37, 0x7fffffff, v31
                                        ; implicit-def: $vgpr38
	s_mov_b32 s7, exec_lo
	v_cmpx_ngt_f32_e64 0x3c800000, |v31|
	s_xor_b32 s8, exec_lo, s7
	s_cbranch_execz .LBB9_313
; %bb.284:                              ;   in Loop: Header=BB9_161 Depth=1
                                        ; implicit-def: $vgpr38
	s_mov_b32 s7, exec_lo
	v_cmpx_nlt_f32_e64 |v31|, 2.0
	s_xor_b32 s30, exec_lo, s7
	s_cbranch_execz .LBB9_294
; %bb.285:                              ;   in Loop: Header=BB9_161 Depth=1
	s_mov_b32 s7, exec_lo
                                        ; implicit-def: $vgpr38
	v_cmpx_ngt_f32_e64 0x41000000, |v31|
	s_xor_b32 s7, exec_lo, s7
	s_cbranch_execz .LBB9_291
; %bb.286:                              ;   in Loop: Header=BB9_161 Depth=1
	s_mov_b32 s31, exec_lo
                                        ; implicit-def: $vgpr38
	v_cmpx_ngt_f32_e64 0x5c800000, |v31|
	s_xor_b32 s31, exec_lo, s31
	s_cbranch_execz .LBB9_288
; %bb.287:                              ;   in Loop: Header=BB9_161 Depth=1
	v_cmp_gt_f32_e64 s33, 0x800000, |v31|
	s_delay_alu instid0(VALU_DEP_1) | instskip(NEXT) | instid1(VALU_DEP_1)
	v_cndmask_b32_e64 v38, 0, 32, s33
	v_ldexp_f32 v38, |v31|, v38
	s_delay_alu instid0(VALU_DEP_1) | instskip(SKIP_1) | instid1(TRANS32_DEP_1)
	v_log_f32_e32 v38, v38
	v_nop
	v_mul_f32_e32 v39, 0x3f317217, v38
	v_cmp_gt_f32_e64 s6, 0x7f800000, |v38|
	s_delay_alu instid0(VALU_DEP_2) | instskip(NEXT) | instid1(VALU_DEP_1)
	v_fma_f32 v40, 0x3f317217, v38, -v39
	v_fmac_f32_e32 v40, 0x3377d1cf, v38
	s_delay_alu instid0(VALU_DEP_1) | instskip(NEXT) | instid1(VALU_DEP_1)
	v_add_f32_e32 v39, v39, v40
	v_cndmask_b32_e64 v38, v38, v39, s6
	v_cndmask_b32_e64 v39, 0, 0x41b17218, s33
	s_delay_alu instid0(VALU_DEP_1) | instskip(NEXT) | instid1(VALU_DEP_1)
	v_sub_f32_e32 v38, v38, v39
	v_fma_f32 v38, |v31|, v38, -|v31|
.LBB9_288:                              ;   in Loop: Header=BB9_161 Depth=1
	s_and_not1_saveexec_b32 s31, s31
	s_cbranch_execz .LBB9_290
; %bb.289:                              ;   in Loop: Header=BB9_161 Depth=1
	v_cmp_gt_f32_e64 s33, 0x800000, |v31|
	v_rcp_f32_e64 v39, |v31|
	s_delay_alu instid0(VALU_DEP_1) | instskip(NEXT) | instid1(VALU_DEP_1)
	v_cndmask_b32_e64 v38, 0, 32, s33
	v_ldexp_f32 v38, |v31|, v38
	s_delay_alu instid0(VALU_DEP_1) | instskip(SKIP_1) | instid1(TRANS32_DEP_1)
	v_log_f32_e32 v38, v38
	v_nop
	v_dual_mul_f32 v40, v39, v39 :: v_dual_mul_f32 v41, 0x3f317217, v38
	v_cmp_gt_f32_e64 s6, 0x7f800000, |v38|
	s_delay_alu instid0(VALU_DEP_2) | instskip(NEXT) | instid1(VALU_DEP_1)
	v_fma_f32 v43, 0x3f317217, v38, -v41
	v_fmac_f32_e32 v43, 0x3377d1cf, v38
	s_delay_alu instid0(VALU_DEP_1) | instskip(NEXT) | instid1(VALU_DEP_1)
	v_dual_fmaak_f32 v42, s20, v40, 0x3a5b3dd2 :: v_dual_add_f32 v41, v41, v43
	v_cndmask_b32_e64 v38, v38, v41, s6
	v_cndmask_b32_e64 v41, 0, 0x41b17218, s33
	s_delay_alu instid0(VALU_DEP_1) | instskip(NEXT) | instid1(VALU_DEP_1)
	v_dual_fmaak_f32 v42, v40, v42, 0xba1c065c :: v_dual_sub_f32 v41, v38, v41
	v_fmaak_f32 v42, v40, v42, 0x3a500cfd
	s_delay_alu instid0(VALU_DEP_1) | instskip(NEXT) | instid1(VALU_DEP_1)
	v_fmaak_f32 v42, v40, v42, 0xbb360b61
	v_fmaak_f32 v40, v40, v42, 0x3daaaaab
	s_delay_alu instid0(VALU_DEP_1) | instskip(SKIP_2) | instid1(VALU_DEP_1)
	v_fmaak_f32 v38, v39, v40, 0x3ed67f1d
	v_add_f32_e64 v39, |v31|, -0.5
	v_add_f32_e32 v40, -1.0, v41
	v_fmac_f32_e32 v38, v39, v40
.LBB9_290:                              ;   in Loop: Header=BB9_161 Depth=1
	s_or_b32 exec_lo, exec_lo, s31
.LBB9_291:                              ;   in Loop: Header=BB9_161 Depth=1
	s_and_not1_saveexec_b32 s31, s7
	s_cbranch_execz .LBB9_293
; %bb.292:                              ;   in Loop: Header=BB9_161 Depth=1
	v_cvt_i32_f32_e32 v39, v37
	s_delay_alu instid0(VALU_DEP_1) | instskip(SKIP_1) | instid1(VALU_DEP_2)
	v_cvt_f32_i32_e32 v38, v39
	v_cmp_lt_i32_e64 s6, 3, v39
	v_sub_f32_e64 v38, |v31|, v38
	s_delay_alu instid0(VALU_DEP_1) | instskip(NEXT) | instid1(VALU_DEP_1)
	v_pk_add_f32 v[40:41], v[38:39], v[28:29] op_sel_hi:[0,1]
	v_dual_add_f32 v42, 4.0, v38 :: v_dual_cndmask_b32 v41, 1.0, v41, s6
	v_cmp_lt_i32_e64 s6, 2, v39
	s_delay_alu instid0(VALU_DEP_1) | instskip(SKIP_1) | instid1(VALU_DEP_1)
	v_cndmask_b32_e64 v40, 1.0, v40, s6
	v_cmp_lt_i32_e64 s6, 4, v39
	v_cndmask_b32_e64 v42, 1.0, v42, s6
	s_delay_alu instid0(VALU_DEP_3) | instskip(SKIP_1) | instid1(VALU_DEP_2)
	v_dual_add_f32 v43, 0x40a00000, v38 :: v_dual_mul_f32 v40, v40, v41
	v_cmp_lt_i32_e64 s6, 5, v39
	v_dual_add_f32 v41, 0x40c00000, v38 :: v_dual_mul_f32 v40, v42, v40
	s_delay_alu instid0(VALU_DEP_2) | instskip(SKIP_2) | instid1(VALU_DEP_2)
	v_cndmask_b32_e64 v43, 1.0, v43, s6
	v_cmp_lt_i32_e64 s6, 6, v39
	v_fmaak_f32 v42, s9, v38, 0x3af135b4
	v_dual_cndmask_b32 v39, 1.0, v41, s6 :: v_dual_mul_f32 v40, v43, v40
	s_delay_alu instid0(VALU_DEP_1) | instskip(NEXT) | instid1(VALU_DEP_1)
	v_dual_mul_f32 v39, v39, v40 :: v_dual_fmaak_f32 v40, s12, v38, 0x3a4beed6
	v_cmp_gt_f32_e64 s6, 0x800000, v39
	s_delay_alu instid0(VALU_DEP_2) | instskip(NEXT) | instid1(VALU_DEP_2)
	v_fmaak_f32 v40, v38, v40, 0x3c98bf54
	v_cndmask_b32_e64 v41, 0, 32, s6
	s_delay_alu instid0(VALU_DEP_2) | instskip(NEXT) | instid1(VALU_DEP_2)
	v_fmaak_f32 v40, v38, v40, 0x3e300f6e
	v_ldexp_f32 v39, v39, v41
	v_fmaak_f32 v41, v38, v42, 0x3cda40e4
	s_delay_alu instid0(VALU_DEP_3) | instskip(NEXT) | instid1(VALU_DEP_3)
	v_fmaak_f32 v40, v38, v40, 0x3f38d0c5
	v_log_f32_e32 v39, v39
	s_delay_alu instid0(VALU_DEP_2) | instskip(NEXT) | instid1(VALU_DEP_2)
	v_fmaak_f32 v41, v38, v41, 0x3e15dce6
	v_fmaak_f32 v40, v38, v40, 0x3fb22d3b
	s_delay_alu instid0(VALU_DEP_2) | instskip(NEXT) | instid1(TRANS32_DEP_1)
	v_fmaak_f32 v41, v38, v41, 0x3ea6cc7a
	v_mul_f32_e32 v42, 0x3f317217, v39
	s_delay_alu instid0(VALU_DEP_3) | instskip(SKIP_1) | instid1(VALU_DEP_4)
	v_fma_f32 v40, v38, v40, 1.0
	v_cmp_gt_f32_e64 s7, 0x7f800000, |v39|
	v_fmaak_f32 v41, v38, v41, 0x3e5c245a
	s_delay_alu instid0(VALU_DEP_4) | instskip(NEXT) | instid1(VALU_DEP_4)
	v_fma_f32 v43, 0x3f317217, v39, -v42
	v_rcp_f32_e32 v40, v40
	s_delay_alu instid0(VALU_DEP_2) | instskip(NEXT) | instid1(VALU_DEP_1)
	v_fmaak_f32 v41, v38, v41, 0xbd9e233f
	v_mul_f32_e32 v41, v38, v41
	s_delay_alu instid0(TRANS32_DEP_1) | instid1(VALU_DEP_1)
	v_dual_fmac_f32 v43, 0x3377d1cf, v39 :: v_dual_mul_f32 v40, v41, v40
	v_cndmask_b32_e64 v41, 0, 0x41b17218, s6
	s_delay_alu instid0(VALU_DEP_2) | instskip(NEXT) | instid1(VALU_DEP_1)
	v_dual_add_f32 v42, v42, v43 :: v_dual_fmac_f32 v40, 0.5, v38
	v_cndmask_b32_e64 v39, v39, v42, s7
	s_delay_alu instid0(VALU_DEP_1) | instskip(NEXT) | instid1(VALU_DEP_1)
	v_sub_f32_e32 v38, v39, v41
	v_add_f32_e32 v38, v38, v40
.LBB9_293:                              ;   in Loop: Header=BB9_161 Depth=1
	s_or_b32 exec_lo, exec_lo, s31
.LBB9_294:                              ;   in Loop: Header=BB9_161 Depth=1
	s_and_not1_saveexec_b32 s30, s30
	s_cbranch_execz .LBB9_312
; %bb.295:                              ;   in Loop: Header=BB9_161 Depth=1
                                        ; implicit-def: $vgpr38
                                        ; implicit-def: $vgpr40
                                        ; implicit-def: $vgpr39
	s_mov_b32 s7, exec_lo
	v_cmpx_ge_f32_e64 0x3f666666, |v31|
	s_xor_b32 s31, exec_lo, s7
	s_cbranch_execz .LBB9_297
; %bb.296:                              ;   in Loop: Header=BB9_161 Depth=1
	v_cmp_gt_f32_e64 s7, 0x800000, |v31|
	v_sub_f32_e64 v41, 1.0, |v31|
	v_cmp_gt_f32_e64 s6, 0x3f3b4a23, |v31|
	s_delay_alu instid0(VALU_DEP_3) | instskip(SKIP_1) | instid1(VALU_DEP_2)
	v_cndmask_b32_e64 v38, 0, 32, s7
	v_cndmask_b32_e64 v42, 0, 0x41b17218, s7
	v_ldexp_f32 v38, |v31|, v38
	s_delay_alu instid0(VALU_DEP_1) | instskip(SKIP_1) | instid1(TRANS32_DEP_1)
	v_log_f32_e32 v38, v38
	v_nop
	v_mul_f32_e32 v39, 0x3f317217, v38
	v_cmp_gt_f32_e64 s7, 0x7f800000, |v38|
	s_delay_alu instid0(VALU_DEP_2) | instskip(NEXT) | instid1(VALU_DEP_1)
	v_fma_f32 v40, 0x3f317217, v38, -v39
	v_fmac_f32_e32 v40, 0x3377d1cf, v38
	s_delay_alu instid0(VALU_DEP_1) | instskip(SKIP_1) | instid1(VALU_DEP_1)
	v_add_f32_e32 v39, v39, v40
	v_add_f32_e64 v40, 0xbeec5b0c, |v31|
	v_dual_cndmask_b32 v38, v38, v39, s7 :: v_dual_cndmask_b32 v39, v41, v40, s6
	v_cndmask_b32_e64 v40, 0, 1, s6
	v_cmp_gt_f32_e64 s6, 0x3e6d3309, |v31|
	s_delay_alu instid0(VALU_DEP_3) | instskip(NEXT) | instid1(VALU_DEP_2)
	v_sub_f32_e32 v38, v38, v42
	v_cndmask_b32_e64 v39, v39, |v31|, s6
	s_delay_alu instid0(VALU_DEP_4) | instskip(NEXT) | instid1(VALU_DEP_3)
	v_cndmask_b32_e64 v40, v40, 2, s6
	v_xor_b32_e32 v38, 0x80000000, v38
.LBB9_297:                              ;   in Loop: Header=BB9_161 Depth=1
	s_and_not1_saveexec_b32 s7, s31
	s_cbranch_execz .LBB9_299
; %bb.298:                              ;   in Loop: Header=BB9_161 Depth=1
	v_sub_f32_e64 v38, 2.0, |v31|
	v_add_f32_e64 v39, 0xbfbb16c3, |v31|
	v_cmp_gt_f32_e64 s6, 0x3fdda512, |v31|
	v_add_f32_e64 v40, |v31|, -1.0
	s_delay_alu instid0(VALU_DEP_2) | instskip(SKIP_2) | instid1(VALU_DEP_2)
	v_cndmask_b32_e64 v39, v38, v39, s6
	v_cndmask_b32_e64 v38, v38, 1.0, s6
	v_cmp_gt_f32_e64 s6, 0x3f9d70a4, |v31|
	v_cvt_i32_f32_e32 v38, v38
	s_delay_alu instid0(VALU_DEP_2) | instskip(NEXT) | instid1(VALU_DEP_2)
	v_cndmask_b32_e64 v39, v39, v40, s6
	v_cndmask_b32_e64 v40, v38, 2, s6
	v_mov_b32_e32 v38, 0
.LBB9_299:                              ;   in Loop: Header=BB9_161 Depth=1
	s_or_b32 exec_lo, exec_lo, s7
	s_delay_alu instid0(SALU_CYCLE_1) | instskip(NEXT) | instid1(VALU_DEP_2)
	s_mov_b32 s7, exec_lo
	v_cmpx_lt_i32_e32 0, v40
	s_xor_b32 s7, exec_lo, s7
	s_cbranch_execz .LBB9_307
; %bb.300:                              ;   in Loop: Header=BB9_161 Depth=1
	s_mov_b32 s31, exec_lo
	v_cmpx_lt_i32_e32 1, v40
	s_xor_b32 s31, exec_lo, s31
	s_cbranch_execz .LBB9_304
; %bb.301:                              ;   in Loop: Header=BB9_161 Depth=1
	s_mov_b32 s33, exec_lo
	v_cmpx_eq_u32_e32 2, v40
	s_cbranch_execz .LBB9_303
; %bb.302:                              ;   in Loop: Header=BB9_161 Depth=1
	v_fmaak_f32 v41, s13, v39, 0x3e6a7578
	s_delay_alu instid0(VALU_DEP_1) | instskip(NEXT) | instid1(VALU_DEP_1)
	v_fmaak_f32 v41, v39, v41, 0x3f7a4bb2
	v_fmaak_f32 v41, v39, v41, 0x3fba3ae7
	s_delay_alu instid0(VALU_DEP_1) | instskip(NEXT) | instid1(VALU_DEP_1)
	v_fmaak_f32 v41, v39, v41, 0x3f2200f4
	v_fmaak_f32 v41, v39, v41, 0xbd9e233f
	s_delay_alu instid0(VALU_DEP_1) | instskip(NEXT) | instid1(VALU_DEP_1)
	v_dual_fmaak_f32 v40, s21, v39, 0x3dd572af :: v_dual_mul_f32 v41, v39, v41
	v_fmaak_f32 v40, v39, v40, 0x3f44efdf
	s_delay_alu instid0(VALU_DEP_1) | instskip(NEXT) | instid1(VALU_DEP_1)
	v_fmaak_f32 v40, v39, v40, 0x4008392d
	v_fmaak_f32 v40, v39, v40, 0x401d2ebe
	s_delay_alu instid0(VALU_DEP_1) | instskip(NEXT) | instid1(VALU_DEP_1)
	v_fma_f32 v40, v39, v40, 1.0
	v_rcp_f32_e32 v40, v40
	v_nop
	s_delay_alu instid0(TRANS32_DEP_1) | instskip(NEXT) | instid1(VALU_DEP_1)
	v_mul_f32_e32 v40, v41, v40
	v_fmac_f32_e32 v40, -0.5, v39
	s_delay_alu instid0(VALU_DEP_1)
	v_add_f32_e32 v38, v38, v40
.LBB9_303:                              ;   in Loop: Header=BB9_161 Depth=1
	s_or_b32 exec_lo, exec_lo, s33
                                        ; implicit-def: $vgpr39
.LBB9_304:                              ;   in Loop: Header=BB9_161 Depth=1
	s_and_not1_saveexec_b32 s6, s31
	s_cbranch_execz .LBB9_306
; %bb.305:                              ;   in Loop: Header=BB9_161 Depth=1
	v_mul_f32_e32 v40, v39, v39
	s_delay_alu instid0(VALU_DEP_1) | instskip(NEXT) | instid1(VALU_DEP_1)
	v_mul_f32_e32 v41, v39, v40
	v_fmaak_f32 v42, s23, v41, 0x3a66f867
	v_fmaak_f32 v43, s24, v41, 0xba0d3085
	s_delay_alu instid0(VALU_DEP_2) | instskip(NEXT) | instid1(VALU_DEP_2)
	v_fmaak_f32 v42, v41, v42, 0xbb7177fe
	v_fmaak_f32 v43, v41, v43, 0x3b141699
	s_delay_alu instid0(VALU_DEP_2) | instskip(NEXT) | instid1(VALU_DEP_2)
	;; [unrolled: 3-line block ×3, first 2 shown]
	v_fmaak_f32 v42, v41, v42, 0xbe17213c
	v_fmaak_f32 v43, v41, v43, 0x3d845a15
	s_delay_alu instid0(VALU_DEP_1) | instskip(SKIP_1) | instid1(VALU_DEP_1)
	v_fmac_f32_e32 v42, v39, v43
	v_fmaak_f32 v44, s22, v41, 0xbab7f476
	v_fmaak_f32 v44, v41, v44, 0x3bc7e707
	s_delay_alu instid0(VALU_DEP_1) | instskip(NEXT) | instid1(VALU_DEP_1)
	v_fmaak_f32 v44, v41, v44, 0xbd064d47
	v_fmaak_f32 v39, v41, v44, 0x3ef7b95e
	v_fma_f32 v41, v41, -v42, 0xa2863e55
	s_delay_alu instid0(VALU_DEP_1) | instskip(NEXT) | instid1(VALU_DEP_1)
	v_fma_f32 v39, v40, v39, -v41
	v_add_f32_e32 v39, 0xbdf8cdce, v39
	s_delay_alu instid0(VALU_DEP_1)
	v_add_f32_e32 v38, v38, v39
.LBB9_306:                              ;   in Loop: Header=BB9_161 Depth=1
	s_or_b32 exec_lo, exec_lo, s6
                                        ; implicit-def: $vgpr40
                                        ; implicit-def: $vgpr39
.LBB9_307:                              ;   in Loop: Header=BB9_161 Depth=1
	s_and_not1_saveexec_b32 s7, s7
	s_cbranch_execz .LBB9_311
; %bb.308:                              ;   in Loop: Header=BB9_161 Depth=1
	s_mov_b32 s31, exec_lo
	v_cmpx_eq_u32_e32 0, v40
	s_cbranch_execz .LBB9_310
; %bb.309:                              ;   in Loop: Header=BB9_161 Depth=1
	v_mul_f32_e32 v40, v39, v39
	s_delay_alu instid0(VALU_DEP_1) | instskip(NEXT) | instid1(VALU_DEP_1)
	v_fmaak_f32 v42, s25, v40, 0x39679767
	v_fmaak_f32 v42, v40, v42, 0x3a9c54a1
	s_delay_alu instid0(VALU_DEP_1) | instskip(NEXT) | instid1(VALU_DEP_1)
	v_fmaak_f32 v42, v40, v42, 0x3bf2027e
	v_fmaak_f32 v42, v40, v42, 0x3d89f001
	s_delay_alu instid0(VALU_DEP_1) | instskip(SKIP_1) | instid1(VALU_DEP_1)
	v_fmaak_f32 v42, v40, v42, 0x3d9e233f
	v_fmaak_f32 v41, s26, v40, 0x38e28445
	;; [unrolled: 1-line block ×3, first 2 shown]
	s_delay_alu instid0(VALU_DEP_1) | instskip(NEXT) | instid1(VALU_DEP_1)
	v_fmaak_f32 v41, v40, v41, 0x3b3d6ec6
	v_fmaak_f32 v41, v40, v41, 0x3ca89915
	s_delay_alu instid0(VALU_DEP_1) | instskip(NEXT) | instid1(VALU_DEP_1)
	v_fmaak_f32 v41, v40, v41, 0x3ea51a66
	v_mul_f32_e32 v40, v40, v41
	s_delay_alu instid0(VALU_DEP_1) | instskip(NEXT) | instid1(VALU_DEP_1)
	v_fmac_f32_e32 v40, v39, v42
	v_fmac_f32_e32 v40, -0.5, v39
	s_delay_alu instid0(VALU_DEP_1)
	v_add_f32_e32 v38, v38, v40
.LBB9_310:                              ;   in Loop: Header=BB9_161 Depth=1
	s_or_b32 exec_lo, exec_lo, s31
.LBB9_311:                              ;   in Loop: Header=BB9_161 Depth=1
	s_delay_alu instid0(SALU_CYCLE_1)
	s_or_b32 exec_lo, exec_lo, s7
.LBB9_312:                              ;   in Loop: Header=BB9_161 Depth=1
	s_delay_alu instid0(SALU_CYCLE_1)
	s_or_b32 exec_lo, exec_lo, s30
.LBB9_313:                              ;   in Loop: Header=BB9_161 Depth=1
	s_and_not1_saveexec_b32 s7, s8
	s_cbranch_execz .LBB9_315
; %bb.314:                              ;   in Loop: Header=BB9_161 Depth=1
	v_cmp_gt_f32_e64 s8, 0x800000, |v31|
	v_fma_f32 v41, |v31|, s27, 0xbecd26ab
	s_delay_alu instid0(VALU_DEP_2) | instskip(NEXT) | instid1(VALU_DEP_1)
	v_cndmask_b32_e64 v38, 0, 32, s8
	v_ldexp_f32 v38, |v31|, v38
	s_delay_alu instid0(VALU_DEP_1) | instskip(SKIP_1) | instid1(TRANS32_DEP_1)
	v_log_f32_e32 v38, v38
	v_nop
	v_mul_f32_e32 v39, 0x3f317217, v38
	v_cmp_gt_f32_e64 s6, 0x7f800000, |v38|
	s_delay_alu instid0(VALU_DEP_2) | instskip(NEXT) | instid1(VALU_DEP_1)
	v_fma_f32 v40, 0x3f317217, v38, -v39
	v_fmac_f32_e32 v40, 0x3377d1cf, v38
	s_delay_alu instid0(VALU_DEP_1) | instskip(SKIP_1) | instid1(VALU_DEP_2)
	v_add_f32_e32 v39, v39, v40
	v_fma_f32 v40, |v31|, v41, 0x3f528d33
	v_cndmask_b32_e64 v38, v38, v39, s6
	v_cndmask_b32_e64 v39, 0, 0x41b17218, s8
	s_delay_alu instid0(VALU_DEP_3) | instskip(NEXT) | instid1(VALU_DEP_2)
	v_fma_f32 v40, |v31|, v40, 0xbf13c468
	v_sub_f32_e32 v38, v38, v39
	s_delay_alu instid0(VALU_DEP_1)
	v_fma_f32 v38, |v31|, v40, -v38
.LBB9_315:                              ;   in Loop: Header=BB9_161 Depth=1
	s_or_b32 exec_lo, exec_lo, s7
	v_cmp_le_f32_e64 s6, 0, v31
	s_mov_b32 s8, exec_lo
	v_cmpx_nle_f32_e32 0, v31
	s_xor_b32 s30, exec_lo, s8
	s_cbranch_execnz .LBB9_321
; %bb.316:                              ;   in Loop: Header=BB9_161 Depth=1
	s_and_not1_saveexec_b32 s30, s30
	s_cbranch_execnz .LBB9_324
.LBB9_317:                              ;   in Loop: Header=BB9_161 Depth=1
	s_or_b32 exec_lo, exec_lo, s30
	s_and_saveexec_b32 s7, s2
	s_delay_alu instid0(SALU_CYCLE_1)
	s_xor_b32 s7, exec_lo, s7
	s_cbranch_execnz .LBB9_325
.LBB9_318:                              ;   in Loop: Header=BB9_161 Depth=1
	s_or_b32 exec_lo, exec_lo, s7
	s_and_saveexec_b32 s2, s1
	s_cbranch_execnz .LBB9_326
.LBB9_319:                              ;   in Loop: Header=BB9_161 Depth=1
	s_or_b32 exec_lo, exec_lo, s2
	s_and_saveexec_b32 s1, s0
	s_cbranch_execnz .LBB9_327
.LBB9_320:                              ;   in Loop: Header=BB9_161 Depth=1
	s_or_b32 exec_lo, exec_lo, s1
	s_and_saveexec_b32 s0, vcc_lo
	s_cbranch_execz .LBB9_160
	s_branch .LBB9_328
.LBB9_321:                              ;   in Loop: Header=BB9_161 Depth=1
	v_cmp_gt_f32_e64 s7, 0x4b000000, |v31|
	v_cmp_lt_f32_e64 s8, 0x35000000, |v31|
	s_and_b32 s7, s7, s8
	s_delay_alu instid0(SALU_CYCLE_1)
	s_and_saveexec_b32 s31, s7
	s_cbranch_execz .LBB9_323
; %bb.322:                              ;   in Loop: Header=BB9_161 Depth=1
	v_mul_f32_e64 v39, |v31|, 0.5
	v_xor_b32_e32 v37, v37, v31
	s_delay_alu instid0(VALU_DEP_2) | instskip(SKIP_1) | instid1(VALU_DEP_2)
	v_floor_f32_e32 v40, v39
	v_cmp_neq_f32_e64 s7, 0x7f800000, v39
	v_sub_f32_e32 v40, v39, v40
	s_delay_alu instid0(VALU_DEP_1) | instskip(NEXT) | instid1(VALU_DEP_1)
	v_min_num_f32_e32 v40, 0x3f7fffff, v40
	v_add_f32_e32 v40, v40, v40
	s_delay_alu instid0(VALU_DEP_1) | instskip(SKIP_1) | instid1(VALU_DEP_1)
	v_cndmask_b32_e64 v39, 0, v40, s7
	v_cmp_gt_f32_e64 s7, |v31|, 1.0
	v_cndmask_b32_e64 v39, |v31|, v39, s7
	s_delay_alu instid0(VALU_DEP_1) | instskip(NEXT) | instid1(VALU_DEP_1)
	v_add_f32_e32 v40, v39, v39
	v_rndne_f32_e32 v40, v40
	s_delay_alu instid0(VALU_DEP_1) | instskip(SKIP_1) | instid1(VALU_DEP_2)
	v_fmac_f32_e32 v39, -0.5, v40
	v_cvt_i32_f32_e32 v40, v40
	v_mul_f32_e32 v41, v39, v39
	s_delay_alu instid0(VALU_DEP_1) | instskip(SKIP_1) | instid1(VALU_DEP_2)
	v_fmaak_f32 v42, s28, v41, 0xbf1f24be
	v_dual_fmaak_f32 v43, s29, v41, 0x3e642e9d :: v_dual_mul_f32 v44, v39, v41
	v_fmaak_f32 v42, v41, v42, 0x40234736
	s_delay_alu instid0(VALU_DEP_2) | instskip(NEXT) | instid1(VALU_DEP_2)
	v_fmaak_f32 v43, v41, v43, 0xbfaad1da
	v_fmaak_f32 v42, v41, v42, 0xc0a55e0e
	s_delay_alu instid0(VALU_DEP_1) | instskip(NEXT) | instid1(VALU_DEP_1)
	v_mul_f32_e32 v42, v44, v42
	v_fmac_f32_e32 v42, 0x40490fdb, v39
	v_dual_lshlrev_b32 v40, 30, v40 :: v_dual_bitop2_b32 v44, 1, v40 bitop3:0x40
	v_fmaak_f32 v43, v41, v43, 0x4081e0d3
	s_delay_alu instid0(VALU_DEP_2) | instskip(NEXT) | instid1(VALU_DEP_3)
	v_cmp_eq_u32_e64 s7, 0, v44
	v_and_b32_e32 v40, 0x80000000, v40
	s_delay_alu instid0(VALU_DEP_3) | instskip(NEXT) | instid1(VALU_DEP_1)
	v_fmaak_f32 v43, v41, v43, 0xc09de9e6
	v_fma_f32 v39, v41, v43, 1.0
	s_delay_alu instid0(VALU_DEP_1) | instskip(NEXT) | instid1(VALU_DEP_1)
	v_cndmask_b32_e64 v39, v39, v42, s7
	v_xor3_b32 v37, v37, v40, v39
	s_delay_alu instid0(VALU_DEP_1) | instskip(NEXT) | instid1(VALU_DEP_1)
	v_mul_f32_e32 v37, v31, v37
	v_frexp_mant_f32_e64 v39, |v37|
	v_frexp_exp_i32_f32_e32 v37, v37
	s_delay_alu instid0(VALU_DEP_2) | instskip(NEXT) | instid1(VALU_DEP_1)
	v_rcp_f32_e32 v39, v39
	v_sub_nc_u32_e32 v37, 2, v37
	s_delay_alu instid0(TRANS32_DEP_1) | instskip(NEXT) | instid1(VALU_DEP_1)
	v_mul_f32_e32 v39, 0x3f490fdb, v39
	v_ldexp_f32 v37, v39, v37
	s_delay_alu instid0(VALU_DEP_1) | instskip(NEXT) | instid1(VALU_DEP_1)
	v_cmp_gt_f32_e64 s7, 0x800000, v37
	v_cndmask_b32_e64 v39, 0, 32, s7
	s_delay_alu instid0(VALU_DEP_1) | instskip(NEXT) | instid1(VALU_DEP_1)
	v_ldexp_f32 v37, v37, v39
	v_log_f32_e32 v37, v37
	v_nop
	s_delay_alu instid0(TRANS32_DEP_1) | instskip(SKIP_1) | instid1(VALU_DEP_2)
	v_mul_f32_e32 v39, 0x3f317217, v37
	v_cmp_gt_f32_e64 s8, 0x7f800000, |v37|
	v_fma_f32 v40, 0x3f317217, v37, -v39
	s_delay_alu instid0(VALU_DEP_1) | instskip(NEXT) | instid1(VALU_DEP_1)
	v_fmac_f32_e32 v40, 0x3377d1cf, v37
	v_add_f32_e32 v39, v39, v40
	v_floor_f32_e32 v40, v31
	s_delay_alu instid0(VALU_DEP_2) | instskip(SKIP_1) | instid1(VALU_DEP_1)
	v_cndmask_b32_e64 v37, v37, v39, s8
	v_cndmask_b32_e64 v39, 0, 0x41b17218, s7
	v_dual_sub_f32 v40, v31, v40 :: v_dual_sub_f32 v37, v37, v39
	s_delay_alu instid0(VALU_DEP_1) | instskip(NEXT) | instid1(VALU_DEP_2)
	v_min_num_f32_e32 v39, 0x3f7fffff, v40
	v_sub_f32_e32 v37, v37, v38
	s_delay_alu instid0(VALU_DEP_2) | instskip(NEXT) | instid1(VALU_DEP_1)
	v_cmp_neq_f32_e64 s7, 0, v39
	v_cndmask_b32_e64 v38, 0x7f800000, v37, s7
.LBB9_323:                              ;   in Loop: Header=BB9_161 Depth=1
	s_or_b32 exec_lo, exec_lo, s31
	s_and_not1_saveexec_b32 s30, s30
	s_cbranch_execz .LBB9_317
.LBB9_324:                              ;   in Loop: Header=BB9_161 Depth=1
	v_cmp_eq_f32_e64 s7, 1.0, v31
	v_cmp_eq_f32_e64 s8, 2.0, v31
	s_or_b32 s7, s7, s8
	s_delay_alu instid0(SALU_CYCLE_1) | instskip(SKIP_2) | instid1(SALU_CYCLE_1)
	v_cndmask_b32_e64 v38, v38, 0, s7
	s_or_b32 exec_lo, exec_lo, s30
	s_and_saveexec_b32 s7, s2
	s_xor_b32 s7, exec_lo, s7
	s_cbranch_execz .LBB9_318
.LBB9_325:                              ;   in Loop: Header=BB9_161 Depth=1
	v_cmp_gt_f32_e64 s2, 0x4b000000, |v33|
	v_add_nc_u64_e32 v[40:41], s[10:11], v[8:9]
	s_or_b32 s2, s3, s2
	s_delay_alu instid0(SALU_CYCLE_1) | instskip(SKIP_1) | instid1(VALU_DEP_1)
	v_cndmask_b32_e64 v34, 0x7f800000, v34, s2
	v_cmp_class_f32_e64 s2, v33, 0x264
	v_cndmask_b32_e64 v34, v34, 0x7f800000, s2
	v_cmp_u_f32_e64 s2, v33, v33
	s_delay_alu instid0(VALU_DEP_1)
	v_cndmask_b32_e64 v33, v34, v33, s2
	global_store_b32 v[40:41], v33, off
	s_wait_xcnt 0x0
	s_or_b32 exec_lo, exec_lo, s7
	s_and_saveexec_b32 s2, s1
	s_cbranch_execz .LBB9_319
.LBB9_326:                              ;   in Loop: Header=BB9_161 Depth=1
	v_cmp_gt_f32_e64 s1, 0x4b000000, |v32|
	s_or_b32 s1, s4, s1
	s_delay_alu instid0(SALU_CYCLE_1) | instskip(SKIP_2) | instid1(VALU_DEP_2)
	v_cndmask_b32_e64 v33, 0x7f800000, v35, s1
	v_cmp_class_f32_e64 s1, v32, 0x264
	v_add_nc_u64_e32 v[34:35], s[10:11], v[26:27]
	v_cndmask_b32_e64 v33, v33, 0x7f800000, s1
	v_cmp_u_f32_e64 s1, v32, v32
	s_delay_alu instid0(VALU_DEP_1)
	v_cndmask_b32_e64 v32, v33, v32, s1
	global_store_b32 v[34:35], v32, off
	s_wait_xcnt 0x0
	s_or_b32 exec_lo, exec_lo, s2
	s_and_saveexec_b32 s1, s0
	s_cbranch_execz .LBB9_320
.LBB9_327:                              ;   in Loop: Header=BB9_161 Depth=1
	v_cmp_gt_f32_e64 s0, 0x4b000000, |v30|
	s_or_b32 s0, s5, s0
	s_delay_alu instid0(SALU_CYCLE_1) | instskip(SKIP_1) | instid1(VALU_DEP_1)
	v_cndmask_b32_e64 v32, 0x7f800000, v36, s0
	v_cmp_class_f32_e64 s0, v30, 0x264
	v_cndmask_b32_e64 v34, v32, 0x7f800000, s0
	v_cmp_u_f32_e64 s0, v30, v30
	v_add_nc_u64_e32 v[32:33], s[10:11], v[18:19]
	s_delay_alu instid0(VALU_DEP_2)
	v_cndmask_b32_e64 v30, v34, v30, s0
	global_store_b32 v[32:33], v30, off
	s_wait_xcnt 0x0
	s_or_b32 exec_lo, exec_lo, s1
	s_and_saveexec_b32 s0, vcc_lo
	s_cbranch_execz .LBB9_160
.LBB9_328:                              ;   in Loop: Header=BB9_161 Depth=1
	v_cmp_gt_f32_e64 s1, 0x4b000000, |v31|
	v_add_nc_u64_e32 v[32:33], s[10:11], v[22:23]
	s_or_b32 vcc_lo, s6, s1
	v_cmp_class_f32_e64 s1, v31, 0x264
	v_cndmask_b32_e32 v30, 0x7f800000, v38, vcc_lo
	v_cmp_u_f32_e32 vcc_lo, v31, v31
	s_delay_alu instid0(VALU_DEP_2) | instskip(NEXT) | instid1(VALU_DEP_1)
	v_cndmask_b32_e64 v30, v30, 0x7f800000, s1
	v_cndmask_b32_e32 v30, v30, v31, vcc_lo
	global_store_b32 v[32:33], v30, off
	s_branch .LBB9_160
.LBB9_329:
	s_endpgm
	.section	.rodata,"a",@progbits
	.p2align	6, 0x0
	.amdhsa_kernel _ZN2at6native12_GLOBAL__N_125multi_tensor_apply_kernelINS1_18TensorListMetadataILi2EEENS1_14UnaryOpFunctorIfLi2ELi1ELi1EEEJNS0_6LgammaIfEEEEEvT_T0_DpT1_
		.amdhsa_group_segment_fixed_size 0
		.amdhsa_private_segment_fixed_size 0
		.amdhsa_kernarg_size 3408
		.amdhsa_user_sgpr_count 2
		.amdhsa_user_sgpr_dispatch_ptr 0
		.amdhsa_user_sgpr_queue_ptr 0
		.amdhsa_user_sgpr_kernarg_segment_ptr 1
		.amdhsa_user_sgpr_dispatch_id 0
		.amdhsa_user_sgpr_kernarg_preload_length 0
		.amdhsa_user_sgpr_kernarg_preload_offset 0
		.amdhsa_user_sgpr_private_segment_size 0
		.amdhsa_wavefront_size32 1
		.amdhsa_uses_dynamic_stack 0
		.amdhsa_enable_private_segment 0
		.amdhsa_system_sgpr_workgroup_id_x 1
		.amdhsa_system_sgpr_workgroup_id_y 0
		.amdhsa_system_sgpr_workgroup_id_z 0
		.amdhsa_system_sgpr_workgroup_info 0
		.amdhsa_system_vgpr_workitem_id 0
		.amdhsa_next_free_vgpr 45
		.amdhsa_next_free_sgpr 38
		.amdhsa_named_barrier_count 0
		.amdhsa_reserve_vcc 1
		.amdhsa_float_round_mode_32 0
		.amdhsa_float_round_mode_16_64 0
		.amdhsa_float_denorm_mode_32 3
		.amdhsa_float_denorm_mode_16_64 3
		.amdhsa_fp16_overflow 0
		.amdhsa_memory_ordered 1
		.amdhsa_forward_progress 1
		.amdhsa_inst_pref_size 174
		.amdhsa_round_robin_scheduling 0
		.amdhsa_exception_fp_ieee_invalid_op 0
		.amdhsa_exception_fp_denorm_src 0
		.amdhsa_exception_fp_ieee_div_zero 0
		.amdhsa_exception_fp_ieee_overflow 0
		.amdhsa_exception_fp_ieee_underflow 0
		.amdhsa_exception_fp_ieee_inexact 0
		.amdhsa_exception_int_div_zero 0
	.end_amdhsa_kernel
	.section	.text._ZN2at6native12_GLOBAL__N_125multi_tensor_apply_kernelINS1_18TensorListMetadataILi2EEENS1_14UnaryOpFunctorIfLi2ELi1ELi1EEEJNS0_6LgammaIfEEEEEvT_T0_DpT1_,"axG",@progbits,_ZN2at6native12_GLOBAL__N_125multi_tensor_apply_kernelINS1_18TensorListMetadataILi2EEENS1_14UnaryOpFunctorIfLi2ELi1ELi1EEEJNS0_6LgammaIfEEEEEvT_T0_DpT1_,comdat
.Lfunc_end9:
	.size	_ZN2at6native12_GLOBAL__N_125multi_tensor_apply_kernelINS1_18TensorListMetadataILi2EEENS1_14UnaryOpFunctorIfLi2ELi1ELi1EEEJNS0_6LgammaIfEEEEEvT_T0_DpT1_, .Lfunc_end9-_ZN2at6native12_GLOBAL__N_125multi_tensor_apply_kernelINS1_18TensorListMetadataILi2EEENS1_14UnaryOpFunctorIfLi2ELi1ELi1EEEJNS0_6LgammaIfEEEEEvT_T0_DpT1_
                                        ; -- End function
	.set _ZN2at6native12_GLOBAL__N_125multi_tensor_apply_kernelINS1_18TensorListMetadataILi2EEENS1_14UnaryOpFunctorIfLi2ELi1ELi1EEEJNS0_6LgammaIfEEEEEvT_T0_DpT1_.num_vgpr, 45
	.set _ZN2at6native12_GLOBAL__N_125multi_tensor_apply_kernelINS1_18TensorListMetadataILi2EEENS1_14UnaryOpFunctorIfLi2ELi1ELi1EEEJNS0_6LgammaIfEEEEEvT_T0_DpT1_.num_agpr, 0
	.set _ZN2at6native12_GLOBAL__N_125multi_tensor_apply_kernelINS1_18TensorListMetadataILi2EEENS1_14UnaryOpFunctorIfLi2ELi1ELi1EEEJNS0_6LgammaIfEEEEEvT_T0_DpT1_.numbered_sgpr, 38
	.set _ZN2at6native12_GLOBAL__N_125multi_tensor_apply_kernelINS1_18TensorListMetadataILi2EEENS1_14UnaryOpFunctorIfLi2ELi1ELi1EEEJNS0_6LgammaIfEEEEEvT_T0_DpT1_.num_named_barrier, 0
	.set _ZN2at6native12_GLOBAL__N_125multi_tensor_apply_kernelINS1_18TensorListMetadataILi2EEENS1_14UnaryOpFunctorIfLi2ELi1ELi1EEEJNS0_6LgammaIfEEEEEvT_T0_DpT1_.private_seg_size, 0
	.set _ZN2at6native12_GLOBAL__N_125multi_tensor_apply_kernelINS1_18TensorListMetadataILi2EEENS1_14UnaryOpFunctorIfLi2ELi1ELi1EEEJNS0_6LgammaIfEEEEEvT_T0_DpT1_.uses_vcc, 1
	.set _ZN2at6native12_GLOBAL__N_125multi_tensor_apply_kernelINS1_18TensorListMetadataILi2EEENS1_14UnaryOpFunctorIfLi2ELi1ELi1EEEJNS0_6LgammaIfEEEEEvT_T0_DpT1_.uses_flat_scratch, 0
	.set _ZN2at6native12_GLOBAL__N_125multi_tensor_apply_kernelINS1_18TensorListMetadataILi2EEENS1_14UnaryOpFunctorIfLi2ELi1ELi1EEEJNS0_6LgammaIfEEEEEvT_T0_DpT1_.has_dyn_sized_stack, 0
	.set _ZN2at6native12_GLOBAL__N_125multi_tensor_apply_kernelINS1_18TensorListMetadataILi2EEENS1_14UnaryOpFunctorIfLi2ELi1ELi1EEEJNS0_6LgammaIfEEEEEvT_T0_DpT1_.has_recursion, 0
	.set _ZN2at6native12_GLOBAL__N_125multi_tensor_apply_kernelINS1_18TensorListMetadataILi2EEENS1_14UnaryOpFunctorIfLi2ELi1ELi1EEEJNS0_6LgammaIfEEEEEvT_T0_DpT1_.has_indirect_call, 0
	.section	.AMDGPU.csdata,"",@progbits
; Kernel info:
; codeLenInByte = 22264
; TotalNumSgprs: 40
; NumVgprs: 45
; ScratchSize: 0
; MemoryBound: 0
; FloatMode: 240
; IeeeMode: 1
; LDSByteSize: 0 bytes/workgroup (compile time only)
; SGPRBlocks: 0
; VGPRBlocks: 2
; NumSGPRsForWavesPerEU: 40
; NumVGPRsForWavesPerEU: 45
; NamedBarCnt: 0
; Occupancy: 16
; WaveLimiterHint : 0
; COMPUTE_PGM_RSRC2:SCRATCH_EN: 0
; COMPUTE_PGM_RSRC2:USER_SGPR: 2
; COMPUTE_PGM_RSRC2:TRAP_HANDLER: 0
; COMPUTE_PGM_RSRC2:TGID_X_EN: 1
; COMPUTE_PGM_RSRC2:TGID_Y_EN: 0
; COMPUTE_PGM_RSRC2:TGID_Z_EN: 0
; COMPUTE_PGM_RSRC2:TIDIG_COMP_CNT: 0
	.section	.text._ZN2at6native12_GLOBAL__N_125multi_tensor_apply_kernelINS1_18TensorListMetadataILi2EEENS1_14UnaryOpFunctorIN3c104HalfELi2ELi1ELi1EEEJNS0_6LgammaIfEEEEEvT_T0_DpT1_,"axG",@progbits,_ZN2at6native12_GLOBAL__N_125multi_tensor_apply_kernelINS1_18TensorListMetadataILi2EEENS1_14UnaryOpFunctorIN3c104HalfELi2ELi1ELi1EEEJNS0_6LgammaIfEEEEEvT_T0_DpT1_,comdat
	.globl	_ZN2at6native12_GLOBAL__N_125multi_tensor_apply_kernelINS1_18TensorListMetadataILi2EEENS1_14UnaryOpFunctorIN3c104HalfELi2ELi1ELi1EEEJNS0_6LgammaIfEEEEEvT_T0_DpT1_ ; -- Begin function _ZN2at6native12_GLOBAL__N_125multi_tensor_apply_kernelINS1_18TensorListMetadataILi2EEENS1_14UnaryOpFunctorIN3c104HalfELi2ELi1ELi1EEEJNS0_6LgammaIfEEEEEvT_T0_DpT1_
	.p2align	8
	.type	_ZN2at6native12_GLOBAL__N_125multi_tensor_apply_kernelINS1_18TensorListMetadataILi2EEENS1_14UnaryOpFunctorIN3c104HalfELi2ELi1ELi1EEEJNS0_6LgammaIfEEEEEvT_T0_DpT1_,@function
_ZN2at6native12_GLOBAL__N_125multi_tensor_apply_kernelINS1_18TensorListMetadataILi2EEENS1_14UnaryOpFunctorIN3c104HalfELi2ELi1ELi1EEEJNS0_6LgammaIfEEEEEvT_T0_DpT1_: ; @_ZN2at6native12_GLOBAL__N_125multi_tensor_apply_kernelINS1_18TensorListMetadataILi2EEENS1_14UnaryOpFunctorIN3c104HalfELi2ELi1ELi1EEEJNS0_6LgammaIfEEEEEvT_T0_DpT1_
; %bb.0:
	s_bfe_u32 s2, ttmp6, 0x4000c
	s_and_b32 s3, ttmp6, 15
	s_add_co_i32 s2, s2, 1
	s_getreg_b32 s4, hwreg(HW_REG_IB_STS2, 6, 4)
	s_mul_i32 s2, ttmp9, s2
	s_delay_alu instid0(SALU_CYCLE_1)
	s_add_co_i32 s3, s3, s2
	s_cmp_eq_u32 s4, 0
	s_cselect_b32 s2, ttmp9, s3
	s_mov_b32 s3, 0
	s_load_u8 s10, s[0:1], s2 offset:0x600
	s_add_nc_u64 s[4:5], s[0:1], s[2:3]
	s_mul_u64 s[6:7], s[2:3], 3
	s_delay_alu instid0(SALU_CYCLE_1)
	s_add_nc_u64 s[4:5], s[4:5], s[6:7]
	s_load_b32 s6, s[4:5], 0x740
	s_wait_kmcnt 0x0
	s_clause 0x2
	s_load_b64 s[8:9], s[0:1], s10 offset:0x0 scale_offset
	s_load_b64 s[12:13], s[0:1], s10 offset:0x200 scale_offset
	;; [unrolled: 1-line block ×3, first 2 shown]
	s_mov_b32 s5, s3
	s_ashr_i32 s7, s6, 31
	s_wait_xcnt 0x0
	s_lshl_b64 s[10:11], s[6:7], 17
	s_wait_kmcnt 0x0
	s_and_b64 s[18:19], s[12:13], 7
	s_add_nc_u64 s[16:17], s[8:9], s[10:11]
	s_and_b32 s4, s14, 3
	s_and_b32 s2, s16, 7
	s_or_b64 s[4:5], s[18:19], s[4:5]
	s_lshl_b64 s[6:7], s[6:7], 16
	s_or_b64 s[2:3], s[4:5], s[2:3]
	s_sub_nc_u64 s[14:15], s[14:15], s[6:7]
	s_cmp_eq_u64 s[2:3], 0
	s_mov_b32 s2, -1
	s_cbranch_scc0 .LBB10_157
; %bb.1:
	v_min_i64 v[2:3], 0x10000, s[14:15]
	v_dual_mov_b32 v7, 0 :: v_dual_lshlrev_b32 v6, 2, v0
	s_mov_b32 s7, exec_lo
	s_delay_alu instid0(VALU_DEP_1)
	v_cmpx_lt_i64_e64 v[6:7], v[2:3]
	s_cbranch_execz .LBB10_156
; %bb.2:
	s_load_b32 s2, s[0:1], 0xc5c
	v_dual_mov_b32 v1, v7 :: v_dual_lshlrev_b32 v6, 3, v0
	v_mov_b64_e32 v[4:5], 0x4040000040000000
	s_mov_b32 s17, 0
	s_mov_b32 s20, 0xbad5c4e8
	s_delay_alu instid0(VALU_DEP_2)
	v_mov_b64_e32 v[8:9], v[0:1]
	v_add_nc_u64_e32 v[6:7], s[10:11], v[6:7]
	s_mov_b32 s21, 0x3805ff67
	s_mov_b32 s22, 0x36f5d7bd
	;; [unrolled: 1-line block ×12, first 2 shown]
	s_wait_kmcnt 0x0
	s_and_b32 s16, s2, 0xffff
	s_mov_b32 s19, s17
	s_lshl_b32 s18, s16, 3
	s_mov_b32 s34, s17
	s_branch .LBB10_4
.LBB10_3:                               ;   in Loop: Header=BB10_4 Depth=1
	s_or_b32 exec_lo, exec_lo, s35
	v_cmp_gt_f32_e64 s5, 0x4b000000, |v16|
	v_cvt_f16_f32_e32 v17, v17
	v_cmp_gt_f32_e64 s6, 0x4b000000, |v14|
	v_cvt_f16_f32_e32 v15, v15
	v_cmp_class_f32_e64 s35, v16, 0x264
	s_or_b32 s3, s3, s5
	v_cvt_f16_f32_e32 v12, v12
	v_cndmask_b32_e64 v17, 0x7c00, v17, s3
	s_or_b32 s2, s2, s6
	v_cmp_gt_f32_e64 s3, 0x4b000000, |v1|
	v_cndmask_b32_e64 v15, 0x7c00, v15, s2
	v_cmp_u_f16_e64 s2, v11, v11
	v_cndmask_b32_e64 v16, v17, 0x7c00, s35
	v_cmp_gt_f32_e64 s5, 0x4b000000, |v19|
	v_cvt_f16_f32_e32 v17, v21
	s_or_b32 vcc_lo, vcc_lo, s3
	v_add_nc_u64_e32 v[8:9], s[16:17], v[8:9]
	v_cndmask_b32_e64 v16, v16, v11, s2
	v_cmp_class_f32_e64 s2, v14, 0x264
	v_cndmask_b32_e32 v11, 0x7c00, v12, vcc_lo
	s_or_b32 vcc_lo, s4, s5
	v_cndmask_b32_e32 v12, 0x7c00, v17, vcc_lo
	v_cndmask_b32_e64 v17, v15, 0x7c00, s2
	v_cmp_class_f32_e64 s2, v1, 0x264
	v_cmp_u_f16_e32 vcc_lo, v13, v13
	v_lshlrev_b64_e32 v[14:15], 2, v[8:9]
	s_delay_alu instid0(VALU_DEP_3) | instskip(SKIP_1) | instid1(VALU_DEP_1)
	v_cndmask_b32_e64 v1, v11, 0x7c00, s2
	v_cmp_class_f32_e64 s2, v19, 0x264
	v_cndmask_b32_e64 v11, v12, 0x7c00, s2
	v_cndmask_b32_e32 v12, v17, v13, vcc_lo
	v_cmp_u_f16_e32 vcc_lo, v18, v18
	s_delay_alu instid0(VALU_DEP_3) | instskip(SKIP_1) | instid1(VALU_DEP_2)
	v_cndmask_b32_e32 v13, v11, v18, vcc_lo
	v_cmp_u_f16_e32 vcc_lo, v10, v10
	v_perm_b32 v13, v13, v16, 0x5040100
	v_cndmask_b32_e32 v1, v1, v10, vcc_lo
	v_cmp_ge_i64_e32 vcc_lo, v[14:15], v[2:3]
	v_add_nc_u64_e32 v[10:11], s[12:13], v[6:7]
	v_add_nc_u64_e32 v[6:7], s[18:19], v[6:7]
	s_delay_alu instid0(VALU_DEP_4)
	v_perm_b32 v12, v12, v1, 0x5040100
	s_or_b32 s34, vcc_lo, s34
	global_store_b64 v[10:11], v[12:13], off
	s_wait_xcnt 0x0
	s_and_not1_b32 exec_lo, exec_lo, s34
	s_cbranch_execz .LBB10_156
.LBB10_4:                               ; =>This Inner Loop Header: Depth=1
	v_add_nc_u64_e32 v[10:11], s[8:9], v[6:7]
	s_mov_b32 s3, exec_lo
                                        ; implicit-def: $vgpr12
	global_load_b64 v[10:11], v[10:11], off
	s_wait_loadcnt 0x0
	v_cvt_f32_f16_e32 v1, v10
	s_delay_alu instid0(VALU_DEP_1)
	v_and_b32_e32 v13, 0x7fffffff, v1
	s_wait_xcnt 0x0
	v_cmpx_ngt_f32_e64 0x3c800000, |v1|
	s_xor_b32 s3, exec_lo, s3
	s_cbranch_execz .LBB10_34
; %bb.5:                                ;   in Loop: Header=BB10_4 Depth=1
	s_mov_b32 s4, exec_lo
                                        ; implicit-def: $vgpr12
	v_cmpx_nlt_f32_e64 |v1|, 2.0
	s_xor_b32 s4, exec_lo, s4
	s_cbranch_execz .LBB10_15
; %bb.6:                                ;   in Loop: Header=BB10_4 Depth=1
	v_cmp_ngt_f32_e64 s2, 0x41000000, |v1|
                                        ; implicit-def: $vgpr12
	s_and_saveexec_b32 s5, s2
	s_delay_alu instid0(SALU_CYCLE_1)
	s_xor_b32 s2, exec_lo, s5
	s_cbranch_execz .LBB10_12
; %bb.7:                                ;   in Loop: Header=BB10_4 Depth=1
	v_cmp_ngt_f32_e64 s5, 0x5c800000, |v1|
                                        ; implicit-def: $vgpr12
	s_and_saveexec_b32 s6, s5
	s_delay_alu instid0(SALU_CYCLE_1)
	s_xor_b32 s5, exec_lo, s6
	s_cbranch_execz .LBB10_9
; %bb.8:                                ;   in Loop: Header=BB10_4 Depth=1
	v_cmp_gt_f32_e64 s6, 0x800000, |v1|
	s_delay_alu instid0(VALU_DEP_1) | instskip(NEXT) | instid1(VALU_DEP_1)
	v_cndmask_b32_e64 v12, 0, 32, s6
	v_ldexp_f32 v12, |v1|, v12
	s_delay_alu instid0(VALU_DEP_1) | instskip(SKIP_1) | instid1(TRANS32_DEP_1)
	v_log_f32_e32 v12, v12
	v_nop
	v_mul_f32_e32 v14, 0x3f317217, v12
	v_cmp_gt_f32_e64 vcc_lo, 0x7f800000, |v12|
	s_delay_alu instid0(VALU_DEP_2) | instskip(NEXT) | instid1(VALU_DEP_1)
	v_fma_f32 v15, 0x3f317217, v12, -v14
	v_fmac_f32_e32 v15, 0x3377d1cf, v12
	s_delay_alu instid0(VALU_DEP_1) | instskip(NEXT) | instid1(VALU_DEP_1)
	v_add_f32_e32 v14, v14, v15
	v_cndmask_b32_e32 v12, v12, v14, vcc_lo
	v_cndmask_b32_e64 v14, 0, 0x41b17218, s6
	s_delay_alu instid0(VALU_DEP_1) | instskip(NEXT) | instid1(VALU_DEP_1)
	v_sub_f32_e32 v12, v12, v14
	v_fma_f32 v12, |v1|, v12, -|v1|
.LBB10_9:                               ;   in Loop: Header=BB10_4 Depth=1
	s_and_not1_saveexec_b32 s5, s5
	s_cbranch_execz .LBB10_11
; %bb.10:                               ;   in Loop: Header=BB10_4 Depth=1
	v_cmp_gt_f32_e64 s6, 0x800000, |v1|
	v_rcp_f32_e64 v14, |v1|
	s_delay_alu instid0(VALU_DEP_1) | instskip(NEXT) | instid1(VALU_DEP_1)
	v_cndmask_b32_e64 v12, 0, 32, s6
	v_ldexp_f32 v12, |v1|, v12
	s_delay_alu instid0(VALU_DEP_1) | instskip(SKIP_1) | instid1(TRANS32_DEP_1)
	v_log_f32_e32 v12, v12
	v_nop
	v_dual_mul_f32 v15, v14, v14 :: v_dual_mul_f32 v16, 0x3f317217, v12
	v_cmp_gt_f32_e64 vcc_lo, 0x7f800000, |v12|
	s_delay_alu instid0(VALU_DEP_2) | instskip(NEXT) | instid1(VALU_DEP_1)
	v_fma_f32 v18, 0x3f317217, v12, -v16
	v_fmac_f32_e32 v18, 0x3377d1cf, v12
	s_delay_alu instid0(VALU_DEP_1) | instskip(NEXT) | instid1(VALU_DEP_1)
	v_dual_fmaak_f32 v17, s20, v15, 0x3a5b3dd2 :: v_dual_add_f32 v16, v16, v18
	v_dual_fmaak_f32 v17, v15, v17, 0xba1c065c :: v_dual_cndmask_b32 v12, v12, v16
	v_cndmask_b32_e64 v16, 0, 0x41b17218, s6
	s_delay_alu instid0(VALU_DEP_1) | instskip(NEXT) | instid1(VALU_DEP_1)
	v_dual_fmaak_f32 v17, v15, v17, 0x3a500cfd :: v_dual_sub_f32 v16, v12, v16
	v_fmaak_f32 v17, v15, v17, 0xbb360b61
	s_delay_alu instid0(VALU_DEP_1) | instskip(NEXT) | instid1(VALU_DEP_1)
	v_fmaak_f32 v15, v15, v17, 0x3daaaaab
	v_dual_fmaak_f32 v12, v14, v15, 0x3ed67f1d :: v_dual_add_f32 v15, -1.0, v16
	v_add_f32_e64 v14, |v1|, -0.5
	s_delay_alu instid0(VALU_DEP_1)
	v_fmac_f32_e32 v12, v14, v15
.LBB10_11:                              ;   in Loop: Header=BB10_4 Depth=1
	s_or_b32 exec_lo, exec_lo, s5
.LBB10_12:                              ;   in Loop: Header=BB10_4 Depth=1
	s_and_not1_saveexec_b32 s5, s2
	s_cbranch_execz .LBB10_14
; %bb.13:                               ;   in Loop: Header=BB10_4 Depth=1
	v_cvt_i32_f32_e32 v16, v13
	s_delay_alu instid0(VALU_DEP_1) | instskip(SKIP_1) | instid1(VALU_DEP_2)
	v_cvt_f32_i32_e32 v12, v16
	v_cmp_lt_i32_e32 vcc_lo, 3, v16
	v_sub_f32_e64 v12, |v1|, v12
	s_delay_alu instid0(VALU_DEP_1) | instskip(NEXT) | instid1(VALU_DEP_1)
	v_pk_add_f32 v[14:15], v[12:13], v[4:5] op_sel_hi:[0,1]
	v_dual_add_f32 v17, 4.0, v12 :: v_dual_cndmask_b32 v15, 1.0, v15, vcc_lo
	v_cmp_lt_i32_e32 vcc_lo, 2, v16
	s_delay_alu instid0(VALU_DEP_3) | instskip(SKIP_1) | instid1(VALU_DEP_2)
	v_cndmask_b32_e32 v14, 1.0, v14, vcc_lo
	v_cmp_lt_i32_e32 vcc_lo, 4, v16
	v_dual_cndmask_b32 v17, 1.0, v17 :: v_dual_mul_f32 v14, v14, v15
	v_add_f32_e32 v15, 0x40c00000, v12
	v_add_f32_e32 v18, 0x40a00000, v12
	v_cmp_lt_i32_e32 vcc_lo, 5, v16
	s_delay_alu instid0(VALU_DEP_4) | instskip(NEXT) | instid1(VALU_DEP_3)
	v_dual_mul_f32 v14, v17, v14 :: v_dual_fmaak_f32 v17, s21, v12, 0x3af135b4
	v_cndmask_b32_e32 v18, 1.0, v18, vcc_lo
	v_cmp_lt_i32_e32 vcc_lo, 6, v16
	s_delay_alu instid0(VALU_DEP_2) | instskip(NEXT) | instid1(VALU_DEP_1)
	v_dual_mul_f32 v14, v18, v14 :: v_dual_cndmask_b32 v15, 1.0, v15
	v_dual_mul_f32 v14, v15, v14 :: v_dual_fmaak_f32 v15, s22, v12, 0x3a4beed6
	s_delay_alu instid0(VALU_DEP_1) | instskip(NEXT) | instid1(VALU_DEP_1)
	v_fmaak_f32 v15, v12, v15, 0x3c98bf54
	v_fmaak_f32 v15, v12, v15, 0x3e300f6e
	s_delay_alu instid0(VALU_DEP_3) | instskip(SKIP_1) | instid1(VALU_DEP_1)
	v_cmp_gt_f32_e32 vcc_lo, 0x800000, v14
	v_cndmask_b32_e64 v16, 0, 32, vcc_lo
	v_ldexp_f32 v14, v14, v16
	v_fmaak_f32 v16, v12, v17, 0x3cda40e4
	s_delay_alu instid0(VALU_DEP_2) | instskip(SKIP_1) | instid1(TRANS32_DEP_1)
	v_log_f32_e32 v14, v14
	v_nop
	v_mul_f32_e32 v17, 0x3f317217, v14
	v_cmp_gt_f32_e64 s2, 0x7f800000, |v14|
	s_delay_alu instid0(VALU_DEP_2) | instskip(NEXT) | instid1(VALU_DEP_1)
	v_fma_f32 v18, 0x3f317217, v14, -v17
	v_fmac_f32_e32 v18, 0x3377d1cf, v14
	s_delay_alu instid0(VALU_DEP_1) | instskip(NEXT) | instid1(VALU_DEP_1)
	v_dual_add_f32 v17, v17, v18 :: v_dual_fmaak_f32 v16, v12, v16, 0x3e15dce6
	v_fmaak_f32 v16, v12, v16, 0x3ea6cc7a
	s_delay_alu instid0(VALU_DEP_1) | instskip(NEXT) | instid1(VALU_DEP_1)
	v_fmaak_f32 v16, v12, v16, 0x3e5c245a
	v_fmaak_f32 v16, v12, v16, 0xbd9e233f
	s_delay_alu instid0(VALU_DEP_1) | instskip(NEXT) | instid1(VALU_DEP_1)
	v_dual_fmaak_f32 v15, v12, v15, 0x3f38d0c5 :: v_dual_mul_f32 v16, v12, v16
	v_fmaak_f32 v15, v12, v15, 0x3fb22d3b
	s_delay_alu instid0(VALU_DEP_1) | instskip(NEXT) | instid1(VALU_DEP_1)
	v_fma_f32 v15, v12, v15, 1.0
	v_rcp_f32_e32 v15, v15
	v_nop
	s_delay_alu instid0(TRANS32_DEP_1) | instskip(SKIP_1) | instid1(VALU_DEP_2)
	v_dual_mul_f32 v15, v16, v15 :: v_dual_cndmask_b32 v14, v14, v17, s2
	v_cndmask_b32_e64 v16, 0, 0x41b17218, vcc_lo
	v_fmac_f32_e32 v15, 0.5, v12
	s_delay_alu instid0(VALU_DEP_2) | instskip(NEXT) | instid1(VALU_DEP_1)
	v_sub_f32_e32 v12, v14, v16
	v_add_f32_e32 v12, v12, v15
.LBB10_14:                              ;   in Loop: Header=BB10_4 Depth=1
	s_or_b32 exec_lo, exec_lo, s5
.LBB10_15:                              ;   in Loop: Header=BB10_4 Depth=1
	s_and_not1_saveexec_b32 s4, s4
	s_cbranch_execz .LBB10_33
; %bb.16:                               ;   in Loop: Header=BB10_4 Depth=1
	s_mov_b32 s5, exec_lo
                                        ; implicit-def: $vgpr12
                                        ; implicit-def: $vgpr15
                                        ; implicit-def: $vgpr14
	v_cmpx_ge_f32_e64 0x3f666666, |v1|
	s_xor_b32 s5, exec_lo, s5
	s_cbranch_execz .LBB10_18
; %bb.17:                               ;   in Loop: Header=BB10_4 Depth=1
	v_cmp_gt_f32_e64 s2, 0x800000, |v1|
	v_sub_f32_e64 v16, 1.0, |v1|
	v_cmp_gt_f32_e64 vcc_lo, 0x3f3b4a23, |v1|
	s_delay_alu instid0(VALU_DEP_3) | instskip(SKIP_1) | instid1(VALU_DEP_2)
	v_cndmask_b32_e64 v12, 0, 32, s2
	v_cndmask_b32_e64 v17, 0, 0x41b17218, s2
	v_ldexp_f32 v12, |v1|, v12
	s_delay_alu instid0(VALU_DEP_1) | instskip(SKIP_1) | instid1(TRANS32_DEP_1)
	v_log_f32_e32 v12, v12
	v_nop
	v_mul_f32_e32 v14, 0x3f317217, v12
	v_cmp_gt_f32_e64 s2, 0x7f800000, |v12|
	s_delay_alu instid0(VALU_DEP_2) | instskip(NEXT) | instid1(VALU_DEP_1)
	v_fma_f32 v15, 0x3f317217, v12, -v14
	v_fmac_f32_e32 v15, 0x3377d1cf, v12
	s_delay_alu instid0(VALU_DEP_1) | instskip(SKIP_1) | instid1(VALU_DEP_2)
	v_add_f32_e32 v14, v14, v15
	v_add_f32_e64 v15, 0xbeec5b0c, |v1|
	v_cndmask_b32_e64 v12, v12, v14, s2
	s_delay_alu instid0(VALU_DEP_2) | instskip(SKIP_2) | instid1(VALU_DEP_4)
	v_cndmask_b32_e32 v14, v16, v15, vcc_lo
	v_cndmask_b32_e64 v15, 0, 1, vcc_lo
	v_cmp_gt_f32_e64 s2, 0x3e6d3309, |v1|
	v_sub_f32_e32 v12, v12, v17
	s_delay_alu instid0(VALU_DEP_2) | instskip(NEXT) | instid1(VALU_DEP_4)
	v_cndmask_b32_e64 v14, v14, |v1|, s2
	v_cndmask_b32_e64 v15, v15, 2, s2
	s_delay_alu instid0(VALU_DEP_3)
	v_xor_b32_e32 v12, 0x80000000, v12
.LBB10_18:                              ;   in Loop: Header=BB10_4 Depth=1
	s_and_not1_saveexec_b32 s2, s5
	s_cbranch_execz .LBB10_20
; %bb.19:                               ;   in Loop: Header=BB10_4 Depth=1
	v_sub_f32_e64 v12, 2.0, |v1|
	v_add_f32_e64 v14, 0xbfbb16c3, |v1|
	v_cmp_gt_f32_e64 vcc_lo, 0x3fdda512, |v1|
	v_add_f32_e64 v15, |v1|, -1.0
	s_delay_alu instid0(VALU_DEP_3) | instskip(NEXT) | instid1(VALU_DEP_3)
	v_cndmask_b32_e32 v14, v12, v14, vcc_lo
	v_cndmask_b32_e64 v12, v12, 1.0, vcc_lo
	v_cmp_gt_f32_e64 vcc_lo, 0x3f9d70a4, |v1|
	s_delay_alu instid0(VALU_DEP_2) | instskip(NEXT) | instid1(VALU_DEP_4)
	v_cvt_i32_f32_e32 v12, v12
	v_cndmask_b32_e32 v14, v14, v15, vcc_lo
	s_delay_alu instid0(VALU_DEP_2)
	v_cndmask_b32_e64 v15, v12, 2, vcc_lo
	v_mov_b32_e32 v12, 0
.LBB10_20:                              ;   in Loop: Header=BB10_4 Depth=1
	s_or_b32 exec_lo, exec_lo, s2
	s_delay_alu instid0(SALU_CYCLE_1) | instskip(NEXT) | instid1(VALU_DEP_2)
	s_mov_b32 s2, exec_lo
	v_cmpx_lt_i32_e32 0, v15
	s_xor_b32 s2, exec_lo, s2
	s_cbranch_execz .LBB10_28
; %bb.21:                               ;   in Loop: Header=BB10_4 Depth=1
	s_mov_b32 s5, exec_lo
	v_cmpx_lt_i32_e32 1, v15
	s_xor_b32 s5, exec_lo, s5
	s_cbranch_execz .LBB10_25
; %bb.22:                               ;   in Loop: Header=BB10_4 Depth=1
	s_mov_b32 s6, exec_lo
	v_cmpx_eq_u32_e32 2, v15
	s_cbranch_execz .LBB10_24
; %bb.23:                               ;   in Loop: Header=BB10_4 Depth=1
	v_fmaak_f32 v16, s23, v14, 0x3e6a7578
	s_delay_alu instid0(VALU_DEP_1) | instskip(NEXT) | instid1(VALU_DEP_1)
	v_fmaak_f32 v16, v14, v16, 0x3f7a4bb2
	v_fmaak_f32 v16, v14, v16, 0x3fba3ae7
	s_delay_alu instid0(VALU_DEP_1) | instskip(NEXT) | instid1(VALU_DEP_1)
	v_fmaak_f32 v16, v14, v16, 0x3f2200f4
	v_fmaak_f32 v16, v14, v16, 0xbd9e233f
	s_delay_alu instid0(VALU_DEP_1) | instskip(NEXT) | instid1(VALU_DEP_1)
	v_dual_fmaak_f32 v15, s24, v14, 0x3dd572af :: v_dual_mul_f32 v16, v14, v16
	v_fmaak_f32 v15, v14, v15, 0x3f44efdf
	s_delay_alu instid0(VALU_DEP_1) | instskip(NEXT) | instid1(VALU_DEP_1)
	v_fmaak_f32 v15, v14, v15, 0x4008392d
	v_fmaak_f32 v15, v14, v15, 0x401d2ebe
	s_delay_alu instid0(VALU_DEP_1) | instskip(NEXT) | instid1(VALU_DEP_1)
	v_fma_f32 v15, v14, v15, 1.0
	v_rcp_f32_e32 v15, v15
	v_nop
	s_delay_alu instid0(TRANS32_DEP_1) | instskip(NEXT) | instid1(VALU_DEP_1)
	v_mul_f32_e32 v15, v16, v15
	v_fmac_f32_e32 v15, -0.5, v14
	s_delay_alu instid0(VALU_DEP_1)
	v_add_f32_e32 v12, v12, v15
.LBB10_24:                              ;   in Loop: Header=BB10_4 Depth=1
	s_or_b32 exec_lo, exec_lo, s6
                                        ; implicit-def: $vgpr14
.LBB10_25:                              ;   in Loop: Header=BB10_4 Depth=1
	s_and_not1_saveexec_b32 s5, s5
	s_cbranch_execz .LBB10_27
; %bb.26:                               ;   in Loop: Header=BB10_4 Depth=1
	v_mul_f32_e32 v15, v14, v14
	s_delay_alu instid0(VALU_DEP_1) | instskip(NEXT) | instid1(VALU_DEP_1)
	v_mul_f32_e32 v16, v14, v15
	v_fmaak_f32 v17, s26, v16, 0x3a66f867
	v_fmaak_f32 v18, s27, v16, 0xba0d3085
	s_delay_alu instid0(VALU_DEP_2) | instskip(NEXT) | instid1(VALU_DEP_2)
	v_fmaak_f32 v17, v16, v17, 0xbb7177fe
	v_fmaak_f32 v18, v16, v18, 0x3b141699
	s_delay_alu instid0(VALU_DEP_2) | instskip(NEXT) | instid1(VALU_DEP_2)
	;; [unrolled: 3-line block ×3, first 2 shown]
	v_fmaak_f32 v17, v16, v17, 0xbe17213c
	v_fmaak_f32 v18, v16, v18, 0x3d845a15
	s_delay_alu instid0(VALU_DEP_1) | instskip(SKIP_1) | instid1(VALU_DEP_1)
	v_fmac_f32_e32 v17, v14, v18
	v_fmaak_f32 v19, s25, v16, 0xbab7f476
	v_fmaak_f32 v19, v16, v19, 0x3bc7e707
	s_delay_alu instid0(VALU_DEP_1) | instskip(NEXT) | instid1(VALU_DEP_1)
	v_fmaak_f32 v19, v16, v19, 0xbd064d47
	v_fmaak_f32 v14, v16, v19, 0x3ef7b95e
	v_fma_f32 v16, v16, -v17, 0xa2863e55
	s_delay_alu instid0(VALU_DEP_1) | instskip(NEXT) | instid1(VALU_DEP_1)
	v_fma_f32 v14, v15, v14, -v16
	v_add_f32_e32 v14, 0xbdf8cdce, v14
	s_delay_alu instid0(VALU_DEP_1)
	v_add_f32_e32 v12, v12, v14
.LBB10_27:                              ;   in Loop: Header=BB10_4 Depth=1
	s_or_b32 exec_lo, exec_lo, s5
                                        ; implicit-def: $vgpr15
                                        ; implicit-def: $vgpr14
.LBB10_28:                              ;   in Loop: Header=BB10_4 Depth=1
	s_and_not1_saveexec_b32 s2, s2
	s_cbranch_execz .LBB10_32
; %bb.29:                               ;   in Loop: Header=BB10_4 Depth=1
	s_mov_b32 s5, exec_lo
	v_cmpx_eq_u32_e32 0, v15
	s_cbranch_execz .LBB10_31
; %bb.30:                               ;   in Loop: Header=BB10_4 Depth=1
	v_mul_f32_e32 v15, v14, v14
	s_delay_alu instid0(VALU_DEP_1) | instskip(NEXT) | instid1(VALU_DEP_1)
	v_fmaak_f32 v17, s28, v15, 0x39679767
	v_fmaak_f32 v17, v15, v17, 0x3a9c54a1
	s_delay_alu instid0(VALU_DEP_1) | instskip(NEXT) | instid1(VALU_DEP_1)
	v_fmaak_f32 v17, v15, v17, 0x3bf2027e
	v_fmaak_f32 v17, v15, v17, 0x3d89f001
	s_delay_alu instid0(VALU_DEP_1) | instskip(SKIP_1) | instid1(VALU_DEP_1)
	v_fmaak_f32 v17, v15, v17, 0x3d9e233f
	v_fmaak_f32 v16, s29, v15, 0x38e28445
	;; [unrolled: 1-line block ×3, first 2 shown]
	s_delay_alu instid0(VALU_DEP_1) | instskip(NEXT) | instid1(VALU_DEP_1)
	v_fmaak_f32 v16, v15, v16, 0x3b3d6ec6
	v_fmaak_f32 v16, v15, v16, 0x3ca89915
	s_delay_alu instid0(VALU_DEP_1) | instskip(NEXT) | instid1(VALU_DEP_1)
	v_fmaak_f32 v16, v15, v16, 0x3ea51a66
	v_mul_f32_e32 v15, v15, v16
	s_delay_alu instid0(VALU_DEP_1) | instskip(NEXT) | instid1(VALU_DEP_1)
	v_fmac_f32_e32 v15, v14, v17
	v_fmac_f32_e32 v15, -0.5, v14
	s_delay_alu instid0(VALU_DEP_1)
	v_add_f32_e32 v12, v12, v15
.LBB10_31:                              ;   in Loop: Header=BB10_4 Depth=1
	s_or_b32 exec_lo, exec_lo, s5
.LBB10_32:                              ;   in Loop: Header=BB10_4 Depth=1
	s_delay_alu instid0(SALU_CYCLE_1)
	s_or_b32 exec_lo, exec_lo, s2
.LBB10_33:                              ;   in Loop: Header=BB10_4 Depth=1
	s_delay_alu instid0(SALU_CYCLE_1)
	s_or_b32 exec_lo, exec_lo, s4
.LBB10_34:                              ;   in Loop: Header=BB10_4 Depth=1
	s_and_not1_saveexec_b32 s2, s3
	s_cbranch_execz .LBB10_36
; %bb.35:                               ;   in Loop: Header=BB10_4 Depth=1
	v_cmp_gt_f32_e64 s3, 0x800000, |v1|
	v_fma_f32 v16, |v1|, s30, 0xbecd26ab
	s_delay_alu instid0(VALU_DEP_2) | instskip(NEXT) | instid1(VALU_DEP_1)
	v_cndmask_b32_e64 v12, 0, 32, s3
	v_ldexp_f32 v12, |v1|, v12
	s_delay_alu instid0(VALU_DEP_1) | instskip(SKIP_1) | instid1(TRANS32_DEP_1)
	v_log_f32_e32 v12, v12
	v_nop
	v_mul_f32_e32 v14, 0x3f317217, v12
	v_cmp_gt_f32_e64 vcc_lo, 0x7f800000, |v12|
	s_delay_alu instid0(VALU_DEP_2) | instskip(NEXT) | instid1(VALU_DEP_1)
	v_fma_f32 v15, 0x3f317217, v12, -v14
	v_fmac_f32_e32 v15, 0x3377d1cf, v12
	s_delay_alu instid0(VALU_DEP_1) | instskip(SKIP_1) | instid1(VALU_DEP_2)
	v_add_f32_e32 v14, v14, v15
	v_fma_f32 v15, |v1|, v16, 0x3f528d33
	v_cndmask_b32_e32 v12, v12, v14, vcc_lo
	v_cndmask_b32_e64 v14, 0, 0x41b17218, s3
	s_delay_alu instid0(VALU_DEP_3) | instskip(NEXT) | instid1(VALU_DEP_2)
	v_fma_f32 v15, |v1|, v15, 0xbf13c468
	v_sub_f32_e32 v12, v12, v14
	s_delay_alu instid0(VALU_DEP_1)
	v_fma_f32 v12, |v1|, v15, -v12
.LBB10_36:                              ;   in Loop: Header=BB10_4 Depth=1
	s_or_b32 exec_lo, exec_lo, s2
	v_cmp_le_f16_e32 vcc_lo, 0, v10
	s_mov_b32 s3, exec_lo
	v_cmpx_nle_f16_e32 0, v10
	s_xor_b32 s4, exec_lo, s3
	s_cbranch_execz .LBB10_40
; %bb.37:                               ;   in Loop: Header=BB10_4 Depth=1
	v_cmp_gt_f32_e64 s2, 0x4b000000, |v1|
	v_cmp_lt_f32_e64 s3, 0x35000000, |v1|
	s_and_b32 s2, s2, s3
	s_delay_alu instid0(SALU_CYCLE_1)
	s_and_saveexec_b32 s5, s2
	s_cbranch_execz .LBB10_39
; %bb.38:                               ;   in Loop: Header=BB10_4 Depth=1
	v_mul_f32_e64 v14, |v1|, 0.5
	v_xor_b32_e32 v13, v13, v1
	s_delay_alu instid0(VALU_DEP_2) | instskip(SKIP_1) | instid1(VALU_DEP_2)
	v_floor_f32_e32 v15, v14
	v_cmp_neq_f32_e64 s2, 0x7f800000, v14
	v_sub_f32_e32 v15, v14, v15
	s_delay_alu instid0(VALU_DEP_1) | instskip(NEXT) | instid1(VALU_DEP_1)
	v_min_num_f32_e32 v15, 0x3f7fffff, v15
	v_add_f32_e32 v15, v15, v15
	s_delay_alu instid0(VALU_DEP_1) | instskip(SKIP_1) | instid1(VALU_DEP_1)
	v_cndmask_b32_e64 v14, 0, v15, s2
	v_cmp_gt_f32_e64 s2, |v1|, 1.0
	v_cndmask_b32_e64 v14, |v1|, v14, s2
	s_delay_alu instid0(VALU_DEP_1) | instskip(NEXT) | instid1(VALU_DEP_1)
	v_add_f32_e32 v15, v14, v14
	v_rndne_f32_e32 v15, v15
	s_delay_alu instid0(VALU_DEP_1) | instskip(SKIP_1) | instid1(VALU_DEP_2)
	v_fmac_f32_e32 v14, -0.5, v15
	v_cvt_i32_f32_e32 v15, v15
	v_mul_f32_e32 v16, v14, v14
	s_delay_alu instid0(VALU_DEP_1) | instskip(SKIP_1) | instid1(VALU_DEP_2)
	v_fmaak_f32 v17, s31, v16, 0xbf1f24be
	v_dual_fmaak_f32 v18, s33, v16, 0x3e642e9d :: v_dual_mul_f32 v19, v14, v16
	v_fmaak_f32 v17, v16, v17, 0x40234736
	s_delay_alu instid0(VALU_DEP_2) | instskip(NEXT) | instid1(VALU_DEP_2)
	v_fmaak_f32 v18, v16, v18, 0xbfaad1da
	v_fmaak_f32 v17, v16, v17, 0xc0a55e0e
	s_delay_alu instid0(VALU_DEP_1) | instskip(NEXT) | instid1(VALU_DEP_1)
	v_mul_f32_e32 v17, v19, v17
	v_fmac_f32_e32 v17, 0x40490fdb, v14
	v_dual_lshlrev_b32 v15, 30, v15 :: v_dual_bitop2_b32 v19, 1, v15 bitop3:0x40
	v_fmaak_f32 v18, v16, v18, 0x4081e0d3
	s_delay_alu instid0(VALU_DEP_2) | instskip(NEXT) | instid1(VALU_DEP_3)
	v_cmp_eq_u32_e64 s2, 0, v19
	v_and_b32_e32 v15, 0x80000000, v15
	s_delay_alu instid0(VALU_DEP_3) | instskip(NEXT) | instid1(VALU_DEP_1)
	v_fmaak_f32 v18, v16, v18, 0xc09de9e6
	v_fma_f32 v14, v16, v18, 1.0
	s_delay_alu instid0(VALU_DEP_1) | instskip(NEXT) | instid1(VALU_DEP_1)
	v_cndmask_b32_e64 v14, v14, v17, s2
	v_xor3_b32 v13, v13, v15, v14
	s_delay_alu instid0(VALU_DEP_1) | instskip(NEXT) | instid1(VALU_DEP_1)
	v_mul_f32_e32 v13, v1, v13
	v_frexp_mant_f32_e64 v14, |v13|
	v_frexp_exp_i32_f32_e32 v13, v13
	s_delay_alu instid0(VALU_DEP_2) | instskip(SKIP_1) | instid1(TRANS32_DEP_1)
	v_rcp_f32_e32 v14, v14
	v_nop
	v_dual_mul_f32 v14, 0x3f490fdb, v14 :: v_dual_sub_nc_u32 v13, 2, v13
	s_delay_alu instid0(VALU_DEP_1) | instskip(NEXT) | instid1(VALU_DEP_1)
	v_ldexp_f32 v13, v14, v13
	v_cmp_gt_f32_e64 s2, 0x800000, v13
	s_delay_alu instid0(VALU_DEP_1) | instskip(NEXT) | instid1(VALU_DEP_1)
	v_cndmask_b32_e64 v14, 0, 32, s2
	v_ldexp_f32 v13, v13, v14
	s_delay_alu instid0(VALU_DEP_1) | instskip(SKIP_1) | instid1(TRANS32_DEP_1)
	v_log_f32_e32 v13, v13
	v_nop
	v_mul_f32_e32 v14, 0x3f317217, v13
	v_cmp_gt_f32_e64 s3, 0x7f800000, |v13|
	s_delay_alu instid0(VALU_DEP_2) | instskip(NEXT) | instid1(VALU_DEP_1)
	v_fma_f32 v15, 0x3f317217, v13, -v14
	v_fmac_f32_e32 v15, 0x3377d1cf, v13
	s_delay_alu instid0(VALU_DEP_1) | instskip(SKIP_1) | instid1(VALU_DEP_2)
	v_add_f32_e32 v14, v14, v15
	v_floor_f32_e32 v15, v1
	v_cndmask_b32_e64 v13, v13, v14, s3
	v_cndmask_b32_e64 v14, 0, 0x41b17218, s2
	s_delay_alu instid0(VALU_DEP_3) | instskip(NEXT) | instid1(VALU_DEP_1)
	v_sub_f32_e32 v15, v1, v15
	v_dual_sub_f32 v13, v13, v14 :: v_dual_min_num_f32 v14, 0x3f7fffff, v15
	s_delay_alu instid0(VALU_DEP_1) | instskip(NEXT) | instid1(VALU_DEP_2)
	v_sub_f32_e32 v12, v13, v12
	v_cmp_neq_f32_e64 s2, 0, v14
	s_delay_alu instid0(VALU_DEP_1)
	v_cndmask_b32_e64 v12, 0x7f800000, v12, s2
.LBB10_39:                              ;   in Loop: Header=BB10_4 Depth=1
	s_or_b32 exec_lo, exec_lo, s5
.LBB10_40:                              ;   in Loop: Header=BB10_4 Depth=1
	s_and_not1_saveexec_b32 s4, s4
; %bb.41:                               ;   in Loop: Header=BB10_4 Depth=1
	v_cmp_eq_f16_e64 s2, 1.0, v10
	v_cmp_eq_f16_e64 s3, 2.0, v10
	s_or_b32 s2, s2, s3
	s_delay_alu instid0(SALU_CYCLE_1)
	v_cndmask_b32_e64 v12, v12, 0, s2
; %bb.42:                               ;   in Loop: Header=BB10_4 Depth=1
	s_or_b32 exec_lo, exec_lo, s4
	v_lshrrev_b32_e32 v13, 16, v10
                                        ; implicit-def: $vgpr15
	s_mov_b32 s3, exec_lo
	s_delay_alu instid0(VALU_DEP_1) | instskip(NEXT) | instid1(VALU_DEP_1)
	v_cvt_f32_f16_e32 v14, v13
	v_and_b32_e32 v16, 0x7fffffff, v14
	v_cmpx_ngt_f32_e64 0x3c800000, |v14|
	s_xor_b32 s4, exec_lo, s3
	s_cbranch_execz .LBB10_72
; %bb.43:                               ;   in Loop: Header=BB10_4 Depth=1
                                        ; implicit-def: $vgpr15
	s_mov_b32 s3, exec_lo
	v_cmpx_nlt_f32_e64 |v14|, 2.0
	s_xor_b32 s5, exec_lo, s3
	s_cbranch_execz .LBB10_53
; %bb.44:                               ;   in Loop: Header=BB10_4 Depth=1
	s_mov_b32 s3, exec_lo
                                        ; implicit-def: $vgpr15
	v_cmpx_ngt_f32_e64 0x41000000, |v14|
	s_xor_b32 s3, exec_lo, s3
	s_cbranch_execz .LBB10_50
; %bb.45:                               ;   in Loop: Header=BB10_4 Depth=1
	s_mov_b32 s6, exec_lo
                                        ; implicit-def: $vgpr15
	v_cmpx_ngt_f32_e64 0x5c800000, |v14|
	s_xor_b32 s6, exec_lo, s6
	s_cbranch_execz .LBB10_47
; %bb.46:                               ;   in Loop: Header=BB10_4 Depth=1
	v_cmp_gt_f32_e64 s35, 0x800000, |v14|
	s_delay_alu instid0(VALU_DEP_1) | instskip(NEXT) | instid1(VALU_DEP_1)
	v_cndmask_b32_e64 v15, 0, 32, s35
	v_ldexp_f32 v15, |v14|, v15
	s_delay_alu instid0(VALU_DEP_1) | instskip(SKIP_1) | instid1(TRANS32_DEP_1)
	v_log_f32_e32 v15, v15
	v_nop
	v_mul_f32_e32 v17, 0x3f317217, v15
	v_cmp_gt_f32_e64 s2, 0x7f800000, |v15|
	s_delay_alu instid0(VALU_DEP_2) | instskip(NEXT) | instid1(VALU_DEP_1)
	v_fma_f32 v18, 0x3f317217, v15, -v17
	v_fmac_f32_e32 v18, 0x3377d1cf, v15
	s_delay_alu instid0(VALU_DEP_1) | instskip(NEXT) | instid1(VALU_DEP_1)
	v_add_f32_e32 v17, v17, v18
	v_cndmask_b32_e64 v15, v15, v17, s2
	v_cndmask_b32_e64 v17, 0, 0x41b17218, s35
	s_delay_alu instid0(VALU_DEP_1) | instskip(NEXT) | instid1(VALU_DEP_1)
	v_sub_f32_e32 v15, v15, v17
	v_fma_f32 v15, |v14|, v15, -|v14|
.LBB10_47:                              ;   in Loop: Header=BB10_4 Depth=1
	s_and_not1_saveexec_b32 s6, s6
	s_cbranch_execz .LBB10_49
; %bb.48:                               ;   in Loop: Header=BB10_4 Depth=1
	v_cmp_gt_f32_e64 s35, 0x800000, |v14|
	v_rcp_f32_e64 v17, |v14|
	s_delay_alu instid0(VALU_DEP_1) | instskip(NEXT) | instid1(VALU_DEP_1)
	v_cndmask_b32_e64 v15, 0, 32, s35
	v_ldexp_f32 v15, |v14|, v15
	s_delay_alu instid0(VALU_DEP_1) | instskip(SKIP_1) | instid1(TRANS32_DEP_1)
	v_log_f32_e32 v15, v15
	v_nop
	v_dual_mul_f32 v18, v17, v17 :: v_dual_mul_f32 v19, 0x3f317217, v15
	v_cmp_gt_f32_e64 s2, 0x7f800000, |v15|
	s_delay_alu instid0(VALU_DEP_2) | instskip(NEXT) | instid1(VALU_DEP_1)
	v_fma_f32 v21, 0x3f317217, v15, -v19
	v_fmac_f32_e32 v21, 0x3377d1cf, v15
	s_delay_alu instid0(VALU_DEP_1) | instskip(NEXT) | instid1(VALU_DEP_1)
	v_dual_fmaak_f32 v20, s20, v18, 0x3a5b3dd2 :: v_dual_add_f32 v19, v19, v21
	v_cndmask_b32_e64 v15, v15, v19, s2
	v_cndmask_b32_e64 v19, 0, 0x41b17218, s35
	s_delay_alu instid0(VALU_DEP_1) | instskip(NEXT) | instid1(VALU_DEP_1)
	v_dual_fmaak_f32 v20, v18, v20, 0xba1c065c :: v_dual_sub_f32 v19, v15, v19
	v_fmaak_f32 v20, v18, v20, 0x3a500cfd
	s_delay_alu instid0(VALU_DEP_1) | instskip(NEXT) | instid1(VALU_DEP_1)
	v_fmaak_f32 v20, v18, v20, 0xbb360b61
	v_fmaak_f32 v18, v18, v20, 0x3daaaaab
	s_delay_alu instid0(VALU_DEP_1) | instskip(SKIP_2) | instid1(VALU_DEP_1)
	v_fmaak_f32 v15, v17, v18, 0x3ed67f1d
	v_add_f32_e64 v17, |v14|, -0.5
	v_add_f32_e32 v18, -1.0, v19
	v_fmac_f32_e32 v15, v17, v18
.LBB10_49:                              ;   in Loop: Header=BB10_4 Depth=1
	s_or_b32 exec_lo, exec_lo, s6
.LBB10_50:                              ;   in Loop: Header=BB10_4 Depth=1
	s_and_not1_saveexec_b32 s6, s3
	s_cbranch_execz .LBB10_52
; %bb.51:                               ;   in Loop: Header=BB10_4 Depth=1
	v_cvt_i32_f32_e32 v15, v16
	s_delay_alu instid0(VALU_DEP_1) | instskip(SKIP_1) | instid1(VALU_DEP_2)
	v_cvt_f32_i32_e32 v17, v15
	v_cmp_lt_i32_e64 s2, 3, v15
	v_sub_f32_e64 v18, |v14|, v17
	s_delay_alu instid0(VALU_DEP_1) | instskip(NEXT) | instid1(VALU_DEP_1)
	v_pk_add_f32 v[20:21], v[18:19], v[4:5] op_sel_hi:[0,1]
	v_dual_add_f32 v17, 4.0, v18 :: v_dual_cndmask_b32 v19, 1.0, v21, s2
	v_cmp_lt_i32_e64 s2, 2, v15
	v_add_f32_e32 v21, 0x40a00000, v18
	s_delay_alu instid0(VALU_DEP_2) | instskip(SKIP_1) | instid1(VALU_DEP_1)
	v_cndmask_b32_e64 v20, 1.0, v20, s2
	v_cmp_lt_i32_e64 s2, 4, v15
	v_dual_cndmask_b32 v17, 1.0, v17, s2 :: v_dual_mul_f32 v19, v20, v19
	v_add_f32_e32 v20, 0x40c00000, v18
	v_cmp_lt_i32_e64 s2, 5, v15
	s_delay_alu instid0(VALU_DEP_1) | instskip(SKIP_1) | instid1(VALU_DEP_1)
	v_dual_mul_f32 v17, v17, v19 :: v_dual_cndmask_b32 v21, 1.0, v21, s2
	v_cmp_lt_i32_e64 s2, 6, v15
	v_dual_mul_f32 v17, v21, v17 :: v_dual_cndmask_b32 v15, 1.0, v20, s2
	s_delay_alu instid0(VALU_DEP_1) | instskip(NEXT) | instid1(VALU_DEP_1)
	v_dual_fmaak_f32 v20, s21, v18, 0x3af135b4 :: v_dual_mul_f32 v15, v15, v17
	v_cmp_gt_f32_e64 s2, 0x800000, v15
	s_delay_alu instid0(VALU_DEP_1) | instskip(NEXT) | instid1(VALU_DEP_1)
	v_cndmask_b32_e64 v19, 0, 32, s2
	v_ldexp_f32 v15, v15, v19
	s_delay_alu instid0(VALU_DEP_4) | instskip(NEXT) | instid1(VALU_DEP_2)
	v_fmaak_f32 v19, v18, v20, 0x3cda40e4
	v_log_f32_e32 v15, v15
	s_delay_alu instid0(VALU_DEP_1) | instskip(NEXT) | instid1(VALU_DEP_1)
	v_fmaak_f32 v19, v18, v19, 0x3e15dce6
	v_fmaak_f32 v19, v18, v19, 0x3ea6cc7a
	s_delay_alu instid0(TRANS32_DEP_1) | instskip(NEXT) | instid1(VALU_DEP_2)
	v_cmp_gt_f32_e64 s3, 0x7f800000, |v15|
	v_fmaak_f32 v19, v18, v19, 0x3e5c245a
	s_delay_alu instid0(VALU_DEP_1) | instskip(NEXT) | instid1(VALU_DEP_1)
	v_fmaak_f32 v19, v18, v19, 0xbd9e233f
	v_mul_f32_e32 v19, v18, v19
	v_mul_f32_e32 v20, 0x3f317217, v15
	s_delay_alu instid0(VALU_DEP_1) | instskip(NEXT) | instid1(VALU_DEP_1)
	v_fma_f32 v21, 0x3f317217, v15, -v20
	v_fmac_f32_e32 v21, 0x3377d1cf, v15
	s_delay_alu instid0(VALU_DEP_1) | instskip(NEXT) | instid1(VALU_DEP_1)
	v_dual_fmaak_f32 v17, s22, v18, 0x3a4beed6 :: v_dual_add_f32 v20, v20, v21
	v_fmaak_f32 v17, v18, v17, 0x3c98bf54
	s_delay_alu instid0(VALU_DEP_2) | instskip(NEXT) | instid1(VALU_DEP_2)
	v_cndmask_b32_e64 v15, v15, v20, s3
	v_fmaak_f32 v17, v18, v17, 0x3e300f6e
	s_delay_alu instid0(VALU_DEP_1) | instskip(NEXT) | instid1(VALU_DEP_1)
	v_fmaak_f32 v17, v18, v17, 0x3f38d0c5
	v_fmaak_f32 v17, v18, v17, 0x3fb22d3b
	s_delay_alu instid0(VALU_DEP_1) | instskip(NEXT) | instid1(VALU_DEP_1)
	v_fma_f32 v17, v18, v17, 1.0
	v_rcp_f32_e32 v17, v17
	v_nop
	s_delay_alu instid0(TRANS32_DEP_1) | instskip(SKIP_1) | instid1(VALU_DEP_1)
	v_mul_f32_e32 v17, v19, v17
	v_cndmask_b32_e64 v19, 0, 0x41b17218, s2
	v_dual_fmac_f32 v17, 0.5, v18 :: v_dual_sub_f32 v15, v15, v19
	s_delay_alu instid0(VALU_DEP_1)
	v_add_f32_e32 v15, v15, v17
.LBB10_52:                              ;   in Loop: Header=BB10_4 Depth=1
	s_or_b32 exec_lo, exec_lo, s6
.LBB10_53:                              ;   in Loop: Header=BB10_4 Depth=1
	s_and_not1_saveexec_b32 s5, s5
	s_cbranch_execz .LBB10_71
; %bb.54:                               ;   in Loop: Header=BB10_4 Depth=1
                                        ; implicit-def: $vgpr15
                                        ; implicit-def: $vgpr18
                                        ; implicit-def: $vgpr17
	s_mov_b32 s3, exec_lo
	v_cmpx_ge_f32_e64 0x3f666666, |v14|
	s_xor_b32 s6, exec_lo, s3
	s_cbranch_execz .LBB10_56
; %bb.55:                               ;   in Loop: Header=BB10_4 Depth=1
	v_cmp_gt_f32_e64 s3, 0x800000, |v14|
	v_sub_f32_e64 v19, 1.0, |v14|
	v_cmp_gt_f32_e64 s2, 0x3f3b4a23, |v14|
	s_delay_alu instid0(VALU_DEP_3) | instskip(SKIP_1) | instid1(VALU_DEP_2)
	v_cndmask_b32_e64 v15, 0, 32, s3
	v_cndmask_b32_e64 v20, 0, 0x41b17218, s3
	v_ldexp_f32 v15, |v14|, v15
	s_delay_alu instid0(VALU_DEP_1) | instskip(SKIP_1) | instid1(TRANS32_DEP_1)
	v_log_f32_e32 v15, v15
	v_nop
	v_mul_f32_e32 v17, 0x3f317217, v15
	v_cmp_gt_f32_e64 s3, 0x7f800000, |v15|
	s_delay_alu instid0(VALU_DEP_2) | instskip(NEXT) | instid1(VALU_DEP_1)
	v_fma_f32 v18, 0x3f317217, v15, -v17
	v_fmac_f32_e32 v18, 0x3377d1cf, v15
	s_delay_alu instid0(VALU_DEP_1) | instskip(SKIP_1) | instid1(VALU_DEP_2)
	v_add_f32_e32 v17, v17, v18
	v_add_f32_e64 v18, 0xbeec5b0c, |v14|
	v_cndmask_b32_e64 v15, v15, v17, s3
	s_delay_alu instid0(VALU_DEP_2) | instskip(SKIP_2) | instid1(VALU_DEP_4)
	v_cndmask_b32_e64 v17, v19, v18, s2
	v_cndmask_b32_e64 v18, 0, 1, s2
	v_cmp_gt_f32_e64 s2, 0x3e6d3309, |v14|
	v_sub_f32_e32 v15, v15, v20
	s_delay_alu instid0(VALU_DEP_2) | instskip(NEXT) | instid1(VALU_DEP_4)
	v_cndmask_b32_e64 v17, v17, |v14|, s2
	v_cndmask_b32_e64 v18, v18, 2, s2
	s_delay_alu instid0(VALU_DEP_3)
	v_xor_b32_e32 v15, 0x80000000, v15
.LBB10_56:                              ;   in Loop: Header=BB10_4 Depth=1
	s_and_not1_saveexec_b32 s3, s6
	s_cbranch_execz .LBB10_58
; %bb.57:                               ;   in Loop: Header=BB10_4 Depth=1
	v_sub_f32_e64 v15, 2.0, |v14|
	v_add_f32_e64 v17, 0xbfbb16c3, |v14|
	v_cmp_gt_f32_e64 s2, 0x3fdda512, |v14|
	v_add_f32_e64 v18, |v14|, -1.0
	s_delay_alu instid0(VALU_DEP_2) | instskip(SKIP_2) | instid1(VALU_DEP_2)
	v_cndmask_b32_e64 v17, v15, v17, s2
	v_cndmask_b32_e64 v15, v15, 1.0, s2
	v_cmp_gt_f32_e64 s2, 0x3f9d70a4, |v14|
	v_cvt_i32_f32_e32 v15, v15
	s_delay_alu instid0(VALU_DEP_2) | instskip(NEXT) | instid1(VALU_DEP_2)
	v_cndmask_b32_e64 v17, v17, v18, s2
	v_cndmask_b32_e64 v18, v15, 2, s2
	v_mov_b32_e32 v15, 0
.LBB10_58:                              ;   in Loop: Header=BB10_4 Depth=1
	s_or_b32 exec_lo, exec_lo, s3
	s_delay_alu instid0(SALU_CYCLE_1) | instskip(NEXT) | instid1(VALU_DEP_2)
	s_mov_b32 s3, exec_lo
	v_cmpx_lt_i32_e32 0, v18
	s_xor_b32 s3, exec_lo, s3
	s_cbranch_execz .LBB10_66
; %bb.59:                               ;   in Loop: Header=BB10_4 Depth=1
	s_mov_b32 s6, exec_lo
	v_cmpx_lt_i32_e32 1, v18
	s_xor_b32 s6, exec_lo, s6
	s_cbranch_execz .LBB10_63
; %bb.60:                               ;   in Loop: Header=BB10_4 Depth=1
	s_mov_b32 s35, exec_lo
	v_cmpx_eq_u32_e32 2, v18
	s_cbranch_execz .LBB10_62
; %bb.61:                               ;   in Loop: Header=BB10_4 Depth=1
	v_fmaak_f32 v19, s23, v17, 0x3e6a7578
	s_delay_alu instid0(VALU_DEP_1) | instskip(NEXT) | instid1(VALU_DEP_1)
	v_fmaak_f32 v19, v17, v19, 0x3f7a4bb2
	v_fmaak_f32 v19, v17, v19, 0x3fba3ae7
	s_delay_alu instid0(VALU_DEP_1) | instskip(NEXT) | instid1(VALU_DEP_1)
	v_fmaak_f32 v19, v17, v19, 0x3f2200f4
	v_fmaak_f32 v19, v17, v19, 0xbd9e233f
	s_delay_alu instid0(VALU_DEP_1) | instskip(NEXT) | instid1(VALU_DEP_1)
	v_dual_fmaak_f32 v18, s24, v17, 0x3dd572af :: v_dual_mul_f32 v19, v17, v19
	v_fmaak_f32 v18, v17, v18, 0x3f44efdf
	s_delay_alu instid0(VALU_DEP_1) | instskip(NEXT) | instid1(VALU_DEP_1)
	v_fmaak_f32 v18, v17, v18, 0x4008392d
	v_fmaak_f32 v18, v17, v18, 0x401d2ebe
	s_delay_alu instid0(VALU_DEP_1) | instskip(NEXT) | instid1(VALU_DEP_1)
	v_fma_f32 v18, v17, v18, 1.0
	v_rcp_f32_e32 v18, v18
	v_nop
	s_delay_alu instid0(TRANS32_DEP_1) | instskip(NEXT) | instid1(VALU_DEP_1)
	v_mul_f32_e32 v18, v19, v18
	v_fmac_f32_e32 v18, -0.5, v17
	s_delay_alu instid0(VALU_DEP_1)
	v_add_f32_e32 v15, v15, v18
.LBB10_62:                              ;   in Loop: Header=BB10_4 Depth=1
	s_or_b32 exec_lo, exec_lo, s35
                                        ; implicit-def: $vgpr17
.LBB10_63:                              ;   in Loop: Header=BB10_4 Depth=1
	s_and_not1_saveexec_b32 s2, s6
	s_cbranch_execz .LBB10_65
; %bb.64:                               ;   in Loop: Header=BB10_4 Depth=1
	v_mul_f32_e32 v18, v17, v17
	s_delay_alu instid0(VALU_DEP_1) | instskip(NEXT) | instid1(VALU_DEP_1)
	v_mul_f32_e32 v19, v17, v18
	v_fmaak_f32 v20, s26, v19, 0x3a66f867
	v_fmaak_f32 v21, s27, v19, 0xba0d3085
	s_delay_alu instid0(VALU_DEP_2) | instskip(NEXT) | instid1(VALU_DEP_2)
	v_fmaak_f32 v20, v19, v20, 0xbb7177fe
	v_fmaak_f32 v21, v19, v21, 0x3b141699
	s_delay_alu instid0(VALU_DEP_2) | instskip(NEXT) | instid1(VALU_DEP_2)
	;; [unrolled: 3-line block ×3, first 2 shown]
	v_fmaak_f32 v20, v19, v20, 0xbe17213c
	v_fmaak_f32 v21, v19, v21, 0x3d845a15
	s_delay_alu instid0(VALU_DEP_1) | instskip(SKIP_1) | instid1(VALU_DEP_1)
	v_fmac_f32_e32 v20, v17, v21
	v_fmaak_f32 v22, s25, v19, 0xbab7f476
	v_fmaak_f32 v22, v19, v22, 0x3bc7e707
	s_delay_alu instid0(VALU_DEP_1) | instskip(NEXT) | instid1(VALU_DEP_1)
	v_fmaak_f32 v22, v19, v22, 0xbd064d47
	v_fmaak_f32 v17, v19, v22, 0x3ef7b95e
	v_fma_f32 v19, v19, -v20, 0xa2863e55
	s_delay_alu instid0(VALU_DEP_1) | instskip(NEXT) | instid1(VALU_DEP_1)
	v_fma_f32 v17, v18, v17, -v19
	v_add_f32_e32 v17, 0xbdf8cdce, v17
	s_delay_alu instid0(VALU_DEP_1)
	v_add_f32_e32 v15, v15, v17
.LBB10_65:                              ;   in Loop: Header=BB10_4 Depth=1
	s_or_b32 exec_lo, exec_lo, s2
                                        ; implicit-def: $vgpr18
                                        ; implicit-def: $vgpr17
.LBB10_66:                              ;   in Loop: Header=BB10_4 Depth=1
	s_and_not1_saveexec_b32 s3, s3
	s_cbranch_execz .LBB10_70
; %bb.67:                               ;   in Loop: Header=BB10_4 Depth=1
	s_mov_b32 s6, exec_lo
	v_cmpx_eq_u32_e32 0, v18
	s_cbranch_execz .LBB10_69
; %bb.68:                               ;   in Loop: Header=BB10_4 Depth=1
	v_mul_f32_e32 v18, v17, v17
	s_delay_alu instid0(VALU_DEP_1) | instskip(NEXT) | instid1(VALU_DEP_1)
	v_fmaak_f32 v20, s28, v18, 0x39679767
	v_fmaak_f32 v20, v18, v20, 0x3a9c54a1
	s_delay_alu instid0(VALU_DEP_1) | instskip(NEXT) | instid1(VALU_DEP_1)
	v_fmaak_f32 v20, v18, v20, 0x3bf2027e
	v_fmaak_f32 v20, v18, v20, 0x3d89f001
	s_delay_alu instid0(VALU_DEP_1) | instskip(SKIP_1) | instid1(VALU_DEP_1)
	v_fmaak_f32 v20, v18, v20, 0x3d9e233f
	v_fmaak_f32 v19, s29, v18, 0x38e28445
	;; [unrolled: 1-line block ×3, first 2 shown]
	s_delay_alu instid0(VALU_DEP_1) | instskip(NEXT) | instid1(VALU_DEP_1)
	v_fmaak_f32 v19, v18, v19, 0x3b3d6ec6
	v_fmaak_f32 v19, v18, v19, 0x3ca89915
	s_delay_alu instid0(VALU_DEP_1) | instskip(NEXT) | instid1(VALU_DEP_1)
	v_fmaak_f32 v19, v18, v19, 0x3ea51a66
	v_mul_f32_e32 v18, v18, v19
	s_delay_alu instid0(VALU_DEP_1) | instskip(NEXT) | instid1(VALU_DEP_1)
	v_fmac_f32_e32 v18, v17, v20
	v_fmac_f32_e32 v18, -0.5, v17
	s_delay_alu instid0(VALU_DEP_1)
	v_add_f32_e32 v15, v15, v18
.LBB10_69:                              ;   in Loop: Header=BB10_4 Depth=1
	s_or_b32 exec_lo, exec_lo, s6
.LBB10_70:                              ;   in Loop: Header=BB10_4 Depth=1
	s_delay_alu instid0(SALU_CYCLE_1)
	s_or_b32 exec_lo, exec_lo, s3
.LBB10_71:                              ;   in Loop: Header=BB10_4 Depth=1
	s_delay_alu instid0(SALU_CYCLE_1)
	s_or_b32 exec_lo, exec_lo, s5
.LBB10_72:                              ;   in Loop: Header=BB10_4 Depth=1
	s_and_not1_saveexec_b32 s3, s4
	s_cbranch_execz .LBB10_74
; %bb.73:                               ;   in Loop: Header=BB10_4 Depth=1
	v_cmp_gt_f32_e64 s4, 0x800000, |v14|
	v_fma_f32 v19, |v14|, s30, 0xbecd26ab
	s_delay_alu instid0(VALU_DEP_2) | instskip(NEXT) | instid1(VALU_DEP_1)
	v_cndmask_b32_e64 v15, 0, 32, s4
	v_ldexp_f32 v15, |v14|, v15
	s_delay_alu instid0(VALU_DEP_1) | instskip(SKIP_1) | instid1(TRANS32_DEP_1)
	v_log_f32_e32 v15, v15
	v_nop
	v_mul_f32_e32 v17, 0x3f317217, v15
	v_cmp_gt_f32_e64 s2, 0x7f800000, |v15|
	s_delay_alu instid0(VALU_DEP_2) | instskip(NEXT) | instid1(VALU_DEP_1)
	v_fma_f32 v18, 0x3f317217, v15, -v17
	v_fmac_f32_e32 v18, 0x3377d1cf, v15
	s_delay_alu instid0(VALU_DEP_1) | instskip(SKIP_1) | instid1(VALU_DEP_2)
	v_add_f32_e32 v17, v17, v18
	v_fma_f32 v18, |v14|, v19, 0x3f528d33
	v_cndmask_b32_e64 v15, v15, v17, s2
	v_cndmask_b32_e64 v17, 0, 0x41b17218, s4
	s_delay_alu instid0(VALU_DEP_3) | instskip(NEXT) | instid1(VALU_DEP_2)
	v_fma_f32 v18, |v14|, v18, 0xbf13c468
	v_sub_f32_e32 v15, v15, v17
	s_delay_alu instid0(VALU_DEP_1)
	v_fma_f32 v15, |v14|, v18, -v15
.LBB10_74:                              ;   in Loop: Header=BB10_4 Depth=1
	s_or_b32 exec_lo, exec_lo, s3
	v_cmp_le_f16_e64 s2, 0, v13
	s_mov_b32 s4, exec_lo
	v_cmpx_nle_f16_e32 0, v13
	s_xor_b32 s5, exec_lo, s4
	s_cbranch_execz .LBB10_78
; %bb.75:                               ;   in Loop: Header=BB10_4 Depth=1
	v_cmp_gt_f32_e64 s3, 0x4b000000, |v14|
	v_cmp_lt_f32_e64 s4, 0x35000000, |v14|
	s_and_b32 s3, s3, s4
	s_delay_alu instid0(SALU_CYCLE_1)
	s_and_saveexec_b32 s6, s3
	s_cbranch_execz .LBB10_77
; %bb.76:                               ;   in Loop: Header=BB10_4 Depth=1
	v_mul_f32_e64 v17, |v14|, 0.5
	v_xor_b32_e32 v16, v16, v14
	s_delay_alu instid0(VALU_DEP_2) | instskip(SKIP_1) | instid1(VALU_DEP_2)
	v_floor_f32_e32 v18, v17
	v_cmp_neq_f32_e64 s3, 0x7f800000, v17
	v_sub_f32_e32 v18, v17, v18
	s_delay_alu instid0(VALU_DEP_1) | instskip(NEXT) | instid1(VALU_DEP_1)
	v_min_num_f32_e32 v18, 0x3f7fffff, v18
	v_add_f32_e32 v18, v18, v18
	s_delay_alu instid0(VALU_DEP_1) | instskip(SKIP_1) | instid1(VALU_DEP_1)
	v_cndmask_b32_e64 v17, 0, v18, s3
	v_cmp_gt_f32_e64 s3, |v14|, 1.0
	v_cndmask_b32_e64 v17, |v14|, v17, s3
	s_delay_alu instid0(VALU_DEP_1) | instskip(NEXT) | instid1(VALU_DEP_1)
	v_add_f32_e32 v18, v17, v17
	v_rndne_f32_e32 v18, v18
	s_delay_alu instid0(VALU_DEP_1) | instskip(SKIP_1) | instid1(VALU_DEP_2)
	v_fmac_f32_e32 v17, -0.5, v18
	v_cvt_i32_f32_e32 v18, v18
	v_mul_f32_e32 v19, v17, v17
	s_delay_alu instid0(VALU_DEP_1) | instskip(SKIP_1) | instid1(VALU_DEP_2)
	v_fmaak_f32 v20, s31, v19, 0xbf1f24be
	v_dual_fmaak_f32 v21, s33, v19, 0x3e642e9d :: v_dual_mul_f32 v22, v17, v19
	v_fmaak_f32 v20, v19, v20, 0x40234736
	s_delay_alu instid0(VALU_DEP_2) | instskip(NEXT) | instid1(VALU_DEP_2)
	v_fmaak_f32 v21, v19, v21, 0xbfaad1da
	v_fmaak_f32 v20, v19, v20, 0xc0a55e0e
	s_delay_alu instid0(VALU_DEP_1) | instskip(NEXT) | instid1(VALU_DEP_1)
	v_mul_f32_e32 v20, v22, v20
	v_fmac_f32_e32 v20, 0x40490fdb, v17
	v_dual_lshlrev_b32 v18, 30, v18 :: v_dual_bitop2_b32 v22, 1, v18 bitop3:0x40
	v_fmaak_f32 v21, v19, v21, 0x4081e0d3
	s_delay_alu instid0(VALU_DEP_2) | instskip(NEXT) | instid1(VALU_DEP_3)
	v_cmp_eq_u32_e64 s3, 0, v22
	v_and_b32_e32 v18, 0x80000000, v18
	s_delay_alu instid0(VALU_DEP_3) | instskip(NEXT) | instid1(VALU_DEP_1)
	v_fmaak_f32 v21, v19, v21, 0xc09de9e6
	v_fma_f32 v17, v19, v21, 1.0
	s_delay_alu instid0(VALU_DEP_1) | instskip(NEXT) | instid1(VALU_DEP_1)
	v_cndmask_b32_e64 v17, v17, v20, s3
	v_xor3_b32 v16, v16, v18, v17
	s_delay_alu instid0(VALU_DEP_1) | instskip(NEXT) | instid1(VALU_DEP_1)
	v_mul_f32_e32 v16, v14, v16
	v_frexp_mant_f32_e64 v17, |v16|
	v_frexp_exp_i32_f32_e32 v16, v16
	s_delay_alu instid0(VALU_DEP_2) | instskip(SKIP_1) | instid1(TRANS32_DEP_1)
	v_rcp_f32_e32 v17, v17
	v_nop
	v_dual_mul_f32 v17, 0x3f490fdb, v17 :: v_dual_sub_nc_u32 v16, 2, v16
	s_delay_alu instid0(VALU_DEP_1) | instskip(NEXT) | instid1(VALU_DEP_1)
	v_ldexp_f32 v16, v17, v16
	v_cmp_gt_f32_e64 s3, 0x800000, v16
	s_delay_alu instid0(VALU_DEP_1) | instskip(NEXT) | instid1(VALU_DEP_1)
	v_cndmask_b32_e64 v17, 0, 32, s3
	v_ldexp_f32 v16, v16, v17
	s_delay_alu instid0(VALU_DEP_1) | instskip(SKIP_1) | instid1(TRANS32_DEP_1)
	v_log_f32_e32 v16, v16
	v_nop
	v_mul_f32_e32 v17, 0x3f317217, v16
	v_cmp_gt_f32_e64 s4, 0x7f800000, |v16|
	s_delay_alu instid0(VALU_DEP_2) | instskip(NEXT) | instid1(VALU_DEP_1)
	v_fma_f32 v18, 0x3f317217, v16, -v17
	v_fmac_f32_e32 v18, 0x3377d1cf, v16
	s_delay_alu instid0(VALU_DEP_1) | instskip(SKIP_1) | instid1(VALU_DEP_2)
	v_add_f32_e32 v17, v17, v18
	v_floor_f32_e32 v18, v14
	v_cndmask_b32_e64 v16, v16, v17, s4
	v_cndmask_b32_e64 v17, 0, 0x41b17218, s3
	s_delay_alu instid0(VALU_DEP_1) | instskip(NEXT) | instid1(VALU_DEP_1)
	v_dual_sub_f32 v18, v14, v18 :: v_dual_sub_f32 v16, v16, v17
	v_min_num_f32_e32 v17, 0x3f7fffff, v18
	s_delay_alu instid0(VALU_DEP_2) | instskip(NEXT) | instid1(VALU_DEP_2)
	v_sub_f32_e32 v15, v16, v15
	v_cmp_neq_f32_e64 s3, 0, v17
	s_delay_alu instid0(VALU_DEP_1)
	v_cndmask_b32_e64 v15, 0x7f800000, v15, s3
.LBB10_77:                              ;   in Loop: Header=BB10_4 Depth=1
	s_or_b32 exec_lo, exec_lo, s6
.LBB10_78:                              ;   in Loop: Header=BB10_4 Depth=1
	s_and_not1_saveexec_b32 s5, s5
; %bb.79:                               ;   in Loop: Header=BB10_4 Depth=1
	v_cmp_eq_f16_e64 s3, 1.0, v13
	v_cmp_eq_f16_e64 s4, 2.0, v13
	s_or_b32 s3, s3, s4
	s_delay_alu instid0(SALU_CYCLE_1)
	v_cndmask_b32_e64 v15, v15, 0, s3
; %bb.80:                               ;   in Loop: Header=BB10_4 Depth=1
	s_or_b32 exec_lo, exec_lo, s5
	v_cvt_f32_f16_e32 v16, v11
                                        ; implicit-def: $vgpr17
	s_mov_b32 s4, exec_lo
	s_delay_alu instid0(VALU_DEP_1)
	v_and_b32_e32 v18, 0x7fffffff, v16
	v_cmpx_ngt_f32_e64 0x3c800000, |v16|
	s_xor_b32 s5, exec_lo, s4
	s_cbranch_execz .LBB10_110
; %bb.81:                               ;   in Loop: Header=BB10_4 Depth=1
                                        ; implicit-def: $vgpr17
	s_mov_b32 s4, exec_lo
	v_cmpx_nlt_f32_e64 |v16|, 2.0
	s_xor_b32 s6, exec_lo, s4
	s_cbranch_execz .LBB10_91
; %bb.82:                               ;   in Loop: Header=BB10_4 Depth=1
	s_mov_b32 s4, exec_lo
                                        ; implicit-def: $vgpr17
	v_cmpx_ngt_f32_e64 0x41000000, |v16|
	s_xor_b32 s4, exec_lo, s4
	s_cbranch_execz .LBB10_88
; %bb.83:                               ;   in Loop: Header=BB10_4 Depth=1
	s_mov_b32 s35, exec_lo
                                        ; implicit-def: $vgpr17
	v_cmpx_ngt_f32_e64 0x5c800000, |v16|
	s_xor_b32 s35, exec_lo, s35
	s_cbranch_execz .LBB10_85
; %bb.84:                               ;   in Loop: Header=BB10_4 Depth=1
	v_cmp_gt_f32_e64 s36, 0x800000, |v16|
	s_delay_alu instid0(VALU_DEP_1) | instskip(NEXT) | instid1(VALU_DEP_1)
	v_cndmask_b32_e64 v17, 0, 32, s36
	v_ldexp_f32 v17, |v16|, v17
	s_delay_alu instid0(VALU_DEP_1) | instskip(SKIP_1) | instid1(TRANS32_DEP_1)
	v_log_f32_e32 v17, v17
	v_nop
	v_mul_f32_e32 v19, 0x3f317217, v17
	v_cmp_gt_f32_e64 s3, 0x7f800000, |v17|
	s_delay_alu instid0(VALU_DEP_2) | instskip(NEXT) | instid1(VALU_DEP_1)
	v_fma_f32 v20, 0x3f317217, v17, -v19
	v_fmac_f32_e32 v20, 0x3377d1cf, v17
	s_delay_alu instid0(VALU_DEP_1) | instskip(NEXT) | instid1(VALU_DEP_1)
	v_add_f32_e32 v19, v19, v20
	v_cndmask_b32_e64 v17, v17, v19, s3
	v_cndmask_b32_e64 v19, 0, 0x41b17218, s36
	s_delay_alu instid0(VALU_DEP_1) | instskip(NEXT) | instid1(VALU_DEP_1)
	v_sub_f32_e32 v17, v17, v19
	v_fma_f32 v17, |v16|, v17, -|v16|
.LBB10_85:                              ;   in Loop: Header=BB10_4 Depth=1
	s_and_not1_saveexec_b32 s35, s35
	s_cbranch_execz .LBB10_87
; %bb.86:                               ;   in Loop: Header=BB10_4 Depth=1
	v_cmp_gt_f32_e64 s36, 0x800000, |v16|
	v_rcp_f32_e64 v19, |v16|
	s_delay_alu instid0(VALU_DEP_1) | instskip(NEXT) | instid1(VALU_DEP_1)
	v_cndmask_b32_e64 v17, 0, 32, s36
	v_ldexp_f32 v17, |v16|, v17
	s_delay_alu instid0(VALU_DEP_1) | instskip(SKIP_1) | instid1(TRANS32_DEP_1)
	v_log_f32_e32 v17, v17
	v_nop
	v_dual_mul_f32 v20, v19, v19 :: v_dual_mul_f32 v21, 0x3f317217, v17
	v_cmp_gt_f32_e64 s3, 0x7f800000, |v17|
	s_delay_alu instid0(VALU_DEP_2) | instskip(NEXT) | instid1(VALU_DEP_1)
	v_fma_f32 v23, 0x3f317217, v17, -v21
	v_fmac_f32_e32 v23, 0x3377d1cf, v17
	s_delay_alu instid0(VALU_DEP_1) | instskip(NEXT) | instid1(VALU_DEP_1)
	v_dual_fmaak_f32 v22, s20, v20, 0x3a5b3dd2 :: v_dual_add_f32 v21, v21, v23
	v_cndmask_b32_e64 v17, v17, v21, s3
	v_cndmask_b32_e64 v21, 0, 0x41b17218, s36
	s_delay_alu instid0(VALU_DEP_1) | instskip(NEXT) | instid1(VALU_DEP_1)
	v_dual_fmaak_f32 v22, v20, v22, 0xba1c065c :: v_dual_sub_f32 v21, v17, v21
	v_fmaak_f32 v22, v20, v22, 0x3a500cfd
	s_delay_alu instid0(VALU_DEP_1) | instskip(NEXT) | instid1(VALU_DEP_1)
	v_fmaak_f32 v22, v20, v22, 0xbb360b61
	v_fmaak_f32 v20, v20, v22, 0x3daaaaab
	s_delay_alu instid0(VALU_DEP_1) | instskip(SKIP_2) | instid1(VALU_DEP_1)
	v_fmaak_f32 v17, v19, v20, 0x3ed67f1d
	v_add_f32_e64 v19, |v16|, -0.5
	v_add_f32_e32 v20, -1.0, v21
	v_fmac_f32_e32 v17, v19, v20
.LBB10_87:                              ;   in Loop: Header=BB10_4 Depth=1
	s_or_b32 exec_lo, exec_lo, s35
.LBB10_88:                              ;   in Loop: Header=BB10_4 Depth=1
	s_and_not1_saveexec_b32 s35, s4
	s_cbranch_execz .LBB10_90
; %bb.89:                               ;   in Loop: Header=BB10_4 Depth=1
	v_cvt_i32_f32_e32 v17, v18
	s_delay_alu instid0(VALU_DEP_1) | instskip(SKIP_1) | instid1(VALU_DEP_2)
	v_cvt_f32_i32_e32 v19, v17
	v_cmp_lt_i32_e64 s3, 3, v17
	v_sub_f32_e64 v20, |v16|, v19
	s_delay_alu instid0(VALU_DEP_1) | instskip(NEXT) | instid1(VALU_DEP_1)
	v_pk_add_f32 v[22:23], v[20:21], v[4:5] op_sel_hi:[0,1]
	v_dual_add_f32 v19, 4.0, v20 :: v_dual_cndmask_b32 v21, 1.0, v23, s3
	v_cmp_lt_i32_e64 s3, 2, v17
	v_add_f32_e32 v23, 0x40a00000, v20
	s_delay_alu instid0(VALU_DEP_2) | instskip(SKIP_1) | instid1(VALU_DEP_1)
	v_cndmask_b32_e64 v22, 1.0, v22, s3
	v_cmp_lt_i32_e64 s3, 4, v17
	v_dual_cndmask_b32 v19, 1.0, v19, s3 :: v_dual_mul_f32 v21, v22, v21
	v_add_f32_e32 v22, 0x40c00000, v20
	v_cmp_lt_i32_e64 s3, 5, v17
	s_delay_alu instid0(VALU_DEP_1) | instskip(SKIP_1) | instid1(VALU_DEP_1)
	v_dual_mul_f32 v19, v19, v21 :: v_dual_cndmask_b32 v23, 1.0, v23, s3
	v_cmp_lt_i32_e64 s3, 6, v17
	v_dual_mul_f32 v19, v23, v19 :: v_dual_cndmask_b32 v17, 1.0, v22, s3
	s_delay_alu instid0(VALU_DEP_1) | instskip(NEXT) | instid1(VALU_DEP_1)
	v_dual_fmaak_f32 v22, s21, v20, 0x3af135b4 :: v_dual_mul_f32 v17, v17, v19
	v_cmp_gt_f32_e64 s3, 0x800000, v17
	s_delay_alu instid0(VALU_DEP_1) | instskip(NEXT) | instid1(VALU_DEP_1)
	v_cndmask_b32_e64 v21, 0, 32, s3
	v_ldexp_f32 v17, v17, v21
	s_delay_alu instid0(VALU_DEP_4) | instskip(NEXT) | instid1(VALU_DEP_2)
	v_fmaak_f32 v21, v20, v22, 0x3cda40e4
	v_log_f32_e32 v17, v17
	s_delay_alu instid0(VALU_DEP_1) | instskip(NEXT) | instid1(VALU_DEP_1)
	v_fmaak_f32 v21, v20, v21, 0x3e15dce6
	v_fmaak_f32 v21, v20, v21, 0x3ea6cc7a
	s_delay_alu instid0(TRANS32_DEP_1) | instskip(NEXT) | instid1(VALU_DEP_2)
	v_cmp_gt_f32_e64 s4, 0x7f800000, |v17|
	v_fmaak_f32 v21, v20, v21, 0x3e5c245a
	s_delay_alu instid0(VALU_DEP_1) | instskip(NEXT) | instid1(VALU_DEP_1)
	v_fmaak_f32 v21, v20, v21, 0xbd9e233f
	v_mul_f32_e32 v21, v20, v21
	v_mul_f32_e32 v22, 0x3f317217, v17
	s_delay_alu instid0(VALU_DEP_1) | instskip(NEXT) | instid1(VALU_DEP_1)
	v_fma_f32 v23, 0x3f317217, v17, -v22
	v_fmac_f32_e32 v23, 0x3377d1cf, v17
	s_delay_alu instid0(VALU_DEP_1) | instskip(NEXT) | instid1(VALU_DEP_1)
	v_dual_fmaak_f32 v19, s22, v20, 0x3a4beed6 :: v_dual_add_f32 v22, v22, v23
	v_fmaak_f32 v19, v20, v19, 0x3c98bf54
	s_delay_alu instid0(VALU_DEP_2) | instskip(NEXT) | instid1(VALU_DEP_2)
	v_cndmask_b32_e64 v17, v17, v22, s4
	v_fmaak_f32 v19, v20, v19, 0x3e300f6e
	s_delay_alu instid0(VALU_DEP_1) | instskip(NEXT) | instid1(VALU_DEP_1)
	v_fmaak_f32 v19, v20, v19, 0x3f38d0c5
	v_fmaak_f32 v19, v20, v19, 0x3fb22d3b
	s_delay_alu instid0(VALU_DEP_1) | instskip(NEXT) | instid1(VALU_DEP_1)
	v_fma_f32 v19, v20, v19, 1.0
	v_rcp_f32_e32 v19, v19
	v_nop
	s_delay_alu instid0(TRANS32_DEP_1) | instskip(SKIP_1) | instid1(VALU_DEP_1)
	v_mul_f32_e32 v19, v21, v19
	v_cndmask_b32_e64 v21, 0, 0x41b17218, s3
	v_dual_fmac_f32 v19, 0.5, v20 :: v_dual_sub_f32 v17, v17, v21
	s_delay_alu instid0(VALU_DEP_1)
	v_add_f32_e32 v17, v17, v19
.LBB10_90:                              ;   in Loop: Header=BB10_4 Depth=1
	s_or_b32 exec_lo, exec_lo, s35
.LBB10_91:                              ;   in Loop: Header=BB10_4 Depth=1
	s_and_not1_saveexec_b32 s6, s6
	s_cbranch_execz .LBB10_109
; %bb.92:                               ;   in Loop: Header=BB10_4 Depth=1
                                        ; implicit-def: $vgpr17
                                        ; implicit-def: $vgpr20
                                        ; implicit-def: $vgpr19
	s_mov_b32 s4, exec_lo
	v_cmpx_ge_f32_e64 0x3f666666, |v16|
	s_xor_b32 s35, exec_lo, s4
	s_cbranch_execz .LBB10_94
; %bb.93:                               ;   in Loop: Header=BB10_4 Depth=1
	v_cmp_gt_f32_e64 s4, 0x800000, |v16|
	v_sub_f32_e64 v21, 1.0, |v16|
	v_cmp_gt_f32_e64 s3, 0x3f3b4a23, |v16|
	s_delay_alu instid0(VALU_DEP_3) | instskip(SKIP_1) | instid1(VALU_DEP_2)
	v_cndmask_b32_e64 v17, 0, 32, s4
	v_cndmask_b32_e64 v22, 0, 0x41b17218, s4
	v_ldexp_f32 v17, |v16|, v17
	s_delay_alu instid0(VALU_DEP_1) | instskip(SKIP_1) | instid1(TRANS32_DEP_1)
	v_log_f32_e32 v17, v17
	v_nop
	v_mul_f32_e32 v19, 0x3f317217, v17
	v_cmp_gt_f32_e64 s4, 0x7f800000, |v17|
	s_delay_alu instid0(VALU_DEP_2) | instskip(NEXT) | instid1(VALU_DEP_1)
	v_fma_f32 v20, 0x3f317217, v17, -v19
	v_fmac_f32_e32 v20, 0x3377d1cf, v17
	s_delay_alu instid0(VALU_DEP_1) | instskip(SKIP_1) | instid1(VALU_DEP_2)
	v_add_f32_e32 v19, v19, v20
	v_add_f32_e64 v20, 0xbeec5b0c, |v16|
	v_cndmask_b32_e64 v17, v17, v19, s4
	s_delay_alu instid0(VALU_DEP_2) | instskip(SKIP_2) | instid1(VALU_DEP_4)
	v_cndmask_b32_e64 v19, v21, v20, s3
	v_cndmask_b32_e64 v20, 0, 1, s3
	v_cmp_gt_f32_e64 s3, 0x3e6d3309, |v16|
	v_sub_f32_e32 v17, v17, v22
	s_delay_alu instid0(VALU_DEP_2) | instskip(NEXT) | instid1(VALU_DEP_4)
	v_cndmask_b32_e64 v19, v19, |v16|, s3
	v_cndmask_b32_e64 v20, v20, 2, s3
	s_delay_alu instid0(VALU_DEP_3)
	v_xor_b32_e32 v17, 0x80000000, v17
.LBB10_94:                              ;   in Loop: Header=BB10_4 Depth=1
	s_and_not1_saveexec_b32 s4, s35
	s_cbranch_execz .LBB10_96
; %bb.95:                               ;   in Loop: Header=BB10_4 Depth=1
	v_sub_f32_e64 v17, 2.0, |v16|
	v_add_f32_e64 v19, 0xbfbb16c3, |v16|
	v_cmp_gt_f32_e64 s3, 0x3fdda512, |v16|
	v_add_f32_e64 v20, |v16|, -1.0
	s_delay_alu instid0(VALU_DEP_2) | instskip(SKIP_2) | instid1(VALU_DEP_2)
	v_cndmask_b32_e64 v19, v17, v19, s3
	v_cndmask_b32_e64 v17, v17, 1.0, s3
	v_cmp_gt_f32_e64 s3, 0x3f9d70a4, |v16|
	v_cvt_i32_f32_e32 v17, v17
	s_delay_alu instid0(VALU_DEP_2) | instskip(NEXT) | instid1(VALU_DEP_2)
	v_cndmask_b32_e64 v19, v19, v20, s3
	v_cndmask_b32_e64 v20, v17, 2, s3
	v_mov_b32_e32 v17, 0
.LBB10_96:                              ;   in Loop: Header=BB10_4 Depth=1
	s_or_b32 exec_lo, exec_lo, s4
	s_delay_alu instid0(SALU_CYCLE_1) | instskip(NEXT) | instid1(VALU_DEP_2)
	s_mov_b32 s4, exec_lo
	v_cmpx_lt_i32_e32 0, v20
	s_xor_b32 s4, exec_lo, s4
	s_cbranch_execz .LBB10_104
; %bb.97:                               ;   in Loop: Header=BB10_4 Depth=1
	s_mov_b32 s35, exec_lo
	v_cmpx_lt_i32_e32 1, v20
	s_xor_b32 s35, exec_lo, s35
	s_cbranch_execz .LBB10_101
; %bb.98:                               ;   in Loop: Header=BB10_4 Depth=1
	s_mov_b32 s36, exec_lo
	v_cmpx_eq_u32_e32 2, v20
	s_cbranch_execz .LBB10_100
; %bb.99:                               ;   in Loop: Header=BB10_4 Depth=1
	v_fmaak_f32 v21, s23, v19, 0x3e6a7578
	s_delay_alu instid0(VALU_DEP_1) | instskip(NEXT) | instid1(VALU_DEP_1)
	v_fmaak_f32 v21, v19, v21, 0x3f7a4bb2
	v_fmaak_f32 v21, v19, v21, 0x3fba3ae7
	s_delay_alu instid0(VALU_DEP_1) | instskip(NEXT) | instid1(VALU_DEP_1)
	v_fmaak_f32 v21, v19, v21, 0x3f2200f4
	v_fmaak_f32 v21, v19, v21, 0xbd9e233f
	s_delay_alu instid0(VALU_DEP_1) | instskip(NEXT) | instid1(VALU_DEP_1)
	v_dual_fmaak_f32 v20, s24, v19, 0x3dd572af :: v_dual_mul_f32 v21, v19, v21
	v_fmaak_f32 v20, v19, v20, 0x3f44efdf
	s_delay_alu instid0(VALU_DEP_1) | instskip(NEXT) | instid1(VALU_DEP_1)
	v_fmaak_f32 v20, v19, v20, 0x4008392d
	v_fmaak_f32 v20, v19, v20, 0x401d2ebe
	s_delay_alu instid0(VALU_DEP_1) | instskip(NEXT) | instid1(VALU_DEP_1)
	v_fma_f32 v20, v19, v20, 1.0
	v_rcp_f32_e32 v20, v20
	v_nop
	s_delay_alu instid0(TRANS32_DEP_1) | instskip(NEXT) | instid1(VALU_DEP_1)
	v_mul_f32_e32 v20, v21, v20
	v_fmac_f32_e32 v20, -0.5, v19
	s_delay_alu instid0(VALU_DEP_1)
	v_add_f32_e32 v17, v17, v20
.LBB10_100:                             ;   in Loop: Header=BB10_4 Depth=1
	s_or_b32 exec_lo, exec_lo, s36
                                        ; implicit-def: $vgpr19
.LBB10_101:                             ;   in Loop: Header=BB10_4 Depth=1
	s_and_not1_saveexec_b32 s3, s35
	s_cbranch_execz .LBB10_103
; %bb.102:                              ;   in Loop: Header=BB10_4 Depth=1
	v_mul_f32_e32 v20, v19, v19
	s_delay_alu instid0(VALU_DEP_1) | instskip(NEXT) | instid1(VALU_DEP_1)
	v_mul_f32_e32 v21, v19, v20
	v_fmaak_f32 v22, s26, v21, 0x3a66f867
	v_fmaak_f32 v23, s27, v21, 0xba0d3085
	s_delay_alu instid0(VALU_DEP_2) | instskip(NEXT) | instid1(VALU_DEP_2)
	v_fmaak_f32 v22, v21, v22, 0xbb7177fe
	v_fmaak_f32 v23, v21, v23, 0x3b141699
	s_delay_alu instid0(VALU_DEP_2) | instskip(NEXT) | instid1(VALU_DEP_2)
	;; [unrolled: 3-line block ×3, first 2 shown]
	v_fmaak_f32 v22, v21, v22, 0xbe17213c
	v_fmaak_f32 v23, v21, v23, 0x3d845a15
	s_delay_alu instid0(VALU_DEP_1) | instskip(SKIP_1) | instid1(VALU_DEP_1)
	v_fmac_f32_e32 v22, v19, v23
	v_fmaak_f32 v24, s25, v21, 0xbab7f476
	v_fmaak_f32 v24, v21, v24, 0x3bc7e707
	s_delay_alu instid0(VALU_DEP_1) | instskip(NEXT) | instid1(VALU_DEP_1)
	v_fmaak_f32 v24, v21, v24, 0xbd064d47
	v_fmaak_f32 v19, v21, v24, 0x3ef7b95e
	v_fma_f32 v21, v21, -v22, 0xa2863e55
	s_delay_alu instid0(VALU_DEP_1) | instskip(NEXT) | instid1(VALU_DEP_1)
	v_fma_f32 v19, v20, v19, -v21
	v_add_f32_e32 v19, 0xbdf8cdce, v19
	s_delay_alu instid0(VALU_DEP_1)
	v_add_f32_e32 v17, v17, v19
.LBB10_103:                             ;   in Loop: Header=BB10_4 Depth=1
	s_or_b32 exec_lo, exec_lo, s3
                                        ; implicit-def: $vgpr20
                                        ; implicit-def: $vgpr19
.LBB10_104:                             ;   in Loop: Header=BB10_4 Depth=1
	s_and_not1_saveexec_b32 s4, s4
	s_cbranch_execz .LBB10_108
; %bb.105:                              ;   in Loop: Header=BB10_4 Depth=1
	s_mov_b32 s35, exec_lo
	v_cmpx_eq_u32_e32 0, v20
	s_cbranch_execz .LBB10_107
; %bb.106:                              ;   in Loop: Header=BB10_4 Depth=1
	v_mul_f32_e32 v20, v19, v19
	s_delay_alu instid0(VALU_DEP_1) | instskip(NEXT) | instid1(VALU_DEP_1)
	v_fmaak_f32 v22, s28, v20, 0x39679767
	v_fmaak_f32 v22, v20, v22, 0x3a9c54a1
	s_delay_alu instid0(VALU_DEP_1) | instskip(NEXT) | instid1(VALU_DEP_1)
	v_fmaak_f32 v22, v20, v22, 0x3bf2027e
	v_fmaak_f32 v22, v20, v22, 0x3d89f001
	s_delay_alu instid0(VALU_DEP_1) | instskip(SKIP_1) | instid1(VALU_DEP_1)
	v_fmaak_f32 v22, v20, v22, 0x3d9e233f
	v_fmaak_f32 v21, s29, v20, 0x38e28445
	;; [unrolled: 1-line block ×3, first 2 shown]
	s_delay_alu instid0(VALU_DEP_1) | instskip(NEXT) | instid1(VALU_DEP_1)
	v_fmaak_f32 v21, v20, v21, 0x3b3d6ec6
	v_fmaak_f32 v21, v20, v21, 0x3ca89915
	s_delay_alu instid0(VALU_DEP_1) | instskip(NEXT) | instid1(VALU_DEP_1)
	v_fmaak_f32 v21, v20, v21, 0x3ea51a66
	v_mul_f32_e32 v20, v20, v21
	s_delay_alu instid0(VALU_DEP_1) | instskip(NEXT) | instid1(VALU_DEP_1)
	v_fmac_f32_e32 v20, v19, v22
	v_fmac_f32_e32 v20, -0.5, v19
	s_delay_alu instid0(VALU_DEP_1)
	v_add_f32_e32 v17, v17, v20
.LBB10_107:                             ;   in Loop: Header=BB10_4 Depth=1
	s_or_b32 exec_lo, exec_lo, s35
.LBB10_108:                             ;   in Loop: Header=BB10_4 Depth=1
	s_delay_alu instid0(SALU_CYCLE_1)
	s_or_b32 exec_lo, exec_lo, s4
.LBB10_109:                             ;   in Loop: Header=BB10_4 Depth=1
	s_delay_alu instid0(SALU_CYCLE_1)
	s_or_b32 exec_lo, exec_lo, s6
.LBB10_110:                             ;   in Loop: Header=BB10_4 Depth=1
	s_and_not1_saveexec_b32 s4, s5
	s_cbranch_execz .LBB10_112
; %bb.111:                              ;   in Loop: Header=BB10_4 Depth=1
	v_cmp_gt_f32_e64 s5, 0x800000, |v16|
	v_fma_f32 v21, |v16|, s30, 0xbecd26ab
	s_delay_alu instid0(VALU_DEP_2) | instskip(NEXT) | instid1(VALU_DEP_1)
	v_cndmask_b32_e64 v17, 0, 32, s5
	v_ldexp_f32 v17, |v16|, v17
	s_delay_alu instid0(VALU_DEP_1) | instskip(SKIP_1) | instid1(TRANS32_DEP_1)
	v_log_f32_e32 v17, v17
	v_nop
	v_mul_f32_e32 v19, 0x3f317217, v17
	v_cmp_gt_f32_e64 s3, 0x7f800000, |v17|
	s_delay_alu instid0(VALU_DEP_2) | instskip(NEXT) | instid1(VALU_DEP_1)
	v_fma_f32 v20, 0x3f317217, v17, -v19
	v_fmac_f32_e32 v20, 0x3377d1cf, v17
	s_delay_alu instid0(VALU_DEP_1) | instskip(SKIP_1) | instid1(VALU_DEP_2)
	v_add_f32_e32 v19, v19, v20
	v_fma_f32 v20, |v16|, v21, 0x3f528d33
	v_cndmask_b32_e64 v17, v17, v19, s3
	v_cndmask_b32_e64 v19, 0, 0x41b17218, s5
	s_delay_alu instid0(VALU_DEP_3) | instskip(NEXT) | instid1(VALU_DEP_2)
	v_fma_f32 v20, |v16|, v20, 0xbf13c468
	v_sub_f32_e32 v17, v17, v19
	s_delay_alu instid0(VALU_DEP_1)
	v_fma_f32 v17, |v16|, v20, -v17
.LBB10_112:                             ;   in Loop: Header=BB10_4 Depth=1
	s_or_b32 exec_lo, exec_lo, s4
	v_cmp_le_f16_e64 s3, 0, v11
	s_mov_b32 s5, exec_lo
	v_cmpx_nle_f16_e32 0, v11
	s_xor_b32 s6, exec_lo, s5
	s_cbranch_execz .LBB10_116
; %bb.113:                              ;   in Loop: Header=BB10_4 Depth=1
	v_cmp_gt_f32_e64 s4, 0x4b000000, |v16|
	v_cmp_lt_f32_e64 s5, 0x35000000, |v16|
	s_and_b32 s4, s4, s5
	s_delay_alu instid0(SALU_CYCLE_1)
	s_and_saveexec_b32 s35, s4
	s_cbranch_execz .LBB10_115
; %bb.114:                              ;   in Loop: Header=BB10_4 Depth=1
	v_mul_f32_e64 v19, |v16|, 0.5
	v_xor_b32_e32 v18, v18, v16
	s_delay_alu instid0(VALU_DEP_2) | instskip(SKIP_1) | instid1(VALU_DEP_2)
	v_floor_f32_e32 v20, v19
	v_cmp_neq_f32_e64 s4, 0x7f800000, v19
	v_sub_f32_e32 v20, v19, v20
	s_delay_alu instid0(VALU_DEP_1) | instskip(NEXT) | instid1(VALU_DEP_1)
	v_min_num_f32_e32 v20, 0x3f7fffff, v20
	v_add_f32_e32 v20, v20, v20
	s_delay_alu instid0(VALU_DEP_1) | instskip(SKIP_1) | instid1(VALU_DEP_1)
	v_cndmask_b32_e64 v19, 0, v20, s4
	v_cmp_gt_f32_e64 s4, |v16|, 1.0
	v_cndmask_b32_e64 v19, |v16|, v19, s4
	s_delay_alu instid0(VALU_DEP_1) | instskip(NEXT) | instid1(VALU_DEP_1)
	v_add_f32_e32 v20, v19, v19
	v_rndne_f32_e32 v20, v20
	s_delay_alu instid0(VALU_DEP_1) | instskip(SKIP_1) | instid1(VALU_DEP_2)
	v_fmac_f32_e32 v19, -0.5, v20
	v_cvt_i32_f32_e32 v20, v20
	v_mul_f32_e32 v21, v19, v19
	s_delay_alu instid0(VALU_DEP_1) | instskip(SKIP_1) | instid1(VALU_DEP_2)
	v_fmaak_f32 v22, s31, v21, 0xbf1f24be
	v_dual_fmaak_f32 v23, s33, v21, 0x3e642e9d :: v_dual_mul_f32 v24, v19, v21
	v_fmaak_f32 v22, v21, v22, 0x40234736
	s_delay_alu instid0(VALU_DEP_2) | instskip(NEXT) | instid1(VALU_DEP_2)
	v_fmaak_f32 v23, v21, v23, 0xbfaad1da
	v_fmaak_f32 v22, v21, v22, 0xc0a55e0e
	s_delay_alu instid0(VALU_DEP_1) | instskip(NEXT) | instid1(VALU_DEP_1)
	v_mul_f32_e32 v22, v24, v22
	v_fmac_f32_e32 v22, 0x40490fdb, v19
	v_dual_lshlrev_b32 v20, 30, v20 :: v_dual_bitop2_b32 v24, 1, v20 bitop3:0x40
	v_fmaak_f32 v23, v21, v23, 0x4081e0d3
	s_delay_alu instid0(VALU_DEP_2) | instskip(NEXT) | instid1(VALU_DEP_3)
	v_cmp_eq_u32_e64 s4, 0, v24
	v_and_b32_e32 v20, 0x80000000, v20
	s_delay_alu instid0(VALU_DEP_3) | instskip(NEXT) | instid1(VALU_DEP_1)
	v_fmaak_f32 v23, v21, v23, 0xc09de9e6
	v_fma_f32 v19, v21, v23, 1.0
	s_delay_alu instid0(VALU_DEP_1) | instskip(NEXT) | instid1(VALU_DEP_1)
	v_cndmask_b32_e64 v19, v19, v22, s4
	v_xor3_b32 v18, v18, v20, v19
	s_delay_alu instid0(VALU_DEP_1) | instskip(NEXT) | instid1(VALU_DEP_1)
	v_mul_f32_e32 v18, v16, v18
	v_frexp_mant_f32_e64 v19, |v18|
	v_frexp_exp_i32_f32_e32 v18, v18
	s_delay_alu instid0(VALU_DEP_2) | instskip(SKIP_1) | instid1(TRANS32_DEP_1)
	v_rcp_f32_e32 v19, v19
	v_nop
	v_dual_mul_f32 v19, 0x3f490fdb, v19 :: v_dual_sub_nc_u32 v18, 2, v18
	s_delay_alu instid0(VALU_DEP_1) | instskip(NEXT) | instid1(VALU_DEP_1)
	v_ldexp_f32 v18, v19, v18
	v_cmp_gt_f32_e64 s4, 0x800000, v18
	s_delay_alu instid0(VALU_DEP_1) | instskip(NEXT) | instid1(VALU_DEP_1)
	v_cndmask_b32_e64 v19, 0, 32, s4
	v_ldexp_f32 v18, v18, v19
	s_delay_alu instid0(VALU_DEP_1) | instskip(SKIP_1) | instid1(TRANS32_DEP_1)
	v_log_f32_e32 v18, v18
	v_nop
	v_mul_f32_e32 v19, 0x3f317217, v18
	v_cmp_gt_f32_e64 s5, 0x7f800000, |v18|
	s_delay_alu instid0(VALU_DEP_2) | instskip(NEXT) | instid1(VALU_DEP_1)
	v_fma_f32 v20, 0x3f317217, v18, -v19
	v_fmac_f32_e32 v20, 0x3377d1cf, v18
	s_delay_alu instid0(VALU_DEP_1) | instskip(SKIP_1) | instid1(VALU_DEP_2)
	v_add_f32_e32 v19, v19, v20
	v_floor_f32_e32 v20, v16
	v_cndmask_b32_e64 v18, v18, v19, s5
	v_cndmask_b32_e64 v19, 0, 0x41b17218, s4
	s_delay_alu instid0(VALU_DEP_1) | instskip(NEXT) | instid1(VALU_DEP_1)
	v_dual_sub_f32 v20, v16, v20 :: v_dual_sub_f32 v18, v18, v19
	v_min_num_f32_e32 v19, 0x3f7fffff, v20
	s_delay_alu instid0(VALU_DEP_2) | instskip(NEXT) | instid1(VALU_DEP_2)
	v_sub_f32_e32 v17, v18, v17
	v_cmp_neq_f32_e64 s4, 0, v19
	s_delay_alu instid0(VALU_DEP_1)
	v_cndmask_b32_e64 v17, 0x7f800000, v17, s4
.LBB10_115:                             ;   in Loop: Header=BB10_4 Depth=1
	s_or_b32 exec_lo, exec_lo, s35
.LBB10_116:                             ;   in Loop: Header=BB10_4 Depth=1
	s_and_not1_saveexec_b32 s6, s6
; %bb.117:                              ;   in Loop: Header=BB10_4 Depth=1
	v_cmp_eq_f16_e64 s4, 1.0, v11
	v_cmp_eq_f16_e64 s5, 2.0, v11
	s_or_b32 s4, s4, s5
	s_delay_alu instid0(SALU_CYCLE_1)
	v_cndmask_b32_e64 v17, v17, 0, s4
; %bb.118:                              ;   in Loop: Header=BB10_4 Depth=1
	s_or_b32 exec_lo, exec_lo, s6
	v_lshrrev_b32_e32 v18, 16, v11
                                        ; implicit-def: $vgpr21
	s_mov_b32 s5, exec_lo
	s_delay_alu instid0(VALU_DEP_1) | instskip(NEXT) | instid1(VALU_DEP_1)
	v_cvt_f32_f16_e32 v19, v18
	v_and_b32_e32 v20, 0x7fffffff, v19
	v_cmpx_ngt_f32_e64 0x3c800000, |v19|
	s_xor_b32 s6, exec_lo, s5
	s_cbranch_execz .LBB10_148
; %bb.119:                              ;   in Loop: Header=BB10_4 Depth=1
                                        ; implicit-def: $vgpr21
	s_mov_b32 s5, exec_lo
	v_cmpx_nlt_f32_e64 |v19|, 2.0
	s_xor_b32 s35, exec_lo, s5
	s_cbranch_execz .LBB10_129
; %bb.120:                              ;   in Loop: Header=BB10_4 Depth=1
	s_mov_b32 s5, exec_lo
                                        ; implicit-def: $vgpr21
	v_cmpx_ngt_f32_e64 0x41000000, |v19|
	s_xor_b32 s5, exec_lo, s5
	s_cbranch_execz .LBB10_126
; %bb.121:                              ;   in Loop: Header=BB10_4 Depth=1
	s_mov_b32 s36, exec_lo
                                        ; implicit-def: $vgpr21
	v_cmpx_ngt_f32_e64 0x5c800000, |v19|
	s_xor_b32 s36, exec_lo, s36
	s_cbranch_execz .LBB10_123
; %bb.122:                              ;   in Loop: Header=BB10_4 Depth=1
	v_cmp_gt_f32_e64 s37, 0x800000, |v19|
	s_delay_alu instid0(VALU_DEP_1) | instskip(NEXT) | instid1(VALU_DEP_1)
	v_cndmask_b32_e64 v21, 0, 32, s37
	v_ldexp_f32 v21, |v19|, v21
	s_delay_alu instid0(VALU_DEP_1) | instskip(SKIP_1) | instid1(TRANS32_DEP_1)
	v_log_f32_e32 v21, v21
	v_nop
	v_mul_f32_e32 v22, 0x3f317217, v21
	v_cmp_gt_f32_e64 s4, 0x7f800000, |v21|
	s_delay_alu instid0(VALU_DEP_2) | instskip(NEXT) | instid1(VALU_DEP_1)
	v_fma_f32 v23, 0x3f317217, v21, -v22
	v_fmac_f32_e32 v23, 0x3377d1cf, v21
	s_delay_alu instid0(VALU_DEP_1) | instskip(NEXT) | instid1(VALU_DEP_1)
	v_add_f32_e32 v22, v22, v23
	v_cndmask_b32_e64 v21, v21, v22, s4
	v_cndmask_b32_e64 v22, 0, 0x41b17218, s37
	s_delay_alu instid0(VALU_DEP_1) | instskip(NEXT) | instid1(VALU_DEP_1)
	v_sub_f32_e32 v21, v21, v22
	v_fma_f32 v21, |v19|, v21, -|v19|
.LBB10_123:                             ;   in Loop: Header=BB10_4 Depth=1
	s_and_not1_saveexec_b32 s36, s36
	s_cbranch_execz .LBB10_125
; %bb.124:                              ;   in Loop: Header=BB10_4 Depth=1
	v_cmp_gt_f32_e64 s37, 0x800000, |v19|
	v_rcp_f32_e64 v22, |v19|
	s_delay_alu instid0(VALU_DEP_1) | instskip(NEXT) | instid1(VALU_DEP_1)
	v_cndmask_b32_e64 v21, 0, 32, s37
	v_ldexp_f32 v21, |v19|, v21
	s_delay_alu instid0(VALU_DEP_1) | instskip(SKIP_1) | instid1(TRANS32_DEP_1)
	v_log_f32_e32 v21, v21
	v_nop
	v_dual_mul_f32 v23, v22, v22 :: v_dual_mul_f32 v24, 0x3f317217, v21
	v_cmp_gt_f32_e64 s4, 0x7f800000, |v21|
	s_delay_alu instid0(VALU_DEP_2) | instskip(NEXT) | instid1(VALU_DEP_1)
	v_fma_f32 v26, 0x3f317217, v21, -v24
	v_fmac_f32_e32 v26, 0x3377d1cf, v21
	s_delay_alu instid0(VALU_DEP_1) | instskip(NEXT) | instid1(VALU_DEP_1)
	v_dual_fmaak_f32 v25, s20, v23, 0x3a5b3dd2 :: v_dual_add_f32 v24, v24, v26
	v_cndmask_b32_e64 v21, v21, v24, s4
	v_cndmask_b32_e64 v24, 0, 0x41b17218, s37
	s_delay_alu instid0(VALU_DEP_1) | instskip(NEXT) | instid1(VALU_DEP_1)
	v_dual_fmaak_f32 v25, v23, v25, 0xba1c065c :: v_dual_sub_f32 v24, v21, v24
	v_fmaak_f32 v25, v23, v25, 0x3a500cfd
	s_delay_alu instid0(VALU_DEP_1) | instskip(NEXT) | instid1(VALU_DEP_1)
	v_fmaak_f32 v25, v23, v25, 0xbb360b61
	v_fmaak_f32 v23, v23, v25, 0x3daaaaab
	s_delay_alu instid0(VALU_DEP_1) | instskip(SKIP_2) | instid1(VALU_DEP_1)
	v_fmaak_f32 v21, v22, v23, 0x3ed67f1d
	v_add_f32_e64 v22, |v19|, -0.5
	v_add_f32_e32 v23, -1.0, v24
	v_fmac_f32_e32 v21, v22, v23
.LBB10_125:                             ;   in Loop: Header=BB10_4 Depth=1
	s_or_b32 exec_lo, exec_lo, s36
.LBB10_126:                             ;   in Loop: Header=BB10_4 Depth=1
	s_and_not1_saveexec_b32 s36, s5
	s_cbranch_execz .LBB10_128
; %bb.127:                              ;   in Loop: Header=BB10_4 Depth=1
	v_cvt_i32_f32_e32 v21, v20
	s_delay_alu instid0(VALU_DEP_1) | instskip(SKIP_1) | instid1(VALU_DEP_2)
	v_cvt_f32_i32_e32 v22, v21
	v_cmp_lt_i32_e64 s4, 3, v21
	v_sub_f32_e64 v22, |v19|, v22
	s_delay_alu instid0(VALU_DEP_1) | instskip(NEXT) | instid1(VALU_DEP_1)
	v_pk_add_f32 v[24:25], v[22:23], v[4:5] op_sel_hi:[0,1]
	v_dual_add_f32 v23, 4.0, v22 :: v_dual_cndmask_b32 v25, 1.0, v25, s4
	v_cmp_lt_i32_e64 s4, 2, v21
	s_delay_alu instid0(VALU_DEP_1) | instskip(SKIP_1) | instid1(VALU_DEP_1)
	v_cndmask_b32_e64 v24, 1.0, v24, s4
	v_cmp_lt_i32_e64 s4, 4, v21
	v_dual_cndmask_b32 v23, 1.0, v23, s4 :: v_dual_mul_f32 v24, v24, v25
	v_add_f32_e32 v25, 0x40c00000, v22
	v_add_f32_e32 v26, 0x40a00000, v22
	v_cmp_lt_i32_e64 s4, 5, v21
	s_delay_alu instid0(VALU_DEP_1) | instskip(SKIP_1) | instid1(VALU_DEP_1)
	v_dual_mul_f32 v23, v23, v24 :: v_dual_cndmask_b32 v26, 1.0, v26, s4
	v_cmp_lt_i32_e64 s4, 6, v21
	v_dual_cndmask_b32 v21, 1.0, v25, s4 :: v_dual_mul_f32 v23, v26, v23
	v_fmaak_f32 v25, s21, v22, 0x3af135b4
	s_delay_alu instid0(VALU_DEP_2) | instskip(NEXT) | instid1(VALU_DEP_1)
	v_mul_f32_e32 v21, v21, v23
	v_cmp_gt_f32_e64 s4, 0x800000, v21
	s_delay_alu instid0(VALU_DEP_1) | instskip(NEXT) | instid1(VALU_DEP_1)
	v_cndmask_b32_e64 v24, 0, 32, s4
	v_ldexp_f32 v21, v21, v24
	v_fmaak_f32 v24, v22, v25, 0x3cda40e4
	s_delay_alu instid0(VALU_DEP_2) | instskip(SKIP_1) | instid1(TRANS32_DEP_1)
	v_log_f32_e32 v21, v21
	v_nop
	v_mul_f32_e32 v25, 0x3f317217, v21
	v_cmp_gt_f32_e64 s5, 0x7f800000, |v21|
	s_delay_alu instid0(VALU_DEP_2) | instskip(NEXT) | instid1(VALU_DEP_1)
	v_fma_f32 v26, 0x3f317217, v21, -v25
	v_fmac_f32_e32 v26, 0x3377d1cf, v21
	s_delay_alu instid0(VALU_DEP_1) | instskip(NEXT) | instid1(VALU_DEP_1)
	v_dual_fmaak_f32 v24, v22, v24, 0x3e15dce6 :: v_dual_add_f32 v25, v25, v26
	v_fmaak_f32 v24, v22, v24, 0x3ea6cc7a
	s_delay_alu instid0(VALU_DEP_2) | instskip(NEXT) | instid1(VALU_DEP_2)
	v_cndmask_b32_e64 v21, v21, v25, s5
	v_fmaak_f32 v24, v22, v24, 0x3e5c245a
	s_delay_alu instid0(VALU_DEP_1) | instskip(NEXT) | instid1(VALU_DEP_1)
	v_fmaak_f32 v24, v22, v24, 0xbd9e233f
	v_dual_fmaak_f32 v23, s22, v22, 0x3a4beed6 :: v_dual_mul_f32 v24, v22, v24
	s_delay_alu instid0(VALU_DEP_1) | instskip(NEXT) | instid1(VALU_DEP_1)
	v_fmaak_f32 v23, v22, v23, 0x3c98bf54
	v_fmaak_f32 v23, v22, v23, 0x3e300f6e
	s_delay_alu instid0(VALU_DEP_1) | instskip(NEXT) | instid1(VALU_DEP_1)
	v_fmaak_f32 v23, v22, v23, 0x3f38d0c5
	v_fmaak_f32 v23, v22, v23, 0x3fb22d3b
	s_delay_alu instid0(VALU_DEP_1) | instskip(NEXT) | instid1(VALU_DEP_1)
	v_fma_f32 v23, v22, v23, 1.0
	v_rcp_f32_e32 v23, v23
	v_nop
	s_delay_alu instid0(TRANS32_DEP_1) | instskip(SKIP_1) | instid1(VALU_DEP_1)
	v_mul_f32_e32 v23, v24, v23
	v_cndmask_b32_e64 v24, 0, 0x41b17218, s4
	v_dual_fmac_f32 v23, 0.5, v22 :: v_dual_sub_f32 v21, v21, v24
	s_delay_alu instid0(VALU_DEP_1)
	v_add_f32_e32 v21, v21, v23
.LBB10_128:                             ;   in Loop: Header=BB10_4 Depth=1
	s_or_b32 exec_lo, exec_lo, s36
.LBB10_129:                             ;   in Loop: Header=BB10_4 Depth=1
	s_and_not1_saveexec_b32 s35, s35
	s_cbranch_execz .LBB10_147
; %bb.130:                              ;   in Loop: Header=BB10_4 Depth=1
                                        ; implicit-def: $vgpr21
                                        ; implicit-def: $vgpr23
                                        ; implicit-def: $vgpr22
	s_mov_b32 s5, exec_lo
	v_cmpx_ge_f32_e64 0x3f666666, |v19|
	s_xor_b32 s36, exec_lo, s5
	s_cbranch_execz .LBB10_132
; %bb.131:                              ;   in Loop: Header=BB10_4 Depth=1
	v_cmp_gt_f32_e64 s5, 0x800000, |v19|
	v_sub_f32_e64 v24, 1.0, |v19|
	v_cmp_gt_f32_e64 s4, 0x3f3b4a23, |v19|
	s_delay_alu instid0(VALU_DEP_3) | instskip(SKIP_1) | instid1(VALU_DEP_2)
	v_cndmask_b32_e64 v21, 0, 32, s5
	v_cndmask_b32_e64 v25, 0, 0x41b17218, s5
	v_ldexp_f32 v21, |v19|, v21
	s_delay_alu instid0(VALU_DEP_1) | instskip(SKIP_1) | instid1(TRANS32_DEP_1)
	v_log_f32_e32 v21, v21
	v_nop
	v_mul_f32_e32 v22, 0x3f317217, v21
	v_cmp_gt_f32_e64 s5, 0x7f800000, |v21|
	s_delay_alu instid0(VALU_DEP_2) | instskip(NEXT) | instid1(VALU_DEP_1)
	v_fma_f32 v23, 0x3f317217, v21, -v22
	v_fmac_f32_e32 v23, 0x3377d1cf, v21
	s_delay_alu instid0(VALU_DEP_1) | instskip(SKIP_1) | instid1(VALU_DEP_1)
	v_add_f32_e32 v22, v22, v23
	v_add_f32_e64 v23, 0xbeec5b0c, |v19|
	v_dual_cndmask_b32 v21, v21, v22, s5 :: v_dual_cndmask_b32 v22, v24, v23, s4
	v_cndmask_b32_e64 v23, 0, 1, s4
	v_cmp_gt_f32_e64 s4, 0x3e6d3309, |v19|
	s_delay_alu instid0(VALU_DEP_3) | instskip(NEXT) | instid1(VALU_DEP_2)
	v_sub_f32_e32 v21, v21, v25
	v_cndmask_b32_e64 v22, v22, |v19|, s4
	s_delay_alu instid0(VALU_DEP_4) | instskip(NEXT) | instid1(VALU_DEP_3)
	v_cndmask_b32_e64 v23, v23, 2, s4
	v_xor_b32_e32 v21, 0x80000000, v21
.LBB10_132:                             ;   in Loop: Header=BB10_4 Depth=1
	s_and_not1_saveexec_b32 s5, s36
	s_cbranch_execz .LBB10_134
; %bb.133:                              ;   in Loop: Header=BB10_4 Depth=1
	v_sub_f32_e64 v21, 2.0, |v19|
	v_add_f32_e64 v22, 0xbfbb16c3, |v19|
	v_cmp_gt_f32_e64 s4, 0x3fdda512, |v19|
	v_add_f32_e64 v23, |v19|, -1.0
	s_delay_alu instid0(VALU_DEP_2) | instskip(SKIP_2) | instid1(VALU_DEP_2)
	v_cndmask_b32_e64 v22, v21, v22, s4
	v_cndmask_b32_e64 v21, v21, 1.0, s4
	v_cmp_gt_f32_e64 s4, 0x3f9d70a4, |v19|
	v_cvt_i32_f32_e32 v21, v21
	s_delay_alu instid0(VALU_DEP_2) | instskip(NEXT) | instid1(VALU_DEP_2)
	v_cndmask_b32_e64 v22, v22, v23, s4
	v_cndmask_b32_e64 v23, v21, 2, s4
	v_mov_b32_e32 v21, 0
.LBB10_134:                             ;   in Loop: Header=BB10_4 Depth=1
	s_or_b32 exec_lo, exec_lo, s5
	s_delay_alu instid0(SALU_CYCLE_1) | instskip(NEXT) | instid1(VALU_DEP_2)
	s_mov_b32 s5, exec_lo
	v_cmpx_lt_i32_e32 0, v23
	s_xor_b32 s5, exec_lo, s5
	s_cbranch_execz .LBB10_142
; %bb.135:                              ;   in Loop: Header=BB10_4 Depth=1
	s_mov_b32 s36, exec_lo
	v_cmpx_lt_i32_e32 1, v23
	s_xor_b32 s36, exec_lo, s36
	s_cbranch_execz .LBB10_139
; %bb.136:                              ;   in Loop: Header=BB10_4 Depth=1
	s_mov_b32 s37, exec_lo
	v_cmpx_eq_u32_e32 2, v23
	s_cbranch_execz .LBB10_138
; %bb.137:                              ;   in Loop: Header=BB10_4 Depth=1
	v_fmaak_f32 v24, s23, v22, 0x3e6a7578
	s_delay_alu instid0(VALU_DEP_1) | instskip(NEXT) | instid1(VALU_DEP_1)
	v_fmaak_f32 v24, v22, v24, 0x3f7a4bb2
	v_fmaak_f32 v24, v22, v24, 0x3fba3ae7
	s_delay_alu instid0(VALU_DEP_1) | instskip(NEXT) | instid1(VALU_DEP_1)
	v_fmaak_f32 v24, v22, v24, 0x3f2200f4
	v_fmaak_f32 v24, v22, v24, 0xbd9e233f
	s_delay_alu instid0(VALU_DEP_1) | instskip(NEXT) | instid1(VALU_DEP_1)
	v_dual_fmaak_f32 v23, s24, v22, 0x3dd572af :: v_dual_mul_f32 v24, v22, v24
	v_fmaak_f32 v23, v22, v23, 0x3f44efdf
	s_delay_alu instid0(VALU_DEP_1) | instskip(NEXT) | instid1(VALU_DEP_1)
	v_fmaak_f32 v23, v22, v23, 0x4008392d
	v_fmaak_f32 v23, v22, v23, 0x401d2ebe
	s_delay_alu instid0(VALU_DEP_1) | instskip(NEXT) | instid1(VALU_DEP_1)
	v_fma_f32 v23, v22, v23, 1.0
	v_rcp_f32_e32 v23, v23
	v_nop
	s_delay_alu instid0(TRANS32_DEP_1) | instskip(NEXT) | instid1(VALU_DEP_1)
	v_mul_f32_e32 v23, v24, v23
	v_fmac_f32_e32 v23, -0.5, v22
	s_delay_alu instid0(VALU_DEP_1)
	v_add_f32_e32 v21, v21, v23
.LBB10_138:                             ;   in Loop: Header=BB10_4 Depth=1
	s_or_b32 exec_lo, exec_lo, s37
                                        ; implicit-def: $vgpr22
.LBB10_139:                             ;   in Loop: Header=BB10_4 Depth=1
	s_and_not1_saveexec_b32 s4, s36
	s_cbranch_execz .LBB10_141
; %bb.140:                              ;   in Loop: Header=BB10_4 Depth=1
	v_mul_f32_e32 v23, v22, v22
	s_delay_alu instid0(VALU_DEP_1) | instskip(NEXT) | instid1(VALU_DEP_1)
	v_mul_f32_e32 v24, v22, v23
	v_fmaak_f32 v25, s26, v24, 0x3a66f867
	v_fmaak_f32 v26, s27, v24, 0xba0d3085
	s_delay_alu instid0(VALU_DEP_2) | instskip(NEXT) | instid1(VALU_DEP_2)
	v_fmaak_f32 v25, v24, v25, 0xbb7177fe
	v_fmaak_f32 v26, v24, v26, 0x3b141699
	s_delay_alu instid0(VALU_DEP_2) | instskip(NEXT) | instid1(VALU_DEP_2)
	v_fmaak_f32 v25, v24, v25, 0x3c93373d
	v_fmaak_f32 v26, v24, v26, 0xbc28fcfe
	s_delay_alu instid0(VALU_DEP_2) | instskip(NEXT) | instid1(VALU_DEP_2)
	v_fmaak_f32 v25, v24, v25, 0xbe17213c
	v_fmaak_f32 v26, v24, v26, 0x3d845a15
	s_delay_alu instid0(VALU_DEP_1) | instskip(SKIP_1) | instid1(VALU_DEP_1)
	v_fmac_f32_e32 v25, v22, v26
	v_fmaak_f32 v27, s25, v24, 0xbab7f476
	v_fmaak_f32 v27, v24, v27, 0x3bc7e707
	s_delay_alu instid0(VALU_DEP_1) | instskip(NEXT) | instid1(VALU_DEP_1)
	v_fmaak_f32 v27, v24, v27, 0xbd064d47
	v_fmaak_f32 v22, v24, v27, 0x3ef7b95e
	v_fma_f32 v24, v24, -v25, 0xa2863e55
	s_delay_alu instid0(VALU_DEP_1) | instskip(NEXT) | instid1(VALU_DEP_1)
	v_fma_f32 v22, v23, v22, -v24
	v_add_f32_e32 v22, 0xbdf8cdce, v22
	s_delay_alu instid0(VALU_DEP_1)
	v_add_f32_e32 v21, v21, v22
.LBB10_141:                             ;   in Loop: Header=BB10_4 Depth=1
	s_or_b32 exec_lo, exec_lo, s4
                                        ; implicit-def: $vgpr23
                                        ; implicit-def: $vgpr22
.LBB10_142:                             ;   in Loop: Header=BB10_4 Depth=1
	s_and_not1_saveexec_b32 s5, s5
	s_cbranch_execz .LBB10_146
; %bb.143:                              ;   in Loop: Header=BB10_4 Depth=1
	s_mov_b32 s36, exec_lo
	v_cmpx_eq_u32_e32 0, v23
	s_cbranch_execz .LBB10_145
; %bb.144:                              ;   in Loop: Header=BB10_4 Depth=1
	v_mul_f32_e32 v23, v22, v22
	s_delay_alu instid0(VALU_DEP_1) | instskip(NEXT) | instid1(VALU_DEP_1)
	v_fmaak_f32 v25, s28, v23, 0x39679767
	v_fmaak_f32 v25, v23, v25, 0x3a9c54a1
	s_delay_alu instid0(VALU_DEP_1) | instskip(NEXT) | instid1(VALU_DEP_1)
	v_fmaak_f32 v25, v23, v25, 0x3bf2027e
	v_fmaak_f32 v25, v23, v25, 0x3d89f001
	s_delay_alu instid0(VALU_DEP_1) | instskip(SKIP_1) | instid1(VALU_DEP_1)
	v_fmaak_f32 v25, v23, v25, 0x3d9e233f
	v_fmaak_f32 v24, s29, v23, 0x38e28445
	;; [unrolled: 1-line block ×3, first 2 shown]
	s_delay_alu instid0(VALU_DEP_1) | instskip(NEXT) | instid1(VALU_DEP_1)
	v_fmaak_f32 v24, v23, v24, 0x3b3d6ec6
	v_fmaak_f32 v24, v23, v24, 0x3ca89915
	s_delay_alu instid0(VALU_DEP_1) | instskip(NEXT) | instid1(VALU_DEP_1)
	v_fmaak_f32 v24, v23, v24, 0x3ea51a66
	v_mul_f32_e32 v23, v23, v24
	s_delay_alu instid0(VALU_DEP_1) | instskip(NEXT) | instid1(VALU_DEP_1)
	v_fmac_f32_e32 v23, v22, v25
	v_fmac_f32_e32 v23, -0.5, v22
	s_delay_alu instid0(VALU_DEP_1)
	v_add_f32_e32 v21, v21, v23
.LBB10_145:                             ;   in Loop: Header=BB10_4 Depth=1
	s_or_b32 exec_lo, exec_lo, s36
.LBB10_146:                             ;   in Loop: Header=BB10_4 Depth=1
	s_delay_alu instid0(SALU_CYCLE_1)
	s_or_b32 exec_lo, exec_lo, s5
.LBB10_147:                             ;   in Loop: Header=BB10_4 Depth=1
	s_delay_alu instid0(SALU_CYCLE_1)
	s_or_b32 exec_lo, exec_lo, s35
.LBB10_148:                             ;   in Loop: Header=BB10_4 Depth=1
	s_and_not1_saveexec_b32 s5, s6
	s_cbranch_execz .LBB10_150
; %bb.149:                              ;   in Loop: Header=BB10_4 Depth=1
	v_cmp_gt_f32_e64 s6, 0x800000, |v19|
	v_fma_f32 v24, |v19|, s30, 0xbecd26ab
	s_delay_alu instid0(VALU_DEP_2) | instskip(NEXT) | instid1(VALU_DEP_1)
	v_cndmask_b32_e64 v21, 0, 32, s6
	v_ldexp_f32 v21, |v19|, v21
	s_delay_alu instid0(VALU_DEP_1) | instskip(SKIP_1) | instid1(TRANS32_DEP_1)
	v_log_f32_e32 v21, v21
	v_nop
	v_mul_f32_e32 v22, 0x3f317217, v21
	v_cmp_gt_f32_e64 s4, 0x7f800000, |v21|
	s_delay_alu instid0(VALU_DEP_2) | instskip(NEXT) | instid1(VALU_DEP_1)
	v_fma_f32 v23, 0x3f317217, v21, -v22
	v_fmac_f32_e32 v23, 0x3377d1cf, v21
	s_delay_alu instid0(VALU_DEP_1) | instskip(SKIP_1) | instid1(VALU_DEP_2)
	v_add_f32_e32 v22, v22, v23
	v_fma_f32 v23, |v19|, v24, 0x3f528d33
	v_cndmask_b32_e64 v21, v21, v22, s4
	v_cndmask_b32_e64 v22, 0, 0x41b17218, s6
	s_delay_alu instid0(VALU_DEP_3) | instskip(NEXT) | instid1(VALU_DEP_2)
	v_fma_f32 v23, |v19|, v23, 0xbf13c468
	v_sub_f32_e32 v21, v21, v22
	s_delay_alu instid0(VALU_DEP_1)
	v_fma_f32 v21, |v19|, v23, -v21
.LBB10_150:                             ;   in Loop: Header=BB10_4 Depth=1
	s_or_b32 exec_lo, exec_lo, s5
	v_cmp_le_f16_e64 s4, 0, v18
	s_mov_b32 s6, exec_lo
	v_cmpx_nle_f16_e32 0, v18
	s_xor_b32 s35, exec_lo, s6
	s_cbranch_execz .LBB10_154
; %bb.151:                              ;   in Loop: Header=BB10_4 Depth=1
	v_cmp_gt_f32_e64 s5, 0x4b000000, |v19|
	v_cmp_lt_f32_e64 s6, 0x35000000, |v19|
	s_and_b32 s5, s5, s6
	s_delay_alu instid0(SALU_CYCLE_1)
	s_and_saveexec_b32 s36, s5
	s_cbranch_execz .LBB10_153
; %bb.152:                              ;   in Loop: Header=BB10_4 Depth=1
	v_mul_f32_e64 v22, |v19|, 0.5
	v_xor_b32_e32 v20, v20, v19
	s_delay_alu instid0(VALU_DEP_2) | instskip(SKIP_1) | instid1(VALU_DEP_2)
	v_floor_f32_e32 v23, v22
	v_cmp_neq_f32_e64 s5, 0x7f800000, v22
	v_sub_f32_e32 v23, v22, v23
	s_delay_alu instid0(VALU_DEP_1) | instskip(NEXT) | instid1(VALU_DEP_1)
	v_min_num_f32_e32 v23, 0x3f7fffff, v23
	v_add_f32_e32 v23, v23, v23
	s_delay_alu instid0(VALU_DEP_1) | instskip(SKIP_1) | instid1(VALU_DEP_1)
	v_cndmask_b32_e64 v22, 0, v23, s5
	v_cmp_gt_f32_e64 s5, |v19|, 1.0
	v_cndmask_b32_e64 v22, |v19|, v22, s5
	s_delay_alu instid0(VALU_DEP_1) | instskip(NEXT) | instid1(VALU_DEP_1)
	v_add_f32_e32 v23, v22, v22
	v_rndne_f32_e32 v23, v23
	s_delay_alu instid0(VALU_DEP_1) | instskip(SKIP_1) | instid1(VALU_DEP_2)
	v_fmac_f32_e32 v22, -0.5, v23
	v_cvt_i32_f32_e32 v23, v23
	v_mul_f32_e32 v24, v22, v22
	s_delay_alu instid0(VALU_DEP_1) | instskip(SKIP_1) | instid1(VALU_DEP_2)
	v_fmaak_f32 v25, s31, v24, 0xbf1f24be
	v_dual_fmaak_f32 v26, s33, v24, 0x3e642e9d :: v_dual_mul_f32 v27, v22, v24
	v_fmaak_f32 v25, v24, v25, 0x40234736
	s_delay_alu instid0(VALU_DEP_2) | instskip(NEXT) | instid1(VALU_DEP_2)
	v_fmaak_f32 v26, v24, v26, 0xbfaad1da
	v_fmaak_f32 v25, v24, v25, 0xc0a55e0e
	s_delay_alu instid0(VALU_DEP_1) | instskip(NEXT) | instid1(VALU_DEP_1)
	v_mul_f32_e32 v25, v27, v25
	v_fmac_f32_e32 v25, 0x40490fdb, v22
	v_dual_lshlrev_b32 v23, 30, v23 :: v_dual_bitop2_b32 v27, 1, v23 bitop3:0x40
	v_fmaak_f32 v26, v24, v26, 0x4081e0d3
	s_delay_alu instid0(VALU_DEP_2) | instskip(NEXT) | instid1(VALU_DEP_3)
	v_cmp_eq_u32_e64 s5, 0, v27
	v_and_b32_e32 v23, 0x80000000, v23
	s_delay_alu instid0(VALU_DEP_3) | instskip(NEXT) | instid1(VALU_DEP_1)
	v_fmaak_f32 v26, v24, v26, 0xc09de9e6
	v_fma_f32 v22, v24, v26, 1.0
	s_delay_alu instid0(VALU_DEP_1) | instskip(NEXT) | instid1(VALU_DEP_1)
	v_cndmask_b32_e64 v22, v22, v25, s5
	v_xor3_b32 v20, v20, v23, v22
	s_delay_alu instid0(VALU_DEP_1) | instskip(NEXT) | instid1(VALU_DEP_1)
	v_mul_f32_e32 v20, v19, v20
	v_frexp_mant_f32_e64 v22, |v20|
	v_frexp_exp_i32_f32_e32 v20, v20
	s_delay_alu instid0(VALU_DEP_2) | instskip(NEXT) | instid1(VALU_DEP_1)
	v_rcp_f32_e32 v22, v22
	v_sub_nc_u32_e32 v20, 2, v20
	s_delay_alu instid0(TRANS32_DEP_1) | instskip(NEXT) | instid1(VALU_DEP_1)
	v_mul_f32_e32 v22, 0x3f490fdb, v22
	v_ldexp_f32 v20, v22, v20
	s_delay_alu instid0(VALU_DEP_1) | instskip(NEXT) | instid1(VALU_DEP_1)
	v_cmp_gt_f32_e64 s5, 0x800000, v20
	v_cndmask_b32_e64 v22, 0, 32, s5
	s_delay_alu instid0(VALU_DEP_1) | instskip(NEXT) | instid1(VALU_DEP_1)
	v_ldexp_f32 v20, v20, v22
	v_log_f32_e32 v20, v20
	v_nop
	s_delay_alu instid0(TRANS32_DEP_1) | instskip(SKIP_1) | instid1(VALU_DEP_2)
	v_mul_f32_e32 v22, 0x3f317217, v20
	v_cmp_gt_f32_e64 s6, 0x7f800000, |v20|
	v_fma_f32 v23, 0x3f317217, v20, -v22
	s_delay_alu instid0(VALU_DEP_1) | instskip(NEXT) | instid1(VALU_DEP_1)
	v_fmac_f32_e32 v23, 0x3377d1cf, v20
	v_add_f32_e32 v22, v22, v23
	v_floor_f32_e32 v23, v19
	s_delay_alu instid0(VALU_DEP_2) | instskip(SKIP_1) | instid1(VALU_DEP_1)
	v_cndmask_b32_e64 v20, v20, v22, s6
	v_cndmask_b32_e64 v22, 0, 0x41b17218, s5
	v_dual_sub_f32 v23, v19, v23 :: v_dual_sub_f32 v20, v20, v22
	s_delay_alu instid0(VALU_DEP_1) | instskip(NEXT) | instid1(VALU_DEP_2)
	v_min_num_f32_e32 v22, 0x3f7fffff, v23
	v_sub_f32_e32 v20, v20, v21
	s_delay_alu instid0(VALU_DEP_2) | instskip(NEXT) | instid1(VALU_DEP_1)
	v_cmp_neq_f32_e64 s5, 0, v22
	v_cndmask_b32_e64 v21, 0x7f800000, v20, s5
.LBB10_153:                             ;   in Loop: Header=BB10_4 Depth=1
	s_or_b32 exec_lo, exec_lo, s36
.LBB10_154:                             ;   in Loop: Header=BB10_4 Depth=1
	s_and_not1_saveexec_b32 s35, s35
	s_cbranch_execz .LBB10_3
; %bb.155:                              ;   in Loop: Header=BB10_4 Depth=1
	v_cmp_eq_f16_e64 s5, 1.0, v18
	v_cmp_eq_f16_e64 s6, 2.0, v18
	s_or_b32 s5, s5, s6
	s_delay_alu instid0(SALU_CYCLE_1)
	v_cndmask_b32_e64 v21, v21, 0, s5
	s_branch .LBB10_3
.LBB10_156:
	s_or_b32 exec_lo, exec_lo, s7
	s_mov_b32 s2, 0
.LBB10_157:
	s_delay_alu instid0(SALU_CYCLE_1)
	s_and_not1_b32 vcc_lo, exec_lo, s2
	s_cbranch_vccnz .LBB10_329
; %bb.158:
	v_cmp_lt_i64_e64 s2, s[14:15], 1
	s_and_b32 vcc_lo, exec_lo, s2
	s_cbranch_vccnz .LBB10_329
; %bb.159:
	s_load_b32 s0, s[0:1], 0xc5c
	v_min_i64 v[2:3], 0x10000, s[14:15]
	v_min_u64 v[4:5], 0x10000, s[14:15]
	v_dual_mov_b32 v1, 0 :: v_dual_lshlrev_b32 v12, 1, v0
	s_wait_xcnt 0x0
	s_mov_b32 s1, 0
	v_mov_b64_e32 v[28:29], 0x4040000040000000
	s_mov_b32 s17, s1
	v_dual_mov_b32 v13, v1 :: v_dual_mov_b32 v27, v1
	s_mov_b32 s3, s1
	s_mov_b32 s5, s1
	s_mov_b64 s[14:15], 0
	s_delay_alu instid0(VALU_DEP_1)
	v_add_nc_u64_e32 v[6:7], s[8:9], v[12:13]
	v_add_nc_u64_e32 v[8:9], s[12:13], v[12:13]
	s_mov_b32 s20, 0xbad5c4e8
	s_mov_b32 s21, 0x3805ff67
	;; [unrolled: 1-line block ×5, first 2 shown]
	s_wait_kmcnt 0x0
	s_and_b32 s0, s0, 0xffff
	s_mov_b32 s24, 0x39afe9f7
	v_add_nc_u64_e32 v[10:11], s[0:1], v[0:1]
	v_mad_nc_u64_u32 v[22:23], s0, 6, v[12:13]
	s_lshl_b32 s16, s0, 2
	s_lshl_b32 s2, s0, 1
	v_add_nc_u64_e32 v[18:19], s[16:17], v[12:13]
	s_mul_i32 s4, s0, 3
	v_add_nc_u64_e32 v[14:15], s[2:3], v[0:1]
	v_lshlrev_b32_e32 v26, 1, v10
	v_add_nc_u64_e32 v[12:13], s[4:5], v[0:1]
	s_lshl_b32 s18, s0, 3
	s_mov_b32 s25, 0x37d383a2
	v_add_nc_u64_e32 v[16:17], s[8:9], v[18:19]
	v_add_nc_u64_e32 v[18:19], s[12:13], v[18:19]
	;; [unrolled: 1-line block ×6, first 2 shown]
	s_mov_b32 s9, 0x3c5b3c5e
	s_mov_b32 s12, 0x3b52d5db
	;; [unrolled: 1-line block ×7, first 2 shown]
	s_branch .LBB10_161
.LBB10_160:                             ;   in Loop: Header=BB10_161 Depth=1
	s_wait_xcnt 0x0
	s_or_b32 exec_lo, exec_lo, s0
	s_add_nc_u64 s[14:15], s[14:15], s[16:17]
	v_add_nc_u64_e32 v[6:7], s[18:19], v[6:7]
	v_cmp_ge_i64_e32 vcc_lo, s[14:15], v[2:3]
	v_add_nc_u64_e32 v[8:9], s[18:19], v[8:9]
	v_add_nc_u64_e32 v[20:21], s[18:19], v[20:21]
	;; [unrolled: 1-line block ×7, first 2 shown]
	s_cbranch_vccnz .LBB10_329
.LBB10_161:                             ; =>This Inner Loop Header: Depth=1
	v_add_nc_u64_e32 v[30:31], s[14:15], v[0:1]
	v_mov_b32_e32 v33, 0
	s_delay_alu instid0(VALU_DEP_2)
	v_cmp_lt_u64_e64 s2, v[30:31], v[4:5]
	s_and_saveexec_b32 s0, s2
	s_cbranch_execz .LBB10_163
; %bb.162:                              ;   in Loop: Header=BB10_161 Depth=1
	v_add_nc_u64_e32 v[30:31], s[10:11], v[6:7]
	global_load_u16 v33, v[30:31], off
.LBB10_163:                             ;   in Loop: Header=BB10_161 Depth=1
	s_wait_xcnt 0x0
	s_or_b32 exec_lo, exec_lo, s0
	v_add_nc_u64_e32 v[30:31], s[14:15], v[10:11]
	v_mov_b32_e32 v32, 0
	s_delay_alu instid0(VALU_DEP_2)
	v_cmp_lt_u64_e64 s1, v[30:31], v[4:5]
	v_mov_b32_e32 v30, 0
	s_and_saveexec_b32 s0, s1
	s_cbranch_execz .LBB10_165
; %bb.164:                              ;   in Loop: Header=BB10_161 Depth=1
	v_add_nc_u64_e32 v[34:35], s[10:11], v[24:25]
	global_load_u16 v32, v[34:35], off
.LBB10_165:                             ;   in Loop: Header=BB10_161 Depth=1
	s_wait_xcnt 0x0
	s_or_b32 exec_lo, exec_lo, s0
	v_add_nc_u64_e32 v[34:35], s[14:15], v[14:15]
	s_delay_alu instid0(VALU_DEP_1)
	v_cmp_lt_u64_e64 s0, v[34:35], v[4:5]
	s_and_saveexec_b32 s3, s0
	s_cbranch_execz .LBB10_167
; %bb.166:                              ;   in Loop: Header=BB10_161 Depth=1
	v_add_nc_u64_e32 v[30:31], s[10:11], v[16:17]
	global_load_u16 v30, v[30:31], off
.LBB10_167:                             ;   in Loop: Header=BB10_161 Depth=1
	s_wait_xcnt 0x0
	s_or_b32 exec_lo, exec_lo, s3
	v_add_nc_u64_e32 v[34:35], s[14:15], v[12:13]
	v_mov_b32_e32 v31, 0
	s_delay_alu instid0(VALU_DEP_2)
	v_cmp_lt_u64_e32 vcc_lo, v[34:35], v[4:5]
	s_and_saveexec_b32 s3, vcc_lo
	s_cbranch_execz .LBB10_169
; %bb.168:                              ;   in Loop: Header=BB10_161 Depth=1
	v_add_nc_u64_e32 v[34:35], s[10:11], v[20:21]
	global_load_u16 v31, v[34:35], off
.LBB10_169:                             ;   in Loop: Header=BB10_161 Depth=1
	s_wait_xcnt 0x0
	s_or_b32 exec_lo, exec_lo, s3
	s_wait_loadcnt 0x0
	v_cvt_f32_f16_e32 v34, v33
                                        ; implicit-def: $vgpr35
	s_mov_b32 s4, exec_lo
	s_delay_alu instid0(VALU_DEP_1)
	v_and_b32_e32 v36, 0x7fffffff, v34
	v_cmpx_ngt_f32_e64 0x3c800000, |v34|
	s_xor_b32 s5, exec_lo, s4
	s_cbranch_execz .LBB10_199
; %bb.170:                              ;   in Loop: Header=BB10_161 Depth=1
                                        ; implicit-def: $vgpr35
	s_mov_b32 s4, exec_lo
	v_cmpx_nlt_f32_e64 |v34|, 2.0
	s_xor_b32 s6, exec_lo, s4
	s_cbranch_execz .LBB10_180
; %bb.171:                              ;   in Loop: Header=BB10_161 Depth=1
	s_mov_b32 s4, exec_lo
                                        ; implicit-def: $vgpr35
	v_cmpx_ngt_f32_e64 0x41000000, |v34|
	s_xor_b32 s4, exec_lo, s4
	s_cbranch_execz .LBB10_177
; %bb.172:                              ;   in Loop: Header=BB10_161 Depth=1
	s_mov_b32 s7, exec_lo
                                        ; implicit-def: $vgpr35
	v_cmpx_ngt_f32_e64 0x5c800000, |v34|
	s_xor_b32 s7, exec_lo, s7
	s_cbranch_execz .LBB10_174
; %bb.173:                              ;   in Loop: Header=BB10_161 Depth=1
	v_cmp_gt_f32_e64 s8, 0x800000, |v34|
	s_delay_alu instid0(VALU_DEP_1) | instskip(NEXT) | instid1(VALU_DEP_1)
	v_cndmask_b32_e64 v35, 0, 32, s8
	v_ldexp_f32 v35, |v34|, v35
	s_delay_alu instid0(VALU_DEP_1) | instskip(SKIP_1) | instid1(TRANS32_DEP_1)
	v_log_f32_e32 v35, v35
	v_nop
	v_mul_f32_e32 v37, 0x3f317217, v35
	v_cmp_gt_f32_e64 s3, 0x7f800000, |v35|
	s_delay_alu instid0(VALU_DEP_2) | instskip(NEXT) | instid1(VALU_DEP_1)
	v_fma_f32 v38, 0x3f317217, v35, -v37
	v_fmac_f32_e32 v38, 0x3377d1cf, v35
	s_delay_alu instid0(VALU_DEP_1) | instskip(NEXT) | instid1(VALU_DEP_1)
	v_add_f32_e32 v37, v37, v38
	v_cndmask_b32_e64 v35, v35, v37, s3
	v_cndmask_b32_e64 v37, 0, 0x41b17218, s8
	s_delay_alu instid0(VALU_DEP_1) | instskip(NEXT) | instid1(VALU_DEP_1)
	v_sub_f32_e32 v35, v35, v37
	v_fma_f32 v35, |v34|, v35, -|v34|
.LBB10_174:                             ;   in Loop: Header=BB10_161 Depth=1
	s_and_not1_saveexec_b32 s7, s7
	s_cbranch_execz .LBB10_176
; %bb.175:                              ;   in Loop: Header=BB10_161 Depth=1
	v_cmp_gt_f32_e64 s8, 0x800000, |v34|
	v_rcp_f32_e64 v37, |v34|
	s_delay_alu instid0(VALU_DEP_1) | instskip(NEXT) | instid1(VALU_DEP_1)
	v_cndmask_b32_e64 v35, 0, 32, s8
	v_ldexp_f32 v35, |v34|, v35
	s_delay_alu instid0(VALU_DEP_1) | instskip(SKIP_1) | instid1(TRANS32_DEP_1)
	v_log_f32_e32 v35, v35
	v_nop
	v_dual_mul_f32 v38, v37, v37 :: v_dual_mul_f32 v39, 0x3f317217, v35
	v_cmp_gt_f32_e64 s3, 0x7f800000, |v35|
	s_delay_alu instid0(VALU_DEP_2) | instskip(NEXT) | instid1(VALU_DEP_1)
	v_fma_f32 v41, 0x3f317217, v35, -v39
	v_fmac_f32_e32 v41, 0x3377d1cf, v35
	s_delay_alu instid0(VALU_DEP_1) | instskip(NEXT) | instid1(VALU_DEP_1)
	v_dual_fmaak_f32 v40, s20, v38, 0x3a5b3dd2 :: v_dual_add_f32 v39, v39, v41
	v_cndmask_b32_e64 v35, v35, v39, s3
	v_cndmask_b32_e64 v39, 0, 0x41b17218, s8
	s_delay_alu instid0(VALU_DEP_1) | instskip(NEXT) | instid1(VALU_DEP_1)
	v_dual_fmaak_f32 v40, v38, v40, 0xba1c065c :: v_dual_sub_f32 v39, v35, v39
	v_fmaak_f32 v40, v38, v40, 0x3a500cfd
	s_delay_alu instid0(VALU_DEP_1) | instskip(NEXT) | instid1(VALU_DEP_1)
	v_fmaak_f32 v40, v38, v40, 0xbb360b61
	v_fmaak_f32 v38, v38, v40, 0x3daaaaab
	s_delay_alu instid0(VALU_DEP_1) | instskip(SKIP_2) | instid1(VALU_DEP_1)
	v_fmaak_f32 v35, v37, v38, 0x3ed67f1d
	v_add_f32_e64 v37, |v34|, -0.5
	v_add_f32_e32 v38, -1.0, v39
	v_fmac_f32_e32 v35, v37, v38
.LBB10_176:                             ;   in Loop: Header=BB10_161 Depth=1
	s_or_b32 exec_lo, exec_lo, s7
.LBB10_177:                             ;   in Loop: Header=BB10_161 Depth=1
	s_and_not1_saveexec_b32 s7, s4
	s_cbranch_execz .LBB10_179
; %bb.178:                              ;   in Loop: Header=BB10_161 Depth=1
	v_cvt_i32_f32_e32 v35, v36
	s_delay_alu instid0(VALU_DEP_1) | instskip(SKIP_1) | instid1(VALU_DEP_2)
	v_cvt_f32_i32_e32 v37, v35
	v_cmp_lt_i32_e64 s3, 3, v35
	v_sub_f32_e64 v38, |v34|, v37
	s_delay_alu instid0(VALU_DEP_1) | instskip(NEXT) | instid1(VALU_DEP_1)
	v_pk_add_f32 v[40:41], v[38:39], v[28:29] op_sel_hi:[0,1]
	v_dual_add_f32 v37, 4.0, v38 :: v_dual_cndmask_b32 v39, 1.0, v41, s3
	v_cmp_lt_i32_e64 s3, 2, v35
	v_add_f32_e32 v41, 0x40a00000, v38
	s_delay_alu instid0(VALU_DEP_2) | instskip(SKIP_1) | instid1(VALU_DEP_1)
	v_cndmask_b32_e64 v40, 1.0, v40, s3
	v_cmp_lt_i32_e64 s3, 4, v35
	v_dual_cndmask_b32 v37, 1.0, v37, s3 :: v_dual_mul_f32 v39, v40, v39
	v_add_f32_e32 v40, 0x40c00000, v38
	v_cmp_lt_i32_e64 s3, 5, v35
	s_delay_alu instid0(VALU_DEP_1) | instskip(SKIP_1) | instid1(VALU_DEP_1)
	v_dual_mul_f32 v37, v37, v39 :: v_dual_cndmask_b32 v41, 1.0, v41, s3
	v_cmp_lt_i32_e64 s3, 6, v35
	v_dual_mul_f32 v37, v41, v37 :: v_dual_cndmask_b32 v35, 1.0, v40, s3
	s_delay_alu instid0(VALU_DEP_1) | instskip(NEXT) | instid1(VALU_DEP_1)
	v_dual_fmaak_f32 v40, s21, v38, 0x3af135b4 :: v_dual_mul_f32 v35, v35, v37
	v_cmp_gt_f32_e64 s3, 0x800000, v35
	s_delay_alu instid0(VALU_DEP_1) | instskip(NEXT) | instid1(VALU_DEP_1)
	v_cndmask_b32_e64 v39, 0, 32, s3
	v_ldexp_f32 v35, v35, v39
	s_delay_alu instid0(VALU_DEP_4) | instskip(NEXT) | instid1(VALU_DEP_2)
	v_fmaak_f32 v39, v38, v40, 0x3cda40e4
	v_log_f32_e32 v35, v35
	s_delay_alu instid0(VALU_DEP_1) | instskip(NEXT) | instid1(VALU_DEP_1)
	v_fmaak_f32 v39, v38, v39, 0x3e15dce6
	v_fmaak_f32 v39, v38, v39, 0x3ea6cc7a
	s_delay_alu instid0(TRANS32_DEP_1) | instskip(NEXT) | instid1(VALU_DEP_2)
	v_cmp_gt_f32_e64 s4, 0x7f800000, |v35|
	v_fmaak_f32 v39, v38, v39, 0x3e5c245a
	s_delay_alu instid0(VALU_DEP_1) | instskip(NEXT) | instid1(VALU_DEP_1)
	v_fmaak_f32 v39, v38, v39, 0xbd9e233f
	v_mul_f32_e32 v39, v38, v39
	v_mul_f32_e32 v40, 0x3f317217, v35
	s_delay_alu instid0(VALU_DEP_1) | instskip(NEXT) | instid1(VALU_DEP_1)
	v_fma_f32 v41, 0x3f317217, v35, -v40
	v_fmac_f32_e32 v41, 0x3377d1cf, v35
	s_delay_alu instid0(VALU_DEP_1) | instskip(NEXT) | instid1(VALU_DEP_1)
	v_dual_fmaak_f32 v37, s22, v38, 0x3a4beed6 :: v_dual_add_f32 v40, v40, v41
	v_fmaak_f32 v37, v38, v37, 0x3c98bf54
	s_delay_alu instid0(VALU_DEP_2) | instskip(NEXT) | instid1(VALU_DEP_2)
	v_cndmask_b32_e64 v35, v35, v40, s4
	v_fmaak_f32 v37, v38, v37, 0x3e300f6e
	s_delay_alu instid0(VALU_DEP_1) | instskip(NEXT) | instid1(VALU_DEP_1)
	v_fmaak_f32 v37, v38, v37, 0x3f38d0c5
	v_fmaak_f32 v37, v38, v37, 0x3fb22d3b
	s_delay_alu instid0(VALU_DEP_1) | instskip(NEXT) | instid1(VALU_DEP_1)
	v_fma_f32 v37, v38, v37, 1.0
	v_rcp_f32_e32 v37, v37
	v_nop
	s_delay_alu instid0(TRANS32_DEP_1) | instskip(SKIP_1) | instid1(VALU_DEP_1)
	v_mul_f32_e32 v37, v39, v37
	v_cndmask_b32_e64 v39, 0, 0x41b17218, s3
	v_dual_fmac_f32 v37, 0.5, v38 :: v_dual_sub_f32 v35, v35, v39
	s_delay_alu instid0(VALU_DEP_1)
	v_add_f32_e32 v35, v35, v37
.LBB10_179:                             ;   in Loop: Header=BB10_161 Depth=1
	s_or_b32 exec_lo, exec_lo, s7
.LBB10_180:                             ;   in Loop: Header=BB10_161 Depth=1
	s_and_not1_saveexec_b32 s6, s6
	s_cbranch_execz .LBB10_198
; %bb.181:                              ;   in Loop: Header=BB10_161 Depth=1
                                        ; implicit-def: $vgpr35
                                        ; implicit-def: $vgpr38
                                        ; implicit-def: $vgpr37
	s_mov_b32 s4, exec_lo
	v_cmpx_ge_f32_e64 0x3f666666, |v34|
	s_xor_b32 s7, exec_lo, s4
	s_cbranch_execz .LBB10_183
; %bb.182:                              ;   in Loop: Header=BB10_161 Depth=1
	v_cmp_gt_f32_e64 s4, 0x800000, |v34|
	v_sub_f32_e64 v39, 1.0, |v34|
	v_cmp_gt_f32_e64 s3, 0x3f3b4a23, |v34|
	s_delay_alu instid0(VALU_DEP_3) | instskip(SKIP_1) | instid1(VALU_DEP_2)
	v_cndmask_b32_e64 v35, 0, 32, s4
	v_cndmask_b32_e64 v40, 0, 0x41b17218, s4
	v_ldexp_f32 v35, |v34|, v35
	s_delay_alu instid0(VALU_DEP_1) | instskip(SKIP_1) | instid1(TRANS32_DEP_1)
	v_log_f32_e32 v35, v35
	v_nop
	v_mul_f32_e32 v37, 0x3f317217, v35
	v_cmp_gt_f32_e64 s4, 0x7f800000, |v35|
	s_delay_alu instid0(VALU_DEP_2) | instskip(NEXT) | instid1(VALU_DEP_1)
	v_fma_f32 v38, 0x3f317217, v35, -v37
	v_fmac_f32_e32 v38, 0x3377d1cf, v35
	s_delay_alu instid0(VALU_DEP_1) | instskip(SKIP_1) | instid1(VALU_DEP_2)
	v_add_f32_e32 v37, v37, v38
	v_add_f32_e64 v38, 0xbeec5b0c, |v34|
	v_cndmask_b32_e64 v35, v35, v37, s4
	s_delay_alu instid0(VALU_DEP_2) | instskip(SKIP_2) | instid1(VALU_DEP_4)
	v_cndmask_b32_e64 v37, v39, v38, s3
	v_cndmask_b32_e64 v38, 0, 1, s3
	v_cmp_gt_f32_e64 s3, 0x3e6d3309, |v34|
	v_sub_f32_e32 v35, v35, v40
	s_delay_alu instid0(VALU_DEP_2) | instskip(NEXT) | instid1(VALU_DEP_4)
	v_cndmask_b32_e64 v37, v37, |v34|, s3
	v_cndmask_b32_e64 v38, v38, 2, s3
	s_delay_alu instid0(VALU_DEP_3)
	v_xor_b32_e32 v35, 0x80000000, v35
.LBB10_183:                             ;   in Loop: Header=BB10_161 Depth=1
	s_and_not1_saveexec_b32 s4, s7
	s_cbranch_execz .LBB10_185
; %bb.184:                              ;   in Loop: Header=BB10_161 Depth=1
	v_sub_f32_e64 v35, 2.0, |v34|
	v_add_f32_e64 v37, 0xbfbb16c3, |v34|
	v_cmp_gt_f32_e64 s3, 0x3fdda512, |v34|
	v_add_f32_e64 v38, |v34|, -1.0
	s_delay_alu instid0(VALU_DEP_2) | instskip(SKIP_2) | instid1(VALU_DEP_2)
	v_cndmask_b32_e64 v37, v35, v37, s3
	v_cndmask_b32_e64 v35, v35, 1.0, s3
	v_cmp_gt_f32_e64 s3, 0x3f9d70a4, |v34|
	v_cvt_i32_f32_e32 v35, v35
	s_delay_alu instid0(VALU_DEP_2) | instskip(NEXT) | instid1(VALU_DEP_2)
	v_cndmask_b32_e64 v37, v37, v38, s3
	v_cndmask_b32_e64 v38, v35, 2, s3
	v_mov_b32_e32 v35, 0
.LBB10_185:                             ;   in Loop: Header=BB10_161 Depth=1
	s_or_b32 exec_lo, exec_lo, s4
	s_delay_alu instid0(SALU_CYCLE_1) | instskip(NEXT) | instid1(VALU_DEP_2)
	s_mov_b32 s4, exec_lo
	v_cmpx_lt_i32_e32 0, v38
	s_xor_b32 s4, exec_lo, s4
	s_cbranch_execz .LBB10_193
; %bb.186:                              ;   in Loop: Header=BB10_161 Depth=1
	s_mov_b32 s7, exec_lo
	v_cmpx_lt_i32_e32 1, v38
	s_xor_b32 s7, exec_lo, s7
	s_cbranch_execz .LBB10_190
; %bb.187:                              ;   in Loop: Header=BB10_161 Depth=1
	s_mov_b32 s8, exec_lo
	v_cmpx_eq_u32_e32 2, v38
	s_cbranch_execz .LBB10_189
; %bb.188:                              ;   in Loop: Header=BB10_161 Depth=1
	v_fmaak_f32 v39, s9, v37, 0x3e6a7578
	s_delay_alu instid0(VALU_DEP_1) | instskip(NEXT) | instid1(VALU_DEP_1)
	v_fmaak_f32 v39, v37, v39, 0x3f7a4bb2
	v_fmaak_f32 v39, v37, v39, 0x3fba3ae7
	s_delay_alu instid0(VALU_DEP_1) | instskip(NEXT) | instid1(VALU_DEP_1)
	v_fmaak_f32 v39, v37, v39, 0x3f2200f4
	v_fmaak_f32 v39, v37, v39, 0xbd9e233f
	s_delay_alu instid0(VALU_DEP_1) | instskip(NEXT) | instid1(VALU_DEP_1)
	v_dual_fmaak_f32 v38, s12, v37, 0x3dd572af :: v_dual_mul_f32 v39, v37, v39
	v_fmaak_f32 v38, v37, v38, 0x3f44efdf
	s_delay_alu instid0(VALU_DEP_1) | instskip(NEXT) | instid1(VALU_DEP_1)
	v_fmaak_f32 v38, v37, v38, 0x4008392d
	v_fmaak_f32 v38, v37, v38, 0x401d2ebe
	s_delay_alu instid0(VALU_DEP_1) | instskip(NEXT) | instid1(VALU_DEP_1)
	v_fma_f32 v38, v37, v38, 1.0
	v_rcp_f32_e32 v38, v38
	v_nop
	s_delay_alu instid0(TRANS32_DEP_1) | instskip(NEXT) | instid1(VALU_DEP_1)
	v_mul_f32_e32 v38, v39, v38
	v_fmac_f32_e32 v38, -0.5, v37
	s_delay_alu instid0(VALU_DEP_1)
	v_add_f32_e32 v35, v35, v38
.LBB10_189:                             ;   in Loop: Header=BB10_161 Depth=1
	s_or_b32 exec_lo, exec_lo, s8
                                        ; implicit-def: $vgpr37
.LBB10_190:                             ;   in Loop: Header=BB10_161 Depth=1
	s_and_not1_saveexec_b32 s3, s7
	s_cbranch_execz .LBB10_192
; %bb.191:                              ;   in Loop: Header=BB10_161 Depth=1
	v_mul_f32_e32 v38, v37, v37
	s_delay_alu instid0(VALU_DEP_1) | instskip(NEXT) | instid1(VALU_DEP_1)
	v_mul_f32_e32 v39, v37, v38
	v_fmaak_f32 v40, s23, v39, 0x3a66f867
	v_fmaak_f32 v41, s24, v39, 0xba0d3085
	s_delay_alu instid0(VALU_DEP_2) | instskip(NEXT) | instid1(VALU_DEP_2)
	v_fmaak_f32 v40, v39, v40, 0xbb7177fe
	v_fmaak_f32 v41, v39, v41, 0x3b141699
	s_delay_alu instid0(VALU_DEP_2) | instskip(NEXT) | instid1(VALU_DEP_2)
	;; [unrolled: 3-line block ×3, first 2 shown]
	v_fmaak_f32 v40, v39, v40, 0xbe17213c
	v_fmaak_f32 v41, v39, v41, 0x3d845a15
	s_delay_alu instid0(VALU_DEP_1) | instskip(SKIP_1) | instid1(VALU_DEP_1)
	v_fmac_f32_e32 v40, v37, v41
	v_fmaak_f32 v42, s13, v39, 0xbab7f476
	v_fmaak_f32 v42, v39, v42, 0x3bc7e707
	s_delay_alu instid0(VALU_DEP_1) | instskip(NEXT) | instid1(VALU_DEP_1)
	v_fmaak_f32 v42, v39, v42, 0xbd064d47
	v_fmaak_f32 v37, v39, v42, 0x3ef7b95e
	v_fma_f32 v39, v39, -v40, 0xa2863e55
	s_delay_alu instid0(VALU_DEP_1) | instskip(NEXT) | instid1(VALU_DEP_1)
	v_fma_f32 v37, v38, v37, -v39
	v_add_f32_e32 v37, 0xbdf8cdce, v37
	s_delay_alu instid0(VALU_DEP_1)
	v_add_f32_e32 v35, v35, v37
.LBB10_192:                             ;   in Loop: Header=BB10_161 Depth=1
	s_or_b32 exec_lo, exec_lo, s3
                                        ; implicit-def: $vgpr38
                                        ; implicit-def: $vgpr37
.LBB10_193:                             ;   in Loop: Header=BB10_161 Depth=1
	s_and_not1_saveexec_b32 s4, s4
	s_cbranch_execz .LBB10_197
; %bb.194:                              ;   in Loop: Header=BB10_161 Depth=1
	s_mov_b32 s7, exec_lo
	v_cmpx_eq_u32_e32 0, v38
	s_cbranch_execz .LBB10_196
; %bb.195:                              ;   in Loop: Header=BB10_161 Depth=1
	v_mul_f32_e32 v38, v37, v37
	s_delay_alu instid0(VALU_DEP_1) | instskip(NEXT) | instid1(VALU_DEP_1)
	v_fmaak_f32 v40, s25, v38, 0x39679767
	v_fmaak_f32 v40, v38, v40, 0x3a9c54a1
	s_delay_alu instid0(VALU_DEP_1) | instskip(NEXT) | instid1(VALU_DEP_1)
	v_fmaak_f32 v40, v38, v40, 0x3bf2027e
	v_fmaak_f32 v40, v38, v40, 0x3d89f001
	s_delay_alu instid0(VALU_DEP_1) | instskip(SKIP_1) | instid1(VALU_DEP_1)
	v_fmaak_f32 v40, v38, v40, 0x3d9e233f
	v_fmaak_f32 v39, s26, v38, 0x38e28445
	;; [unrolled: 1-line block ×3, first 2 shown]
	s_delay_alu instid0(VALU_DEP_1) | instskip(NEXT) | instid1(VALU_DEP_1)
	v_fmaak_f32 v39, v38, v39, 0x3b3d6ec6
	v_fmaak_f32 v39, v38, v39, 0x3ca89915
	s_delay_alu instid0(VALU_DEP_1) | instskip(NEXT) | instid1(VALU_DEP_1)
	v_fmaak_f32 v39, v38, v39, 0x3ea51a66
	v_mul_f32_e32 v38, v38, v39
	s_delay_alu instid0(VALU_DEP_1) | instskip(NEXT) | instid1(VALU_DEP_1)
	v_fmac_f32_e32 v38, v37, v40
	v_fmac_f32_e32 v38, -0.5, v37
	s_delay_alu instid0(VALU_DEP_1)
	v_add_f32_e32 v35, v35, v38
.LBB10_196:                             ;   in Loop: Header=BB10_161 Depth=1
	s_or_b32 exec_lo, exec_lo, s7
.LBB10_197:                             ;   in Loop: Header=BB10_161 Depth=1
	s_delay_alu instid0(SALU_CYCLE_1)
	s_or_b32 exec_lo, exec_lo, s4
.LBB10_198:                             ;   in Loop: Header=BB10_161 Depth=1
	s_delay_alu instid0(SALU_CYCLE_1)
	s_or_b32 exec_lo, exec_lo, s6
.LBB10_199:                             ;   in Loop: Header=BB10_161 Depth=1
	s_and_not1_saveexec_b32 s4, s5
	s_cbranch_execz .LBB10_201
; %bb.200:                              ;   in Loop: Header=BB10_161 Depth=1
	v_cmp_gt_f32_e64 s5, 0x800000, |v34|
	v_fma_f32 v39, |v34|, s27, 0xbecd26ab
	s_delay_alu instid0(VALU_DEP_2) | instskip(NEXT) | instid1(VALU_DEP_1)
	v_cndmask_b32_e64 v35, 0, 32, s5
	v_ldexp_f32 v35, |v34|, v35
	s_delay_alu instid0(VALU_DEP_1) | instskip(SKIP_1) | instid1(TRANS32_DEP_1)
	v_log_f32_e32 v35, v35
	v_nop
	v_mul_f32_e32 v37, 0x3f317217, v35
	v_cmp_gt_f32_e64 s3, 0x7f800000, |v35|
	s_delay_alu instid0(VALU_DEP_2) | instskip(NEXT) | instid1(VALU_DEP_1)
	v_fma_f32 v38, 0x3f317217, v35, -v37
	v_fmac_f32_e32 v38, 0x3377d1cf, v35
	s_delay_alu instid0(VALU_DEP_1) | instskip(SKIP_1) | instid1(VALU_DEP_2)
	v_add_f32_e32 v37, v37, v38
	v_fma_f32 v38, |v34|, v39, 0x3f528d33
	v_cndmask_b32_e64 v35, v35, v37, s3
	v_cndmask_b32_e64 v37, 0, 0x41b17218, s5
	s_delay_alu instid0(VALU_DEP_3) | instskip(NEXT) | instid1(VALU_DEP_2)
	v_fma_f32 v38, |v34|, v38, 0xbf13c468
	v_sub_f32_e32 v35, v35, v37
	s_delay_alu instid0(VALU_DEP_1)
	v_fma_f32 v35, |v34|, v38, -v35
.LBB10_201:                             ;   in Loop: Header=BB10_161 Depth=1
	s_or_b32 exec_lo, exec_lo, s4
	v_cmp_le_f16_e64 s3, 0, v33
	s_mov_b32 s5, exec_lo
	v_cmpx_nle_f16_e32 0, v33
	s_xor_b32 s6, exec_lo, s5
	s_cbranch_execz .LBB10_205
; %bb.202:                              ;   in Loop: Header=BB10_161 Depth=1
	v_cmp_gt_f32_e64 s4, 0x4b000000, |v34|
	v_cmp_lt_f32_e64 s5, 0x35000000, |v34|
	s_and_b32 s4, s4, s5
	s_delay_alu instid0(SALU_CYCLE_1)
	s_and_saveexec_b32 s7, s4
	s_cbranch_execz .LBB10_204
; %bb.203:                              ;   in Loop: Header=BB10_161 Depth=1
	v_mul_f32_e64 v37, |v34|, 0.5
	v_xor_b32_e32 v36, v36, v34
	s_delay_alu instid0(VALU_DEP_2) | instskip(SKIP_1) | instid1(VALU_DEP_2)
	v_floor_f32_e32 v38, v37
	v_cmp_neq_f32_e64 s4, 0x7f800000, v37
	v_sub_f32_e32 v38, v37, v38
	s_delay_alu instid0(VALU_DEP_1) | instskip(NEXT) | instid1(VALU_DEP_1)
	v_min_num_f32_e32 v38, 0x3f7fffff, v38
	v_add_f32_e32 v38, v38, v38
	s_delay_alu instid0(VALU_DEP_1) | instskip(SKIP_1) | instid1(VALU_DEP_1)
	v_cndmask_b32_e64 v37, 0, v38, s4
	v_cmp_gt_f32_e64 s4, |v34|, 1.0
	v_cndmask_b32_e64 v37, |v34|, v37, s4
	s_delay_alu instid0(VALU_DEP_1) | instskip(NEXT) | instid1(VALU_DEP_1)
	v_add_f32_e32 v38, v37, v37
	v_rndne_f32_e32 v38, v38
	s_delay_alu instid0(VALU_DEP_1) | instskip(SKIP_1) | instid1(VALU_DEP_2)
	v_fmac_f32_e32 v37, -0.5, v38
	v_cvt_i32_f32_e32 v38, v38
	v_mul_f32_e32 v39, v37, v37
	s_delay_alu instid0(VALU_DEP_1) | instskip(SKIP_1) | instid1(VALU_DEP_2)
	v_fmaak_f32 v40, s28, v39, 0xbf1f24be
	v_dual_fmaak_f32 v41, s29, v39, 0x3e642e9d :: v_dual_mul_f32 v42, v37, v39
	v_fmaak_f32 v40, v39, v40, 0x40234736
	s_delay_alu instid0(VALU_DEP_2) | instskip(NEXT) | instid1(VALU_DEP_2)
	v_fmaak_f32 v41, v39, v41, 0xbfaad1da
	v_fmaak_f32 v40, v39, v40, 0xc0a55e0e
	s_delay_alu instid0(VALU_DEP_1) | instskip(NEXT) | instid1(VALU_DEP_1)
	v_mul_f32_e32 v40, v42, v40
	v_fmac_f32_e32 v40, 0x40490fdb, v37
	v_dual_lshlrev_b32 v38, 30, v38 :: v_dual_bitop2_b32 v42, 1, v38 bitop3:0x40
	v_fmaak_f32 v41, v39, v41, 0x4081e0d3
	s_delay_alu instid0(VALU_DEP_2) | instskip(NEXT) | instid1(VALU_DEP_3)
	v_cmp_eq_u32_e64 s4, 0, v42
	v_and_b32_e32 v38, 0x80000000, v38
	s_delay_alu instid0(VALU_DEP_3) | instskip(NEXT) | instid1(VALU_DEP_1)
	v_fmaak_f32 v41, v39, v41, 0xc09de9e6
	v_fma_f32 v37, v39, v41, 1.0
	s_delay_alu instid0(VALU_DEP_1) | instskip(NEXT) | instid1(VALU_DEP_1)
	v_cndmask_b32_e64 v37, v37, v40, s4
	v_xor3_b32 v36, v36, v38, v37
	s_delay_alu instid0(VALU_DEP_1) | instskip(NEXT) | instid1(VALU_DEP_1)
	v_mul_f32_e32 v36, v34, v36
	v_frexp_mant_f32_e64 v37, |v36|
	v_frexp_exp_i32_f32_e32 v36, v36
	s_delay_alu instid0(VALU_DEP_2) | instskip(SKIP_1) | instid1(TRANS32_DEP_1)
	v_rcp_f32_e32 v37, v37
	v_nop
	v_dual_mul_f32 v37, 0x3f490fdb, v37 :: v_dual_sub_nc_u32 v36, 2, v36
	s_delay_alu instid0(VALU_DEP_1) | instskip(NEXT) | instid1(VALU_DEP_1)
	v_ldexp_f32 v36, v37, v36
	v_cmp_gt_f32_e64 s4, 0x800000, v36
	s_delay_alu instid0(VALU_DEP_1) | instskip(NEXT) | instid1(VALU_DEP_1)
	v_cndmask_b32_e64 v37, 0, 32, s4
	v_ldexp_f32 v36, v36, v37
	s_delay_alu instid0(VALU_DEP_1) | instskip(SKIP_1) | instid1(TRANS32_DEP_1)
	v_log_f32_e32 v36, v36
	v_nop
	v_mul_f32_e32 v37, 0x3f317217, v36
	v_cmp_gt_f32_e64 s5, 0x7f800000, |v36|
	s_delay_alu instid0(VALU_DEP_2) | instskip(NEXT) | instid1(VALU_DEP_1)
	v_fma_f32 v38, 0x3f317217, v36, -v37
	v_fmac_f32_e32 v38, 0x3377d1cf, v36
	s_delay_alu instid0(VALU_DEP_1) | instskip(SKIP_1) | instid1(VALU_DEP_2)
	v_add_f32_e32 v37, v37, v38
	v_floor_f32_e32 v38, v34
	v_cndmask_b32_e64 v36, v36, v37, s5
	v_cndmask_b32_e64 v37, 0, 0x41b17218, s4
	s_delay_alu instid0(VALU_DEP_1) | instskip(NEXT) | instid1(VALU_DEP_1)
	v_dual_sub_f32 v38, v34, v38 :: v_dual_sub_f32 v36, v36, v37
	v_min_num_f32_e32 v37, 0x3f7fffff, v38
	s_delay_alu instid0(VALU_DEP_2) | instskip(NEXT) | instid1(VALU_DEP_2)
	v_sub_f32_e32 v35, v36, v35
	v_cmp_neq_f32_e64 s4, 0, v37
	s_delay_alu instid0(VALU_DEP_1)
	v_cndmask_b32_e64 v35, 0x7f800000, v35, s4
.LBB10_204:                             ;   in Loop: Header=BB10_161 Depth=1
	s_or_b32 exec_lo, exec_lo, s7
.LBB10_205:                             ;   in Loop: Header=BB10_161 Depth=1
	s_and_not1_saveexec_b32 s6, s6
; %bb.206:                              ;   in Loop: Header=BB10_161 Depth=1
	v_cmp_eq_f16_e64 s4, 1.0, v33
	v_cmp_eq_f16_e64 s5, 2.0, v33
	s_or_b32 s4, s4, s5
	s_delay_alu instid0(SALU_CYCLE_1)
	v_cndmask_b32_e64 v35, v35, 0, s4
; %bb.207:                              ;   in Loop: Header=BB10_161 Depth=1
	s_or_b32 exec_lo, exec_lo, s6
	v_cvt_f32_f16_e32 v36, v32
                                        ; implicit-def: $vgpr37
	s_mov_b32 s5, exec_lo
	s_delay_alu instid0(VALU_DEP_1)
	v_and_b32_e32 v38, 0x7fffffff, v36
	v_cmpx_ngt_f32_e64 0x3c800000, |v36|
	s_xor_b32 s6, exec_lo, s5
	s_cbranch_execz .LBB10_237
; %bb.208:                              ;   in Loop: Header=BB10_161 Depth=1
                                        ; implicit-def: $vgpr37
	s_mov_b32 s5, exec_lo
	v_cmpx_nlt_f32_e64 |v36|, 2.0
	s_xor_b32 s7, exec_lo, s5
	s_cbranch_execz .LBB10_218
; %bb.209:                              ;   in Loop: Header=BB10_161 Depth=1
	s_mov_b32 s5, exec_lo
                                        ; implicit-def: $vgpr37
	v_cmpx_ngt_f32_e64 0x41000000, |v36|
	s_xor_b32 s5, exec_lo, s5
	s_cbranch_execz .LBB10_215
; %bb.210:                              ;   in Loop: Header=BB10_161 Depth=1
	s_mov_b32 s8, exec_lo
                                        ; implicit-def: $vgpr37
	v_cmpx_ngt_f32_e64 0x5c800000, |v36|
	s_xor_b32 s8, exec_lo, s8
	s_cbranch_execz .LBB10_212
; %bb.211:                              ;   in Loop: Header=BB10_161 Depth=1
	v_cmp_gt_f32_e64 s30, 0x800000, |v36|
	s_delay_alu instid0(VALU_DEP_1) | instskip(NEXT) | instid1(VALU_DEP_1)
	v_cndmask_b32_e64 v37, 0, 32, s30
	v_ldexp_f32 v37, |v36|, v37
	s_delay_alu instid0(VALU_DEP_1) | instskip(SKIP_1) | instid1(TRANS32_DEP_1)
	v_log_f32_e32 v37, v37
	v_nop
	v_mul_f32_e32 v39, 0x3f317217, v37
	v_cmp_gt_f32_e64 s4, 0x7f800000, |v37|
	s_delay_alu instid0(VALU_DEP_2) | instskip(NEXT) | instid1(VALU_DEP_1)
	v_fma_f32 v40, 0x3f317217, v37, -v39
	v_fmac_f32_e32 v40, 0x3377d1cf, v37
	s_delay_alu instid0(VALU_DEP_1) | instskip(NEXT) | instid1(VALU_DEP_1)
	v_add_f32_e32 v39, v39, v40
	v_cndmask_b32_e64 v37, v37, v39, s4
	v_cndmask_b32_e64 v39, 0, 0x41b17218, s30
	s_delay_alu instid0(VALU_DEP_1) | instskip(NEXT) | instid1(VALU_DEP_1)
	v_sub_f32_e32 v37, v37, v39
	v_fma_f32 v37, |v36|, v37, -|v36|
.LBB10_212:                             ;   in Loop: Header=BB10_161 Depth=1
	s_and_not1_saveexec_b32 s8, s8
	s_cbranch_execz .LBB10_214
; %bb.213:                              ;   in Loop: Header=BB10_161 Depth=1
	v_cmp_gt_f32_e64 s30, 0x800000, |v36|
	v_rcp_f32_e64 v39, |v36|
	s_delay_alu instid0(VALU_DEP_1) | instskip(NEXT) | instid1(VALU_DEP_1)
	v_cndmask_b32_e64 v37, 0, 32, s30
	v_ldexp_f32 v37, |v36|, v37
	s_delay_alu instid0(VALU_DEP_1) | instskip(SKIP_1) | instid1(TRANS32_DEP_1)
	v_log_f32_e32 v37, v37
	v_nop
	v_dual_mul_f32 v40, v39, v39 :: v_dual_mul_f32 v41, 0x3f317217, v37
	v_cmp_gt_f32_e64 s4, 0x7f800000, |v37|
	s_delay_alu instid0(VALU_DEP_2) | instskip(NEXT) | instid1(VALU_DEP_1)
	v_fma_f32 v43, 0x3f317217, v37, -v41
	v_fmac_f32_e32 v43, 0x3377d1cf, v37
	s_delay_alu instid0(VALU_DEP_1) | instskip(NEXT) | instid1(VALU_DEP_1)
	v_dual_fmaak_f32 v42, s20, v40, 0x3a5b3dd2 :: v_dual_add_f32 v41, v41, v43
	v_cndmask_b32_e64 v37, v37, v41, s4
	v_cndmask_b32_e64 v41, 0, 0x41b17218, s30
	s_delay_alu instid0(VALU_DEP_1) | instskip(NEXT) | instid1(VALU_DEP_1)
	v_dual_fmaak_f32 v42, v40, v42, 0xba1c065c :: v_dual_sub_f32 v41, v37, v41
	v_fmaak_f32 v42, v40, v42, 0x3a500cfd
	s_delay_alu instid0(VALU_DEP_1) | instskip(NEXT) | instid1(VALU_DEP_1)
	v_fmaak_f32 v42, v40, v42, 0xbb360b61
	v_fmaak_f32 v40, v40, v42, 0x3daaaaab
	s_delay_alu instid0(VALU_DEP_1) | instskip(SKIP_2) | instid1(VALU_DEP_1)
	v_fmaak_f32 v37, v39, v40, 0x3ed67f1d
	v_add_f32_e64 v39, |v36|, -0.5
	v_add_f32_e32 v40, -1.0, v41
	v_fmac_f32_e32 v37, v39, v40
.LBB10_214:                             ;   in Loop: Header=BB10_161 Depth=1
	s_or_b32 exec_lo, exec_lo, s8
.LBB10_215:                             ;   in Loop: Header=BB10_161 Depth=1
	s_and_not1_saveexec_b32 s8, s5
	s_cbranch_execz .LBB10_217
; %bb.216:                              ;   in Loop: Header=BB10_161 Depth=1
	v_cvt_i32_f32_e32 v37, v38
	s_delay_alu instid0(VALU_DEP_1) | instskip(SKIP_1) | instid1(VALU_DEP_2)
	v_cvt_f32_i32_e32 v39, v37
	v_cmp_lt_i32_e64 s4, 3, v37
	v_sub_f32_e64 v40, |v36|, v39
	s_delay_alu instid0(VALU_DEP_1) | instskip(NEXT) | instid1(VALU_DEP_1)
	v_pk_add_f32 v[42:43], v[40:41], v[28:29] op_sel_hi:[0,1]
	v_dual_add_f32 v39, 4.0, v40 :: v_dual_cndmask_b32 v41, 1.0, v43, s4
	v_cmp_lt_i32_e64 s4, 2, v37
	v_add_f32_e32 v43, 0x40a00000, v40
	s_delay_alu instid0(VALU_DEP_2) | instskip(SKIP_1) | instid1(VALU_DEP_1)
	v_cndmask_b32_e64 v42, 1.0, v42, s4
	v_cmp_lt_i32_e64 s4, 4, v37
	v_dual_cndmask_b32 v39, 1.0, v39, s4 :: v_dual_mul_f32 v41, v42, v41
	v_add_f32_e32 v42, 0x40c00000, v40
	v_cmp_lt_i32_e64 s4, 5, v37
	s_delay_alu instid0(VALU_DEP_1) | instskip(SKIP_1) | instid1(VALU_DEP_1)
	v_dual_mul_f32 v39, v39, v41 :: v_dual_cndmask_b32 v43, 1.0, v43, s4
	v_cmp_lt_i32_e64 s4, 6, v37
	v_dual_mul_f32 v39, v43, v39 :: v_dual_cndmask_b32 v37, 1.0, v42, s4
	s_delay_alu instid0(VALU_DEP_1) | instskip(NEXT) | instid1(VALU_DEP_1)
	v_dual_fmaak_f32 v42, s21, v40, 0x3af135b4 :: v_dual_mul_f32 v37, v37, v39
	v_cmp_gt_f32_e64 s4, 0x800000, v37
	s_delay_alu instid0(VALU_DEP_1) | instskip(NEXT) | instid1(VALU_DEP_1)
	v_cndmask_b32_e64 v41, 0, 32, s4
	v_ldexp_f32 v37, v37, v41
	s_delay_alu instid0(VALU_DEP_4) | instskip(NEXT) | instid1(VALU_DEP_2)
	v_fmaak_f32 v41, v40, v42, 0x3cda40e4
	v_log_f32_e32 v37, v37
	s_delay_alu instid0(VALU_DEP_1) | instskip(NEXT) | instid1(VALU_DEP_1)
	v_fmaak_f32 v41, v40, v41, 0x3e15dce6
	v_fmaak_f32 v41, v40, v41, 0x3ea6cc7a
	s_delay_alu instid0(TRANS32_DEP_1) | instskip(NEXT) | instid1(VALU_DEP_2)
	v_cmp_gt_f32_e64 s5, 0x7f800000, |v37|
	v_fmaak_f32 v41, v40, v41, 0x3e5c245a
	s_delay_alu instid0(VALU_DEP_1) | instskip(NEXT) | instid1(VALU_DEP_1)
	v_fmaak_f32 v41, v40, v41, 0xbd9e233f
	v_mul_f32_e32 v41, v40, v41
	v_mul_f32_e32 v42, 0x3f317217, v37
	s_delay_alu instid0(VALU_DEP_1) | instskip(NEXT) | instid1(VALU_DEP_1)
	v_fma_f32 v43, 0x3f317217, v37, -v42
	v_fmac_f32_e32 v43, 0x3377d1cf, v37
	s_delay_alu instid0(VALU_DEP_1) | instskip(NEXT) | instid1(VALU_DEP_1)
	v_dual_fmaak_f32 v39, s22, v40, 0x3a4beed6 :: v_dual_add_f32 v42, v42, v43
	v_fmaak_f32 v39, v40, v39, 0x3c98bf54
	s_delay_alu instid0(VALU_DEP_2) | instskip(NEXT) | instid1(VALU_DEP_2)
	v_cndmask_b32_e64 v37, v37, v42, s5
	v_fmaak_f32 v39, v40, v39, 0x3e300f6e
	s_delay_alu instid0(VALU_DEP_1) | instskip(NEXT) | instid1(VALU_DEP_1)
	v_fmaak_f32 v39, v40, v39, 0x3f38d0c5
	v_fmaak_f32 v39, v40, v39, 0x3fb22d3b
	s_delay_alu instid0(VALU_DEP_1) | instskip(NEXT) | instid1(VALU_DEP_1)
	v_fma_f32 v39, v40, v39, 1.0
	v_rcp_f32_e32 v39, v39
	v_nop
	s_delay_alu instid0(TRANS32_DEP_1) | instskip(SKIP_1) | instid1(VALU_DEP_1)
	v_mul_f32_e32 v39, v41, v39
	v_cndmask_b32_e64 v41, 0, 0x41b17218, s4
	v_dual_fmac_f32 v39, 0.5, v40 :: v_dual_sub_f32 v37, v37, v41
	s_delay_alu instid0(VALU_DEP_1)
	v_add_f32_e32 v37, v37, v39
.LBB10_217:                             ;   in Loop: Header=BB10_161 Depth=1
	s_or_b32 exec_lo, exec_lo, s8
.LBB10_218:                             ;   in Loop: Header=BB10_161 Depth=1
	s_and_not1_saveexec_b32 s7, s7
	s_cbranch_execz .LBB10_236
; %bb.219:                              ;   in Loop: Header=BB10_161 Depth=1
                                        ; implicit-def: $vgpr37
                                        ; implicit-def: $vgpr40
                                        ; implicit-def: $vgpr39
	s_mov_b32 s5, exec_lo
	v_cmpx_ge_f32_e64 0x3f666666, |v36|
	s_xor_b32 s8, exec_lo, s5
	s_cbranch_execz .LBB10_221
; %bb.220:                              ;   in Loop: Header=BB10_161 Depth=1
	v_cmp_gt_f32_e64 s5, 0x800000, |v36|
	v_sub_f32_e64 v41, 1.0, |v36|
	v_cmp_gt_f32_e64 s4, 0x3f3b4a23, |v36|
	s_delay_alu instid0(VALU_DEP_3) | instskip(SKIP_1) | instid1(VALU_DEP_2)
	v_cndmask_b32_e64 v37, 0, 32, s5
	v_cndmask_b32_e64 v42, 0, 0x41b17218, s5
	v_ldexp_f32 v37, |v36|, v37
	s_delay_alu instid0(VALU_DEP_1) | instskip(SKIP_1) | instid1(TRANS32_DEP_1)
	v_log_f32_e32 v37, v37
	v_nop
	v_mul_f32_e32 v39, 0x3f317217, v37
	v_cmp_gt_f32_e64 s5, 0x7f800000, |v37|
	s_delay_alu instid0(VALU_DEP_2) | instskip(NEXT) | instid1(VALU_DEP_1)
	v_fma_f32 v40, 0x3f317217, v37, -v39
	v_fmac_f32_e32 v40, 0x3377d1cf, v37
	s_delay_alu instid0(VALU_DEP_1) | instskip(SKIP_1) | instid1(VALU_DEP_2)
	v_add_f32_e32 v39, v39, v40
	v_add_f32_e64 v40, 0xbeec5b0c, |v36|
	v_cndmask_b32_e64 v37, v37, v39, s5
	s_delay_alu instid0(VALU_DEP_2) | instskip(SKIP_2) | instid1(VALU_DEP_4)
	v_cndmask_b32_e64 v39, v41, v40, s4
	v_cndmask_b32_e64 v40, 0, 1, s4
	v_cmp_gt_f32_e64 s4, 0x3e6d3309, |v36|
	v_sub_f32_e32 v37, v37, v42
	s_delay_alu instid0(VALU_DEP_2) | instskip(NEXT) | instid1(VALU_DEP_4)
	v_cndmask_b32_e64 v39, v39, |v36|, s4
	v_cndmask_b32_e64 v40, v40, 2, s4
	s_delay_alu instid0(VALU_DEP_3)
	v_xor_b32_e32 v37, 0x80000000, v37
.LBB10_221:                             ;   in Loop: Header=BB10_161 Depth=1
	s_and_not1_saveexec_b32 s5, s8
	s_cbranch_execz .LBB10_223
; %bb.222:                              ;   in Loop: Header=BB10_161 Depth=1
	v_sub_f32_e64 v37, 2.0, |v36|
	v_add_f32_e64 v39, 0xbfbb16c3, |v36|
	v_cmp_gt_f32_e64 s4, 0x3fdda512, |v36|
	v_add_f32_e64 v40, |v36|, -1.0
	s_delay_alu instid0(VALU_DEP_2) | instskip(SKIP_2) | instid1(VALU_DEP_2)
	v_cndmask_b32_e64 v39, v37, v39, s4
	v_cndmask_b32_e64 v37, v37, 1.0, s4
	v_cmp_gt_f32_e64 s4, 0x3f9d70a4, |v36|
	v_cvt_i32_f32_e32 v37, v37
	s_delay_alu instid0(VALU_DEP_2) | instskip(NEXT) | instid1(VALU_DEP_2)
	v_cndmask_b32_e64 v39, v39, v40, s4
	v_cndmask_b32_e64 v40, v37, 2, s4
	v_mov_b32_e32 v37, 0
.LBB10_223:                             ;   in Loop: Header=BB10_161 Depth=1
	s_or_b32 exec_lo, exec_lo, s5
	s_delay_alu instid0(SALU_CYCLE_1) | instskip(NEXT) | instid1(VALU_DEP_2)
	s_mov_b32 s5, exec_lo
	v_cmpx_lt_i32_e32 0, v40
	s_xor_b32 s5, exec_lo, s5
	s_cbranch_execz .LBB10_231
; %bb.224:                              ;   in Loop: Header=BB10_161 Depth=1
	s_mov_b32 s8, exec_lo
	v_cmpx_lt_i32_e32 1, v40
	s_xor_b32 s8, exec_lo, s8
	s_cbranch_execz .LBB10_228
; %bb.225:                              ;   in Loop: Header=BB10_161 Depth=1
	s_mov_b32 s30, exec_lo
	v_cmpx_eq_u32_e32 2, v40
	s_cbranch_execz .LBB10_227
; %bb.226:                              ;   in Loop: Header=BB10_161 Depth=1
	v_fmaak_f32 v41, s9, v39, 0x3e6a7578
	s_delay_alu instid0(VALU_DEP_1) | instskip(NEXT) | instid1(VALU_DEP_1)
	v_fmaak_f32 v41, v39, v41, 0x3f7a4bb2
	v_fmaak_f32 v41, v39, v41, 0x3fba3ae7
	s_delay_alu instid0(VALU_DEP_1) | instskip(NEXT) | instid1(VALU_DEP_1)
	v_fmaak_f32 v41, v39, v41, 0x3f2200f4
	v_fmaak_f32 v41, v39, v41, 0xbd9e233f
	s_delay_alu instid0(VALU_DEP_1) | instskip(NEXT) | instid1(VALU_DEP_1)
	v_dual_fmaak_f32 v40, s12, v39, 0x3dd572af :: v_dual_mul_f32 v41, v39, v41
	v_fmaak_f32 v40, v39, v40, 0x3f44efdf
	s_delay_alu instid0(VALU_DEP_1) | instskip(NEXT) | instid1(VALU_DEP_1)
	v_fmaak_f32 v40, v39, v40, 0x4008392d
	v_fmaak_f32 v40, v39, v40, 0x401d2ebe
	s_delay_alu instid0(VALU_DEP_1) | instskip(NEXT) | instid1(VALU_DEP_1)
	v_fma_f32 v40, v39, v40, 1.0
	v_rcp_f32_e32 v40, v40
	v_nop
	s_delay_alu instid0(TRANS32_DEP_1) | instskip(NEXT) | instid1(VALU_DEP_1)
	v_mul_f32_e32 v40, v41, v40
	v_fmac_f32_e32 v40, -0.5, v39
	s_delay_alu instid0(VALU_DEP_1)
	v_add_f32_e32 v37, v37, v40
.LBB10_227:                             ;   in Loop: Header=BB10_161 Depth=1
	s_or_b32 exec_lo, exec_lo, s30
                                        ; implicit-def: $vgpr39
.LBB10_228:                             ;   in Loop: Header=BB10_161 Depth=1
	s_and_not1_saveexec_b32 s4, s8
	s_cbranch_execz .LBB10_230
; %bb.229:                              ;   in Loop: Header=BB10_161 Depth=1
	v_mul_f32_e32 v40, v39, v39
	s_delay_alu instid0(VALU_DEP_1) | instskip(NEXT) | instid1(VALU_DEP_1)
	v_mul_f32_e32 v41, v39, v40
	v_fmaak_f32 v42, s23, v41, 0x3a66f867
	v_fmaak_f32 v43, s24, v41, 0xba0d3085
	s_delay_alu instid0(VALU_DEP_2) | instskip(NEXT) | instid1(VALU_DEP_2)
	v_fmaak_f32 v42, v41, v42, 0xbb7177fe
	v_fmaak_f32 v43, v41, v43, 0x3b141699
	s_delay_alu instid0(VALU_DEP_2) | instskip(NEXT) | instid1(VALU_DEP_2)
	;; [unrolled: 3-line block ×3, first 2 shown]
	v_fmaak_f32 v42, v41, v42, 0xbe17213c
	v_fmaak_f32 v43, v41, v43, 0x3d845a15
	s_delay_alu instid0(VALU_DEP_1) | instskip(SKIP_1) | instid1(VALU_DEP_1)
	v_fmac_f32_e32 v42, v39, v43
	v_fmaak_f32 v44, s13, v41, 0xbab7f476
	v_fmaak_f32 v44, v41, v44, 0x3bc7e707
	s_delay_alu instid0(VALU_DEP_1) | instskip(NEXT) | instid1(VALU_DEP_1)
	v_fmaak_f32 v44, v41, v44, 0xbd064d47
	v_fmaak_f32 v39, v41, v44, 0x3ef7b95e
	v_fma_f32 v41, v41, -v42, 0xa2863e55
	s_delay_alu instid0(VALU_DEP_1) | instskip(NEXT) | instid1(VALU_DEP_1)
	v_fma_f32 v39, v40, v39, -v41
	v_add_f32_e32 v39, 0xbdf8cdce, v39
	s_delay_alu instid0(VALU_DEP_1)
	v_add_f32_e32 v37, v37, v39
.LBB10_230:                             ;   in Loop: Header=BB10_161 Depth=1
	s_or_b32 exec_lo, exec_lo, s4
                                        ; implicit-def: $vgpr40
                                        ; implicit-def: $vgpr39
.LBB10_231:                             ;   in Loop: Header=BB10_161 Depth=1
	s_and_not1_saveexec_b32 s5, s5
	s_cbranch_execz .LBB10_235
; %bb.232:                              ;   in Loop: Header=BB10_161 Depth=1
	s_mov_b32 s8, exec_lo
	v_cmpx_eq_u32_e32 0, v40
	s_cbranch_execz .LBB10_234
; %bb.233:                              ;   in Loop: Header=BB10_161 Depth=1
	v_mul_f32_e32 v40, v39, v39
	s_delay_alu instid0(VALU_DEP_1) | instskip(NEXT) | instid1(VALU_DEP_1)
	v_fmaak_f32 v42, s25, v40, 0x39679767
	v_fmaak_f32 v42, v40, v42, 0x3a9c54a1
	s_delay_alu instid0(VALU_DEP_1) | instskip(NEXT) | instid1(VALU_DEP_1)
	v_fmaak_f32 v42, v40, v42, 0x3bf2027e
	v_fmaak_f32 v42, v40, v42, 0x3d89f001
	s_delay_alu instid0(VALU_DEP_1) | instskip(SKIP_1) | instid1(VALU_DEP_1)
	v_fmaak_f32 v42, v40, v42, 0x3d9e233f
	v_fmaak_f32 v41, s26, v40, 0x38e28445
	v_fmaak_f32 v41, v40, v41, 0x3a05b634
	s_delay_alu instid0(VALU_DEP_1) | instskip(NEXT) | instid1(VALU_DEP_1)
	v_fmaak_f32 v41, v40, v41, 0x3b3d6ec6
	v_fmaak_f32 v41, v40, v41, 0x3ca89915
	s_delay_alu instid0(VALU_DEP_1) | instskip(NEXT) | instid1(VALU_DEP_1)
	v_fmaak_f32 v41, v40, v41, 0x3ea51a66
	v_mul_f32_e32 v40, v40, v41
	s_delay_alu instid0(VALU_DEP_1) | instskip(NEXT) | instid1(VALU_DEP_1)
	v_fmac_f32_e32 v40, v39, v42
	v_fmac_f32_e32 v40, -0.5, v39
	s_delay_alu instid0(VALU_DEP_1)
	v_add_f32_e32 v37, v37, v40
.LBB10_234:                             ;   in Loop: Header=BB10_161 Depth=1
	s_or_b32 exec_lo, exec_lo, s8
.LBB10_235:                             ;   in Loop: Header=BB10_161 Depth=1
	s_delay_alu instid0(SALU_CYCLE_1)
	s_or_b32 exec_lo, exec_lo, s5
.LBB10_236:                             ;   in Loop: Header=BB10_161 Depth=1
	s_delay_alu instid0(SALU_CYCLE_1)
	s_or_b32 exec_lo, exec_lo, s7
.LBB10_237:                             ;   in Loop: Header=BB10_161 Depth=1
	s_and_not1_saveexec_b32 s5, s6
	s_cbranch_execz .LBB10_239
; %bb.238:                              ;   in Loop: Header=BB10_161 Depth=1
	v_cmp_gt_f32_e64 s6, 0x800000, |v36|
	v_fma_f32 v41, |v36|, s27, 0xbecd26ab
	s_delay_alu instid0(VALU_DEP_2) | instskip(NEXT) | instid1(VALU_DEP_1)
	v_cndmask_b32_e64 v37, 0, 32, s6
	v_ldexp_f32 v37, |v36|, v37
	s_delay_alu instid0(VALU_DEP_1) | instskip(SKIP_1) | instid1(TRANS32_DEP_1)
	v_log_f32_e32 v37, v37
	v_nop
	v_mul_f32_e32 v39, 0x3f317217, v37
	v_cmp_gt_f32_e64 s4, 0x7f800000, |v37|
	s_delay_alu instid0(VALU_DEP_2) | instskip(NEXT) | instid1(VALU_DEP_1)
	v_fma_f32 v40, 0x3f317217, v37, -v39
	v_fmac_f32_e32 v40, 0x3377d1cf, v37
	s_delay_alu instid0(VALU_DEP_1) | instskip(SKIP_1) | instid1(VALU_DEP_2)
	v_add_f32_e32 v39, v39, v40
	v_fma_f32 v40, |v36|, v41, 0x3f528d33
	v_cndmask_b32_e64 v37, v37, v39, s4
	v_cndmask_b32_e64 v39, 0, 0x41b17218, s6
	s_delay_alu instid0(VALU_DEP_3) | instskip(NEXT) | instid1(VALU_DEP_2)
	v_fma_f32 v40, |v36|, v40, 0xbf13c468
	v_sub_f32_e32 v37, v37, v39
	s_delay_alu instid0(VALU_DEP_1)
	v_fma_f32 v37, |v36|, v40, -v37
.LBB10_239:                             ;   in Loop: Header=BB10_161 Depth=1
	s_or_b32 exec_lo, exec_lo, s5
	v_cmp_le_f16_e64 s4, 0, v32
	s_mov_b32 s6, exec_lo
	v_cmpx_nle_f16_e32 0, v32
	s_xor_b32 s7, exec_lo, s6
	s_cbranch_execz .LBB10_243
; %bb.240:                              ;   in Loop: Header=BB10_161 Depth=1
	v_cmp_gt_f32_e64 s5, 0x4b000000, |v36|
	v_cmp_lt_f32_e64 s6, 0x35000000, |v36|
	s_and_b32 s5, s5, s6
	s_delay_alu instid0(SALU_CYCLE_1)
	s_and_saveexec_b32 s8, s5
	s_cbranch_execz .LBB10_242
; %bb.241:                              ;   in Loop: Header=BB10_161 Depth=1
	v_mul_f32_e64 v39, |v36|, 0.5
	v_xor_b32_e32 v38, v38, v36
	s_delay_alu instid0(VALU_DEP_2) | instskip(SKIP_1) | instid1(VALU_DEP_2)
	v_floor_f32_e32 v40, v39
	v_cmp_neq_f32_e64 s5, 0x7f800000, v39
	v_sub_f32_e32 v40, v39, v40
	s_delay_alu instid0(VALU_DEP_1) | instskip(NEXT) | instid1(VALU_DEP_1)
	v_min_num_f32_e32 v40, 0x3f7fffff, v40
	v_add_f32_e32 v40, v40, v40
	s_delay_alu instid0(VALU_DEP_1) | instskip(SKIP_1) | instid1(VALU_DEP_1)
	v_cndmask_b32_e64 v39, 0, v40, s5
	v_cmp_gt_f32_e64 s5, |v36|, 1.0
	v_cndmask_b32_e64 v39, |v36|, v39, s5
	s_delay_alu instid0(VALU_DEP_1) | instskip(NEXT) | instid1(VALU_DEP_1)
	v_add_f32_e32 v40, v39, v39
	v_rndne_f32_e32 v40, v40
	s_delay_alu instid0(VALU_DEP_1) | instskip(SKIP_1) | instid1(VALU_DEP_2)
	v_fmac_f32_e32 v39, -0.5, v40
	v_cvt_i32_f32_e32 v40, v40
	v_mul_f32_e32 v41, v39, v39
	s_delay_alu instid0(VALU_DEP_1) | instskip(SKIP_1) | instid1(VALU_DEP_2)
	v_fmaak_f32 v42, s28, v41, 0xbf1f24be
	v_dual_fmaak_f32 v43, s29, v41, 0x3e642e9d :: v_dual_mul_f32 v44, v39, v41
	v_fmaak_f32 v42, v41, v42, 0x40234736
	s_delay_alu instid0(VALU_DEP_2) | instskip(NEXT) | instid1(VALU_DEP_2)
	v_fmaak_f32 v43, v41, v43, 0xbfaad1da
	v_fmaak_f32 v42, v41, v42, 0xc0a55e0e
	s_delay_alu instid0(VALU_DEP_1) | instskip(NEXT) | instid1(VALU_DEP_1)
	v_mul_f32_e32 v42, v44, v42
	v_fmac_f32_e32 v42, 0x40490fdb, v39
	v_dual_lshlrev_b32 v40, 30, v40 :: v_dual_bitop2_b32 v44, 1, v40 bitop3:0x40
	v_fmaak_f32 v43, v41, v43, 0x4081e0d3
	s_delay_alu instid0(VALU_DEP_2) | instskip(NEXT) | instid1(VALU_DEP_3)
	v_cmp_eq_u32_e64 s5, 0, v44
	v_and_b32_e32 v40, 0x80000000, v40
	s_delay_alu instid0(VALU_DEP_3) | instskip(NEXT) | instid1(VALU_DEP_1)
	v_fmaak_f32 v43, v41, v43, 0xc09de9e6
	v_fma_f32 v39, v41, v43, 1.0
	s_delay_alu instid0(VALU_DEP_1) | instskip(NEXT) | instid1(VALU_DEP_1)
	v_cndmask_b32_e64 v39, v39, v42, s5
	v_xor3_b32 v38, v38, v40, v39
	s_delay_alu instid0(VALU_DEP_1) | instskip(NEXT) | instid1(VALU_DEP_1)
	v_mul_f32_e32 v38, v36, v38
	v_frexp_mant_f32_e64 v39, |v38|
	v_frexp_exp_i32_f32_e32 v38, v38
	s_delay_alu instid0(VALU_DEP_2) | instskip(SKIP_1) | instid1(TRANS32_DEP_1)
	v_rcp_f32_e32 v39, v39
	v_nop
	v_dual_mul_f32 v39, 0x3f490fdb, v39 :: v_dual_sub_nc_u32 v38, 2, v38
	s_delay_alu instid0(VALU_DEP_1) | instskip(NEXT) | instid1(VALU_DEP_1)
	v_ldexp_f32 v38, v39, v38
	v_cmp_gt_f32_e64 s5, 0x800000, v38
	s_delay_alu instid0(VALU_DEP_1) | instskip(NEXT) | instid1(VALU_DEP_1)
	v_cndmask_b32_e64 v39, 0, 32, s5
	v_ldexp_f32 v38, v38, v39
	s_delay_alu instid0(VALU_DEP_1) | instskip(SKIP_1) | instid1(TRANS32_DEP_1)
	v_log_f32_e32 v38, v38
	v_nop
	v_mul_f32_e32 v39, 0x3f317217, v38
	v_cmp_gt_f32_e64 s6, 0x7f800000, |v38|
	s_delay_alu instid0(VALU_DEP_2) | instskip(NEXT) | instid1(VALU_DEP_1)
	v_fma_f32 v40, 0x3f317217, v38, -v39
	v_fmac_f32_e32 v40, 0x3377d1cf, v38
	s_delay_alu instid0(VALU_DEP_1) | instskip(SKIP_1) | instid1(VALU_DEP_2)
	v_add_f32_e32 v39, v39, v40
	v_floor_f32_e32 v40, v36
	v_cndmask_b32_e64 v38, v38, v39, s6
	v_cndmask_b32_e64 v39, 0, 0x41b17218, s5
	s_delay_alu instid0(VALU_DEP_1) | instskip(NEXT) | instid1(VALU_DEP_1)
	v_dual_sub_f32 v40, v36, v40 :: v_dual_sub_f32 v38, v38, v39
	v_min_num_f32_e32 v39, 0x3f7fffff, v40
	s_delay_alu instid0(VALU_DEP_2) | instskip(NEXT) | instid1(VALU_DEP_2)
	v_sub_f32_e32 v37, v38, v37
	v_cmp_neq_f32_e64 s5, 0, v39
	s_delay_alu instid0(VALU_DEP_1)
	v_cndmask_b32_e64 v37, 0x7f800000, v37, s5
.LBB10_242:                             ;   in Loop: Header=BB10_161 Depth=1
	s_or_b32 exec_lo, exec_lo, s8
.LBB10_243:                             ;   in Loop: Header=BB10_161 Depth=1
	s_and_not1_saveexec_b32 s7, s7
; %bb.244:                              ;   in Loop: Header=BB10_161 Depth=1
	v_cmp_eq_f16_e64 s5, 1.0, v32
	v_cmp_eq_f16_e64 s6, 2.0, v32
	s_or_b32 s5, s5, s6
	s_delay_alu instid0(SALU_CYCLE_1)
	v_cndmask_b32_e64 v37, v37, 0, s5
; %bb.245:                              ;   in Loop: Header=BB10_161 Depth=1
	s_or_b32 exec_lo, exec_lo, s7
	v_cvt_f32_f16_e32 v38, v30
                                        ; implicit-def: $vgpr39
	s_mov_b32 s6, exec_lo
	s_delay_alu instid0(VALU_DEP_1)
	v_and_b32_e32 v40, 0x7fffffff, v38
	v_cmpx_ngt_f32_e64 0x3c800000, |v38|
	s_xor_b32 s7, exec_lo, s6
	s_cbranch_execz .LBB10_275
; %bb.246:                              ;   in Loop: Header=BB10_161 Depth=1
                                        ; implicit-def: $vgpr39
	s_mov_b32 s6, exec_lo
	v_cmpx_nlt_f32_e64 |v38|, 2.0
	s_xor_b32 s8, exec_lo, s6
	s_cbranch_execz .LBB10_256
; %bb.247:                              ;   in Loop: Header=BB10_161 Depth=1
	s_mov_b32 s6, exec_lo
                                        ; implicit-def: $vgpr39
	v_cmpx_ngt_f32_e64 0x41000000, |v38|
	s_xor_b32 s6, exec_lo, s6
	s_cbranch_execz .LBB10_253
; %bb.248:                              ;   in Loop: Header=BB10_161 Depth=1
	s_mov_b32 s30, exec_lo
                                        ; implicit-def: $vgpr39
	v_cmpx_ngt_f32_e64 0x5c800000, |v38|
	s_xor_b32 s30, exec_lo, s30
	s_cbranch_execz .LBB10_250
; %bb.249:                              ;   in Loop: Header=BB10_161 Depth=1
	v_cmp_gt_f32_e64 s31, 0x800000, |v38|
	s_delay_alu instid0(VALU_DEP_1) | instskip(NEXT) | instid1(VALU_DEP_1)
	v_cndmask_b32_e64 v39, 0, 32, s31
	v_ldexp_f32 v39, |v38|, v39
	s_delay_alu instid0(VALU_DEP_1) | instskip(SKIP_1) | instid1(TRANS32_DEP_1)
	v_log_f32_e32 v39, v39
	v_nop
	v_mul_f32_e32 v41, 0x3f317217, v39
	v_cmp_gt_f32_e64 s5, 0x7f800000, |v39|
	s_delay_alu instid0(VALU_DEP_2) | instskip(NEXT) | instid1(VALU_DEP_1)
	v_fma_f32 v42, 0x3f317217, v39, -v41
	v_fmac_f32_e32 v42, 0x3377d1cf, v39
	s_delay_alu instid0(VALU_DEP_1) | instskip(NEXT) | instid1(VALU_DEP_1)
	v_add_f32_e32 v41, v41, v42
	v_cndmask_b32_e64 v39, v39, v41, s5
	v_cndmask_b32_e64 v41, 0, 0x41b17218, s31
	s_delay_alu instid0(VALU_DEP_1) | instskip(NEXT) | instid1(VALU_DEP_1)
	v_sub_f32_e32 v39, v39, v41
	v_fma_f32 v39, |v38|, v39, -|v38|
.LBB10_250:                             ;   in Loop: Header=BB10_161 Depth=1
	s_and_not1_saveexec_b32 s30, s30
	s_cbranch_execz .LBB10_252
; %bb.251:                              ;   in Loop: Header=BB10_161 Depth=1
	v_cmp_gt_f32_e64 s31, 0x800000, |v38|
	v_rcp_f32_e64 v41, |v38|
	s_delay_alu instid0(VALU_DEP_1) | instskip(NEXT) | instid1(VALU_DEP_1)
	v_cndmask_b32_e64 v39, 0, 32, s31
	v_ldexp_f32 v39, |v38|, v39
	s_delay_alu instid0(VALU_DEP_1) | instskip(SKIP_1) | instid1(TRANS32_DEP_1)
	v_log_f32_e32 v39, v39
	v_nop
	v_dual_mul_f32 v42, v41, v41 :: v_dual_mul_f32 v43, 0x3f317217, v39
	v_cmp_gt_f32_e64 s5, 0x7f800000, |v39|
	s_delay_alu instid0(VALU_DEP_2) | instskip(NEXT) | instid1(VALU_DEP_1)
	v_fma_f32 v45, 0x3f317217, v39, -v43
	v_fmac_f32_e32 v45, 0x3377d1cf, v39
	s_delay_alu instid0(VALU_DEP_1) | instskip(NEXT) | instid1(VALU_DEP_1)
	v_dual_fmaak_f32 v44, s20, v42, 0x3a5b3dd2 :: v_dual_add_f32 v43, v43, v45
	v_cndmask_b32_e64 v39, v39, v43, s5
	v_cndmask_b32_e64 v43, 0, 0x41b17218, s31
	s_delay_alu instid0(VALU_DEP_1) | instskip(NEXT) | instid1(VALU_DEP_1)
	v_dual_fmaak_f32 v44, v42, v44, 0xba1c065c :: v_dual_sub_f32 v43, v39, v43
	v_fmaak_f32 v44, v42, v44, 0x3a500cfd
	s_delay_alu instid0(VALU_DEP_1) | instskip(NEXT) | instid1(VALU_DEP_1)
	v_fmaak_f32 v44, v42, v44, 0xbb360b61
	v_fmaak_f32 v42, v42, v44, 0x3daaaaab
	s_delay_alu instid0(VALU_DEP_1) | instskip(SKIP_2) | instid1(VALU_DEP_1)
	v_fmaak_f32 v39, v41, v42, 0x3ed67f1d
	v_add_f32_e64 v41, |v38|, -0.5
	v_add_f32_e32 v42, -1.0, v43
	v_fmac_f32_e32 v39, v41, v42
.LBB10_252:                             ;   in Loop: Header=BB10_161 Depth=1
	s_or_b32 exec_lo, exec_lo, s30
.LBB10_253:                             ;   in Loop: Header=BB10_161 Depth=1
	s_and_not1_saveexec_b32 s30, s6
	s_cbranch_execz .LBB10_255
; %bb.254:                              ;   in Loop: Header=BB10_161 Depth=1
	v_cvt_i32_f32_e32 v39, v40
	s_delay_alu instid0(VALU_DEP_1) | instskip(SKIP_1) | instid1(VALU_DEP_2)
	v_cvt_f32_i32_e32 v41, v39
	v_cmp_lt_i32_e64 s5, 3, v39
	v_sub_f32_e64 v42, |v38|, v41
	s_delay_alu instid0(VALU_DEP_1) | instskip(NEXT) | instid1(VALU_DEP_1)
	v_pk_add_f32 v[44:45], v[42:43], v[28:29] op_sel_hi:[0,1]
	v_dual_add_f32 v41, 4.0, v42 :: v_dual_cndmask_b32 v43, 1.0, v45, s5
	v_cmp_lt_i32_e64 s5, 2, v39
	v_add_f32_e32 v45, 0x40a00000, v42
	s_delay_alu instid0(VALU_DEP_2) | instskip(SKIP_1) | instid1(VALU_DEP_1)
	v_cndmask_b32_e64 v44, 1.0, v44, s5
	v_cmp_lt_i32_e64 s5, 4, v39
	v_dual_cndmask_b32 v41, 1.0, v41, s5 :: v_dual_mul_f32 v43, v44, v43
	v_add_f32_e32 v44, 0x40c00000, v42
	v_cmp_lt_i32_e64 s5, 5, v39
	s_delay_alu instid0(VALU_DEP_1) | instskip(SKIP_1) | instid1(VALU_DEP_1)
	v_dual_mul_f32 v41, v41, v43 :: v_dual_cndmask_b32 v45, 1.0, v45, s5
	v_cmp_lt_i32_e64 s5, 6, v39
	v_dual_mul_f32 v41, v45, v41 :: v_dual_cndmask_b32 v39, 1.0, v44, s5
	s_delay_alu instid0(VALU_DEP_1) | instskip(NEXT) | instid1(VALU_DEP_1)
	v_dual_fmaak_f32 v44, s21, v42, 0x3af135b4 :: v_dual_mul_f32 v39, v39, v41
	v_cmp_gt_f32_e64 s5, 0x800000, v39
	s_delay_alu instid0(VALU_DEP_1) | instskip(NEXT) | instid1(VALU_DEP_1)
	v_cndmask_b32_e64 v43, 0, 32, s5
	v_ldexp_f32 v39, v39, v43
	s_delay_alu instid0(VALU_DEP_4) | instskip(NEXT) | instid1(VALU_DEP_2)
	v_fmaak_f32 v43, v42, v44, 0x3cda40e4
	v_log_f32_e32 v39, v39
	s_delay_alu instid0(VALU_DEP_1) | instskip(NEXT) | instid1(VALU_DEP_1)
	v_fmaak_f32 v43, v42, v43, 0x3e15dce6
	v_fmaak_f32 v43, v42, v43, 0x3ea6cc7a
	s_delay_alu instid0(TRANS32_DEP_1) | instskip(NEXT) | instid1(VALU_DEP_2)
	v_cmp_gt_f32_e64 s6, 0x7f800000, |v39|
	v_fmaak_f32 v43, v42, v43, 0x3e5c245a
	s_delay_alu instid0(VALU_DEP_1) | instskip(NEXT) | instid1(VALU_DEP_1)
	v_fmaak_f32 v43, v42, v43, 0xbd9e233f
	v_mul_f32_e32 v43, v42, v43
	v_mul_f32_e32 v44, 0x3f317217, v39
	s_delay_alu instid0(VALU_DEP_1) | instskip(NEXT) | instid1(VALU_DEP_1)
	v_fma_f32 v45, 0x3f317217, v39, -v44
	v_fmac_f32_e32 v45, 0x3377d1cf, v39
	s_delay_alu instid0(VALU_DEP_1) | instskip(NEXT) | instid1(VALU_DEP_1)
	v_dual_fmaak_f32 v41, s22, v42, 0x3a4beed6 :: v_dual_add_f32 v44, v44, v45
	v_fmaak_f32 v41, v42, v41, 0x3c98bf54
	s_delay_alu instid0(VALU_DEP_2) | instskip(NEXT) | instid1(VALU_DEP_2)
	v_cndmask_b32_e64 v39, v39, v44, s6
	v_fmaak_f32 v41, v42, v41, 0x3e300f6e
	s_delay_alu instid0(VALU_DEP_1) | instskip(NEXT) | instid1(VALU_DEP_1)
	v_fmaak_f32 v41, v42, v41, 0x3f38d0c5
	v_fmaak_f32 v41, v42, v41, 0x3fb22d3b
	s_delay_alu instid0(VALU_DEP_1) | instskip(NEXT) | instid1(VALU_DEP_1)
	v_fma_f32 v41, v42, v41, 1.0
	v_rcp_f32_e32 v41, v41
	v_nop
	s_delay_alu instid0(TRANS32_DEP_1) | instskip(SKIP_1) | instid1(VALU_DEP_1)
	v_mul_f32_e32 v41, v43, v41
	v_cndmask_b32_e64 v43, 0, 0x41b17218, s5
	v_dual_fmac_f32 v41, 0.5, v42 :: v_dual_sub_f32 v39, v39, v43
	s_delay_alu instid0(VALU_DEP_1)
	v_add_f32_e32 v39, v39, v41
.LBB10_255:                             ;   in Loop: Header=BB10_161 Depth=1
	s_or_b32 exec_lo, exec_lo, s30
.LBB10_256:                             ;   in Loop: Header=BB10_161 Depth=1
	s_and_not1_saveexec_b32 s8, s8
	s_cbranch_execz .LBB10_274
; %bb.257:                              ;   in Loop: Header=BB10_161 Depth=1
                                        ; implicit-def: $vgpr39
                                        ; implicit-def: $vgpr42
                                        ; implicit-def: $vgpr41
	s_mov_b32 s6, exec_lo
	v_cmpx_ge_f32_e64 0x3f666666, |v38|
	s_xor_b32 s30, exec_lo, s6
	s_cbranch_execz .LBB10_259
; %bb.258:                              ;   in Loop: Header=BB10_161 Depth=1
	v_cmp_gt_f32_e64 s6, 0x800000, |v38|
	v_sub_f32_e64 v43, 1.0, |v38|
	v_cmp_gt_f32_e64 s5, 0x3f3b4a23, |v38|
	s_delay_alu instid0(VALU_DEP_3) | instskip(SKIP_1) | instid1(VALU_DEP_2)
	v_cndmask_b32_e64 v39, 0, 32, s6
	v_cndmask_b32_e64 v44, 0, 0x41b17218, s6
	v_ldexp_f32 v39, |v38|, v39
	s_delay_alu instid0(VALU_DEP_1) | instskip(SKIP_1) | instid1(TRANS32_DEP_1)
	v_log_f32_e32 v39, v39
	v_nop
	v_mul_f32_e32 v41, 0x3f317217, v39
	v_cmp_gt_f32_e64 s6, 0x7f800000, |v39|
	s_delay_alu instid0(VALU_DEP_2) | instskip(NEXT) | instid1(VALU_DEP_1)
	v_fma_f32 v42, 0x3f317217, v39, -v41
	v_fmac_f32_e32 v42, 0x3377d1cf, v39
	s_delay_alu instid0(VALU_DEP_1) | instskip(SKIP_1) | instid1(VALU_DEP_2)
	v_add_f32_e32 v41, v41, v42
	v_add_f32_e64 v42, 0xbeec5b0c, |v38|
	v_cndmask_b32_e64 v39, v39, v41, s6
	s_delay_alu instid0(VALU_DEP_2) | instskip(SKIP_2) | instid1(VALU_DEP_4)
	v_cndmask_b32_e64 v41, v43, v42, s5
	v_cndmask_b32_e64 v42, 0, 1, s5
	v_cmp_gt_f32_e64 s5, 0x3e6d3309, |v38|
	v_sub_f32_e32 v39, v39, v44
	s_delay_alu instid0(VALU_DEP_2) | instskip(NEXT) | instid1(VALU_DEP_4)
	v_cndmask_b32_e64 v41, v41, |v38|, s5
	v_cndmask_b32_e64 v42, v42, 2, s5
	s_delay_alu instid0(VALU_DEP_3)
	v_xor_b32_e32 v39, 0x80000000, v39
.LBB10_259:                             ;   in Loop: Header=BB10_161 Depth=1
	s_and_not1_saveexec_b32 s6, s30
	s_cbranch_execz .LBB10_261
; %bb.260:                              ;   in Loop: Header=BB10_161 Depth=1
	v_sub_f32_e64 v39, 2.0, |v38|
	v_add_f32_e64 v41, 0xbfbb16c3, |v38|
	v_cmp_gt_f32_e64 s5, 0x3fdda512, |v38|
	v_add_f32_e64 v42, |v38|, -1.0
	s_delay_alu instid0(VALU_DEP_2) | instskip(SKIP_2) | instid1(VALU_DEP_2)
	v_cndmask_b32_e64 v41, v39, v41, s5
	v_cndmask_b32_e64 v39, v39, 1.0, s5
	v_cmp_gt_f32_e64 s5, 0x3f9d70a4, |v38|
	v_cvt_i32_f32_e32 v39, v39
	s_delay_alu instid0(VALU_DEP_2) | instskip(NEXT) | instid1(VALU_DEP_2)
	v_cndmask_b32_e64 v41, v41, v42, s5
	v_cndmask_b32_e64 v42, v39, 2, s5
	v_mov_b32_e32 v39, 0
.LBB10_261:                             ;   in Loop: Header=BB10_161 Depth=1
	s_or_b32 exec_lo, exec_lo, s6
	s_delay_alu instid0(SALU_CYCLE_1) | instskip(NEXT) | instid1(VALU_DEP_2)
	s_mov_b32 s6, exec_lo
	v_cmpx_lt_i32_e32 0, v42
	s_xor_b32 s6, exec_lo, s6
	s_cbranch_execz .LBB10_269
; %bb.262:                              ;   in Loop: Header=BB10_161 Depth=1
	s_mov_b32 s30, exec_lo
	v_cmpx_lt_i32_e32 1, v42
	s_xor_b32 s30, exec_lo, s30
	s_cbranch_execz .LBB10_266
; %bb.263:                              ;   in Loop: Header=BB10_161 Depth=1
	s_mov_b32 s31, exec_lo
	v_cmpx_eq_u32_e32 2, v42
	s_cbranch_execz .LBB10_265
; %bb.264:                              ;   in Loop: Header=BB10_161 Depth=1
	v_fmaak_f32 v43, s9, v41, 0x3e6a7578
	s_delay_alu instid0(VALU_DEP_1) | instskip(NEXT) | instid1(VALU_DEP_1)
	v_fmaak_f32 v43, v41, v43, 0x3f7a4bb2
	v_fmaak_f32 v43, v41, v43, 0x3fba3ae7
	s_delay_alu instid0(VALU_DEP_1) | instskip(NEXT) | instid1(VALU_DEP_1)
	v_fmaak_f32 v43, v41, v43, 0x3f2200f4
	v_fmaak_f32 v43, v41, v43, 0xbd9e233f
	s_delay_alu instid0(VALU_DEP_1) | instskip(NEXT) | instid1(VALU_DEP_1)
	v_dual_fmaak_f32 v42, s12, v41, 0x3dd572af :: v_dual_mul_f32 v43, v41, v43
	v_fmaak_f32 v42, v41, v42, 0x3f44efdf
	s_delay_alu instid0(VALU_DEP_1) | instskip(NEXT) | instid1(VALU_DEP_1)
	v_fmaak_f32 v42, v41, v42, 0x4008392d
	v_fmaak_f32 v42, v41, v42, 0x401d2ebe
	s_delay_alu instid0(VALU_DEP_1) | instskip(NEXT) | instid1(VALU_DEP_1)
	v_fma_f32 v42, v41, v42, 1.0
	v_rcp_f32_e32 v42, v42
	v_nop
	s_delay_alu instid0(TRANS32_DEP_1) | instskip(NEXT) | instid1(VALU_DEP_1)
	v_mul_f32_e32 v42, v43, v42
	v_fmac_f32_e32 v42, -0.5, v41
	s_delay_alu instid0(VALU_DEP_1)
	v_add_f32_e32 v39, v39, v42
.LBB10_265:                             ;   in Loop: Header=BB10_161 Depth=1
	s_or_b32 exec_lo, exec_lo, s31
                                        ; implicit-def: $vgpr41
.LBB10_266:                             ;   in Loop: Header=BB10_161 Depth=1
	s_and_not1_saveexec_b32 s5, s30
	s_cbranch_execz .LBB10_268
; %bb.267:                              ;   in Loop: Header=BB10_161 Depth=1
	v_mul_f32_e32 v42, v41, v41
	s_delay_alu instid0(VALU_DEP_1) | instskip(NEXT) | instid1(VALU_DEP_1)
	v_mul_f32_e32 v43, v41, v42
	v_fmaak_f32 v44, s23, v43, 0x3a66f867
	v_fmaak_f32 v45, s24, v43, 0xba0d3085
	s_delay_alu instid0(VALU_DEP_2) | instskip(NEXT) | instid1(VALU_DEP_2)
	v_fmaak_f32 v44, v43, v44, 0xbb7177fe
	v_fmaak_f32 v45, v43, v45, 0x3b141699
	s_delay_alu instid0(VALU_DEP_2) | instskip(NEXT) | instid1(VALU_DEP_2)
	;; [unrolled: 3-line block ×3, first 2 shown]
	v_fmaak_f32 v44, v43, v44, 0xbe17213c
	v_fmaak_f32 v45, v43, v45, 0x3d845a15
	s_delay_alu instid0(VALU_DEP_1) | instskip(SKIP_1) | instid1(VALU_DEP_1)
	v_fmac_f32_e32 v44, v41, v45
	v_fmaak_f32 v46, s13, v43, 0xbab7f476
	v_fmaak_f32 v46, v43, v46, 0x3bc7e707
	s_delay_alu instid0(VALU_DEP_1) | instskip(NEXT) | instid1(VALU_DEP_1)
	v_fmaak_f32 v46, v43, v46, 0xbd064d47
	v_fmaak_f32 v41, v43, v46, 0x3ef7b95e
	v_fma_f32 v43, v43, -v44, 0xa2863e55
	s_delay_alu instid0(VALU_DEP_1) | instskip(NEXT) | instid1(VALU_DEP_1)
	v_fma_f32 v41, v42, v41, -v43
	v_add_f32_e32 v41, 0xbdf8cdce, v41
	s_delay_alu instid0(VALU_DEP_1)
	v_add_f32_e32 v39, v39, v41
.LBB10_268:                             ;   in Loop: Header=BB10_161 Depth=1
	s_or_b32 exec_lo, exec_lo, s5
                                        ; implicit-def: $vgpr42
                                        ; implicit-def: $vgpr41
.LBB10_269:                             ;   in Loop: Header=BB10_161 Depth=1
	s_and_not1_saveexec_b32 s6, s6
	s_cbranch_execz .LBB10_273
; %bb.270:                              ;   in Loop: Header=BB10_161 Depth=1
	s_mov_b32 s30, exec_lo
	v_cmpx_eq_u32_e32 0, v42
	s_cbranch_execz .LBB10_272
; %bb.271:                              ;   in Loop: Header=BB10_161 Depth=1
	v_mul_f32_e32 v42, v41, v41
	s_delay_alu instid0(VALU_DEP_1) | instskip(NEXT) | instid1(VALU_DEP_1)
	v_fmaak_f32 v44, s25, v42, 0x39679767
	v_fmaak_f32 v44, v42, v44, 0x3a9c54a1
	s_delay_alu instid0(VALU_DEP_1) | instskip(NEXT) | instid1(VALU_DEP_1)
	v_fmaak_f32 v44, v42, v44, 0x3bf2027e
	v_fmaak_f32 v44, v42, v44, 0x3d89f001
	s_delay_alu instid0(VALU_DEP_1) | instskip(SKIP_1) | instid1(VALU_DEP_1)
	v_fmaak_f32 v44, v42, v44, 0x3d9e233f
	v_fmaak_f32 v43, s26, v42, 0x38e28445
	;; [unrolled: 1-line block ×3, first 2 shown]
	s_delay_alu instid0(VALU_DEP_1) | instskip(NEXT) | instid1(VALU_DEP_1)
	v_fmaak_f32 v43, v42, v43, 0x3b3d6ec6
	v_fmaak_f32 v43, v42, v43, 0x3ca89915
	s_delay_alu instid0(VALU_DEP_1) | instskip(NEXT) | instid1(VALU_DEP_1)
	v_fmaak_f32 v43, v42, v43, 0x3ea51a66
	v_mul_f32_e32 v42, v42, v43
	s_delay_alu instid0(VALU_DEP_1) | instskip(NEXT) | instid1(VALU_DEP_1)
	v_fmac_f32_e32 v42, v41, v44
	v_fmac_f32_e32 v42, -0.5, v41
	s_delay_alu instid0(VALU_DEP_1)
	v_add_f32_e32 v39, v39, v42
.LBB10_272:                             ;   in Loop: Header=BB10_161 Depth=1
	s_or_b32 exec_lo, exec_lo, s30
.LBB10_273:                             ;   in Loop: Header=BB10_161 Depth=1
	s_delay_alu instid0(SALU_CYCLE_1)
	s_or_b32 exec_lo, exec_lo, s6
.LBB10_274:                             ;   in Loop: Header=BB10_161 Depth=1
	s_delay_alu instid0(SALU_CYCLE_1)
	s_or_b32 exec_lo, exec_lo, s8
.LBB10_275:                             ;   in Loop: Header=BB10_161 Depth=1
	s_and_not1_saveexec_b32 s6, s7
	s_cbranch_execz .LBB10_277
; %bb.276:                              ;   in Loop: Header=BB10_161 Depth=1
	v_cmp_gt_f32_e64 s7, 0x800000, |v38|
	v_fma_f32 v43, |v38|, s27, 0xbecd26ab
	s_delay_alu instid0(VALU_DEP_2) | instskip(NEXT) | instid1(VALU_DEP_1)
	v_cndmask_b32_e64 v39, 0, 32, s7
	v_ldexp_f32 v39, |v38|, v39
	s_delay_alu instid0(VALU_DEP_1) | instskip(SKIP_1) | instid1(TRANS32_DEP_1)
	v_log_f32_e32 v39, v39
	v_nop
	v_mul_f32_e32 v41, 0x3f317217, v39
	v_cmp_gt_f32_e64 s5, 0x7f800000, |v39|
	s_delay_alu instid0(VALU_DEP_2) | instskip(NEXT) | instid1(VALU_DEP_1)
	v_fma_f32 v42, 0x3f317217, v39, -v41
	v_fmac_f32_e32 v42, 0x3377d1cf, v39
	s_delay_alu instid0(VALU_DEP_1) | instskip(SKIP_1) | instid1(VALU_DEP_2)
	v_add_f32_e32 v41, v41, v42
	v_fma_f32 v42, |v38|, v43, 0x3f528d33
	v_cndmask_b32_e64 v39, v39, v41, s5
	v_cndmask_b32_e64 v41, 0, 0x41b17218, s7
	s_delay_alu instid0(VALU_DEP_3) | instskip(NEXT) | instid1(VALU_DEP_2)
	v_fma_f32 v42, |v38|, v42, 0xbf13c468
	v_sub_f32_e32 v39, v39, v41
	s_delay_alu instid0(VALU_DEP_1)
	v_fma_f32 v39, |v38|, v42, -v39
.LBB10_277:                             ;   in Loop: Header=BB10_161 Depth=1
	s_or_b32 exec_lo, exec_lo, s6
	v_cmp_le_f16_e64 s5, 0, v30
	s_mov_b32 s7, exec_lo
	v_cmpx_nle_f16_e32 0, v30
	s_xor_b32 s8, exec_lo, s7
	s_cbranch_execz .LBB10_281
; %bb.278:                              ;   in Loop: Header=BB10_161 Depth=1
	v_cmp_gt_f32_e64 s6, 0x4b000000, |v38|
	v_cmp_lt_f32_e64 s7, 0x35000000, |v38|
	s_and_b32 s6, s6, s7
	s_delay_alu instid0(SALU_CYCLE_1)
	s_and_saveexec_b32 s30, s6
	s_cbranch_execz .LBB10_280
; %bb.279:                              ;   in Loop: Header=BB10_161 Depth=1
	v_mul_f32_e64 v41, |v38|, 0.5
	v_xor_b32_e32 v40, v40, v38
	s_delay_alu instid0(VALU_DEP_2) | instskip(SKIP_1) | instid1(VALU_DEP_2)
	v_floor_f32_e32 v42, v41
	v_cmp_neq_f32_e64 s6, 0x7f800000, v41
	v_sub_f32_e32 v42, v41, v42
	s_delay_alu instid0(VALU_DEP_1) | instskip(NEXT) | instid1(VALU_DEP_1)
	v_min_num_f32_e32 v42, 0x3f7fffff, v42
	v_add_f32_e32 v42, v42, v42
	s_delay_alu instid0(VALU_DEP_1) | instskip(SKIP_1) | instid1(VALU_DEP_1)
	v_cndmask_b32_e64 v41, 0, v42, s6
	v_cmp_gt_f32_e64 s6, |v38|, 1.0
	v_cndmask_b32_e64 v41, |v38|, v41, s6
	s_delay_alu instid0(VALU_DEP_1) | instskip(NEXT) | instid1(VALU_DEP_1)
	v_add_f32_e32 v42, v41, v41
	v_rndne_f32_e32 v42, v42
	s_delay_alu instid0(VALU_DEP_1) | instskip(SKIP_1) | instid1(VALU_DEP_2)
	v_fmac_f32_e32 v41, -0.5, v42
	v_cvt_i32_f32_e32 v42, v42
	v_mul_f32_e32 v43, v41, v41
	s_delay_alu instid0(VALU_DEP_1) | instskip(SKIP_1) | instid1(VALU_DEP_2)
	v_fmaak_f32 v44, s28, v43, 0xbf1f24be
	v_dual_fmaak_f32 v45, s29, v43, 0x3e642e9d :: v_dual_mul_f32 v46, v41, v43
	v_fmaak_f32 v44, v43, v44, 0x40234736
	s_delay_alu instid0(VALU_DEP_2) | instskip(NEXT) | instid1(VALU_DEP_2)
	v_fmaak_f32 v45, v43, v45, 0xbfaad1da
	v_fmaak_f32 v44, v43, v44, 0xc0a55e0e
	s_delay_alu instid0(VALU_DEP_1) | instskip(NEXT) | instid1(VALU_DEP_1)
	v_mul_f32_e32 v44, v46, v44
	v_fmac_f32_e32 v44, 0x40490fdb, v41
	v_dual_lshlrev_b32 v42, 30, v42 :: v_dual_bitop2_b32 v46, 1, v42 bitop3:0x40
	v_fmaak_f32 v45, v43, v45, 0x4081e0d3
	s_delay_alu instid0(VALU_DEP_2) | instskip(NEXT) | instid1(VALU_DEP_3)
	v_cmp_eq_u32_e64 s6, 0, v46
	v_and_b32_e32 v42, 0x80000000, v42
	s_delay_alu instid0(VALU_DEP_3) | instskip(NEXT) | instid1(VALU_DEP_1)
	v_fmaak_f32 v45, v43, v45, 0xc09de9e6
	v_fma_f32 v41, v43, v45, 1.0
	s_delay_alu instid0(VALU_DEP_1) | instskip(NEXT) | instid1(VALU_DEP_1)
	v_cndmask_b32_e64 v41, v41, v44, s6
	v_xor3_b32 v40, v40, v42, v41
	s_delay_alu instid0(VALU_DEP_1) | instskip(NEXT) | instid1(VALU_DEP_1)
	v_mul_f32_e32 v40, v38, v40
	v_frexp_mant_f32_e64 v41, |v40|
	v_frexp_exp_i32_f32_e32 v40, v40
	s_delay_alu instid0(VALU_DEP_2) | instskip(SKIP_1) | instid1(TRANS32_DEP_1)
	v_rcp_f32_e32 v41, v41
	v_nop
	v_dual_mul_f32 v41, 0x3f490fdb, v41 :: v_dual_sub_nc_u32 v40, 2, v40
	s_delay_alu instid0(VALU_DEP_1) | instskip(NEXT) | instid1(VALU_DEP_1)
	v_ldexp_f32 v40, v41, v40
	v_cmp_gt_f32_e64 s6, 0x800000, v40
	s_delay_alu instid0(VALU_DEP_1) | instskip(NEXT) | instid1(VALU_DEP_1)
	v_cndmask_b32_e64 v41, 0, 32, s6
	v_ldexp_f32 v40, v40, v41
	s_delay_alu instid0(VALU_DEP_1) | instskip(SKIP_1) | instid1(TRANS32_DEP_1)
	v_log_f32_e32 v40, v40
	v_nop
	v_mul_f32_e32 v41, 0x3f317217, v40
	v_cmp_gt_f32_e64 s7, 0x7f800000, |v40|
	s_delay_alu instid0(VALU_DEP_2) | instskip(NEXT) | instid1(VALU_DEP_1)
	v_fma_f32 v42, 0x3f317217, v40, -v41
	v_fmac_f32_e32 v42, 0x3377d1cf, v40
	s_delay_alu instid0(VALU_DEP_1) | instskip(SKIP_1) | instid1(VALU_DEP_2)
	v_add_f32_e32 v41, v41, v42
	v_floor_f32_e32 v42, v38
	v_cndmask_b32_e64 v40, v40, v41, s7
	v_cndmask_b32_e64 v41, 0, 0x41b17218, s6
	s_delay_alu instid0(VALU_DEP_1) | instskip(NEXT) | instid1(VALU_DEP_1)
	v_dual_sub_f32 v42, v38, v42 :: v_dual_sub_f32 v40, v40, v41
	v_min_num_f32_e32 v41, 0x3f7fffff, v42
	s_delay_alu instid0(VALU_DEP_2) | instskip(NEXT) | instid1(VALU_DEP_2)
	v_sub_f32_e32 v39, v40, v39
	v_cmp_neq_f32_e64 s6, 0, v41
	s_delay_alu instid0(VALU_DEP_1)
	v_cndmask_b32_e64 v39, 0x7f800000, v39, s6
.LBB10_280:                             ;   in Loop: Header=BB10_161 Depth=1
	s_or_b32 exec_lo, exec_lo, s30
.LBB10_281:                             ;   in Loop: Header=BB10_161 Depth=1
	s_and_not1_saveexec_b32 s8, s8
; %bb.282:                              ;   in Loop: Header=BB10_161 Depth=1
	v_cmp_eq_f16_e64 s6, 1.0, v30
	v_cmp_eq_f16_e64 s7, 2.0, v30
	s_or_b32 s6, s6, s7
	s_delay_alu instid0(SALU_CYCLE_1)
	v_cndmask_b32_e64 v39, v39, 0, s6
; %bb.283:                              ;   in Loop: Header=BB10_161 Depth=1
	s_or_b32 exec_lo, exec_lo, s8
	v_cvt_f32_f16_e32 v40, v31
                                        ; implicit-def: $vgpr42
	s_mov_b32 s7, exec_lo
	s_delay_alu instid0(VALU_DEP_1)
	v_and_b32_e32 v41, 0x7fffffff, v40
	v_cmpx_ngt_f32_e64 0x3c800000, |v40|
	s_xor_b32 s8, exec_lo, s7
	s_cbranch_execz .LBB10_313
; %bb.284:                              ;   in Loop: Header=BB10_161 Depth=1
                                        ; implicit-def: $vgpr42
	s_mov_b32 s7, exec_lo
	v_cmpx_nlt_f32_e64 |v40|, 2.0
	s_xor_b32 s30, exec_lo, s7
	s_cbranch_execz .LBB10_294
; %bb.285:                              ;   in Loop: Header=BB10_161 Depth=1
	s_mov_b32 s7, exec_lo
                                        ; implicit-def: $vgpr42
	v_cmpx_ngt_f32_e64 0x41000000, |v40|
	s_xor_b32 s7, exec_lo, s7
	s_cbranch_execz .LBB10_291
; %bb.286:                              ;   in Loop: Header=BB10_161 Depth=1
	s_mov_b32 s31, exec_lo
                                        ; implicit-def: $vgpr42
	v_cmpx_ngt_f32_e64 0x5c800000, |v40|
	s_xor_b32 s31, exec_lo, s31
	s_cbranch_execz .LBB10_288
; %bb.287:                              ;   in Loop: Header=BB10_161 Depth=1
	v_cmp_gt_f32_e64 s33, 0x800000, |v40|
	s_delay_alu instid0(VALU_DEP_1) | instskip(NEXT) | instid1(VALU_DEP_1)
	v_cndmask_b32_e64 v42, 0, 32, s33
	v_ldexp_f32 v42, |v40|, v42
	s_delay_alu instid0(VALU_DEP_1) | instskip(SKIP_1) | instid1(TRANS32_DEP_1)
	v_log_f32_e32 v42, v42
	v_nop
	v_mul_f32_e32 v43, 0x3f317217, v42
	v_cmp_gt_f32_e64 s6, 0x7f800000, |v42|
	s_delay_alu instid0(VALU_DEP_2) | instskip(NEXT) | instid1(VALU_DEP_1)
	v_fma_f32 v44, 0x3f317217, v42, -v43
	v_fmac_f32_e32 v44, 0x3377d1cf, v42
	s_delay_alu instid0(VALU_DEP_1) | instskip(NEXT) | instid1(VALU_DEP_1)
	v_add_f32_e32 v43, v43, v44
	v_cndmask_b32_e64 v42, v42, v43, s6
	v_cndmask_b32_e64 v43, 0, 0x41b17218, s33
	s_delay_alu instid0(VALU_DEP_1) | instskip(NEXT) | instid1(VALU_DEP_1)
	v_sub_f32_e32 v42, v42, v43
	v_fma_f32 v42, |v40|, v42, -|v40|
.LBB10_288:                             ;   in Loop: Header=BB10_161 Depth=1
	s_and_not1_saveexec_b32 s31, s31
	s_cbranch_execz .LBB10_290
; %bb.289:                              ;   in Loop: Header=BB10_161 Depth=1
	v_cmp_gt_f32_e64 s33, 0x800000, |v40|
	v_rcp_f32_e64 v43, |v40|
	s_delay_alu instid0(VALU_DEP_1) | instskip(NEXT) | instid1(VALU_DEP_1)
	v_cndmask_b32_e64 v42, 0, 32, s33
	v_ldexp_f32 v42, |v40|, v42
	s_delay_alu instid0(VALU_DEP_1) | instskip(SKIP_1) | instid1(TRANS32_DEP_1)
	v_log_f32_e32 v42, v42
	v_nop
	v_dual_mul_f32 v44, v43, v43 :: v_dual_mul_f32 v45, 0x3f317217, v42
	v_cmp_gt_f32_e64 s6, 0x7f800000, |v42|
	s_delay_alu instid0(VALU_DEP_2) | instskip(NEXT) | instid1(VALU_DEP_1)
	v_fma_f32 v47, 0x3f317217, v42, -v45
	v_fmac_f32_e32 v47, 0x3377d1cf, v42
	s_delay_alu instid0(VALU_DEP_1) | instskip(NEXT) | instid1(VALU_DEP_1)
	v_dual_fmaak_f32 v46, s20, v44, 0x3a5b3dd2 :: v_dual_add_f32 v45, v45, v47
	v_cndmask_b32_e64 v42, v42, v45, s6
	v_cndmask_b32_e64 v45, 0, 0x41b17218, s33
	s_delay_alu instid0(VALU_DEP_1) | instskip(NEXT) | instid1(VALU_DEP_1)
	v_dual_fmaak_f32 v46, v44, v46, 0xba1c065c :: v_dual_sub_f32 v45, v42, v45
	v_fmaak_f32 v46, v44, v46, 0x3a500cfd
	s_delay_alu instid0(VALU_DEP_1) | instskip(NEXT) | instid1(VALU_DEP_1)
	v_fmaak_f32 v46, v44, v46, 0xbb360b61
	v_fmaak_f32 v44, v44, v46, 0x3daaaaab
	s_delay_alu instid0(VALU_DEP_1) | instskip(SKIP_2) | instid1(VALU_DEP_1)
	v_fmaak_f32 v42, v43, v44, 0x3ed67f1d
	v_add_f32_e64 v43, |v40|, -0.5
	v_add_f32_e32 v44, -1.0, v45
	v_fmac_f32_e32 v42, v43, v44
.LBB10_290:                             ;   in Loop: Header=BB10_161 Depth=1
	s_or_b32 exec_lo, exec_lo, s31
.LBB10_291:                             ;   in Loop: Header=BB10_161 Depth=1
	s_and_not1_saveexec_b32 s31, s7
	s_cbranch_execz .LBB10_293
; %bb.292:                              ;   in Loop: Header=BB10_161 Depth=1
	v_cvt_i32_f32_e32 v43, v41
	s_delay_alu instid0(VALU_DEP_1) | instskip(SKIP_1) | instid1(VALU_DEP_2)
	v_cvt_f32_i32_e32 v42, v43
	v_cmp_lt_i32_e64 s6, 3, v43
	v_sub_f32_e64 v42, |v40|, v42
	s_delay_alu instid0(VALU_DEP_1) | instskip(NEXT) | instid1(VALU_DEP_1)
	v_pk_add_f32 v[44:45], v[42:43], v[28:29] op_sel_hi:[0,1]
	v_dual_add_f32 v46, 4.0, v42 :: v_dual_cndmask_b32 v45, 1.0, v45, s6
	v_cmp_lt_i32_e64 s6, 2, v43
	s_delay_alu instid0(VALU_DEP_1) | instskip(SKIP_1) | instid1(VALU_DEP_1)
	v_cndmask_b32_e64 v44, 1.0, v44, s6
	v_cmp_lt_i32_e64 s6, 4, v43
	v_cndmask_b32_e64 v46, 1.0, v46, s6
	s_delay_alu instid0(VALU_DEP_3) | instskip(SKIP_1) | instid1(VALU_DEP_2)
	v_dual_add_f32 v47, 0x40a00000, v42 :: v_dual_mul_f32 v44, v44, v45
	v_cmp_lt_i32_e64 s6, 5, v43
	v_dual_add_f32 v45, 0x40c00000, v42 :: v_dual_mul_f32 v44, v46, v44
	s_delay_alu instid0(VALU_DEP_2) | instskip(SKIP_2) | instid1(VALU_DEP_2)
	v_cndmask_b32_e64 v47, 1.0, v47, s6
	v_cmp_lt_i32_e64 s6, 6, v43
	v_fmaak_f32 v46, s21, v42, 0x3af135b4
	v_dual_cndmask_b32 v43, 1.0, v45, s6 :: v_dual_mul_f32 v44, v47, v44
	s_delay_alu instid0(VALU_DEP_1) | instskip(NEXT) | instid1(VALU_DEP_1)
	v_dual_mul_f32 v43, v43, v44 :: v_dual_fmaak_f32 v44, s22, v42, 0x3a4beed6
	v_cmp_gt_f32_e64 s6, 0x800000, v43
	s_delay_alu instid0(VALU_DEP_2) | instskip(NEXT) | instid1(VALU_DEP_2)
	v_fmaak_f32 v44, v42, v44, 0x3c98bf54
	v_cndmask_b32_e64 v45, 0, 32, s6
	s_delay_alu instid0(VALU_DEP_2) | instskip(NEXT) | instid1(VALU_DEP_2)
	v_fmaak_f32 v44, v42, v44, 0x3e300f6e
	v_ldexp_f32 v43, v43, v45
	v_fmaak_f32 v45, v42, v46, 0x3cda40e4
	s_delay_alu instid0(VALU_DEP_3) | instskip(NEXT) | instid1(VALU_DEP_3)
	v_fmaak_f32 v44, v42, v44, 0x3f38d0c5
	v_log_f32_e32 v43, v43
	s_delay_alu instid0(VALU_DEP_2) | instskip(NEXT) | instid1(VALU_DEP_2)
	v_fmaak_f32 v45, v42, v45, 0x3e15dce6
	v_fmaak_f32 v44, v42, v44, 0x3fb22d3b
	s_delay_alu instid0(VALU_DEP_2) | instskip(NEXT) | instid1(TRANS32_DEP_1)
	v_fmaak_f32 v45, v42, v45, 0x3ea6cc7a
	v_mul_f32_e32 v46, 0x3f317217, v43
	s_delay_alu instid0(VALU_DEP_3) | instskip(SKIP_1) | instid1(VALU_DEP_4)
	v_fma_f32 v44, v42, v44, 1.0
	v_cmp_gt_f32_e64 s7, 0x7f800000, |v43|
	v_fmaak_f32 v45, v42, v45, 0x3e5c245a
	s_delay_alu instid0(VALU_DEP_4) | instskip(NEXT) | instid1(VALU_DEP_4)
	v_fma_f32 v47, 0x3f317217, v43, -v46
	v_rcp_f32_e32 v44, v44
	s_delay_alu instid0(VALU_DEP_2) | instskip(NEXT) | instid1(VALU_DEP_1)
	v_fmaak_f32 v45, v42, v45, 0xbd9e233f
	v_mul_f32_e32 v45, v42, v45
	s_delay_alu instid0(TRANS32_DEP_1) | instid1(VALU_DEP_1)
	v_dual_fmac_f32 v47, 0x3377d1cf, v43 :: v_dual_mul_f32 v44, v45, v44
	v_cndmask_b32_e64 v45, 0, 0x41b17218, s6
	s_delay_alu instid0(VALU_DEP_2) | instskip(NEXT) | instid1(VALU_DEP_1)
	v_dual_add_f32 v46, v46, v47 :: v_dual_fmac_f32 v44, 0.5, v42
	v_cndmask_b32_e64 v43, v43, v46, s7
	s_delay_alu instid0(VALU_DEP_1) | instskip(NEXT) | instid1(VALU_DEP_1)
	v_sub_f32_e32 v42, v43, v45
	v_add_f32_e32 v42, v42, v44
.LBB10_293:                             ;   in Loop: Header=BB10_161 Depth=1
	s_or_b32 exec_lo, exec_lo, s31
.LBB10_294:                             ;   in Loop: Header=BB10_161 Depth=1
	s_and_not1_saveexec_b32 s30, s30
	s_cbranch_execz .LBB10_312
; %bb.295:                              ;   in Loop: Header=BB10_161 Depth=1
                                        ; implicit-def: $vgpr42
                                        ; implicit-def: $vgpr44
                                        ; implicit-def: $vgpr43
	s_mov_b32 s7, exec_lo
	v_cmpx_ge_f32_e64 0x3f666666, |v40|
	s_xor_b32 s31, exec_lo, s7
	s_cbranch_execz .LBB10_297
; %bb.296:                              ;   in Loop: Header=BB10_161 Depth=1
	v_cmp_gt_f32_e64 s7, 0x800000, |v40|
	v_sub_f32_e64 v45, 1.0, |v40|
	v_cmp_gt_f32_e64 s6, 0x3f3b4a23, |v40|
	s_delay_alu instid0(VALU_DEP_3) | instskip(SKIP_1) | instid1(VALU_DEP_2)
	v_cndmask_b32_e64 v42, 0, 32, s7
	v_cndmask_b32_e64 v46, 0, 0x41b17218, s7
	v_ldexp_f32 v42, |v40|, v42
	s_delay_alu instid0(VALU_DEP_1) | instskip(SKIP_1) | instid1(TRANS32_DEP_1)
	v_log_f32_e32 v42, v42
	v_nop
	v_mul_f32_e32 v43, 0x3f317217, v42
	v_cmp_gt_f32_e64 s7, 0x7f800000, |v42|
	s_delay_alu instid0(VALU_DEP_2) | instskip(NEXT) | instid1(VALU_DEP_1)
	v_fma_f32 v44, 0x3f317217, v42, -v43
	v_fmac_f32_e32 v44, 0x3377d1cf, v42
	s_delay_alu instid0(VALU_DEP_1) | instskip(SKIP_1) | instid1(VALU_DEP_1)
	v_add_f32_e32 v43, v43, v44
	v_add_f32_e64 v44, 0xbeec5b0c, |v40|
	v_dual_cndmask_b32 v42, v42, v43, s7 :: v_dual_cndmask_b32 v43, v45, v44, s6
	v_cndmask_b32_e64 v44, 0, 1, s6
	v_cmp_gt_f32_e64 s6, 0x3e6d3309, |v40|
	s_delay_alu instid0(VALU_DEP_3) | instskip(NEXT) | instid1(VALU_DEP_2)
	v_sub_f32_e32 v42, v42, v46
	v_cndmask_b32_e64 v43, v43, |v40|, s6
	s_delay_alu instid0(VALU_DEP_4) | instskip(NEXT) | instid1(VALU_DEP_3)
	v_cndmask_b32_e64 v44, v44, 2, s6
	v_xor_b32_e32 v42, 0x80000000, v42
.LBB10_297:                             ;   in Loop: Header=BB10_161 Depth=1
	s_and_not1_saveexec_b32 s7, s31
	s_cbranch_execz .LBB10_299
; %bb.298:                              ;   in Loop: Header=BB10_161 Depth=1
	v_sub_f32_e64 v42, 2.0, |v40|
	v_add_f32_e64 v43, 0xbfbb16c3, |v40|
	v_cmp_gt_f32_e64 s6, 0x3fdda512, |v40|
	v_add_f32_e64 v44, |v40|, -1.0
	s_delay_alu instid0(VALU_DEP_2) | instskip(SKIP_2) | instid1(VALU_DEP_2)
	v_cndmask_b32_e64 v43, v42, v43, s6
	v_cndmask_b32_e64 v42, v42, 1.0, s6
	v_cmp_gt_f32_e64 s6, 0x3f9d70a4, |v40|
	v_cvt_i32_f32_e32 v42, v42
	s_delay_alu instid0(VALU_DEP_2) | instskip(NEXT) | instid1(VALU_DEP_2)
	v_cndmask_b32_e64 v43, v43, v44, s6
	v_cndmask_b32_e64 v44, v42, 2, s6
	v_mov_b32_e32 v42, 0
.LBB10_299:                             ;   in Loop: Header=BB10_161 Depth=1
	s_or_b32 exec_lo, exec_lo, s7
	s_delay_alu instid0(SALU_CYCLE_1) | instskip(NEXT) | instid1(VALU_DEP_2)
	s_mov_b32 s7, exec_lo
	v_cmpx_lt_i32_e32 0, v44
	s_xor_b32 s7, exec_lo, s7
	s_cbranch_execz .LBB10_307
; %bb.300:                              ;   in Loop: Header=BB10_161 Depth=1
	s_mov_b32 s31, exec_lo
	v_cmpx_lt_i32_e32 1, v44
	s_xor_b32 s31, exec_lo, s31
	s_cbranch_execz .LBB10_304
; %bb.301:                              ;   in Loop: Header=BB10_161 Depth=1
	s_mov_b32 s33, exec_lo
	v_cmpx_eq_u32_e32 2, v44
	s_cbranch_execz .LBB10_303
; %bb.302:                              ;   in Loop: Header=BB10_161 Depth=1
	v_fmaak_f32 v45, s9, v43, 0x3e6a7578
	s_delay_alu instid0(VALU_DEP_1) | instskip(NEXT) | instid1(VALU_DEP_1)
	v_fmaak_f32 v45, v43, v45, 0x3f7a4bb2
	v_fmaak_f32 v45, v43, v45, 0x3fba3ae7
	s_delay_alu instid0(VALU_DEP_1) | instskip(NEXT) | instid1(VALU_DEP_1)
	v_fmaak_f32 v45, v43, v45, 0x3f2200f4
	v_fmaak_f32 v45, v43, v45, 0xbd9e233f
	s_delay_alu instid0(VALU_DEP_1) | instskip(NEXT) | instid1(VALU_DEP_1)
	v_dual_fmaak_f32 v44, s12, v43, 0x3dd572af :: v_dual_mul_f32 v45, v43, v45
	v_fmaak_f32 v44, v43, v44, 0x3f44efdf
	s_delay_alu instid0(VALU_DEP_1) | instskip(NEXT) | instid1(VALU_DEP_1)
	v_fmaak_f32 v44, v43, v44, 0x4008392d
	v_fmaak_f32 v44, v43, v44, 0x401d2ebe
	s_delay_alu instid0(VALU_DEP_1) | instskip(NEXT) | instid1(VALU_DEP_1)
	v_fma_f32 v44, v43, v44, 1.0
	v_rcp_f32_e32 v44, v44
	v_nop
	s_delay_alu instid0(TRANS32_DEP_1) | instskip(NEXT) | instid1(VALU_DEP_1)
	v_mul_f32_e32 v44, v45, v44
	v_fmac_f32_e32 v44, -0.5, v43
	s_delay_alu instid0(VALU_DEP_1)
	v_add_f32_e32 v42, v42, v44
.LBB10_303:                             ;   in Loop: Header=BB10_161 Depth=1
	s_or_b32 exec_lo, exec_lo, s33
                                        ; implicit-def: $vgpr43
.LBB10_304:                             ;   in Loop: Header=BB10_161 Depth=1
	s_and_not1_saveexec_b32 s6, s31
	s_cbranch_execz .LBB10_306
; %bb.305:                              ;   in Loop: Header=BB10_161 Depth=1
	v_mul_f32_e32 v44, v43, v43
	s_delay_alu instid0(VALU_DEP_1) | instskip(NEXT) | instid1(VALU_DEP_1)
	v_mul_f32_e32 v45, v43, v44
	v_fmaak_f32 v46, s23, v45, 0x3a66f867
	v_fmaak_f32 v47, s24, v45, 0xba0d3085
	s_delay_alu instid0(VALU_DEP_2) | instskip(NEXT) | instid1(VALU_DEP_2)
	v_fmaak_f32 v46, v45, v46, 0xbb7177fe
	v_fmaak_f32 v47, v45, v47, 0x3b141699
	s_delay_alu instid0(VALU_DEP_2) | instskip(NEXT) | instid1(VALU_DEP_2)
	v_fmaak_f32 v46, v45, v46, 0x3c93373d
	v_fmaak_f32 v47, v45, v47, 0xbc28fcfe
	s_delay_alu instid0(VALU_DEP_2) | instskip(NEXT) | instid1(VALU_DEP_2)
	v_fmaak_f32 v46, v45, v46, 0xbe17213c
	v_fmaak_f32 v47, v45, v47, 0x3d845a15
	s_delay_alu instid0(VALU_DEP_1) | instskip(SKIP_1) | instid1(VALU_DEP_1)
	v_fmac_f32_e32 v46, v43, v47
	v_fmaak_f32 v48, s13, v45, 0xbab7f476
	v_fmaak_f32 v48, v45, v48, 0x3bc7e707
	s_delay_alu instid0(VALU_DEP_1) | instskip(NEXT) | instid1(VALU_DEP_1)
	v_fmaak_f32 v48, v45, v48, 0xbd064d47
	v_fmaak_f32 v43, v45, v48, 0x3ef7b95e
	v_fma_f32 v45, v45, -v46, 0xa2863e55
	s_delay_alu instid0(VALU_DEP_1) | instskip(NEXT) | instid1(VALU_DEP_1)
	v_fma_f32 v43, v44, v43, -v45
	v_add_f32_e32 v43, 0xbdf8cdce, v43
	s_delay_alu instid0(VALU_DEP_1)
	v_add_f32_e32 v42, v42, v43
.LBB10_306:                             ;   in Loop: Header=BB10_161 Depth=1
	s_or_b32 exec_lo, exec_lo, s6
                                        ; implicit-def: $vgpr44
                                        ; implicit-def: $vgpr43
.LBB10_307:                             ;   in Loop: Header=BB10_161 Depth=1
	s_and_not1_saveexec_b32 s7, s7
	s_cbranch_execz .LBB10_311
; %bb.308:                              ;   in Loop: Header=BB10_161 Depth=1
	s_mov_b32 s31, exec_lo
	v_cmpx_eq_u32_e32 0, v44
	s_cbranch_execz .LBB10_310
; %bb.309:                              ;   in Loop: Header=BB10_161 Depth=1
	v_mul_f32_e32 v44, v43, v43
	s_delay_alu instid0(VALU_DEP_1) | instskip(NEXT) | instid1(VALU_DEP_1)
	v_fmaak_f32 v46, s25, v44, 0x39679767
	v_fmaak_f32 v46, v44, v46, 0x3a9c54a1
	s_delay_alu instid0(VALU_DEP_1) | instskip(NEXT) | instid1(VALU_DEP_1)
	v_fmaak_f32 v46, v44, v46, 0x3bf2027e
	v_fmaak_f32 v46, v44, v46, 0x3d89f001
	s_delay_alu instid0(VALU_DEP_1) | instskip(SKIP_1) | instid1(VALU_DEP_1)
	v_fmaak_f32 v46, v44, v46, 0x3d9e233f
	v_fmaak_f32 v45, s26, v44, 0x38e28445
	;; [unrolled: 1-line block ×3, first 2 shown]
	s_delay_alu instid0(VALU_DEP_1) | instskip(NEXT) | instid1(VALU_DEP_1)
	v_fmaak_f32 v45, v44, v45, 0x3b3d6ec6
	v_fmaak_f32 v45, v44, v45, 0x3ca89915
	s_delay_alu instid0(VALU_DEP_1) | instskip(NEXT) | instid1(VALU_DEP_1)
	v_fmaak_f32 v45, v44, v45, 0x3ea51a66
	v_mul_f32_e32 v44, v44, v45
	s_delay_alu instid0(VALU_DEP_1) | instskip(NEXT) | instid1(VALU_DEP_1)
	v_fmac_f32_e32 v44, v43, v46
	v_fmac_f32_e32 v44, -0.5, v43
	s_delay_alu instid0(VALU_DEP_1)
	v_add_f32_e32 v42, v42, v44
.LBB10_310:                             ;   in Loop: Header=BB10_161 Depth=1
	s_or_b32 exec_lo, exec_lo, s31
.LBB10_311:                             ;   in Loop: Header=BB10_161 Depth=1
	s_delay_alu instid0(SALU_CYCLE_1)
	s_or_b32 exec_lo, exec_lo, s7
.LBB10_312:                             ;   in Loop: Header=BB10_161 Depth=1
	s_delay_alu instid0(SALU_CYCLE_1)
	s_or_b32 exec_lo, exec_lo, s30
.LBB10_313:                             ;   in Loop: Header=BB10_161 Depth=1
	s_and_not1_saveexec_b32 s7, s8
	s_cbranch_execz .LBB10_315
; %bb.314:                              ;   in Loop: Header=BB10_161 Depth=1
	v_cmp_gt_f32_e64 s8, 0x800000, |v40|
	v_fma_f32 v45, |v40|, s27, 0xbecd26ab
	s_delay_alu instid0(VALU_DEP_2) | instskip(NEXT) | instid1(VALU_DEP_1)
	v_cndmask_b32_e64 v42, 0, 32, s8
	v_ldexp_f32 v42, |v40|, v42
	s_delay_alu instid0(VALU_DEP_1) | instskip(SKIP_1) | instid1(TRANS32_DEP_1)
	v_log_f32_e32 v42, v42
	v_nop
	v_mul_f32_e32 v43, 0x3f317217, v42
	v_cmp_gt_f32_e64 s6, 0x7f800000, |v42|
	s_delay_alu instid0(VALU_DEP_2) | instskip(NEXT) | instid1(VALU_DEP_1)
	v_fma_f32 v44, 0x3f317217, v42, -v43
	v_fmac_f32_e32 v44, 0x3377d1cf, v42
	s_delay_alu instid0(VALU_DEP_1) | instskip(SKIP_1) | instid1(VALU_DEP_2)
	v_add_f32_e32 v43, v43, v44
	v_fma_f32 v44, |v40|, v45, 0x3f528d33
	v_cndmask_b32_e64 v42, v42, v43, s6
	v_cndmask_b32_e64 v43, 0, 0x41b17218, s8
	s_delay_alu instid0(VALU_DEP_3) | instskip(NEXT) | instid1(VALU_DEP_2)
	v_fma_f32 v44, |v40|, v44, 0xbf13c468
	v_sub_f32_e32 v42, v42, v43
	s_delay_alu instid0(VALU_DEP_1)
	v_fma_f32 v42, |v40|, v44, -v42
.LBB10_315:                             ;   in Loop: Header=BB10_161 Depth=1
	s_or_b32 exec_lo, exec_lo, s7
	v_cmp_le_f16_e64 s6, 0, v31
	s_mov_b32 s8, exec_lo
	v_cmpx_nle_f16_e32 0, v31
	s_xor_b32 s30, exec_lo, s8
	s_cbranch_execnz .LBB10_321
; %bb.316:                              ;   in Loop: Header=BB10_161 Depth=1
	s_and_not1_saveexec_b32 s30, s30
	s_cbranch_execnz .LBB10_324
.LBB10_317:                             ;   in Loop: Header=BB10_161 Depth=1
	s_or_b32 exec_lo, exec_lo, s30
	s_and_saveexec_b32 s7, s2
	s_delay_alu instid0(SALU_CYCLE_1)
	s_xor_b32 s7, exec_lo, s7
	s_cbranch_execnz .LBB10_325
.LBB10_318:                             ;   in Loop: Header=BB10_161 Depth=1
	s_or_b32 exec_lo, exec_lo, s7
	s_and_saveexec_b32 s2, s1
	s_cbranch_execnz .LBB10_326
.LBB10_319:                             ;   in Loop: Header=BB10_161 Depth=1
	s_or_b32 exec_lo, exec_lo, s2
	s_and_saveexec_b32 s1, s0
	s_cbranch_execnz .LBB10_327
.LBB10_320:                             ;   in Loop: Header=BB10_161 Depth=1
	s_or_b32 exec_lo, exec_lo, s1
	s_and_saveexec_b32 s0, vcc_lo
	s_cbranch_execz .LBB10_160
	s_branch .LBB10_328
.LBB10_321:                             ;   in Loop: Header=BB10_161 Depth=1
	v_cmp_gt_f32_e64 s7, 0x4b000000, |v40|
	v_cmp_lt_f32_e64 s8, 0x35000000, |v40|
	s_and_b32 s7, s7, s8
	s_delay_alu instid0(SALU_CYCLE_1)
	s_and_saveexec_b32 s31, s7
	s_cbranch_execz .LBB10_323
; %bb.322:                              ;   in Loop: Header=BB10_161 Depth=1
	v_mul_f32_e64 v43, |v40|, 0.5
	v_xor_b32_e32 v41, v41, v40
	s_delay_alu instid0(VALU_DEP_2) | instskip(SKIP_1) | instid1(VALU_DEP_2)
	v_floor_f32_e32 v44, v43
	v_cmp_neq_f32_e64 s7, 0x7f800000, v43
	v_sub_f32_e32 v44, v43, v44
	s_delay_alu instid0(VALU_DEP_1) | instskip(NEXT) | instid1(VALU_DEP_1)
	v_min_num_f32_e32 v44, 0x3f7fffff, v44
	v_add_f32_e32 v44, v44, v44
	s_delay_alu instid0(VALU_DEP_1) | instskip(SKIP_1) | instid1(VALU_DEP_1)
	v_cndmask_b32_e64 v43, 0, v44, s7
	v_cmp_gt_f32_e64 s7, |v40|, 1.0
	v_cndmask_b32_e64 v43, |v40|, v43, s7
	s_delay_alu instid0(VALU_DEP_1) | instskip(NEXT) | instid1(VALU_DEP_1)
	v_add_f32_e32 v44, v43, v43
	v_rndne_f32_e32 v44, v44
	s_delay_alu instid0(VALU_DEP_1) | instskip(SKIP_1) | instid1(VALU_DEP_2)
	v_fmac_f32_e32 v43, -0.5, v44
	v_cvt_i32_f32_e32 v44, v44
	v_mul_f32_e32 v45, v43, v43
	s_delay_alu instid0(VALU_DEP_1) | instskip(SKIP_1) | instid1(VALU_DEP_2)
	v_fmaak_f32 v46, s28, v45, 0xbf1f24be
	v_dual_fmaak_f32 v47, s29, v45, 0x3e642e9d :: v_dual_mul_f32 v48, v43, v45
	v_fmaak_f32 v46, v45, v46, 0x40234736
	s_delay_alu instid0(VALU_DEP_2) | instskip(NEXT) | instid1(VALU_DEP_2)
	v_fmaak_f32 v47, v45, v47, 0xbfaad1da
	v_fmaak_f32 v46, v45, v46, 0xc0a55e0e
	s_delay_alu instid0(VALU_DEP_1) | instskip(NEXT) | instid1(VALU_DEP_1)
	v_mul_f32_e32 v46, v48, v46
	v_fmac_f32_e32 v46, 0x40490fdb, v43
	v_dual_lshlrev_b32 v44, 30, v44 :: v_dual_bitop2_b32 v48, 1, v44 bitop3:0x40
	v_fmaak_f32 v47, v45, v47, 0x4081e0d3
	s_delay_alu instid0(VALU_DEP_2) | instskip(NEXT) | instid1(VALU_DEP_3)
	v_cmp_eq_u32_e64 s7, 0, v48
	v_and_b32_e32 v44, 0x80000000, v44
	s_delay_alu instid0(VALU_DEP_3) | instskip(NEXT) | instid1(VALU_DEP_1)
	v_fmaak_f32 v47, v45, v47, 0xc09de9e6
	v_fma_f32 v43, v45, v47, 1.0
	s_delay_alu instid0(VALU_DEP_1) | instskip(NEXT) | instid1(VALU_DEP_1)
	v_cndmask_b32_e64 v43, v43, v46, s7
	v_xor3_b32 v41, v41, v44, v43
	s_delay_alu instid0(VALU_DEP_1) | instskip(NEXT) | instid1(VALU_DEP_1)
	v_mul_f32_e32 v41, v40, v41
	v_frexp_mant_f32_e64 v43, |v41|
	v_frexp_exp_i32_f32_e32 v41, v41
	s_delay_alu instid0(VALU_DEP_2) | instskip(NEXT) | instid1(VALU_DEP_1)
	v_rcp_f32_e32 v43, v43
	v_sub_nc_u32_e32 v41, 2, v41
	s_delay_alu instid0(TRANS32_DEP_1) | instskip(NEXT) | instid1(VALU_DEP_1)
	v_mul_f32_e32 v43, 0x3f490fdb, v43
	v_ldexp_f32 v41, v43, v41
	s_delay_alu instid0(VALU_DEP_1) | instskip(NEXT) | instid1(VALU_DEP_1)
	v_cmp_gt_f32_e64 s7, 0x800000, v41
	v_cndmask_b32_e64 v43, 0, 32, s7
	s_delay_alu instid0(VALU_DEP_1) | instskip(NEXT) | instid1(VALU_DEP_1)
	v_ldexp_f32 v41, v41, v43
	v_log_f32_e32 v41, v41
	v_nop
	s_delay_alu instid0(TRANS32_DEP_1) | instskip(SKIP_1) | instid1(VALU_DEP_2)
	v_mul_f32_e32 v43, 0x3f317217, v41
	v_cmp_gt_f32_e64 s8, 0x7f800000, |v41|
	v_fma_f32 v44, 0x3f317217, v41, -v43
	s_delay_alu instid0(VALU_DEP_1) | instskip(NEXT) | instid1(VALU_DEP_1)
	v_fmac_f32_e32 v44, 0x3377d1cf, v41
	v_add_f32_e32 v43, v43, v44
	v_floor_f32_e32 v44, v40
	s_delay_alu instid0(VALU_DEP_2) | instskip(SKIP_1) | instid1(VALU_DEP_1)
	v_cndmask_b32_e64 v41, v41, v43, s8
	v_cndmask_b32_e64 v43, 0, 0x41b17218, s7
	v_dual_sub_f32 v44, v40, v44 :: v_dual_sub_f32 v41, v41, v43
	s_delay_alu instid0(VALU_DEP_1) | instskip(NEXT) | instid1(VALU_DEP_2)
	v_min_num_f32_e32 v43, 0x3f7fffff, v44
	v_sub_f32_e32 v41, v41, v42
	s_delay_alu instid0(VALU_DEP_2) | instskip(NEXT) | instid1(VALU_DEP_1)
	v_cmp_neq_f32_e64 s7, 0, v43
	v_cndmask_b32_e64 v42, 0x7f800000, v41, s7
.LBB10_323:                             ;   in Loop: Header=BB10_161 Depth=1
	s_or_b32 exec_lo, exec_lo, s31
	s_and_not1_saveexec_b32 s30, s30
	s_cbranch_execz .LBB10_317
.LBB10_324:                             ;   in Loop: Header=BB10_161 Depth=1
	v_cmp_eq_f16_e64 s7, 1.0, v31
	v_cmp_eq_f16_e64 s8, 2.0, v31
	s_or_b32 s7, s7, s8
	s_delay_alu instid0(SALU_CYCLE_1) | instskip(SKIP_2) | instid1(SALU_CYCLE_1)
	v_cndmask_b32_e64 v42, v42, 0, s7
	s_or_b32 exec_lo, exec_lo, s30
	s_and_saveexec_b32 s7, s2
	s_xor_b32 s7, exec_lo, s7
	s_cbranch_execz .LBB10_318
.LBB10_325:                             ;   in Loop: Header=BB10_161 Depth=1
	v_cmp_gt_f32_e64 s2, 0x4b000000, |v34|
	v_cvt_f16_f32_e32 v35, v35
	s_or_b32 s2, s3, s2
	s_delay_alu instid0(VALU_DEP_1) | instid1(SALU_CYCLE_1)
	v_cndmask_b32_e64 v35, 0x7c00, v35, s2
	v_cmp_class_f32_e64 s2, v34, 0x264
	s_delay_alu instid0(VALU_DEP_1) | instskip(SKIP_2) | instid1(VALU_DEP_2)
	v_cndmask_b32_e64 v41, v35, 0x7c00, s2
	v_cmp_u_f16_e64 s2, v33, v33
	v_add_nc_u64_e32 v[34:35], s[10:11], v[8:9]
	v_cndmask_b32_e64 v33, v41, v33, s2
	global_store_b16 v[34:35], v33, off
	s_wait_xcnt 0x0
	s_or_b32 exec_lo, exec_lo, s7
	s_and_saveexec_b32 s2, s1
	s_cbranch_execz .LBB10_319
.LBB10_326:                             ;   in Loop: Header=BB10_161 Depth=1
	v_cmp_gt_f32_e64 s1, 0x4b000000, |v36|
	v_cvt_f16_f32_e32 v33, v37
	v_add_nc_u64_e32 v[34:35], s[10:11], v[26:27]
	s_or_b32 s1, s4, s1
	s_delay_alu instid0(VALU_DEP_2) | instid1(SALU_CYCLE_1)
	v_cndmask_b32_e64 v33, 0x7c00, v33, s1
	v_cmp_class_f32_e64 s1, v36, 0x264
	s_delay_alu instid0(VALU_DEP_1) | instskip(SKIP_1) | instid1(VALU_DEP_1)
	v_cndmask_b32_e64 v33, v33, 0x7c00, s1
	v_cmp_u_f16_e64 s1, v32, v32
	v_cndmask_b32_e64 v32, v33, v32, s1
	global_store_b16 v[34:35], v32, off
	s_wait_xcnt 0x0
	s_or_b32 exec_lo, exec_lo, s2
	s_and_saveexec_b32 s1, s0
	s_cbranch_execz .LBB10_320
.LBB10_327:                             ;   in Loop: Header=BB10_161 Depth=1
	v_cmp_gt_f32_e64 s0, 0x4b000000, |v38|
	v_cvt_f16_f32_e32 v32, v39
	s_or_b32 s0, s5, s0
	s_delay_alu instid0(VALU_DEP_1) | instid1(SALU_CYCLE_1)
	v_cndmask_b32_e64 v32, 0x7c00, v32, s0
	v_cmp_class_f32_e64 s0, v38, 0x264
	s_delay_alu instid0(VALU_DEP_1) | instskip(SKIP_2) | instid1(VALU_DEP_2)
	v_cndmask_b32_e64 v34, v32, 0x7c00, s0
	v_cmp_u_f16_e64 s0, v30, v30
	v_add_nc_u64_e32 v[32:33], s[10:11], v[18:19]
	v_cndmask_b32_e64 v30, v34, v30, s0
	global_store_b16 v[32:33], v30, off
	s_wait_xcnt 0x0
	s_or_b32 exec_lo, exec_lo, s1
	s_and_saveexec_b32 s0, vcc_lo
	s_cbranch_execz .LBB10_160
.LBB10_328:                             ;   in Loop: Header=BB10_161 Depth=1
	v_cmp_gt_f32_e64 s1, 0x4b000000, |v40|
	v_cvt_f16_f32_e32 v30, v42
	v_add_nc_u64_e32 v[32:33], s[10:11], v[22:23]
	s_or_b32 vcc_lo, s6, s1
	v_cmp_class_f32_e64 s1, v40, 0x264
	s_delay_alu instid0(VALU_DEP_3) | instskip(SKIP_1) | instid1(VALU_DEP_2)
	v_cndmask_b32_e32 v30, 0x7c00, v30, vcc_lo
	v_cmp_u_f16_e32 vcc_lo, v31, v31
	v_cndmask_b32_e64 v30, v30, 0x7c00, s1
	s_delay_alu instid0(VALU_DEP_1)
	v_cndmask_b32_e32 v30, v30, v31, vcc_lo
	global_store_b16 v[32:33], v30, off
	s_branch .LBB10_160
.LBB10_329:
	s_endpgm
	.section	.rodata,"a",@progbits
	.p2align	6, 0x0
	.amdhsa_kernel _ZN2at6native12_GLOBAL__N_125multi_tensor_apply_kernelINS1_18TensorListMetadataILi2EEENS1_14UnaryOpFunctorIN3c104HalfELi2ELi1ELi1EEEJNS0_6LgammaIfEEEEEvT_T0_DpT1_
		.amdhsa_group_segment_fixed_size 0
		.amdhsa_private_segment_fixed_size 0
		.amdhsa_kernarg_size 3408
		.amdhsa_user_sgpr_count 2
		.amdhsa_user_sgpr_dispatch_ptr 0
		.amdhsa_user_sgpr_queue_ptr 0
		.amdhsa_user_sgpr_kernarg_segment_ptr 1
		.amdhsa_user_sgpr_dispatch_id 0
		.amdhsa_user_sgpr_kernarg_preload_length 0
		.amdhsa_user_sgpr_kernarg_preload_offset 0
		.amdhsa_user_sgpr_private_segment_size 0
		.amdhsa_wavefront_size32 1
		.amdhsa_uses_dynamic_stack 0
		.amdhsa_enable_private_segment 0
		.amdhsa_system_sgpr_workgroup_id_x 1
		.amdhsa_system_sgpr_workgroup_id_y 0
		.amdhsa_system_sgpr_workgroup_id_z 0
		.amdhsa_system_sgpr_workgroup_info 0
		.amdhsa_system_vgpr_workitem_id 0
		.amdhsa_next_free_vgpr 49
		.amdhsa_next_free_sgpr 38
		.amdhsa_named_barrier_count 0
		.amdhsa_reserve_vcc 1
		.amdhsa_float_round_mode_32 0
		.amdhsa_float_round_mode_16_64 0
		.amdhsa_float_denorm_mode_32 3
		.amdhsa_float_denorm_mode_16_64 3
		.amdhsa_fp16_overflow 0
		.amdhsa_memory_ordered 1
		.amdhsa_forward_progress 1
		.amdhsa_inst_pref_size 176
		.amdhsa_round_robin_scheduling 0
		.amdhsa_exception_fp_ieee_invalid_op 0
		.amdhsa_exception_fp_denorm_src 0
		.amdhsa_exception_fp_ieee_div_zero 0
		.amdhsa_exception_fp_ieee_overflow 0
		.amdhsa_exception_fp_ieee_underflow 0
		.amdhsa_exception_fp_ieee_inexact 0
		.amdhsa_exception_int_div_zero 0
	.end_amdhsa_kernel
	.section	.text._ZN2at6native12_GLOBAL__N_125multi_tensor_apply_kernelINS1_18TensorListMetadataILi2EEENS1_14UnaryOpFunctorIN3c104HalfELi2ELi1ELi1EEEJNS0_6LgammaIfEEEEEvT_T0_DpT1_,"axG",@progbits,_ZN2at6native12_GLOBAL__N_125multi_tensor_apply_kernelINS1_18TensorListMetadataILi2EEENS1_14UnaryOpFunctorIN3c104HalfELi2ELi1ELi1EEEJNS0_6LgammaIfEEEEEvT_T0_DpT1_,comdat
.Lfunc_end10:
	.size	_ZN2at6native12_GLOBAL__N_125multi_tensor_apply_kernelINS1_18TensorListMetadataILi2EEENS1_14UnaryOpFunctorIN3c104HalfELi2ELi1ELi1EEEJNS0_6LgammaIfEEEEEvT_T0_DpT1_, .Lfunc_end10-_ZN2at6native12_GLOBAL__N_125multi_tensor_apply_kernelINS1_18TensorListMetadataILi2EEENS1_14UnaryOpFunctorIN3c104HalfELi2ELi1ELi1EEEJNS0_6LgammaIfEEEEEvT_T0_DpT1_
                                        ; -- End function
	.set _ZN2at6native12_GLOBAL__N_125multi_tensor_apply_kernelINS1_18TensorListMetadataILi2EEENS1_14UnaryOpFunctorIN3c104HalfELi2ELi1ELi1EEEJNS0_6LgammaIfEEEEEvT_T0_DpT1_.num_vgpr, 49
	.set _ZN2at6native12_GLOBAL__N_125multi_tensor_apply_kernelINS1_18TensorListMetadataILi2EEENS1_14UnaryOpFunctorIN3c104HalfELi2ELi1ELi1EEEJNS0_6LgammaIfEEEEEvT_T0_DpT1_.num_agpr, 0
	.set _ZN2at6native12_GLOBAL__N_125multi_tensor_apply_kernelINS1_18TensorListMetadataILi2EEENS1_14UnaryOpFunctorIN3c104HalfELi2ELi1ELi1EEEJNS0_6LgammaIfEEEEEvT_T0_DpT1_.numbered_sgpr, 38
	.set _ZN2at6native12_GLOBAL__N_125multi_tensor_apply_kernelINS1_18TensorListMetadataILi2EEENS1_14UnaryOpFunctorIN3c104HalfELi2ELi1ELi1EEEJNS0_6LgammaIfEEEEEvT_T0_DpT1_.num_named_barrier, 0
	.set _ZN2at6native12_GLOBAL__N_125multi_tensor_apply_kernelINS1_18TensorListMetadataILi2EEENS1_14UnaryOpFunctorIN3c104HalfELi2ELi1ELi1EEEJNS0_6LgammaIfEEEEEvT_T0_DpT1_.private_seg_size, 0
	.set _ZN2at6native12_GLOBAL__N_125multi_tensor_apply_kernelINS1_18TensorListMetadataILi2EEENS1_14UnaryOpFunctorIN3c104HalfELi2ELi1ELi1EEEJNS0_6LgammaIfEEEEEvT_T0_DpT1_.uses_vcc, 1
	.set _ZN2at6native12_GLOBAL__N_125multi_tensor_apply_kernelINS1_18TensorListMetadataILi2EEENS1_14UnaryOpFunctorIN3c104HalfELi2ELi1ELi1EEEJNS0_6LgammaIfEEEEEvT_T0_DpT1_.uses_flat_scratch, 0
	.set _ZN2at6native12_GLOBAL__N_125multi_tensor_apply_kernelINS1_18TensorListMetadataILi2EEENS1_14UnaryOpFunctorIN3c104HalfELi2ELi1ELi1EEEJNS0_6LgammaIfEEEEEvT_T0_DpT1_.has_dyn_sized_stack, 0
	.set _ZN2at6native12_GLOBAL__N_125multi_tensor_apply_kernelINS1_18TensorListMetadataILi2EEENS1_14UnaryOpFunctorIN3c104HalfELi2ELi1ELi1EEEJNS0_6LgammaIfEEEEEvT_T0_DpT1_.has_recursion, 0
	.set _ZN2at6native12_GLOBAL__N_125multi_tensor_apply_kernelINS1_18TensorListMetadataILi2EEENS1_14UnaryOpFunctorIN3c104HalfELi2ELi1ELi1EEEJNS0_6LgammaIfEEEEEvT_T0_DpT1_.has_indirect_call, 0
	.section	.AMDGPU.csdata,"",@progbits
; Kernel info:
; codeLenInByte = 22404
; TotalNumSgprs: 40
; NumVgprs: 49
; ScratchSize: 0
; MemoryBound: 0
; FloatMode: 240
; IeeeMode: 1
; LDSByteSize: 0 bytes/workgroup (compile time only)
; SGPRBlocks: 0
; VGPRBlocks: 3
; NumSGPRsForWavesPerEU: 40
; NumVGPRsForWavesPerEU: 49
; NamedBarCnt: 0
; Occupancy: 16
; WaveLimiterHint : 0
; COMPUTE_PGM_RSRC2:SCRATCH_EN: 0
; COMPUTE_PGM_RSRC2:USER_SGPR: 2
; COMPUTE_PGM_RSRC2:TRAP_HANDLER: 0
; COMPUTE_PGM_RSRC2:TGID_X_EN: 1
; COMPUTE_PGM_RSRC2:TGID_Y_EN: 0
; COMPUTE_PGM_RSRC2:TGID_Z_EN: 0
; COMPUTE_PGM_RSRC2:TIDIG_COMP_CNT: 0
	.section	.text._ZN2at6native12_GLOBAL__N_125multi_tensor_apply_kernelINS1_18TensorListMetadataILi2EEENS1_14UnaryOpFunctorIN3c108BFloat16ELi2ELi1ELi1EEEJNS0_6LgammaIfEEEEEvT_T0_DpT1_,"axG",@progbits,_ZN2at6native12_GLOBAL__N_125multi_tensor_apply_kernelINS1_18TensorListMetadataILi2EEENS1_14UnaryOpFunctorIN3c108BFloat16ELi2ELi1ELi1EEEJNS0_6LgammaIfEEEEEvT_T0_DpT1_,comdat
	.globl	_ZN2at6native12_GLOBAL__N_125multi_tensor_apply_kernelINS1_18TensorListMetadataILi2EEENS1_14UnaryOpFunctorIN3c108BFloat16ELi2ELi1ELi1EEEJNS0_6LgammaIfEEEEEvT_T0_DpT1_ ; -- Begin function _ZN2at6native12_GLOBAL__N_125multi_tensor_apply_kernelINS1_18TensorListMetadataILi2EEENS1_14UnaryOpFunctorIN3c108BFloat16ELi2ELi1ELi1EEEJNS0_6LgammaIfEEEEEvT_T0_DpT1_
	.p2align	8
	.type	_ZN2at6native12_GLOBAL__N_125multi_tensor_apply_kernelINS1_18TensorListMetadataILi2EEENS1_14UnaryOpFunctorIN3c108BFloat16ELi2ELi1ELi1EEEJNS0_6LgammaIfEEEEEvT_T0_DpT1_,@function
_ZN2at6native12_GLOBAL__N_125multi_tensor_apply_kernelINS1_18TensorListMetadataILi2EEENS1_14UnaryOpFunctorIN3c108BFloat16ELi2ELi1ELi1EEEJNS0_6LgammaIfEEEEEvT_T0_DpT1_: ; @_ZN2at6native12_GLOBAL__N_125multi_tensor_apply_kernelINS1_18TensorListMetadataILi2EEENS1_14UnaryOpFunctorIN3c108BFloat16ELi2ELi1ELi1EEEJNS0_6LgammaIfEEEEEvT_T0_DpT1_
; %bb.0:
	s_bfe_u32 s2, ttmp6, 0x4000c
	s_and_b32 s3, ttmp6, 15
	s_add_co_i32 s2, s2, 1
	s_getreg_b32 s4, hwreg(HW_REG_IB_STS2, 6, 4)
	s_mul_i32 s2, ttmp9, s2
	s_delay_alu instid0(SALU_CYCLE_1)
	s_add_co_i32 s3, s3, s2
	s_cmp_eq_u32 s4, 0
	s_cselect_b32 s2, ttmp9, s3
	s_mov_b32 s3, 0
	s_load_u8 s10, s[0:1], s2 offset:0x600
	s_add_nc_u64 s[4:5], s[0:1], s[2:3]
	s_mul_u64 s[6:7], s[2:3], 3
	s_delay_alu instid0(SALU_CYCLE_1)
	s_add_nc_u64 s[4:5], s[4:5], s[6:7]
	s_load_b32 s6, s[4:5], 0x740
	s_wait_kmcnt 0x0
	s_clause 0x2
	s_load_b64 s[8:9], s[0:1], s10 offset:0x0 scale_offset
	s_load_b64 s[12:13], s[0:1], s10 offset:0x200 scale_offset
	s_load_b64 s[14:15], s[0:1], s10 offset:0x400 scale_offset
	s_mov_b32 s5, s3
	s_ashr_i32 s7, s6, 31
	s_wait_xcnt 0x0
	s_lshl_b64 s[10:11], s[6:7], 17
	s_wait_kmcnt 0x0
	s_and_b64 s[18:19], s[12:13], 7
	s_add_nc_u64 s[16:17], s[8:9], s[10:11]
	s_and_b32 s4, s14, 3
	s_and_b32 s2, s16, 7
	s_or_b64 s[4:5], s[18:19], s[4:5]
	s_lshl_b64 s[6:7], s[6:7], 16
	s_or_b64 s[2:3], s[4:5], s[2:3]
	s_sub_nc_u64 s[14:15], s[14:15], s[6:7]
	s_cmp_eq_u64 s[2:3], 0
	s_mov_b32 s2, -1
	s_cbranch_scc0 .LBB11_157
; %bb.1:
	v_min_i64 v[2:3], 0x10000, s[14:15]
	v_dual_mov_b32 v7, 0 :: v_dual_lshlrev_b32 v6, 2, v0
	s_mov_b32 s7, exec_lo
	s_delay_alu instid0(VALU_DEP_1)
	v_cmpx_lt_i64_e64 v[6:7], v[2:3]
	s_cbranch_execz .LBB11_156
; %bb.2:
	s_load_b32 s2, s[0:1], 0xc5c
	v_dual_mov_b32 v1, v7 :: v_dual_lshlrev_b32 v6, 3, v0
	v_mov_b64_e32 v[4:5], 0x4040000040000000
	s_mov_b32 s17, 0
	s_mov_b32 s20, 0xbad5c4e8
	s_delay_alu instid0(VALU_DEP_2)
	v_mov_b64_e32 v[8:9], v[0:1]
	v_add_nc_u64_e32 v[6:7], s[10:11], v[6:7]
	s_mov_b32 s21, 0x3805ff67
	s_mov_b32 s22, 0x36f5d7bd
	;; [unrolled: 1-line block ×12, first 2 shown]
	s_wait_kmcnt 0x0
	s_and_b32 s16, s2, 0xffff
	s_mov_b32 s19, s17
	s_lshl_b32 s18, s16, 3
	s_mov_b32 s34, s17
	s_branch .LBB11_4
.LBB11_3:                               ;   in Loop: Header=BB11_4 Depth=1
	s_or_b32 exec_lo, exec_lo, s35
	v_cmp_gt_f32_e64 s5, 0x4b000000, |v10|
	v_cmp_gt_f32_e64 s6, 0x4b000000, |v13|
	;; [unrolled: 1-line block ×3, first 2 shown]
	v_add_nc_u64_e32 v[8:9], s[16:17], v[8:9]
	s_or_b32 s3, s3, s5
	s_or_b32 s2, s2, s6
	v_cndmask_b32_e64 v15, 0x7f800000, v15, s3
	v_cmp_gt_f32_e64 s3, 0x4b000000, |v11|
	v_cndmask_b32_e64 v14, 0x7f800000, v14, s2
	v_cmp_class_f32_e64 s2, v10, 0x264
	s_or_b32 vcc_lo, vcc_lo, s35
	v_cndmask_b32_e32 v12, 0x7f800000, v12, vcc_lo
	s_or_b32 vcc_lo, s4, s3
	v_cndmask_b32_e64 v15, v15, 0x7f800000, s2
	v_cndmask_b32_e32 v16, 0x7f800000, v17, vcc_lo
	v_cmp_u_f32_e32 vcc_lo, v10, v10
	v_cmp_class_f32_e64 s2, v13, 0x264
	s_delay_alu instid0(VALU_DEP_4) | instskip(NEXT) | instid1(VALU_DEP_2)
	v_cndmask_b32_e32 v15, v15, v10, vcc_lo
	v_cndmask_b32_e64 v10, v14, 0x7f800000, s2
	v_cmp_class_f32_e64 s2, v1, 0x264
	v_cmp_u_f32_e32 vcc_lo, v13, v13
	s_delay_alu instid0(VALU_DEP_2) | instskip(SKIP_3) | instid1(VALU_DEP_3)
	v_cndmask_b32_e64 v12, v12, 0x7f800000, s2
	v_cmp_class_f32_e64 s2, v11, 0x264
	v_cndmask_b32_e32 v10, v10, v13, vcc_lo
	v_cmp_u_f32_e32 vcc_lo, v1, v1
	v_cndmask_b32_e64 v14, v16, 0x7f800000, s2
	s_delay_alu instid0(VALU_DEP_3) | instskip(SKIP_2) | instid1(VALU_DEP_3)
	v_bfe_u32 v13, v10, 16, 1
	v_cndmask_b32_e32 v1, v12, v1, vcc_lo
	v_cmp_u_f32_e32 vcc_lo, v11, v11
	v_add3_u32 v13, v10, v13, 0x7fff
	v_cndmask_b32_e32 v12, v14, v11, vcc_lo
	v_bfe_u32 v11, v15, 16, 1
	v_bfe_u32 v14, v1, 16, 1
	v_cmp_o_f32_e32 vcc_lo, v10, v10
	s_delay_alu instid0(VALU_DEP_4) | instskip(NEXT) | instid1(VALU_DEP_4)
	v_bfe_u32 v16, v12, 16, 1
	v_add3_u32 v11, v15, v11, 0x7fff
	s_delay_alu instid0(VALU_DEP_4) | instskip(NEXT) | instid1(VALU_DEP_3)
	v_add3_u32 v14, v1, v14, 0x7fff
	v_add3_u32 v16, v12, v16, 0x7fff
	s_delay_alu instid0(VALU_DEP_3) | instskip(SKIP_1) | instid1(VALU_DEP_4)
	v_lshrrev_b32_e32 v17, 16, v11
	v_and_b32_e32 v11, 0xffff0000, v13
	v_lshrrev_b32_e32 v13, 16, v14
	s_delay_alu instid0(VALU_DEP_4) | instskip(NEXT) | instid1(VALU_DEP_3)
	v_and_b32_e32 v14, 0xffff0000, v16
	v_cndmask_b32_e32 v16, 0x7fc00000, v11, vcc_lo
	v_cmp_o_f32_e32 vcc_lo, v1, v1
	v_lshlrev_b64_e32 v[10:11], 2, v[8:9]
	v_cndmask_b32_e32 v1, 0x7fc0, v13, vcc_lo
	v_cmp_o_f32_e32 vcc_lo, v12, v12
	s_delay_alu instid0(VALU_DEP_2)
	v_or_b32_e32 v1, v16, v1
	v_cndmask_b32_e32 v12, 0x7fc00000, v14, vcc_lo
	v_cmp_o_f32_e32 vcc_lo, v15, v15
	v_cndmask_b32_e32 v13, 0x7fc0, v17, vcc_lo
	v_cmp_ge_i64_e32 vcc_lo, v[10:11], v[2:3]
	v_add_nc_u64_e32 v[10:11], s[12:13], v[6:7]
	v_add_nc_u64_e32 v[6:7], s[18:19], v[6:7]
	s_delay_alu instid0(VALU_DEP_4)
	v_or3_b32 v13, 0, v13, v12
	v_or3_b32 v12, v1, 0, 0
	s_or_b32 s34, vcc_lo, s34
	global_store_b64 v[10:11], v[12:13], off
	s_wait_xcnt 0x0
	s_and_not1_b32 exec_lo, exec_lo, s34
	s_cbranch_execz .LBB11_156
.LBB11_4:                               ; =>This Inner Loop Header: Depth=1
	v_add_nc_u64_e32 v[10:11], s[8:9], v[6:7]
	s_mov_b32 s3, exec_lo
                                        ; implicit-def: $vgpr12
	global_load_b64 v[10:11], v[10:11], off
	s_wait_loadcnt 0x0
	v_lshlrev_b32_e32 v1, 16, v10
	s_delay_alu instid0(VALU_DEP_1)
	v_and_b32_e32 v13, 0x7fffffff, v1
	s_wait_xcnt 0x0
	v_cmpx_ngt_f32_e64 0x3c800000, |v1|
	s_xor_b32 s3, exec_lo, s3
	s_cbranch_execz .LBB11_34
; %bb.5:                                ;   in Loop: Header=BB11_4 Depth=1
	s_mov_b32 s4, exec_lo
                                        ; implicit-def: $vgpr12
	v_cmpx_nlt_f32_e64 |v1|, 2.0
	s_xor_b32 s4, exec_lo, s4
	s_cbranch_execz .LBB11_15
; %bb.6:                                ;   in Loop: Header=BB11_4 Depth=1
	v_cmp_ngt_f32_e64 s2, 0x41000000, |v1|
                                        ; implicit-def: $vgpr12
	s_and_saveexec_b32 s5, s2
	s_delay_alu instid0(SALU_CYCLE_1)
	s_xor_b32 s2, exec_lo, s5
	s_cbranch_execz .LBB11_12
; %bb.7:                                ;   in Loop: Header=BB11_4 Depth=1
	v_cmp_ngt_f32_e64 s5, 0x5c800000, |v1|
                                        ; implicit-def: $vgpr12
	s_and_saveexec_b32 s6, s5
	s_delay_alu instid0(SALU_CYCLE_1)
	s_xor_b32 s5, exec_lo, s6
	s_cbranch_execz .LBB11_9
; %bb.8:                                ;   in Loop: Header=BB11_4 Depth=1
	v_cmp_gt_f32_e64 s6, 0x800000, |v1|
	s_delay_alu instid0(VALU_DEP_1) | instskip(NEXT) | instid1(VALU_DEP_1)
	v_cndmask_b32_e64 v12, 0, 32, s6
	v_ldexp_f32 v12, |v1|, v12
	s_delay_alu instid0(VALU_DEP_1) | instskip(SKIP_1) | instid1(TRANS32_DEP_1)
	v_log_f32_e32 v12, v12
	v_nop
	v_mul_f32_e32 v14, 0x3f317217, v12
	v_cmp_gt_f32_e64 vcc_lo, 0x7f800000, |v12|
	s_delay_alu instid0(VALU_DEP_2) | instskip(NEXT) | instid1(VALU_DEP_1)
	v_fma_f32 v15, 0x3f317217, v12, -v14
	v_fmac_f32_e32 v15, 0x3377d1cf, v12
	s_delay_alu instid0(VALU_DEP_1) | instskip(NEXT) | instid1(VALU_DEP_1)
	v_add_f32_e32 v14, v14, v15
	v_cndmask_b32_e32 v12, v12, v14, vcc_lo
	v_cndmask_b32_e64 v14, 0, 0x41b17218, s6
	s_delay_alu instid0(VALU_DEP_1) | instskip(NEXT) | instid1(VALU_DEP_1)
	v_sub_f32_e32 v12, v12, v14
	v_fma_f32 v12, |v1|, v12, -|v1|
.LBB11_9:                               ;   in Loop: Header=BB11_4 Depth=1
	s_and_not1_saveexec_b32 s5, s5
	s_cbranch_execz .LBB11_11
; %bb.10:                               ;   in Loop: Header=BB11_4 Depth=1
	v_cmp_gt_f32_e64 s6, 0x800000, |v1|
	v_rcp_f32_e64 v14, |v1|
	s_delay_alu instid0(VALU_DEP_1) | instskip(NEXT) | instid1(VALU_DEP_1)
	v_cndmask_b32_e64 v12, 0, 32, s6
	v_ldexp_f32 v12, |v1|, v12
	s_delay_alu instid0(VALU_DEP_1) | instskip(SKIP_1) | instid1(TRANS32_DEP_1)
	v_log_f32_e32 v12, v12
	v_nop
	v_dual_mul_f32 v15, v14, v14 :: v_dual_mul_f32 v16, 0x3f317217, v12
	v_cmp_gt_f32_e64 vcc_lo, 0x7f800000, |v12|
	s_delay_alu instid0(VALU_DEP_2) | instskip(NEXT) | instid1(VALU_DEP_1)
	v_fma_f32 v18, 0x3f317217, v12, -v16
	v_fmac_f32_e32 v18, 0x3377d1cf, v12
	s_delay_alu instid0(VALU_DEP_1) | instskip(NEXT) | instid1(VALU_DEP_1)
	v_dual_fmaak_f32 v17, s20, v15, 0x3a5b3dd2 :: v_dual_add_f32 v16, v16, v18
	v_dual_fmaak_f32 v17, v15, v17, 0xba1c065c :: v_dual_cndmask_b32 v12, v12, v16
	v_cndmask_b32_e64 v16, 0, 0x41b17218, s6
	s_delay_alu instid0(VALU_DEP_1) | instskip(NEXT) | instid1(VALU_DEP_1)
	v_dual_fmaak_f32 v17, v15, v17, 0x3a500cfd :: v_dual_sub_f32 v16, v12, v16
	v_fmaak_f32 v17, v15, v17, 0xbb360b61
	s_delay_alu instid0(VALU_DEP_1) | instskip(NEXT) | instid1(VALU_DEP_1)
	v_fmaak_f32 v15, v15, v17, 0x3daaaaab
	v_dual_fmaak_f32 v12, v14, v15, 0x3ed67f1d :: v_dual_add_f32 v15, -1.0, v16
	v_add_f32_e64 v14, |v1|, -0.5
	s_delay_alu instid0(VALU_DEP_1)
	v_fmac_f32_e32 v12, v14, v15
.LBB11_11:                              ;   in Loop: Header=BB11_4 Depth=1
	s_or_b32 exec_lo, exec_lo, s5
.LBB11_12:                              ;   in Loop: Header=BB11_4 Depth=1
	s_and_not1_saveexec_b32 s5, s2
	s_cbranch_execz .LBB11_14
; %bb.13:                               ;   in Loop: Header=BB11_4 Depth=1
	v_cvt_i32_f32_e32 v16, v13
	s_delay_alu instid0(VALU_DEP_1) | instskip(SKIP_1) | instid1(VALU_DEP_2)
	v_cvt_f32_i32_e32 v12, v16
	v_cmp_lt_i32_e32 vcc_lo, 3, v16
	v_sub_f32_e64 v12, |v1|, v12
	s_delay_alu instid0(VALU_DEP_1) | instskip(NEXT) | instid1(VALU_DEP_1)
	v_pk_add_f32 v[14:15], v[12:13], v[4:5] op_sel_hi:[0,1]
	v_dual_add_f32 v17, 4.0, v12 :: v_dual_cndmask_b32 v15, 1.0, v15, vcc_lo
	v_cmp_lt_i32_e32 vcc_lo, 2, v16
	s_delay_alu instid0(VALU_DEP_3) | instskip(SKIP_1) | instid1(VALU_DEP_2)
	v_cndmask_b32_e32 v14, 1.0, v14, vcc_lo
	v_cmp_lt_i32_e32 vcc_lo, 4, v16
	v_dual_cndmask_b32 v17, 1.0, v17 :: v_dual_mul_f32 v14, v14, v15
	v_add_f32_e32 v15, 0x40c00000, v12
	v_add_f32_e32 v18, 0x40a00000, v12
	v_cmp_lt_i32_e32 vcc_lo, 5, v16
	s_delay_alu instid0(VALU_DEP_4) | instskip(NEXT) | instid1(VALU_DEP_3)
	v_dual_mul_f32 v14, v17, v14 :: v_dual_fmaak_f32 v17, s21, v12, 0x3af135b4
	v_cndmask_b32_e32 v18, 1.0, v18, vcc_lo
	v_cmp_lt_i32_e32 vcc_lo, 6, v16
	s_delay_alu instid0(VALU_DEP_2) | instskip(NEXT) | instid1(VALU_DEP_1)
	v_dual_mul_f32 v14, v18, v14 :: v_dual_cndmask_b32 v15, 1.0, v15
	v_dual_mul_f32 v14, v15, v14 :: v_dual_fmaak_f32 v15, s22, v12, 0x3a4beed6
	s_delay_alu instid0(VALU_DEP_1) | instskip(NEXT) | instid1(VALU_DEP_1)
	v_fmaak_f32 v15, v12, v15, 0x3c98bf54
	v_fmaak_f32 v15, v12, v15, 0x3e300f6e
	s_delay_alu instid0(VALU_DEP_3) | instskip(SKIP_1) | instid1(VALU_DEP_1)
	v_cmp_gt_f32_e32 vcc_lo, 0x800000, v14
	v_cndmask_b32_e64 v16, 0, 32, vcc_lo
	v_ldexp_f32 v14, v14, v16
	v_fmaak_f32 v16, v12, v17, 0x3cda40e4
	s_delay_alu instid0(VALU_DEP_2) | instskip(SKIP_1) | instid1(TRANS32_DEP_1)
	v_log_f32_e32 v14, v14
	v_nop
	v_mul_f32_e32 v17, 0x3f317217, v14
	v_cmp_gt_f32_e64 s2, 0x7f800000, |v14|
	s_delay_alu instid0(VALU_DEP_2) | instskip(NEXT) | instid1(VALU_DEP_1)
	v_fma_f32 v18, 0x3f317217, v14, -v17
	v_fmac_f32_e32 v18, 0x3377d1cf, v14
	s_delay_alu instid0(VALU_DEP_1) | instskip(NEXT) | instid1(VALU_DEP_1)
	v_dual_add_f32 v17, v17, v18 :: v_dual_fmaak_f32 v16, v12, v16, 0x3e15dce6
	v_fmaak_f32 v16, v12, v16, 0x3ea6cc7a
	s_delay_alu instid0(VALU_DEP_1) | instskip(NEXT) | instid1(VALU_DEP_1)
	v_fmaak_f32 v16, v12, v16, 0x3e5c245a
	v_fmaak_f32 v16, v12, v16, 0xbd9e233f
	s_delay_alu instid0(VALU_DEP_1) | instskip(NEXT) | instid1(VALU_DEP_1)
	v_dual_fmaak_f32 v15, v12, v15, 0x3f38d0c5 :: v_dual_mul_f32 v16, v12, v16
	v_fmaak_f32 v15, v12, v15, 0x3fb22d3b
	s_delay_alu instid0(VALU_DEP_1) | instskip(NEXT) | instid1(VALU_DEP_1)
	v_fma_f32 v15, v12, v15, 1.0
	v_rcp_f32_e32 v15, v15
	v_nop
	s_delay_alu instid0(TRANS32_DEP_1) | instskip(SKIP_1) | instid1(VALU_DEP_2)
	v_dual_mul_f32 v15, v16, v15 :: v_dual_cndmask_b32 v14, v14, v17, s2
	v_cndmask_b32_e64 v16, 0, 0x41b17218, vcc_lo
	v_fmac_f32_e32 v15, 0.5, v12
	s_delay_alu instid0(VALU_DEP_2) | instskip(NEXT) | instid1(VALU_DEP_1)
	v_sub_f32_e32 v12, v14, v16
	v_add_f32_e32 v12, v12, v15
.LBB11_14:                              ;   in Loop: Header=BB11_4 Depth=1
	s_or_b32 exec_lo, exec_lo, s5
.LBB11_15:                              ;   in Loop: Header=BB11_4 Depth=1
	s_and_not1_saveexec_b32 s4, s4
	s_cbranch_execz .LBB11_33
; %bb.16:                               ;   in Loop: Header=BB11_4 Depth=1
	s_mov_b32 s5, exec_lo
                                        ; implicit-def: $vgpr12
                                        ; implicit-def: $vgpr15
                                        ; implicit-def: $vgpr14
	v_cmpx_ge_f32_e64 0x3f666666, |v1|
	s_xor_b32 s5, exec_lo, s5
	s_cbranch_execz .LBB11_18
; %bb.17:                               ;   in Loop: Header=BB11_4 Depth=1
	v_cmp_gt_f32_e64 s2, 0x800000, |v1|
	v_sub_f32_e64 v16, 1.0, |v1|
	v_cmp_gt_f32_e64 vcc_lo, 0x3f3b4a23, |v1|
	s_delay_alu instid0(VALU_DEP_3) | instskip(SKIP_1) | instid1(VALU_DEP_2)
	v_cndmask_b32_e64 v12, 0, 32, s2
	v_cndmask_b32_e64 v17, 0, 0x41b17218, s2
	v_ldexp_f32 v12, |v1|, v12
	s_delay_alu instid0(VALU_DEP_1) | instskip(SKIP_1) | instid1(TRANS32_DEP_1)
	v_log_f32_e32 v12, v12
	v_nop
	v_mul_f32_e32 v14, 0x3f317217, v12
	v_cmp_gt_f32_e64 s2, 0x7f800000, |v12|
	s_delay_alu instid0(VALU_DEP_2) | instskip(NEXT) | instid1(VALU_DEP_1)
	v_fma_f32 v15, 0x3f317217, v12, -v14
	v_fmac_f32_e32 v15, 0x3377d1cf, v12
	s_delay_alu instid0(VALU_DEP_1) | instskip(SKIP_1) | instid1(VALU_DEP_2)
	v_add_f32_e32 v14, v14, v15
	v_add_f32_e64 v15, 0xbeec5b0c, |v1|
	v_cndmask_b32_e64 v12, v12, v14, s2
	s_delay_alu instid0(VALU_DEP_2) | instskip(SKIP_2) | instid1(VALU_DEP_4)
	v_cndmask_b32_e32 v14, v16, v15, vcc_lo
	v_cndmask_b32_e64 v15, 0, 1, vcc_lo
	v_cmp_gt_f32_e64 s2, 0x3e6d3309, |v1|
	v_sub_f32_e32 v12, v12, v17
	s_delay_alu instid0(VALU_DEP_2) | instskip(NEXT) | instid1(VALU_DEP_4)
	v_cndmask_b32_e64 v14, v14, |v1|, s2
	v_cndmask_b32_e64 v15, v15, 2, s2
	s_delay_alu instid0(VALU_DEP_3)
	v_xor_b32_e32 v12, 0x80000000, v12
.LBB11_18:                              ;   in Loop: Header=BB11_4 Depth=1
	s_and_not1_saveexec_b32 s2, s5
	s_cbranch_execz .LBB11_20
; %bb.19:                               ;   in Loop: Header=BB11_4 Depth=1
	v_sub_f32_e64 v12, 2.0, |v1|
	v_add_f32_e64 v14, 0xbfbb16c3, |v1|
	v_cmp_gt_f32_e64 vcc_lo, 0x3fdda512, |v1|
	v_add_f32_e64 v15, |v1|, -1.0
	s_delay_alu instid0(VALU_DEP_3) | instskip(NEXT) | instid1(VALU_DEP_3)
	v_cndmask_b32_e32 v14, v12, v14, vcc_lo
	v_cndmask_b32_e64 v12, v12, 1.0, vcc_lo
	v_cmp_gt_f32_e64 vcc_lo, 0x3f9d70a4, |v1|
	s_delay_alu instid0(VALU_DEP_2) | instskip(NEXT) | instid1(VALU_DEP_4)
	v_cvt_i32_f32_e32 v12, v12
	v_cndmask_b32_e32 v14, v14, v15, vcc_lo
	s_delay_alu instid0(VALU_DEP_2)
	v_cndmask_b32_e64 v15, v12, 2, vcc_lo
	v_mov_b32_e32 v12, 0
.LBB11_20:                              ;   in Loop: Header=BB11_4 Depth=1
	s_or_b32 exec_lo, exec_lo, s2
	s_delay_alu instid0(SALU_CYCLE_1) | instskip(NEXT) | instid1(VALU_DEP_2)
	s_mov_b32 s2, exec_lo
	v_cmpx_lt_i32_e32 0, v15
	s_xor_b32 s2, exec_lo, s2
	s_cbranch_execz .LBB11_28
; %bb.21:                               ;   in Loop: Header=BB11_4 Depth=1
	s_mov_b32 s5, exec_lo
	v_cmpx_lt_i32_e32 1, v15
	s_xor_b32 s5, exec_lo, s5
	s_cbranch_execz .LBB11_25
; %bb.22:                               ;   in Loop: Header=BB11_4 Depth=1
	s_mov_b32 s6, exec_lo
	v_cmpx_eq_u32_e32 2, v15
	s_cbranch_execz .LBB11_24
; %bb.23:                               ;   in Loop: Header=BB11_4 Depth=1
	v_fmaak_f32 v16, s23, v14, 0x3e6a7578
	s_delay_alu instid0(VALU_DEP_1) | instskip(NEXT) | instid1(VALU_DEP_1)
	v_fmaak_f32 v16, v14, v16, 0x3f7a4bb2
	v_fmaak_f32 v16, v14, v16, 0x3fba3ae7
	s_delay_alu instid0(VALU_DEP_1) | instskip(NEXT) | instid1(VALU_DEP_1)
	v_fmaak_f32 v16, v14, v16, 0x3f2200f4
	v_fmaak_f32 v16, v14, v16, 0xbd9e233f
	s_delay_alu instid0(VALU_DEP_1) | instskip(NEXT) | instid1(VALU_DEP_1)
	v_dual_fmaak_f32 v15, s24, v14, 0x3dd572af :: v_dual_mul_f32 v16, v14, v16
	v_fmaak_f32 v15, v14, v15, 0x3f44efdf
	s_delay_alu instid0(VALU_DEP_1) | instskip(NEXT) | instid1(VALU_DEP_1)
	v_fmaak_f32 v15, v14, v15, 0x4008392d
	v_fmaak_f32 v15, v14, v15, 0x401d2ebe
	s_delay_alu instid0(VALU_DEP_1) | instskip(NEXT) | instid1(VALU_DEP_1)
	v_fma_f32 v15, v14, v15, 1.0
	v_rcp_f32_e32 v15, v15
	v_nop
	s_delay_alu instid0(TRANS32_DEP_1) | instskip(NEXT) | instid1(VALU_DEP_1)
	v_mul_f32_e32 v15, v16, v15
	v_fmac_f32_e32 v15, -0.5, v14
	s_delay_alu instid0(VALU_DEP_1)
	v_add_f32_e32 v12, v12, v15
.LBB11_24:                              ;   in Loop: Header=BB11_4 Depth=1
	s_or_b32 exec_lo, exec_lo, s6
                                        ; implicit-def: $vgpr14
.LBB11_25:                              ;   in Loop: Header=BB11_4 Depth=1
	s_and_not1_saveexec_b32 s5, s5
	s_cbranch_execz .LBB11_27
; %bb.26:                               ;   in Loop: Header=BB11_4 Depth=1
	v_mul_f32_e32 v15, v14, v14
	s_delay_alu instid0(VALU_DEP_1) | instskip(NEXT) | instid1(VALU_DEP_1)
	v_mul_f32_e32 v16, v14, v15
	v_fmaak_f32 v17, s26, v16, 0x3a66f867
	v_fmaak_f32 v18, s27, v16, 0xba0d3085
	s_delay_alu instid0(VALU_DEP_2) | instskip(NEXT) | instid1(VALU_DEP_2)
	v_fmaak_f32 v17, v16, v17, 0xbb7177fe
	v_fmaak_f32 v18, v16, v18, 0x3b141699
	s_delay_alu instid0(VALU_DEP_2) | instskip(NEXT) | instid1(VALU_DEP_2)
	v_fmaak_f32 v17, v16, v17, 0x3c93373d
	v_fmaak_f32 v18, v16, v18, 0xbc28fcfe
	s_delay_alu instid0(VALU_DEP_2) | instskip(NEXT) | instid1(VALU_DEP_2)
	v_fmaak_f32 v17, v16, v17, 0xbe17213c
	v_fmaak_f32 v18, v16, v18, 0x3d845a15
	s_delay_alu instid0(VALU_DEP_1) | instskip(SKIP_1) | instid1(VALU_DEP_1)
	v_fmac_f32_e32 v17, v14, v18
	v_fmaak_f32 v19, s25, v16, 0xbab7f476
	v_fmaak_f32 v19, v16, v19, 0x3bc7e707
	s_delay_alu instid0(VALU_DEP_1) | instskip(NEXT) | instid1(VALU_DEP_1)
	v_fmaak_f32 v19, v16, v19, 0xbd064d47
	v_fmaak_f32 v14, v16, v19, 0x3ef7b95e
	v_fma_f32 v16, v16, -v17, 0xa2863e55
	s_delay_alu instid0(VALU_DEP_1) | instskip(NEXT) | instid1(VALU_DEP_1)
	v_fma_f32 v14, v15, v14, -v16
	v_add_f32_e32 v14, 0xbdf8cdce, v14
	s_delay_alu instid0(VALU_DEP_1)
	v_add_f32_e32 v12, v12, v14
.LBB11_27:                              ;   in Loop: Header=BB11_4 Depth=1
	s_or_b32 exec_lo, exec_lo, s5
                                        ; implicit-def: $vgpr15
                                        ; implicit-def: $vgpr14
.LBB11_28:                              ;   in Loop: Header=BB11_4 Depth=1
	s_and_not1_saveexec_b32 s2, s2
	s_cbranch_execz .LBB11_32
; %bb.29:                               ;   in Loop: Header=BB11_4 Depth=1
	s_mov_b32 s5, exec_lo
	v_cmpx_eq_u32_e32 0, v15
	s_cbranch_execz .LBB11_31
; %bb.30:                               ;   in Loop: Header=BB11_4 Depth=1
	v_mul_f32_e32 v15, v14, v14
	s_delay_alu instid0(VALU_DEP_1) | instskip(NEXT) | instid1(VALU_DEP_1)
	v_fmaak_f32 v17, s28, v15, 0x39679767
	v_fmaak_f32 v17, v15, v17, 0x3a9c54a1
	s_delay_alu instid0(VALU_DEP_1) | instskip(NEXT) | instid1(VALU_DEP_1)
	v_fmaak_f32 v17, v15, v17, 0x3bf2027e
	v_fmaak_f32 v17, v15, v17, 0x3d89f001
	s_delay_alu instid0(VALU_DEP_1) | instskip(SKIP_1) | instid1(VALU_DEP_1)
	v_fmaak_f32 v17, v15, v17, 0x3d9e233f
	v_fmaak_f32 v16, s29, v15, 0x38e28445
	;; [unrolled: 1-line block ×3, first 2 shown]
	s_delay_alu instid0(VALU_DEP_1) | instskip(NEXT) | instid1(VALU_DEP_1)
	v_fmaak_f32 v16, v15, v16, 0x3b3d6ec6
	v_fmaak_f32 v16, v15, v16, 0x3ca89915
	s_delay_alu instid0(VALU_DEP_1) | instskip(NEXT) | instid1(VALU_DEP_1)
	v_fmaak_f32 v16, v15, v16, 0x3ea51a66
	v_mul_f32_e32 v15, v15, v16
	s_delay_alu instid0(VALU_DEP_1) | instskip(NEXT) | instid1(VALU_DEP_1)
	v_fmac_f32_e32 v15, v14, v17
	v_fmac_f32_e32 v15, -0.5, v14
	s_delay_alu instid0(VALU_DEP_1)
	v_add_f32_e32 v12, v12, v15
.LBB11_31:                              ;   in Loop: Header=BB11_4 Depth=1
	s_or_b32 exec_lo, exec_lo, s5
.LBB11_32:                              ;   in Loop: Header=BB11_4 Depth=1
	s_delay_alu instid0(SALU_CYCLE_1)
	s_or_b32 exec_lo, exec_lo, s2
.LBB11_33:                              ;   in Loop: Header=BB11_4 Depth=1
	s_delay_alu instid0(SALU_CYCLE_1)
	s_or_b32 exec_lo, exec_lo, s4
.LBB11_34:                              ;   in Loop: Header=BB11_4 Depth=1
	s_and_not1_saveexec_b32 s2, s3
	s_cbranch_execz .LBB11_36
; %bb.35:                               ;   in Loop: Header=BB11_4 Depth=1
	v_cmp_gt_f32_e64 s3, 0x800000, |v1|
	v_fma_f32 v16, |v1|, s30, 0xbecd26ab
	s_delay_alu instid0(VALU_DEP_2) | instskip(NEXT) | instid1(VALU_DEP_1)
	v_cndmask_b32_e64 v12, 0, 32, s3
	v_ldexp_f32 v12, |v1|, v12
	s_delay_alu instid0(VALU_DEP_1) | instskip(SKIP_1) | instid1(TRANS32_DEP_1)
	v_log_f32_e32 v12, v12
	v_nop
	v_mul_f32_e32 v14, 0x3f317217, v12
	v_cmp_gt_f32_e64 vcc_lo, 0x7f800000, |v12|
	s_delay_alu instid0(VALU_DEP_2) | instskip(NEXT) | instid1(VALU_DEP_1)
	v_fma_f32 v15, 0x3f317217, v12, -v14
	v_fmac_f32_e32 v15, 0x3377d1cf, v12
	s_delay_alu instid0(VALU_DEP_1) | instskip(SKIP_1) | instid1(VALU_DEP_2)
	v_add_f32_e32 v14, v14, v15
	v_fma_f32 v15, |v1|, v16, 0x3f528d33
	v_cndmask_b32_e32 v12, v12, v14, vcc_lo
	v_cndmask_b32_e64 v14, 0, 0x41b17218, s3
	s_delay_alu instid0(VALU_DEP_3) | instskip(NEXT) | instid1(VALU_DEP_2)
	v_fma_f32 v15, |v1|, v15, 0xbf13c468
	v_sub_f32_e32 v12, v12, v14
	s_delay_alu instid0(VALU_DEP_1)
	v_fma_f32 v12, |v1|, v15, -v12
.LBB11_36:                              ;   in Loop: Header=BB11_4 Depth=1
	s_or_b32 exec_lo, exec_lo, s2
	v_cmp_le_f32_e32 vcc_lo, 0, v1
	s_mov_b32 s3, exec_lo
	v_cmpx_nle_f32_e32 0, v1
	s_xor_b32 s4, exec_lo, s3
	s_cbranch_execz .LBB11_40
; %bb.37:                               ;   in Loop: Header=BB11_4 Depth=1
	v_cmp_gt_f32_e64 s2, 0x4b000000, |v1|
	v_cmp_lt_f32_e64 s3, 0x35000000, |v1|
	s_and_b32 s2, s2, s3
	s_delay_alu instid0(SALU_CYCLE_1)
	s_and_saveexec_b32 s5, s2
	s_cbranch_execz .LBB11_39
; %bb.38:                               ;   in Loop: Header=BB11_4 Depth=1
	v_mul_f32_e64 v14, |v1|, 0.5
	s_delay_alu instid0(VALU_DEP_1) | instskip(SKIP_1) | instid1(VALU_DEP_2)
	v_floor_f32_e32 v15, v14
	v_cmp_neq_f32_e64 s2, 0x7f800000, v14
	v_sub_f32_e32 v15, v14, v15
	s_delay_alu instid0(VALU_DEP_1) | instskip(NEXT) | instid1(VALU_DEP_1)
	v_min_num_f32_e32 v15, 0x3f7fffff, v15
	v_add_f32_e32 v15, v15, v15
	s_delay_alu instid0(VALU_DEP_1) | instskip(SKIP_1) | instid1(VALU_DEP_1)
	v_cndmask_b32_e64 v14, 0, v15, s2
	v_cmp_gt_f32_e64 s2, |v1|, 1.0
	v_cndmask_b32_e64 v14, |v1|, v14, s2
	s_delay_alu instid0(VALU_DEP_1) | instskip(NEXT) | instid1(VALU_DEP_1)
	v_add_f32_e32 v15, v14, v14
	v_rndne_f32_e32 v15, v15
	s_delay_alu instid0(VALU_DEP_1) | instskip(SKIP_1) | instid1(VALU_DEP_2)
	v_fmac_f32_e32 v14, -0.5, v15
	v_cvt_i32_f32_e32 v15, v15
	v_mul_f32_e32 v16, v14, v14
	s_delay_alu instid0(VALU_DEP_1) | instskip(SKIP_1) | instid1(VALU_DEP_2)
	v_fmaak_f32 v17, s31, v16, 0xbf1f24be
	v_dual_fmaak_f32 v18, s33, v16, 0x3e642e9d :: v_dual_mul_f32 v19, v14, v16
	v_fmaak_f32 v17, v16, v17, 0x40234736
	s_delay_alu instid0(VALU_DEP_2) | instskip(NEXT) | instid1(VALU_DEP_2)
	v_fmaak_f32 v18, v16, v18, 0xbfaad1da
	v_fmaak_f32 v17, v16, v17, 0xc0a55e0e
	s_delay_alu instid0(VALU_DEP_1) | instskip(NEXT) | instid1(VALU_DEP_1)
	v_mul_f32_e32 v17, v19, v17
	v_fmac_f32_e32 v17, 0x40490fdb, v14
	v_dual_lshlrev_b32 v15, 30, v15 :: v_dual_bitop2_b32 v19, 1, v15 bitop3:0x40
	v_fmaak_f32 v18, v16, v18, 0x4081e0d3
	s_delay_alu instid0(VALU_DEP_2) | instskip(NEXT) | instid1(VALU_DEP_3)
	v_cmp_eq_u32_e64 s2, 0, v19
	v_and_or_b32 v13, 0x80000000, v15, v13
	s_delay_alu instid0(VALU_DEP_3) | instskip(NEXT) | instid1(VALU_DEP_1)
	v_fmaak_f32 v18, v16, v18, 0xc09de9e6
	v_fma_f32 v14, v16, v18, 1.0
	s_delay_alu instid0(VALU_DEP_1) | instskip(NEXT) | instid1(VALU_DEP_1)
	v_cndmask_b32_e64 v14, v14, v17, s2
	v_xor3_b32 v13, v13, v14, v1
	s_delay_alu instid0(VALU_DEP_1) | instskip(NEXT) | instid1(VALU_DEP_1)
	v_mul_f32_e32 v13, v1, v13
	v_frexp_mant_f32_e64 v14, |v13|
	v_frexp_exp_i32_f32_e32 v13, v13
	s_delay_alu instid0(VALU_DEP_2) | instskip(SKIP_1) | instid1(TRANS32_DEP_1)
	v_rcp_f32_e32 v14, v14
	v_nop
	v_dual_mul_f32 v14, 0x3f490fdb, v14 :: v_dual_sub_nc_u32 v13, 2, v13
	s_delay_alu instid0(VALU_DEP_1) | instskip(NEXT) | instid1(VALU_DEP_1)
	v_ldexp_f32 v13, v14, v13
	v_cmp_gt_f32_e64 s2, 0x800000, v13
	s_delay_alu instid0(VALU_DEP_1) | instskip(NEXT) | instid1(VALU_DEP_1)
	v_cndmask_b32_e64 v14, 0, 32, s2
	v_ldexp_f32 v13, v13, v14
	s_delay_alu instid0(VALU_DEP_1) | instskip(SKIP_1) | instid1(TRANS32_DEP_1)
	v_log_f32_e32 v13, v13
	v_nop
	v_mul_f32_e32 v14, 0x3f317217, v13
	v_cmp_gt_f32_e64 s3, 0x7f800000, |v13|
	s_delay_alu instid0(VALU_DEP_2) | instskip(NEXT) | instid1(VALU_DEP_1)
	v_fma_f32 v15, 0x3f317217, v13, -v14
	v_fmac_f32_e32 v15, 0x3377d1cf, v13
	s_delay_alu instid0(VALU_DEP_1) | instskip(SKIP_1) | instid1(VALU_DEP_2)
	v_add_f32_e32 v14, v14, v15
	v_floor_f32_e32 v15, v1
	v_cndmask_b32_e64 v13, v13, v14, s3
	v_cndmask_b32_e64 v14, 0, 0x41b17218, s2
	s_delay_alu instid0(VALU_DEP_3) | instskip(NEXT) | instid1(VALU_DEP_1)
	v_sub_f32_e32 v15, v1, v15
	v_dual_sub_f32 v13, v13, v14 :: v_dual_min_num_f32 v14, 0x3f7fffff, v15
	s_delay_alu instid0(VALU_DEP_1) | instskip(NEXT) | instid1(VALU_DEP_2)
	v_sub_f32_e32 v12, v13, v12
	v_cmp_neq_f32_e64 s2, 0, v14
	s_delay_alu instid0(VALU_DEP_1)
	v_cndmask_b32_e64 v12, 0x7f800000, v12, s2
.LBB11_39:                              ;   in Loop: Header=BB11_4 Depth=1
	s_or_b32 exec_lo, exec_lo, s5
.LBB11_40:                              ;   in Loop: Header=BB11_4 Depth=1
	s_and_not1_saveexec_b32 s4, s4
; %bb.41:                               ;   in Loop: Header=BB11_4 Depth=1
	v_cmp_eq_f32_e64 s2, 1.0, v1
	v_cmp_eq_f32_e64 s3, 2.0, v1
	s_or_b32 s2, s2, s3
	s_delay_alu instid0(SALU_CYCLE_1)
	v_cndmask_b32_e64 v12, v12, 0, s2
; %bb.42:                               ;   in Loop: Header=BB11_4 Depth=1
	s_or_b32 exec_lo, exec_lo, s4
	v_and_b32_e32 v13, 0xffff0000, v10
                                        ; implicit-def: $vgpr14
	s_mov_b32 s3, exec_lo
	s_delay_alu instid0(VALU_DEP_1)
	v_and_b32_e32 v15, 0x7fffffff, v13
	v_cmpx_ngt_f32_e64 0x3c800000, |v13|
	s_xor_b32 s4, exec_lo, s3
	s_cbranch_execz .LBB11_72
; %bb.43:                               ;   in Loop: Header=BB11_4 Depth=1
                                        ; implicit-def: $vgpr14
	s_mov_b32 s3, exec_lo
	v_cmpx_nlt_f32_e64 |v13|, 2.0
	s_xor_b32 s5, exec_lo, s3
	s_cbranch_execz .LBB11_53
; %bb.44:                               ;   in Loop: Header=BB11_4 Depth=1
	s_mov_b32 s3, exec_lo
                                        ; implicit-def: $vgpr14
	v_cmpx_ngt_f32_e64 0x41000000, |v13|
	s_xor_b32 s3, exec_lo, s3
	s_cbranch_execz .LBB11_50
; %bb.45:                               ;   in Loop: Header=BB11_4 Depth=1
	s_mov_b32 s6, exec_lo
                                        ; implicit-def: $vgpr14
	v_cmpx_ngt_f32_e64 0x5c800000, |v13|
	s_xor_b32 s6, exec_lo, s6
	s_cbranch_execz .LBB11_47
; %bb.46:                               ;   in Loop: Header=BB11_4 Depth=1
	v_cmp_gt_f32_e64 s35, 0x800000, |v13|
	s_delay_alu instid0(VALU_DEP_1) | instskip(NEXT) | instid1(VALU_DEP_1)
	v_cndmask_b32_e64 v14, 0, 32, s35
	v_ldexp_f32 v14, |v13|, v14
	s_delay_alu instid0(VALU_DEP_1) | instskip(SKIP_1) | instid1(TRANS32_DEP_1)
	v_log_f32_e32 v14, v14
	v_nop
	v_mul_f32_e32 v16, 0x3f317217, v14
	v_cmp_gt_f32_e64 s2, 0x7f800000, |v14|
	s_delay_alu instid0(VALU_DEP_2) | instskip(NEXT) | instid1(VALU_DEP_1)
	v_fma_f32 v17, 0x3f317217, v14, -v16
	v_fmac_f32_e32 v17, 0x3377d1cf, v14
	s_delay_alu instid0(VALU_DEP_1) | instskip(NEXT) | instid1(VALU_DEP_1)
	v_add_f32_e32 v16, v16, v17
	v_cndmask_b32_e64 v14, v14, v16, s2
	v_cndmask_b32_e64 v16, 0, 0x41b17218, s35
	s_delay_alu instid0(VALU_DEP_1) | instskip(NEXT) | instid1(VALU_DEP_1)
	v_sub_f32_e32 v14, v14, v16
	v_fma_f32 v14, |v13|, v14, -|v13|
.LBB11_47:                              ;   in Loop: Header=BB11_4 Depth=1
	s_and_not1_saveexec_b32 s6, s6
	s_cbranch_execz .LBB11_49
; %bb.48:                               ;   in Loop: Header=BB11_4 Depth=1
	v_cmp_gt_f32_e64 s35, 0x800000, |v13|
	v_rcp_f32_e64 v16, |v13|
	s_delay_alu instid0(VALU_DEP_1) | instskip(NEXT) | instid1(VALU_DEP_1)
	v_cndmask_b32_e64 v14, 0, 32, s35
	v_ldexp_f32 v14, |v13|, v14
	s_delay_alu instid0(VALU_DEP_1) | instskip(SKIP_1) | instid1(TRANS32_DEP_1)
	v_log_f32_e32 v14, v14
	v_nop
	v_dual_mul_f32 v17, v16, v16 :: v_dual_mul_f32 v18, 0x3f317217, v14
	v_cmp_gt_f32_e64 s2, 0x7f800000, |v14|
	s_delay_alu instid0(VALU_DEP_2) | instskip(NEXT) | instid1(VALU_DEP_1)
	v_fma_f32 v20, 0x3f317217, v14, -v18
	v_fmac_f32_e32 v20, 0x3377d1cf, v14
	s_delay_alu instid0(VALU_DEP_1) | instskip(NEXT) | instid1(VALU_DEP_1)
	v_dual_fmaak_f32 v19, s20, v17, 0x3a5b3dd2 :: v_dual_add_f32 v18, v18, v20
	v_cndmask_b32_e64 v14, v14, v18, s2
	v_cndmask_b32_e64 v18, 0, 0x41b17218, s35
	s_delay_alu instid0(VALU_DEP_1) | instskip(NEXT) | instid1(VALU_DEP_1)
	v_dual_fmaak_f32 v19, v17, v19, 0xba1c065c :: v_dual_sub_f32 v18, v14, v18
	v_fmaak_f32 v19, v17, v19, 0x3a500cfd
	s_delay_alu instid0(VALU_DEP_1) | instskip(NEXT) | instid1(VALU_DEP_1)
	v_fmaak_f32 v19, v17, v19, 0xbb360b61
	v_fmaak_f32 v17, v17, v19, 0x3daaaaab
	s_delay_alu instid0(VALU_DEP_1) | instskip(SKIP_2) | instid1(VALU_DEP_1)
	v_fmaak_f32 v14, v16, v17, 0x3ed67f1d
	v_add_f32_e64 v16, |v13|, -0.5
	v_add_f32_e32 v17, -1.0, v18
	v_fmac_f32_e32 v14, v16, v17
.LBB11_49:                              ;   in Loop: Header=BB11_4 Depth=1
	s_or_b32 exec_lo, exec_lo, s6
.LBB11_50:                              ;   in Loop: Header=BB11_4 Depth=1
	s_and_not1_saveexec_b32 s6, s3
	s_cbranch_execz .LBB11_52
; %bb.51:                               ;   in Loop: Header=BB11_4 Depth=1
	v_cvt_i32_f32_e32 v18, v15
	s_delay_alu instid0(VALU_DEP_1) | instskip(SKIP_1) | instid1(VALU_DEP_2)
	v_cvt_f32_i32_e32 v14, v18
	v_cmp_lt_i32_e64 s2, 3, v18
	v_sub_f32_e64 v14, |v13|, v14
	s_delay_alu instid0(VALU_DEP_1) | instskip(SKIP_1) | instid1(VALU_DEP_2)
	v_pk_add_f32 v[16:17], v[14:15], v[4:5] op_sel_hi:[0,1]
	v_dual_add_f32 v19, 4.0, v14 :: v_dual_add_f32 v20, 0x40a00000, v14
	v_cndmask_b32_e64 v17, 1.0, v17, s2
	v_cmp_lt_i32_e64 s2, 2, v18
	s_delay_alu instid0(VALU_DEP_1) | instskip(SKIP_1) | instid1(VALU_DEP_1)
	v_cndmask_b32_e64 v16, 1.0, v16, s2
	v_cmp_lt_i32_e64 s2, 4, v18
	v_dual_cndmask_b32 v19, 1.0, v19, s2 :: v_dual_mul_f32 v16, v16, v17
	v_add_f32_e32 v17, 0x40c00000, v14
	v_cmp_lt_i32_e64 s2, 5, v18
	s_delay_alu instid0(VALU_DEP_3) | instskip(NEXT) | instid1(VALU_DEP_2)
	v_dual_mul_f32 v16, v19, v16 :: v_dual_fmaak_f32 v19, s21, v14, 0x3af135b4
	v_cndmask_b32_e64 v20, 1.0, v20, s2
	v_cmp_lt_i32_e64 s2, 6, v18
	s_delay_alu instid0(VALU_DEP_1) | instskip(NEXT) | instid1(VALU_DEP_1)
	v_dual_cndmask_b32 v17, 1.0, v17, s2 :: v_dual_mul_f32 v16, v20, v16
	v_dual_mul_f32 v16, v17, v16 :: v_dual_fmaak_f32 v17, s22, v14, 0x3a4beed6
	s_delay_alu instid0(VALU_DEP_1) | instskip(NEXT) | instid1(VALU_DEP_2)
	v_fmaak_f32 v17, v14, v17, 0x3c98bf54
	v_cmp_gt_f32_e64 s2, 0x800000, v16
	s_delay_alu instid0(VALU_DEP_1) | instskip(NEXT) | instid1(VALU_DEP_1)
	v_cndmask_b32_e64 v18, 0, 32, s2
	v_ldexp_f32 v16, v16, v18
	v_fmaak_f32 v18, v14, v19, 0x3cda40e4
	s_delay_alu instid0(VALU_DEP_2) | instskip(SKIP_1) | instid1(TRANS32_DEP_1)
	v_log_f32_e32 v16, v16
	v_nop
	v_mul_f32_e32 v19, 0x3f317217, v16
	v_cmp_gt_f32_e64 s3, 0x7f800000, |v16|
	s_delay_alu instid0(VALU_DEP_2) | instskip(NEXT) | instid1(VALU_DEP_1)
	v_fma_f32 v20, 0x3f317217, v16, -v19
	v_fmac_f32_e32 v20, 0x3377d1cf, v16
	s_delay_alu instid0(VALU_DEP_1) | instskip(NEXT) | instid1(VALU_DEP_1)
	v_dual_add_f32 v19, v19, v20 :: v_dual_fmaak_f32 v18, v14, v18, 0x3e15dce6
	v_cndmask_b32_e64 v16, v16, v19, s3
	s_delay_alu instid0(VALU_DEP_2) | instskip(NEXT) | instid1(VALU_DEP_1)
	v_fmaak_f32 v18, v14, v18, 0x3ea6cc7a
	v_fmaak_f32 v18, v14, v18, 0x3e5c245a
	s_delay_alu instid0(VALU_DEP_1) | instskip(NEXT) | instid1(VALU_DEP_1)
	v_fmaak_f32 v18, v14, v18, 0xbd9e233f
	v_dual_fmaak_f32 v17, v14, v17, 0x3e300f6e :: v_dual_mul_f32 v18, v14, v18
	s_delay_alu instid0(VALU_DEP_1) | instskip(NEXT) | instid1(VALU_DEP_1)
	v_fmaak_f32 v17, v14, v17, 0x3f38d0c5
	v_fmaak_f32 v17, v14, v17, 0x3fb22d3b
	s_delay_alu instid0(VALU_DEP_1) | instskip(NEXT) | instid1(VALU_DEP_1)
	v_fma_f32 v17, v14, v17, 1.0
	v_rcp_f32_e32 v17, v17
	v_nop
	s_delay_alu instid0(TRANS32_DEP_1) | instskip(SKIP_1) | instid1(VALU_DEP_2)
	v_mul_f32_e32 v17, v18, v17
	v_cndmask_b32_e64 v18, 0, 0x41b17218, s2
	v_fmac_f32_e32 v17, 0.5, v14
	s_delay_alu instid0(VALU_DEP_2) | instskip(NEXT) | instid1(VALU_DEP_1)
	v_sub_f32_e32 v14, v16, v18
	v_add_f32_e32 v14, v14, v17
.LBB11_52:                              ;   in Loop: Header=BB11_4 Depth=1
	s_or_b32 exec_lo, exec_lo, s6
.LBB11_53:                              ;   in Loop: Header=BB11_4 Depth=1
	s_and_not1_saveexec_b32 s5, s5
	s_cbranch_execz .LBB11_71
; %bb.54:                               ;   in Loop: Header=BB11_4 Depth=1
                                        ; implicit-def: $vgpr14
                                        ; implicit-def: $vgpr17
                                        ; implicit-def: $vgpr16
	s_mov_b32 s3, exec_lo
	v_cmpx_ge_f32_e64 0x3f666666, |v13|
	s_xor_b32 s6, exec_lo, s3
	s_cbranch_execz .LBB11_56
; %bb.55:                               ;   in Loop: Header=BB11_4 Depth=1
	v_cmp_gt_f32_e64 s3, 0x800000, |v13|
	v_sub_f32_e64 v18, 1.0, |v13|
	v_cmp_gt_f32_e64 s2, 0x3f3b4a23, |v13|
	s_delay_alu instid0(VALU_DEP_3) | instskip(SKIP_1) | instid1(VALU_DEP_2)
	v_cndmask_b32_e64 v14, 0, 32, s3
	v_cndmask_b32_e64 v19, 0, 0x41b17218, s3
	v_ldexp_f32 v14, |v13|, v14
	s_delay_alu instid0(VALU_DEP_1) | instskip(SKIP_1) | instid1(TRANS32_DEP_1)
	v_log_f32_e32 v14, v14
	v_nop
	v_mul_f32_e32 v16, 0x3f317217, v14
	v_cmp_gt_f32_e64 s3, 0x7f800000, |v14|
	s_delay_alu instid0(VALU_DEP_2) | instskip(NEXT) | instid1(VALU_DEP_1)
	v_fma_f32 v17, 0x3f317217, v14, -v16
	v_fmac_f32_e32 v17, 0x3377d1cf, v14
	s_delay_alu instid0(VALU_DEP_1) | instskip(SKIP_1) | instid1(VALU_DEP_2)
	v_add_f32_e32 v16, v16, v17
	v_add_f32_e64 v17, 0xbeec5b0c, |v13|
	v_cndmask_b32_e64 v14, v14, v16, s3
	s_delay_alu instid0(VALU_DEP_2) | instskip(SKIP_2) | instid1(VALU_DEP_4)
	v_cndmask_b32_e64 v16, v18, v17, s2
	v_cndmask_b32_e64 v17, 0, 1, s2
	v_cmp_gt_f32_e64 s2, 0x3e6d3309, |v13|
	v_sub_f32_e32 v14, v14, v19
	s_delay_alu instid0(VALU_DEP_2) | instskip(NEXT) | instid1(VALU_DEP_4)
	v_cndmask_b32_e64 v16, v16, |v13|, s2
	v_cndmask_b32_e64 v17, v17, 2, s2
	s_delay_alu instid0(VALU_DEP_3)
	v_xor_b32_e32 v14, 0x80000000, v14
.LBB11_56:                              ;   in Loop: Header=BB11_4 Depth=1
	s_and_not1_saveexec_b32 s3, s6
	s_cbranch_execz .LBB11_58
; %bb.57:                               ;   in Loop: Header=BB11_4 Depth=1
	v_sub_f32_e64 v14, 2.0, |v13|
	v_add_f32_e64 v16, 0xbfbb16c3, |v13|
	v_cmp_gt_f32_e64 s2, 0x3fdda512, |v13|
	v_add_f32_e64 v17, |v13|, -1.0
	s_delay_alu instid0(VALU_DEP_2) | instskip(SKIP_2) | instid1(VALU_DEP_2)
	v_cndmask_b32_e64 v16, v14, v16, s2
	v_cndmask_b32_e64 v14, v14, 1.0, s2
	v_cmp_gt_f32_e64 s2, 0x3f9d70a4, |v13|
	v_cvt_i32_f32_e32 v14, v14
	s_delay_alu instid0(VALU_DEP_2) | instskip(NEXT) | instid1(VALU_DEP_2)
	v_cndmask_b32_e64 v16, v16, v17, s2
	v_cndmask_b32_e64 v17, v14, 2, s2
	v_mov_b32_e32 v14, 0
.LBB11_58:                              ;   in Loop: Header=BB11_4 Depth=1
	s_or_b32 exec_lo, exec_lo, s3
	s_delay_alu instid0(SALU_CYCLE_1) | instskip(NEXT) | instid1(VALU_DEP_2)
	s_mov_b32 s3, exec_lo
	v_cmpx_lt_i32_e32 0, v17
	s_xor_b32 s3, exec_lo, s3
	s_cbranch_execz .LBB11_66
; %bb.59:                               ;   in Loop: Header=BB11_4 Depth=1
	s_mov_b32 s6, exec_lo
	v_cmpx_lt_i32_e32 1, v17
	s_xor_b32 s6, exec_lo, s6
	s_cbranch_execz .LBB11_63
; %bb.60:                               ;   in Loop: Header=BB11_4 Depth=1
	s_mov_b32 s35, exec_lo
	v_cmpx_eq_u32_e32 2, v17
	s_cbranch_execz .LBB11_62
; %bb.61:                               ;   in Loop: Header=BB11_4 Depth=1
	v_fmaak_f32 v18, s23, v16, 0x3e6a7578
	s_delay_alu instid0(VALU_DEP_1) | instskip(NEXT) | instid1(VALU_DEP_1)
	v_fmaak_f32 v18, v16, v18, 0x3f7a4bb2
	v_fmaak_f32 v18, v16, v18, 0x3fba3ae7
	s_delay_alu instid0(VALU_DEP_1) | instskip(NEXT) | instid1(VALU_DEP_1)
	v_fmaak_f32 v18, v16, v18, 0x3f2200f4
	v_fmaak_f32 v18, v16, v18, 0xbd9e233f
	s_delay_alu instid0(VALU_DEP_1) | instskip(NEXT) | instid1(VALU_DEP_1)
	v_dual_fmaak_f32 v17, s24, v16, 0x3dd572af :: v_dual_mul_f32 v18, v16, v18
	v_fmaak_f32 v17, v16, v17, 0x3f44efdf
	s_delay_alu instid0(VALU_DEP_1) | instskip(NEXT) | instid1(VALU_DEP_1)
	v_fmaak_f32 v17, v16, v17, 0x4008392d
	v_fmaak_f32 v17, v16, v17, 0x401d2ebe
	s_delay_alu instid0(VALU_DEP_1) | instskip(NEXT) | instid1(VALU_DEP_1)
	v_fma_f32 v17, v16, v17, 1.0
	v_rcp_f32_e32 v17, v17
	v_nop
	s_delay_alu instid0(TRANS32_DEP_1) | instskip(NEXT) | instid1(VALU_DEP_1)
	v_mul_f32_e32 v17, v18, v17
	v_fmac_f32_e32 v17, -0.5, v16
	s_delay_alu instid0(VALU_DEP_1)
	v_add_f32_e32 v14, v14, v17
.LBB11_62:                              ;   in Loop: Header=BB11_4 Depth=1
	s_or_b32 exec_lo, exec_lo, s35
                                        ; implicit-def: $vgpr16
.LBB11_63:                              ;   in Loop: Header=BB11_4 Depth=1
	s_and_not1_saveexec_b32 s2, s6
	s_cbranch_execz .LBB11_65
; %bb.64:                               ;   in Loop: Header=BB11_4 Depth=1
	v_mul_f32_e32 v17, v16, v16
	s_delay_alu instid0(VALU_DEP_1) | instskip(NEXT) | instid1(VALU_DEP_1)
	v_mul_f32_e32 v18, v16, v17
	v_fmaak_f32 v19, s26, v18, 0x3a66f867
	v_fmaak_f32 v20, s27, v18, 0xba0d3085
	s_delay_alu instid0(VALU_DEP_2) | instskip(NEXT) | instid1(VALU_DEP_2)
	v_fmaak_f32 v19, v18, v19, 0xbb7177fe
	v_fmaak_f32 v20, v18, v20, 0x3b141699
	s_delay_alu instid0(VALU_DEP_2) | instskip(NEXT) | instid1(VALU_DEP_2)
	;; [unrolled: 3-line block ×3, first 2 shown]
	v_fmaak_f32 v19, v18, v19, 0xbe17213c
	v_fmaak_f32 v20, v18, v20, 0x3d845a15
	s_delay_alu instid0(VALU_DEP_1) | instskip(SKIP_1) | instid1(VALU_DEP_1)
	v_fmac_f32_e32 v19, v16, v20
	v_fmaak_f32 v21, s25, v18, 0xbab7f476
	v_fmaak_f32 v21, v18, v21, 0x3bc7e707
	s_delay_alu instid0(VALU_DEP_1) | instskip(NEXT) | instid1(VALU_DEP_1)
	v_fmaak_f32 v21, v18, v21, 0xbd064d47
	v_fmaak_f32 v16, v18, v21, 0x3ef7b95e
	v_fma_f32 v18, v18, -v19, 0xa2863e55
	s_delay_alu instid0(VALU_DEP_1) | instskip(NEXT) | instid1(VALU_DEP_1)
	v_fma_f32 v16, v17, v16, -v18
	v_add_f32_e32 v16, 0xbdf8cdce, v16
	s_delay_alu instid0(VALU_DEP_1)
	v_add_f32_e32 v14, v14, v16
.LBB11_65:                              ;   in Loop: Header=BB11_4 Depth=1
	s_or_b32 exec_lo, exec_lo, s2
                                        ; implicit-def: $vgpr17
                                        ; implicit-def: $vgpr16
.LBB11_66:                              ;   in Loop: Header=BB11_4 Depth=1
	s_and_not1_saveexec_b32 s3, s3
	s_cbranch_execz .LBB11_70
; %bb.67:                               ;   in Loop: Header=BB11_4 Depth=1
	s_mov_b32 s6, exec_lo
	v_cmpx_eq_u32_e32 0, v17
	s_cbranch_execz .LBB11_69
; %bb.68:                               ;   in Loop: Header=BB11_4 Depth=1
	v_mul_f32_e32 v17, v16, v16
	s_delay_alu instid0(VALU_DEP_1) | instskip(NEXT) | instid1(VALU_DEP_1)
	v_fmaak_f32 v19, s28, v17, 0x39679767
	v_fmaak_f32 v19, v17, v19, 0x3a9c54a1
	s_delay_alu instid0(VALU_DEP_1) | instskip(NEXT) | instid1(VALU_DEP_1)
	v_fmaak_f32 v19, v17, v19, 0x3bf2027e
	v_fmaak_f32 v19, v17, v19, 0x3d89f001
	s_delay_alu instid0(VALU_DEP_1) | instskip(SKIP_1) | instid1(VALU_DEP_1)
	v_fmaak_f32 v19, v17, v19, 0x3d9e233f
	v_fmaak_f32 v18, s29, v17, 0x38e28445
	;; [unrolled: 1-line block ×3, first 2 shown]
	s_delay_alu instid0(VALU_DEP_1) | instskip(NEXT) | instid1(VALU_DEP_1)
	v_fmaak_f32 v18, v17, v18, 0x3b3d6ec6
	v_fmaak_f32 v18, v17, v18, 0x3ca89915
	s_delay_alu instid0(VALU_DEP_1) | instskip(NEXT) | instid1(VALU_DEP_1)
	v_fmaak_f32 v18, v17, v18, 0x3ea51a66
	v_mul_f32_e32 v17, v17, v18
	s_delay_alu instid0(VALU_DEP_1) | instskip(NEXT) | instid1(VALU_DEP_1)
	v_fmac_f32_e32 v17, v16, v19
	v_fmac_f32_e32 v17, -0.5, v16
	s_delay_alu instid0(VALU_DEP_1)
	v_add_f32_e32 v14, v14, v17
.LBB11_69:                              ;   in Loop: Header=BB11_4 Depth=1
	s_or_b32 exec_lo, exec_lo, s6
.LBB11_70:                              ;   in Loop: Header=BB11_4 Depth=1
	s_delay_alu instid0(SALU_CYCLE_1)
	s_or_b32 exec_lo, exec_lo, s3
.LBB11_71:                              ;   in Loop: Header=BB11_4 Depth=1
	s_delay_alu instid0(SALU_CYCLE_1)
	s_or_b32 exec_lo, exec_lo, s5
.LBB11_72:                              ;   in Loop: Header=BB11_4 Depth=1
	s_and_not1_saveexec_b32 s3, s4
	s_cbranch_execz .LBB11_74
; %bb.73:                               ;   in Loop: Header=BB11_4 Depth=1
	v_cmp_gt_f32_e64 s4, 0x800000, |v13|
	v_fma_f32 v18, |v13|, s30, 0xbecd26ab
	s_delay_alu instid0(VALU_DEP_2) | instskip(NEXT) | instid1(VALU_DEP_1)
	v_cndmask_b32_e64 v14, 0, 32, s4
	v_ldexp_f32 v14, |v13|, v14
	s_delay_alu instid0(VALU_DEP_1) | instskip(SKIP_1) | instid1(TRANS32_DEP_1)
	v_log_f32_e32 v14, v14
	v_nop
	v_mul_f32_e32 v16, 0x3f317217, v14
	v_cmp_gt_f32_e64 s2, 0x7f800000, |v14|
	s_delay_alu instid0(VALU_DEP_2) | instskip(NEXT) | instid1(VALU_DEP_1)
	v_fma_f32 v17, 0x3f317217, v14, -v16
	v_fmac_f32_e32 v17, 0x3377d1cf, v14
	s_delay_alu instid0(VALU_DEP_1) | instskip(SKIP_1) | instid1(VALU_DEP_2)
	v_add_f32_e32 v16, v16, v17
	v_fma_f32 v17, |v13|, v18, 0x3f528d33
	v_cndmask_b32_e64 v14, v14, v16, s2
	v_cndmask_b32_e64 v16, 0, 0x41b17218, s4
	s_delay_alu instid0(VALU_DEP_3) | instskip(NEXT) | instid1(VALU_DEP_2)
	v_fma_f32 v17, |v13|, v17, 0xbf13c468
	v_sub_f32_e32 v14, v14, v16
	s_delay_alu instid0(VALU_DEP_1)
	v_fma_f32 v14, |v13|, v17, -v14
.LBB11_74:                              ;   in Loop: Header=BB11_4 Depth=1
	s_or_b32 exec_lo, exec_lo, s3
	v_cmp_le_f32_e64 s2, 0, v13
	s_mov_b32 s4, exec_lo
	v_cmpx_nle_f32_e32 0, v13
	s_xor_b32 s5, exec_lo, s4
	s_cbranch_execz .LBB11_78
; %bb.75:                               ;   in Loop: Header=BB11_4 Depth=1
	v_cmp_gt_f32_e64 s3, 0x4b000000, |v13|
	v_cmp_lt_f32_e64 s4, 0x35000000, |v13|
	s_and_b32 s3, s3, s4
	s_delay_alu instid0(SALU_CYCLE_1)
	s_and_saveexec_b32 s6, s3
	s_cbranch_execz .LBB11_77
; %bb.76:                               ;   in Loop: Header=BB11_4 Depth=1
	v_mul_f32_e64 v16, |v13|, 0.5
	s_delay_alu instid0(VALU_DEP_1) | instskip(SKIP_1) | instid1(VALU_DEP_2)
	v_floor_f32_e32 v17, v16
	v_cmp_neq_f32_e64 s3, 0x7f800000, v16
	v_sub_f32_e32 v17, v16, v17
	s_delay_alu instid0(VALU_DEP_1) | instskip(NEXT) | instid1(VALU_DEP_1)
	v_min_num_f32_e32 v17, 0x3f7fffff, v17
	v_add_f32_e32 v17, v17, v17
	s_delay_alu instid0(VALU_DEP_1) | instskip(SKIP_1) | instid1(VALU_DEP_1)
	v_cndmask_b32_e64 v16, 0, v17, s3
	v_cmp_gt_f32_e64 s3, |v13|, 1.0
	v_cndmask_b32_e64 v16, |v13|, v16, s3
	s_delay_alu instid0(VALU_DEP_1) | instskip(NEXT) | instid1(VALU_DEP_1)
	v_add_f32_e32 v17, v16, v16
	v_rndne_f32_e32 v17, v17
	s_delay_alu instid0(VALU_DEP_1) | instskip(SKIP_1) | instid1(VALU_DEP_2)
	v_fmac_f32_e32 v16, -0.5, v17
	v_cvt_i32_f32_e32 v17, v17
	v_mul_f32_e32 v18, v16, v16
	s_delay_alu instid0(VALU_DEP_1) | instskip(SKIP_1) | instid1(VALU_DEP_2)
	v_fmaak_f32 v19, s31, v18, 0xbf1f24be
	v_dual_fmaak_f32 v20, s33, v18, 0x3e642e9d :: v_dual_mul_f32 v21, v16, v18
	v_fmaak_f32 v19, v18, v19, 0x40234736
	s_delay_alu instid0(VALU_DEP_2) | instskip(NEXT) | instid1(VALU_DEP_2)
	v_fmaak_f32 v20, v18, v20, 0xbfaad1da
	v_fmaak_f32 v19, v18, v19, 0xc0a55e0e
	s_delay_alu instid0(VALU_DEP_1) | instskip(NEXT) | instid1(VALU_DEP_1)
	v_mul_f32_e32 v19, v21, v19
	v_fmac_f32_e32 v19, 0x40490fdb, v16
	v_dual_lshlrev_b32 v17, 30, v17 :: v_dual_bitop2_b32 v21, 1, v17 bitop3:0x40
	v_fmaak_f32 v20, v18, v20, 0x4081e0d3
	s_delay_alu instid0(VALU_DEP_2) | instskip(NEXT) | instid1(VALU_DEP_3)
	v_cmp_eq_u32_e64 s3, 0, v21
	v_and_or_b32 v15, 0x80000000, v17, v15
	s_delay_alu instid0(VALU_DEP_3) | instskip(NEXT) | instid1(VALU_DEP_1)
	v_fmaak_f32 v20, v18, v20, 0xc09de9e6
	v_fma_f32 v16, v18, v20, 1.0
	s_delay_alu instid0(VALU_DEP_1) | instskip(NEXT) | instid1(VALU_DEP_1)
	v_cndmask_b32_e64 v16, v16, v19, s3
	v_xor3_b32 v15, v15, v16, v13
	s_delay_alu instid0(VALU_DEP_1) | instskip(NEXT) | instid1(VALU_DEP_1)
	v_mul_f32_e32 v15, v13, v15
	v_frexp_mant_f32_e64 v16, |v15|
	v_frexp_exp_i32_f32_e32 v15, v15
	s_delay_alu instid0(VALU_DEP_2) | instskip(SKIP_1) | instid1(TRANS32_DEP_1)
	v_rcp_f32_e32 v16, v16
	v_nop
	v_dual_mul_f32 v16, 0x3f490fdb, v16 :: v_dual_sub_nc_u32 v15, 2, v15
	s_delay_alu instid0(VALU_DEP_1) | instskip(NEXT) | instid1(VALU_DEP_1)
	v_ldexp_f32 v15, v16, v15
	v_cmp_gt_f32_e64 s3, 0x800000, v15
	s_delay_alu instid0(VALU_DEP_1) | instskip(NEXT) | instid1(VALU_DEP_1)
	v_cndmask_b32_e64 v16, 0, 32, s3
	v_ldexp_f32 v15, v15, v16
	s_delay_alu instid0(VALU_DEP_1) | instskip(SKIP_1) | instid1(TRANS32_DEP_1)
	v_log_f32_e32 v15, v15
	v_nop
	v_mul_f32_e32 v16, 0x3f317217, v15
	v_cmp_gt_f32_e64 s4, 0x7f800000, |v15|
	s_delay_alu instid0(VALU_DEP_2) | instskip(NEXT) | instid1(VALU_DEP_1)
	v_fma_f32 v17, 0x3f317217, v15, -v16
	v_fmac_f32_e32 v17, 0x3377d1cf, v15
	s_delay_alu instid0(VALU_DEP_1) | instskip(SKIP_1) | instid1(VALU_DEP_2)
	v_add_f32_e32 v16, v16, v17
	v_floor_f32_e32 v17, v13
	v_cndmask_b32_e64 v15, v15, v16, s4
	v_cndmask_b32_e64 v16, 0, 0x41b17218, s3
	s_delay_alu instid0(VALU_DEP_1) | instskip(NEXT) | instid1(VALU_DEP_1)
	v_dual_sub_f32 v17, v13, v17 :: v_dual_sub_f32 v15, v15, v16
	v_min_num_f32_e32 v16, 0x3f7fffff, v17
	s_delay_alu instid0(VALU_DEP_2) | instskip(NEXT) | instid1(VALU_DEP_2)
	v_sub_f32_e32 v14, v15, v14
	v_cmp_neq_f32_e64 s3, 0, v16
	s_delay_alu instid0(VALU_DEP_1)
	v_cndmask_b32_e64 v14, 0x7f800000, v14, s3
.LBB11_77:                              ;   in Loop: Header=BB11_4 Depth=1
	s_or_b32 exec_lo, exec_lo, s6
.LBB11_78:                              ;   in Loop: Header=BB11_4 Depth=1
	s_and_not1_saveexec_b32 s5, s5
; %bb.79:                               ;   in Loop: Header=BB11_4 Depth=1
	v_cmp_eq_f32_e64 s3, 1.0, v13
	v_cmp_eq_f32_e64 s4, 2.0, v13
	s_or_b32 s3, s3, s4
	s_delay_alu instid0(SALU_CYCLE_1)
	v_cndmask_b32_e64 v14, v14, 0, s3
; %bb.80:                               ;   in Loop: Header=BB11_4 Depth=1
	s_or_b32 exec_lo, exec_lo, s5
	v_alignbit_b32 v10, v11, v10, 16
                                        ; implicit-def: $vgpr15
	s_mov_b32 s4, exec_lo
	s_delay_alu instid0(VALU_DEP_1) | instskip(NEXT) | instid1(VALU_DEP_1)
	v_and_b32_e32 v10, 0xffff0000, v10
	v_and_b32_e32 v16, 0x7fffffff, v10
	v_cmpx_ngt_f32_e64 0x3c800000, |v10|
	s_xor_b32 s5, exec_lo, s4
	s_cbranch_execz .LBB11_110
; %bb.81:                               ;   in Loop: Header=BB11_4 Depth=1
                                        ; implicit-def: $vgpr15
	s_mov_b32 s4, exec_lo
	v_cmpx_nlt_f32_e64 |v10|, 2.0
	s_xor_b32 s6, exec_lo, s4
	s_cbranch_execz .LBB11_91
; %bb.82:                               ;   in Loop: Header=BB11_4 Depth=1
	s_mov_b32 s4, exec_lo
                                        ; implicit-def: $vgpr15
	v_cmpx_ngt_f32_e64 0x41000000, |v10|
	s_xor_b32 s4, exec_lo, s4
	s_cbranch_execz .LBB11_88
; %bb.83:                               ;   in Loop: Header=BB11_4 Depth=1
	s_mov_b32 s35, exec_lo
                                        ; implicit-def: $vgpr15
	v_cmpx_ngt_f32_e64 0x5c800000, |v10|
	s_xor_b32 s35, exec_lo, s35
	s_cbranch_execz .LBB11_85
; %bb.84:                               ;   in Loop: Header=BB11_4 Depth=1
	v_cmp_gt_f32_e64 s36, 0x800000, |v10|
	s_delay_alu instid0(VALU_DEP_1) | instskip(NEXT) | instid1(VALU_DEP_1)
	v_cndmask_b32_e64 v15, 0, 32, s36
	v_ldexp_f32 v15, |v10|, v15
	s_delay_alu instid0(VALU_DEP_1) | instskip(SKIP_1) | instid1(TRANS32_DEP_1)
	v_log_f32_e32 v15, v15
	v_nop
	v_mul_f32_e32 v17, 0x3f317217, v15
	v_cmp_gt_f32_e64 s3, 0x7f800000, |v15|
	s_delay_alu instid0(VALU_DEP_2) | instskip(NEXT) | instid1(VALU_DEP_1)
	v_fma_f32 v18, 0x3f317217, v15, -v17
	v_fmac_f32_e32 v18, 0x3377d1cf, v15
	s_delay_alu instid0(VALU_DEP_1) | instskip(NEXT) | instid1(VALU_DEP_1)
	v_add_f32_e32 v17, v17, v18
	v_cndmask_b32_e64 v15, v15, v17, s3
	v_cndmask_b32_e64 v17, 0, 0x41b17218, s36
	s_delay_alu instid0(VALU_DEP_1) | instskip(NEXT) | instid1(VALU_DEP_1)
	v_sub_f32_e32 v15, v15, v17
	v_fma_f32 v15, |v10|, v15, -|v10|
.LBB11_85:                              ;   in Loop: Header=BB11_4 Depth=1
	s_and_not1_saveexec_b32 s35, s35
	s_cbranch_execz .LBB11_87
; %bb.86:                               ;   in Loop: Header=BB11_4 Depth=1
	v_cmp_gt_f32_e64 s36, 0x800000, |v10|
	v_rcp_f32_e64 v17, |v10|
	s_delay_alu instid0(VALU_DEP_1) | instskip(NEXT) | instid1(VALU_DEP_1)
	v_cndmask_b32_e64 v15, 0, 32, s36
	v_ldexp_f32 v15, |v10|, v15
	s_delay_alu instid0(VALU_DEP_1) | instskip(SKIP_1) | instid1(TRANS32_DEP_1)
	v_log_f32_e32 v15, v15
	v_nop
	v_dual_mul_f32 v18, v17, v17 :: v_dual_mul_f32 v19, 0x3f317217, v15
	v_cmp_gt_f32_e64 s3, 0x7f800000, |v15|
	s_delay_alu instid0(VALU_DEP_2) | instskip(NEXT) | instid1(VALU_DEP_1)
	v_fma_f32 v21, 0x3f317217, v15, -v19
	v_fmac_f32_e32 v21, 0x3377d1cf, v15
	s_delay_alu instid0(VALU_DEP_1) | instskip(NEXT) | instid1(VALU_DEP_1)
	v_dual_fmaak_f32 v20, s20, v18, 0x3a5b3dd2 :: v_dual_add_f32 v19, v19, v21
	v_cndmask_b32_e64 v15, v15, v19, s3
	v_cndmask_b32_e64 v19, 0, 0x41b17218, s36
	s_delay_alu instid0(VALU_DEP_1) | instskip(NEXT) | instid1(VALU_DEP_1)
	v_dual_fmaak_f32 v20, v18, v20, 0xba1c065c :: v_dual_sub_f32 v19, v15, v19
	v_fmaak_f32 v20, v18, v20, 0x3a500cfd
	s_delay_alu instid0(VALU_DEP_1) | instskip(NEXT) | instid1(VALU_DEP_1)
	v_fmaak_f32 v20, v18, v20, 0xbb360b61
	v_fmaak_f32 v18, v18, v20, 0x3daaaaab
	s_delay_alu instid0(VALU_DEP_1) | instskip(SKIP_2) | instid1(VALU_DEP_1)
	v_fmaak_f32 v15, v17, v18, 0x3ed67f1d
	v_add_f32_e64 v17, |v10|, -0.5
	v_add_f32_e32 v18, -1.0, v19
	v_fmac_f32_e32 v15, v17, v18
.LBB11_87:                              ;   in Loop: Header=BB11_4 Depth=1
	s_or_b32 exec_lo, exec_lo, s35
.LBB11_88:                              ;   in Loop: Header=BB11_4 Depth=1
	s_and_not1_saveexec_b32 s35, s4
	s_cbranch_execz .LBB11_90
; %bb.89:                               ;   in Loop: Header=BB11_4 Depth=1
	v_cvt_i32_f32_e32 v15, v16
	s_delay_alu instid0(VALU_DEP_1) | instskip(SKIP_1) | instid1(VALU_DEP_2)
	v_cvt_f32_i32_e32 v17, v15
	v_cmp_lt_i32_e64 s3, 3, v15
	v_sub_f32_e64 v18, |v10|, v17
	s_delay_alu instid0(VALU_DEP_1) | instskip(NEXT) | instid1(VALU_DEP_1)
	v_pk_add_f32 v[20:21], v[18:19], v[4:5] op_sel_hi:[0,1]
	v_dual_add_f32 v17, 4.0, v18 :: v_dual_cndmask_b32 v19, 1.0, v21, s3
	v_cmp_lt_i32_e64 s3, 2, v15
	v_add_f32_e32 v21, 0x40a00000, v18
	s_delay_alu instid0(VALU_DEP_2) | instskip(SKIP_1) | instid1(VALU_DEP_1)
	v_cndmask_b32_e64 v20, 1.0, v20, s3
	v_cmp_lt_i32_e64 s3, 4, v15
	v_dual_cndmask_b32 v17, 1.0, v17, s3 :: v_dual_mul_f32 v19, v20, v19
	v_add_f32_e32 v20, 0x40c00000, v18
	v_cmp_lt_i32_e64 s3, 5, v15
	s_delay_alu instid0(VALU_DEP_1) | instskip(SKIP_1) | instid1(VALU_DEP_1)
	v_dual_mul_f32 v17, v17, v19 :: v_dual_cndmask_b32 v21, 1.0, v21, s3
	v_cmp_lt_i32_e64 s3, 6, v15
	v_dual_mul_f32 v17, v21, v17 :: v_dual_cndmask_b32 v15, 1.0, v20, s3
	s_delay_alu instid0(VALU_DEP_1) | instskip(NEXT) | instid1(VALU_DEP_1)
	v_dual_fmaak_f32 v20, s21, v18, 0x3af135b4 :: v_dual_mul_f32 v15, v15, v17
	v_cmp_gt_f32_e64 s3, 0x800000, v15
	s_delay_alu instid0(VALU_DEP_1) | instskip(NEXT) | instid1(VALU_DEP_1)
	v_cndmask_b32_e64 v19, 0, 32, s3
	v_ldexp_f32 v15, v15, v19
	s_delay_alu instid0(VALU_DEP_4) | instskip(NEXT) | instid1(VALU_DEP_2)
	v_fmaak_f32 v19, v18, v20, 0x3cda40e4
	v_log_f32_e32 v15, v15
	s_delay_alu instid0(VALU_DEP_1) | instskip(NEXT) | instid1(VALU_DEP_1)
	v_fmaak_f32 v19, v18, v19, 0x3e15dce6
	v_fmaak_f32 v19, v18, v19, 0x3ea6cc7a
	s_delay_alu instid0(TRANS32_DEP_1) | instskip(NEXT) | instid1(VALU_DEP_2)
	v_cmp_gt_f32_e64 s4, 0x7f800000, |v15|
	v_fmaak_f32 v19, v18, v19, 0x3e5c245a
	s_delay_alu instid0(VALU_DEP_1) | instskip(NEXT) | instid1(VALU_DEP_1)
	v_fmaak_f32 v19, v18, v19, 0xbd9e233f
	v_mul_f32_e32 v19, v18, v19
	v_mul_f32_e32 v20, 0x3f317217, v15
	s_delay_alu instid0(VALU_DEP_1) | instskip(NEXT) | instid1(VALU_DEP_1)
	v_fma_f32 v21, 0x3f317217, v15, -v20
	v_fmac_f32_e32 v21, 0x3377d1cf, v15
	s_delay_alu instid0(VALU_DEP_1) | instskip(NEXT) | instid1(VALU_DEP_1)
	v_dual_fmaak_f32 v17, s22, v18, 0x3a4beed6 :: v_dual_add_f32 v20, v20, v21
	v_fmaak_f32 v17, v18, v17, 0x3c98bf54
	s_delay_alu instid0(VALU_DEP_2) | instskip(NEXT) | instid1(VALU_DEP_2)
	v_cndmask_b32_e64 v15, v15, v20, s4
	v_fmaak_f32 v17, v18, v17, 0x3e300f6e
	s_delay_alu instid0(VALU_DEP_1) | instskip(NEXT) | instid1(VALU_DEP_1)
	v_fmaak_f32 v17, v18, v17, 0x3f38d0c5
	v_fmaak_f32 v17, v18, v17, 0x3fb22d3b
	s_delay_alu instid0(VALU_DEP_1) | instskip(NEXT) | instid1(VALU_DEP_1)
	v_fma_f32 v17, v18, v17, 1.0
	v_rcp_f32_e32 v17, v17
	v_nop
	s_delay_alu instid0(TRANS32_DEP_1) | instskip(SKIP_1) | instid1(VALU_DEP_1)
	v_mul_f32_e32 v17, v19, v17
	v_cndmask_b32_e64 v19, 0, 0x41b17218, s3
	v_dual_fmac_f32 v17, 0.5, v18 :: v_dual_sub_f32 v15, v15, v19
	s_delay_alu instid0(VALU_DEP_1)
	v_add_f32_e32 v15, v15, v17
.LBB11_90:                              ;   in Loop: Header=BB11_4 Depth=1
	s_or_b32 exec_lo, exec_lo, s35
.LBB11_91:                              ;   in Loop: Header=BB11_4 Depth=1
	s_and_not1_saveexec_b32 s6, s6
	s_cbranch_execz .LBB11_109
; %bb.92:                               ;   in Loop: Header=BB11_4 Depth=1
                                        ; implicit-def: $vgpr15
                                        ; implicit-def: $vgpr18
                                        ; implicit-def: $vgpr17
	s_mov_b32 s4, exec_lo
	v_cmpx_ge_f32_e64 0x3f666666, |v10|
	s_xor_b32 s35, exec_lo, s4
	s_cbranch_execz .LBB11_94
; %bb.93:                               ;   in Loop: Header=BB11_4 Depth=1
	v_cmp_gt_f32_e64 s4, 0x800000, |v10|
	v_sub_f32_e64 v19, 1.0, |v10|
	v_cmp_gt_f32_e64 s3, 0x3f3b4a23, |v10|
	s_delay_alu instid0(VALU_DEP_3) | instskip(SKIP_1) | instid1(VALU_DEP_2)
	v_cndmask_b32_e64 v15, 0, 32, s4
	v_cndmask_b32_e64 v20, 0, 0x41b17218, s4
	v_ldexp_f32 v15, |v10|, v15
	s_delay_alu instid0(VALU_DEP_1) | instskip(SKIP_1) | instid1(TRANS32_DEP_1)
	v_log_f32_e32 v15, v15
	v_nop
	v_mul_f32_e32 v17, 0x3f317217, v15
	v_cmp_gt_f32_e64 s4, 0x7f800000, |v15|
	s_delay_alu instid0(VALU_DEP_2) | instskip(NEXT) | instid1(VALU_DEP_1)
	v_fma_f32 v18, 0x3f317217, v15, -v17
	v_fmac_f32_e32 v18, 0x3377d1cf, v15
	s_delay_alu instid0(VALU_DEP_1) | instskip(SKIP_1) | instid1(VALU_DEP_2)
	v_add_f32_e32 v17, v17, v18
	v_add_f32_e64 v18, 0xbeec5b0c, |v10|
	v_cndmask_b32_e64 v15, v15, v17, s4
	s_delay_alu instid0(VALU_DEP_2) | instskip(SKIP_2) | instid1(VALU_DEP_4)
	v_cndmask_b32_e64 v17, v19, v18, s3
	v_cndmask_b32_e64 v18, 0, 1, s3
	v_cmp_gt_f32_e64 s3, 0x3e6d3309, |v10|
	v_sub_f32_e32 v15, v15, v20
	s_delay_alu instid0(VALU_DEP_2) | instskip(NEXT) | instid1(VALU_DEP_4)
	v_cndmask_b32_e64 v17, v17, |v10|, s3
	v_cndmask_b32_e64 v18, v18, 2, s3
	s_delay_alu instid0(VALU_DEP_3)
	v_xor_b32_e32 v15, 0x80000000, v15
.LBB11_94:                              ;   in Loop: Header=BB11_4 Depth=1
	s_and_not1_saveexec_b32 s4, s35
	s_cbranch_execz .LBB11_96
; %bb.95:                               ;   in Loop: Header=BB11_4 Depth=1
	v_sub_f32_e64 v15, 2.0, |v10|
	v_add_f32_e64 v17, 0xbfbb16c3, |v10|
	v_cmp_gt_f32_e64 s3, 0x3fdda512, |v10|
	v_add_f32_e64 v18, |v10|, -1.0
	s_delay_alu instid0(VALU_DEP_2) | instskip(SKIP_2) | instid1(VALU_DEP_2)
	v_cndmask_b32_e64 v17, v15, v17, s3
	v_cndmask_b32_e64 v15, v15, 1.0, s3
	v_cmp_gt_f32_e64 s3, 0x3f9d70a4, |v10|
	v_cvt_i32_f32_e32 v15, v15
	s_delay_alu instid0(VALU_DEP_2) | instskip(NEXT) | instid1(VALU_DEP_2)
	v_cndmask_b32_e64 v17, v17, v18, s3
	v_cndmask_b32_e64 v18, v15, 2, s3
	v_mov_b32_e32 v15, 0
.LBB11_96:                              ;   in Loop: Header=BB11_4 Depth=1
	s_or_b32 exec_lo, exec_lo, s4
	s_delay_alu instid0(SALU_CYCLE_1) | instskip(NEXT) | instid1(VALU_DEP_2)
	s_mov_b32 s4, exec_lo
	v_cmpx_lt_i32_e32 0, v18
	s_xor_b32 s4, exec_lo, s4
	s_cbranch_execz .LBB11_104
; %bb.97:                               ;   in Loop: Header=BB11_4 Depth=1
	s_mov_b32 s35, exec_lo
	v_cmpx_lt_i32_e32 1, v18
	s_xor_b32 s35, exec_lo, s35
	s_cbranch_execz .LBB11_101
; %bb.98:                               ;   in Loop: Header=BB11_4 Depth=1
	s_mov_b32 s36, exec_lo
	v_cmpx_eq_u32_e32 2, v18
	s_cbranch_execz .LBB11_100
; %bb.99:                               ;   in Loop: Header=BB11_4 Depth=1
	v_fmaak_f32 v19, s23, v17, 0x3e6a7578
	s_delay_alu instid0(VALU_DEP_1) | instskip(NEXT) | instid1(VALU_DEP_1)
	v_fmaak_f32 v19, v17, v19, 0x3f7a4bb2
	v_fmaak_f32 v19, v17, v19, 0x3fba3ae7
	s_delay_alu instid0(VALU_DEP_1) | instskip(NEXT) | instid1(VALU_DEP_1)
	v_fmaak_f32 v19, v17, v19, 0x3f2200f4
	v_fmaak_f32 v19, v17, v19, 0xbd9e233f
	s_delay_alu instid0(VALU_DEP_1) | instskip(NEXT) | instid1(VALU_DEP_1)
	v_dual_fmaak_f32 v18, s24, v17, 0x3dd572af :: v_dual_mul_f32 v19, v17, v19
	v_fmaak_f32 v18, v17, v18, 0x3f44efdf
	s_delay_alu instid0(VALU_DEP_1) | instskip(NEXT) | instid1(VALU_DEP_1)
	v_fmaak_f32 v18, v17, v18, 0x4008392d
	v_fmaak_f32 v18, v17, v18, 0x401d2ebe
	s_delay_alu instid0(VALU_DEP_1) | instskip(NEXT) | instid1(VALU_DEP_1)
	v_fma_f32 v18, v17, v18, 1.0
	v_rcp_f32_e32 v18, v18
	v_nop
	s_delay_alu instid0(TRANS32_DEP_1) | instskip(NEXT) | instid1(VALU_DEP_1)
	v_mul_f32_e32 v18, v19, v18
	v_fmac_f32_e32 v18, -0.5, v17
	s_delay_alu instid0(VALU_DEP_1)
	v_add_f32_e32 v15, v15, v18
.LBB11_100:                             ;   in Loop: Header=BB11_4 Depth=1
	s_or_b32 exec_lo, exec_lo, s36
                                        ; implicit-def: $vgpr17
.LBB11_101:                             ;   in Loop: Header=BB11_4 Depth=1
	s_and_not1_saveexec_b32 s3, s35
	s_cbranch_execz .LBB11_103
; %bb.102:                              ;   in Loop: Header=BB11_4 Depth=1
	v_mul_f32_e32 v18, v17, v17
	s_delay_alu instid0(VALU_DEP_1) | instskip(NEXT) | instid1(VALU_DEP_1)
	v_mul_f32_e32 v19, v17, v18
	v_fmaak_f32 v20, s26, v19, 0x3a66f867
	v_fmaak_f32 v21, s27, v19, 0xba0d3085
	s_delay_alu instid0(VALU_DEP_2) | instskip(NEXT) | instid1(VALU_DEP_2)
	v_fmaak_f32 v20, v19, v20, 0xbb7177fe
	v_fmaak_f32 v21, v19, v21, 0x3b141699
	s_delay_alu instid0(VALU_DEP_2) | instskip(NEXT) | instid1(VALU_DEP_2)
	;; [unrolled: 3-line block ×3, first 2 shown]
	v_fmaak_f32 v20, v19, v20, 0xbe17213c
	v_fmaak_f32 v21, v19, v21, 0x3d845a15
	s_delay_alu instid0(VALU_DEP_1) | instskip(SKIP_1) | instid1(VALU_DEP_1)
	v_fmac_f32_e32 v20, v17, v21
	v_fmaak_f32 v22, s25, v19, 0xbab7f476
	v_fmaak_f32 v22, v19, v22, 0x3bc7e707
	s_delay_alu instid0(VALU_DEP_1) | instskip(NEXT) | instid1(VALU_DEP_1)
	v_fmaak_f32 v22, v19, v22, 0xbd064d47
	v_fmaak_f32 v17, v19, v22, 0x3ef7b95e
	v_fma_f32 v19, v19, -v20, 0xa2863e55
	s_delay_alu instid0(VALU_DEP_1) | instskip(NEXT) | instid1(VALU_DEP_1)
	v_fma_f32 v17, v18, v17, -v19
	v_add_f32_e32 v17, 0xbdf8cdce, v17
	s_delay_alu instid0(VALU_DEP_1)
	v_add_f32_e32 v15, v15, v17
.LBB11_103:                             ;   in Loop: Header=BB11_4 Depth=1
	s_or_b32 exec_lo, exec_lo, s3
                                        ; implicit-def: $vgpr18
                                        ; implicit-def: $vgpr17
.LBB11_104:                             ;   in Loop: Header=BB11_4 Depth=1
	s_and_not1_saveexec_b32 s4, s4
	s_cbranch_execz .LBB11_108
; %bb.105:                              ;   in Loop: Header=BB11_4 Depth=1
	s_mov_b32 s35, exec_lo
	v_cmpx_eq_u32_e32 0, v18
	s_cbranch_execz .LBB11_107
; %bb.106:                              ;   in Loop: Header=BB11_4 Depth=1
	v_mul_f32_e32 v18, v17, v17
	s_delay_alu instid0(VALU_DEP_1) | instskip(NEXT) | instid1(VALU_DEP_1)
	v_fmaak_f32 v20, s28, v18, 0x39679767
	v_fmaak_f32 v20, v18, v20, 0x3a9c54a1
	s_delay_alu instid0(VALU_DEP_1) | instskip(NEXT) | instid1(VALU_DEP_1)
	v_fmaak_f32 v20, v18, v20, 0x3bf2027e
	v_fmaak_f32 v20, v18, v20, 0x3d89f001
	s_delay_alu instid0(VALU_DEP_1) | instskip(SKIP_1) | instid1(VALU_DEP_1)
	v_fmaak_f32 v20, v18, v20, 0x3d9e233f
	v_fmaak_f32 v19, s29, v18, 0x38e28445
	v_fmaak_f32 v19, v18, v19, 0x3a05b634
	s_delay_alu instid0(VALU_DEP_1) | instskip(NEXT) | instid1(VALU_DEP_1)
	v_fmaak_f32 v19, v18, v19, 0x3b3d6ec6
	v_fmaak_f32 v19, v18, v19, 0x3ca89915
	s_delay_alu instid0(VALU_DEP_1) | instskip(NEXT) | instid1(VALU_DEP_1)
	v_fmaak_f32 v19, v18, v19, 0x3ea51a66
	v_mul_f32_e32 v18, v18, v19
	s_delay_alu instid0(VALU_DEP_1) | instskip(NEXT) | instid1(VALU_DEP_1)
	v_fmac_f32_e32 v18, v17, v20
	v_fmac_f32_e32 v18, -0.5, v17
	s_delay_alu instid0(VALU_DEP_1)
	v_add_f32_e32 v15, v15, v18
.LBB11_107:                             ;   in Loop: Header=BB11_4 Depth=1
	s_or_b32 exec_lo, exec_lo, s35
.LBB11_108:                             ;   in Loop: Header=BB11_4 Depth=1
	s_delay_alu instid0(SALU_CYCLE_1)
	s_or_b32 exec_lo, exec_lo, s4
.LBB11_109:                             ;   in Loop: Header=BB11_4 Depth=1
	s_delay_alu instid0(SALU_CYCLE_1)
	s_or_b32 exec_lo, exec_lo, s6
.LBB11_110:                             ;   in Loop: Header=BB11_4 Depth=1
	s_and_not1_saveexec_b32 s4, s5
	s_cbranch_execz .LBB11_112
; %bb.111:                              ;   in Loop: Header=BB11_4 Depth=1
	v_cmp_gt_f32_e64 s5, 0x800000, |v10|
	v_fma_f32 v19, |v10|, s30, 0xbecd26ab
	s_delay_alu instid0(VALU_DEP_2) | instskip(NEXT) | instid1(VALU_DEP_1)
	v_cndmask_b32_e64 v15, 0, 32, s5
	v_ldexp_f32 v15, |v10|, v15
	s_delay_alu instid0(VALU_DEP_1) | instskip(SKIP_1) | instid1(TRANS32_DEP_1)
	v_log_f32_e32 v15, v15
	v_nop
	v_mul_f32_e32 v17, 0x3f317217, v15
	v_cmp_gt_f32_e64 s3, 0x7f800000, |v15|
	s_delay_alu instid0(VALU_DEP_2) | instskip(NEXT) | instid1(VALU_DEP_1)
	v_fma_f32 v18, 0x3f317217, v15, -v17
	v_fmac_f32_e32 v18, 0x3377d1cf, v15
	s_delay_alu instid0(VALU_DEP_1) | instskip(SKIP_1) | instid1(VALU_DEP_2)
	v_add_f32_e32 v17, v17, v18
	v_fma_f32 v18, |v10|, v19, 0x3f528d33
	v_cndmask_b32_e64 v15, v15, v17, s3
	v_cndmask_b32_e64 v17, 0, 0x41b17218, s5
	s_delay_alu instid0(VALU_DEP_3) | instskip(NEXT) | instid1(VALU_DEP_2)
	v_fma_f32 v18, |v10|, v18, 0xbf13c468
	v_sub_f32_e32 v15, v15, v17
	s_delay_alu instid0(VALU_DEP_1)
	v_fma_f32 v15, |v10|, v18, -v15
.LBB11_112:                             ;   in Loop: Header=BB11_4 Depth=1
	s_or_b32 exec_lo, exec_lo, s4
	v_cmp_le_f32_e64 s3, 0, v10
	s_mov_b32 s5, exec_lo
	v_cmpx_nle_f32_e32 0, v10
	s_xor_b32 s6, exec_lo, s5
	s_cbranch_execz .LBB11_116
; %bb.113:                              ;   in Loop: Header=BB11_4 Depth=1
	v_cmp_gt_f32_e64 s4, 0x4b000000, |v10|
	v_cmp_lt_f32_e64 s5, 0x35000000, |v10|
	s_and_b32 s4, s4, s5
	s_delay_alu instid0(SALU_CYCLE_1)
	s_and_saveexec_b32 s35, s4
	s_cbranch_execz .LBB11_115
; %bb.114:                              ;   in Loop: Header=BB11_4 Depth=1
	v_mul_f32_e64 v17, |v10|, 0.5
	s_delay_alu instid0(VALU_DEP_1) | instskip(SKIP_1) | instid1(VALU_DEP_2)
	v_floor_f32_e32 v18, v17
	v_cmp_neq_f32_e64 s4, 0x7f800000, v17
	v_sub_f32_e32 v18, v17, v18
	s_delay_alu instid0(VALU_DEP_1) | instskip(NEXT) | instid1(VALU_DEP_1)
	v_min_num_f32_e32 v18, 0x3f7fffff, v18
	v_add_f32_e32 v18, v18, v18
	s_delay_alu instid0(VALU_DEP_1) | instskip(SKIP_1) | instid1(VALU_DEP_1)
	v_cndmask_b32_e64 v17, 0, v18, s4
	v_cmp_gt_f32_e64 s4, |v10|, 1.0
	v_cndmask_b32_e64 v17, |v10|, v17, s4
	s_delay_alu instid0(VALU_DEP_1) | instskip(NEXT) | instid1(VALU_DEP_1)
	v_add_f32_e32 v18, v17, v17
	v_rndne_f32_e32 v18, v18
	s_delay_alu instid0(VALU_DEP_1) | instskip(SKIP_1) | instid1(VALU_DEP_2)
	v_fmac_f32_e32 v17, -0.5, v18
	v_cvt_i32_f32_e32 v18, v18
	v_mul_f32_e32 v19, v17, v17
	s_delay_alu instid0(VALU_DEP_1) | instskip(SKIP_1) | instid1(VALU_DEP_2)
	v_fmaak_f32 v20, s31, v19, 0xbf1f24be
	v_dual_fmaak_f32 v21, s33, v19, 0x3e642e9d :: v_dual_mul_f32 v22, v17, v19
	v_fmaak_f32 v20, v19, v20, 0x40234736
	s_delay_alu instid0(VALU_DEP_2) | instskip(NEXT) | instid1(VALU_DEP_2)
	v_fmaak_f32 v21, v19, v21, 0xbfaad1da
	v_fmaak_f32 v20, v19, v20, 0xc0a55e0e
	s_delay_alu instid0(VALU_DEP_1) | instskip(NEXT) | instid1(VALU_DEP_1)
	v_mul_f32_e32 v20, v22, v20
	v_fmac_f32_e32 v20, 0x40490fdb, v17
	v_dual_lshlrev_b32 v18, 30, v18 :: v_dual_bitop2_b32 v22, 1, v18 bitop3:0x40
	v_fmaak_f32 v21, v19, v21, 0x4081e0d3
	s_delay_alu instid0(VALU_DEP_2) | instskip(NEXT) | instid1(VALU_DEP_3)
	v_cmp_eq_u32_e64 s4, 0, v22
	v_and_or_b32 v16, 0x80000000, v18, v16
	s_delay_alu instid0(VALU_DEP_3) | instskip(NEXT) | instid1(VALU_DEP_1)
	v_fmaak_f32 v21, v19, v21, 0xc09de9e6
	v_fma_f32 v17, v19, v21, 1.0
	s_delay_alu instid0(VALU_DEP_1) | instskip(NEXT) | instid1(VALU_DEP_1)
	v_cndmask_b32_e64 v17, v17, v20, s4
	v_xor3_b32 v16, v16, v17, v10
	s_delay_alu instid0(VALU_DEP_1) | instskip(NEXT) | instid1(VALU_DEP_1)
	v_mul_f32_e32 v16, v10, v16
	v_frexp_mant_f32_e64 v17, |v16|
	v_frexp_exp_i32_f32_e32 v16, v16
	s_delay_alu instid0(VALU_DEP_2) | instskip(SKIP_1) | instid1(TRANS32_DEP_1)
	v_rcp_f32_e32 v17, v17
	v_nop
	v_dual_mul_f32 v17, 0x3f490fdb, v17 :: v_dual_sub_nc_u32 v16, 2, v16
	s_delay_alu instid0(VALU_DEP_1) | instskip(NEXT) | instid1(VALU_DEP_1)
	v_ldexp_f32 v16, v17, v16
	v_cmp_gt_f32_e64 s4, 0x800000, v16
	s_delay_alu instid0(VALU_DEP_1) | instskip(NEXT) | instid1(VALU_DEP_1)
	v_cndmask_b32_e64 v17, 0, 32, s4
	v_ldexp_f32 v16, v16, v17
	s_delay_alu instid0(VALU_DEP_1) | instskip(SKIP_1) | instid1(TRANS32_DEP_1)
	v_log_f32_e32 v16, v16
	v_nop
	v_mul_f32_e32 v17, 0x3f317217, v16
	v_cmp_gt_f32_e64 s5, 0x7f800000, |v16|
	s_delay_alu instid0(VALU_DEP_2) | instskip(NEXT) | instid1(VALU_DEP_1)
	v_fma_f32 v18, 0x3f317217, v16, -v17
	v_fmac_f32_e32 v18, 0x3377d1cf, v16
	s_delay_alu instid0(VALU_DEP_1) | instskip(SKIP_1) | instid1(VALU_DEP_2)
	v_add_f32_e32 v17, v17, v18
	v_floor_f32_e32 v18, v10
	v_cndmask_b32_e64 v16, v16, v17, s5
	v_cndmask_b32_e64 v17, 0, 0x41b17218, s4
	s_delay_alu instid0(VALU_DEP_1) | instskip(NEXT) | instid1(VALU_DEP_1)
	v_dual_sub_f32 v18, v10, v18 :: v_dual_sub_f32 v16, v16, v17
	v_min_num_f32_e32 v17, 0x3f7fffff, v18
	s_delay_alu instid0(VALU_DEP_2) | instskip(NEXT) | instid1(VALU_DEP_2)
	v_sub_f32_e32 v15, v16, v15
	v_cmp_neq_f32_e64 s4, 0, v17
	s_delay_alu instid0(VALU_DEP_1)
	v_cndmask_b32_e64 v15, 0x7f800000, v15, s4
.LBB11_115:                             ;   in Loop: Header=BB11_4 Depth=1
	s_or_b32 exec_lo, exec_lo, s35
.LBB11_116:                             ;   in Loop: Header=BB11_4 Depth=1
	s_and_not1_saveexec_b32 s6, s6
; %bb.117:                              ;   in Loop: Header=BB11_4 Depth=1
	v_cmp_eq_f32_e64 s4, 1.0, v10
	v_cmp_eq_f32_e64 s5, 2.0, v10
	s_or_b32 s4, s4, s5
	s_delay_alu instid0(SALU_CYCLE_1)
	v_cndmask_b32_e64 v15, v15, 0, s4
; %bb.118:                              ;   in Loop: Header=BB11_4 Depth=1
	s_or_b32 exec_lo, exec_lo, s6
	v_and_b32_e32 v11, 0xffff0000, v11
                                        ; implicit-def: $vgpr17
	s_mov_b32 s5, exec_lo
	s_delay_alu instid0(VALU_DEP_1)
	v_and_b32_e32 v16, 0x7fffffff, v11
	v_cmpx_ngt_f32_e64 0x3c800000, |v11|
	s_xor_b32 s6, exec_lo, s5
	s_cbranch_execz .LBB11_148
; %bb.119:                              ;   in Loop: Header=BB11_4 Depth=1
                                        ; implicit-def: $vgpr17
	s_mov_b32 s5, exec_lo
	v_cmpx_nlt_f32_e64 |v11|, 2.0
	s_xor_b32 s35, exec_lo, s5
	s_cbranch_execz .LBB11_129
; %bb.120:                              ;   in Loop: Header=BB11_4 Depth=1
	s_mov_b32 s5, exec_lo
                                        ; implicit-def: $vgpr17
	v_cmpx_ngt_f32_e64 0x41000000, |v11|
	s_xor_b32 s5, exec_lo, s5
	s_cbranch_execz .LBB11_126
; %bb.121:                              ;   in Loop: Header=BB11_4 Depth=1
	s_mov_b32 s36, exec_lo
                                        ; implicit-def: $vgpr17
	v_cmpx_ngt_f32_e64 0x5c800000, |v11|
	s_xor_b32 s36, exec_lo, s36
	s_cbranch_execz .LBB11_123
; %bb.122:                              ;   in Loop: Header=BB11_4 Depth=1
	v_cmp_gt_f32_e64 s37, 0x800000, |v11|
	s_delay_alu instid0(VALU_DEP_1) | instskip(NEXT) | instid1(VALU_DEP_1)
	v_cndmask_b32_e64 v17, 0, 32, s37
	v_ldexp_f32 v17, |v11|, v17
	s_delay_alu instid0(VALU_DEP_1) | instskip(SKIP_1) | instid1(TRANS32_DEP_1)
	v_log_f32_e32 v17, v17
	v_nop
	v_mul_f32_e32 v18, 0x3f317217, v17
	v_cmp_gt_f32_e64 s4, 0x7f800000, |v17|
	s_delay_alu instid0(VALU_DEP_2) | instskip(NEXT) | instid1(VALU_DEP_1)
	v_fma_f32 v19, 0x3f317217, v17, -v18
	v_fmac_f32_e32 v19, 0x3377d1cf, v17
	s_delay_alu instid0(VALU_DEP_1) | instskip(NEXT) | instid1(VALU_DEP_1)
	v_add_f32_e32 v18, v18, v19
	v_cndmask_b32_e64 v17, v17, v18, s4
	v_cndmask_b32_e64 v18, 0, 0x41b17218, s37
	s_delay_alu instid0(VALU_DEP_1) | instskip(NEXT) | instid1(VALU_DEP_1)
	v_sub_f32_e32 v17, v17, v18
	v_fma_f32 v17, |v11|, v17, -|v11|
.LBB11_123:                             ;   in Loop: Header=BB11_4 Depth=1
	s_and_not1_saveexec_b32 s36, s36
	s_cbranch_execz .LBB11_125
; %bb.124:                              ;   in Loop: Header=BB11_4 Depth=1
	v_cmp_gt_f32_e64 s37, 0x800000, |v11|
	v_rcp_f32_e64 v18, |v11|
	s_delay_alu instid0(VALU_DEP_1) | instskip(NEXT) | instid1(VALU_DEP_1)
	v_cndmask_b32_e64 v17, 0, 32, s37
	v_ldexp_f32 v17, |v11|, v17
	s_delay_alu instid0(VALU_DEP_1) | instskip(SKIP_1) | instid1(TRANS32_DEP_1)
	v_log_f32_e32 v17, v17
	v_nop
	v_dual_mul_f32 v19, v18, v18 :: v_dual_mul_f32 v20, 0x3f317217, v17
	v_cmp_gt_f32_e64 s4, 0x7f800000, |v17|
	s_delay_alu instid0(VALU_DEP_2) | instskip(NEXT) | instid1(VALU_DEP_1)
	v_fma_f32 v22, 0x3f317217, v17, -v20
	v_fmac_f32_e32 v22, 0x3377d1cf, v17
	s_delay_alu instid0(VALU_DEP_1) | instskip(NEXT) | instid1(VALU_DEP_1)
	v_dual_fmaak_f32 v21, s20, v19, 0x3a5b3dd2 :: v_dual_add_f32 v20, v20, v22
	v_cndmask_b32_e64 v17, v17, v20, s4
	v_cndmask_b32_e64 v20, 0, 0x41b17218, s37
	s_delay_alu instid0(VALU_DEP_1) | instskip(NEXT) | instid1(VALU_DEP_1)
	v_dual_fmaak_f32 v21, v19, v21, 0xba1c065c :: v_dual_sub_f32 v20, v17, v20
	v_fmaak_f32 v21, v19, v21, 0x3a500cfd
	s_delay_alu instid0(VALU_DEP_1) | instskip(NEXT) | instid1(VALU_DEP_1)
	v_fmaak_f32 v21, v19, v21, 0xbb360b61
	v_fmaak_f32 v19, v19, v21, 0x3daaaaab
	s_delay_alu instid0(VALU_DEP_1) | instskip(SKIP_2) | instid1(VALU_DEP_1)
	v_fmaak_f32 v17, v18, v19, 0x3ed67f1d
	v_add_f32_e64 v18, |v11|, -0.5
	v_add_f32_e32 v19, -1.0, v20
	v_fmac_f32_e32 v17, v18, v19
.LBB11_125:                             ;   in Loop: Header=BB11_4 Depth=1
	s_or_b32 exec_lo, exec_lo, s36
.LBB11_126:                             ;   in Loop: Header=BB11_4 Depth=1
	s_and_not1_saveexec_b32 s36, s5
	s_cbranch_execz .LBB11_128
; %bb.127:                              ;   in Loop: Header=BB11_4 Depth=1
	v_cvt_i32_f32_e32 v17, v16
	s_delay_alu instid0(VALU_DEP_1) | instskip(SKIP_1) | instid1(VALU_DEP_2)
	v_cvt_f32_i32_e32 v18, v17
	v_cmp_lt_i32_e64 s4, 3, v17
	v_sub_f32_e64 v18, |v11|, v18
	s_delay_alu instid0(VALU_DEP_1) | instskip(NEXT) | instid1(VALU_DEP_1)
	v_pk_add_f32 v[20:21], v[18:19], v[4:5] op_sel_hi:[0,1]
	v_dual_add_f32 v19, 4.0, v18 :: v_dual_cndmask_b32 v21, 1.0, v21, s4
	v_cmp_lt_i32_e64 s4, 2, v17
	s_delay_alu instid0(VALU_DEP_1) | instskip(SKIP_1) | instid1(VALU_DEP_1)
	v_cndmask_b32_e64 v20, 1.0, v20, s4
	v_cmp_lt_i32_e64 s4, 4, v17
	v_dual_cndmask_b32 v19, 1.0, v19, s4 :: v_dual_mul_f32 v20, v20, v21
	v_add_f32_e32 v21, 0x40c00000, v18
	v_add_f32_e32 v22, 0x40a00000, v18
	v_cmp_lt_i32_e64 s4, 5, v17
	s_delay_alu instid0(VALU_DEP_1) | instskip(SKIP_1) | instid1(VALU_DEP_1)
	v_dual_mul_f32 v19, v19, v20 :: v_dual_cndmask_b32 v22, 1.0, v22, s4
	v_cmp_lt_i32_e64 s4, 6, v17
	v_dual_cndmask_b32 v17, 1.0, v21, s4 :: v_dual_mul_f32 v19, v22, v19
	v_fmaak_f32 v21, s21, v18, 0x3af135b4
	s_delay_alu instid0(VALU_DEP_2) | instskip(NEXT) | instid1(VALU_DEP_1)
	v_mul_f32_e32 v17, v17, v19
	v_cmp_gt_f32_e64 s4, 0x800000, v17
	s_delay_alu instid0(VALU_DEP_1) | instskip(NEXT) | instid1(VALU_DEP_1)
	v_cndmask_b32_e64 v20, 0, 32, s4
	v_ldexp_f32 v17, v17, v20
	v_fmaak_f32 v20, v18, v21, 0x3cda40e4
	s_delay_alu instid0(VALU_DEP_2) | instskip(SKIP_1) | instid1(TRANS32_DEP_1)
	v_log_f32_e32 v17, v17
	v_nop
	v_mul_f32_e32 v21, 0x3f317217, v17
	v_cmp_gt_f32_e64 s5, 0x7f800000, |v17|
	s_delay_alu instid0(VALU_DEP_2) | instskip(NEXT) | instid1(VALU_DEP_1)
	v_fma_f32 v22, 0x3f317217, v17, -v21
	v_fmac_f32_e32 v22, 0x3377d1cf, v17
	s_delay_alu instid0(VALU_DEP_1) | instskip(NEXT) | instid1(VALU_DEP_1)
	v_dual_fmaak_f32 v20, v18, v20, 0x3e15dce6 :: v_dual_add_f32 v21, v21, v22
	v_fmaak_f32 v20, v18, v20, 0x3ea6cc7a
	s_delay_alu instid0(VALU_DEP_2) | instskip(NEXT) | instid1(VALU_DEP_2)
	v_cndmask_b32_e64 v17, v17, v21, s5
	v_fmaak_f32 v20, v18, v20, 0x3e5c245a
	s_delay_alu instid0(VALU_DEP_1) | instskip(NEXT) | instid1(VALU_DEP_1)
	v_fmaak_f32 v20, v18, v20, 0xbd9e233f
	v_dual_fmaak_f32 v19, s22, v18, 0x3a4beed6 :: v_dual_mul_f32 v20, v18, v20
	s_delay_alu instid0(VALU_DEP_1) | instskip(NEXT) | instid1(VALU_DEP_1)
	v_fmaak_f32 v19, v18, v19, 0x3c98bf54
	v_fmaak_f32 v19, v18, v19, 0x3e300f6e
	s_delay_alu instid0(VALU_DEP_1) | instskip(NEXT) | instid1(VALU_DEP_1)
	v_fmaak_f32 v19, v18, v19, 0x3f38d0c5
	v_fmaak_f32 v19, v18, v19, 0x3fb22d3b
	s_delay_alu instid0(VALU_DEP_1) | instskip(NEXT) | instid1(VALU_DEP_1)
	v_fma_f32 v19, v18, v19, 1.0
	v_rcp_f32_e32 v19, v19
	v_nop
	s_delay_alu instid0(TRANS32_DEP_1) | instskip(SKIP_1) | instid1(VALU_DEP_1)
	v_mul_f32_e32 v19, v20, v19
	v_cndmask_b32_e64 v20, 0, 0x41b17218, s4
	v_dual_fmac_f32 v19, 0.5, v18 :: v_dual_sub_f32 v17, v17, v20
	s_delay_alu instid0(VALU_DEP_1)
	v_add_f32_e32 v17, v17, v19
.LBB11_128:                             ;   in Loop: Header=BB11_4 Depth=1
	s_or_b32 exec_lo, exec_lo, s36
.LBB11_129:                             ;   in Loop: Header=BB11_4 Depth=1
	s_and_not1_saveexec_b32 s35, s35
	s_cbranch_execz .LBB11_147
; %bb.130:                              ;   in Loop: Header=BB11_4 Depth=1
                                        ; implicit-def: $vgpr17
                                        ; implicit-def: $vgpr19
                                        ; implicit-def: $vgpr18
	s_mov_b32 s5, exec_lo
	v_cmpx_ge_f32_e64 0x3f666666, |v11|
	s_xor_b32 s36, exec_lo, s5
	s_cbranch_execz .LBB11_132
; %bb.131:                              ;   in Loop: Header=BB11_4 Depth=1
	v_cmp_gt_f32_e64 s5, 0x800000, |v11|
	v_sub_f32_e64 v20, 1.0, |v11|
	v_cmp_gt_f32_e64 s4, 0x3f3b4a23, |v11|
	s_delay_alu instid0(VALU_DEP_3) | instskip(SKIP_1) | instid1(VALU_DEP_2)
	v_cndmask_b32_e64 v17, 0, 32, s5
	v_cndmask_b32_e64 v21, 0, 0x41b17218, s5
	v_ldexp_f32 v17, |v11|, v17
	s_delay_alu instid0(VALU_DEP_1) | instskip(SKIP_1) | instid1(TRANS32_DEP_1)
	v_log_f32_e32 v17, v17
	v_nop
	v_mul_f32_e32 v18, 0x3f317217, v17
	v_cmp_gt_f32_e64 s5, 0x7f800000, |v17|
	s_delay_alu instid0(VALU_DEP_2) | instskip(NEXT) | instid1(VALU_DEP_1)
	v_fma_f32 v19, 0x3f317217, v17, -v18
	v_fmac_f32_e32 v19, 0x3377d1cf, v17
	s_delay_alu instid0(VALU_DEP_1) | instskip(SKIP_1) | instid1(VALU_DEP_1)
	v_add_f32_e32 v18, v18, v19
	v_add_f32_e64 v19, 0xbeec5b0c, |v11|
	v_dual_cndmask_b32 v17, v17, v18, s5 :: v_dual_cndmask_b32 v18, v20, v19, s4
	v_cndmask_b32_e64 v19, 0, 1, s4
	v_cmp_gt_f32_e64 s4, 0x3e6d3309, |v11|
	s_delay_alu instid0(VALU_DEP_3) | instskip(NEXT) | instid1(VALU_DEP_2)
	v_sub_f32_e32 v17, v17, v21
	v_cndmask_b32_e64 v18, v18, |v11|, s4
	s_delay_alu instid0(VALU_DEP_4) | instskip(NEXT) | instid1(VALU_DEP_3)
	v_cndmask_b32_e64 v19, v19, 2, s4
	v_xor_b32_e32 v17, 0x80000000, v17
.LBB11_132:                             ;   in Loop: Header=BB11_4 Depth=1
	s_and_not1_saveexec_b32 s5, s36
	s_cbranch_execz .LBB11_134
; %bb.133:                              ;   in Loop: Header=BB11_4 Depth=1
	v_sub_f32_e64 v17, 2.0, |v11|
	v_add_f32_e64 v18, 0xbfbb16c3, |v11|
	v_cmp_gt_f32_e64 s4, 0x3fdda512, |v11|
	v_add_f32_e64 v19, |v11|, -1.0
	s_delay_alu instid0(VALU_DEP_2) | instskip(SKIP_2) | instid1(VALU_DEP_2)
	v_cndmask_b32_e64 v18, v17, v18, s4
	v_cndmask_b32_e64 v17, v17, 1.0, s4
	v_cmp_gt_f32_e64 s4, 0x3f9d70a4, |v11|
	v_cvt_i32_f32_e32 v17, v17
	s_delay_alu instid0(VALU_DEP_2) | instskip(NEXT) | instid1(VALU_DEP_2)
	v_cndmask_b32_e64 v18, v18, v19, s4
	v_cndmask_b32_e64 v19, v17, 2, s4
	v_mov_b32_e32 v17, 0
.LBB11_134:                             ;   in Loop: Header=BB11_4 Depth=1
	s_or_b32 exec_lo, exec_lo, s5
	s_delay_alu instid0(SALU_CYCLE_1) | instskip(NEXT) | instid1(VALU_DEP_2)
	s_mov_b32 s5, exec_lo
	v_cmpx_lt_i32_e32 0, v19
	s_xor_b32 s5, exec_lo, s5
	s_cbranch_execz .LBB11_142
; %bb.135:                              ;   in Loop: Header=BB11_4 Depth=1
	s_mov_b32 s36, exec_lo
	v_cmpx_lt_i32_e32 1, v19
	s_xor_b32 s36, exec_lo, s36
	s_cbranch_execz .LBB11_139
; %bb.136:                              ;   in Loop: Header=BB11_4 Depth=1
	s_mov_b32 s37, exec_lo
	v_cmpx_eq_u32_e32 2, v19
	s_cbranch_execz .LBB11_138
; %bb.137:                              ;   in Loop: Header=BB11_4 Depth=1
	v_fmaak_f32 v20, s23, v18, 0x3e6a7578
	s_delay_alu instid0(VALU_DEP_1) | instskip(NEXT) | instid1(VALU_DEP_1)
	v_fmaak_f32 v20, v18, v20, 0x3f7a4bb2
	v_fmaak_f32 v20, v18, v20, 0x3fba3ae7
	s_delay_alu instid0(VALU_DEP_1) | instskip(NEXT) | instid1(VALU_DEP_1)
	v_fmaak_f32 v20, v18, v20, 0x3f2200f4
	v_fmaak_f32 v20, v18, v20, 0xbd9e233f
	s_delay_alu instid0(VALU_DEP_1) | instskip(NEXT) | instid1(VALU_DEP_1)
	v_dual_fmaak_f32 v19, s24, v18, 0x3dd572af :: v_dual_mul_f32 v20, v18, v20
	v_fmaak_f32 v19, v18, v19, 0x3f44efdf
	s_delay_alu instid0(VALU_DEP_1) | instskip(NEXT) | instid1(VALU_DEP_1)
	v_fmaak_f32 v19, v18, v19, 0x4008392d
	v_fmaak_f32 v19, v18, v19, 0x401d2ebe
	s_delay_alu instid0(VALU_DEP_1) | instskip(NEXT) | instid1(VALU_DEP_1)
	v_fma_f32 v19, v18, v19, 1.0
	v_rcp_f32_e32 v19, v19
	v_nop
	s_delay_alu instid0(TRANS32_DEP_1) | instskip(NEXT) | instid1(VALU_DEP_1)
	v_mul_f32_e32 v19, v20, v19
	v_fmac_f32_e32 v19, -0.5, v18
	s_delay_alu instid0(VALU_DEP_1)
	v_add_f32_e32 v17, v17, v19
.LBB11_138:                             ;   in Loop: Header=BB11_4 Depth=1
	s_or_b32 exec_lo, exec_lo, s37
                                        ; implicit-def: $vgpr18
.LBB11_139:                             ;   in Loop: Header=BB11_4 Depth=1
	s_and_not1_saveexec_b32 s4, s36
	s_cbranch_execz .LBB11_141
; %bb.140:                              ;   in Loop: Header=BB11_4 Depth=1
	v_mul_f32_e32 v19, v18, v18
	s_delay_alu instid0(VALU_DEP_1) | instskip(NEXT) | instid1(VALU_DEP_1)
	v_mul_f32_e32 v20, v18, v19
	v_fmaak_f32 v21, s26, v20, 0x3a66f867
	v_fmaak_f32 v22, s27, v20, 0xba0d3085
	s_delay_alu instid0(VALU_DEP_2) | instskip(NEXT) | instid1(VALU_DEP_2)
	v_fmaak_f32 v21, v20, v21, 0xbb7177fe
	v_fmaak_f32 v22, v20, v22, 0x3b141699
	s_delay_alu instid0(VALU_DEP_2) | instskip(NEXT) | instid1(VALU_DEP_2)
	;; [unrolled: 3-line block ×3, first 2 shown]
	v_fmaak_f32 v21, v20, v21, 0xbe17213c
	v_fmaak_f32 v22, v20, v22, 0x3d845a15
	s_delay_alu instid0(VALU_DEP_1) | instskip(SKIP_1) | instid1(VALU_DEP_1)
	v_fmac_f32_e32 v21, v18, v22
	v_fmaak_f32 v23, s25, v20, 0xbab7f476
	v_fmaak_f32 v23, v20, v23, 0x3bc7e707
	s_delay_alu instid0(VALU_DEP_1) | instskip(NEXT) | instid1(VALU_DEP_1)
	v_fmaak_f32 v23, v20, v23, 0xbd064d47
	v_fmaak_f32 v18, v20, v23, 0x3ef7b95e
	v_fma_f32 v20, v20, -v21, 0xa2863e55
	s_delay_alu instid0(VALU_DEP_1) | instskip(NEXT) | instid1(VALU_DEP_1)
	v_fma_f32 v18, v19, v18, -v20
	v_add_f32_e32 v18, 0xbdf8cdce, v18
	s_delay_alu instid0(VALU_DEP_1)
	v_add_f32_e32 v17, v17, v18
.LBB11_141:                             ;   in Loop: Header=BB11_4 Depth=1
	s_or_b32 exec_lo, exec_lo, s4
                                        ; implicit-def: $vgpr19
                                        ; implicit-def: $vgpr18
.LBB11_142:                             ;   in Loop: Header=BB11_4 Depth=1
	s_and_not1_saveexec_b32 s5, s5
	s_cbranch_execz .LBB11_146
; %bb.143:                              ;   in Loop: Header=BB11_4 Depth=1
	s_mov_b32 s36, exec_lo
	v_cmpx_eq_u32_e32 0, v19
	s_cbranch_execz .LBB11_145
; %bb.144:                              ;   in Loop: Header=BB11_4 Depth=1
	v_mul_f32_e32 v19, v18, v18
	s_delay_alu instid0(VALU_DEP_1) | instskip(NEXT) | instid1(VALU_DEP_1)
	v_fmaak_f32 v21, s28, v19, 0x39679767
	v_fmaak_f32 v21, v19, v21, 0x3a9c54a1
	s_delay_alu instid0(VALU_DEP_1) | instskip(NEXT) | instid1(VALU_DEP_1)
	v_fmaak_f32 v21, v19, v21, 0x3bf2027e
	v_fmaak_f32 v21, v19, v21, 0x3d89f001
	s_delay_alu instid0(VALU_DEP_1) | instskip(SKIP_1) | instid1(VALU_DEP_1)
	v_fmaak_f32 v21, v19, v21, 0x3d9e233f
	v_fmaak_f32 v20, s29, v19, 0x38e28445
	;; [unrolled: 1-line block ×3, first 2 shown]
	s_delay_alu instid0(VALU_DEP_1) | instskip(NEXT) | instid1(VALU_DEP_1)
	v_fmaak_f32 v20, v19, v20, 0x3b3d6ec6
	v_fmaak_f32 v20, v19, v20, 0x3ca89915
	s_delay_alu instid0(VALU_DEP_1) | instskip(NEXT) | instid1(VALU_DEP_1)
	v_fmaak_f32 v20, v19, v20, 0x3ea51a66
	v_mul_f32_e32 v19, v19, v20
	s_delay_alu instid0(VALU_DEP_1) | instskip(NEXT) | instid1(VALU_DEP_1)
	v_fmac_f32_e32 v19, v18, v21
	v_fmac_f32_e32 v19, -0.5, v18
	s_delay_alu instid0(VALU_DEP_1)
	v_add_f32_e32 v17, v17, v19
.LBB11_145:                             ;   in Loop: Header=BB11_4 Depth=1
	s_or_b32 exec_lo, exec_lo, s36
.LBB11_146:                             ;   in Loop: Header=BB11_4 Depth=1
	s_delay_alu instid0(SALU_CYCLE_1)
	s_or_b32 exec_lo, exec_lo, s5
.LBB11_147:                             ;   in Loop: Header=BB11_4 Depth=1
	s_delay_alu instid0(SALU_CYCLE_1)
	s_or_b32 exec_lo, exec_lo, s35
.LBB11_148:                             ;   in Loop: Header=BB11_4 Depth=1
	s_and_not1_saveexec_b32 s5, s6
	s_cbranch_execz .LBB11_150
; %bb.149:                              ;   in Loop: Header=BB11_4 Depth=1
	v_cmp_gt_f32_e64 s6, 0x800000, |v11|
	v_fma_f32 v20, |v11|, s30, 0xbecd26ab
	s_delay_alu instid0(VALU_DEP_2) | instskip(NEXT) | instid1(VALU_DEP_1)
	v_cndmask_b32_e64 v17, 0, 32, s6
	v_ldexp_f32 v17, |v11|, v17
	s_delay_alu instid0(VALU_DEP_1) | instskip(SKIP_1) | instid1(TRANS32_DEP_1)
	v_log_f32_e32 v17, v17
	v_nop
	v_mul_f32_e32 v18, 0x3f317217, v17
	v_cmp_gt_f32_e64 s4, 0x7f800000, |v17|
	s_delay_alu instid0(VALU_DEP_2) | instskip(NEXT) | instid1(VALU_DEP_1)
	v_fma_f32 v19, 0x3f317217, v17, -v18
	v_fmac_f32_e32 v19, 0x3377d1cf, v17
	s_delay_alu instid0(VALU_DEP_1) | instskip(SKIP_1) | instid1(VALU_DEP_2)
	v_add_f32_e32 v18, v18, v19
	v_fma_f32 v19, |v11|, v20, 0x3f528d33
	v_cndmask_b32_e64 v17, v17, v18, s4
	v_cndmask_b32_e64 v18, 0, 0x41b17218, s6
	s_delay_alu instid0(VALU_DEP_3) | instskip(NEXT) | instid1(VALU_DEP_2)
	v_fma_f32 v19, |v11|, v19, 0xbf13c468
	v_sub_f32_e32 v17, v17, v18
	s_delay_alu instid0(VALU_DEP_1)
	v_fma_f32 v17, |v11|, v19, -v17
.LBB11_150:                             ;   in Loop: Header=BB11_4 Depth=1
	s_or_b32 exec_lo, exec_lo, s5
	v_cmp_le_f32_e64 s4, 0, v11
	s_mov_b32 s6, exec_lo
	v_cmpx_nle_f32_e32 0, v11
	s_xor_b32 s35, exec_lo, s6
	s_cbranch_execz .LBB11_154
; %bb.151:                              ;   in Loop: Header=BB11_4 Depth=1
	v_cmp_gt_f32_e64 s5, 0x4b000000, |v11|
	v_cmp_lt_f32_e64 s6, 0x35000000, |v11|
	s_and_b32 s5, s5, s6
	s_delay_alu instid0(SALU_CYCLE_1)
	s_and_saveexec_b32 s36, s5
	s_cbranch_execz .LBB11_153
; %bb.152:                              ;   in Loop: Header=BB11_4 Depth=1
	v_mul_f32_e64 v18, |v11|, 0.5
	s_delay_alu instid0(VALU_DEP_1) | instskip(SKIP_1) | instid1(VALU_DEP_2)
	v_floor_f32_e32 v19, v18
	v_cmp_neq_f32_e64 s5, 0x7f800000, v18
	v_sub_f32_e32 v19, v18, v19
	s_delay_alu instid0(VALU_DEP_1) | instskip(NEXT) | instid1(VALU_DEP_1)
	v_min_num_f32_e32 v19, 0x3f7fffff, v19
	v_add_f32_e32 v19, v19, v19
	s_delay_alu instid0(VALU_DEP_1) | instskip(SKIP_1) | instid1(VALU_DEP_1)
	v_cndmask_b32_e64 v18, 0, v19, s5
	v_cmp_gt_f32_e64 s5, |v11|, 1.0
	v_cndmask_b32_e64 v18, |v11|, v18, s5
	s_delay_alu instid0(VALU_DEP_1) | instskip(NEXT) | instid1(VALU_DEP_1)
	v_add_f32_e32 v19, v18, v18
	v_rndne_f32_e32 v19, v19
	s_delay_alu instid0(VALU_DEP_1) | instskip(SKIP_1) | instid1(VALU_DEP_2)
	v_fmac_f32_e32 v18, -0.5, v19
	v_cvt_i32_f32_e32 v19, v19
	v_mul_f32_e32 v20, v18, v18
	s_delay_alu instid0(VALU_DEP_1) | instskip(SKIP_1) | instid1(VALU_DEP_2)
	v_fmaak_f32 v21, s31, v20, 0xbf1f24be
	v_dual_fmaak_f32 v22, s33, v20, 0x3e642e9d :: v_dual_mul_f32 v23, v18, v20
	v_fmaak_f32 v21, v20, v21, 0x40234736
	s_delay_alu instid0(VALU_DEP_2) | instskip(NEXT) | instid1(VALU_DEP_2)
	v_fmaak_f32 v22, v20, v22, 0xbfaad1da
	v_fmaak_f32 v21, v20, v21, 0xc0a55e0e
	s_delay_alu instid0(VALU_DEP_1) | instskip(NEXT) | instid1(VALU_DEP_1)
	v_mul_f32_e32 v21, v23, v21
	v_fmac_f32_e32 v21, 0x40490fdb, v18
	v_dual_lshlrev_b32 v19, 30, v19 :: v_dual_bitop2_b32 v23, 1, v19 bitop3:0x40
	v_fmaak_f32 v22, v20, v22, 0x4081e0d3
	s_delay_alu instid0(VALU_DEP_2) | instskip(NEXT) | instid1(VALU_DEP_3)
	v_cmp_eq_u32_e64 s5, 0, v23
	v_and_or_b32 v16, 0x80000000, v19, v16
	s_delay_alu instid0(VALU_DEP_3) | instskip(NEXT) | instid1(VALU_DEP_1)
	v_fmaak_f32 v22, v20, v22, 0xc09de9e6
	v_fma_f32 v18, v20, v22, 1.0
	s_delay_alu instid0(VALU_DEP_1) | instskip(NEXT) | instid1(VALU_DEP_1)
	v_cndmask_b32_e64 v18, v18, v21, s5
	v_xor3_b32 v16, v16, v18, v11
	s_delay_alu instid0(VALU_DEP_1) | instskip(NEXT) | instid1(VALU_DEP_1)
	v_mul_f32_e32 v16, v11, v16
	v_frexp_mant_f32_e64 v18, |v16|
	v_frexp_exp_i32_f32_e32 v16, v16
	s_delay_alu instid0(VALU_DEP_2) | instskip(NEXT) | instid1(VALU_DEP_1)
	v_rcp_f32_e32 v18, v18
	v_sub_nc_u32_e32 v16, 2, v16
	s_delay_alu instid0(TRANS32_DEP_1) | instskip(NEXT) | instid1(VALU_DEP_1)
	v_mul_f32_e32 v18, 0x3f490fdb, v18
	v_ldexp_f32 v16, v18, v16
	s_delay_alu instid0(VALU_DEP_1) | instskip(NEXT) | instid1(VALU_DEP_1)
	v_cmp_gt_f32_e64 s5, 0x800000, v16
	v_cndmask_b32_e64 v18, 0, 32, s5
	s_delay_alu instid0(VALU_DEP_1) | instskip(NEXT) | instid1(VALU_DEP_1)
	v_ldexp_f32 v16, v16, v18
	v_log_f32_e32 v16, v16
	v_nop
	s_delay_alu instid0(TRANS32_DEP_1) | instskip(SKIP_1) | instid1(VALU_DEP_2)
	v_mul_f32_e32 v18, 0x3f317217, v16
	v_cmp_gt_f32_e64 s6, 0x7f800000, |v16|
	v_fma_f32 v19, 0x3f317217, v16, -v18
	s_delay_alu instid0(VALU_DEP_1) | instskip(NEXT) | instid1(VALU_DEP_1)
	v_fmac_f32_e32 v19, 0x3377d1cf, v16
	v_add_f32_e32 v18, v18, v19
	v_floor_f32_e32 v19, v11
	s_delay_alu instid0(VALU_DEP_2) | instskip(SKIP_1) | instid1(VALU_DEP_1)
	v_cndmask_b32_e64 v16, v16, v18, s6
	v_cndmask_b32_e64 v18, 0, 0x41b17218, s5
	v_dual_sub_f32 v19, v11, v19 :: v_dual_sub_f32 v16, v16, v18
	s_delay_alu instid0(VALU_DEP_1) | instskip(NEXT) | instid1(VALU_DEP_2)
	v_min_num_f32_e32 v18, 0x3f7fffff, v19
	v_sub_f32_e32 v16, v16, v17
	s_delay_alu instid0(VALU_DEP_2) | instskip(NEXT) | instid1(VALU_DEP_1)
	v_cmp_neq_f32_e64 s5, 0, v18
	v_cndmask_b32_e64 v17, 0x7f800000, v16, s5
.LBB11_153:                             ;   in Loop: Header=BB11_4 Depth=1
	s_or_b32 exec_lo, exec_lo, s36
.LBB11_154:                             ;   in Loop: Header=BB11_4 Depth=1
	s_and_not1_saveexec_b32 s35, s35
	s_cbranch_execz .LBB11_3
; %bb.155:                              ;   in Loop: Header=BB11_4 Depth=1
	v_cmp_eq_f32_e64 s5, 1.0, v11
	v_cmp_eq_f32_e64 s6, 2.0, v11
	s_or_b32 s5, s5, s6
	s_delay_alu instid0(SALU_CYCLE_1)
	v_cndmask_b32_e64 v17, v17, 0, s5
	s_branch .LBB11_3
.LBB11_156:
	s_or_b32 exec_lo, exec_lo, s7
	s_mov_b32 s2, 0
.LBB11_157:
	s_delay_alu instid0(SALU_CYCLE_1)
	s_and_not1_b32 vcc_lo, exec_lo, s2
	s_cbranch_vccnz .LBB11_329
; %bb.158:
	v_cmp_lt_i64_e64 s2, s[14:15], 1
	s_and_b32 vcc_lo, exec_lo, s2
	s_cbranch_vccnz .LBB11_329
; %bb.159:
	s_load_b32 s0, s[0:1], 0xc5c
	v_min_i64 v[2:3], 0x10000, s[14:15]
	v_min_u64 v[4:5], 0x10000, s[14:15]
	v_dual_mov_b32 v1, 0 :: v_dual_lshlrev_b32 v12, 1, v0
	s_wait_xcnt 0x0
	s_mov_b32 s1, 0
	v_mov_b64_e32 v[28:29], 0x4040000040000000
	s_mov_b32 s17, s1
	v_dual_mov_b32 v13, v1 :: v_dual_mov_b32 v27, v1
	s_mov_b32 s3, s1
	s_mov_b32 s5, s1
	s_mov_b64 s[14:15], 0
	s_delay_alu instid0(VALU_DEP_1)
	v_add_nc_u64_e32 v[6:7], s[8:9], v[12:13]
	v_add_nc_u64_e32 v[8:9], s[12:13], v[12:13]
	s_mov_b32 s20, 0xbad5c4e8
	s_mov_b32 s21, 0x3805ff67
	s_mov_b32 s22, 0x36f5d7bd
	s_mov_b32 s19, s1
	s_mov_b32 s23, 0xb9a3f927
	s_wait_kmcnt 0x0
	s_and_b32 s0, s0, 0xffff
	s_mov_b32 s24, 0x39afe9f7
	v_add_nc_u64_e32 v[10:11], s[0:1], v[0:1]
	v_mad_nc_u64_u32 v[22:23], s0, 6, v[12:13]
	s_lshl_b32 s16, s0, 2
	s_lshl_b32 s2, s0, 1
	v_add_nc_u64_e32 v[18:19], s[16:17], v[12:13]
	s_mul_i32 s4, s0, 3
	v_add_nc_u64_e32 v[14:15], s[2:3], v[0:1]
	v_lshlrev_b32_e32 v26, 1, v10
	v_add_nc_u64_e32 v[12:13], s[4:5], v[0:1]
	s_lshl_b32 s18, s0, 3
	s_mov_b32 s25, 0x37d383a2
	v_add_nc_u64_e32 v[16:17], s[8:9], v[18:19]
	v_add_nc_u64_e32 v[18:19], s[12:13], v[18:19]
	;; [unrolled: 1-line block ×6, first 2 shown]
	s_mov_b32 s9, 0x3c5b3c5e
	s_mov_b32 s12, 0x3b52d5db
	;; [unrolled: 1-line block ×7, first 2 shown]
	s_branch .LBB11_161
.LBB11_160:                             ;   in Loop: Header=BB11_161 Depth=1
	s_wait_xcnt 0x0
	s_or_b32 exec_lo, exec_lo, s0
	s_add_nc_u64 s[14:15], s[14:15], s[16:17]
	v_add_nc_u64_e32 v[6:7], s[18:19], v[6:7]
	v_cmp_ge_i64_e32 vcc_lo, s[14:15], v[2:3]
	v_add_nc_u64_e32 v[8:9], s[18:19], v[8:9]
	v_add_nc_u64_e32 v[20:21], s[18:19], v[20:21]
	v_add_nc_u64_e32 v[22:23], s[18:19], v[22:23]
	v_add_nc_u64_e32 v[16:17], s[18:19], v[16:17]
	v_add_nc_u64_e32 v[18:19], s[18:19], v[18:19]
	v_add_nc_u64_e32 v[24:25], s[18:19], v[24:25]
	v_add_nc_u64_e32 v[26:27], s[18:19], v[26:27]
	s_cbranch_vccnz .LBB11_329
.LBB11_161:                             ; =>This Inner Loop Header: Depth=1
	v_add_nc_u64_e32 v[30:31], s[14:15], v[0:1]
	v_mov_b32_e32 v33, 0
	s_delay_alu instid0(VALU_DEP_2)
	v_cmp_lt_u64_e64 s2, v[30:31], v[4:5]
	s_and_saveexec_b32 s0, s2
	s_cbranch_execz .LBB11_163
; %bb.162:                              ;   in Loop: Header=BB11_161 Depth=1
	v_add_nc_u64_e32 v[30:31], s[10:11], v[6:7]
	global_load_u16 v30, v[30:31], off
	s_wait_loadcnt 0x0
	v_lshlrev_b32_e32 v33, 16, v30
.LBB11_163:                             ;   in Loop: Header=BB11_161 Depth=1
	s_wait_xcnt 0x0
	s_or_b32 exec_lo, exec_lo, s0
	v_add_nc_u64_e32 v[30:31], s[14:15], v[10:11]
	v_mov_b32_e32 v32, 0
	s_delay_alu instid0(VALU_DEP_2)
	v_cmp_lt_u64_e64 s1, v[30:31], v[4:5]
	v_mov_b32_e32 v30, 0
	s_and_saveexec_b32 s0, s1
	s_cbranch_execz .LBB11_165
; %bb.164:                              ;   in Loop: Header=BB11_161 Depth=1
	v_add_nc_u64_e32 v[34:35], s[10:11], v[24:25]
	global_load_u16 v31, v[34:35], off
	s_wait_loadcnt 0x0
	v_lshlrev_b32_e32 v32, 16, v31
.LBB11_165:                             ;   in Loop: Header=BB11_161 Depth=1
	s_wait_xcnt 0x0
	s_or_b32 exec_lo, exec_lo, s0
	v_add_nc_u64_e32 v[34:35], s[14:15], v[14:15]
	s_delay_alu instid0(VALU_DEP_1)
	v_cmp_lt_u64_e64 s0, v[34:35], v[4:5]
	s_and_saveexec_b32 s3, s0
	s_cbranch_execz .LBB11_167
; %bb.166:                              ;   in Loop: Header=BB11_161 Depth=1
	v_add_nc_u64_e32 v[30:31], s[10:11], v[16:17]
	global_load_u16 v30, v[30:31], off
	s_wait_loadcnt 0x0
	v_lshlrev_b32_e32 v30, 16, v30
.LBB11_167:                             ;   in Loop: Header=BB11_161 Depth=1
	s_or_b32 exec_lo, exec_lo, s3
	v_add_nc_u64_e32 v[34:35], s[14:15], v[12:13]
	v_mov_b32_e32 v31, 0
	s_delay_alu instid0(VALU_DEP_2)
	v_cmp_lt_u64_e32 vcc_lo, v[34:35], v[4:5]
	s_and_saveexec_b32 s3, vcc_lo
	s_cbranch_execz .LBB11_169
; %bb.168:                              ;   in Loop: Header=BB11_161 Depth=1
	v_add_nc_u64_e32 v[34:35], s[10:11], v[20:21]
	global_load_u16 v31, v[34:35], off
	s_wait_loadcnt 0x0
	v_lshlrev_b32_e32 v31, 16, v31
.LBB11_169:                             ;   in Loop: Header=BB11_161 Depth=1
	s_wait_xcnt 0x0
	s_or_b32 exec_lo, exec_lo, s3
	v_and_b32_e32 v35, 0x7fffffff, v33
                                        ; implicit-def: $vgpr34
	s_mov_b32 s4, exec_lo
	v_cmpx_ngt_f32_e64 0x3c800000, |v33|
	s_xor_b32 s5, exec_lo, s4
	s_cbranch_execz .LBB11_199
; %bb.170:                              ;   in Loop: Header=BB11_161 Depth=1
                                        ; implicit-def: $vgpr34
	s_mov_b32 s4, exec_lo
	v_cmpx_nlt_f32_e64 |v33|, 2.0
	s_xor_b32 s6, exec_lo, s4
	s_cbranch_execz .LBB11_180
; %bb.171:                              ;   in Loop: Header=BB11_161 Depth=1
	s_mov_b32 s4, exec_lo
                                        ; implicit-def: $vgpr34
	v_cmpx_ngt_f32_e64 0x41000000, |v33|
	s_xor_b32 s4, exec_lo, s4
	s_cbranch_execz .LBB11_177
; %bb.172:                              ;   in Loop: Header=BB11_161 Depth=1
	s_mov_b32 s7, exec_lo
                                        ; implicit-def: $vgpr34
	v_cmpx_ngt_f32_e64 0x5c800000, |v33|
	s_xor_b32 s7, exec_lo, s7
	s_cbranch_execz .LBB11_174
; %bb.173:                              ;   in Loop: Header=BB11_161 Depth=1
	v_cmp_gt_f32_e64 s8, 0x800000, |v33|
	s_delay_alu instid0(VALU_DEP_1) | instskip(NEXT) | instid1(VALU_DEP_1)
	v_cndmask_b32_e64 v34, 0, 32, s8
	v_ldexp_f32 v34, |v33|, v34
	s_delay_alu instid0(VALU_DEP_1) | instskip(SKIP_1) | instid1(TRANS32_DEP_1)
	v_log_f32_e32 v34, v34
	v_nop
	v_mul_f32_e32 v36, 0x3f317217, v34
	v_cmp_gt_f32_e64 s3, 0x7f800000, |v34|
	s_delay_alu instid0(VALU_DEP_2) | instskip(NEXT) | instid1(VALU_DEP_1)
	v_fma_f32 v37, 0x3f317217, v34, -v36
	v_fmac_f32_e32 v37, 0x3377d1cf, v34
	s_delay_alu instid0(VALU_DEP_1) | instskip(NEXT) | instid1(VALU_DEP_1)
	v_add_f32_e32 v36, v36, v37
	v_cndmask_b32_e64 v34, v34, v36, s3
	v_cndmask_b32_e64 v36, 0, 0x41b17218, s8
	s_delay_alu instid0(VALU_DEP_1) | instskip(NEXT) | instid1(VALU_DEP_1)
	v_sub_f32_e32 v34, v34, v36
	v_fma_f32 v34, |v33|, v34, -|v33|
.LBB11_174:                             ;   in Loop: Header=BB11_161 Depth=1
	s_and_not1_saveexec_b32 s7, s7
	s_cbranch_execz .LBB11_176
; %bb.175:                              ;   in Loop: Header=BB11_161 Depth=1
	v_cmp_gt_f32_e64 s8, 0x800000, |v33|
	v_rcp_f32_e64 v36, |v33|
	s_delay_alu instid0(VALU_DEP_1) | instskip(NEXT) | instid1(VALU_DEP_1)
	v_cndmask_b32_e64 v34, 0, 32, s8
	v_ldexp_f32 v34, |v33|, v34
	s_delay_alu instid0(VALU_DEP_1) | instskip(SKIP_1) | instid1(TRANS32_DEP_1)
	v_log_f32_e32 v34, v34
	v_nop
	v_dual_mul_f32 v37, v36, v36 :: v_dual_mul_f32 v38, 0x3f317217, v34
	v_cmp_gt_f32_e64 s3, 0x7f800000, |v34|
	s_delay_alu instid0(VALU_DEP_2) | instskip(NEXT) | instid1(VALU_DEP_1)
	v_fma_f32 v40, 0x3f317217, v34, -v38
	v_fmac_f32_e32 v40, 0x3377d1cf, v34
	s_delay_alu instid0(VALU_DEP_1) | instskip(NEXT) | instid1(VALU_DEP_1)
	v_dual_fmaak_f32 v39, s20, v37, 0x3a5b3dd2 :: v_dual_add_f32 v38, v38, v40
	v_cndmask_b32_e64 v34, v34, v38, s3
	v_cndmask_b32_e64 v38, 0, 0x41b17218, s8
	s_delay_alu instid0(VALU_DEP_1) | instskip(NEXT) | instid1(VALU_DEP_1)
	v_dual_fmaak_f32 v39, v37, v39, 0xba1c065c :: v_dual_sub_f32 v38, v34, v38
	v_fmaak_f32 v39, v37, v39, 0x3a500cfd
	s_delay_alu instid0(VALU_DEP_1) | instskip(NEXT) | instid1(VALU_DEP_1)
	v_fmaak_f32 v39, v37, v39, 0xbb360b61
	v_fmaak_f32 v37, v37, v39, 0x3daaaaab
	s_delay_alu instid0(VALU_DEP_1) | instskip(SKIP_2) | instid1(VALU_DEP_1)
	v_fmaak_f32 v34, v36, v37, 0x3ed67f1d
	v_add_f32_e64 v36, |v33|, -0.5
	v_add_f32_e32 v37, -1.0, v38
	v_fmac_f32_e32 v34, v36, v37
.LBB11_176:                             ;   in Loop: Header=BB11_161 Depth=1
	s_or_b32 exec_lo, exec_lo, s7
.LBB11_177:                             ;   in Loop: Header=BB11_161 Depth=1
	s_and_not1_saveexec_b32 s7, s4
	s_cbranch_execz .LBB11_179
; %bb.178:                              ;   in Loop: Header=BB11_161 Depth=1
	v_cvt_i32_f32_e32 v38, v35
	s_delay_alu instid0(VALU_DEP_1) | instskip(SKIP_1) | instid1(VALU_DEP_2)
	v_cvt_f32_i32_e32 v34, v38
	v_cmp_lt_i32_e64 s3, 3, v38
	v_sub_f32_e64 v34, |v33|, v34
	s_delay_alu instid0(VALU_DEP_1) | instskip(SKIP_1) | instid1(VALU_DEP_2)
	v_pk_add_f32 v[36:37], v[34:35], v[28:29] op_sel_hi:[0,1]
	v_dual_add_f32 v39, 4.0, v34 :: v_dual_add_f32 v40, 0x40a00000, v34
	v_cndmask_b32_e64 v37, 1.0, v37, s3
	v_cmp_lt_i32_e64 s3, 2, v38
	s_delay_alu instid0(VALU_DEP_1) | instskip(SKIP_1) | instid1(VALU_DEP_1)
	v_cndmask_b32_e64 v36, 1.0, v36, s3
	v_cmp_lt_i32_e64 s3, 4, v38
	v_dual_cndmask_b32 v39, 1.0, v39, s3 :: v_dual_mul_f32 v36, v36, v37
	v_add_f32_e32 v37, 0x40c00000, v34
	v_cmp_lt_i32_e64 s3, 5, v38
	s_delay_alu instid0(VALU_DEP_3) | instskip(NEXT) | instid1(VALU_DEP_2)
	v_dual_mul_f32 v36, v39, v36 :: v_dual_fmaak_f32 v39, s21, v34, 0x3af135b4
	v_cndmask_b32_e64 v40, 1.0, v40, s3
	v_cmp_lt_i32_e64 s3, 6, v38
	s_delay_alu instid0(VALU_DEP_1) | instskip(NEXT) | instid1(VALU_DEP_1)
	v_dual_cndmask_b32 v37, 1.0, v37, s3 :: v_dual_mul_f32 v36, v40, v36
	v_dual_mul_f32 v36, v37, v36 :: v_dual_fmaak_f32 v37, s22, v34, 0x3a4beed6
	s_delay_alu instid0(VALU_DEP_1) | instskip(NEXT) | instid1(VALU_DEP_2)
	v_fmaak_f32 v37, v34, v37, 0x3c98bf54
	v_cmp_gt_f32_e64 s3, 0x800000, v36
	s_delay_alu instid0(VALU_DEP_1) | instskip(NEXT) | instid1(VALU_DEP_1)
	v_cndmask_b32_e64 v38, 0, 32, s3
	v_ldexp_f32 v36, v36, v38
	v_fmaak_f32 v38, v34, v39, 0x3cda40e4
	s_delay_alu instid0(VALU_DEP_2) | instskip(SKIP_1) | instid1(TRANS32_DEP_1)
	v_log_f32_e32 v36, v36
	v_nop
	v_mul_f32_e32 v39, 0x3f317217, v36
	v_cmp_gt_f32_e64 s4, 0x7f800000, |v36|
	s_delay_alu instid0(VALU_DEP_2) | instskip(NEXT) | instid1(VALU_DEP_1)
	v_fma_f32 v40, 0x3f317217, v36, -v39
	v_fmac_f32_e32 v40, 0x3377d1cf, v36
	s_delay_alu instid0(VALU_DEP_1) | instskip(NEXT) | instid1(VALU_DEP_1)
	v_dual_add_f32 v39, v39, v40 :: v_dual_fmaak_f32 v38, v34, v38, 0x3e15dce6
	v_cndmask_b32_e64 v36, v36, v39, s4
	s_delay_alu instid0(VALU_DEP_2) | instskip(NEXT) | instid1(VALU_DEP_1)
	v_fmaak_f32 v38, v34, v38, 0x3ea6cc7a
	v_fmaak_f32 v38, v34, v38, 0x3e5c245a
	s_delay_alu instid0(VALU_DEP_1) | instskip(NEXT) | instid1(VALU_DEP_1)
	v_fmaak_f32 v38, v34, v38, 0xbd9e233f
	v_dual_fmaak_f32 v37, v34, v37, 0x3e300f6e :: v_dual_mul_f32 v38, v34, v38
	s_delay_alu instid0(VALU_DEP_1) | instskip(NEXT) | instid1(VALU_DEP_1)
	v_fmaak_f32 v37, v34, v37, 0x3f38d0c5
	v_fmaak_f32 v37, v34, v37, 0x3fb22d3b
	s_delay_alu instid0(VALU_DEP_1) | instskip(NEXT) | instid1(VALU_DEP_1)
	v_fma_f32 v37, v34, v37, 1.0
	v_rcp_f32_e32 v37, v37
	v_nop
	s_delay_alu instid0(TRANS32_DEP_1) | instskip(SKIP_1) | instid1(VALU_DEP_2)
	v_mul_f32_e32 v37, v38, v37
	v_cndmask_b32_e64 v38, 0, 0x41b17218, s3
	v_fmac_f32_e32 v37, 0.5, v34
	s_delay_alu instid0(VALU_DEP_2) | instskip(NEXT) | instid1(VALU_DEP_1)
	v_sub_f32_e32 v34, v36, v38
	v_add_f32_e32 v34, v34, v37
.LBB11_179:                             ;   in Loop: Header=BB11_161 Depth=1
	s_or_b32 exec_lo, exec_lo, s7
.LBB11_180:                             ;   in Loop: Header=BB11_161 Depth=1
	s_and_not1_saveexec_b32 s6, s6
	s_cbranch_execz .LBB11_198
; %bb.181:                              ;   in Loop: Header=BB11_161 Depth=1
                                        ; implicit-def: $vgpr34
                                        ; implicit-def: $vgpr37
                                        ; implicit-def: $vgpr36
	s_mov_b32 s4, exec_lo
	v_cmpx_ge_f32_e64 0x3f666666, |v33|
	s_xor_b32 s7, exec_lo, s4
	s_cbranch_execz .LBB11_183
; %bb.182:                              ;   in Loop: Header=BB11_161 Depth=1
	v_cmp_gt_f32_e64 s4, 0x800000, |v33|
	v_sub_f32_e64 v38, 1.0, |v33|
	v_cmp_gt_f32_e64 s3, 0x3f3b4a23, |v33|
	s_delay_alu instid0(VALU_DEP_3) | instskip(SKIP_1) | instid1(VALU_DEP_2)
	v_cndmask_b32_e64 v34, 0, 32, s4
	v_cndmask_b32_e64 v39, 0, 0x41b17218, s4
	v_ldexp_f32 v34, |v33|, v34
	s_delay_alu instid0(VALU_DEP_1) | instskip(SKIP_1) | instid1(TRANS32_DEP_1)
	v_log_f32_e32 v34, v34
	v_nop
	v_mul_f32_e32 v36, 0x3f317217, v34
	v_cmp_gt_f32_e64 s4, 0x7f800000, |v34|
	s_delay_alu instid0(VALU_DEP_2) | instskip(NEXT) | instid1(VALU_DEP_1)
	v_fma_f32 v37, 0x3f317217, v34, -v36
	v_fmac_f32_e32 v37, 0x3377d1cf, v34
	s_delay_alu instid0(VALU_DEP_1) | instskip(SKIP_1) | instid1(VALU_DEP_2)
	v_add_f32_e32 v36, v36, v37
	v_add_f32_e64 v37, 0xbeec5b0c, |v33|
	v_cndmask_b32_e64 v34, v34, v36, s4
	s_delay_alu instid0(VALU_DEP_2) | instskip(SKIP_2) | instid1(VALU_DEP_4)
	v_cndmask_b32_e64 v36, v38, v37, s3
	v_cndmask_b32_e64 v37, 0, 1, s3
	v_cmp_gt_f32_e64 s3, 0x3e6d3309, |v33|
	v_sub_f32_e32 v34, v34, v39
	s_delay_alu instid0(VALU_DEP_2) | instskip(NEXT) | instid1(VALU_DEP_4)
	v_cndmask_b32_e64 v36, v36, |v33|, s3
	v_cndmask_b32_e64 v37, v37, 2, s3
	s_delay_alu instid0(VALU_DEP_3)
	v_xor_b32_e32 v34, 0x80000000, v34
.LBB11_183:                             ;   in Loop: Header=BB11_161 Depth=1
	s_and_not1_saveexec_b32 s4, s7
	s_cbranch_execz .LBB11_185
; %bb.184:                              ;   in Loop: Header=BB11_161 Depth=1
	v_sub_f32_e64 v34, 2.0, |v33|
	v_add_f32_e64 v36, 0xbfbb16c3, |v33|
	v_cmp_gt_f32_e64 s3, 0x3fdda512, |v33|
	v_add_f32_e64 v37, |v33|, -1.0
	s_delay_alu instid0(VALU_DEP_2) | instskip(SKIP_2) | instid1(VALU_DEP_2)
	v_cndmask_b32_e64 v36, v34, v36, s3
	v_cndmask_b32_e64 v34, v34, 1.0, s3
	v_cmp_gt_f32_e64 s3, 0x3f9d70a4, |v33|
	v_cvt_i32_f32_e32 v34, v34
	s_delay_alu instid0(VALU_DEP_2) | instskip(NEXT) | instid1(VALU_DEP_2)
	v_cndmask_b32_e64 v36, v36, v37, s3
	v_cndmask_b32_e64 v37, v34, 2, s3
	v_mov_b32_e32 v34, 0
.LBB11_185:                             ;   in Loop: Header=BB11_161 Depth=1
	s_or_b32 exec_lo, exec_lo, s4
	s_delay_alu instid0(SALU_CYCLE_1) | instskip(NEXT) | instid1(VALU_DEP_2)
	s_mov_b32 s4, exec_lo
	v_cmpx_lt_i32_e32 0, v37
	s_xor_b32 s4, exec_lo, s4
	s_cbranch_execz .LBB11_193
; %bb.186:                              ;   in Loop: Header=BB11_161 Depth=1
	s_mov_b32 s7, exec_lo
	v_cmpx_lt_i32_e32 1, v37
	s_xor_b32 s7, exec_lo, s7
	s_cbranch_execz .LBB11_190
; %bb.187:                              ;   in Loop: Header=BB11_161 Depth=1
	s_mov_b32 s8, exec_lo
	v_cmpx_eq_u32_e32 2, v37
	s_cbranch_execz .LBB11_189
; %bb.188:                              ;   in Loop: Header=BB11_161 Depth=1
	v_fmaak_f32 v38, s9, v36, 0x3e6a7578
	s_delay_alu instid0(VALU_DEP_1) | instskip(NEXT) | instid1(VALU_DEP_1)
	v_fmaak_f32 v38, v36, v38, 0x3f7a4bb2
	v_fmaak_f32 v38, v36, v38, 0x3fba3ae7
	s_delay_alu instid0(VALU_DEP_1) | instskip(NEXT) | instid1(VALU_DEP_1)
	v_fmaak_f32 v38, v36, v38, 0x3f2200f4
	v_fmaak_f32 v38, v36, v38, 0xbd9e233f
	s_delay_alu instid0(VALU_DEP_1) | instskip(NEXT) | instid1(VALU_DEP_1)
	v_dual_fmaak_f32 v37, s12, v36, 0x3dd572af :: v_dual_mul_f32 v38, v36, v38
	v_fmaak_f32 v37, v36, v37, 0x3f44efdf
	s_delay_alu instid0(VALU_DEP_1) | instskip(NEXT) | instid1(VALU_DEP_1)
	v_fmaak_f32 v37, v36, v37, 0x4008392d
	v_fmaak_f32 v37, v36, v37, 0x401d2ebe
	s_delay_alu instid0(VALU_DEP_1) | instskip(NEXT) | instid1(VALU_DEP_1)
	v_fma_f32 v37, v36, v37, 1.0
	v_rcp_f32_e32 v37, v37
	v_nop
	s_delay_alu instid0(TRANS32_DEP_1) | instskip(NEXT) | instid1(VALU_DEP_1)
	v_mul_f32_e32 v37, v38, v37
	v_fmac_f32_e32 v37, -0.5, v36
	s_delay_alu instid0(VALU_DEP_1)
	v_add_f32_e32 v34, v34, v37
.LBB11_189:                             ;   in Loop: Header=BB11_161 Depth=1
	s_or_b32 exec_lo, exec_lo, s8
                                        ; implicit-def: $vgpr36
.LBB11_190:                             ;   in Loop: Header=BB11_161 Depth=1
	s_and_not1_saveexec_b32 s3, s7
	s_cbranch_execz .LBB11_192
; %bb.191:                              ;   in Loop: Header=BB11_161 Depth=1
	v_mul_f32_e32 v37, v36, v36
	s_delay_alu instid0(VALU_DEP_1) | instskip(NEXT) | instid1(VALU_DEP_1)
	v_mul_f32_e32 v38, v36, v37
	v_fmaak_f32 v39, s23, v38, 0x3a66f867
	v_fmaak_f32 v40, s24, v38, 0xba0d3085
	s_delay_alu instid0(VALU_DEP_2) | instskip(NEXT) | instid1(VALU_DEP_2)
	v_fmaak_f32 v39, v38, v39, 0xbb7177fe
	v_fmaak_f32 v40, v38, v40, 0x3b141699
	s_delay_alu instid0(VALU_DEP_2) | instskip(NEXT) | instid1(VALU_DEP_2)
	v_fmaak_f32 v39, v38, v39, 0x3c93373d
	v_fmaak_f32 v40, v38, v40, 0xbc28fcfe
	s_delay_alu instid0(VALU_DEP_2) | instskip(NEXT) | instid1(VALU_DEP_2)
	v_fmaak_f32 v39, v38, v39, 0xbe17213c
	v_fmaak_f32 v40, v38, v40, 0x3d845a15
	s_delay_alu instid0(VALU_DEP_1) | instskip(SKIP_1) | instid1(VALU_DEP_1)
	v_fmac_f32_e32 v39, v36, v40
	v_fmaak_f32 v41, s13, v38, 0xbab7f476
	v_fmaak_f32 v41, v38, v41, 0x3bc7e707
	s_delay_alu instid0(VALU_DEP_1) | instskip(NEXT) | instid1(VALU_DEP_1)
	v_fmaak_f32 v41, v38, v41, 0xbd064d47
	v_fmaak_f32 v36, v38, v41, 0x3ef7b95e
	v_fma_f32 v38, v38, -v39, 0xa2863e55
	s_delay_alu instid0(VALU_DEP_1) | instskip(NEXT) | instid1(VALU_DEP_1)
	v_fma_f32 v36, v37, v36, -v38
	v_add_f32_e32 v36, 0xbdf8cdce, v36
	s_delay_alu instid0(VALU_DEP_1)
	v_add_f32_e32 v34, v34, v36
.LBB11_192:                             ;   in Loop: Header=BB11_161 Depth=1
	s_or_b32 exec_lo, exec_lo, s3
                                        ; implicit-def: $vgpr37
                                        ; implicit-def: $vgpr36
.LBB11_193:                             ;   in Loop: Header=BB11_161 Depth=1
	s_and_not1_saveexec_b32 s4, s4
	s_cbranch_execz .LBB11_197
; %bb.194:                              ;   in Loop: Header=BB11_161 Depth=1
	s_mov_b32 s7, exec_lo
	v_cmpx_eq_u32_e32 0, v37
	s_cbranch_execz .LBB11_196
; %bb.195:                              ;   in Loop: Header=BB11_161 Depth=1
	v_mul_f32_e32 v37, v36, v36
	s_delay_alu instid0(VALU_DEP_1) | instskip(NEXT) | instid1(VALU_DEP_1)
	v_fmaak_f32 v39, s25, v37, 0x39679767
	v_fmaak_f32 v39, v37, v39, 0x3a9c54a1
	s_delay_alu instid0(VALU_DEP_1) | instskip(NEXT) | instid1(VALU_DEP_1)
	v_fmaak_f32 v39, v37, v39, 0x3bf2027e
	v_fmaak_f32 v39, v37, v39, 0x3d89f001
	s_delay_alu instid0(VALU_DEP_1) | instskip(SKIP_1) | instid1(VALU_DEP_1)
	v_fmaak_f32 v39, v37, v39, 0x3d9e233f
	v_fmaak_f32 v38, s26, v37, 0x38e28445
	;; [unrolled: 1-line block ×3, first 2 shown]
	s_delay_alu instid0(VALU_DEP_1) | instskip(NEXT) | instid1(VALU_DEP_1)
	v_fmaak_f32 v38, v37, v38, 0x3b3d6ec6
	v_fmaak_f32 v38, v37, v38, 0x3ca89915
	s_delay_alu instid0(VALU_DEP_1) | instskip(NEXT) | instid1(VALU_DEP_1)
	v_fmaak_f32 v38, v37, v38, 0x3ea51a66
	v_mul_f32_e32 v37, v37, v38
	s_delay_alu instid0(VALU_DEP_1) | instskip(NEXT) | instid1(VALU_DEP_1)
	v_fmac_f32_e32 v37, v36, v39
	v_fmac_f32_e32 v37, -0.5, v36
	s_delay_alu instid0(VALU_DEP_1)
	v_add_f32_e32 v34, v34, v37
.LBB11_196:                             ;   in Loop: Header=BB11_161 Depth=1
	s_or_b32 exec_lo, exec_lo, s7
.LBB11_197:                             ;   in Loop: Header=BB11_161 Depth=1
	s_delay_alu instid0(SALU_CYCLE_1)
	s_or_b32 exec_lo, exec_lo, s4
.LBB11_198:                             ;   in Loop: Header=BB11_161 Depth=1
	s_delay_alu instid0(SALU_CYCLE_1)
	s_or_b32 exec_lo, exec_lo, s6
.LBB11_199:                             ;   in Loop: Header=BB11_161 Depth=1
	s_and_not1_saveexec_b32 s4, s5
	s_cbranch_execz .LBB11_201
; %bb.200:                              ;   in Loop: Header=BB11_161 Depth=1
	v_cmp_gt_f32_e64 s5, 0x800000, |v33|
	v_fma_f32 v38, |v33|, s27, 0xbecd26ab
	s_delay_alu instid0(VALU_DEP_2) | instskip(NEXT) | instid1(VALU_DEP_1)
	v_cndmask_b32_e64 v34, 0, 32, s5
	v_ldexp_f32 v34, |v33|, v34
	s_delay_alu instid0(VALU_DEP_1) | instskip(SKIP_1) | instid1(TRANS32_DEP_1)
	v_log_f32_e32 v34, v34
	v_nop
	v_mul_f32_e32 v36, 0x3f317217, v34
	v_cmp_gt_f32_e64 s3, 0x7f800000, |v34|
	s_delay_alu instid0(VALU_DEP_2) | instskip(NEXT) | instid1(VALU_DEP_1)
	v_fma_f32 v37, 0x3f317217, v34, -v36
	v_fmac_f32_e32 v37, 0x3377d1cf, v34
	s_delay_alu instid0(VALU_DEP_1) | instskip(SKIP_1) | instid1(VALU_DEP_2)
	v_add_f32_e32 v36, v36, v37
	v_fma_f32 v37, |v33|, v38, 0x3f528d33
	v_cndmask_b32_e64 v34, v34, v36, s3
	v_cndmask_b32_e64 v36, 0, 0x41b17218, s5
	s_delay_alu instid0(VALU_DEP_3) | instskip(NEXT) | instid1(VALU_DEP_2)
	v_fma_f32 v37, |v33|, v37, 0xbf13c468
	v_sub_f32_e32 v34, v34, v36
	s_delay_alu instid0(VALU_DEP_1)
	v_fma_f32 v34, |v33|, v37, -v34
.LBB11_201:                             ;   in Loop: Header=BB11_161 Depth=1
	s_or_b32 exec_lo, exec_lo, s4
	v_cmp_le_f32_e64 s3, 0, v33
	s_mov_b32 s5, exec_lo
	v_cmpx_nle_f32_e32 0, v33
	s_xor_b32 s6, exec_lo, s5
	s_cbranch_execz .LBB11_205
; %bb.202:                              ;   in Loop: Header=BB11_161 Depth=1
	v_cmp_gt_f32_e64 s4, 0x4b000000, |v33|
	v_cmp_lt_f32_e64 s5, 0x35000000, |v33|
	s_and_b32 s4, s4, s5
	s_delay_alu instid0(SALU_CYCLE_1)
	s_and_saveexec_b32 s7, s4
	s_cbranch_execz .LBB11_204
; %bb.203:                              ;   in Loop: Header=BB11_161 Depth=1
	v_mul_f32_e64 v36, |v33|, 0.5
	s_delay_alu instid0(VALU_DEP_1) | instskip(SKIP_1) | instid1(VALU_DEP_2)
	v_floor_f32_e32 v37, v36
	v_cmp_neq_f32_e64 s4, 0x7f800000, v36
	v_sub_f32_e32 v37, v36, v37
	s_delay_alu instid0(VALU_DEP_1) | instskip(NEXT) | instid1(VALU_DEP_1)
	v_min_num_f32_e32 v37, 0x3f7fffff, v37
	v_add_f32_e32 v37, v37, v37
	s_delay_alu instid0(VALU_DEP_1) | instskip(SKIP_1) | instid1(VALU_DEP_1)
	v_cndmask_b32_e64 v36, 0, v37, s4
	v_cmp_gt_f32_e64 s4, |v33|, 1.0
	v_cndmask_b32_e64 v36, |v33|, v36, s4
	s_delay_alu instid0(VALU_DEP_1) | instskip(NEXT) | instid1(VALU_DEP_1)
	v_add_f32_e32 v37, v36, v36
	v_rndne_f32_e32 v37, v37
	s_delay_alu instid0(VALU_DEP_1) | instskip(SKIP_1) | instid1(VALU_DEP_2)
	v_fmac_f32_e32 v36, -0.5, v37
	v_cvt_i32_f32_e32 v37, v37
	v_mul_f32_e32 v38, v36, v36
	s_delay_alu instid0(VALU_DEP_1) | instskip(SKIP_1) | instid1(VALU_DEP_2)
	v_fmaak_f32 v39, s28, v38, 0xbf1f24be
	v_dual_fmaak_f32 v40, s29, v38, 0x3e642e9d :: v_dual_mul_f32 v41, v36, v38
	v_fmaak_f32 v39, v38, v39, 0x40234736
	s_delay_alu instid0(VALU_DEP_2) | instskip(NEXT) | instid1(VALU_DEP_2)
	v_fmaak_f32 v40, v38, v40, 0xbfaad1da
	v_fmaak_f32 v39, v38, v39, 0xc0a55e0e
	s_delay_alu instid0(VALU_DEP_1) | instskip(NEXT) | instid1(VALU_DEP_1)
	v_mul_f32_e32 v39, v41, v39
	v_fmac_f32_e32 v39, 0x40490fdb, v36
	v_dual_lshlrev_b32 v37, 30, v37 :: v_dual_bitop2_b32 v41, 1, v37 bitop3:0x40
	v_fmaak_f32 v40, v38, v40, 0x4081e0d3
	s_delay_alu instid0(VALU_DEP_2) | instskip(NEXT) | instid1(VALU_DEP_3)
	v_cmp_eq_u32_e64 s4, 0, v41
	v_and_or_b32 v35, 0x80000000, v37, v35
	s_delay_alu instid0(VALU_DEP_3) | instskip(NEXT) | instid1(VALU_DEP_1)
	v_fmaak_f32 v40, v38, v40, 0xc09de9e6
	v_fma_f32 v36, v38, v40, 1.0
	s_delay_alu instid0(VALU_DEP_1) | instskip(NEXT) | instid1(VALU_DEP_1)
	v_cndmask_b32_e64 v36, v36, v39, s4
	v_xor3_b32 v35, v35, v36, v33
	s_delay_alu instid0(VALU_DEP_1) | instskip(NEXT) | instid1(VALU_DEP_1)
	v_mul_f32_e32 v35, v33, v35
	v_frexp_mant_f32_e64 v36, |v35|
	v_frexp_exp_i32_f32_e32 v35, v35
	s_delay_alu instid0(VALU_DEP_2) | instskip(SKIP_1) | instid1(TRANS32_DEP_1)
	v_rcp_f32_e32 v36, v36
	v_nop
	v_dual_mul_f32 v36, 0x3f490fdb, v36 :: v_dual_sub_nc_u32 v35, 2, v35
	s_delay_alu instid0(VALU_DEP_1) | instskip(NEXT) | instid1(VALU_DEP_1)
	v_ldexp_f32 v35, v36, v35
	v_cmp_gt_f32_e64 s4, 0x800000, v35
	s_delay_alu instid0(VALU_DEP_1) | instskip(NEXT) | instid1(VALU_DEP_1)
	v_cndmask_b32_e64 v36, 0, 32, s4
	v_ldexp_f32 v35, v35, v36
	s_delay_alu instid0(VALU_DEP_1) | instskip(SKIP_1) | instid1(TRANS32_DEP_1)
	v_log_f32_e32 v35, v35
	v_nop
	v_mul_f32_e32 v36, 0x3f317217, v35
	v_cmp_gt_f32_e64 s5, 0x7f800000, |v35|
	s_delay_alu instid0(VALU_DEP_2) | instskip(NEXT) | instid1(VALU_DEP_1)
	v_fma_f32 v37, 0x3f317217, v35, -v36
	v_fmac_f32_e32 v37, 0x3377d1cf, v35
	s_delay_alu instid0(VALU_DEP_1) | instskip(SKIP_1) | instid1(VALU_DEP_2)
	v_add_f32_e32 v36, v36, v37
	v_floor_f32_e32 v37, v33
	v_cndmask_b32_e64 v35, v35, v36, s5
	v_cndmask_b32_e64 v36, 0, 0x41b17218, s4
	s_delay_alu instid0(VALU_DEP_1) | instskip(NEXT) | instid1(VALU_DEP_1)
	v_dual_sub_f32 v37, v33, v37 :: v_dual_sub_f32 v35, v35, v36
	v_min_num_f32_e32 v36, 0x3f7fffff, v37
	s_delay_alu instid0(VALU_DEP_2) | instskip(NEXT) | instid1(VALU_DEP_2)
	v_sub_f32_e32 v34, v35, v34
	v_cmp_neq_f32_e64 s4, 0, v36
	s_delay_alu instid0(VALU_DEP_1)
	v_cndmask_b32_e64 v34, 0x7f800000, v34, s4
.LBB11_204:                             ;   in Loop: Header=BB11_161 Depth=1
	s_or_b32 exec_lo, exec_lo, s7
.LBB11_205:                             ;   in Loop: Header=BB11_161 Depth=1
	s_and_not1_saveexec_b32 s6, s6
; %bb.206:                              ;   in Loop: Header=BB11_161 Depth=1
	v_cmp_eq_f32_e64 s4, 1.0, v33
	v_cmp_eq_f32_e64 s5, 2.0, v33
	s_or_b32 s4, s4, s5
	s_delay_alu instid0(SALU_CYCLE_1)
	v_cndmask_b32_e64 v34, v34, 0, s4
; %bb.207:                              ;   in Loop: Header=BB11_161 Depth=1
	s_or_b32 exec_lo, exec_lo, s6
	v_and_b32_e32 v36, 0x7fffffff, v32
                                        ; implicit-def: $vgpr35
	s_mov_b32 s5, exec_lo
	v_cmpx_ngt_f32_e64 0x3c800000, |v32|
	s_xor_b32 s6, exec_lo, s5
	s_cbranch_execz .LBB11_237
; %bb.208:                              ;   in Loop: Header=BB11_161 Depth=1
                                        ; implicit-def: $vgpr35
	s_mov_b32 s5, exec_lo
	v_cmpx_nlt_f32_e64 |v32|, 2.0
	s_xor_b32 s7, exec_lo, s5
	s_cbranch_execz .LBB11_218
; %bb.209:                              ;   in Loop: Header=BB11_161 Depth=1
	s_mov_b32 s5, exec_lo
                                        ; implicit-def: $vgpr35
	v_cmpx_ngt_f32_e64 0x41000000, |v32|
	s_xor_b32 s5, exec_lo, s5
	s_cbranch_execz .LBB11_215
; %bb.210:                              ;   in Loop: Header=BB11_161 Depth=1
	s_mov_b32 s8, exec_lo
                                        ; implicit-def: $vgpr35
	v_cmpx_ngt_f32_e64 0x5c800000, |v32|
	s_xor_b32 s8, exec_lo, s8
	s_cbranch_execz .LBB11_212
; %bb.211:                              ;   in Loop: Header=BB11_161 Depth=1
	v_cmp_gt_f32_e64 s30, 0x800000, |v32|
	s_delay_alu instid0(VALU_DEP_1) | instskip(NEXT) | instid1(VALU_DEP_1)
	v_cndmask_b32_e64 v35, 0, 32, s30
	v_ldexp_f32 v35, |v32|, v35
	s_delay_alu instid0(VALU_DEP_1) | instskip(SKIP_1) | instid1(TRANS32_DEP_1)
	v_log_f32_e32 v35, v35
	v_nop
	v_mul_f32_e32 v37, 0x3f317217, v35
	v_cmp_gt_f32_e64 s4, 0x7f800000, |v35|
	s_delay_alu instid0(VALU_DEP_2) | instskip(NEXT) | instid1(VALU_DEP_1)
	v_fma_f32 v38, 0x3f317217, v35, -v37
	v_fmac_f32_e32 v38, 0x3377d1cf, v35
	s_delay_alu instid0(VALU_DEP_1) | instskip(NEXT) | instid1(VALU_DEP_1)
	v_add_f32_e32 v37, v37, v38
	v_cndmask_b32_e64 v35, v35, v37, s4
	v_cndmask_b32_e64 v37, 0, 0x41b17218, s30
	s_delay_alu instid0(VALU_DEP_1) | instskip(NEXT) | instid1(VALU_DEP_1)
	v_sub_f32_e32 v35, v35, v37
	v_fma_f32 v35, |v32|, v35, -|v32|
.LBB11_212:                             ;   in Loop: Header=BB11_161 Depth=1
	s_and_not1_saveexec_b32 s8, s8
	s_cbranch_execz .LBB11_214
; %bb.213:                              ;   in Loop: Header=BB11_161 Depth=1
	v_cmp_gt_f32_e64 s30, 0x800000, |v32|
	v_rcp_f32_e64 v37, |v32|
	s_delay_alu instid0(VALU_DEP_1) | instskip(NEXT) | instid1(VALU_DEP_1)
	v_cndmask_b32_e64 v35, 0, 32, s30
	v_ldexp_f32 v35, |v32|, v35
	s_delay_alu instid0(VALU_DEP_1) | instskip(SKIP_1) | instid1(TRANS32_DEP_1)
	v_log_f32_e32 v35, v35
	v_nop
	v_dual_mul_f32 v38, v37, v37 :: v_dual_mul_f32 v39, 0x3f317217, v35
	v_cmp_gt_f32_e64 s4, 0x7f800000, |v35|
	s_delay_alu instid0(VALU_DEP_2) | instskip(NEXT) | instid1(VALU_DEP_1)
	v_fma_f32 v41, 0x3f317217, v35, -v39
	v_fmac_f32_e32 v41, 0x3377d1cf, v35
	s_delay_alu instid0(VALU_DEP_1) | instskip(NEXT) | instid1(VALU_DEP_1)
	v_dual_fmaak_f32 v40, s20, v38, 0x3a5b3dd2 :: v_dual_add_f32 v39, v39, v41
	v_cndmask_b32_e64 v35, v35, v39, s4
	v_cndmask_b32_e64 v39, 0, 0x41b17218, s30
	s_delay_alu instid0(VALU_DEP_1) | instskip(NEXT) | instid1(VALU_DEP_1)
	v_dual_fmaak_f32 v40, v38, v40, 0xba1c065c :: v_dual_sub_f32 v39, v35, v39
	v_fmaak_f32 v40, v38, v40, 0x3a500cfd
	s_delay_alu instid0(VALU_DEP_1) | instskip(NEXT) | instid1(VALU_DEP_1)
	v_fmaak_f32 v40, v38, v40, 0xbb360b61
	v_fmaak_f32 v38, v38, v40, 0x3daaaaab
	s_delay_alu instid0(VALU_DEP_1) | instskip(SKIP_2) | instid1(VALU_DEP_1)
	v_fmaak_f32 v35, v37, v38, 0x3ed67f1d
	v_add_f32_e64 v37, |v32|, -0.5
	v_add_f32_e32 v38, -1.0, v39
	v_fmac_f32_e32 v35, v37, v38
.LBB11_214:                             ;   in Loop: Header=BB11_161 Depth=1
	s_or_b32 exec_lo, exec_lo, s8
.LBB11_215:                             ;   in Loop: Header=BB11_161 Depth=1
	s_and_not1_saveexec_b32 s8, s5
	s_cbranch_execz .LBB11_217
; %bb.216:                              ;   in Loop: Header=BB11_161 Depth=1
	v_cvt_i32_f32_e32 v35, v36
	s_delay_alu instid0(VALU_DEP_1) | instskip(SKIP_1) | instid1(VALU_DEP_2)
	v_cvt_f32_i32_e32 v37, v35
	v_cmp_lt_i32_e64 s4, 3, v35
	v_sub_f32_e64 v38, |v32|, v37
	s_delay_alu instid0(VALU_DEP_1) | instskip(NEXT) | instid1(VALU_DEP_1)
	v_pk_add_f32 v[40:41], v[38:39], v[28:29] op_sel_hi:[0,1]
	v_dual_add_f32 v37, 4.0, v38 :: v_dual_cndmask_b32 v39, 1.0, v41, s4
	v_cmp_lt_i32_e64 s4, 2, v35
	v_add_f32_e32 v41, 0x40a00000, v38
	s_delay_alu instid0(VALU_DEP_2) | instskip(SKIP_1) | instid1(VALU_DEP_1)
	v_cndmask_b32_e64 v40, 1.0, v40, s4
	v_cmp_lt_i32_e64 s4, 4, v35
	v_dual_cndmask_b32 v37, 1.0, v37, s4 :: v_dual_mul_f32 v39, v40, v39
	v_add_f32_e32 v40, 0x40c00000, v38
	v_cmp_lt_i32_e64 s4, 5, v35
	s_delay_alu instid0(VALU_DEP_1) | instskip(SKIP_1) | instid1(VALU_DEP_1)
	v_dual_mul_f32 v37, v37, v39 :: v_dual_cndmask_b32 v41, 1.0, v41, s4
	v_cmp_lt_i32_e64 s4, 6, v35
	v_dual_mul_f32 v37, v41, v37 :: v_dual_cndmask_b32 v35, 1.0, v40, s4
	s_delay_alu instid0(VALU_DEP_1) | instskip(NEXT) | instid1(VALU_DEP_1)
	v_dual_fmaak_f32 v40, s21, v38, 0x3af135b4 :: v_dual_mul_f32 v35, v35, v37
	v_cmp_gt_f32_e64 s4, 0x800000, v35
	s_delay_alu instid0(VALU_DEP_1) | instskip(NEXT) | instid1(VALU_DEP_1)
	v_cndmask_b32_e64 v39, 0, 32, s4
	v_ldexp_f32 v35, v35, v39
	s_delay_alu instid0(VALU_DEP_4) | instskip(NEXT) | instid1(VALU_DEP_2)
	v_fmaak_f32 v39, v38, v40, 0x3cda40e4
	v_log_f32_e32 v35, v35
	s_delay_alu instid0(VALU_DEP_1) | instskip(NEXT) | instid1(VALU_DEP_1)
	v_fmaak_f32 v39, v38, v39, 0x3e15dce6
	v_fmaak_f32 v39, v38, v39, 0x3ea6cc7a
	s_delay_alu instid0(TRANS32_DEP_1) | instskip(NEXT) | instid1(VALU_DEP_2)
	v_cmp_gt_f32_e64 s5, 0x7f800000, |v35|
	v_fmaak_f32 v39, v38, v39, 0x3e5c245a
	s_delay_alu instid0(VALU_DEP_1) | instskip(NEXT) | instid1(VALU_DEP_1)
	v_fmaak_f32 v39, v38, v39, 0xbd9e233f
	v_mul_f32_e32 v39, v38, v39
	v_mul_f32_e32 v40, 0x3f317217, v35
	s_delay_alu instid0(VALU_DEP_1) | instskip(NEXT) | instid1(VALU_DEP_1)
	v_fma_f32 v41, 0x3f317217, v35, -v40
	v_fmac_f32_e32 v41, 0x3377d1cf, v35
	s_delay_alu instid0(VALU_DEP_1) | instskip(NEXT) | instid1(VALU_DEP_1)
	v_dual_fmaak_f32 v37, s22, v38, 0x3a4beed6 :: v_dual_add_f32 v40, v40, v41
	v_fmaak_f32 v37, v38, v37, 0x3c98bf54
	s_delay_alu instid0(VALU_DEP_2) | instskip(NEXT) | instid1(VALU_DEP_2)
	v_cndmask_b32_e64 v35, v35, v40, s5
	v_fmaak_f32 v37, v38, v37, 0x3e300f6e
	s_delay_alu instid0(VALU_DEP_1) | instskip(NEXT) | instid1(VALU_DEP_1)
	v_fmaak_f32 v37, v38, v37, 0x3f38d0c5
	v_fmaak_f32 v37, v38, v37, 0x3fb22d3b
	s_delay_alu instid0(VALU_DEP_1) | instskip(NEXT) | instid1(VALU_DEP_1)
	v_fma_f32 v37, v38, v37, 1.0
	v_rcp_f32_e32 v37, v37
	v_nop
	s_delay_alu instid0(TRANS32_DEP_1) | instskip(SKIP_1) | instid1(VALU_DEP_1)
	v_mul_f32_e32 v37, v39, v37
	v_cndmask_b32_e64 v39, 0, 0x41b17218, s4
	v_dual_fmac_f32 v37, 0.5, v38 :: v_dual_sub_f32 v35, v35, v39
	s_delay_alu instid0(VALU_DEP_1)
	v_add_f32_e32 v35, v35, v37
.LBB11_217:                             ;   in Loop: Header=BB11_161 Depth=1
	s_or_b32 exec_lo, exec_lo, s8
.LBB11_218:                             ;   in Loop: Header=BB11_161 Depth=1
	s_and_not1_saveexec_b32 s7, s7
	s_cbranch_execz .LBB11_236
; %bb.219:                              ;   in Loop: Header=BB11_161 Depth=1
                                        ; implicit-def: $vgpr35
                                        ; implicit-def: $vgpr38
                                        ; implicit-def: $vgpr37
	s_mov_b32 s5, exec_lo
	v_cmpx_ge_f32_e64 0x3f666666, |v32|
	s_xor_b32 s8, exec_lo, s5
	s_cbranch_execz .LBB11_221
; %bb.220:                              ;   in Loop: Header=BB11_161 Depth=1
	v_cmp_gt_f32_e64 s5, 0x800000, |v32|
	v_sub_f32_e64 v39, 1.0, |v32|
	v_cmp_gt_f32_e64 s4, 0x3f3b4a23, |v32|
	s_delay_alu instid0(VALU_DEP_3) | instskip(SKIP_1) | instid1(VALU_DEP_2)
	v_cndmask_b32_e64 v35, 0, 32, s5
	v_cndmask_b32_e64 v40, 0, 0x41b17218, s5
	v_ldexp_f32 v35, |v32|, v35
	s_delay_alu instid0(VALU_DEP_1) | instskip(SKIP_1) | instid1(TRANS32_DEP_1)
	v_log_f32_e32 v35, v35
	v_nop
	v_mul_f32_e32 v37, 0x3f317217, v35
	v_cmp_gt_f32_e64 s5, 0x7f800000, |v35|
	s_delay_alu instid0(VALU_DEP_2) | instskip(NEXT) | instid1(VALU_DEP_1)
	v_fma_f32 v38, 0x3f317217, v35, -v37
	v_fmac_f32_e32 v38, 0x3377d1cf, v35
	s_delay_alu instid0(VALU_DEP_1) | instskip(SKIP_1) | instid1(VALU_DEP_2)
	v_add_f32_e32 v37, v37, v38
	v_add_f32_e64 v38, 0xbeec5b0c, |v32|
	v_cndmask_b32_e64 v35, v35, v37, s5
	s_delay_alu instid0(VALU_DEP_2) | instskip(SKIP_2) | instid1(VALU_DEP_4)
	v_cndmask_b32_e64 v37, v39, v38, s4
	v_cndmask_b32_e64 v38, 0, 1, s4
	v_cmp_gt_f32_e64 s4, 0x3e6d3309, |v32|
	v_sub_f32_e32 v35, v35, v40
	s_delay_alu instid0(VALU_DEP_2) | instskip(NEXT) | instid1(VALU_DEP_4)
	v_cndmask_b32_e64 v37, v37, |v32|, s4
	v_cndmask_b32_e64 v38, v38, 2, s4
	s_delay_alu instid0(VALU_DEP_3)
	v_xor_b32_e32 v35, 0x80000000, v35
.LBB11_221:                             ;   in Loop: Header=BB11_161 Depth=1
	s_and_not1_saveexec_b32 s5, s8
	s_cbranch_execz .LBB11_223
; %bb.222:                              ;   in Loop: Header=BB11_161 Depth=1
	v_sub_f32_e64 v35, 2.0, |v32|
	v_add_f32_e64 v37, 0xbfbb16c3, |v32|
	v_cmp_gt_f32_e64 s4, 0x3fdda512, |v32|
	v_add_f32_e64 v38, |v32|, -1.0
	s_delay_alu instid0(VALU_DEP_2) | instskip(SKIP_2) | instid1(VALU_DEP_2)
	v_cndmask_b32_e64 v37, v35, v37, s4
	v_cndmask_b32_e64 v35, v35, 1.0, s4
	v_cmp_gt_f32_e64 s4, 0x3f9d70a4, |v32|
	v_cvt_i32_f32_e32 v35, v35
	s_delay_alu instid0(VALU_DEP_2) | instskip(NEXT) | instid1(VALU_DEP_2)
	v_cndmask_b32_e64 v37, v37, v38, s4
	v_cndmask_b32_e64 v38, v35, 2, s4
	v_mov_b32_e32 v35, 0
.LBB11_223:                             ;   in Loop: Header=BB11_161 Depth=1
	s_or_b32 exec_lo, exec_lo, s5
	s_delay_alu instid0(SALU_CYCLE_1) | instskip(NEXT) | instid1(VALU_DEP_2)
	s_mov_b32 s5, exec_lo
	v_cmpx_lt_i32_e32 0, v38
	s_xor_b32 s5, exec_lo, s5
	s_cbranch_execz .LBB11_231
; %bb.224:                              ;   in Loop: Header=BB11_161 Depth=1
	s_mov_b32 s8, exec_lo
	v_cmpx_lt_i32_e32 1, v38
	s_xor_b32 s8, exec_lo, s8
	s_cbranch_execz .LBB11_228
; %bb.225:                              ;   in Loop: Header=BB11_161 Depth=1
	s_mov_b32 s30, exec_lo
	v_cmpx_eq_u32_e32 2, v38
	s_cbranch_execz .LBB11_227
; %bb.226:                              ;   in Loop: Header=BB11_161 Depth=1
	v_fmaak_f32 v39, s9, v37, 0x3e6a7578
	s_delay_alu instid0(VALU_DEP_1) | instskip(NEXT) | instid1(VALU_DEP_1)
	v_fmaak_f32 v39, v37, v39, 0x3f7a4bb2
	v_fmaak_f32 v39, v37, v39, 0x3fba3ae7
	s_delay_alu instid0(VALU_DEP_1) | instskip(NEXT) | instid1(VALU_DEP_1)
	v_fmaak_f32 v39, v37, v39, 0x3f2200f4
	v_fmaak_f32 v39, v37, v39, 0xbd9e233f
	s_delay_alu instid0(VALU_DEP_1) | instskip(NEXT) | instid1(VALU_DEP_1)
	v_dual_fmaak_f32 v38, s12, v37, 0x3dd572af :: v_dual_mul_f32 v39, v37, v39
	v_fmaak_f32 v38, v37, v38, 0x3f44efdf
	s_delay_alu instid0(VALU_DEP_1) | instskip(NEXT) | instid1(VALU_DEP_1)
	v_fmaak_f32 v38, v37, v38, 0x4008392d
	v_fmaak_f32 v38, v37, v38, 0x401d2ebe
	s_delay_alu instid0(VALU_DEP_1) | instskip(NEXT) | instid1(VALU_DEP_1)
	v_fma_f32 v38, v37, v38, 1.0
	v_rcp_f32_e32 v38, v38
	v_nop
	s_delay_alu instid0(TRANS32_DEP_1) | instskip(NEXT) | instid1(VALU_DEP_1)
	v_mul_f32_e32 v38, v39, v38
	v_fmac_f32_e32 v38, -0.5, v37
	s_delay_alu instid0(VALU_DEP_1)
	v_add_f32_e32 v35, v35, v38
.LBB11_227:                             ;   in Loop: Header=BB11_161 Depth=1
	s_or_b32 exec_lo, exec_lo, s30
                                        ; implicit-def: $vgpr37
.LBB11_228:                             ;   in Loop: Header=BB11_161 Depth=1
	s_and_not1_saveexec_b32 s4, s8
	s_cbranch_execz .LBB11_230
; %bb.229:                              ;   in Loop: Header=BB11_161 Depth=1
	v_mul_f32_e32 v38, v37, v37
	s_delay_alu instid0(VALU_DEP_1) | instskip(NEXT) | instid1(VALU_DEP_1)
	v_mul_f32_e32 v39, v37, v38
	v_fmaak_f32 v40, s23, v39, 0x3a66f867
	v_fmaak_f32 v41, s24, v39, 0xba0d3085
	s_delay_alu instid0(VALU_DEP_2) | instskip(NEXT) | instid1(VALU_DEP_2)
	v_fmaak_f32 v40, v39, v40, 0xbb7177fe
	v_fmaak_f32 v41, v39, v41, 0x3b141699
	s_delay_alu instid0(VALU_DEP_2) | instskip(NEXT) | instid1(VALU_DEP_2)
	;; [unrolled: 3-line block ×3, first 2 shown]
	v_fmaak_f32 v40, v39, v40, 0xbe17213c
	v_fmaak_f32 v41, v39, v41, 0x3d845a15
	s_delay_alu instid0(VALU_DEP_1) | instskip(SKIP_1) | instid1(VALU_DEP_1)
	v_fmac_f32_e32 v40, v37, v41
	v_fmaak_f32 v42, s13, v39, 0xbab7f476
	v_fmaak_f32 v42, v39, v42, 0x3bc7e707
	s_delay_alu instid0(VALU_DEP_1) | instskip(NEXT) | instid1(VALU_DEP_1)
	v_fmaak_f32 v42, v39, v42, 0xbd064d47
	v_fmaak_f32 v37, v39, v42, 0x3ef7b95e
	v_fma_f32 v39, v39, -v40, 0xa2863e55
	s_delay_alu instid0(VALU_DEP_1) | instskip(NEXT) | instid1(VALU_DEP_1)
	v_fma_f32 v37, v38, v37, -v39
	v_add_f32_e32 v37, 0xbdf8cdce, v37
	s_delay_alu instid0(VALU_DEP_1)
	v_add_f32_e32 v35, v35, v37
.LBB11_230:                             ;   in Loop: Header=BB11_161 Depth=1
	s_or_b32 exec_lo, exec_lo, s4
                                        ; implicit-def: $vgpr38
                                        ; implicit-def: $vgpr37
.LBB11_231:                             ;   in Loop: Header=BB11_161 Depth=1
	s_and_not1_saveexec_b32 s5, s5
	s_cbranch_execz .LBB11_235
; %bb.232:                              ;   in Loop: Header=BB11_161 Depth=1
	s_mov_b32 s8, exec_lo
	v_cmpx_eq_u32_e32 0, v38
	s_cbranch_execz .LBB11_234
; %bb.233:                              ;   in Loop: Header=BB11_161 Depth=1
	v_mul_f32_e32 v38, v37, v37
	s_delay_alu instid0(VALU_DEP_1) | instskip(NEXT) | instid1(VALU_DEP_1)
	v_fmaak_f32 v40, s25, v38, 0x39679767
	v_fmaak_f32 v40, v38, v40, 0x3a9c54a1
	s_delay_alu instid0(VALU_DEP_1) | instskip(NEXT) | instid1(VALU_DEP_1)
	v_fmaak_f32 v40, v38, v40, 0x3bf2027e
	v_fmaak_f32 v40, v38, v40, 0x3d89f001
	s_delay_alu instid0(VALU_DEP_1) | instskip(SKIP_1) | instid1(VALU_DEP_1)
	v_fmaak_f32 v40, v38, v40, 0x3d9e233f
	v_fmaak_f32 v39, s26, v38, 0x38e28445
	;; [unrolled: 1-line block ×3, first 2 shown]
	s_delay_alu instid0(VALU_DEP_1) | instskip(NEXT) | instid1(VALU_DEP_1)
	v_fmaak_f32 v39, v38, v39, 0x3b3d6ec6
	v_fmaak_f32 v39, v38, v39, 0x3ca89915
	s_delay_alu instid0(VALU_DEP_1) | instskip(NEXT) | instid1(VALU_DEP_1)
	v_fmaak_f32 v39, v38, v39, 0x3ea51a66
	v_mul_f32_e32 v38, v38, v39
	s_delay_alu instid0(VALU_DEP_1) | instskip(NEXT) | instid1(VALU_DEP_1)
	v_fmac_f32_e32 v38, v37, v40
	v_fmac_f32_e32 v38, -0.5, v37
	s_delay_alu instid0(VALU_DEP_1)
	v_add_f32_e32 v35, v35, v38
.LBB11_234:                             ;   in Loop: Header=BB11_161 Depth=1
	s_or_b32 exec_lo, exec_lo, s8
.LBB11_235:                             ;   in Loop: Header=BB11_161 Depth=1
	s_delay_alu instid0(SALU_CYCLE_1)
	s_or_b32 exec_lo, exec_lo, s5
.LBB11_236:                             ;   in Loop: Header=BB11_161 Depth=1
	s_delay_alu instid0(SALU_CYCLE_1)
	s_or_b32 exec_lo, exec_lo, s7
.LBB11_237:                             ;   in Loop: Header=BB11_161 Depth=1
	s_and_not1_saveexec_b32 s5, s6
	s_cbranch_execz .LBB11_239
; %bb.238:                              ;   in Loop: Header=BB11_161 Depth=1
	v_cmp_gt_f32_e64 s6, 0x800000, |v32|
	v_fma_f32 v39, |v32|, s27, 0xbecd26ab
	s_delay_alu instid0(VALU_DEP_2) | instskip(NEXT) | instid1(VALU_DEP_1)
	v_cndmask_b32_e64 v35, 0, 32, s6
	v_ldexp_f32 v35, |v32|, v35
	s_delay_alu instid0(VALU_DEP_1) | instskip(SKIP_1) | instid1(TRANS32_DEP_1)
	v_log_f32_e32 v35, v35
	v_nop
	v_mul_f32_e32 v37, 0x3f317217, v35
	v_cmp_gt_f32_e64 s4, 0x7f800000, |v35|
	s_delay_alu instid0(VALU_DEP_2) | instskip(NEXT) | instid1(VALU_DEP_1)
	v_fma_f32 v38, 0x3f317217, v35, -v37
	v_fmac_f32_e32 v38, 0x3377d1cf, v35
	s_delay_alu instid0(VALU_DEP_1) | instskip(SKIP_1) | instid1(VALU_DEP_2)
	v_add_f32_e32 v37, v37, v38
	v_fma_f32 v38, |v32|, v39, 0x3f528d33
	v_cndmask_b32_e64 v35, v35, v37, s4
	v_cndmask_b32_e64 v37, 0, 0x41b17218, s6
	s_delay_alu instid0(VALU_DEP_3) | instskip(NEXT) | instid1(VALU_DEP_2)
	v_fma_f32 v38, |v32|, v38, 0xbf13c468
	v_sub_f32_e32 v35, v35, v37
	s_delay_alu instid0(VALU_DEP_1)
	v_fma_f32 v35, |v32|, v38, -v35
.LBB11_239:                             ;   in Loop: Header=BB11_161 Depth=1
	s_or_b32 exec_lo, exec_lo, s5
	v_cmp_le_f32_e64 s4, 0, v32
	s_mov_b32 s6, exec_lo
	v_cmpx_nle_f32_e32 0, v32
	s_xor_b32 s7, exec_lo, s6
	s_cbranch_execz .LBB11_243
; %bb.240:                              ;   in Loop: Header=BB11_161 Depth=1
	v_cmp_gt_f32_e64 s5, 0x4b000000, |v32|
	v_cmp_lt_f32_e64 s6, 0x35000000, |v32|
	s_and_b32 s5, s5, s6
	s_delay_alu instid0(SALU_CYCLE_1)
	s_and_saveexec_b32 s8, s5
	s_cbranch_execz .LBB11_242
; %bb.241:                              ;   in Loop: Header=BB11_161 Depth=1
	v_mul_f32_e64 v37, |v32|, 0.5
	s_delay_alu instid0(VALU_DEP_1) | instskip(SKIP_1) | instid1(VALU_DEP_2)
	v_floor_f32_e32 v38, v37
	v_cmp_neq_f32_e64 s5, 0x7f800000, v37
	v_sub_f32_e32 v38, v37, v38
	s_delay_alu instid0(VALU_DEP_1) | instskip(NEXT) | instid1(VALU_DEP_1)
	v_min_num_f32_e32 v38, 0x3f7fffff, v38
	v_add_f32_e32 v38, v38, v38
	s_delay_alu instid0(VALU_DEP_1) | instskip(SKIP_1) | instid1(VALU_DEP_1)
	v_cndmask_b32_e64 v37, 0, v38, s5
	v_cmp_gt_f32_e64 s5, |v32|, 1.0
	v_cndmask_b32_e64 v37, |v32|, v37, s5
	s_delay_alu instid0(VALU_DEP_1) | instskip(NEXT) | instid1(VALU_DEP_1)
	v_add_f32_e32 v38, v37, v37
	v_rndne_f32_e32 v38, v38
	s_delay_alu instid0(VALU_DEP_1) | instskip(SKIP_1) | instid1(VALU_DEP_2)
	v_fmac_f32_e32 v37, -0.5, v38
	v_cvt_i32_f32_e32 v38, v38
	v_mul_f32_e32 v39, v37, v37
	s_delay_alu instid0(VALU_DEP_1) | instskip(SKIP_1) | instid1(VALU_DEP_2)
	v_fmaak_f32 v40, s28, v39, 0xbf1f24be
	v_dual_fmaak_f32 v41, s29, v39, 0x3e642e9d :: v_dual_mul_f32 v42, v37, v39
	v_fmaak_f32 v40, v39, v40, 0x40234736
	s_delay_alu instid0(VALU_DEP_2) | instskip(NEXT) | instid1(VALU_DEP_2)
	v_fmaak_f32 v41, v39, v41, 0xbfaad1da
	v_fmaak_f32 v40, v39, v40, 0xc0a55e0e
	s_delay_alu instid0(VALU_DEP_1) | instskip(NEXT) | instid1(VALU_DEP_1)
	v_mul_f32_e32 v40, v42, v40
	v_fmac_f32_e32 v40, 0x40490fdb, v37
	v_dual_lshlrev_b32 v38, 30, v38 :: v_dual_bitop2_b32 v42, 1, v38 bitop3:0x40
	v_fmaak_f32 v41, v39, v41, 0x4081e0d3
	s_delay_alu instid0(VALU_DEP_2) | instskip(NEXT) | instid1(VALU_DEP_3)
	v_cmp_eq_u32_e64 s5, 0, v42
	v_and_or_b32 v36, 0x80000000, v38, v36
	s_delay_alu instid0(VALU_DEP_3) | instskip(NEXT) | instid1(VALU_DEP_1)
	v_fmaak_f32 v41, v39, v41, 0xc09de9e6
	v_fma_f32 v37, v39, v41, 1.0
	s_delay_alu instid0(VALU_DEP_1) | instskip(NEXT) | instid1(VALU_DEP_1)
	v_cndmask_b32_e64 v37, v37, v40, s5
	v_xor3_b32 v36, v36, v37, v32
	s_delay_alu instid0(VALU_DEP_1) | instskip(NEXT) | instid1(VALU_DEP_1)
	v_mul_f32_e32 v36, v32, v36
	v_frexp_mant_f32_e64 v37, |v36|
	v_frexp_exp_i32_f32_e32 v36, v36
	s_delay_alu instid0(VALU_DEP_2) | instskip(SKIP_1) | instid1(TRANS32_DEP_1)
	v_rcp_f32_e32 v37, v37
	v_nop
	v_dual_mul_f32 v37, 0x3f490fdb, v37 :: v_dual_sub_nc_u32 v36, 2, v36
	s_delay_alu instid0(VALU_DEP_1) | instskip(NEXT) | instid1(VALU_DEP_1)
	v_ldexp_f32 v36, v37, v36
	v_cmp_gt_f32_e64 s5, 0x800000, v36
	s_delay_alu instid0(VALU_DEP_1) | instskip(NEXT) | instid1(VALU_DEP_1)
	v_cndmask_b32_e64 v37, 0, 32, s5
	v_ldexp_f32 v36, v36, v37
	s_delay_alu instid0(VALU_DEP_1) | instskip(SKIP_1) | instid1(TRANS32_DEP_1)
	v_log_f32_e32 v36, v36
	v_nop
	v_mul_f32_e32 v37, 0x3f317217, v36
	v_cmp_gt_f32_e64 s6, 0x7f800000, |v36|
	s_delay_alu instid0(VALU_DEP_2) | instskip(NEXT) | instid1(VALU_DEP_1)
	v_fma_f32 v38, 0x3f317217, v36, -v37
	v_fmac_f32_e32 v38, 0x3377d1cf, v36
	s_delay_alu instid0(VALU_DEP_1) | instskip(SKIP_1) | instid1(VALU_DEP_2)
	v_add_f32_e32 v37, v37, v38
	v_floor_f32_e32 v38, v32
	v_cndmask_b32_e64 v36, v36, v37, s6
	v_cndmask_b32_e64 v37, 0, 0x41b17218, s5
	s_delay_alu instid0(VALU_DEP_3) | instskip(NEXT) | instid1(VALU_DEP_1)
	v_sub_f32_e32 v38, v32, v38
	v_dual_sub_f32 v36, v36, v37 :: v_dual_min_num_f32 v37, 0x3f7fffff, v38
	s_delay_alu instid0(VALU_DEP_1) | instskip(NEXT) | instid1(VALU_DEP_2)
	v_sub_f32_e32 v35, v36, v35
	v_cmp_neq_f32_e64 s5, 0, v37
	s_delay_alu instid0(VALU_DEP_1)
	v_cndmask_b32_e64 v35, 0x7f800000, v35, s5
.LBB11_242:                             ;   in Loop: Header=BB11_161 Depth=1
	s_or_b32 exec_lo, exec_lo, s8
.LBB11_243:                             ;   in Loop: Header=BB11_161 Depth=1
	s_and_not1_saveexec_b32 s7, s7
; %bb.244:                              ;   in Loop: Header=BB11_161 Depth=1
	v_cmp_eq_f32_e64 s5, 1.0, v32
	v_cmp_eq_f32_e64 s6, 2.0, v32
	s_or_b32 s5, s5, s6
	s_delay_alu instid0(SALU_CYCLE_1)
	v_cndmask_b32_e64 v35, v35, 0, s5
; %bb.245:                              ;   in Loop: Header=BB11_161 Depth=1
	s_or_b32 exec_lo, exec_lo, s7
	v_and_b32_e32 v37, 0x7fffffff, v30
                                        ; implicit-def: $vgpr36
	s_mov_b32 s6, exec_lo
	v_cmpx_ngt_f32_e64 0x3c800000, |v30|
	s_xor_b32 s7, exec_lo, s6
	s_cbranch_execz .LBB11_275
; %bb.246:                              ;   in Loop: Header=BB11_161 Depth=1
                                        ; implicit-def: $vgpr36
	s_mov_b32 s6, exec_lo
	v_cmpx_nlt_f32_e64 |v30|, 2.0
	s_xor_b32 s8, exec_lo, s6
	s_cbranch_execz .LBB11_256
; %bb.247:                              ;   in Loop: Header=BB11_161 Depth=1
	s_mov_b32 s6, exec_lo
                                        ; implicit-def: $vgpr36
	v_cmpx_ngt_f32_e64 0x41000000, |v30|
	s_xor_b32 s6, exec_lo, s6
	s_cbranch_execz .LBB11_253
; %bb.248:                              ;   in Loop: Header=BB11_161 Depth=1
	s_mov_b32 s30, exec_lo
                                        ; implicit-def: $vgpr36
	v_cmpx_ngt_f32_e64 0x5c800000, |v30|
	s_xor_b32 s30, exec_lo, s30
	s_cbranch_execz .LBB11_250
; %bb.249:                              ;   in Loop: Header=BB11_161 Depth=1
	v_cmp_gt_f32_e64 s31, 0x800000, |v30|
	s_delay_alu instid0(VALU_DEP_1) | instskip(NEXT) | instid1(VALU_DEP_1)
	v_cndmask_b32_e64 v36, 0, 32, s31
	v_ldexp_f32 v36, |v30|, v36
	s_delay_alu instid0(VALU_DEP_1) | instskip(SKIP_1) | instid1(TRANS32_DEP_1)
	v_log_f32_e32 v36, v36
	v_nop
	v_mul_f32_e32 v38, 0x3f317217, v36
	v_cmp_gt_f32_e64 s5, 0x7f800000, |v36|
	s_delay_alu instid0(VALU_DEP_2) | instskip(NEXT) | instid1(VALU_DEP_1)
	v_fma_f32 v39, 0x3f317217, v36, -v38
	v_fmac_f32_e32 v39, 0x3377d1cf, v36
	s_delay_alu instid0(VALU_DEP_1) | instskip(NEXT) | instid1(VALU_DEP_1)
	v_add_f32_e32 v38, v38, v39
	v_cndmask_b32_e64 v36, v36, v38, s5
	v_cndmask_b32_e64 v38, 0, 0x41b17218, s31
	s_delay_alu instid0(VALU_DEP_1) | instskip(NEXT) | instid1(VALU_DEP_1)
	v_sub_f32_e32 v36, v36, v38
	v_fma_f32 v36, |v30|, v36, -|v30|
.LBB11_250:                             ;   in Loop: Header=BB11_161 Depth=1
	s_and_not1_saveexec_b32 s30, s30
	s_cbranch_execz .LBB11_252
; %bb.251:                              ;   in Loop: Header=BB11_161 Depth=1
	v_cmp_gt_f32_e64 s31, 0x800000, |v30|
	v_rcp_f32_e64 v38, |v30|
	s_delay_alu instid0(VALU_DEP_1) | instskip(NEXT) | instid1(VALU_DEP_1)
	v_cndmask_b32_e64 v36, 0, 32, s31
	v_ldexp_f32 v36, |v30|, v36
	s_delay_alu instid0(VALU_DEP_1) | instskip(SKIP_1) | instid1(TRANS32_DEP_1)
	v_log_f32_e32 v36, v36
	v_nop
	v_dual_mul_f32 v39, v38, v38 :: v_dual_mul_f32 v40, 0x3f317217, v36
	v_cmp_gt_f32_e64 s5, 0x7f800000, |v36|
	s_delay_alu instid0(VALU_DEP_2) | instskip(NEXT) | instid1(VALU_DEP_1)
	v_fma_f32 v42, 0x3f317217, v36, -v40
	v_fmac_f32_e32 v42, 0x3377d1cf, v36
	s_delay_alu instid0(VALU_DEP_1) | instskip(NEXT) | instid1(VALU_DEP_1)
	v_dual_fmaak_f32 v41, s20, v39, 0x3a5b3dd2 :: v_dual_add_f32 v40, v40, v42
	v_cndmask_b32_e64 v36, v36, v40, s5
	v_cndmask_b32_e64 v40, 0, 0x41b17218, s31
	s_delay_alu instid0(VALU_DEP_1) | instskip(NEXT) | instid1(VALU_DEP_1)
	v_dual_fmaak_f32 v41, v39, v41, 0xba1c065c :: v_dual_sub_f32 v40, v36, v40
	v_fmaak_f32 v41, v39, v41, 0x3a500cfd
	s_delay_alu instid0(VALU_DEP_1) | instskip(NEXT) | instid1(VALU_DEP_1)
	v_fmaak_f32 v41, v39, v41, 0xbb360b61
	v_fmaak_f32 v39, v39, v41, 0x3daaaaab
	s_delay_alu instid0(VALU_DEP_1) | instskip(SKIP_2) | instid1(VALU_DEP_1)
	v_fmaak_f32 v36, v38, v39, 0x3ed67f1d
	v_add_f32_e64 v38, |v30|, -0.5
	v_add_f32_e32 v39, -1.0, v40
	v_fmac_f32_e32 v36, v38, v39
.LBB11_252:                             ;   in Loop: Header=BB11_161 Depth=1
	s_or_b32 exec_lo, exec_lo, s30
.LBB11_253:                             ;   in Loop: Header=BB11_161 Depth=1
	s_and_not1_saveexec_b32 s30, s6
	s_cbranch_execz .LBB11_255
; %bb.254:                              ;   in Loop: Header=BB11_161 Depth=1
	v_cvt_i32_f32_e32 v40, v37
	s_delay_alu instid0(VALU_DEP_1) | instskip(SKIP_1) | instid1(VALU_DEP_2)
	v_cvt_f32_i32_e32 v36, v40
	v_cmp_lt_i32_e64 s5, 3, v40
	v_sub_f32_e64 v36, |v30|, v36
	s_delay_alu instid0(VALU_DEP_1) | instskip(SKIP_1) | instid1(VALU_DEP_2)
	v_pk_add_f32 v[38:39], v[36:37], v[28:29] op_sel_hi:[0,1]
	v_dual_add_f32 v41, 4.0, v36 :: v_dual_add_f32 v42, 0x40a00000, v36
	v_cndmask_b32_e64 v39, 1.0, v39, s5
	v_cmp_lt_i32_e64 s5, 2, v40
	s_delay_alu instid0(VALU_DEP_1) | instskip(SKIP_1) | instid1(VALU_DEP_1)
	v_cndmask_b32_e64 v38, 1.0, v38, s5
	v_cmp_lt_i32_e64 s5, 4, v40
	v_dual_cndmask_b32 v41, 1.0, v41, s5 :: v_dual_mul_f32 v38, v38, v39
	v_add_f32_e32 v39, 0x40c00000, v36
	v_cmp_lt_i32_e64 s5, 5, v40
	s_delay_alu instid0(VALU_DEP_3) | instskip(NEXT) | instid1(VALU_DEP_2)
	v_dual_mul_f32 v38, v41, v38 :: v_dual_fmaak_f32 v41, s21, v36, 0x3af135b4
	v_cndmask_b32_e64 v42, 1.0, v42, s5
	v_cmp_lt_i32_e64 s5, 6, v40
	s_delay_alu instid0(VALU_DEP_1) | instskip(NEXT) | instid1(VALU_DEP_1)
	v_dual_cndmask_b32 v39, 1.0, v39, s5 :: v_dual_mul_f32 v38, v42, v38
	v_dual_mul_f32 v38, v39, v38 :: v_dual_fmaak_f32 v39, s22, v36, 0x3a4beed6
	s_delay_alu instid0(VALU_DEP_1) | instskip(NEXT) | instid1(VALU_DEP_2)
	v_fmaak_f32 v39, v36, v39, 0x3c98bf54
	v_cmp_gt_f32_e64 s5, 0x800000, v38
	s_delay_alu instid0(VALU_DEP_1) | instskip(NEXT) | instid1(VALU_DEP_1)
	v_cndmask_b32_e64 v40, 0, 32, s5
	v_ldexp_f32 v38, v38, v40
	v_fmaak_f32 v40, v36, v41, 0x3cda40e4
	s_delay_alu instid0(VALU_DEP_2) | instskip(SKIP_1) | instid1(TRANS32_DEP_1)
	v_log_f32_e32 v38, v38
	v_nop
	v_mul_f32_e32 v41, 0x3f317217, v38
	v_cmp_gt_f32_e64 s6, 0x7f800000, |v38|
	s_delay_alu instid0(VALU_DEP_2) | instskip(NEXT) | instid1(VALU_DEP_1)
	v_fma_f32 v42, 0x3f317217, v38, -v41
	v_fmac_f32_e32 v42, 0x3377d1cf, v38
	s_delay_alu instid0(VALU_DEP_1) | instskip(NEXT) | instid1(VALU_DEP_1)
	v_dual_add_f32 v41, v41, v42 :: v_dual_fmaak_f32 v40, v36, v40, 0x3e15dce6
	v_cndmask_b32_e64 v38, v38, v41, s6
	s_delay_alu instid0(VALU_DEP_2) | instskip(NEXT) | instid1(VALU_DEP_1)
	v_fmaak_f32 v40, v36, v40, 0x3ea6cc7a
	v_fmaak_f32 v40, v36, v40, 0x3e5c245a
	s_delay_alu instid0(VALU_DEP_1) | instskip(NEXT) | instid1(VALU_DEP_1)
	v_fmaak_f32 v40, v36, v40, 0xbd9e233f
	v_dual_fmaak_f32 v39, v36, v39, 0x3e300f6e :: v_dual_mul_f32 v40, v36, v40
	s_delay_alu instid0(VALU_DEP_1) | instskip(NEXT) | instid1(VALU_DEP_1)
	v_fmaak_f32 v39, v36, v39, 0x3f38d0c5
	v_fmaak_f32 v39, v36, v39, 0x3fb22d3b
	s_delay_alu instid0(VALU_DEP_1) | instskip(NEXT) | instid1(VALU_DEP_1)
	v_fma_f32 v39, v36, v39, 1.0
	v_rcp_f32_e32 v39, v39
	v_nop
	s_delay_alu instid0(TRANS32_DEP_1) | instskip(SKIP_1) | instid1(VALU_DEP_2)
	v_mul_f32_e32 v39, v40, v39
	v_cndmask_b32_e64 v40, 0, 0x41b17218, s5
	v_fmac_f32_e32 v39, 0.5, v36
	s_delay_alu instid0(VALU_DEP_2) | instskip(NEXT) | instid1(VALU_DEP_1)
	v_sub_f32_e32 v36, v38, v40
	v_add_f32_e32 v36, v36, v39
.LBB11_255:                             ;   in Loop: Header=BB11_161 Depth=1
	s_or_b32 exec_lo, exec_lo, s30
.LBB11_256:                             ;   in Loop: Header=BB11_161 Depth=1
	s_and_not1_saveexec_b32 s8, s8
	s_cbranch_execz .LBB11_274
; %bb.257:                              ;   in Loop: Header=BB11_161 Depth=1
                                        ; implicit-def: $vgpr36
                                        ; implicit-def: $vgpr39
                                        ; implicit-def: $vgpr38
	s_mov_b32 s6, exec_lo
	v_cmpx_ge_f32_e64 0x3f666666, |v30|
	s_xor_b32 s30, exec_lo, s6
	s_cbranch_execz .LBB11_259
; %bb.258:                              ;   in Loop: Header=BB11_161 Depth=1
	v_cmp_gt_f32_e64 s6, 0x800000, |v30|
	v_sub_f32_e64 v40, 1.0, |v30|
	v_cmp_gt_f32_e64 s5, 0x3f3b4a23, |v30|
	s_delay_alu instid0(VALU_DEP_3) | instskip(SKIP_1) | instid1(VALU_DEP_2)
	v_cndmask_b32_e64 v36, 0, 32, s6
	v_cndmask_b32_e64 v41, 0, 0x41b17218, s6
	v_ldexp_f32 v36, |v30|, v36
	s_delay_alu instid0(VALU_DEP_1) | instskip(SKIP_1) | instid1(TRANS32_DEP_1)
	v_log_f32_e32 v36, v36
	v_nop
	v_mul_f32_e32 v38, 0x3f317217, v36
	v_cmp_gt_f32_e64 s6, 0x7f800000, |v36|
	s_delay_alu instid0(VALU_DEP_2) | instskip(NEXT) | instid1(VALU_DEP_1)
	v_fma_f32 v39, 0x3f317217, v36, -v38
	v_fmac_f32_e32 v39, 0x3377d1cf, v36
	s_delay_alu instid0(VALU_DEP_1) | instskip(SKIP_1) | instid1(VALU_DEP_2)
	v_add_f32_e32 v38, v38, v39
	v_add_f32_e64 v39, 0xbeec5b0c, |v30|
	v_cndmask_b32_e64 v36, v36, v38, s6
	s_delay_alu instid0(VALU_DEP_2) | instskip(SKIP_2) | instid1(VALU_DEP_4)
	v_cndmask_b32_e64 v38, v40, v39, s5
	v_cndmask_b32_e64 v39, 0, 1, s5
	v_cmp_gt_f32_e64 s5, 0x3e6d3309, |v30|
	v_sub_f32_e32 v36, v36, v41
	s_delay_alu instid0(VALU_DEP_2) | instskip(NEXT) | instid1(VALU_DEP_4)
	v_cndmask_b32_e64 v38, v38, |v30|, s5
	v_cndmask_b32_e64 v39, v39, 2, s5
	s_delay_alu instid0(VALU_DEP_3)
	v_xor_b32_e32 v36, 0x80000000, v36
.LBB11_259:                             ;   in Loop: Header=BB11_161 Depth=1
	s_and_not1_saveexec_b32 s6, s30
	s_cbranch_execz .LBB11_261
; %bb.260:                              ;   in Loop: Header=BB11_161 Depth=1
	v_sub_f32_e64 v36, 2.0, |v30|
	v_add_f32_e64 v38, 0xbfbb16c3, |v30|
	v_cmp_gt_f32_e64 s5, 0x3fdda512, |v30|
	v_add_f32_e64 v39, |v30|, -1.0
	s_delay_alu instid0(VALU_DEP_2) | instskip(SKIP_2) | instid1(VALU_DEP_2)
	v_cndmask_b32_e64 v38, v36, v38, s5
	v_cndmask_b32_e64 v36, v36, 1.0, s5
	v_cmp_gt_f32_e64 s5, 0x3f9d70a4, |v30|
	v_cvt_i32_f32_e32 v36, v36
	s_delay_alu instid0(VALU_DEP_2) | instskip(NEXT) | instid1(VALU_DEP_2)
	v_cndmask_b32_e64 v38, v38, v39, s5
	v_cndmask_b32_e64 v39, v36, 2, s5
	v_mov_b32_e32 v36, 0
.LBB11_261:                             ;   in Loop: Header=BB11_161 Depth=1
	s_or_b32 exec_lo, exec_lo, s6
	s_delay_alu instid0(SALU_CYCLE_1) | instskip(NEXT) | instid1(VALU_DEP_2)
	s_mov_b32 s6, exec_lo
	v_cmpx_lt_i32_e32 0, v39
	s_xor_b32 s6, exec_lo, s6
	s_cbranch_execz .LBB11_269
; %bb.262:                              ;   in Loop: Header=BB11_161 Depth=1
	s_mov_b32 s30, exec_lo
	v_cmpx_lt_i32_e32 1, v39
	s_xor_b32 s30, exec_lo, s30
	s_cbranch_execz .LBB11_266
; %bb.263:                              ;   in Loop: Header=BB11_161 Depth=1
	s_mov_b32 s31, exec_lo
	v_cmpx_eq_u32_e32 2, v39
	s_cbranch_execz .LBB11_265
; %bb.264:                              ;   in Loop: Header=BB11_161 Depth=1
	v_fmaak_f32 v40, s9, v38, 0x3e6a7578
	s_delay_alu instid0(VALU_DEP_1) | instskip(NEXT) | instid1(VALU_DEP_1)
	v_fmaak_f32 v40, v38, v40, 0x3f7a4bb2
	v_fmaak_f32 v40, v38, v40, 0x3fba3ae7
	s_delay_alu instid0(VALU_DEP_1) | instskip(NEXT) | instid1(VALU_DEP_1)
	v_fmaak_f32 v40, v38, v40, 0x3f2200f4
	v_fmaak_f32 v40, v38, v40, 0xbd9e233f
	s_delay_alu instid0(VALU_DEP_1) | instskip(NEXT) | instid1(VALU_DEP_1)
	v_dual_fmaak_f32 v39, s12, v38, 0x3dd572af :: v_dual_mul_f32 v40, v38, v40
	v_fmaak_f32 v39, v38, v39, 0x3f44efdf
	s_delay_alu instid0(VALU_DEP_1) | instskip(NEXT) | instid1(VALU_DEP_1)
	v_fmaak_f32 v39, v38, v39, 0x4008392d
	v_fmaak_f32 v39, v38, v39, 0x401d2ebe
	s_delay_alu instid0(VALU_DEP_1) | instskip(NEXT) | instid1(VALU_DEP_1)
	v_fma_f32 v39, v38, v39, 1.0
	v_rcp_f32_e32 v39, v39
	v_nop
	s_delay_alu instid0(TRANS32_DEP_1) | instskip(NEXT) | instid1(VALU_DEP_1)
	v_mul_f32_e32 v39, v40, v39
	v_fmac_f32_e32 v39, -0.5, v38
	s_delay_alu instid0(VALU_DEP_1)
	v_add_f32_e32 v36, v36, v39
.LBB11_265:                             ;   in Loop: Header=BB11_161 Depth=1
	s_or_b32 exec_lo, exec_lo, s31
                                        ; implicit-def: $vgpr38
.LBB11_266:                             ;   in Loop: Header=BB11_161 Depth=1
	s_and_not1_saveexec_b32 s5, s30
	s_cbranch_execz .LBB11_268
; %bb.267:                              ;   in Loop: Header=BB11_161 Depth=1
	v_mul_f32_e32 v39, v38, v38
	s_delay_alu instid0(VALU_DEP_1) | instskip(NEXT) | instid1(VALU_DEP_1)
	v_mul_f32_e32 v40, v38, v39
	v_fmaak_f32 v41, s23, v40, 0x3a66f867
	v_fmaak_f32 v42, s24, v40, 0xba0d3085
	s_delay_alu instid0(VALU_DEP_2) | instskip(NEXT) | instid1(VALU_DEP_2)
	v_fmaak_f32 v41, v40, v41, 0xbb7177fe
	v_fmaak_f32 v42, v40, v42, 0x3b141699
	s_delay_alu instid0(VALU_DEP_2) | instskip(NEXT) | instid1(VALU_DEP_2)
	;; [unrolled: 3-line block ×3, first 2 shown]
	v_fmaak_f32 v41, v40, v41, 0xbe17213c
	v_fmaak_f32 v42, v40, v42, 0x3d845a15
	s_delay_alu instid0(VALU_DEP_1) | instskip(SKIP_1) | instid1(VALU_DEP_1)
	v_fmac_f32_e32 v41, v38, v42
	v_fmaak_f32 v43, s13, v40, 0xbab7f476
	v_fmaak_f32 v43, v40, v43, 0x3bc7e707
	s_delay_alu instid0(VALU_DEP_1) | instskip(NEXT) | instid1(VALU_DEP_1)
	v_fmaak_f32 v43, v40, v43, 0xbd064d47
	v_fmaak_f32 v38, v40, v43, 0x3ef7b95e
	v_fma_f32 v40, v40, -v41, 0xa2863e55
	s_delay_alu instid0(VALU_DEP_1) | instskip(NEXT) | instid1(VALU_DEP_1)
	v_fma_f32 v38, v39, v38, -v40
	v_add_f32_e32 v38, 0xbdf8cdce, v38
	s_delay_alu instid0(VALU_DEP_1)
	v_add_f32_e32 v36, v36, v38
.LBB11_268:                             ;   in Loop: Header=BB11_161 Depth=1
	s_or_b32 exec_lo, exec_lo, s5
                                        ; implicit-def: $vgpr39
                                        ; implicit-def: $vgpr38
.LBB11_269:                             ;   in Loop: Header=BB11_161 Depth=1
	s_and_not1_saveexec_b32 s6, s6
	s_cbranch_execz .LBB11_273
; %bb.270:                              ;   in Loop: Header=BB11_161 Depth=1
	s_mov_b32 s30, exec_lo
	v_cmpx_eq_u32_e32 0, v39
	s_cbranch_execz .LBB11_272
; %bb.271:                              ;   in Loop: Header=BB11_161 Depth=1
	v_mul_f32_e32 v39, v38, v38
	s_delay_alu instid0(VALU_DEP_1) | instskip(NEXT) | instid1(VALU_DEP_1)
	v_fmaak_f32 v41, s25, v39, 0x39679767
	v_fmaak_f32 v41, v39, v41, 0x3a9c54a1
	s_delay_alu instid0(VALU_DEP_1) | instskip(NEXT) | instid1(VALU_DEP_1)
	v_fmaak_f32 v41, v39, v41, 0x3bf2027e
	v_fmaak_f32 v41, v39, v41, 0x3d89f001
	s_delay_alu instid0(VALU_DEP_1) | instskip(SKIP_1) | instid1(VALU_DEP_1)
	v_fmaak_f32 v41, v39, v41, 0x3d9e233f
	v_fmaak_f32 v40, s26, v39, 0x38e28445
	;; [unrolled: 1-line block ×3, first 2 shown]
	s_delay_alu instid0(VALU_DEP_1) | instskip(NEXT) | instid1(VALU_DEP_1)
	v_fmaak_f32 v40, v39, v40, 0x3b3d6ec6
	v_fmaak_f32 v40, v39, v40, 0x3ca89915
	s_delay_alu instid0(VALU_DEP_1) | instskip(NEXT) | instid1(VALU_DEP_1)
	v_fmaak_f32 v40, v39, v40, 0x3ea51a66
	v_mul_f32_e32 v39, v39, v40
	s_delay_alu instid0(VALU_DEP_1) | instskip(NEXT) | instid1(VALU_DEP_1)
	v_fmac_f32_e32 v39, v38, v41
	v_fmac_f32_e32 v39, -0.5, v38
	s_delay_alu instid0(VALU_DEP_1)
	v_add_f32_e32 v36, v36, v39
.LBB11_272:                             ;   in Loop: Header=BB11_161 Depth=1
	s_or_b32 exec_lo, exec_lo, s30
.LBB11_273:                             ;   in Loop: Header=BB11_161 Depth=1
	s_delay_alu instid0(SALU_CYCLE_1)
	s_or_b32 exec_lo, exec_lo, s6
.LBB11_274:                             ;   in Loop: Header=BB11_161 Depth=1
	s_delay_alu instid0(SALU_CYCLE_1)
	s_or_b32 exec_lo, exec_lo, s8
.LBB11_275:                             ;   in Loop: Header=BB11_161 Depth=1
	s_and_not1_saveexec_b32 s6, s7
	s_cbranch_execz .LBB11_277
; %bb.276:                              ;   in Loop: Header=BB11_161 Depth=1
	v_cmp_gt_f32_e64 s7, 0x800000, |v30|
	v_fma_f32 v40, |v30|, s27, 0xbecd26ab
	s_delay_alu instid0(VALU_DEP_2) | instskip(NEXT) | instid1(VALU_DEP_1)
	v_cndmask_b32_e64 v36, 0, 32, s7
	v_ldexp_f32 v36, |v30|, v36
	s_delay_alu instid0(VALU_DEP_1) | instskip(SKIP_1) | instid1(TRANS32_DEP_1)
	v_log_f32_e32 v36, v36
	v_nop
	v_mul_f32_e32 v38, 0x3f317217, v36
	v_cmp_gt_f32_e64 s5, 0x7f800000, |v36|
	s_delay_alu instid0(VALU_DEP_2) | instskip(NEXT) | instid1(VALU_DEP_1)
	v_fma_f32 v39, 0x3f317217, v36, -v38
	v_fmac_f32_e32 v39, 0x3377d1cf, v36
	s_delay_alu instid0(VALU_DEP_1) | instskip(SKIP_1) | instid1(VALU_DEP_2)
	v_add_f32_e32 v38, v38, v39
	v_fma_f32 v39, |v30|, v40, 0x3f528d33
	v_cndmask_b32_e64 v36, v36, v38, s5
	v_cndmask_b32_e64 v38, 0, 0x41b17218, s7
	s_delay_alu instid0(VALU_DEP_3) | instskip(NEXT) | instid1(VALU_DEP_2)
	v_fma_f32 v39, |v30|, v39, 0xbf13c468
	v_sub_f32_e32 v36, v36, v38
	s_delay_alu instid0(VALU_DEP_1)
	v_fma_f32 v36, |v30|, v39, -v36
.LBB11_277:                             ;   in Loop: Header=BB11_161 Depth=1
	s_or_b32 exec_lo, exec_lo, s6
	v_cmp_le_f32_e64 s5, 0, v30
	s_mov_b32 s7, exec_lo
	v_cmpx_nle_f32_e32 0, v30
	s_xor_b32 s8, exec_lo, s7
	s_cbranch_execz .LBB11_281
; %bb.278:                              ;   in Loop: Header=BB11_161 Depth=1
	v_cmp_gt_f32_e64 s6, 0x4b000000, |v30|
	v_cmp_lt_f32_e64 s7, 0x35000000, |v30|
	s_and_b32 s6, s6, s7
	s_delay_alu instid0(SALU_CYCLE_1)
	s_and_saveexec_b32 s30, s6
	s_cbranch_execz .LBB11_280
; %bb.279:                              ;   in Loop: Header=BB11_161 Depth=1
	v_mul_f32_e64 v38, |v30|, 0.5
	s_delay_alu instid0(VALU_DEP_1) | instskip(SKIP_1) | instid1(VALU_DEP_2)
	v_floor_f32_e32 v39, v38
	v_cmp_neq_f32_e64 s6, 0x7f800000, v38
	v_sub_f32_e32 v39, v38, v39
	s_delay_alu instid0(VALU_DEP_1) | instskip(NEXT) | instid1(VALU_DEP_1)
	v_min_num_f32_e32 v39, 0x3f7fffff, v39
	v_add_f32_e32 v39, v39, v39
	s_delay_alu instid0(VALU_DEP_1) | instskip(SKIP_1) | instid1(VALU_DEP_1)
	v_cndmask_b32_e64 v38, 0, v39, s6
	v_cmp_gt_f32_e64 s6, |v30|, 1.0
	v_cndmask_b32_e64 v38, |v30|, v38, s6
	s_delay_alu instid0(VALU_DEP_1) | instskip(NEXT) | instid1(VALU_DEP_1)
	v_add_f32_e32 v39, v38, v38
	v_rndne_f32_e32 v39, v39
	s_delay_alu instid0(VALU_DEP_1) | instskip(SKIP_1) | instid1(VALU_DEP_2)
	v_fmac_f32_e32 v38, -0.5, v39
	v_cvt_i32_f32_e32 v39, v39
	v_mul_f32_e32 v40, v38, v38
	s_delay_alu instid0(VALU_DEP_1) | instskip(SKIP_1) | instid1(VALU_DEP_2)
	v_fmaak_f32 v41, s28, v40, 0xbf1f24be
	v_dual_fmaak_f32 v42, s29, v40, 0x3e642e9d :: v_dual_mul_f32 v43, v38, v40
	v_fmaak_f32 v41, v40, v41, 0x40234736
	s_delay_alu instid0(VALU_DEP_2) | instskip(NEXT) | instid1(VALU_DEP_2)
	v_fmaak_f32 v42, v40, v42, 0xbfaad1da
	v_fmaak_f32 v41, v40, v41, 0xc0a55e0e
	s_delay_alu instid0(VALU_DEP_1) | instskip(NEXT) | instid1(VALU_DEP_1)
	v_mul_f32_e32 v41, v43, v41
	v_fmac_f32_e32 v41, 0x40490fdb, v38
	v_dual_lshlrev_b32 v39, 30, v39 :: v_dual_bitop2_b32 v43, 1, v39 bitop3:0x40
	v_fmaak_f32 v42, v40, v42, 0x4081e0d3
	s_delay_alu instid0(VALU_DEP_2) | instskip(NEXT) | instid1(VALU_DEP_3)
	v_cmp_eq_u32_e64 s6, 0, v43
	v_and_or_b32 v37, 0x80000000, v39, v37
	s_delay_alu instid0(VALU_DEP_3) | instskip(NEXT) | instid1(VALU_DEP_1)
	v_fmaak_f32 v42, v40, v42, 0xc09de9e6
	v_fma_f32 v38, v40, v42, 1.0
	s_delay_alu instid0(VALU_DEP_1) | instskip(NEXT) | instid1(VALU_DEP_1)
	v_cndmask_b32_e64 v38, v38, v41, s6
	v_xor3_b32 v37, v37, v38, v30
	s_delay_alu instid0(VALU_DEP_1) | instskip(NEXT) | instid1(VALU_DEP_1)
	v_mul_f32_e32 v37, v30, v37
	v_frexp_mant_f32_e64 v38, |v37|
	v_frexp_exp_i32_f32_e32 v37, v37
	s_delay_alu instid0(VALU_DEP_2) | instskip(SKIP_1) | instid1(TRANS32_DEP_1)
	v_rcp_f32_e32 v38, v38
	v_nop
	v_dual_mul_f32 v38, 0x3f490fdb, v38 :: v_dual_sub_nc_u32 v37, 2, v37
	s_delay_alu instid0(VALU_DEP_1) | instskip(NEXT) | instid1(VALU_DEP_1)
	v_ldexp_f32 v37, v38, v37
	v_cmp_gt_f32_e64 s6, 0x800000, v37
	s_delay_alu instid0(VALU_DEP_1) | instskip(NEXT) | instid1(VALU_DEP_1)
	v_cndmask_b32_e64 v38, 0, 32, s6
	v_ldexp_f32 v37, v37, v38
	s_delay_alu instid0(VALU_DEP_1) | instskip(SKIP_1) | instid1(TRANS32_DEP_1)
	v_log_f32_e32 v37, v37
	v_nop
	v_mul_f32_e32 v38, 0x3f317217, v37
	v_cmp_gt_f32_e64 s7, 0x7f800000, |v37|
	s_delay_alu instid0(VALU_DEP_2) | instskip(NEXT) | instid1(VALU_DEP_1)
	v_fma_f32 v39, 0x3f317217, v37, -v38
	v_fmac_f32_e32 v39, 0x3377d1cf, v37
	s_delay_alu instid0(VALU_DEP_1) | instskip(SKIP_1) | instid1(VALU_DEP_2)
	v_add_f32_e32 v38, v38, v39
	v_floor_f32_e32 v39, v30
	v_cndmask_b32_e64 v37, v37, v38, s7
	v_cndmask_b32_e64 v38, 0, 0x41b17218, s6
	s_delay_alu instid0(VALU_DEP_1) | instskip(NEXT) | instid1(VALU_DEP_1)
	v_dual_sub_f32 v39, v30, v39 :: v_dual_sub_f32 v37, v37, v38
	v_min_num_f32_e32 v38, 0x3f7fffff, v39
	s_delay_alu instid0(VALU_DEP_2) | instskip(NEXT) | instid1(VALU_DEP_2)
	v_sub_f32_e32 v36, v37, v36
	v_cmp_neq_f32_e64 s6, 0, v38
	s_delay_alu instid0(VALU_DEP_1)
	v_cndmask_b32_e64 v36, 0x7f800000, v36, s6
.LBB11_280:                             ;   in Loop: Header=BB11_161 Depth=1
	s_or_b32 exec_lo, exec_lo, s30
.LBB11_281:                             ;   in Loop: Header=BB11_161 Depth=1
	s_and_not1_saveexec_b32 s8, s8
; %bb.282:                              ;   in Loop: Header=BB11_161 Depth=1
	v_cmp_eq_f32_e64 s6, 1.0, v30
	v_cmp_eq_f32_e64 s7, 2.0, v30
	s_or_b32 s6, s6, s7
	s_delay_alu instid0(SALU_CYCLE_1)
	v_cndmask_b32_e64 v36, v36, 0, s6
; %bb.283:                              ;   in Loop: Header=BB11_161 Depth=1
	s_or_b32 exec_lo, exec_lo, s8
	v_and_b32_e32 v37, 0x7fffffff, v31
                                        ; implicit-def: $vgpr38
	s_mov_b32 s7, exec_lo
	v_cmpx_ngt_f32_e64 0x3c800000, |v31|
	s_xor_b32 s8, exec_lo, s7
	s_cbranch_execz .LBB11_313
; %bb.284:                              ;   in Loop: Header=BB11_161 Depth=1
                                        ; implicit-def: $vgpr38
	s_mov_b32 s7, exec_lo
	v_cmpx_nlt_f32_e64 |v31|, 2.0
	s_xor_b32 s30, exec_lo, s7
	s_cbranch_execz .LBB11_294
; %bb.285:                              ;   in Loop: Header=BB11_161 Depth=1
	s_mov_b32 s7, exec_lo
                                        ; implicit-def: $vgpr38
	v_cmpx_ngt_f32_e64 0x41000000, |v31|
	s_xor_b32 s7, exec_lo, s7
	s_cbranch_execz .LBB11_291
; %bb.286:                              ;   in Loop: Header=BB11_161 Depth=1
	s_mov_b32 s31, exec_lo
                                        ; implicit-def: $vgpr38
	v_cmpx_ngt_f32_e64 0x5c800000, |v31|
	s_xor_b32 s31, exec_lo, s31
	s_cbranch_execz .LBB11_288
; %bb.287:                              ;   in Loop: Header=BB11_161 Depth=1
	v_cmp_gt_f32_e64 s33, 0x800000, |v31|
	s_delay_alu instid0(VALU_DEP_1) | instskip(NEXT) | instid1(VALU_DEP_1)
	v_cndmask_b32_e64 v38, 0, 32, s33
	v_ldexp_f32 v38, |v31|, v38
	s_delay_alu instid0(VALU_DEP_1) | instskip(SKIP_1) | instid1(TRANS32_DEP_1)
	v_log_f32_e32 v38, v38
	v_nop
	v_mul_f32_e32 v39, 0x3f317217, v38
	v_cmp_gt_f32_e64 s6, 0x7f800000, |v38|
	s_delay_alu instid0(VALU_DEP_2) | instskip(NEXT) | instid1(VALU_DEP_1)
	v_fma_f32 v40, 0x3f317217, v38, -v39
	v_fmac_f32_e32 v40, 0x3377d1cf, v38
	s_delay_alu instid0(VALU_DEP_1) | instskip(NEXT) | instid1(VALU_DEP_1)
	v_add_f32_e32 v39, v39, v40
	v_cndmask_b32_e64 v38, v38, v39, s6
	v_cndmask_b32_e64 v39, 0, 0x41b17218, s33
	s_delay_alu instid0(VALU_DEP_1) | instskip(NEXT) | instid1(VALU_DEP_1)
	v_sub_f32_e32 v38, v38, v39
	v_fma_f32 v38, |v31|, v38, -|v31|
.LBB11_288:                             ;   in Loop: Header=BB11_161 Depth=1
	s_and_not1_saveexec_b32 s31, s31
	s_cbranch_execz .LBB11_290
; %bb.289:                              ;   in Loop: Header=BB11_161 Depth=1
	v_cmp_gt_f32_e64 s33, 0x800000, |v31|
	v_rcp_f32_e64 v39, |v31|
	s_delay_alu instid0(VALU_DEP_1) | instskip(NEXT) | instid1(VALU_DEP_1)
	v_cndmask_b32_e64 v38, 0, 32, s33
	v_ldexp_f32 v38, |v31|, v38
	s_delay_alu instid0(VALU_DEP_1) | instskip(SKIP_1) | instid1(TRANS32_DEP_1)
	v_log_f32_e32 v38, v38
	v_nop
	v_dual_mul_f32 v40, v39, v39 :: v_dual_mul_f32 v41, 0x3f317217, v38
	v_cmp_gt_f32_e64 s6, 0x7f800000, |v38|
	s_delay_alu instid0(VALU_DEP_2) | instskip(NEXT) | instid1(VALU_DEP_1)
	v_fma_f32 v43, 0x3f317217, v38, -v41
	v_fmac_f32_e32 v43, 0x3377d1cf, v38
	s_delay_alu instid0(VALU_DEP_1) | instskip(NEXT) | instid1(VALU_DEP_1)
	v_dual_fmaak_f32 v42, s20, v40, 0x3a5b3dd2 :: v_dual_add_f32 v41, v41, v43
	v_cndmask_b32_e64 v38, v38, v41, s6
	v_cndmask_b32_e64 v41, 0, 0x41b17218, s33
	s_delay_alu instid0(VALU_DEP_1) | instskip(NEXT) | instid1(VALU_DEP_1)
	v_dual_fmaak_f32 v42, v40, v42, 0xba1c065c :: v_dual_sub_f32 v41, v38, v41
	v_fmaak_f32 v42, v40, v42, 0x3a500cfd
	s_delay_alu instid0(VALU_DEP_1) | instskip(NEXT) | instid1(VALU_DEP_1)
	v_fmaak_f32 v42, v40, v42, 0xbb360b61
	v_fmaak_f32 v40, v40, v42, 0x3daaaaab
	s_delay_alu instid0(VALU_DEP_1) | instskip(SKIP_2) | instid1(VALU_DEP_1)
	v_fmaak_f32 v38, v39, v40, 0x3ed67f1d
	v_add_f32_e64 v39, |v31|, -0.5
	v_add_f32_e32 v40, -1.0, v41
	v_fmac_f32_e32 v38, v39, v40
.LBB11_290:                             ;   in Loop: Header=BB11_161 Depth=1
	s_or_b32 exec_lo, exec_lo, s31
.LBB11_291:                             ;   in Loop: Header=BB11_161 Depth=1
	s_and_not1_saveexec_b32 s31, s7
	s_cbranch_execz .LBB11_293
; %bb.292:                              ;   in Loop: Header=BB11_161 Depth=1
	v_cvt_i32_f32_e32 v39, v37
	s_delay_alu instid0(VALU_DEP_1) | instskip(SKIP_1) | instid1(VALU_DEP_2)
	v_cvt_f32_i32_e32 v38, v39
	v_cmp_lt_i32_e64 s6, 3, v39
	v_sub_f32_e64 v38, |v31|, v38
	s_delay_alu instid0(VALU_DEP_1) | instskip(NEXT) | instid1(VALU_DEP_1)
	v_pk_add_f32 v[40:41], v[38:39], v[28:29] op_sel_hi:[0,1]
	v_dual_add_f32 v42, 4.0, v38 :: v_dual_cndmask_b32 v41, 1.0, v41, s6
	v_cmp_lt_i32_e64 s6, 2, v39
	s_delay_alu instid0(VALU_DEP_1) | instskip(SKIP_1) | instid1(VALU_DEP_1)
	v_cndmask_b32_e64 v40, 1.0, v40, s6
	v_cmp_lt_i32_e64 s6, 4, v39
	v_cndmask_b32_e64 v42, 1.0, v42, s6
	s_delay_alu instid0(VALU_DEP_3) | instskip(SKIP_1) | instid1(VALU_DEP_2)
	v_dual_add_f32 v43, 0x40a00000, v38 :: v_dual_mul_f32 v40, v40, v41
	v_cmp_lt_i32_e64 s6, 5, v39
	v_dual_add_f32 v41, 0x40c00000, v38 :: v_dual_mul_f32 v40, v42, v40
	s_delay_alu instid0(VALU_DEP_2) | instskip(SKIP_2) | instid1(VALU_DEP_2)
	v_cndmask_b32_e64 v43, 1.0, v43, s6
	v_cmp_lt_i32_e64 s6, 6, v39
	v_fmaak_f32 v42, s21, v38, 0x3af135b4
	v_dual_cndmask_b32 v39, 1.0, v41, s6 :: v_dual_mul_f32 v40, v43, v40
	s_delay_alu instid0(VALU_DEP_1) | instskip(NEXT) | instid1(VALU_DEP_1)
	v_dual_mul_f32 v39, v39, v40 :: v_dual_fmaak_f32 v40, s22, v38, 0x3a4beed6
	v_cmp_gt_f32_e64 s6, 0x800000, v39
	s_delay_alu instid0(VALU_DEP_2) | instskip(NEXT) | instid1(VALU_DEP_2)
	v_fmaak_f32 v40, v38, v40, 0x3c98bf54
	v_cndmask_b32_e64 v41, 0, 32, s6
	s_delay_alu instid0(VALU_DEP_2) | instskip(NEXT) | instid1(VALU_DEP_2)
	v_fmaak_f32 v40, v38, v40, 0x3e300f6e
	v_ldexp_f32 v39, v39, v41
	v_fmaak_f32 v41, v38, v42, 0x3cda40e4
	s_delay_alu instid0(VALU_DEP_3) | instskip(NEXT) | instid1(VALU_DEP_3)
	v_fmaak_f32 v40, v38, v40, 0x3f38d0c5
	v_log_f32_e32 v39, v39
	s_delay_alu instid0(VALU_DEP_2) | instskip(NEXT) | instid1(VALU_DEP_2)
	v_fmaak_f32 v41, v38, v41, 0x3e15dce6
	v_fmaak_f32 v40, v38, v40, 0x3fb22d3b
	s_delay_alu instid0(VALU_DEP_2) | instskip(NEXT) | instid1(TRANS32_DEP_1)
	v_fmaak_f32 v41, v38, v41, 0x3ea6cc7a
	v_mul_f32_e32 v42, 0x3f317217, v39
	s_delay_alu instid0(VALU_DEP_3) | instskip(SKIP_1) | instid1(VALU_DEP_4)
	v_fma_f32 v40, v38, v40, 1.0
	v_cmp_gt_f32_e64 s7, 0x7f800000, |v39|
	v_fmaak_f32 v41, v38, v41, 0x3e5c245a
	s_delay_alu instid0(VALU_DEP_4) | instskip(NEXT) | instid1(VALU_DEP_4)
	v_fma_f32 v43, 0x3f317217, v39, -v42
	v_rcp_f32_e32 v40, v40
	s_delay_alu instid0(VALU_DEP_2) | instskip(NEXT) | instid1(VALU_DEP_1)
	v_fmaak_f32 v41, v38, v41, 0xbd9e233f
	v_mul_f32_e32 v41, v38, v41
	s_delay_alu instid0(TRANS32_DEP_1) | instid1(VALU_DEP_1)
	v_dual_fmac_f32 v43, 0x3377d1cf, v39 :: v_dual_mul_f32 v40, v41, v40
	v_cndmask_b32_e64 v41, 0, 0x41b17218, s6
	s_delay_alu instid0(VALU_DEP_2) | instskip(NEXT) | instid1(VALU_DEP_1)
	v_dual_add_f32 v42, v42, v43 :: v_dual_fmac_f32 v40, 0.5, v38
	v_cndmask_b32_e64 v39, v39, v42, s7
	s_delay_alu instid0(VALU_DEP_1) | instskip(NEXT) | instid1(VALU_DEP_1)
	v_sub_f32_e32 v38, v39, v41
	v_add_f32_e32 v38, v38, v40
.LBB11_293:                             ;   in Loop: Header=BB11_161 Depth=1
	s_or_b32 exec_lo, exec_lo, s31
.LBB11_294:                             ;   in Loop: Header=BB11_161 Depth=1
	s_and_not1_saveexec_b32 s30, s30
	s_cbranch_execz .LBB11_312
; %bb.295:                              ;   in Loop: Header=BB11_161 Depth=1
                                        ; implicit-def: $vgpr38
                                        ; implicit-def: $vgpr40
                                        ; implicit-def: $vgpr39
	s_mov_b32 s7, exec_lo
	v_cmpx_ge_f32_e64 0x3f666666, |v31|
	s_xor_b32 s31, exec_lo, s7
	s_cbranch_execz .LBB11_297
; %bb.296:                              ;   in Loop: Header=BB11_161 Depth=1
	v_cmp_gt_f32_e64 s7, 0x800000, |v31|
	v_sub_f32_e64 v41, 1.0, |v31|
	v_cmp_gt_f32_e64 s6, 0x3f3b4a23, |v31|
	s_delay_alu instid0(VALU_DEP_3) | instskip(SKIP_1) | instid1(VALU_DEP_2)
	v_cndmask_b32_e64 v38, 0, 32, s7
	v_cndmask_b32_e64 v42, 0, 0x41b17218, s7
	v_ldexp_f32 v38, |v31|, v38
	s_delay_alu instid0(VALU_DEP_1) | instskip(SKIP_1) | instid1(TRANS32_DEP_1)
	v_log_f32_e32 v38, v38
	v_nop
	v_mul_f32_e32 v39, 0x3f317217, v38
	v_cmp_gt_f32_e64 s7, 0x7f800000, |v38|
	s_delay_alu instid0(VALU_DEP_2) | instskip(NEXT) | instid1(VALU_DEP_1)
	v_fma_f32 v40, 0x3f317217, v38, -v39
	v_fmac_f32_e32 v40, 0x3377d1cf, v38
	s_delay_alu instid0(VALU_DEP_1) | instskip(SKIP_1) | instid1(VALU_DEP_1)
	v_add_f32_e32 v39, v39, v40
	v_add_f32_e64 v40, 0xbeec5b0c, |v31|
	v_dual_cndmask_b32 v38, v38, v39, s7 :: v_dual_cndmask_b32 v39, v41, v40, s6
	v_cndmask_b32_e64 v40, 0, 1, s6
	v_cmp_gt_f32_e64 s6, 0x3e6d3309, |v31|
	s_delay_alu instid0(VALU_DEP_3) | instskip(NEXT) | instid1(VALU_DEP_2)
	v_sub_f32_e32 v38, v38, v42
	v_cndmask_b32_e64 v39, v39, |v31|, s6
	s_delay_alu instid0(VALU_DEP_4) | instskip(NEXT) | instid1(VALU_DEP_3)
	v_cndmask_b32_e64 v40, v40, 2, s6
	v_xor_b32_e32 v38, 0x80000000, v38
.LBB11_297:                             ;   in Loop: Header=BB11_161 Depth=1
	s_and_not1_saveexec_b32 s7, s31
	s_cbranch_execz .LBB11_299
; %bb.298:                              ;   in Loop: Header=BB11_161 Depth=1
	v_sub_f32_e64 v38, 2.0, |v31|
	v_add_f32_e64 v39, 0xbfbb16c3, |v31|
	v_cmp_gt_f32_e64 s6, 0x3fdda512, |v31|
	v_add_f32_e64 v40, |v31|, -1.0
	s_delay_alu instid0(VALU_DEP_2) | instskip(SKIP_2) | instid1(VALU_DEP_2)
	v_cndmask_b32_e64 v39, v38, v39, s6
	v_cndmask_b32_e64 v38, v38, 1.0, s6
	v_cmp_gt_f32_e64 s6, 0x3f9d70a4, |v31|
	v_cvt_i32_f32_e32 v38, v38
	s_delay_alu instid0(VALU_DEP_2) | instskip(NEXT) | instid1(VALU_DEP_2)
	v_cndmask_b32_e64 v39, v39, v40, s6
	v_cndmask_b32_e64 v40, v38, 2, s6
	v_mov_b32_e32 v38, 0
.LBB11_299:                             ;   in Loop: Header=BB11_161 Depth=1
	s_or_b32 exec_lo, exec_lo, s7
	s_delay_alu instid0(SALU_CYCLE_1) | instskip(NEXT) | instid1(VALU_DEP_2)
	s_mov_b32 s7, exec_lo
	v_cmpx_lt_i32_e32 0, v40
	s_xor_b32 s7, exec_lo, s7
	s_cbranch_execz .LBB11_307
; %bb.300:                              ;   in Loop: Header=BB11_161 Depth=1
	s_mov_b32 s31, exec_lo
	v_cmpx_lt_i32_e32 1, v40
	s_xor_b32 s31, exec_lo, s31
	s_cbranch_execz .LBB11_304
; %bb.301:                              ;   in Loop: Header=BB11_161 Depth=1
	s_mov_b32 s33, exec_lo
	v_cmpx_eq_u32_e32 2, v40
	s_cbranch_execz .LBB11_303
; %bb.302:                              ;   in Loop: Header=BB11_161 Depth=1
	v_fmaak_f32 v41, s9, v39, 0x3e6a7578
	s_delay_alu instid0(VALU_DEP_1) | instskip(NEXT) | instid1(VALU_DEP_1)
	v_fmaak_f32 v41, v39, v41, 0x3f7a4bb2
	v_fmaak_f32 v41, v39, v41, 0x3fba3ae7
	s_delay_alu instid0(VALU_DEP_1) | instskip(NEXT) | instid1(VALU_DEP_1)
	v_fmaak_f32 v41, v39, v41, 0x3f2200f4
	v_fmaak_f32 v41, v39, v41, 0xbd9e233f
	s_delay_alu instid0(VALU_DEP_1) | instskip(NEXT) | instid1(VALU_DEP_1)
	v_dual_fmaak_f32 v40, s12, v39, 0x3dd572af :: v_dual_mul_f32 v41, v39, v41
	v_fmaak_f32 v40, v39, v40, 0x3f44efdf
	s_delay_alu instid0(VALU_DEP_1) | instskip(NEXT) | instid1(VALU_DEP_1)
	v_fmaak_f32 v40, v39, v40, 0x4008392d
	v_fmaak_f32 v40, v39, v40, 0x401d2ebe
	s_delay_alu instid0(VALU_DEP_1) | instskip(NEXT) | instid1(VALU_DEP_1)
	v_fma_f32 v40, v39, v40, 1.0
	v_rcp_f32_e32 v40, v40
	v_nop
	s_delay_alu instid0(TRANS32_DEP_1) | instskip(NEXT) | instid1(VALU_DEP_1)
	v_mul_f32_e32 v40, v41, v40
	v_fmac_f32_e32 v40, -0.5, v39
	s_delay_alu instid0(VALU_DEP_1)
	v_add_f32_e32 v38, v38, v40
.LBB11_303:                             ;   in Loop: Header=BB11_161 Depth=1
	s_or_b32 exec_lo, exec_lo, s33
                                        ; implicit-def: $vgpr39
.LBB11_304:                             ;   in Loop: Header=BB11_161 Depth=1
	s_and_not1_saveexec_b32 s6, s31
	s_cbranch_execz .LBB11_306
; %bb.305:                              ;   in Loop: Header=BB11_161 Depth=1
	v_mul_f32_e32 v40, v39, v39
	s_delay_alu instid0(VALU_DEP_1) | instskip(NEXT) | instid1(VALU_DEP_1)
	v_mul_f32_e32 v41, v39, v40
	v_fmaak_f32 v42, s23, v41, 0x3a66f867
	v_fmaak_f32 v43, s24, v41, 0xba0d3085
	s_delay_alu instid0(VALU_DEP_2) | instskip(NEXT) | instid1(VALU_DEP_2)
	v_fmaak_f32 v42, v41, v42, 0xbb7177fe
	v_fmaak_f32 v43, v41, v43, 0x3b141699
	s_delay_alu instid0(VALU_DEP_2) | instskip(NEXT) | instid1(VALU_DEP_2)
	;; [unrolled: 3-line block ×3, first 2 shown]
	v_fmaak_f32 v42, v41, v42, 0xbe17213c
	v_fmaak_f32 v43, v41, v43, 0x3d845a15
	s_delay_alu instid0(VALU_DEP_1) | instskip(SKIP_1) | instid1(VALU_DEP_1)
	v_fmac_f32_e32 v42, v39, v43
	v_fmaak_f32 v44, s13, v41, 0xbab7f476
	v_fmaak_f32 v44, v41, v44, 0x3bc7e707
	s_delay_alu instid0(VALU_DEP_1) | instskip(NEXT) | instid1(VALU_DEP_1)
	v_fmaak_f32 v44, v41, v44, 0xbd064d47
	v_fmaak_f32 v39, v41, v44, 0x3ef7b95e
	v_fma_f32 v41, v41, -v42, 0xa2863e55
	s_delay_alu instid0(VALU_DEP_1) | instskip(NEXT) | instid1(VALU_DEP_1)
	v_fma_f32 v39, v40, v39, -v41
	v_add_f32_e32 v39, 0xbdf8cdce, v39
	s_delay_alu instid0(VALU_DEP_1)
	v_add_f32_e32 v38, v38, v39
.LBB11_306:                             ;   in Loop: Header=BB11_161 Depth=1
	s_or_b32 exec_lo, exec_lo, s6
                                        ; implicit-def: $vgpr40
                                        ; implicit-def: $vgpr39
.LBB11_307:                             ;   in Loop: Header=BB11_161 Depth=1
	s_and_not1_saveexec_b32 s7, s7
	s_cbranch_execz .LBB11_311
; %bb.308:                              ;   in Loop: Header=BB11_161 Depth=1
	s_mov_b32 s31, exec_lo
	v_cmpx_eq_u32_e32 0, v40
	s_cbranch_execz .LBB11_310
; %bb.309:                              ;   in Loop: Header=BB11_161 Depth=1
	v_mul_f32_e32 v40, v39, v39
	s_delay_alu instid0(VALU_DEP_1) | instskip(NEXT) | instid1(VALU_DEP_1)
	v_fmaak_f32 v42, s25, v40, 0x39679767
	v_fmaak_f32 v42, v40, v42, 0x3a9c54a1
	s_delay_alu instid0(VALU_DEP_1) | instskip(NEXT) | instid1(VALU_DEP_1)
	v_fmaak_f32 v42, v40, v42, 0x3bf2027e
	v_fmaak_f32 v42, v40, v42, 0x3d89f001
	s_delay_alu instid0(VALU_DEP_1) | instskip(SKIP_1) | instid1(VALU_DEP_1)
	v_fmaak_f32 v42, v40, v42, 0x3d9e233f
	v_fmaak_f32 v41, s26, v40, 0x38e28445
	;; [unrolled: 1-line block ×3, first 2 shown]
	s_delay_alu instid0(VALU_DEP_1) | instskip(NEXT) | instid1(VALU_DEP_1)
	v_fmaak_f32 v41, v40, v41, 0x3b3d6ec6
	v_fmaak_f32 v41, v40, v41, 0x3ca89915
	s_delay_alu instid0(VALU_DEP_1) | instskip(NEXT) | instid1(VALU_DEP_1)
	v_fmaak_f32 v41, v40, v41, 0x3ea51a66
	v_mul_f32_e32 v40, v40, v41
	s_delay_alu instid0(VALU_DEP_1) | instskip(NEXT) | instid1(VALU_DEP_1)
	v_fmac_f32_e32 v40, v39, v42
	v_fmac_f32_e32 v40, -0.5, v39
	s_delay_alu instid0(VALU_DEP_1)
	v_add_f32_e32 v38, v38, v40
.LBB11_310:                             ;   in Loop: Header=BB11_161 Depth=1
	s_or_b32 exec_lo, exec_lo, s31
.LBB11_311:                             ;   in Loop: Header=BB11_161 Depth=1
	s_delay_alu instid0(SALU_CYCLE_1)
	s_or_b32 exec_lo, exec_lo, s7
.LBB11_312:                             ;   in Loop: Header=BB11_161 Depth=1
	s_delay_alu instid0(SALU_CYCLE_1)
	s_or_b32 exec_lo, exec_lo, s30
.LBB11_313:                             ;   in Loop: Header=BB11_161 Depth=1
	s_and_not1_saveexec_b32 s7, s8
	s_cbranch_execz .LBB11_315
; %bb.314:                              ;   in Loop: Header=BB11_161 Depth=1
	v_cmp_gt_f32_e64 s8, 0x800000, |v31|
	v_fma_f32 v41, |v31|, s27, 0xbecd26ab
	s_delay_alu instid0(VALU_DEP_2) | instskip(NEXT) | instid1(VALU_DEP_1)
	v_cndmask_b32_e64 v38, 0, 32, s8
	v_ldexp_f32 v38, |v31|, v38
	s_delay_alu instid0(VALU_DEP_1) | instskip(SKIP_1) | instid1(TRANS32_DEP_1)
	v_log_f32_e32 v38, v38
	v_nop
	v_mul_f32_e32 v39, 0x3f317217, v38
	v_cmp_gt_f32_e64 s6, 0x7f800000, |v38|
	s_delay_alu instid0(VALU_DEP_2) | instskip(NEXT) | instid1(VALU_DEP_1)
	v_fma_f32 v40, 0x3f317217, v38, -v39
	v_fmac_f32_e32 v40, 0x3377d1cf, v38
	s_delay_alu instid0(VALU_DEP_1) | instskip(SKIP_1) | instid1(VALU_DEP_2)
	v_add_f32_e32 v39, v39, v40
	v_fma_f32 v40, |v31|, v41, 0x3f528d33
	v_cndmask_b32_e64 v38, v38, v39, s6
	v_cndmask_b32_e64 v39, 0, 0x41b17218, s8
	s_delay_alu instid0(VALU_DEP_3) | instskip(NEXT) | instid1(VALU_DEP_2)
	v_fma_f32 v40, |v31|, v40, 0xbf13c468
	v_sub_f32_e32 v38, v38, v39
	s_delay_alu instid0(VALU_DEP_1)
	v_fma_f32 v38, |v31|, v40, -v38
.LBB11_315:                             ;   in Loop: Header=BB11_161 Depth=1
	s_or_b32 exec_lo, exec_lo, s7
	v_cmp_le_f32_e64 s6, 0, v31
	s_mov_b32 s8, exec_lo
	v_cmpx_nle_f32_e32 0, v31
	s_xor_b32 s30, exec_lo, s8
	s_cbranch_execnz .LBB11_321
; %bb.316:                              ;   in Loop: Header=BB11_161 Depth=1
	s_and_not1_saveexec_b32 s30, s30
	s_cbranch_execnz .LBB11_324
.LBB11_317:                             ;   in Loop: Header=BB11_161 Depth=1
	s_or_b32 exec_lo, exec_lo, s30
	s_and_saveexec_b32 s7, s2
	s_delay_alu instid0(SALU_CYCLE_1)
	s_xor_b32 s7, exec_lo, s7
	s_cbranch_execnz .LBB11_325
.LBB11_318:                             ;   in Loop: Header=BB11_161 Depth=1
	s_or_b32 exec_lo, exec_lo, s7
	s_and_saveexec_b32 s2, s1
	s_cbranch_execnz .LBB11_326
.LBB11_319:                             ;   in Loop: Header=BB11_161 Depth=1
	s_or_b32 exec_lo, exec_lo, s2
	s_and_saveexec_b32 s1, s0
	s_cbranch_execnz .LBB11_327
.LBB11_320:                             ;   in Loop: Header=BB11_161 Depth=1
	s_or_b32 exec_lo, exec_lo, s1
	s_and_saveexec_b32 s0, vcc_lo
	s_cbranch_execz .LBB11_160
	s_branch .LBB11_328
.LBB11_321:                             ;   in Loop: Header=BB11_161 Depth=1
	v_cmp_gt_f32_e64 s7, 0x4b000000, |v31|
	v_cmp_lt_f32_e64 s8, 0x35000000, |v31|
	s_and_b32 s7, s7, s8
	s_delay_alu instid0(SALU_CYCLE_1)
	s_and_saveexec_b32 s31, s7
	s_cbranch_execz .LBB11_323
; %bb.322:                              ;   in Loop: Header=BB11_161 Depth=1
	v_mul_f32_e64 v39, |v31|, 0.5
	s_delay_alu instid0(VALU_DEP_1) | instskip(SKIP_1) | instid1(VALU_DEP_2)
	v_floor_f32_e32 v40, v39
	v_cmp_neq_f32_e64 s7, 0x7f800000, v39
	v_sub_f32_e32 v40, v39, v40
	s_delay_alu instid0(VALU_DEP_1) | instskip(NEXT) | instid1(VALU_DEP_1)
	v_min_num_f32_e32 v40, 0x3f7fffff, v40
	v_add_f32_e32 v40, v40, v40
	s_delay_alu instid0(VALU_DEP_1) | instskip(SKIP_1) | instid1(VALU_DEP_1)
	v_cndmask_b32_e64 v39, 0, v40, s7
	v_cmp_gt_f32_e64 s7, |v31|, 1.0
	v_cndmask_b32_e64 v39, |v31|, v39, s7
	s_delay_alu instid0(VALU_DEP_1) | instskip(NEXT) | instid1(VALU_DEP_1)
	v_add_f32_e32 v40, v39, v39
	v_rndne_f32_e32 v40, v40
	s_delay_alu instid0(VALU_DEP_1) | instskip(SKIP_1) | instid1(VALU_DEP_2)
	v_fmac_f32_e32 v39, -0.5, v40
	v_cvt_i32_f32_e32 v40, v40
	v_mul_f32_e32 v41, v39, v39
	s_delay_alu instid0(VALU_DEP_1) | instskip(SKIP_1) | instid1(VALU_DEP_2)
	v_fmaak_f32 v42, s28, v41, 0xbf1f24be
	v_dual_fmaak_f32 v43, s29, v41, 0x3e642e9d :: v_dual_mul_f32 v44, v39, v41
	v_fmaak_f32 v42, v41, v42, 0x40234736
	s_delay_alu instid0(VALU_DEP_2) | instskip(NEXT) | instid1(VALU_DEP_2)
	v_fmaak_f32 v43, v41, v43, 0xbfaad1da
	v_fmaak_f32 v42, v41, v42, 0xc0a55e0e
	s_delay_alu instid0(VALU_DEP_1) | instskip(NEXT) | instid1(VALU_DEP_1)
	v_mul_f32_e32 v42, v44, v42
	v_fmac_f32_e32 v42, 0x40490fdb, v39
	v_dual_lshlrev_b32 v40, 30, v40 :: v_dual_bitop2_b32 v44, 1, v40 bitop3:0x40
	v_fmaak_f32 v43, v41, v43, 0x4081e0d3
	s_delay_alu instid0(VALU_DEP_2) | instskip(NEXT) | instid1(VALU_DEP_3)
	v_cmp_eq_u32_e64 s7, 0, v44
	v_and_or_b32 v37, 0x80000000, v40, v37
	s_delay_alu instid0(VALU_DEP_3) | instskip(NEXT) | instid1(VALU_DEP_1)
	v_fmaak_f32 v43, v41, v43, 0xc09de9e6
	v_fma_f32 v39, v41, v43, 1.0
	s_delay_alu instid0(VALU_DEP_1) | instskip(NEXT) | instid1(VALU_DEP_1)
	v_cndmask_b32_e64 v39, v39, v42, s7
	v_xor3_b32 v37, v37, v39, v31
	s_delay_alu instid0(VALU_DEP_1) | instskip(NEXT) | instid1(VALU_DEP_1)
	v_mul_f32_e32 v37, v31, v37
	v_frexp_mant_f32_e64 v39, |v37|
	v_frexp_exp_i32_f32_e32 v37, v37
	s_delay_alu instid0(VALU_DEP_2) | instskip(NEXT) | instid1(VALU_DEP_1)
	v_rcp_f32_e32 v39, v39
	v_sub_nc_u32_e32 v37, 2, v37
	s_delay_alu instid0(TRANS32_DEP_1) | instskip(NEXT) | instid1(VALU_DEP_1)
	v_mul_f32_e32 v39, 0x3f490fdb, v39
	v_ldexp_f32 v37, v39, v37
	s_delay_alu instid0(VALU_DEP_1) | instskip(NEXT) | instid1(VALU_DEP_1)
	v_cmp_gt_f32_e64 s7, 0x800000, v37
	v_cndmask_b32_e64 v39, 0, 32, s7
	s_delay_alu instid0(VALU_DEP_1) | instskip(NEXT) | instid1(VALU_DEP_1)
	v_ldexp_f32 v37, v37, v39
	v_log_f32_e32 v37, v37
	v_nop
	s_delay_alu instid0(TRANS32_DEP_1) | instskip(SKIP_1) | instid1(VALU_DEP_2)
	v_mul_f32_e32 v39, 0x3f317217, v37
	v_cmp_gt_f32_e64 s8, 0x7f800000, |v37|
	v_fma_f32 v40, 0x3f317217, v37, -v39
	s_delay_alu instid0(VALU_DEP_1) | instskip(NEXT) | instid1(VALU_DEP_1)
	v_fmac_f32_e32 v40, 0x3377d1cf, v37
	v_add_f32_e32 v39, v39, v40
	v_floor_f32_e32 v40, v31
	s_delay_alu instid0(VALU_DEP_2) | instskip(SKIP_1) | instid1(VALU_DEP_1)
	v_cndmask_b32_e64 v37, v37, v39, s8
	v_cndmask_b32_e64 v39, 0, 0x41b17218, s7
	v_dual_sub_f32 v40, v31, v40 :: v_dual_sub_f32 v37, v37, v39
	s_delay_alu instid0(VALU_DEP_1) | instskip(NEXT) | instid1(VALU_DEP_2)
	v_min_num_f32_e32 v39, 0x3f7fffff, v40
	v_sub_f32_e32 v37, v37, v38
	s_delay_alu instid0(VALU_DEP_2) | instskip(NEXT) | instid1(VALU_DEP_1)
	v_cmp_neq_f32_e64 s7, 0, v39
	v_cndmask_b32_e64 v38, 0x7f800000, v37, s7
.LBB11_323:                             ;   in Loop: Header=BB11_161 Depth=1
	s_or_b32 exec_lo, exec_lo, s31
	s_and_not1_saveexec_b32 s30, s30
	s_cbranch_execz .LBB11_317
.LBB11_324:                             ;   in Loop: Header=BB11_161 Depth=1
	v_cmp_eq_f32_e64 s7, 1.0, v31
	v_cmp_eq_f32_e64 s8, 2.0, v31
	s_or_b32 s7, s7, s8
	s_delay_alu instid0(SALU_CYCLE_1) | instskip(SKIP_2) | instid1(SALU_CYCLE_1)
	v_cndmask_b32_e64 v38, v38, 0, s7
	s_or_b32 exec_lo, exec_lo, s30
	s_and_saveexec_b32 s7, s2
	s_xor_b32 s7, exec_lo, s7
	s_cbranch_execz .LBB11_318
.LBB11_325:                             ;   in Loop: Header=BB11_161 Depth=1
	v_cmp_gt_f32_e64 s2, 0x4b000000, |v33|
	v_add_nc_u64_e32 v[40:41], s[10:11], v[8:9]
	s_or_b32 s2, s3, s2
	s_delay_alu instid0(SALU_CYCLE_1) | instskip(SKIP_1) | instid1(VALU_DEP_1)
	v_cndmask_b32_e64 v34, 0x7f800000, v34, s2
	v_cmp_class_f32_e64 s2, v33, 0x264
	v_cndmask_b32_e64 v34, v34, 0x7f800000, s2
	v_cmp_u_f32_e64 s2, v33, v33
	s_delay_alu instid0(VALU_DEP_1) | instskip(NEXT) | instid1(VALU_DEP_1)
	v_cndmask_b32_e64 v33, v34, v33, s2
	v_bfe_u32 v34, v33, 16, 1
	s_delay_alu instid0(VALU_DEP_1) | instskip(NEXT) | instid1(VALU_DEP_1)
	v_add3_u32 v34, v33, v34, 0x7fff
	v_lshrrev_b32_e32 v34, 16, v34
	v_cmp_o_f32_e64 s2, v33, v33
	s_delay_alu instid0(VALU_DEP_1)
	v_cndmask_b32_e64 v33, 0x7fc0, v34, s2
	global_store_b16 v[40:41], v33, off
	s_wait_xcnt 0x0
	s_or_b32 exec_lo, exec_lo, s7
	s_and_saveexec_b32 s2, s1
	s_cbranch_execz .LBB11_319
.LBB11_326:                             ;   in Loop: Header=BB11_161 Depth=1
	v_cmp_gt_f32_e64 s1, 0x4b000000, |v32|
	s_or_b32 s1, s4, s1
	s_delay_alu instid0(SALU_CYCLE_1) | instskip(SKIP_1) | instid1(VALU_DEP_1)
	v_cndmask_b32_e64 v33, 0x7f800000, v35, s1
	v_cmp_class_f32_e64 s1, v32, 0x264
	v_cndmask_b32_e64 v33, v33, 0x7f800000, s1
	v_cmp_u_f32_e64 s1, v32, v32
	s_delay_alu instid0(VALU_DEP_1) | instskip(NEXT) | instid1(VALU_DEP_1)
	v_cndmask_b32_e64 v34, v33, v32, s1
	v_bfe_u32 v32, v34, 16, 1
	s_delay_alu instid0(VALU_DEP_1) | instskip(NEXT) | instid1(VALU_DEP_1)
	v_add3_u32 v32, v34, v32, 0x7fff
	v_lshrrev_b32_e32 v35, 16, v32
	v_cmp_o_f32_e64 s1, v34, v34
	v_add_nc_u64_e32 v[32:33], s[10:11], v[26:27]
	s_delay_alu instid0(VALU_DEP_2)
	v_cndmask_b32_e64 v34, 0x7fc0, v35, s1
	global_store_b16 v[32:33], v34, off
	s_wait_xcnt 0x0
	s_or_b32 exec_lo, exec_lo, s2
	s_and_saveexec_b32 s1, s0
	s_cbranch_execz .LBB11_320
.LBB11_327:                             ;   in Loop: Header=BB11_161 Depth=1
	v_cmp_gt_f32_e64 s0, 0x4b000000, |v30|
	s_or_b32 s0, s5, s0
	s_delay_alu instid0(SALU_CYCLE_1) | instskip(SKIP_1) | instid1(VALU_DEP_1)
	v_cndmask_b32_e64 v32, 0x7f800000, v36, s0
	v_cmp_class_f32_e64 s0, v30, 0x264
	v_cndmask_b32_e64 v32, v32, 0x7f800000, s0
	v_cmp_u_f32_e64 s0, v30, v30
	s_delay_alu instid0(VALU_DEP_1) | instskip(NEXT) | instid1(VALU_DEP_1)
	v_cndmask_b32_e64 v30, v32, v30, s0
	v_bfe_u32 v32, v30, 16, 1
	s_delay_alu instid0(VALU_DEP_1) | instskip(NEXT) | instid1(VALU_DEP_1)
	v_add3_u32 v32, v30, v32, 0x7fff
	v_lshrrev_b32_e32 v34, 16, v32
	v_cmp_o_f32_e64 s0, v30, v30
	v_add_nc_u64_e32 v[32:33], s[10:11], v[18:19]
	s_delay_alu instid0(VALU_DEP_2)
	v_cndmask_b32_e64 v30, 0x7fc0, v34, s0
	global_store_b16 v[32:33], v30, off
	s_wait_xcnt 0x0
	s_or_b32 exec_lo, exec_lo, s1
	s_and_saveexec_b32 s0, vcc_lo
	s_cbranch_execz .LBB11_160
.LBB11_328:                             ;   in Loop: Header=BB11_161 Depth=1
	v_cmp_gt_f32_e64 s1, 0x4b000000, |v31|
	s_or_b32 vcc_lo, s6, s1
	v_cmp_class_f32_e64 s1, v31, 0x264
	v_cndmask_b32_e32 v30, 0x7f800000, v38, vcc_lo
	v_cmp_u_f32_e32 vcc_lo, v31, v31
	s_delay_alu instid0(VALU_DEP_2) | instskip(NEXT) | instid1(VALU_DEP_1)
	v_cndmask_b32_e64 v30, v30, 0x7f800000, s1
	v_cndmask_b32_e32 v32, v30, v31, vcc_lo
	s_delay_alu instid0(VALU_DEP_1) | instskip(NEXT) | instid1(VALU_DEP_1)
	v_bfe_u32 v30, v32, 16, 1
	v_add3_u32 v30, v32, v30, 0x7fff
	s_delay_alu instid0(VALU_DEP_1) | instskip(SKIP_2) | instid1(VALU_DEP_3)
	v_lshrrev_b32_e32 v33, 16, v30
	v_cmp_o_f32_e32 vcc_lo, v32, v32
	v_add_nc_u64_e32 v[30:31], s[10:11], v[22:23]
	v_cndmask_b32_e32 v32, 0x7fc0, v33, vcc_lo
	global_store_b16 v[30:31], v32, off
	s_branch .LBB11_160
.LBB11_329:
	s_endpgm
	.section	.rodata,"a",@progbits
	.p2align	6, 0x0
	.amdhsa_kernel _ZN2at6native12_GLOBAL__N_125multi_tensor_apply_kernelINS1_18TensorListMetadataILi2EEENS1_14UnaryOpFunctorIN3c108BFloat16ELi2ELi1ELi1EEEJNS0_6LgammaIfEEEEEvT_T0_DpT1_
		.amdhsa_group_segment_fixed_size 0
		.amdhsa_private_segment_fixed_size 0
		.amdhsa_kernarg_size 3408
		.amdhsa_user_sgpr_count 2
		.amdhsa_user_sgpr_dispatch_ptr 0
		.amdhsa_user_sgpr_queue_ptr 0
		.amdhsa_user_sgpr_kernarg_segment_ptr 1
		.amdhsa_user_sgpr_dispatch_id 0
		.amdhsa_user_sgpr_kernarg_preload_length 0
		.amdhsa_user_sgpr_kernarg_preload_offset 0
		.amdhsa_user_sgpr_private_segment_size 0
		.amdhsa_wavefront_size32 1
		.amdhsa_uses_dynamic_stack 0
		.amdhsa_enable_private_segment 0
		.amdhsa_system_sgpr_workgroup_id_x 1
		.amdhsa_system_sgpr_workgroup_id_y 0
		.amdhsa_system_sgpr_workgroup_id_z 0
		.amdhsa_system_sgpr_workgroup_info 0
		.amdhsa_system_vgpr_workitem_id 0
		.amdhsa_next_free_vgpr 45
		.amdhsa_next_free_sgpr 38
		.amdhsa_named_barrier_count 0
		.amdhsa_reserve_vcc 1
		.amdhsa_float_round_mode_32 0
		.amdhsa_float_round_mode_16_64 0
		.amdhsa_float_denorm_mode_32 3
		.amdhsa_float_denorm_mode_16_64 3
		.amdhsa_fp16_overflow 0
		.amdhsa_memory_ordered 1
		.amdhsa_forward_progress 1
		.amdhsa_inst_pref_size 178
		.amdhsa_round_robin_scheduling 0
		.amdhsa_exception_fp_ieee_invalid_op 0
		.amdhsa_exception_fp_denorm_src 0
		.amdhsa_exception_fp_ieee_div_zero 0
		.amdhsa_exception_fp_ieee_overflow 0
		.amdhsa_exception_fp_ieee_underflow 0
		.amdhsa_exception_fp_ieee_inexact 0
		.amdhsa_exception_int_div_zero 0
	.end_amdhsa_kernel
	.section	.text._ZN2at6native12_GLOBAL__N_125multi_tensor_apply_kernelINS1_18TensorListMetadataILi2EEENS1_14UnaryOpFunctorIN3c108BFloat16ELi2ELi1ELi1EEEJNS0_6LgammaIfEEEEEvT_T0_DpT1_,"axG",@progbits,_ZN2at6native12_GLOBAL__N_125multi_tensor_apply_kernelINS1_18TensorListMetadataILi2EEENS1_14UnaryOpFunctorIN3c108BFloat16ELi2ELi1ELi1EEEJNS0_6LgammaIfEEEEEvT_T0_DpT1_,comdat
.Lfunc_end11:
	.size	_ZN2at6native12_GLOBAL__N_125multi_tensor_apply_kernelINS1_18TensorListMetadataILi2EEENS1_14UnaryOpFunctorIN3c108BFloat16ELi2ELi1ELi1EEEJNS0_6LgammaIfEEEEEvT_T0_DpT1_, .Lfunc_end11-_ZN2at6native12_GLOBAL__N_125multi_tensor_apply_kernelINS1_18TensorListMetadataILi2EEENS1_14UnaryOpFunctorIN3c108BFloat16ELi2ELi1ELi1EEEJNS0_6LgammaIfEEEEEvT_T0_DpT1_
                                        ; -- End function
	.set _ZN2at6native12_GLOBAL__N_125multi_tensor_apply_kernelINS1_18TensorListMetadataILi2EEENS1_14UnaryOpFunctorIN3c108BFloat16ELi2ELi1ELi1EEEJNS0_6LgammaIfEEEEEvT_T0_DpT1_.num_vgpr, 45
	.set _ZN2at6native12_GLOBAL__N_125multi_tensor_apply_kernelINS1_18TensorListMetadataILi2EEENS1_14UnaryOpFunctorIN3c108BFloat16ELi2ELi1ELi1EEEJNS0_6LgammaIfEEEEEvT_T0_DpT1_.num_agpr, 0
	.set _ZN2at6native12_GLOBAL__N_125multi_tensor_apply_kernelINS1_18TensorListMetadataILi2EEENS1_14UnaryOpFunctorIN3c108BFloat16ELi2ELi1ELi1EEEJNS0_6LgammaIfEEEEEvT_T0_DpT1_.numbered_sgpr, 38
	.set _ZN2at6native12_GLOBAL__N_125multi_tensor_apply_kernelINS1_18TensorListMetadataILi2EEENS1_14UnaryOpFunctorIN3c108BFloat16ELi2ELi1ELi1EEEJNS0_6LgammaIfEEEEEvT_T0_DpT1_.num_named_barrier, 0
	.set _ZN2at6native12_GLOBAL__N_125multi_tensor_apply_kernelINS1_18TensorListMetadataILi2EEENS1_14UnaryOpFunctorIN3c108BFloat16ELi2ELi1ELi1EEEJNS0_6LgammaIfEEEEEvT_T0_DpT1_.private_seg_size, 0
	.set _ZN2at6native12_GLOBAL__N_125multi_tensor_apply_kernelINS1_18TensorListMetadataILi2EEENS1_14UnaryOpFunctorIN3c108BFloat16ELi2ELi1ELi1EEEJNS0_6LgammaIfEEEEEvT_T0_DpT1_.uses_vcc, 1
	.set _ZN2at6native12_GLOBAL__N_125multi_tensor_apply_kernelINS1_18TensorListMetadataILi2EEENS1_14UnaryOpFunctorIN3c108BFloat16ELi2ELi1ELi1EEEJNS0_6LgammaIfEEEEEvT_T0_DpT1_.uses_flat_scratch, 0
	.set _ZN2at6native12_GLOBAL__N_125multi_tensor_apply_kernelINS1_18TensorListMetadataILi2EEENS1_14UnaryOpFunctorIN3c108BFloat16ELi2ELi1ELi1EEEJNS0_6LgammaIfEEEEEvT_T0_DpT1_.has_dyn_sized_stack, 0
	.set _ZN2at6native12_GLOBAL__N_125multi_tensor_apply_kernelINS1_18TensorListMetadataILi2EEENS1_14UnaryOpFunctorIN3c108BFloat16ELi2ELi1ELi1EEEJNS0_6LgammaIfEEEEEvT_T0_DpT1_.has_recursion, 0
	.set _ZN2at6native12_GLOBAL__N_125multi_tensor_apply_kernelINS1_18TensorListMetadataILi2EEENS1_14UnaryOpFunctorIN3c108BFloat16ELi2ELi1ELi1EEEJNS0_6LgammaIfEEEEEvT_T0_DpT1_.has_indirect_call, 0
	.section	.AMDGPU.csdata,"",@progbits
; Kernel info:
; codeLenInByte = 22720
; TotalNumSgprs: 40
; NumVgprs: 45
; ScratchSize: 0
; MemoryBound: 0
; FloatMode: 240
; IeeeMode: 1
; LDSByteSize: 0 bytes/workgroup (compile time only)
; SGPRBlocks: 0
; VGPRBlocks: 2
; NumSGPRsForWavesPerEU: 40
; NumVGPRsForWavesPerEU: 45
; NamedBarCnt: 0
; Occupancy: 16
; WaveLimiterHint : 0
; COMPUTE_PGM_RSRC2:SCRATCH_EN: 0
; COMPUTE_PGM_RSRC2:USER_SGPR: 2
; COMPUTE_PGM_RSRC2:TRAP_HANDLER: 0
; COMPUTE_PGM_RSRC2:TGID_X_EN: 1
; COMPUTE_PGM_RSRC2:TGID_Y_EN: 0
; COMPUTE_PGM_RSRC2:TGID_Z_EN: 0
; COMPUTE_PGM_RSRC2:TIDIG_COMP_CNT: 0
	.section	.text._ZN2at6native12_GLOBAL__N_125multi_tensor_apply_kernelINS1_18TensorListMetadataILi1EEENS1_14UnaryOpFunctorIdLi1ELi1ELi0EEEJNS0_6LgammaIdEEEEEvT_T0_DpT1_,"axG",@progbits,_ZN2at6native12_GLOBAL__N_125multi_tensor_apply_kernelINS1_18TensorListMetadataILi1EEENS1_14UnaryOpFunctorIdLi1ELi1ELi0EEEJNS0_6LgammaIdEEEEEvT_T0_DpT1_,comdat
	.globl	_ZN2at6native12_GLOBAL__N_125multi_tensor_apply_kernelINS1_18TensorListMetadataILi1EEENS1_14UnaryOpFunctorIdLi1ELi1ELi0EEEJNS0_6LgammaIdEEEEEvT_T0_DpT1_ ; -- Begin function _ZN2at6native12_GLOBAL__N_125multi_tensor_apply_kernelINS1_18TensorListMetadataILi1EEENS1_14UnaryOpFunctorIdLi1ELi1ELi0EEEJNS0_6LgammaIdEEEEEvT_T0_DpT1_
	.p2align	8
	.type	_ZN2at6native12_GLOBAL__N_125multi_tensor_apply_kernelINS1_18TensorListMetadataILi1EEENS1_14UnaryOpFunctorIdLi1ELi1ELi0EEEJNS0_6LgammaIdEEEEEvT_T0_DpT1_,@function
_ZN2at6native12_GLOBAL__N_125multi_tensor_apply_kernelINS1_18TensorListMetadataILi1EEENS1_14UnaryOpFunctorIdLi1ELi1ELi0EEEJNS0_6LgammaIdEEEEEvT_T0_DpT1_: ; @_ZN2at6native12_GLOBAL__N_125multi_tensor_apply_kernelINS1_18TensorListMetadataILi1EEENS1_14UnaryOpFunctorIdLi1ELi1ELi0EEEJNS0_6LgammaIdEEEEEvT_T0_DpT1_
; %bb.0:
	s_bfe_u32 s2, ttmp6, 0x4000c
	s_and_b32 s3, ttmp6, 15
	s_add_co_i32 s2, s2, 1
	s_getreg_b32 s4, hwreg(HW_REG_IB_STS2, 6, 4)
	s_mul_i32 s2, ttmp9, s2
	s_delay_alu instid0(SALU_CYCLE_1)
	s_add_co_i32 s3, s3, s2
	s_cmp_eq_u32 s4, 0
	s_cselect_b32 s2, ttmp9, s3
	s_mov_b32 s3, 0
	s_load_u8 s10, s[0:1], s2 offset:0x6e0
	s_add_nc_u64 s[4:5], s[0:1], s[2:3]
	s_mul_u64 s[6:7], s[2:3], 3
	s_delay_alu instid0(SALU_CYCLE_1)
	s_add_nc_u64 s[4:5], s[4:5], s[6:7]
	s_load_b32 s6, s[4:5], 0x820
	s_wait_kmcnt 0x0
	s_clause 0x1
	s_load_b64 s[8:9], s[0:1], s10 offset:0x0 scale_offset
	s_load_b64 s[12:13], s[0:1], s10 offset:0x370 scale_offset
	s_ashr_i32 s7, s6, 31
	s_delay_alu instid0(SALU_CYCLE_1) | instskip(SKIP_3) | instid1(SALU_CYCLE_1)
	s_lshl_b64 s[4:5], s[6:7], 19
	s_wait_kmcnt 0x0
	s_and_b32 s2, s12, 3
	s_add_nc_u64 s[10:11], s[8:9], s[4:5]
	s_and_b64 s[4:5], s[10:11], 31
	s_delay_alu instid0(SALU_CYCLE_1)
	s_or_b64 s[2:3], s[4:5], s[2:3]
	s_lshl_b64 s[4:5], s[6:7], 16
	s_cmp_eq_u64 s[2:3], 0
	s_sub_nc_u64 s[12:13], s[12:13], s[4:5]
	s_cbranch_scc1 .LBB12_157
; %bb.1:
	v_cmp_lt_i64_e64 s2, s[12:13], 1
	s_and_b32 vcc_lo, exec_lo, s2
	s_cbranch_vccnz .LBB12_156
; %bb.2:
	s_load_b32 s2, s[0:1], 0xd3c
	v_min_u64 v[2:3], 0x10000, s[12:13]
	v_dual_mov_b32 v1, 0 :: v_dual_lshlrev_b32 v18, 3, v0
	s_mov_b32 s45, 0
	v_mov_b64_e32 v[4:5], 0x3fc385386b47b09a
	s_mov_b32 s3, s45
	s_delay_alu instid0(VALU_DEP_2)
	v_dual_mov_b32 v19, v1 :: v_dual_mov_b32 v25, v1
	s_mov_b32 s5, s45
	v_mov_b64_e32 v[6:7], 0x3f4b67ba4cdad5d1
	v_mov_b64_e32 v[8:9], 0x3f5e26b67368f239
	;; [unrolled: 1-line block ×5, first 2 shown]
	v_add_nc_u64_e32 v[18:19], s[10:11], v[18:19]
	v_mov_b64_e32 v[26:27], 0x3f2cf2eced10e54d
	v_mov_b64_e32 v[28:29], 0x3f1c5088987dfb07
	;; [unrolled: 1-line block ×4, first 2 shown]
	s_wait_kmcnt 0x0
	s_and_b32 s44, s2, 0xffff
	v_mov_b64_e32 v[34:35], 0xbf41a6109c73e0ec
	v_add_nc_u64_e32 v[16:17], s[44:45], v[0:1]
	s_lshl_b32 s2, s44, 1
	s_mul_i32 s4, s44, 3
	v_add_nc_u64_e32 v[22:23], s[2:3], v[0:1]
	v_add_nc_u64_e32 v[20:21], s[4:5], v[0:1]
	v_mov_b64_e32 v[36:37], 0xbf7e2fe76fdffd2b
	v_mov_b64_e32 v[38:39], 0x3f5f9c89ca1d4f33
	v_lshlrev_b32_e32 v24, 3, v16
	s_mov_b64 s[14:15], 0x3fe5555555555555
	s_mov_b64 s[16:17], 0x3fe62e42fefa39ef
	;; [unrolled: 1-line block ×4, first 2 shown]
	v_add_nc_u64_e32 v[24:25], s[10:11], v[24:25]
	s_mov_b32 s23, s45
	s_lshl_b32 s22, s44, 2
	s_lshl_b32 s24, s44, 5
	s_mov_b64 s[26:27], 0xbc50c7caa48a971f
	s_mov_b64 s[28:29], 0x3fd151322ac7d848
	;; [unrolled: 1-line block ×7, first 2 shown]
	s_mov_b32 s25, s45
	s_mul_u64 s[42:43], s[44:45], 24
	s_lshl_b32 s44, s44, 4
	s_mov_b64 s[46:47], 0
                                        ; implicit-def: $vgpr40_vgpr41
                                        ; implicit-def: $vgpr40_vgpr41
	;; [unrolled: 1-line block ×51, first 2 shown]
	s_branch .LBB12_4
.LBB12_3:                               ;   in Loop: Header=BB12_4 Depth=1
	s_wait_xcnt 0x0
	s_or_b32 exec_lo, exec_lo, s3
	v_min_i64 v[40:41], 0x10000, s[12:13]
	s_add_nc_u64 s[46:47], s[46:47], s[22:23]
	v_add_nc_u64_e32 v[18:19], s[24:25], v[18:19]
	v_add_nc_u64_e32 v[24:25], s[24:25], v[24:25]
	s_delay_alu instid0(VALU_DEP_3)
	v_cmp_ge_i64_e32 vcc_lo, s[46:47], v[40:41]
	s_cbranch_vccnz .LBB12_156
.LBB12_4:                               ; =>This Inner Loop Header: Depth=1
	v_add_nc_u64_e32 v[40:41], s[46:47], v[0:1]
	v_mov_b64_e32 v[44:45], 0
	v_mov_b64_e32 v[50:51], 0
	s_delay_alu instid0(VALU_DEP_3)
	v_cmp_lt_u64_e64 s5, v[40:41], v[2:3]
	s_and_saveexec_b32 s2, s5
	s_cbranch_execz .LBB12_6
; %bb.5:                                ;   in Loop: Header=BB12_4 Depth=1
	global_load_b64 v[50:51], v[18:19], off
.LBB12_6:                               ;   in Loop: Header=BB12_4 Depth=1
	s_wait_xcnt 0x0
	s_or_b32 exec_lo, exec_lo, s2
	v_add_nc_u64_e32 v[40:41], s[46:47], v[16:17]
	s_delay_alu instid0(VALU_DEP_1)
	v_cmp_lt_u64_e64 s4, v[40:41], v[2:3]
	s_and_saveexec_b32 s2, s4
	s_cbranch_execz .LBB12_8
; %bb.7:                                ;   in Loop: Header=BB12_4 Depth=1
	global_load_b64 v[44:45], v[24:25], off
.LBB12_8:                               ;   in Loop: Header=BB12_4 Depth=1
	s_wait_xcnt 0x0
	s_or_b32 exec_lo, exec_lo, s2
	v_add_nc_u64_e32 v[42:43], s[46:47], v[22:23]
	v_mov_b64_e32 v[40:41], 0
	v_add_nc_u64_e32 v[46:47], s[44:45], v[18:19]
	v_mov_b64_e32 v[48:49], 0
	s_delay_alu instid0(VALU_DEP_4)
	v_cmp_lt_u64_e64 s3, v[42:43], v[2:3]
	s_and_saveexec_b32 s2, s3
	s_cbranch_execz .LBB12_10
; %bb.9:                                ;   in Loop: Header=BB12_4 Depth=1
	global_load_b64 v[48:49], v[46:47], off
.LBB12_10:                              ;   in Loop: Header=BB12_4 Depth=1
	s_wait_xcnt 0x0
	s_or_b32 exec_lo, exec_lo, s2
	v_add_nc_u64_e32 v[42:43], s[46:47], v[20:21]
	s_delay_alu instid0(VALU_DEP_1)
	v_cmp_lt_u64_e64 s2, v[42:43], v[2:3]
	v_add_nc_u64_e32 v[42:43], s[42:43], v[18:19]
	s_and_saveexec_b32 s6, s2
	s_cbranch_execz .LBB12_12
; %bb.11:                               ;   in Loop: Header=BB12_4 Depth=1
	global_load_b64 v[40:41], v[42:43], off
.LBB12_12:                              ;   in Loop: Header=BB12_4 Depth=1
	s_wait_xcnt 0x0
	s_or_b32 exec_lo, exec_lo, s6
	s_wait_loadcnt 0x0
	v_and_b32_e32 v53, 0x7fffffff, v51
	v_mov_b32_e32 v52, v50
                                        ; implicit-def: $vgpr54_vgpr55
	s_mov_b32 s6, exec_lo
	s_delay_alu instid0(VALU_DEP_2)
	v_cmpx_lt_u32_e32 0x3f6fffff, v53
	s_xor_b32 s9, exec_lo, s6
	s_cbranch_execz .LBB12_38
; %bb.13:                               ;   in Loop: Header=BB12_4 Depth=1
                                        ; implicit-def: $vgpr54_vgpr55
	s_mov_b32 s6, exec_lo
	v_cmpx_lt_u32_e32 0x3fffffff, v53
	s_xor_b32 s7, exec_lo, s6
	s_cbranch_execz .LBB12_23
; %bb.14:                               ;   in Loop: Header=BB12_4 Depth=1
                                        ; implicit-def: $vgpr54_vgpr55
	s_mov_b32 s6, exec_lo
	;; [unrolled: 6-line block ×3, first 2 shown]
	v_cmpx_lt_u32_e32 0x438fffff, v53
	s_xor_b32 s33, exec_lo, s6
	s_cbranch_execz .LBB12_17
; %bb.16:                               ;   in Loop: Header=BB12_4 Depth=1
	v_frexp_mant_f64_e64 v[54:55], |v[50:51]|
	v_cmp_neq_f64_e64 s6, 0, v[50:51]
	s_delay_alu instid0(VALU_DEP_2) | instskip(SKIP_1) | instid1(VALU_DEP_1)
	v_cmp_gt_f64_e32 vcc_lo, s[14:15], v[54:55]
	v_cndmask_b32_e64 v52, 0, 1, vcc_lo
	v_ldexp_f64 v[54:55], v[54:55], v52
	v_frexp_exp_i32_f64_e32 v52, v[50:51]
	s_delay_alu instid0(VALU_DEP_2) | instskip(SKIP_1) | instid1(VALU_DEP_3)
	v_add_f64_e32 v[56:57], 1.0, v[54:55]
	v_add_f64_e32 v[62:63], -1.0, v[54:55]
	v_subrev_co_ci_u32_e64 v52, null, 0, v52, vcc_lo
	v_cmp_neq_f64_e64 vcc_lo, 0x7ff00000, |v[50:51]|
	s_delay_alu instid0(VALU_DEP_4) | instskip(SKIP_1) | instid1(VALU_DEP_1)
	v_rcp_f64_e32 v[58:59], v[56:57]
	v_add_f64_e32 v[64:65], -1.0, v[56:57]
	v_add_f64_e64 v[54:55], v[54:55], -v[64:65]
	s_delay_alu instid0(TRANS32_DEP_1) | instskip(NEXT) | instid1(VALU_DEP_1)
	v_fma_f64 v[60:61], -v[56:57], v[58:59], 1.0
	v_fmac_f64_e32 v[58:59], v[60:61], v[58:59]
	s_delay_alu instid0(VALU_DEP_1) | instskip(NEXT) | instid1(VALU_DEP_1)
	v_fma_f64 v[60:61], -v[56:57], v[58:59], 1.0
	v_fmac_f64_e32 v[58:59], v[60:61], v[58:59]
	s_delay_alu instid0(VALU_DEP_1) | instskip(NEXT) | instid1(VALU_DEP_1)
	v_mul_f64_e32 v[60:61], v[62:63], v[58:59]
	v_mul_f64_e32 v[66:67], v[56:57], v[60:61]
	s_delay_alu instid0(VALU_DEP_1) | instskip(NEXT) | instid1(VALU_DEP_1)
	v_fma_f64 v[56:57], v[60:61], v[56:57], -v[66:67]
	v_fmac_f64_e32 v[56:57], v[60:61], v[54:55]
	s_delay_alu instid0(VALU_DEP_1) | instskip(NEXT) | instid1(VALU_DEP_1)
	v_add_f64_e32 v[54:55], v[66:67], v[56:57]
	v_add_f64_e64 v[64:65], v[62:63], -v[54:55]
	v_add_f64_e64 v[66:67], v[54:55], -v[66:67]
	s_delay_alu instid0(VALU_DEP_2) | instskip(NEXT) | instid1(VALU_DEP_2)
	v_add_f64_e64 v[62:63], v[62:63], -v[64:65]
	v_add_f64_e64 v[56:57], v[66:67], -v[56:57]
	s_delay_alu instid0(VALU_DEP_2) | instskip(NEXT) | instid1(VALU_DEP_1)
	v_add_f64_e64 v[54:55], v[62:63], -v[54:55]
	v_add_f64_e32 v[54:55], v[56:57], v[54:55]
	s_delay_alu instid0(VALU_DEP_1) | instskip(NEXT) | instid1(VALU_DEP_1)
	v_add_f64_e32 v[54:55], v[64:65], v[54:55]
	v_mul_f64_e32 v[54:55], v[58:59], v[54:55]
	s_delay_alu instid0(VALU_DEP_1) | instskip(NEXT) | instid1(VALU_DEP_1)
	v_add_f64_e32 v[56:57], v[60:61], v[54:55]
	v_mul_f64_e32 v[58:59], v[56:57], v[56:57]
	s_delay_alu instid0(VALU_DEP_1) | instskip(SKIP_1) | instid1(VALU_DEP_2)
	v_fmamk_f64 v[62:63], v[58:59], 0x3fc3ab76bf559e2b, v[4:5]
	v_mul_f64_e32 v[64:65], v[56:57], v[58:59]
	v_fmaak_f64 v[62:63], v[58:59], v[62:63], 0x3fc7474dd7f4df2e
	s_delay_alu instid0(VALU_DEP_1) | instskip(NEXT) | instid1(VALU_DEP_1)
	v_fmaak_f64 v[62:63], v[58:59], v[62:63], 0x3fcc71c016291751
	v_fmaak_f64 v[62:63], v[58:59], v[62:63], 0x3fd249249b27acf1
	s_delay_alu instid0(VALU_DEP_1) | instskip(NEXT) | instid1(VALU_DEP_1)
	v_fmaak_f64 v[62:63], v[58:59], v[62:63], 0x3fd99999998ef7b6
	v_fmaak_f64 v[58:59], v[58:59], v[62:63], 0x3fe5555555555780
	v_ldexp_f64 v[62:63], v[56:57], 1
	v_add_f64_e64 v[56:57], v[56:57], -v[60:61]
	s_delay_alu instid0(VALU_DEP_3) | instskip(SKIP_1) | instid1(VALU_DEP_3)
	v_mul_f64_e32 v[58:59], v[64:65], v[58:59]
	v_cvt_f64_i32_e32 v[64:65], v52
	v_add_f64_e64 v[54:55], v[54:55], -v[56:57]
	s_delay_alu instid0(VALU_DEP_3) | instskip(NEXT) | instid1(VALU_DEP_3)
	v_add_f64_e32 v[60:61], v[62:63], v[58:59]
	v_mul_f64_e32 v[66:67], 0x3fe62e42fefa39ef, v[64:65]
	s_delay_alu instid0(VALU_DEP_3) | instskip(NEXT) | instid1(VALU_DEP_3)
	v_ldexp_f64 v[54:55], v[54:55], 1
	v_add_f64_e64 v[56:57], v[60:61], -v[62:63]
	s_delay_alu instid0(VALU_DEP_3) | instskip(NEXT) | instid1(VALU_DEP_2)
	v_fma_f64 v[62:63], v[64:65], s[16:17], -v[66:67]
	v_add_f64_e64 v[56:57], v[58:59], -v[56:57]
	s_delay_alu instid0(VALU_DEP_2) | instskip(NEXT) | instid1(VALU_DEP_2)
	v_fmac_f64_e32 v[62:63], 0x3c7abc9e3b39803f, v[64:65]
	v_add_f64_e32 v[54:55], v[54:55], v[56:57]
	s_delay_alu instid0(VALU_DEP_2) | instskip(NEXT) | instid1(VALU_DEP_2)
	v_add_f64_e32 v[56:57], v[66:67], v[62:63]
	v_add_f64_e32 v[58:59], v[60:61], v[54:55]
	s_delay_alu instid0(VALU_DEP_2) | instskip(NEXT) | instid1(VALU_DEP_2)
	v_add_f64_e64 v[66:67], v[56:57], -v[66:67]
	v_add_f64_e32 v[64:65], v[56:57], v[58:59]
	v_add_f64_e64 v[60:61], v[58:59], -v[60:61]
	s_delay_alu instid0(VALU_DEP_3) | instskip(NEXT) | instid1(VALU_DEP_3)
	v_add_f64_e64 v[62:63], v[62:63], -v[66:67]
	v_add_f64_e64 v[68:69], v[64:65], -v[56:57]
	s_delay_alu instid0(VALU_DEP_3) | instskip(NEXT) | instid1(VALU_DEP_2)
	v_add_f64_e64 v[54:55], v[54:55], -v[60:61]
	v_add_f64_e64 v[70:71], v[64:65], -v[68:69]
	;; [unrolled: 1-line block ×3, first 2 shown]
	s_delay_alu instid0(VALU_DEP_3) | instskip(NEXT) | instid1(VALU_DEP_3)
	v_add_f64_e32 v[60:61], v[62:63], v[54:55]
	v_add_f64_e64 v[56:57], v[56:57], -v[70:71]
	s_delay_alu instid0(VALU_DEP_1) | instskip(NEXT) | instid1(VALU_DEP_3)
	v_add_f64_e32 v[56:57], v[58:59], v[56:57]
	v_add_f64_e64 v[58:59], v[60:61], -v[62:63]
	s_delay_alu instid0(VALU_DEP_2) | instskip(NEXT) | instid1(VALU_DEP_2)
	v_add_f64_e32 v[56:57], v[60:61], v[56:57]
	v_add_f64_e64 v[60:61], v[60:61], -v[58:59]
	v_add_f64_e64 v[54:55], v[54:55], -v[58:59]
	s_delay_alu instid0(VALU_DEP_3) | instskip(NEXT) | instid1(VALU_DEP_3)
	v_add_f64_e32 v[66:67], v[64:65], v[56:57]
	v_add_f64_e64 v[58:59], v[62:63], -v[60:61]
	s_delay_alu instid0(VALU_DEP_2) | instskip(NEXT) | instid1(VALU_DEP_2)
	v_add_f64_e64 v[60:61], v[66:67], -v[64:65]
	v_add_f64_e32 v[54:55], v[54:55], v[58:59]
	s_delay_alu instid0(VALU_DEP_2) | instskip(NEXT) | instid1(VALU_DEP_1)
	v_add_f64_e64 v[56:57], v[56:57], -v[60:61]
	v_add_f64_e32 v[54:55], v[54:55], v[56:57]
	s_delay_alu instid0(VALU_DEP_1) | instskip(NEXT) | instid1(VALU_DEP_1)
	v_add_f64_e32 v[54:55], v[66:67], v[54:55]
	v_cndmask_b32_e32 v52, 0x7ff00000, v55, vcc_lo
	s_and_b32 vcc_lo, s6, vcc_lo
	s_delay_alu instid0(VALU_DEP_2) | instskip(NEXT) | instid1(VALU_DEP_2)
	v_cndmask_b32_e32 v54, 0, v54, vcc_lo
	v_cndmask_b32_e64 v55, 0xfff00000, v52, s6
	s_delay_alu instid0(VALU_DEP_1)
	v_fma_f64 v[54:55], |v[50:51]|, v[54:55], -|v[50:51]|
.LBB12_17:                              ;   in Loop: Header=BB12_4 Depth=1
	s_and_not1_saveexec_b32 s33, s33
	s_cbranch_execz .LBB12_19
; %bb.18:                               ;   in Loop: Header=BB12_4 Depth=1
	v_frexp_mant_f64_e64 v[54:55], |v[50:51]|
	v_cmp_neq_f64_e64 s6, 0, v[50:51]
	s_delay_alu instid0(VALU_DEP_2) | instskip(SKIP_1) | instid1(VALU_DEP_1)
	v_cmp_gt_f64_e32 vcc_lo, s[14:15], v[54:55]
	v_cndmask_b32_e64 v52, 0, 1, vcc_lo
	v_ldexp_f64 v[54:55], v[54:55], v52
	v_frexp_exp_i32_f64_e32 v52, v[50:51]
	s_delay_alu instid0(VALU_DEP_2) | instskip(SKIP_1) | instid1(VALU_DEP_3)
	v_add_f64_e32 v[56:57], 1.0, v[54:55]
	v_add_f64_e32 v[62:63], -1.0, v[54:55]
	v_subrev_co_ci_u32_e64 v52, null, 0, v52, vcc_lo
	s_delay_alu instid0(VALU_DEP_3) | instskip(SKIP_1) | instid1(VALU_DEP_1)
	v_rcp_f64_e32 v[58:59], v[56:57]
	v_add_f64_e32 v[64:65], -1.0, v[56:57]
	v_add_f64_e64 v[54:55], v[54:55], -v[64:65]
	s_delay_alu instid0(TRANS32_DEP_1) | instskip(NEXT) | instid1(VALU_DEP_1)
	v_fma_f64 v[60:61], -v[56:57], v[58:59], 1.0
	v_fmac_f64_e32 v[58:59], v[60:61], v[58:59]
	s_delay_alu instid0(VALU_DEP_1) | instskip(NEXT) | instid1(VALU_DEP_1)
	v_fma_f64 v[60:61], -v[56:57], v[58:59], 1.0
	v_fmac_f64_e32 v[58:59], v[60:61], v[58:59]
	s_delay_alu instid0(VALU_DEP_1) | instskip(NEXT) | instid1(VALU_DEP_1)
	v_mul_f64_e32 v[60:61], v[62:63], v[58:59]
	v_mul_f64_e32 v[66:67], v[56:57], v[60:61]
	s_delay_alu instid0(VALU_DEP_1) | instskip(NEXT) | instid1(VALU_DEP_1)
	v_fma_f64 v[56:57], v[60:61], v[56:57], -v[66:67]
	v_fmac_f64_e32 v[56:57], v[60:61], v[54:55]
	s_delay_alu instid0(VALU_DEP_1) | instskip(NEXT) | instid1(VALU_DEP_1)
	v_add_f64_e32 v[54:55], v[66:67], v[56:57]
	v_add_f64_e64 v[64:65], v[62:63], -v[54:55]
	v_add_f64_e64 v[66:67], v[54:55], -v[66:67]
	s_delay_alu instid0(VALU_DEP_2) | instskip(NEXT) | instid1(VALU_DEP_2)
	v_add_f64_e64 v[62:63], v[62:63], -v[64:65]
	v_add_f64_e64 v[56:57], v[66:67], -v[56:57]
	s_delay_alu instid0(VALU_DEP_2) | instskip(NEXT) | instid1(VALU_DEP_1)
	v_add_f64_e64 v[54:55], v[62:63], -v[54:55]
	v_add_f64_e32 v[54:55], v[56:57], v[54:55]
	s_delay_alu instid0(VALU_DEP_1) | instskip(NEXT) | instid1(VALU_DEP_1)
	v_add_f64_e32 v[54:55], v[64:65], v[54:55]
	v_mul_f64_e32 v[54:55], v[58:59], v[54:55]
	s_delay_alu instid0(VALU_DEP_1) | instskip(NEXT) | instid1(VALU_DEP_1)
	v_add_f64_e32 v[56:57], v[60:61], v[54:55]
	v_mul_f64_e32 v[58:59], v[56:57], v[56:57]
	s_delay_alu instid0(VALU_DEP_1) | instskip(SKIP_1) | instid1(VALU_DEP_2)
	v_fmamk_f64 v[62:63], v[58:59], 0x3fc3ab76bf559e2b, v[4:5]
	v_mul_f64_e32 v[64:65], v[56:57], v[58:59]
	v_fmaak_f64 v[62:63], v[58:59], v[62:63], 0x3fc7474dd7f4df2e
	s_delay_alu instid0(VALU_DEP_1) | instskip(NEXT) | instid1(VALU_DEP_1)
	v_fmaak_f64 v[62:63], v[58:59], v[62:63], 0x3fcc71c016291751
	v_fmaak_f64 v[62:63], v[58:59], v[62:63], 0x3fd249249b27acf1
	s_delay_alu instid0(VALU_DEP_1) | instskip(NEXT) | instid1(VALU_DEP_1)
	v_fmaak_f64 v[62:63], v[58:59], v[62:63], 0x3fd99999998ef7b6
	v_fmaak_f64 v[58:59], v[58:59], v[62:63], 0x3fe5555555555780
	v_ldexp_f64 v[62:63], v[56:57], 1
	v_add_f64_e64 v[56:57], v[56:57], -v[60:61]
	s_delay_alu instid0(VALU_DEP_3) | instskip(SKIP_2) | instid1(VALU_DEP_1)
	v_mul_f64_e32 v[58:59], v[64:65], v[58:59]
	v_cvt_f64_i32_e32 v[64:65], v52
	v_mov_b32_e32 v52, v50
	v_div_scale_f64 v[68:69], null, v[52:53], v[52:53], 1.0
	v_add_f64_e64 v[54:55], v[54:55], -v[56:57]
	v_add_f64_e32 v[60:61], v[62:63], v[58:59]
	v_mul_f64_e32 v[66:67], 0x3fe62e42fefa39ef, v[64:65]
	s_delay_alu instid0(VALU_DEP_4) | instskip(NEXT) | instid1(VALU_DEP_3)
	v_rcp_f64_e32 v[72:73], v[68:69]
	v_ldexp_f64 v[54:55], v[54:55], 1
	s_delay_alu instid0(VALU_DEP_3) | instskip(NEXT) | instid1(VALU_DEP_3)
	v_add_f64_e64 v[56:57], v[60:61], -v[62:63]
	v_fma_f64 v[62:63], v[64:65], s[16:17], -v[66:67]
	s_delay_alu instid0(TRANS32_DEP_1) | instskip(NEXT) | instid1(VALU_DEP_3)
	v_fma_f64 v[76:77], -v[68:69], v[72:73], 1.0
	v_add_f64_e64 v[56:57], v[58:59], -v[56:57]
	s_delay_alu instid0(VALU_DEP_3) | instskip(NEXT) | instid1(VALU_DEP_3)
	v_fmac_f64_e32 v[62:63], 0x3c7abc9e3b39803f, v[64:65]
	v_fmac_f64_e32 v[72:73], v[72:73], v[76:77]
	s_delay_alu instid0(VALU_DEP_3) | instskip(NEXT) | instid1(VALU_DEP_3)
	v_add_f64_e32 v[54:55], v[54:55], v[56:57]
	v_add_f64_e32 v[56:57], v[66:67], v[62:63]
	s_delay_alu instid0(VALU_DEP_2) | instskip(NEXT) | instid1(VALU_DEP_2)
	v_add_f64_e32 v[58:59], v[60:61], v[54:55]
	v_add_f64_e64 v[66:67], v[56:57], -v[66:67]
	s_delay_alu instid0(VALU_DEP_2) | instskip(SKIP_1) | instid1(VALU_DEP_3)
	v_add_f64_e32 v[64:65], v[56:57], v[58:59]
	v_add_f64_e64 v[60:61], v[58:59], -v[60:61]
	v_add_f64_e64 v[62:63], v[62:63], -v[66:67]
	s_delay_alu instid0(VALU_DEP_3) | instskip(NEXT) | instid1(VALU_DEP_3)
	v_add_f64_e64 v[70:71], v[64:65], -v[56:57]
	v_add_f64_e64 v[54:55], v[54:55], -v[60:61]
	s_delay_alu instid0(VALU_DEP_2) | instskip(SKIP_1) | instid1(VALU_DEP_3)
	v_add_f64_e64 v[74:75], v[64:65], -v[70:71]
	v_add_f64_e64 v[58:59], v[58:59], -v[70:71]
	v_add_f64_e32 v[60:61], v[62:63], v[54:55]
	v_div_scale_f64 v[70:71], vcc_lo, 1.0, v[52:53], 1.0
	s_delay_alu instid0(VALU_DEP_4) | instskip(NEXT) | instid1(VALU_DEP_3)
	v_add_f64_e64 v[56:57], v[56:57], -v[74:75]
	v_add_f64_e64 v[66:67], v[60:61], -v[62:63]
	s_delay_alu instid0(VALU_DEP_2) | instskip(SKIP_1) | instid1(VALU_DEP_3)
	v_add_f64_e32 v[56:57], v[58:59], v[56:57]
	v_fma_f64 v[58:59], -v[68:69], v[72:73], 1.0
	v_add_f64_e64 v[54:55], v[54:55], -v[66:67]
	s_delay_alu instid0(VALU_DEP_3) | instskip(NEXT) | instid1(VALU_DEP_3)
	v_add_f64_e32 v[56:57], v[60:61], v[56:57]
	v_fmac_f64_e32 v[72:73], v[72:73], v[58:59]
	v_add_f64_e64 v[58:59], v[60:61], -v[66:67]
	s_delay_alu instid0(VALU_DEP_3) | instskip(NEXT) | instid1(VALU_DEP_3)
	v_add_f64_e32 v[60:61], v[64:65], v[56:57]
	v_mul_f64_e32 v[74:75], v[70:71], v[72:73]
	s_delay_alu instid0(VALU_DEP_3) | instskip(NEXT) | instid1(VALU_DEP_3)
	v_add_f64_e64 v[58:59], v[62:63], -v[58:59]
	v_add_f64_e64 v[62:63], v[60:61], -v[64:65]
	s_delay_alu instid0(VALU_DEP_3) | instskip(NEXT) | instid1(VALU_DEP_3)
	v_fma_f64 v[64:65], -v[68:69], v[74:75], v[70:71]
	v_add_f64_e32 v[54:55], v[54:55], v[58:59]
	s_delay_alu instid0(VALU_DEP_3) | instskip(NEXT) | instid1(VALU_DEP_3)
	v_add_f64_e64 v[56:57], v[56:57], -v[62:63]
	v_div_fmas_f64 v[58:59], v[64:65], v[72:73], v[74:75]
	v_cmp_neq_f64_e64 vcc_lo, 0x7ff00000, |v[50:51]|
	v_add_f64_e64 v[62:63], |v[50:51]|, -0.5
	s_delay_alu instid0(VALU_DEP_4) | instskip(NEXT) | instid1(VALU_DEP_4)
	v_add_f64_e32 v[54:55], v[54:55], v[56:57]
	v_div_fixup_f64 v[56:57], v[58:59], |v[50:51]|, 1.0
	s_delay_alu instid0(VALU_DEP_2) | instskip(NEXT) | instid1(VALU_DEP_2)
	v_add_f64_e32 v[54:55], v[60:61], v[54:55]
	v_mul_f64_e32 v[58:59], v[56:57], v[56:57]
	s_delay_alu instid0(VALU_DEP_2) | instskip(NEXT) | instid1(VALU_DEP_2)
	v_add_f64_e32 v[60:61], -1.0, v[54:55]
	v_fmamk_f64 v[54:55], v[58:59], 0xbf5ab89d0b9e43e4, v[6:7]
	s_delay_alu instid0(VALU_DEP_1) | instskip(NEXT) | instid1(VALU_DEP_1)
	v_fmaak_f64 v[54:55], v[58:59], v[54:55], 0xbf4380cb8c0fe741
	v_fmaak_f64 v[54:55], v[58:59], v[54:55], 0x3f4a019f98cf38b6
	s_delay_alu instid0(VALU_DEP_1) | instskip(NEXT) | instid1(VALU_DEP_1)
	v_fmaak_f64 v[54:55], v[58:59], v[54:55], 0xbf66c16c16b02e5c
	v_fmaak_f64 v[54:55], v[58:59], v[54:55], 0x3fb555555555553b
	v_cndmask_b32_e32 v52, 0x7ff00000, v61, vcc_lo
	s_and_b32 vcc_lo, s6, vcc_lo
	s_delay_alu instid0(VALU_DEP_2) | instskip(NEXT) | instid1(VALU_DEP_2)
	v_fmaak_f64 v[54:55], v[56:57], v[54:55], 0x3fdacfe390c97d69
	v_cndmask_b32_e64 v57, 0xfff00000, v52, s6
	v_cndmask_b32_e32 v56, 0, v60, vcc_lo
	s_delay_alu instid0(VALU_DEP_1)
	v_fmac_f64_e32 v[54:55], v[62:63], v[56:57]
.LBB12_19:                              ;   in Loop: Header=BB12_4 Depth=1
	s_or_b32 exec_lo, exec_lo, s33
.LBB12_20:                              ;   in Loop: Header=BB12_4 Depth=1
	s_and_not1_saveexec_b32 s8, s8
	s_cbranch_execz .LBB12_22
; %bb.21:                               ;   in Loop: Header=BB12_4 Depth=1
	v_cvt_i32_f64_e32 v52, v[52:53]
	s_delay_alu instid0(VALU_DEP_1) | instskip(SKIP_2) | instid1(VALU_DEP_3)
	v_cvt_f64_i32_e32 v[54:55], v52
	v_cmp_lt_i32_e32 vcc_lo, 2, v52
	v_cmp_lt_i32_e64 s6, 3, v52
	v_add_f64_e64 v[54:55], |v[50:51]|, -v[54:55]
	s_delay_alu instid0(VALU_DEP_1) | instskip(SKIP_2) | instid1(VALU_DEP_2)
	v_add_f64_e32 v[60:61], 4.0, v[54:55]
	v_add_f64_e32 v[56:57], 2.0, v[54:55]
	v_add_f64_e32 v[58:59], 0x40080000, v[54:55]
	v_cndmask_b32_e32 v57, 0x3ff00000, v57, vcc_lo
	s_delay_alu instid0(VALU_DEP_3) | instskip(SKIP_1) | instid1(VALU_DEP_4)
	v_cndmask_b32_e32 v56, 0, v56, vcc_lo
	v_cmp_lt_i32_e32 vcc_lo, 4, v52
	v_cndmask_b32_e64 v59, 0x3ff00000, v59, s6
	v_cndmask_b32_e32 v61, 0x3ff00000, v61, vcc_lo
	v_dual_cndmask_b32 v60, 0, v60, vcc_lo :: v_dual_cndmask_b32 v58, 0, v58, s6
	v_cmp_lt_i32_e32 vcc_lo, 5, v52
	s_delay_alu instid0(VALU_DEP_2) | instskip(SKIP_1) | instid1(VALU_DEP_2)
	v_mul_f64_e32 v[56:57], v[56:57], v[58:59]
	v_add_f64_e32 v[58:59], 0x40140000, v[54:55]
	v_mul_f64_e32 v[56:57], v[60:61], v[56:57]
	v_add_f64_e32 v[60:61], 0x40180000, v[54:55]
	s_delay_alu instid0(VALU_DEP_3) | instskip(NEXT) | instid1(VALU_DEP_4)
	v_cndmask_b32_e32 v59, 0x3ff00000, v59, vcc_lo
	v_cndmask_b32_e32 v58, 0, v58, vcc_lo
	v_cmp_lt_i32_e32 vcc_lo, 6, v52
	s_delay_alu instid0(VALU_DEP_2) | instskip(SKIP_2) | instid1(VALU_DEP_1)
	v_mul_f64_e32 v[56:57], v[58:59], v[56:57]
	v_cndmask_b32_e32 v59, 0x3ff00000, v61, vcc_lo
	v_cndmask_b32_e32 v58, 0, v60, vcc_lo
	v_mul_f64_e32 v[56:57], v[58:59], v[56:57]
	s_delay_alu instid0(VALU_DEP_1) | instskip(NEXT) | instid1(VALU_DEP_1)
	v_frexp_mant_f64_e32 v[58:59], v[56:57]
	v_cmp_gt_f64_e32 vcc_lo, s[14:15], v[58:59]
	v_cndmask_b32_e64 v52, 0, 1, vcc_lo
	s_delay_alu instid0(VALU_DEP_1) | instskip(SKIP_1) | instid1(VALU_DEP_2)
	v_ldexp_f64 v[58:59], v[58:59], v52
	v_frexp_exp_i32_f64_e32 v52, v[56:57]
	v_add_f64_e32 v[60:61], 1.0, v[58:59]
	v_add_f64_e32 v[66:67], -1.0, v[58:59]
	s_delay_alu instid0(VALU_DEP_3) | instskip(NEXT) | instid1(VALU_DEP_3)
	v_subrev_co_ci_u32_e64 v52, null, 0, v52, vcc_lo
	v_rcp_f64_e32 v[62:63], v[60:61]
	v_add_f64_e32 v[68:69], -1.0, v[60:61]
	s_delay_alu instid0(VALU_DEP_1) | instskip(NEXT) | instid1(TRANS32_DEP_1)
	v_add_f64_e64 v[58:59], v[58:59], -v[68:69]
	v_fma_f64 v[64:65], -v[60:61], v[62:63], 1.0
	s_delay_alu instid0(VALU_DEP_1) | instskip(NEXT) | instid1(VALU_DEP_1)
	v_fmac_f64_e32 v[62:63], v[64:65], v[62:63]
	v_fma_f64 v[64:65], -v[60:61], v[62:63], 1.0
	s_delay_alu instid0(VALU_DEP_1) | instskip(NEXT) | instid1(VALU_DEP_1)
	v_fmac_f64_e32 v[62:63], v[64:65], v[62:63]
	v_mul_f64_e32 v[64:65], v[66:67], v[62:63]
	s_delay_alu instid0(VALU_DEP_1) | instskip(NEXT) | instid1(VALU_DEP_1)
	v_mul_f64_e32 v[70:71], v[60:61], v[64:65]
	v_fma_f64 v[60:61], v[64:65], v[60:61], -v[70:71]
	s_delay_alu instid0(VALU_DEP_1) | instskip(NEXT) | instid1(VALU_DEP_1)
	v_fmac_f64_e32 v[60:61], v[64:65], v[58:59]
	v_add_f64_e32 v[58:59], v[70:71], v[60:61]
	s_delay_alu instid0(VALU_DEP_1) | instskip(SKIP_1) | instid1(VALU_DEP_2)
	v_add_f64_e64 v[68:69], v[66:67], -v[58:59]
	v_add_f64_e64 v[70:71], v[58:59], -v[70:71]
	;; [unrolled: 1-line block ×3, first 2 shown]
	s_delay_alu instid0(VALU_DEP_2) | instskip(NEXT) | instid1(VALU_DEP_2)
	v_add_f64_e64 v[60:61], v[70:71], -v[60:61]
	v_add_f64_e64 v[58:59], v[66:67], -v[58:59]
	s_delay_alu instid0(VALU_DEP_1) | instskip(NEXT) | instid1(VALU_DEP_1)
	v_add_f64_e32 v[58:59], v[60:61], v[58:59]
	v_add_f64_e32 v[58:59], v[68:69], v[58:59]
	s_delay_alu instid0(VALU_DEP_1) | instskip(NEXT) | instid1(VALU_DEP_1)
	v_mul_f64_e32 v[58:59], v[62:63], v[58:59]
	v_add_f64_e32 v[60:61], v[64:65], v[58:59]
	s_delay_alu instid0(VALU_DEP_1) | instskip(NEXT) | instid1(VALU_DEP_1)
	v_mul_f64_e32 v[62:63], v[60:61], v[60:61]
	v_fmamk_f64 v[66:67], v[62:63], 0x3fc3ab76bf559e2b, v[4:5]
	v_mul_f64_e32 v[68:69], v[60:61], v[62:63]
	s_delay_alu instid0(VALU_DEP_2) | instskip(NEXT) | instid1(VALU_DEP_1)
	v_fmaak_f64 v[66:67], v[62:63], v[66:67], 0x3fc7474dd7f4df2e
	v_fmaak_f64 v[66:67], v[62:63], v[66:67], 0x3fcc71c016291751
	s_delay_alu instid0(VALU_DEP_1) | instskip(NEXT) | instid1(VALU_DEP_1)
	v_fmaak_f64 v[66:67], v[62:63], v[66:67], 0x3fd249249b27acf1
	v_fmaak_f64 v[66:67], v[62:63], v[66:67], 0x3fd99999998ef7b6
	s_delay_alu instid0(VALU_DEP_1) | instskip(SKIP_2) | instid1(VALU_DEP_3)
	v_fmaak_f64 v[62:63], v[62:63], v[66:67], 0x3fe5555555555780
	v_ldexp_f64 v[66:67], v[60:61], 1
	v_add_f64_e64 v[60:61], v[60:61], -v[64:65]
	v_mul_f64_e32 v[62:63], v[68:69], v[62:63]
	v_cvt_f64_i32_e32 v[68:69], v52
	s_delay_alu instid0(VALU_DEP_3) | instskip(NEXT) | instid1(VALU_DEP_3)
	v_add_f64_e64 v[58:59], v[58:59], -v[60:61]
	v_add_f64_e32 v[64:65], v[66:67], v[62:63]
	s_delay_alu instid0(VALU_DEP_3) | instskip(NEXT) | instid1(VALU_DEP_3)
	v_mul_f64_e32 v[70:71], 0x3fe62e42fefa39ef, v[68:69]
	v_ldexp_f64 v[58:59], v[58:59], 1
	s_delay_alu instid0(VALU_DEP_3) | instskip(NEXT) | instid1(VALU_DEP_3)
	v_add_f64_e64 v[60:61], v[64:65], -v[66:67]
	v_fma_f64 v[66:67], v[68:69], s[16:17], -v[70:71]
	s_delay_alu instid0(VALU_DEP_2) | instskip(NEXT) | instid1(VALU_DEP_2)
	v_add_f64_e64 v[60:61], v[62:63], -v[60:61]
	v_fmac_f64_e32 v[66:67], 0x3c7abc9e3b39803f, v[68:69]
	v_fmamk_f64 v[62:63], v[54:55], 0x3f00bfecdd17e945, v[8:9]
	s_delay_alu instid0(VALU_DEP_1) | instskip(NEXT) | instid1(VALU_DEP_1)
	v_fmaak_f64 v[62:63], v[54:55], v[62:63], 0x3f9b481c7e939961
	v_fmaak_f64 v[62:63], v[54:55], v[62:63], 0x3fc2bb9cbee5f2f7
	s_delay_alu instid0(VALU_DEP_1) | instskip(NEXT) | instid1(VALU_DEP_1)
	v_fmaak_f64 v[62:63], v[54:55], v[62:63], 0x3fd4d98f4f139f59
	v_fmaak_f64 v[62:63], v[54:55], v[62:63], 0x3fcb848b36e20878
	v_add_f64_e32 v[58:59], v[58:59], v[60:61]
	v_fmamk_f64 v[60:61], v[54:55], 0x3edebaf7a5b38140, v[10:11]
	v_add_f64_e32 v[68:69], v[70:71], v[66:67]
	s_delay_alu instid0(VALU_DEP_4) | instskip(NEXT) | instid1(VALU_DEP_3)
	v_fmaak_f64 v[62:63], v[54:55], v[62:63], 0xbfb3c467e37db0c8
	v_fmaak_f64 v[60:61], v[54:55], v[60:61], 0x3f9317ea742ed475
	s_delay_alu instid0(VALU_DEP_2) | instskip(NEXT) | instid1(VALU_DEP_2)
	v_mul_f64_e32 v[62:63], v[54:55], v[62:63]
	v_fmaak_f64 v[60:61], v[54:55], v[60:61], 0x3fc601edccfbdf27
	s_delay_alu instid0(VALU_DEP_1) | instskip(NEXT) | instid1(VALU_DEP_1)
	v_fmaak_f64 v[60:61], v[54:55], v[60:61], 0x3fe71a1893d3dcdc
	v_fmaak_f64 v[60:61], v[54:55], v[60:61], 0x3ff645a762c4ab74
	v_add_f64_e32 v[72:73], v[64:65], v[58:59]
	v_add_f64_e64 v[70:71], v[68:69], -v[70:71]
	s_delay_alu instid0(VALU_DEP_3) | instskip(NEXT) | instid1(VALU_DEP_3)
	v_fma_f64 v[60:61], v[54:55], v[60:61], 1.0
	v_add_f64_e32 v[74:75], v[68:69], v[72:73]
	v_add_f64_e64 v[64:65], v[72:73], -v[64:65]
	s_delay_alu instid0(VALU_DEP_4) | instskip(NEXT) | instid1(VALU_DEP_4)
	v_add_f64_e64 v[66:67], v[66:67], -v[70:71]
	v_div_scale_f64 v[76:77], null, v[60:61], v[60:61], v[62:63]
	s_delay_alu instid0(VALU_DEP_4) | instskip(NEXT) | instid1(VALU_DEP_4)
	v_add_f64_e64 v[78:79], v[74:75], -v[68:69]
	v_add_f64_e64 v[58:59], v[58:59], -v[64:65]
	s_delay_alu instid0(VALU_DEP_3) | instskip(NEXT) | instid1(VALU_DEP_2)
	v_rcp_f64_e32 v[80:81], v[76:77]
	v_add_f64_e64 v[82:83], v[74:75], -v[78:79]
	v_add_f64_e64 v[64:65], v[72:73], -v[78:79]
	s_delay_alu instid0(VALU_DEP_3) | instskip(SKIP_1) | instid1(TRANS32_DEP_1)
	v_add_f64_e32 v[70:71], v[66:67], v[58:59]
	v_div_scale_f64 v[78:79], vcc_lo, v[62:63], v[60:61], v[62:63]
	v_fma_f64 v[84:85], -v[76:77], v[80:81], 1.0
	v_add_f64_e64 v[68:69], v[68:69], -v[82:83]
	s_delay_alu instid0(VALU_DEP_4) | instskip(NEXT) | instid1(VALU_DEP_3)
	v_add_f64_e64 v[72:73], v[70:71], -v[66:67]
	v_fmac_f64_e32 v[80:81], v[80:81], v[84:85]
	s_delay_alu instid0(VALU_DEP_3) | instskip(NEXT) | instid1(VALU_DEP_3)
	v_add_f64_e32 v[64:65], v[64:65], v[68:69]
	v_add_f64_e64 v[58:59], v[58:59], -v[72:73]
	s_delay_alu instid0(VALU_DEP_3) | instskip(NEXT) | instid1(VALU_DEP_3)
	v_fma_f64 v[68:69], -v[76:77], v[80:81], 1.0
	v_add_f64_e32 v[64:65], v[70:71], v[64:65]
	s_delay_alu instid0(VALU_DEP_2) | instskip(SKIP_1) | instid1(VALU_DEP_3)
	v_fmac_f64_e32 v[80:81], v[80:81], v[68:69]
	v_add_f64_e64 v[68:69], v[70:71], -v[72:73]
	v_add_f64_e32 v[70:71], v[74:75], v[64:65]
	s_delay_alu instid0(VALU_DEP_3) | instskip(NEXT) | instid1(VALU_DEP_3)
	v_mul_f64_e32 v[82:83], v[78:79], v[80:81]
	v_add_f64_e64 v[66:67], v[66:67], -v[68:69]
	s_delay_alu instid0(VALU_DEP_3) | instskip(NEXT) | instid1(VALU_DEP_3)
	v_add_f64_e64 v[68:69], v[70:71], -v[74:75]
	v_fma_f64 v[72:73], -v[76:77], v[82:83], v[78:79]
	s_delay_alu instid0(VALU_DEP_3) | instskip(NEXT) | instid1(VALU_DEP_3)
	v_add_f64_e32 v[58:59], v[58:59], v[66:67]
	v_add_f64_e64 v[64:65], v[64:65], -v[68:69]
	s_delay_alu instid0(VALU_DEP_3) | instskip(SKIP_1) | instid1(VALU_DEP_3)
	v_div_fmas_f64 v[66:67], v[72:73], v[80:81], v[82:83]
	v_cmp_class_f64_e64 vcc_lo, v[56:57], 0x204
	v_add_f64_e32 v[58:59], v[58:59], v[64:65]
	s_delay_alu instid0(VALU_DEP_3) | instskip(NEXT) | instid1(VALU_DEP_2)
	v_div_fixup_f64 v[60:61], v[66:67], v[60:61], v[62:63]
	v_add_f64_e32 v[58:59], v[70:71], v[58:59]
	s_delay_alu instid0(VALU_DEP_2) | instskip(NEXT) | instid1(VALU_DEP_2)
	v_fmac_f64_e32 v[60:61], 0.5, v[54:55]
	v_dual_cndmask_b32 v52, v58, v56, vcc_lo :: v_dual_cndmask_b32 v54, v59, v57, vcc_lo
	v_cmp_ngt_f64_e32 vcc_lo, 0, v[56:57]
	s_delay_alu instid0(VALU_DEP_2) | instskip(SKIP_1) | instid1(VALU_DEP_4)
	v_cndmask_b32_e32 v55, 0x7ff80000, v54, vcc_lo
	v_cmp_nge_f64_e32 vcc_lo, 0, v[56:57]
	v_cndmask_b32_e32 v54, 0, v52, vcc_lo
	v_cmp_neq_f64_e32 vcc_lo, 0, v[56:57]
	s_delay_alu instid0(VALU_DEP_4) | instskip(NEXT) | instid1(VALU_DEP_1)
	v_cndmask_b32_e32 v55, 0xfff00000, v55, vcc_lo
	v_add_f64_e32 v[54:55], v[60:61], v[54:55]
.LBB12_22:                              ;   in Loop: Header=BB12_4 Depth=1
	s_or_b32 exec_lo, exec_lo, s8
.LBB12_23:                              ;   in Loop: Header=BB12_4 Depth=1
	s_and_not1_saveexec_b32 s33, s7
	s_cbranch_execz .LBB12_37
; %bb.24:                               ;   in Loop: Header=BB12_4 Depth=1
                                        ; implicit-def: $vgpr52
                                        ; implicit-def: $vgpr54_vgpr55
	s_mov_b32 s6, exec_lo
	v_cmpx_lt_u32_e32 0x3feccccc, v53
	s_xor_b32 s7, exec_lo, s6
	s_cbranch_execz .LBB12_26
; %bb.25:                               ;   in Loop: Header=BB12_4 Depth=1
	v_add_f64_e64 v[54:55], -|v[50:51]|, 2.0
	v_add_f64_e64 v[56:57], |v[50:51]|, s[18:19]
	v_add_f64_e64 v[58:59], |v[50:51]|, -1.0
	v_cmp_gt_u32_e32 vcc_lo, 0x3ffbb4c3, v53
	v_cmp_gt_u32_e64 s6, 0x3ff3b4c4, v53
	s_delay_alu instid0(VALU_DEP_4) | instskip(SKIP_1) | instid1(VALU_DEP_2)
	v_dual_cndmask_b32 v52, v54, v56, vcc_lo :: v_dual_cndmask_b32 v54, v55, v57, vcc_lo
	v_cndmask_b32_e64 v56, 0, 1, vcc_lo
	v_dual_cndmask_b32 v55, v54, v59, s6 :: v_dual_cndmask_b32 v54, v52, v58, s6
	s_delay_alu instid0(VALU_DEP_2)
	v_cndmask_b32_e64 v52, v56, 2, s6
.LBB12_26:                              ;   in Loop: Header=BB12_4 Depth=1
	s_or_saveexec_b32 s48, s7
	v_mov_b64_e32 v[56:57], 0
	s_xor_b32 exec_lo, exec_lo, s48
	s_cbranch_execz .LBB12_28
; %bb.27:                               ;   in Loop: Header=BB12_4 Depth=1
	v_frexp_mant_f64_e64 v[54:55], |v[50:51]|
	v_cmp_gt_u32_e64 s8, 0x3fcda661, v53
	v_cmp_gt_u32_e64 s7, 0x3fe76944, v53
	v_cmp_neq_f64_e64 s6, 0, v[50:51]
	s_delay_alu instid0(VALU_DEP_4) | instskip(SKIP_1) | instid1(VALU_DEP_1)
	v_cmp_gt_f64_e32 vcc_lo, s[14:15], v[54:55]
	v_cndmask_b32_e64 v52, 0, 1, vcc_lo
	v_ldexp_f64 v[54:55], v[54:55], v52
	v_frexp_exp_i32_f64_e32 v52, v[50:51]
	s_delay_alu instid0(VALU_DEP_2) | instskip(SKIP_1) | instid1(VALU_DEP_3)
	v_add_f64_e32 v[56:57], 1.0, v[54:55]
	v_add_f64_e32 v[62:63], -1.0, v[54:55]
	v_subrev_co_ci_u32_e64 v52, null, 0, v52, vcc_lo
	v_cmp_neq_f64_e64 vcc_lo, 0x7ff00000, |v[50:51]|
	s_delay_alu instid0(VALU_DEP_4) | instskip(SKIP_1) | instid1(VALU_DEP_1)
	v_rcp_f64_e32 v[58:59], v[56:57]
	v_add_f64_e32 v[64:65], -1.0, v[56:57]
	v_add_f64_e64 v[54:55], v[54:55], -v[64:65]
	s_delay_alu instid0(TRANS32_DEP_1) | instskip(NEXT) | instid1(VALU_DEP_1)
	v_fma_f64 v[60:61], -v[56:57], v[58:59], 1.0
	v_fmac_f64_e32 v[58:59], v[60:61], v[58:59]
	s_delay_alu instid0(VALU_DEP_1) | instskip(NEXT) | instid1(VALU_DEP_1)
	v_fma_f64 v[60:61], -v[56:57], v[58:59], 1.0
	v_fmac_f64_e32 v[58:59], v[60:61], v[58:59]
	s_delay_alu instid0(VALU_DEP_1) | instskip(NEXT) | instid1(VALU_DEP_1)
	v_mul_f64_e32 v[60:61], v[62:63], v[58:59]
	v_mul_f64_e32 v[66:67], v[56:57], v[60:61]
	s_delay_alu instid0(VALU_DEP_1) | instskip(NEXT) | instid1(VALU_DEP_1)
	v_fma_f64 v[56:57], v[60:61], v[56:57], -v[66:67]
	v_fmac_f64_e32 v[56:57], v[60:61], v[54:55]
	s_delay_alu instid0(VALU_DEP_1) | instskip(NEXT) | instid1(VALU_DEP_1)
	v_add_f64_e32 v[54:55], v[66:67], v[56:57]
	v_add_f64_e64 v[64:65], v[62:63], -v[54:55]
	v_add_f64_e64 v[66:67], v[54:55], -v[66:67]
	s_delay_alu instid0(VALU_DEP_2) | instskip(NEXT) | instid1(VALU_DEP_2)
	v_add_f64_e64 v[62:63], v[62:63], -v[64:65]
	v_add_f64_e64 v[56:57], v[66:67], -v[56:57]
	s_delay_alu instid0(VALU_DEP_2) | instskip(NEXT) | instid1(VALU_DEP_1)
	v_add_f64_e64 v[54:55], v[62:63], -v[54:55]
	v_add_f64_e32 v[54:55], v[56:57], v[54:55]
	s_delay_alu instid0(VALU_DEP_1) | instskip(NEXT) | instid1(VALU_DEP_1)
	v_add_f64_e32 v[54:55], v[64:65], v[54:55]
	v_mul_f64_e32 v[54:55], v[58:59], v[54:55]
	s_delay_alu instid0(VALU_DEP_1) | instskip(NEXT) | instid1(VALU_DEP_1)
	v_add_f64_e32 v[56:57], v[60:61], v[54:55]
	v_mul_f64_e32 v[58:59], v[56:57], v[56:57]
	s_delay_alu instid0(VALU_DEP_1) | instskip(SKIP_1) | instid1(VALU_DEP_2)
	v_fmamk_f64 v[62:63], v[58:59], 0x3fc3ab76bf559e2b, v[4:5]
	v_mul_f64_e32 v[64:65], v[56:57], v[58:59]
	v_fmaak_f64 v[62:63], v[58:59], v[62:63], 0x3fc7474dd7f4df2e
	s_delay_alu instid0(VALU_DEP_1) | instskip(NEXT) | instid1(VALU_DEP_1)
	v_fmaak_f64 v[62:63], v[58:59], v[62:63], 0x3fcc71c016291751
	v_fmaak_f64 v[62:63], v[58:59], v[62:63], 0x3fd249249b27acf1
	s_delay_alu instid0(VALU_DEP_1) | instskip(NEXT) | instid1(VALU_DEP_1)
	v_fmaak_f64 v[62:63], v[58:59], v[62:63], 0x3fd99999998ef7b6
	v_fmaak_f64 v[58:59], v[58:59], v[62:63], 0x3fe5555555555780
	v_ldexp_f64 v[62:63], v[56:57], 1
	v_add_f64_e64 v[56:57], v[56:57], -v[60:61]
	s_delay_alu instid0(VALU_DEP_3) | instskip(SKIP_1) | instid1(VALU_DEP_3)
	v_mul_f64_e32 v[58:59], v[64:65], v[58:59]
	v_cvt_f64_i32_e32 v[64:65], v52
	v_add_f64_e64 v[54:55], v[54:55], -v[56:57]
	s_delay_alu instid0(VALU_DEP_3) | instskip(NEXT) | instid1(VALU_DEP_3)
	v_add_f64_e32 v[60:61], v[62:63], v[58:59]
	v_mul_f64_e32 v[66:67], 0x3fe62e42fefa39ef, v[64:65]
	s_delay_alu instid0(VALU_DEP_3) | instskip(NEXT) | instid1(VALU_DEP_3)
	v_ldexp_f64 v[54:55], v[54:55], 1
	v_add_f64_e64 v[56:57], v[60:61], -v[62:63]
	s_delay_alu instid0(VALU_DEP_3) | instskip(NEXT) | instid1(VALU_DEP_2)
	v_fma_f64 v[62:63], v[64:65], s[16:17], -v[66:67]
	v_add_f64_e64 v[56:57], v[58:59], -v[56:57]
	s_delay_alu instid0(VALU_DEP_2) | instskip(NEXT) | instid1(VALU_DEP_2)
	v_fmac_f64_e32 v[62:63], 0x3c7abc9e3b39803f, v[64:65]
	v_add_f64_e32 v[54:55], v[54:55], v[56:57]
	s_delay_alu instid0(VALU_DEP_2) | instskip(NEXT) | instid1(VALU_DEP_2)
	v_add_f64_e32 v[56:57], v[66:67], v[62:63]
	v_add_f64_e32 v[58:59], v[60:61], v[54:55]
	s_delay_alu instid0(VALU_DEP_2) | instskip(NEXT) | instid1(VALU_DEP_2)
	v_add_f64_e64 v[66:67], v[56:57], -v[66:67]
	v_add_f64_e32 v[64:65], v[56:57], v[58:59]
	v_add_f64_e64 v[60:61], v[58:59], -v[60:61]
	s_delay_alu instid0(VALU_DEP_3) | instskip(NEXT) | instid1(VALU_DEP_3)
	v_add_f64_e64 v[62:63], v[62:63], -v[66:67]
	v_add_f64_e64 v[68:69], v[64:65], -v[56:57]
	s_delay_alu instid0(VALU_DEP_3) | instskip(NEXT) | instid1(VALU_DEP_2)
	v_add_f64_e64 v[54:55], v[54:55], -v[60:61]
	v_add_f64_e64 v[70:71], v[64:65], -v[68:69]
	;; [unrolled: 1-line block ×3, first 2 shown]
	s_delay_alu instid0(VALU_DEP_3) | instskip(NEXT) | instid1(VALU_DEP_3)
	v_add_f64_e32 v[60:61], v[62:63], v[54:55]
	v_add_f64_e64 v[56:57], v[56:57], -v[70:71]
	s_delay_alu instid0(VALU_DEP_1) | instskip(NEXT) | instid1(VALU_DEP_3)
	v_add_f64_e32 v[56:57], v[58:59], v[56:57]
	v_add_f64_e64 v[58:59], v[60:61], -v[62:63]
	s_delay_alu instid0(VALU_DEP_2) | instskip(NEXT) | instid1(VALU_DEP_2)
	v_add_f64_e32 v[56:57], v[60:61], v[56:57]
	v_add_f64_e64 v[60:61], v[60:61], -v[58:59]
	v_add_f64_e64 v[54:55], v[54:55], -v[58:59]
	s_delay_alu instid0(VALU_DEP_3) | instskip(NEXT) | instid1(VALU_DEP_3)
	v_add_f64_e32 v[66:67], v[64:65], v[56:57]
	v_add_f64_e64 v[58:59], v[62:63], -v[60:61]
	s_delay_alu instid0(VALU_DEP_2) | instskip(NEXT) | instid1(VALU_DEP_2)
	v_add_f64_e64 v[60:61], v[66:67], -v[64:65]
	v_add_f64_e32 v[54:55], v[54:55], v[58:59]
	v_add_f64_e64 v[58:59], |v[50:51]|, s[20:21]
	s_delay_alu instid0(VALU_DEP_3) | instskip(NEXT) | instid1(VALU_DEP_1)
	v_add_f64_e64 v[56:57], v[56:57], -v[60:61]
	v_add_f64_e32 v[54:55], v[54:55], v[56:57]
	s_delay_alu instid0(VALU_DEP_1) | instskip(SKIP_1) | instid1(VALU_DEP_2)
	v_add_f64_e32 v[56:57], v[66:67], v[54:55]
	v_add_f64_e64 v[54:55], -|v[50:51]|, 1.0
	v_xor_b32_e32 v52, 0x80000000, v57
	s_delay_alu instid0(VALU_DEP_2) | instskip(SKIP_1) | instid1(VALU_DEP_3)
	v_dual_cndmask_b32 v54, v54, v58, s7 :: v_dual_cndmask_b32 v55, v55, v59, s7
	v_cndmask_b32_e64 v58, 0, 1, s7
	v_cndmask_b32_e32 v52, 0xfff00000, v52, vcc_lo
	s_and_b32 vcc_lo, s6, vcc_lo
	s_delay_alu instid0(VALU_DEP_3) | instskip(SKIP_1) | instid1(VALU_DEP_3)
	v_dual_cndmask_b32 v55, v55, v53, s8 :: v_dual_cndmask_b32 v54, v54, v50, s8
	v_cndmask_b32_e32 v56, 0, v56, vcc_lo
	v_cndmask_b32_e64 v57, 0x7ff00000, v52, s6
	v_cndmask_b32_e64 v52, v58, 2, s8
.LBB12_28:                              ;   in Loop: Header=BB12_4 Depth=1
	s_or_b32 exec_lo, exec_lo, s48
	s_delay_alu instid0(SALU_CYCLE_1) | instskip(NEXT) | instid1(VALU_DEP_1)
	s_mov_b32 s6, exec_lo
                                        ; implicit-def: $vgpr58_vgpr59
	v_cmpx_lt_i32_e32 1, v52
	s_xor_b32 s6, exec_lo, s6
	s_cbranch_execz .LBB12_30
; %bb.29:                               ;   in Loop: Header=BB12_4 Depth=1
	s_delay_alu instid0(VALU_DEP_4) | instskip(SKIP_1) | instid1(VALU_DEP_2)
	v_fmamk_f64 v[58:59], v[54:55], 0x3f8b678bbf2bab09, v[12:13]
	v_fmamk_f64 v[60:61], v[54:55], 0x3f6a5abb57d0cf61, v[14:15]
                                        ; implicit-def: $vgpr52
	v_fmaak_f64 v[58:59], v[54:55], v[58:59], 0x3fef497644ea8450
	s_delay_alu instid0(VALU_DEP_2) | instskip(NEXT) | instid1(VALU_DEP_2)
	v_fmaak_f64 v[60:61], v[54:55], v[60:61], 0x3fe89dfbe45050af
	v_fmaak_f64 v[58:59], v[54:55], v[58:59], 0x3ff7475cd119bd6f
	s_delay_alu instid0(VALU_DEP_2) | instskip(NEXT) | instid1(VALU_DEP_2)
	v_fmaak_f64 v[60:61], v[54:55], v[60:61], 0x40010725a42b18f5
	;; [unrolled: 3-line block ×3, first 2 shown]
	v_fmaak_f64 v[58:59], v[54:55], v[58:59], 0xbfb3c467e37db0c8
	s_delay_alu instid0(VALU_DEP_2) | instskip(NEXT) | instid1(VALU_DEP_2)
	v_fma_f64 v[60:61], v[54:55], v[60:61], 1.0
	v_mul_f64_e32 v[58:59], v[54:55], v[58:59]
	s_delay_alu instid0(VALU_DEP_1) | instskip(NEXT) | instid1(VALU_DEP_1)
	v_div_scale_f64 v[62:63], null, v[60:61], v[60:61], v[58:59]
	v_rcp_f64_e32 v[64:65], v[62:63]
	v_nop
	s_delay_alu instid0(TRANS32_DEP_1) | instskip(NEXT) | instid1(VALU_DEP_1)
	v_fma_f64 v[66:67], -v[62:63], v[64:65], 1.0
	v_fmac_f64_e32 v[64:65], v[64:65], v[66:67]
	s_delay_alu instid0(VALU_DEP_1) | instskip(NEXT) | instid1(VALU_DEP_1)
	v_fma_f64 v[66:67], -v[62:63], v[64:65], 1.0
	v_fmac_f64_e32 v[64:65], v[64:65], v[66:67]
	v_div_scale_f64 v[66:67], vcc_lo, v[58:59], v[60:61], v[58:59]
	s_delay_alu instid0(VALU_DEP_1) | instskip(NEXT) | instid1(VALU_DEP_1)
	v_mul_f64_e32 v[68:69], v[66:67], v[64:65]
	v_fma_f64 v[62:63], -v[62:63], v[68:69], v[66:67]
	s_delay_alu instid0(VALU_DEP_1) | instskip(NEXT) | instid1(VALU_DEP_1)
	v_div_fmas_f64 v[62:63], v[62:63], v[64:65], v[68:69]
	v_div_fixup_f64 v[58:59], v[62:63], v[60:61], v[58:59]
	s_delay_alu instid0(VALU_DEP_1)
	v_fmac_f64_e32 v[58:59], -0.5, v[54:55]
                                        ; implicit-def: $vgpr54_vgpr55
.LBB12_30:                              ;   in Loop: Header=BB12_4 Depth=1
	s_and_not1_saveexec_b32 s6, s6
	s_cbranch_execz .LBB12_36
; %bb.31:                               ;   in Loop: Header=BB12_4 Depth=1
	s_delay_alu instid0(VALU_DEP_4)
	v_mul_f64_e32 v[60:61], v[54:55], v[54:55]
	s_mov_b32 s7, exec_lo
                                        ; implicit-def: $vgpr58_vgpr59
	v_cmpx_ne_u32_e32 1, v52
	s_xor_b32 s7, exec_lo, s7
	s_cbranch_execz .LBB12_33
; %bb.32:                               ;   in Loop: Header=BB12_4 Depth=1
	s_delay_alu instid0(VALU_DEP_2) | instskip(SKIP_1) | instid1(VALU_DEP_2)
	v_fmamk_f64 v[58:59], v[60:61], 0x3f07858e90a45837, v[28:29]
	v_fmamk_f64 v[62:63], v[60:61], 0x3efa7074428cfa52, v[26:27]
	v_fmaak_f64 v[58:59], v[60:61], v[58:59], 0x3f40b6c689b99c00
	s_delay_alu instid0(VALU_DEP_2) | instskip(NEXT) | instid1(VALU_DEP_2)
	v_fmaak_f64 v[62:63], v[60:61], v[62:63], 0x3f538a94116f3f5d
	v_fmaak_f64 v[58:59], v[60:61], v[58:59], 0x3f67add8ccb7926b
	s_delay_alu instid0(VALU_DEP_2) | instskip(NEXT) | instid1(VALU_DEP_2)
	v_fmaak_f64 v[62:63], v[60:61], v[62:63], 0x3f7e404fb68fefe8
	;; [unrolled: 3-line block ×3, first 2 shown]
	v_fmaak_f64 v[58:59], v[60:61], v[58:59], 0x3fd4a34cc4a60fad
	s_delay_alu instid0(VALU_DEP_1) | instskip(NEXT) | instid1(VALU_DEP_3)
	v_mul_f64_e32 v[58:59], v[60:61], v[58:59]
	v_fmaak_f64 v[60:61], v[60:61], v[62:63], 0x3fb3c467e37db0c8
	s_delay_alu instid0(VALU_DEP_1) | instskip(NEXT) | instid1(VALU_DEP_1)
	v_fmac_f64_e32 v[58:59], v[54:55], v[60:61]
                                        ; implicit-def: $vgpr60_vgpr61
	v_fmac_f64_e32 v[58:59], -0.5, v[54:55]
                                        ; implicit-def: $vgpr54_vgpr55
.LBB12_33:                              ;   in Loop: Header=BB12_4 Depth=1
	s_and_not1_saveexec_b32 s7, s7
	s_cbranch_execz .LBB12_35
; %bb.34:                               ;   in Loop: Header=BB12_4 Depth=1
	s_delay_alu instid0(VALU_DEP_2) | instskip(NEXT) | instid1(VALU_DEP_1)
	v_mul_f64_e32 v[58:59], v[54:55], v[60:61]
	v_fmamk_f64 v[62:63], v[58:59], 0xbf347f24ecc38c38, v[32:33]
	v_fmamk_f64 v[64:65], v[58:59], 0x3f35fd3ee8c2d3f4, v[34:35]
	s_delay_alu instid0(VALU_DEP_2) | instskip(NEXT) | instid1(VALU_DEP_2)
	v_fmaak_f64 v[62:63], v[58:59], v[62:63], 0xbf6e2effb3e914d7
	v_fmaak_f64 v[64:65], v[58:59], v[64:65], 0x3f6282d32e15c915
	s_delay_alu instid0(VALU_DEP_2) | instskip(NEXT) | instid1(VALU_DEP_2)
	v_fmaak_f64 v[62:63], v[58:59], v[62:63], 0x3f9266e7970af9ec
	v_fmaak_f64 v[64:65], v[58:59], v[64:65], 0xbf851f9fba91ec6a
	;; [unrolled: 3-line block ×3, first 2 shown]
	s_delay_alu instid0(VALU_DEP_1) | instskip(NEXT) | instid1(VALU_DEP_1)
	v_fmac_f64_e32 v[62:63], v[54:55], v[64:65]
	v_fma_f64 v[54:55], v[58:59], -v[62:63], s[26:27]
	v_fmamk_f64 v[62:63], v[58:59], 0x3f34af6d6c0ebbf7, v[30:31]
	s_delay_alu instid0(VALU_DEP_1) | instskip(NEXT) | instid1(VALU_DEP_1)
	v_fmaak_f64 v[62:63], v[58:59], v[62:63], 0x3f78fce0e370e344
	v_fmaak_f64 v[62:63], v[58:59], v[62:63], 0xbfa0c9a8df35b713
	s_delay_alu instid0(VALU_DEP_1) | instskip(NEXT) | instid1(VALU_DEP_1)
	v_fmaak_f64 v[58:59], v[58:59], v[62:63], 0x3fdef72bc8ee38a2
	v_fma_f64 v[54:55], v[60:61], v[58:59], -v[54:55]
	s_delay_alu instid0(VALU_DEP_1)
	v_add_f64_e32 v[58:59], 0xbfbf19b9bcc38a42, v[54:55]
.LBB12_35:                              ;   in Loop: Header=BB12_4 Depth=1
	s_or_b32 exec_lo, exec_lo, s7
.LBB12_36:                              ;   in Loop: Header=BB12_4 Depth=1
	s_delay_alu instid0(SALU_CYCLE_1) | instskip(NEXT) | instid1(VALU_DEP_1)
	s_or_b32 exec_lo, exec_lo, s6
	v_add_f64_e32 v[54:55], v[56:57], v[58:59]
.LBB12_37:                              ;   in Loop: Header=BB12_4 Depth=1
	s_or_b32 exec_lo, exec_lo, s33
.LBB12_38:                              ;   in Loop: Header=BB12_4 Depth=1
	s_and_not1_saveexec_b32 s7, s9
	s_cbranch_execz .LBB12_40
; %bb.39:                               ;   in Loop: Header=BB12_4 Depth=1
	v_frexp_mant_f64_e64 v[54:55], |v[50:51]|
	v_cmp_neq_f64_e64 s6, 0, v[50:51]
	s_delay_alu instid0(VALU_DEP_2) | instskip(SKIP_1) | instid1(VALU_DEP_1)
	v_cmp_gt_f64_e32 vcc_lo, s[14:15], v[54:55]
	v_cndmask_b32_e64 v52, 0, 1, vcc_lo
	v_ldexp_f64 v[54:55], v[54:55], v52
	v_frexp_exp_i32_f64_e32 v52, v[50:51]
	s_delay_alu instid0(VALU_DEP_2) | instskip(SKIP_1) | instid1(VALU_DEP_3)
	v_add_f64_e32 v[56:57], 1.0, v[54:55]
	v_add_f64_e32 v[62:63], -1.0, v[54:55]
	v_subrev_co_ci_u32_e64 v52, null, 0, v52, vcc_lo
	v_cmp_neq_f64_e64 vcc_lo, 0x7ff00000, |v[50:51]|
	s_delay_alu instid0(VALU_DEP_4) | instskip(SKIP_1) | instid1(VALU_DEP_1)
	v_rcp_f64_e32 v[58:59], v[56:57]
	v_add_f64_e32 v[64:65], -1.0, v[56:57]
	v_add_f64_e64 v[54:55], v[54:55], -v[64:65]
	s_delay_alu instid0(TRANS32_DEP_1) | instskip(NEXT) | instid1(VALU_DEP_1)
	v_fma_f64 v[60:61], -v[56:57], v[58:59], 1.0
	v_fmac_f64_e32 v[58:59], v[60:61], v[58:59]
	s_delay_alu instid0(VALU_DEP_1) | instskip(NEXT) | instid1(VALU_DEP_1)
	v_fma_f64 v[60:61], -v[56:57], v[58:59], 1.0
	v_fmac_f64_e32 v[58:59], v[60:61], v[58:59]
	s_delay_alu instid0(VALU_DEP_1) | instskip(NEXT) | instid1(VALU_DEP_1)
	v_mul_f64_e32 v[60:61], v[62:63], v[58:59]
	v_mul_f64_e32 v[66:67], v[56:57], v[60:61]
	s_delay_alu instid0(VALU_DEP_1) | instskip(NEXT) | instid1(VALU_DEP_1)
	v_fma_f64 v[56:57], v[60:61], v[56:57], -v[66:67]
	v_fmac_f64_e32 v[56:57], v[60:61], v[54:55]
	s_delay_alu instid0(VALU_DEP_1) | instskip(NEXT) | instid1(VALU_DEP_1)
	v_add_f64_e32 v[54:55], v[66:67], v[56:57]
	v_add_f64_e64 v[64:65], v[62:63], -v[54:55]
	v_add_f64_e64 v[66:67], v[54:55], -v[66:67]
	s_delay_alu instid0(VALU_DEP_2) | instskip(NEXT) | instid1(VALU_DEP_2)
	v_add_f64_e64 v[62:63], v[62:63], -v[64:65]
	v_add_f64_e64 v[56:57], v[66:67], -v[56:57]
	s_delay_alu instid0(VALU_DEP_2) | instskip(NEXT) | instid1(VALU_DEP_1)
	v_add_f64_e64 v[54:55], v[62:63], -v[54:55]
	v_add_f64_e32 v[54:55], v[56:57], v[54:55]
	s_delay_alu instid0(VALU_DEP_1) | instskip(NEXT) | instid1(VALU_DEP_1)
	v_add_f64_e32 v[54:55], v[64:65], v[54:55]
	v_mul_f64_e32 v[54:55], v[58:59], v[54:55]
	s_delay_alu instid0(VALU_DEP_1) | instskip(NEXT) | instid1(VALU_DEP_1)
	v_add_f64_e32 v[56:57], v[60:61], v[54:55]
	v_mul_f64_e32 v[58:59], v[56:57], v[56:57]
	s_delay_alu instid0(VALU_DEP_1) | instskip(SKIP_1) | instid1(VALU_DEP_2)
	v_fmamk_f64 v[62:63], v[58:59], 0x3fc3ab76bf559e2b, v[4:5]
	v_mul_f64_e32 v[64:65], v[56:57], v[58:59]
	v_fmaak_f64 v[62:63], v[58:59], v[62:63], 0x3fc7474dd7f4df2e
	s_delay_alu instid0(VALU_DEP_1) | instskip(NEXT) | instid1(VALU_DEP_1)
	v_fmaak_f64 v[62:63], v[58:59], v[62:63], 0x3fcc71c016291751
	v_fmaak_f64 v[62:63], v[58:59], v[62:63], 0x3fd249249b27acf1
	s_delay_alu instid0(VALU_DEP_1) | instskip(NEXT) | instid1(VALU_DEP_1)
	v_fmaak_f64 v[62:63], v[58:59], v[62:63], 0x3fd99999998ef7b6
	v_fmaak_f64 v[58:59], v[58:59], v[62:63], 0x3fe5555555555780
	v_ldexp_f64 v[62:63], v[56:57], 1
	v_add_f64_e64 v[56:57], v[56:57], -v[60:61]
	s_delay_alu instid0(VALU_DEP_3) | instskip(SKIP_1) | instid1(VALU_DEP_3)
	v_mul_f64_e32 v[58:59], v[64:65], v[58:59]
	v_cvt_f64_i32_e32 v[64:65], v52
	v_add_f64_e64 v[54:55], v[54:55], -v[56:57]
	s_delay_alu instid0(VALU_DEP_3) | instskip(NEXT) | instid1(VALU_DEP_3)
	v_add_f64_e32 v[60:61], v[62:63], v[58:59]
	v_mul_f64_e32 v[66:67], 0x3fe62e42fefa39ef, v[64:65]
	s_delay_alu instid0(VALU_DEP_3) | instskip(NEXT) | instid1(VALU_DEP_3)
	v_ldexp_f64 v[54:55], v[54:55], 1
	v_add_f64_e64 v[56:57], v[60:61], -v[62:63]
	s_delay_alu instid0(VALU_DEP_3) | instskip(NEXT) | instid1(VALU_DEP_2)
	v_fma_f64 v[62:63], v[64:65], s[16:17], -v[66:67]
	v_add_f64_e64 v[56:57], v[58:59], -v[56:57]
	s_delay_alu instid0(VALU_DEP_2) | instskip(NEXT) | instid1(VALU_DEP_2)
	v_fmac_f64_e32 v[62:63], 0x3c7abc9e3b39803f, v[64:65]
	v_add_f64_e32 v[54:55], v[54:55], v[56:57]
	s_delay_alu instid0(VALU_DEP_2) | instskip(NEXT) | instid1(VALU_DEP_2)
	v_add_f64_e32 v[56:57], v[66:67], v[62:63]
	v_add_f64_e32 v[58:59], v[60:61], v[54:55]
	s_delay_alu instid0(VALU_DEP_2) | instskip(NEXT) | instid1(VALU_DEP_2)
	v_add_f64_e64 v[66:67], v[56:57], -v[66:67]
	v_add_f64_e32 v[64:65], v[56:57], v[58:59]
	v_add_f64_e64 v[60:61], v[58:59], -v[60:61]
	s_delay_alu instid0(VALU_DEP_3) | instskip(NEXT) | instid1(VALU_DEP_3)
	v_add_f64_e64 v[62:63], v[62:63], -v[66:67]
	v_add_f64_e64 v[68:69], v[64:65], -v[56:57]
	s_delay_alu instid0(VALU_DEP_3) | instskip(NEXT) | instid1(VALU_DEP_2)
	v_add_f64_e64 v[54:55], v[54:55], -v[60:61]
	v_add_f64_e64 v[70:71], v[64:65], -v[68:69]
	;; [unrolled: 1-line block ×3, first 2 shown]
	s_delay_alu instid0(VALU_DEP_3) | instskip(NEXT) | instid1(VALU_DEP_3)
	v_add_f64_e32 v[60:61], v[62:63], v[54:55]
	v_add_f64_e64 v[56:57], v[56:57], -v[70:71]
	s_delay_alu instid0(VALU_DEP_1) | instskip(NEXT) | instid1(VALU_DEP_3)
	v_add_f64_e32 v[56:57], v[58:59], v[56:57]
	v_add_f64_e64 v[58:59], v[60:61], -v[62:63]
	s_delay_alu instid0(VALU_DEP_2) | instskip(NEXT) | instid1(VALU_DEP_2)
	v_add_f64_e32 v[56:57], v[60:61], v[56:57]
	v_add_f64_e64 v[60:61], v[60:61], -v[58:59]
	v_add_f64_e64 v[54:55], v[54:55], -v[58:59]
	s_delay_alu instid0(VALU_DEP_3) | instskip(NEXT) | instid1(VALU_DEP_3)
	v_add_f64_e32 v[66:67], v[64:65], v[56:57]
	v_add_f64_e64 v[58:59], v[62:63], -v[60:61]
	s_delay_alu instid0(VALU_DEP_2) | instskip(NEXT) | instid1(VALU_DEP_2)
	v_add_f64_e64 v[60:61], v[66:67], -v[64:65]
	v_add_f64_e32 v[54:55], v[54:55], v[58:59]
	v_fma_f64 v[58:59], |v[50:51]|, s[30:31], s[28:29]
	s_delay_alu instid0(VALU_DEP_3) | instskip(NEXT) | instid1(VALU_DEP_1)
	v_add_f64_e64 v[56:57], v[56:57], -v[60:61]
	v_add_f64_e32 v[54:55], v[54:55], v[56:57]
	s_delay_alu instid0(VALU_DEP_3) | instskip(NEXT) | instid1(VALU_DEP_2)
	v_fma_f64 v[56:57], |v[50:51]|, v[58:59], s[34:35]
	v_add_f64_e32 v[54:55], v[66:67], v[54:55]
	s_delay_alu instid0(VALU_DEP_2) | instskip(NEXT) | instid1(VALU_DEP_2)
	v_fma_f64 v[56:57], |v[50:51]|, v[56:57], s[36:37]
	v_xor_b32_e32 v52, 0x80000000, v55
	s_delay_alu instid0(VALU_DEP_2) | instskip(NEXT) | instid1(VALU_DEP_2)
	v_fma_f64 v[56:57], |v[50:51]|, v[56:57], s[38:39]
	v_cndmask_b32_e32 v52, 0xfff00000, v52, vcc_lo
	s_and_b32 vcc_lo, s6, vcc_lo
	v_cndmask_b32_e32 v54, 0, v54, vcc_lo
	s_delay_alu instid0(VALU_DEP_2) | instskip(NEXT) | instid1(VALU_DEP_1)
	v_cndmask_b32_e64 v55, 0x7ff00000, v52, s6
	v_fma_f64 v[54:55], |v[50:51]|, v[56:57], v[54:55]
.LBB12_40:                              ;   in Loop: Header=BB12_4 Depth=1
	s_or_b32 exec_lo, exec_lo, s7
	s_delay_alu instid0(SALU_CYCLE_1)
	s_mov_b32 s6, exec_lo
	v_cmpx_le_f64_e32 0, v[50:51]
	s_xor_b32 s7, exec_lo, s6
	s_cbranch_execz .LBB12_42
; %bb.41:                               ;   in Loop: Header=BB12_4 Depth=1
	v_cmp_eq_f64_e32 vcc_lo, 1.0, v[50:51]
	v_cmp_eq_f64_e64 s6, 2.0, v[50:51]
	s_or_b32 s6, vcc_lo, s6
	s_delay_alu instid0(SALU_CYCLE_1)
	v_cndmask_b32_e64 v55, v55, 0, s6
	v_cndmask_b32_e64 v54, v54, 0, s6
.LBB12_42:                              ;   in Loop: Header=BB12_4 Depth=1
	s_and_not1_saveexec_b32 s7, s7
	s_cbranch_execz .LBB12_46
; %bb.43:                               ;   in Loop: Header=BB12_4 Depth=1
	v_add_nc_u32_e32 v52, 0xc32fffff, v53
	s_mov_b32 s8, exec_lo
	s_delay_alu instid0(VALU_DEP_1)
	v_cmpx_gt_u32_e32 0x65fffff, v52
	s_cbranch_execz .LBB12_45
; %bb.44:                               ;   in Loop: Header=BB12_4 Depth=1
	v_mul_f64_e64 v[56:57], |v[50:51]|, 0.5
	v_cmp_class_f64_e64 s6, v[50:51], 0x1f8
	s_delay_alu instid0(VALU_DEP_2) | instskip(SKIP_1) | instid1(VALU_DEP_2)
	v_fract_f64_e32 v[58:59], v[56:57]
	v_cmp_neq_f64_e64 vcc_lo, 0x7ff00000, |v[56:57]|
	v_add_f64_e32 v[58:59], v[58:59], v[58:59]
	s_delay_alu instid0(VALU_DEP_1) | instskip(SKIP_1) | instid1(VALU_DEP_2)
	v_dual_cndmask_b32 v52, 0, v58, vcc_lo :: v_dual_cndmask_b32 v56, 0, v59, vcc_lo
	v_cmp_gt_f64_e64 vcc_lo, |v[50:51]|, 1.0
	v_cndmask_b32_e32 v57, v53, v56, vcc_lo
	s_delay_alu instid0(VALU_DEP_3) | instskip(NEXT) | instid1(VALU_DEP_1)
	v_cndmask_b32_e32 v56, v50, v52, vcc_lo
	v_add_f64_e32 v[58:59], v[56:57], v[56:57]
	s_delay_alu instid0(VALU_DEP_1) | instskip(NEXT) | instid1(VALU_DEP_1)
	v_rndne_f64_e32 v[58:59], v[58:59]
	v_fmac_f64_e32 v[56:57], -0.5, v[58:59]
	v_cvt_i32_f64_e32 v52, v[58:59]
	s_delay_alu instid0(VALU_DEP_2) | instskip(NEXT) | instid1(VALU_DEP_1)
	v_mul_f64_e32 v[60:61], v[56:57], v[56:57]
	v_fmamk_f64 v[62:63], v[60:61], 0x3f3e357ef99eb0bb, v[36:37]
	v_mul_f64_e32 v[64:65], v[56:57], v[60:61]
	v_fmamk_f64 v[66:67], v[60:61], 0xbf1b167302e21c33, v[38:39]
	s_delay_alu instid0(VALU_DEP_3) | instskip(NEXT) | instid1(VALU_DEP_2)
	v_fmaak_f64 v[62:63], v[60:61], v[62:63], 0x3fb50782d5f14825
	v_fmaak_f64 v[66:67], v[60:61], v[66:67], 0xbf9a6d1e7294bff9
	s_delay_alu instid0(VALU_DEP_2) | instskip(NEXT) | instid1(VALU_DEP_1)
	v_fmaak_f64 v[62:63], v[60:61], v[62:63], 0xbfe32d2ccdfe9424
	v_fmaak_f64 v[62:63], v[60:61], v[62:63], 0x400466bc67754fff
	s_delay_alu instid0(VALU_DEP_1) | instskip(NEXT) | instid1(VALU_DEP_1)
	v_fmaak_f64 v[62:63], v[60:61], v[62:63], 0xc014abbce625be09
	v_mul_f64_e32 v[62:63], v[64:65], v[62:63]
	v_fmaak_f64 v[64:65], v[60:61], v[66:67], 0x3fce1f5067b90b37
	s_delay_alu instid0(VALU_DEP_1) | instskip(NEXT) | instid1(VALU_DEP_1)
	v_fmaak_f64 v[64:65], v[60:61], v[64:65], 0xbff55d3c7e3c325b
	v_fmaak_f64 v[64:65], v[60:61], v[64:65], 0x40103c1f081b5a67
	s_delay_alu instid0(VALU_DEP_1) | instskip(NEXT) | instid1(VALU_DEP_1)
	v_fmaak_f64 v[64:65], v[60:61], v[64:65], 0xc013bd3cc9be45de
	v_fma_f64 v[58:59], v[60:61], v[64:65], 1.0
	v_fmac_f64_e32 v[62:63], 0x400921fb54442d18, v[56:57]
	v_dual_lshlrev_b32 v52, 30, v52 :: v_dual_bitop2_b32 v56, 1, v52 bitop3:0x40
	s_delay_alu instid0(VALU_DEP_1) | instskip(NEXT) | instid1(VALU_DEP_2)
	v_cmp_eq_u32_e32 vcc_lo, 0, v56
	v_dual_cndmask_b32 v56, v58, v62, vcc_lo :: v_dual_bitop2_b32 v52, v52, v51 bitop3:0x14
	s_delay_alu instid0(VALU_DEP_1) | instskip(NEXT) | instid1(VALU_DEP_1)
	v_dual_cndmask_b32 v57, v59, v63, vcc_lo :: v_dual_cndmask_b32 v56, 0, v56, s6
	v_bitop3_b32 v52, v57, v52, 0x80000000 bitop3:0x78
	s_delay_alu instid0(VALU_DEP_1) | instskip(SKIP_1) | instid1(VALU_DEP_2)
	v_cndmask_b32_e64 v57, 0x7ff80000, v52, s6
	v_cmp_class_f64_e64 s6, v[50:51], 0x204
	v_mul_f64_e32 v[56:57], v[50:51], v[56:57]
	s_delay_alu instid0(VALU_DEP_1) | instskip(NEXT) | instid1(VALU_DEP_2)
	v_and_b32_e32 v59, 0x7fffffff, v57
	v_mov_b32_e32 v58, v56
	s_delay_alu instid0(VALU_DEP_1) | instskip(SKIP_1) | instid1(VALU_DEP_2)
	v_div_scale_f64 v[60:61], null, v[58:59], v[58:59], s[40:41]
	v_div_scale_f64 v[58:59], vcc_lo, s[40:41], v[58:59], s[40:41]
	v_rcp_f64_e32 v[62:63], v[60:61]
	v_nop
	s_delay_alu instid0(TRANS32_DEP_1) | instskip(NEXT) | instid1(VALU_DEP_1)
	v_fma_f64 v[64:65], -v[60:61], v[62:63], 1.0
	v_fmac_f64_e32 v[62:63], v[62:63], v[64:65]
	s_delay_alu instid0(VALU_DEP_1) | instskip(NEXT) | instid1(VALU_DEP_1)
	v_fma_f64 v[64:65], -v[60:61], v[62:63], 1.0
	v_fmac_f64_e32 v[62:63], v[62:63], v[64:65]
	s_delay_alu instid0(VALU_DEP_1) | instskip(NEXT) | instid1(VALU_DEP_1)
	v_mul_f64_e32 v[64:65], v[58:59], v[62:63]
	v_fma_f64 v[58:59], -v[60:61], v[64:65], v[58:59]
	s_delay_alu instid0(VALU_DEP_1) | instskip(NEXT) | instid1(VALU_DEP_1)
	v_div_fmas_f64 v[58:59], v[58:59], v[62:63], v[64:65]
	v_div_fixup_f64 v[56:57], v[58:59], |v[56:57]|, s[40:41]
	s_delay_alu instid0(VALU_DEP_1) | instskip(NEXT) | instid1(VALU_DEP_1)
	v_frexp_mant_f64_e32 v[58:59], v[56:57]
	v_cmp_gt_f64_e32 vcc_lo, s[14:15], v[58:59]
	v_cndmask_b32_e64 v52, 0, 1, vcc_lo
	s_delay_alu instid0(VALU_DEP_1) | instskip(SKIP_1) | instid1(VALU_DEP_1)
	v_ldexp_f64 v[58:59], v[58:59], v52
	v_frexp_exp_i32_f64_e32 v52, v[56:57]
	v_subrev_co_ci_u32_e64 v52, null, 0, v52, vcc_lo
	v_cmp_class_f64_e64 vcc_lo, v[56:57], 0x204
	s_delay_alu instid0(VALU_DEP_4) | instskip(SKIP_1) | instid1(VALU_DEP_2)
	v_add_f64_e32 v[60:61], 1.0, v[58:59]
	v_add_f64_e32 v[66:67], -1.0, v[58:59]
	v_rcp_f64_e32 v[62:63], v[60:61]
	v_add_f64_e32 v[68:69], -1.0, v[60:61]
	s_delay_alu instid0(VALU_DEP_1) | instskip(NEXT) | instid1(TRANS32_DEP_1)
	v_add_f64_e64 v[58:59], v[58:59], -v[68:69]
	v_fma_f64 v[64:65], -v[60:61], v[62:63], 1.0
	s_delay_alu instid0(VALU_DEP_1) | instskip(NEXT) | instid1(VALU_DEP_1)
	v_fmac_f64_e32 v[62:63], v[64:65], v[62:63]
	v_fma_f64 v[64:65], -v[60:61], v[62:63], 1.0
	s_delay_alu instid0(VALU_DEP_1) | instskip(NEXT) | instid1(VALU_DEP_1)
	v_fmac_f64_e32 v[62:63], v[64:65], v[62:63]
	v_mul_f64_e32 v[64:65], v[66:67], v[62:63]
	s_delay_alu instid0(VALU_DEP_1) | instskip(NEXT) | instid1(VALU_DEP_1)
	v_mul_f64_e32 v[70:71], v[60:61], v[64:65]
	v_fma_f64 v[60:61], v[64:65], v[60:61], -v[70:71]
	s_delay_alu instid0(VALU_DEP_1) | instskip(NEXT) | instid1(VALU_DEP_1)
	v_fmac_f64_e32 v[60:61], v[64:65], v[58:59]
	v_add_f64_e32 v[58:59], v[70:71], v[60:61]
	s_delay_alu instid0(VALU_DEP_1) | instskip(SKIP_1) | instid1(VALU_DEP_2)
	v_add_f64_e64 v[68:69], v[66:67], -v[58:59]
	v_add_f64_e64 v[70:71], v[58:59], -v[70:71]
	;; [unrolled: 1-line block ×3, first 2 shown]
	s_delay_alu instid0(VALU_DEP_2) | instskip(NEXT) | instid1(VALU_DEP_2)
	v_add_f64_e64 v[60:61], v[70:71], -v[60:61]
	v_add_f64_e64 v[58:59], v[66:67], -v[58:59]
	s_delay_alu instid0(VALU_DEP_1) | instskip(NEXT) | instid1(VALU_DEP_1)
	v_add_f64_e32 v[58:59], v[60:61], v[58:59]
	v_add_f64_e32 v[58:59], v[68:69], v[58:59]
	s_delay_alu instid0(VALU_DEP_1) | instskip(NEXT) | instid1(VALU_DEP_1)
	v_mul_f64_e32 v[58:59], v[62:63], v[58:59]
	v_add_f64_e32 v[60:61], v[64:65], v[58:59]
	s_delay_alu instid0(VALU_DEP_1) | instskip(NEXT) | instid1(VALU_DEP_1)
	v_mul_f64_e32 v[62:63], v[60:61], v[60:61]
	v_fmamk_f64 v[66:67], v[62:63], 0x3fc3ab76bf559e2b, v[4:5]
	v_mul_f64_e32 v[68:69], v[60:61], v[62:63]
	s_delay_alu instid0(VALU_DEP_2) | instskip(NEXT) | instid1(VALU_DEP_1)
	v_fmaak_f64 v[66:67], v[62:63], v[66:67], 0x3fc7474dd7f4df2e
	v_fmaak_f64 v[66:67], v[62:63], v[66:67], 0x3fcc71c016291751
	s_delay_alu instid0(VALU_DEP_1) | instskip(NEXT) | instid1(VALU_DEP_1)
	v_fmaak_f64 v[66:67], v[62:63], v[66:67], 0x3fd249249b27acf1
	v_fmaak_f64 v[66:67], v[62:63], v[66:67], 0x3fd99999998ef7b6
	s_delay_alu instid0(VALU_DEP_1) | instskip(SKIP_2) | instid1(VALU_DEP_3)
	v_fmaak_f64 v[62:63], v[62:63], v[66:67], 0x3fe5555555555780
	v_ldexp_f64 v[66:67], v[60:61], 1
	v_add_f64_e64 v[60:61], v[60:61], -v[64:65]
	v_mul_f64_e32 v[62:63], v[68:69], v[62:63]
	v_cvt_f64_i32_e32 v[68:69], v52
	s_delay_alu instid0(VALU_DEP_3) | instskip(NEXT) | instid1(VALU_DEP_3)
	v_add_f64_e64 v[58:59], v[58:59], -v[60:61]
	v_add_f64_e32 v[64:65], v[66:67], v[62:63]
	s_delay_alu instid0(VALU_DEP_3) | instskip(NEXT) | instid1(VALU_DEP_3)
	v_mul_f64_e32 v[70:71], 0x3fe62e42fefa39ef, v[68:69]
	v_ldexp_f64 v[58:59], v[58:59], 1
	s_delay_alu instid0(VALU_DEP_3) | instskip(NEXT) | instid1(VALU_DEP_3)
	v_add_f64_e64 v[60:61], v[64:65], -v[66:67]
	v_fma_f64 v[66:67], v[68:69], s[16:17], -v[70:71]
	s_delay_alu instid0(VALU_DEP_2) | instskip(NEXT) | instid1(VALU_DEP_2)
	v_add_f64_e64 v[60:61], v[62:63], -v[60:61]
	v_fmac_f64_e32 v[66:67], 0x3c7abc9e3b39803f, v[68:69]
	s_delay_alu instid0(VALU_DEP_2) | instskip(NEXT) | instid1(VALU_DEP_2)
	v_add_f64_e32 v[58:59], v[58:59], v[60:61]
	v_add_f64_e32 v[60:61], v[70:71], v[66:67]
	s_delay_alu instid0(VALU_DEP_2) | instskip(NEXT) | instid1(VALU_DEP_2)
	v_add_f64_e32 v[62:63], v[64:65], v[58:59]
	v_add_f64_e64 v[70:71], v[60:61], -v[70:71]
	s_delay_alu instid0(VALU_DEP_2) | instskip(SKIP_1) | instid1(VALU_DEP_3)
	v_add_f64_e32 v[68:69], v[60:61], v[62:63]
	v_add_f64_e64 v[64:65], v[62:63], -v[64:65]
	v_add_f64_e64 v[66:67], v[66:67], -v[70:71]
	s_delay_alu instid0(VALU_DEP_3) | instskip(NEXT) | instid1(VALU_DEP_3)
	v_add_f64_e64 v[72:73], v[68:69], -v[60:61]
	v_add_f64_e64 v[58:59], v[58:59], -v[64:65]
	s_delay_alu instid0(VALU_DEP_2) | instskip(SKIP_1) | instid1(VALU_DEP_3)
	v_add_f64_e64 v[74:75], v[68:69], -v[72:73]
	v_add_f64_e64 v[62:63], v[62:63], -v[72:73]
	v_add_f64_e32 v[64:65], v[66:67], v[58:59]
	s_delay_alu instid0(VALU_DEP_3) | instskip(NEXT) | instid1(VALU_DEP_1)
	v_add_f64_e64 v[60:61], v[60:61], -v[74:75]
	v_add_f64_e32 v[60:61], v[62:63], v[60:61]
	s_delay_alu instid0(VALU_DEP_3) | instskip(NEXT) | instid1(VALU_DEP_2)
	v_add_f64_e64 v[62:63], v[64:65], -v[66:67]
	v_add_f64_e32 v[60:61], v[64:65], v[60:61]
	s_delay_alu instid0(VALU_DEP_2) | instskip(SKIP_1) | instid1(VALU_DEP_3)
	v_add_f64_e64 v[64:65], v[64:65], -v[62:63]
	v_add_f64_e64 v[58:59], v[58:59], -v[62:63]
	v_add_f64_e32 v[70:71], v[68:69], v[60:61]
	s_delay_alu instid0(VALU_DEP_3) | instskip(NEXT) | instid1(VALU_DEP_2)
	v_add_f64_e64 v[62:63], v[66:67], -v[64:65]
	v_add_f64_e64 v[64:65], v[70:71], -v[68:69]
	s_delay_alu instid0(VALU_DEP_2) | instskip(NEXT) | instid1(VALU_DEP_2)
	v_add_f64_e32 v[58:59], v[58:59], v[62:63]
	v_add_f64_e64 v[60:61], v[60:61], -v[64:65]
	s_delay_alu instid0(VALU_DEP_1) | instskip(NEXT) | instid1(VALU_DEP_1)
	v_add_f64_e32 v[58:59], v[58:59], v[60:61]
	v_add_f64_e32 v[58:59], v[70:71], v[58:59]
	s_delay_alu instid0(VALU_DEP_1) | instskip(SKIP_2) | instid1(VALU_DEP_3)
	v_dual_cndmask_b32 v52, v58, v56, vcc_lo :: v_dual_cndmask_b32 v58, v59, v57, vcc_lo
	v_cmp_neq_f64_e32 vcc_lo, 0, v[56:57]
	v_fract_f64_e32 v[56:57], v[50:51]
	v_cndmask_b32_e32 v59, 0xfff00000, v58, vcc_lo
	s_delay_alu instid0(VALU_DEP_4) | instskip(NEXT) | instid1(VALU_DEP_3)
	v_cndmask_b32_e32 v58, 0, v52, vcc_lo
	v_cmp_eq_f64_e32 vcc_lo, 0, v[56:57]
	s_delay_alu instid0(VALU_DEP_2)
	v_add_f64_e64 v[54:55], v[58:59], -v[54:55]
	s_or_b32 s6, s6, vcc_lo
	s_delay_alu instid0(VALU_DEP_1) | instid1(SALU_CYCLE_1)
	v_cndmask_b32_e64 v55, v55, 0x7ff00000, s6
	s_delay_alu instid0(VALU_DEP_2)
	v_cndmask_b32_e64 v54, v54, 0, s6
.LBB12_45:                              ;   in Loop: Header=BB12_4 Depth=1
	s_or_b32 exec_lo, exec_lo, s8
.LBB12_46:                              ;   in Loop: Header=BB12_4 Depth=1
	s_delay_alu instid0(SALU_CYCLE_1) | instskip(SKIP_3) | instid1(VALU_DEP_2)
	s_or_b32 exec_lo, exec_lo, s7
	v_and_b32_e32 v57, 0x7fffffff, v45
	v_mov_b32_e32 v56, v44
                                        ; implicit-def: $vgpr58_vgpr59
	s_mov_b32 s6, exec_lo
	v_cmpx_lt_u32_e32 0x3f6fffff, v57
	s_xor_b32 s9, exec_lo, s6
	s_cbranch_execz .LBB12_72
; %bb.47:                               ;   in Loop: Header=BB12_4 Depth=1
                                        ; implicit-def: $vgpr58_vgpr59
	s_mov_b32 s6, exec_lo
	v_cmpx_lt_u32_e32 0x3fffffff, v57
	s_xor_b32 s7, exec_lo, s6
	s_cbranch_execz .LBB12_57
; %bb.48:                               ;   in Loop: Header=BB12_4 Depth=1
	;; [unrolled: 6-line block ×4, first 2 shown]
	v_frexp_mant_f64_e64 v[58:59], |v[44:45]|
	v_cmp_neq_f64_e64 s6, 0, v[44:45]
	s_delay_alu instid0(VALU_DEP_2) | instskip(SKIP_1) | instid1(VALU_DEP_1)
	v_cmp_gt_f64_e32 vcc_lo, s[14:15], v[58:59]
	v_cndmask_b32_e64 v52, 0, 1, vcc_lo
	v_ldexp_f64 v[58:59], v[58:59], v52
	v_frexp_exp_i32_f64_e32 v52, v[44:45]
	s_delay_alu instid0(VALU_DEP_2) | instskip(SKIP_1) | instid1(VALU_DEP_3)
	v_add_f64_e32 v[60:61], 1.0, v[58:59]
	v_add_f64_e32 v[66:67], -1.0, v[58:59]
	v_subrev_co_ci_u32_e64 v52, null, 0, v52, vcc_lo
	v_cmp_neq_f64_e64 vcc_lo, 0x7ff00000, |v[44:45]|
	s_delay_alu instid0(VALU_DEP_4) | instskip(SKIP_1) | instid1(VALU_DEP_1)
	v_rcp_f64_e32 v[62:63], v[60:61]
	v_add_f64_e32 v[68:69], -1.0, v[60:61]
	v_add_f64_e64 v[58:59], v[58:59], -v[68:69]
	s_delay_alu instid0(TRANS32_DEP_1) | instskip(NEXT) | instid1(VALU_DEP_1)
	v_fma_f64 v[64:65], -v[60:61], v[62:63], 1.0
	v_fmac_f64_e32 v[62:63], v[64:65], v[62:63]
	s_delay_alu instid0(VALU_DEP_1) | instskip(NEXT) | instid1(VALU_DEP_1)
	v_fma_f64 v[64:65], -v[60:61], v[62:63], 1.0
	v_fmac_f64_e32 v[62:63], v[64:65], v[62:63]
	s_delay_alu instid0(VALU_DEP_1) | instskip(NEXT) | instid1(VALU_DEP_1)
	v_mul_f64_e32 v[64:65], v[66:67], v[62:63]
	v_mul_f64_e32 v[70:71], v[60:61], v[64:65]
	s_delay_alu instid0(VALU_DEP_1) | instskip(NEXT) | instid1(VALU_DEP_1)
	v_fma_f64 v[60:61], v[64:65], v[60:61], -v[70:71]
	v_fmac_f64_e32 v[60:61], v[64:65], v[58:59]
	s_delay_alu instid0(VALU_DEP_1) | instskip(NEXT) | instid1(VALU_DEP_1)
	v_add_f64_e32 v[58:59], v[70:71], v[60:61]
	v_add_f64_e64 v[68:69], v[66:67], -v[58:59]
	v_add_f64_e64 v[70:71], v[58:59], -v[70:71]
	s_delay_alu instid0(VALU_DEP_2) | instskip(NEXT) | instid1(VALU_DEP_2)
	v_add_f64_e64 v[66:67], v[66:67], -v[68:69]
	v_add_f64_e64 v[60:61], v[70:71], -v[60:61]
	s_delay_alu instid0(VALU_DEP_2) | instskip(NEXT) | instid1(VALU_DEP_1)
	v_add_f64_e64 v[58:59], v[66:67], -v[58:59]
	v_add_f64_e32 v[58:59], v[60:61], v[58:59]
	s_delay_alu instid0(VALU_DEP_1) | instskip(NEXT) | instid1(VALU_DEP_1)
	v_add_f64_e32 v[58:59], v[68:69], v[58:59]
	v_mul_f64_e32 v[58:59], v[62:63], v[58:59]
	s_delay_alu instid0(VALU_DEP_1) | instskip(NEXT) | instid1(VALU_DEP_1)
	v_add_f64_e32 v[60:61], v[64:65], v[58:59]
	v_mul_f64_e32 v[62:63], v[60:61], v[60:61]
	s_delay_alu instid0(VALU_DEP_1) | instskip(SKIP_1) | instid1(VALU_DEP_2)
	v_fmamk_f64 v[66:67], v[62:63], 0x3fc3ab76bf559e2b, v[4:5]
	v_mul_f64_e32 v[68:69], v[60:61], v[62:63]
	v_fmaak_f64 v[66:67], v[62:63], v[66:67], 0x3fc7474dd7f4df2e
	s_delay_alu instid0(VALU_DEP_1) | instskip(NEXT) | instid1(VALU_DEP_1)
	v_fmaak_f64 v[66:67], v[62:63], v[66:67], 0x3fcc71c016291751
	v_fmaak_f64 v[66:67], v[62:63], v[66:67], 0x3fd249249b27acf1
	s_delay_alu instid0(VALU_DEP_1) | instskip(NEXT) | instid1(VALU_DEP_1)
	v_fmaak_f64 v[66:67], v[62:63], v[66:67], 0x3fd99999998ef7b6
	v_fmaak_f64 v[62:63], v[62:63], v[66:67], 0x3fe5555555555780
	v_ldexp_f64 v[66:67], v[60:61], 1
	v_add_f64_e64 v[60:61], v[60:61], -v[64:65]
	s_delay_alu instid0(VALU_DEP_3) | instskip(SKIP_1) | instid1(VALU_DEP_3)
	v_mul_f64_e32 v[62:63], v[68:69], v[62:63]
	v_cvt_f64_i32_e32 v[68:69], v52
	v_add_f64_e64 v[58:59], v[58:59], -v[60:61]
	s_delay_alu instid0(VALU_DEP_3) | instskip(NEXT) | instid1(VALU_DEP_3)
	v_add_f64_e32 v[64:65], v[66:67], v[62:63]
	v_mul_f64_e32 v[70:71], 0x3fe62e42fefa39ef, v[68:69]
	s_delay_alu instid0(VALU_DEP_3) | instskip(NEXT) | instid1(VALU_DEP_3)
	v_ldexp_f64 v[58:59], v[58:59], 1
	v_add_f64_e64 v[60:61], v[64:65], -v[66:67]
	s_delay_alu instid0(VALU_DEP_3) | instskip(NEXT) | instid1(VALU_DEP_2)
	v_fma_f64 v[66:67], v[68:69], s[16:17], -v[70:71]
	v_add_f64_e64 v[60:61], v[62:63], -v[60:61]
	s_delay_alu instid0(VALU_DEP_2) | instskip(NEXT) | instid1(VALU_DEP_2)
	v_fmac_f64_e32 v[66:67], 0x3c7abc9e3b39803f, v[68:69]
	v_add_f64_e32 v[58:59], v[58:59], v[60:61]
	s_delay_alu instid0(VALU_DEP_2) | instskip(NEXT) | instid1(VALU_DEP_2)
	v_add_f64_e32 v[60:61], v[70:71], v[66:67]
	v_add_f64_e32 v[62:63], v[64:65], v[58:59]
	s_delay_alu instid0(VALU_DEP_2) | instskip(NEXT) | instid1(VALU_DEP_2)
	v_add_f64_e64 v[70:71], v[60:61], -v[70:71]
	v_add_f64_e32 v[68:69], v[60:61], v[62:63]
	v_add_f64_e64 v[64:65], v[62:63], -v[64:65]
	s_delay_alu instid0(VALU_DEP_3) | instskip(NEXT) | instid1(VALU_DEP_3)
	v_add_f64_e64 v[66:67], v[66:67], -v[70:71]
	v_add_f64_e64 v[72:73], v[68:69], -v[60:61]
	s_delay_alu instid0(VALU_DEP_3) | instskip(NEXT) | instid1(VALU_DEP_2)
	v_add_f64_e64 v[58:59], v[58:59], -v[64:65]
	v_add_f64_e64 v[74:75], v[68:69], -v[72:73]
	v_add_f64_e64 v[62:63], v[62:63], -v[72:73]
	s_delay_alu instid0(VALU_DEP_3) | instskip(NEXT) | instid1(VALU_DEP_3)
	v_add_f64_e32 v[64:65], v[66:67], v[58:59]
	v_add_f64_e64 v[60:61], v[60:61], -v[74:75]
	s_delay_alu instid0(VALU_DEP_1) | instskip(NEXT) | instid1(VALU_DEP_3)
	v_add_f64_e32 v[60:61], v[62:63], v[60:61]
	v_add_f64_e64 v[62:63], v[64:65], -v[66:67]
	s_delay_alu instid0(VALU_DEP_2) | instskip(NEXT) | instid1(VALU_DEP_2)
	v_add_f64_e32 v[60:61], v[64:65], v[60:61]
	v_add_f64_e64 v[64:65], v[64:65], -v[62:63]
	v_add_f64_e64 v[58:59], v[58:59], -v[62:63]
	s_delay_alu instid0(VALU_DEP_3) | instskip(NEXT) | instid1(VALU_DEP_3)
	v_add_f64_e32 v[70:71], v[68:69], v[60:61]
	v_add_f64_e64 v[62:63], v[66:67], -v[64:65]
	s_delay_alu instid0(VALU_DEP_2) | instskip(NEXT) | instid1(VALU_DEP_2)
	v_add_f64_e64 v[64:65], v[70:71], -v[68:69]
	v_add_f64_e32 v[58:59], v[58:59], v[62:63]
	s_delay_alu instid0(VALU_DEP_2) | instskip(NEXT) | instid1(VALU_DEP_1)
	v_add_f64_e64 v[60:61], v[60:61], -v[64:65]
	v_add_f64_e32 v[58:59], v[58:59], v[60:61]
	s_delay_alu instid0(VALU_DEP_1) | instskip(NEXT) | instid1(VALU_DEP_1)
	v_add_f64_e32 v[58:59], v[70:71], v[58:59]
	v_cndmask_b32_e32 v52, 0x7ff00000, v59, vcc_lo
	s_and_b32 vcc_lo, s6, vcc_lo
	s_delay_alu instid0(VALU_DEP_2) | instskip(NEXT) | instid1(VALU_DEP_2)
	v_cndmask_b32_e32 v58, 0, v58, vcc_lo
	v_cndmask_b32_e64 v59, 0xfff00000, v52, s6
	s_delay_alu instid0(VALU_DEP_1)
	v_fma_f64 v[58:59], |v[44:45]|, v[58:59], -|v[44:45]|
.LBB12_51:                              ;   in Loop: Header=BB12_4 Depth=1
	s_and_not1_saveexec_b32 s33, s33
	s_cbranch_execz .LBB12_53
; %bb.52:                               ;   in Loop: Header=BB12_4 Depth=1
	v_frexp_mant_f64_e64 v[58:59], |v[44:45]|
	v_cmp_neq_f64_e64 s6, 0, v[44:45]
	v_mov_b32_e32 v56, v44
	s_delay_alu instid0(VALU_DEP_1) | instskip(NEXT) | instid1(VALU_DEP_4)
	v_div_scale_f64 v[72:73], null, v[56:57], v[56:57], 1.0
	v_cmp_gt_f64_e32 vcc_lo, s[14:15], v[58:59]
	s_delay_alu instid0(VALU_DEP_2) | instskip(SKIP_1) | instid1(VALU_DEP_1)
	v_rcp_f64_e32 v[76:77], v[72:73]
	v_cndmask_b32_e64 v52, 0, 1, vcc_lo
	v_ldexp_f64 v[58:59], v[58:59], v52
	v_frexp_exp_i32_f64_e32 v52, v[44:45]
	s_delay_alu instid0(TRANS32_DEP_1) | instskip(NEXT) | instid1(VALU_DEP_3)
	v_fma_f64 v[80:81], -v[72:73], v[76:77], 1.0
	v_add_f64_e32 v[60:61], 1.0, v[58:59]
	v_add_f64_e32 v[66:67], -1.0, v[58:59]
	s_delay_alu instid0(VALU_DEP_4) | instskip(NEXT) | instid1(VALU_DEP_4)
	v_subrev_co_ci_u32_e64 v52, null, 0, v52, vcc_lo
	v_fmac_f64_e32 v[76:77], v[76:77], v[80:81]
	s_delay_alu instid0(VALU_DEP_4) | instskip(SKIP_1) | instid1(VALU_DEP_1)
	v_rcp_f64_e32 v[62:63], v[60:61]
	v_add_f64_e32 v[68:69], -1.0, v[60:61]
	v_add_f64_e64 v[58:59], v[58:59], -v[68:69]
	s_delay_alu instid0(TRANS32_DEP_1) | instskip(NEXT) | instid1(VALU_DEP_1)
	v_fma_f64 v[64:65], -v[60:61], v[62:63], 1.0
	v_fmac_f64_e32 v[62:63], v[64:65], v[62:63]
	s_delay_alu instid0(VALU_DEP_1) | instskip(NEXT) | instid1(VALU_DEP_1)
	v_fma_f64 v[64:65], -v[60:61], v[62:63], 1.0
	v_fmac_f64_e32 v[62:63], v[64:65], v[62:63]
	s_delay_alu instid0(VALU_DEP_1) | instskip(NEXT) | instid1(VALU_DEP_1)
	v_mul_f64_e32 v[64:65], v[66:67], v[62:63]
	v_mul_f64_e32 v[70:71], v[60:61], v[64:65]
	s_delay_alu instid0(VALU_DEP_1) | instskip(NEXT) | instid1(VALU_DEP_1)
	v_fma_f64 v[60:61], v[64:65], v[60:61], -v[70:71]
	v_fmac_f64_e32 v[60:61], v[64:65], v[58:59]
	s_delay_alu instid0(VALU_DEP_1) | instskip(NEXT) | instid1(VALU_DEP_1)
	v_add_f64_e32 v[58:59], v[70:71], v[60:61]
	v_add_f64_e64 v[68:69], v[66:67], -v[58:59]
	v_add_f64_e64 v[70:71], v[58:59], -v[70:71]
	s_delay_alu instid0(VALU_DEP_2) | instskip(NEXT) | instid1(VALU_DEP_2)
	v_add_f64_e64 v[66:67], v[66:67], -v[68:69]
	v_add_f64_e64 v[60:61], v[70:71], -v[60:61]
	s_delay_alu instid0(VALU_DEP_2) | instskip(NEXT) | instid1(VALU_DEP_1)
	v_add_f64_e64 v[58:59], v[66:67], -v[58:59]
	v_add_f64_e32 v[58:59], v[60:61], v[58:59]
	s_delay_alu instid0(VALU_DEP_1) | instskip(NEXT) | instid1(VALU_DEP_1)
	v_add_f64_e32 v[58:59], v[68:69], v[58:59]
	v_mul_f64_e32 v[58:59], v[62:63], v[58:59]
	s_delay_alu instid0(VALU_DEP_1) | instskip(NEXT) | instid1(VALU_DEP_1)
	v_add_f64_e32 v[60:61], v[64:65], v[58:59]
	v_mul_f64_e32 v[62:63], v[60:61], v[60:61]
	s_delay_alu instid0(VALU_DEP_1) | instskip(SKIP_1) | instid1(VALU_DEP_2)
	v_fmamk_f64 v[66:67], v[62:63], 0x3fc3ab76bf559e2b, v[4:5]
	v_mul_f64_e32 v[68:69], v[60:61], v[62:63]
	v_fmaak_f64 v[66:67], v[62:63], v[66:67], 0x3fc7474dd7f4df2e
	s_delay_alu instid0(VALU_DEP_1) | instskip(NEXT) | instid1(VALU_DEP_1)
	v_fmaak_f64 v[66:67], v[62:63], v[66:67], 0x3fcc71c016291751
	v_fmaak_f64 v[66:67], v[62:63], v[66:67], 0x3fd249249b27acf1
	s_delay_alu instid0(VALU_DEP_1) | instskip(NEXT) | instid1(VALU_DEP_1)
	v_fmaak_f64 v[66:67], v[62:63], v[66:67], 0x3fd99999998ef7b6
	v_fmaak_f64 v[62:63], v[62:63], v[66:67], 0x3fe5555555555780
	v_ldexp_f64 v[66:67], v[60:61], 1
	v_add_f64_e64 v[60:61], v[60:61], -v[64:65]
	s_delay_alu instid0(VALU_DEP_3) | instskip(SKIP_1) | instid1(VALU_DEP_3)
	v_mul_f64_e32 v[62:63], v[68:69], v[62:63]
	v_cvt_f64_i32_e32 v[68:69], v52
	v_add_f64_e64 v[58:59], v[58:59], -v[60:61]
	s_delay_alu instid0(VALU_DEP_3) | instskip(NEXT) | instid1(VALU_DEP_3)
	v_add_f64_e32 v[64:65], v[66:67], v[62:63]
	v_mul_f64_e32 v[70:71], 0x3fe62e42fefa39ef, v[68:69]
	s_delay_alu instid0(VALU_DEP_3) | instskip(NEXT) | instid1(VALU_DEP_3)
	v_ldexp_f64 v[58:59], v[58:59], 1
	v_add_f64_e64 v[60:61], v[64:65], -v[66:67]
	s_delay_alu instid0(VALU_DEP_3) | instskip(NEXT) | instid1(VALU_DEP_2)
	v_fma_f64 v[66:67], v[68:69], s[16:17], -v[70:71]
	v_add_f64_e64 v[60:61], v[62:63], -v[60:61]
	s_delay_alu instid0(VALU_DEP_2) | instskip(NEXT) | instid1(VALU_DEP_2)
	v_fmac_f64_e32 v[66:67], 0x3c7abc9e3b39803f, v[68:69]
	v_add_f64_e32 v[58:59], v[58:59], v[60:61]
	s_delay_alu instid0(VALU_DEP_2) | instskip(NEXT) | instid1(VALU_DEP_2)
	v_add_f64_e32 v[60:61], v[70:71], v[66:67]
	v_add_f64_e32 v[62:63], v[64:65], v[58:59]
	s_delay_alu instid0(VALU_DEP_2) | instskip(NEXT) | instid1(VALU_DEP_2)
	v_add_f64_e64 v[70:71], v[60:61], -v[70:71]
	v_add_f64_e32 v[68:69], v[60:61], v[62:63]
	v_add_f64_e64 v[64:65], v[62:63], -v[64:65]
	s_delay_alu instid0(VALU_DEP_3) | instskip(NEXT) | instid1(VALU_DEP_3)
	v_add_f64_e64 v[66:67], v[66:67], -v[70:71]
	v_add_f64_e64 v[74:75], v[68:69], -v[60:61]
	s_delay_alu instid0(VALU_DEP_3) | instskip(NEXT) | instid1(VALU_DEP_2)
	v_add_f64_e64 v[58:59], v[58:59], -v[64:65]
	v_add_f64_e64 v[78:79], v[68:69], -v[74:75]
	;; [unrolled: 1-line block ×3, first 2 shown]
	s_delay_alu instid0(VALU_DEP_3) | instskip(SKIP_1) | instid1(VALU_DEP_4)
	v_add_f64_e32 v[64:65], v[66:67], v[58:59]
	v_div_scale_f64 v[74:75], vcc_lo, 1.0, v[56:57], 1.0
	v_add_f64_e64 v[60:61], v[60:61], -v[78:79]
	s_delay_alu instid0(VALU_DEP_3) | instskip(NEXT) | instid1(VALU_DEP_2)
	v_add_f64_e64 v[70:71], v[64:65], -v[66:67]
	v_add_f64_e32 v[60:61], v[62:63], v[60:61]
	v_fma_f64 v[62:63], -v[72:73], v[76:77], 1.0
	s_delay_alu instid0(VALU_DEP_3) | instskip(NEXT) | instid1(VALU_DEP_3)
	v_add_f64_e64 v[58:59], v[58:59], -v[70:71]
	v_add_f64_e32 v[60:61], v[64:65], v[60:61]
	s_delay_alu instid0(VALU_DEP_3) | instskip(SKIP_1) | instid1(VALU_DEP_3)
	v_fmac_f64_e32 v[76:77], v[76:77], v[62:63]
	v_add_f64_e64 v[62:63], v[64:65], -v[70:71]
	v_add_f64_e32 v[64:65], v[68:69], v[60:61]
	s_delay_alu instid0(VALU_DEP_3) | instskip(NEXT) | instid1(VALU_DEP_3)
	v_mul_f64_e32 v[78:79], v[74:75], v[76:77]
	v_add_f64_e64 v[62:63], v[66:67], -v[62:63]
	s_delay_alu instid0(VALU_DEP_3) | instskip(NEXT) | instid1(VALU_DEP_3)
	v_add_f64_e64 v[66:67], v[64:65], -v[68:69]
	v_fma_f64 v[68:69], -v[72:73], v[78:79], v[74:75]
	s_delay_alu instid0(VALU_DEP_3) | instskip(NEXT) | instid1(VALU_DEP_3)
	v_add_f64_e32 v[58:59], v[58:59], v[62:63]
	v_add_f64_e64 v[60:61], v[60:61], -v[66:67]
	s_delay_alu instid0(VALU_DEP_3) | instskip(SKIP_2) | instid1(VALU_DEP_4)
	v_div_fmas_f64 v[62:63], v[68:69], v[76:77], v[78:79]
	v_cmp_neq_f64_e64 vcc_lo, 0x7ff00000, |v[44:45]|
	v_add_f64_e64 v[66:67], |v[44:45]|, -0.5
	v_add_f64_e32 v[58:59], v[58:59], v[60:61]
	s_delay_alu instid0(VALU_DEP_4) | instskip(NEXT) | instid1(VALU_DEP_2)
	v_div_fixup_f64 v[60:61], v[62:63], |v[44:45]|, 1.0
	v_add_f64_e32 v[58:59], v[64:65], v[58:59]
	s_delay_alu instid0(VALU_DEP_2) | instskip(NEXT) | instid1(VALU_DEP_2)
	v_mul_f64_e32 v[62:63], v[60:61], v[60:61]
	v_add_f64_e32 v[64:65], -1.0, v[58:59]
	s_delay_alu instid0(VALU_DEP_2) | instskip(NEXT) | instid1(VALU_DEP_1)
	v_fmamk_f64 v[58:59], v[62:63], 0xbf5ab89d0b9e43e4, v[6:7]
	v_fmaak_f64 v[58:59], v[62:63], v[58:59], 0xbf4380cb8c0fe741
	s_delay_alu instid0(VALU_DEP_1) | instskip(NEXT) | instid1(VALU_DEP_1)
	v_fmaak_f64 v[58:59], v[62:63], v[58:59], 0x3f4a019f98cf38b6
	v_fmaak_f64 v[58:59], v[62:63], v[58:59], 0xbf66c16c16b02e5c
	s_delay_alu instid0(VALU_DEP_1) | instskip(SKIP_2) | instid1(VALU_DEP_2)
	v_fmaak_f64 v[58:59], v[62:63], v[58:59], 0x3fb555555555553b
	v_cndmask_b32_e32 v52, 0x7ff00000, v65, vcc_lo
	s_and_b32 vcc_lo, s6, vcc_lo
	v_fmaak_f64 v[58:59], v[60:61], v[58:59], 0x3fdacfe390c97d69
	s_delay_alu instid0(VALU_DEP_2) | instskip(SKIP_1) | instid1(VALU_DEP_1)
	v_cndmask_b32_e64 v61, 0xfff00000, v52, s6
	v_cndmask_b32_e32 v60, 0, v64, vcc_lo
	v_fmac_f64_e32 v[58:59], v[66:67], v[60:61]
.LBB12_53:                              ;   in Loop: Header=BB12_4 Depth=1
	s_or_b32 exec_lo, exec_lo, s33
.LBB12_54:                              ;   in Loop: Header=BB12_4 Depth=1
	s_and_not1_saveexec_b32 s8, s8
	s_cbranch_execz .LBB12_56
; %bb.55:                               ;   in Loop: Header=BB12_4 Depth=1
	v_cvt_i32_f64_e32 v52, v[56:57]
	s_delay_alu instid0(VALU_DEP_1) | instskip(SKIP_2) | instid1(VALU_DEP_3)
	v_cvt_f64_i32_e32 v[58:59], v52
	v_cmp_lt_i32_e32 vcc_lo, 2, v52
	v_cmp_lt_i32_e64 s6, 3, v52
	v_add_f64_e64 v[58:59], |v[44:45]|, -v[58:59]
	s_delay_alu instid0(VALU_DEP_1) | instskip(SKIP_2) | instid1(VALU_DEP_2)
	v_add_f64_e32 v[64:65], 4.0, v[58:59]
	v_add_f64_e32 v[60:61], 2.0, v[58:59]
	v_add_f64_e32 v[62:63], 0x40080000, v[58:59]
	v_cndmask_b32_e32 v61, 0x3ff00000, v61, vcc_lo
	s_delay_alu instid0(VALU_DEP_3) | instskip(SKIP_1) | instid1(VALU_DEP_4)
	v_cndmask_b32_e32 v60, 0, v60, vcc_lo
	v_cmp_lt_i32_e32 vcc_lo, 4, v52
	v_cndmask_b32_e64 v63, 0x3ff00000, v63, s6
	v_cndmask_b32_e32 v65, 0x3ff00000, v65, vcc_lo
	v_dual_cndmask_b32 v64, 0, v64, vcc_lo :: v_dual_cndmask_b32 v62, 0, v62, s6
	v_cmp_lt_i32_e32 vcc_lo, 5, v52
	s_delay_alu instid0(VALU_DEP_2) | instskip(SKIP_1) | instid1(VALU_DEP_2)
	v_mul_f64_e32 v[60:61], v[60:61], v[62:63]
	v_add_f64_e32 v[62:63], 0x40140000, v[58:59]
	v_mul_f64_e32 v[60:61], v[64:65], v[60:61]
	v_add_f64_e32 v[64:65], 0x40180000, v[58:59]
	s_delay_alu instid0(VALU_DEP_3) | instskip(NEXT) | instid1(VALU_DEP_4)
	v_cndmask_b32_e32 v63, 0x3ff00000, v63, vcc_lo
	v_cndmask_b32_e32 v62, 0, v62, vcc_lo
	v_cmp_lt_i32_e32 vcc_lo, 6, v52
	s_delay_alu instid0(VALU_DEP_2) | instskip(SKIP_2) | instid1(VALU_DEP_1)
	v_mul_f64_e32 v[60:61], v[62:63], v[60:61]
	v_cndmask_b32_e32 v63, 0x3ff00000, v65, vcc_lo
	v_cndmask_b32_e32 v62, 0, v64, vcc_lo
	v_mul_f64_e32 v[60:61], v[62:63], v[60:61]
	s_delay_alu instid0(VALU_DEP_1) | instskip(NEXT) | instid1(VALU_DEP_1)
	v_frexp_mant_f64_e32 v[62:63], v[60:61]
	v_cmp_gt_f64_e32 vcc_lo, s[14:15], v[62:63]
	v_cndmask_b32_e64 v52, 0, 1, vcc_lo
	s_delay_alu instid0(VALU_DEP_1) | instskip(SKIP_1) | instid1(VALU_DEP_2)
	v_ldexp_f64 v[62:63], v[62:63], v52
	v_frexp_exp_i32_f64_e32 v52, v[60:61]
	v_add_f64_e32 v[64:65], 1.0, v[62:63]
	v_add_f64_e32 v[70:71], -1.0, v[62:63]
	s_delay_alu instid0(VALU_DEP_3) | instskip(NEXT) | instid1(VALU_DEP_3)
	v_subrev_co_ci_u32_e64 v52, null, 0, v52, vcc_lo
	v_rcp_f64_e32 v[66:67], v[64:65]
	v_add_f64_e32 v[72:73], -1.0, v[64:65]
	s_delay_alu instid0(VALU_DEP_1) | instskip(NEXT) | instid1(TRANS32_DEP_1)
	v_add_f64_e64 v[62:63], v[62:63], -v[72:73]
	v_fma_f64 v[68:69], -v[64:65], v[66:67], 1.0
	s_delay_alu instid0(VALU_DEP_1) | instskip(NEXT) | instid1(VALU_DEP_1)
	v_fmac_f64_e32 v[66:67], v[68:69], v[66:67]
	v_fma_f64 v[68:69], -v[64:65], v[66:67], 1.0
	s_delay_alu instid0(VALU_DEP_1) | instskip(NEXT) | instid1(VALU_DEP_1)
	v_fmac_f64_e32 v[66:67], v[68:69], v[66:67]
	v_mul_f64_e32 v[68:69], v[70:71], v[66:67]
	s_delay_alu instid0(VALU_DEP_1) | instskip(NEXT) | instid1(VALU_DEP_1)
	v_mul_f64_e32 v[74:75], v[64:65], v[68:69]
	v_fma_f64 v[64:65], v[68:69], v[64:65], -v[74:75]
	s_delay_alu instid0(VALU_DEP_1) | instskip(NEXT) | instid1(VALU_DEP_1)
	v_fmac_f64_e32 v[64:65], v[68:69], v[62:63]
	v_add_f64_e32 v[62:63], v[74:75], v[64:65]
	s_delay_alu instid0(VALU_DEP_1) | instskip(SKIP_1) | instid1(VALU_DEP_2)
	v_add_f64_e64 v[72:73], v[70:71], -v[62:63]
	v_add_f64_e64 v[74:75], v[62:63], -v[74:75]
	;; [unrolled: 1-line block ×3, first 2 shown]
	s_delay_alu instid0(VALU_DEP_2) | instskip(NEXT) | instid1(VALU_DEP_2)
	v_add_f64_e64 v[64:65], v[74:75], -v[64:65]
	v_add_f64_e64 v[62:63], v[70:71], -v[62:63]
	s_delay_alu instid0(VALU_DEP_1) | instskip(NEXT) | instid1(VALU_DEP_1)
	v_add_f64_e32 v[62:63], v[64:65], v[62:63]
	v_add_f64_e32 v[62:63], v[72:73], v[62:63]
	s_delay_alu instid0(VALU_DEP_1) | instskip(NEXT) | instid1(VALU_DEP_1)
	v_mul_f64_e32 v[62:63], v[66:67], v[62:63]
	v_add_f64_e32 v[64:65], v[68:69], v[62:63]
	s_delay_alu instid0(VALU_DEP_1) | instskip(NEXT) | instid1(VALU_DEP_1)
	v_mul_f64_e32 v[66:67], v[64:65], v[64:65]
	v_fmamk_f64 v[70:71], v[66:67], 0x3fc3ab76bf559e2b, v[4:5]
	v_mul_f64_e32 v[72:73], v[64:65], v[66:67]
	s_delay_alu instid0(VALU_DEP_2) | instskip(NEXT) | instid1(VALU_DEP_1)
	v_fmaak_f64 v[70:71], v[66:67], v[70:71], 0x3fc7474dd7f4df2e
	v_fmaak_f64 v[70:71], v[66:67], v[70:71], 0x3fcc71c016291751
	s_delay_alu instid0(VALU_DEP_1) | instskip(NEXT) | instid1(VALU_DEP_1)
	v_fmaak_f64 v[70:71], v[66:67], v[70:71], 0x3fd249249b27acf1
	v_fmaak_f64 v[70:71], v[66:67], v[70:71], 0x3fd99999998ef7b6
	s_delay_alu instid0(VALU_DEP_1) | instskip(SKIP_2) | instid1(VALU_DEP_3)
	v_fmaak_f64 v[66:67], v[66:67], v[70:71], 0x3fe5555555555780
	v_ldexp_f64 v[70:71], v[64:65], 1
	v_add_f64_e64 v[64:65], v[64:65], -v[68:69]
	v_mul_f64_e32 v[66:67], v[72:73], v[66:67]
	v_cvt_f64_i32_e32 v[72:73], v52
	s_delay_alu instid0(VALU_DEP_3) | instskip(NEXT) | instid1(VALU_DEP_3)
	v_add_f64_e64 v[62:63], v[62:63], -v[64:65]
	v_add_f64_e32 v[68:69], v[70:71], v[66:67]
	s_delay_alu instid0(VALU_DEP_3) | instskip(NEXT) | instid1(VALU_DEP_3)
	v_mul_f64_e32 v[74:75], 0x3fe62e42fefa39ef, v[72:73]
	v_ldexp_f64 v[62:63], v[62:63], 1
	s_delay_alu instid0(VALU_DEP_3) | instskip(NEXT) | instid1(VALU_DEP_3)
	v_add_f64_e64 v[64:65], v[68:69], -v[70:71]
	v_fma_f64 v[70:71], v[72:73], s[16:17], -v[74:75]
	s_delay_alu instid0(VALU_DEP_2) | instskip(NEXT) | instid1(VALU_DEP_2)
	v_add_f64_e64 v[64:65], v[66:67], -v[64:65]
	v_fmac_f64_e32 v[70:71], 0x3c7abc9e3b39803f, v[72:73]
	v_fmamk_f64 v[66:67], v[58:59], 0x3f00bfecdd17e945, v[8:9]
	s_delay_alu instid0(VALU_DEP_1) | instskip(NEXT) | instid1(VALU_DEP_1)
	v_fmaak_f64 v[66:67], v[58:59], v[66:67], 0x3f9b481c7e939961
	v_fmaak_f64 v[66:67], v[58:59], v[66:67], 0x3fc2bb9cbee5f2f7
	s_delay_alu instid0(VALU_DEP_1) | instskip(NEXT) | instid1(VALU_DEP_1)
	v_fmaak_f64 v[66:67], v[58:59], v[66:67], 0x3fd4d98f4f139f59
	v_fmaak_f64 v[66:67], v[58:59], v[66:67], 0x3fcb848b36e20878
	v_add_f64_e32 v[62:63], v[62:63], v[64:65]
	v_fmamk_f64 v[64:65], v[58:59], 0x3edebaf7a5b38140, v[10:11]
	v_add_f64_e32 v[72:73], v[74:75], v[70:71]
	s_delay_alu instid0(VALU_DEP_4) | instskip(NEXT) | instid1(VALU_DEP_3)
	v_fmaak_f64 v[66:67], v[58:59], v[66:67], 0xbfb3c467e37db0c8
	v_fmaak_f64 v[64:65], v[58:59], v[64:65], 0x3f9317ea742ed475
	s_delay_alu instid0(VALU_DEP_2) | instskip(NEXT) | instid1(VALU_DEP_2)
	v_mul_f64_e32 v[66:67], v[58:59], v[66:67]
	v_fmaak_f64 v[64:65], v[58:59], v[64:65], 0x3fc601edccfbdf27
	s_delay_alu instid0(VALU_DEP_1) | instskip(NEXT) | instid1(VALU_DEP_1)
	v_fmaak_f64 v[64:65], v[58:59], v[64:65], 0x3fe71a1893d3dcdc
	v_fmaak_f64 v[64:65], v[58:59], v[64:65], 0x3ff645a762c4ab74
	v_add_f64_e32 v[76:77], v[68:69], v[62:63]
	v_add_f64_e64 v[74:75], v[72:73], -v[74:75]
	s_delay_alu instid0(VALU_DEP_3) | instskip(NEXT) | instid1(VALU_DEP_3)
	v_fma_f64 v[64:65], v[58:59], v[64:65], 1.0
	v_add_f64_e32 v[78:79], v[72:73], v[76:77]
	v_add_f64_e64 v[68:69], v[76:77], -v[68:69]
	s_delay_alu instid0(VALU_DEP_4) | instskip(NEXT) | instid1(VALU_DEP_4)
	v_add_f64_e64 v[70:71], v[70:71], -v[74:75]
	v_div_scale_f64 v[80:81], null, v[64:65], v[64:65], v[66:67]
	s_delay_alu instid0(VALU_DEP_4) | instskip(NEXT) | instid1(VALU_DEP_4)
	v_add_f64_e64 v[82:83], v[78:79], -v[72:73]
	v_add_f64_e64 v[62:63], v[62:63], -v[68:69]
	s_delay_alu instid0(VALU_DEP_3) | instskip(NEXT) | instid1(VALU_DEP_2)
	v_rcp_f64_e32 v[84:85], v[80:81]
	v_add_f64_e64 v[86:87], v[78:79], -v[82:83]
	v_add_f64_e64 v[68:69], v[76:77], -v[82:83]
	s_delay_alu instid0(VALU_DEP_3) | instskip(SKIP_1) | instid1(TRANS32_DEP_1)
	v_add_f64_e32 v[74:75], v[70:71], v[62:63]
	v_div_scale_f64 v[82:83], vcc_lo, v[66:67], v[64:65], v[66:67]
	v_fma_f64 v[88:89], -v[80:81], v[84:85], 1.0
	v_add_f64_e64 v[72:73], v[72:73], -v[86:87]
	s_delay_alu instid0(VALU_DEP_4) | instskip(NEXT) | instid1(VALU_DEP_3)
	v_add_f64_e64 v[76:77], v[74:75], -v[70:71]
	v_fmac_f64_e32 v[84:85], v[84:85], v[88:89]
	s_delay_alu instid0(VALU_DEP_3) | instskip(NEXT) | instid1(VALU_DEP_3)
	v_add_f64_e32 v[68:69], v[68:69], v[72:73]
	v_add_f64_e64 v[62:63], v[62:63], -v[76:77]
	s_delay_alu instid0(VALU_DEP_3) | instskip(NEXT) | instid1(VALU_DEP_3)
	v_fma_f64 v[72:73], -v[80:81], v[84:85], 1.0
	v_add_f64_e32 v[68:69], v[74:75], v[68:69]
	s_delay_alu instid0(VALU_DEP_2) | instskip(SKIP_1) | instid1(VALU_DEP_3)
	v_fmac_f64_e32 v[84:85], v[84:85], v[72:73]
	v_add_f64_e64 v[72:73], v[74:75], -v[76:77]
	v_add_f64_e32 v[74:75], v[78:79], v[68:69]
	s_delay_alu instid0(VALU_DEP_3) | instskip(NEXT) | instid1(VALU_DEP_3)
	v_mul_f64_e32 v[86:87], v[82:83], v[84:85]
	v_add_f64_e64 v[70:71], v[70:71], -v[72:73]
	s_delay_alu instid0(VALU_DEP_3) | instskip(NEXT) | instid1(VALU_DEP_3)
	v_add_f64_e64 v[72:73], v[74:75], -v[78:79]
	v_fma_f64 v[76:77], -v[80:81], v[86:87], v[82:83]
	s_delay_alu instid0(VALU_DEP_3) | instskip(NEXT) | instid1(VALU_DEP_3)
	v_add_f64_e32 v[62:63], v[62:63], v[70:71]
	v_add_f64_e64 v[68:69], v[68:69], -v[72:73]
	s_delay_alu instid0(VALU_DEP_3) | instskip(SKIP_1) | instid1(VALU_DEP_3)
	v_div_fmas_f64 v[70:71], v[76:77], v[84:85], v[86:87]
	v_cmp_class_f64_e64 vcc_lo, v[60:61], 0x204
	v_add_f64_e32 v[62:63], v[62:63], v[68:69]
	s_delay_alu instid0(VALU_DEP_3) | instskip(NEXT) | instid1(VALU_DEP_2)
	v_div_fixup_f64 v[64:65], v[70:71], v[64:65], v[66:67]
	v_add_f64_e32 v[62:63], v[74:75], v[62:63]
	s_delay_alu instid0(VALU_DEP_2) | instskip(NEXT) | instid1(VALU_DEP_2)
	v_fmac_f64_e32 v[64:65], 0.5, v[58:59]
	v_dual_cndmask_b32 v52, v62, v60, vcc_lo :: v_dual_cndmask_b32 v56, v63, v61, vcc_lo
	v_cmp_ngt_f64_e32 vcc_lo, 0, v[60:61]
	s_delay_alu instid0(VALU_DEP_2) | instskip(SKIP_1) | instid1(VALU_DEP_4)
	v_cndmask_b32_e32 v56, 0x7ff80000, v56, vcc_lo
	v_cmp_nge_f64_e32 vcc_lo, 0, v[60:61]
	v_cndmask_b32_e32 v58, 0, v52, vcc_lo
	v_cmp_neq_f64_e32 vcc_lo, 0, v[60:61]
	s_delay_alu instid0(VALU_DEP_4) | instskip(NEXT) | instid1(VALU_DEP_1)
	v_cndmask_b32_e32 v59, 0xfff00000, v56, vcc_lo
	v_add_f64_e32 v[58:59], v[64:65], v[58:59]
.LBB12_56:                              ;   in Loop: Header=BB12_4 Depth=1
	s_or_b32 exec_lo, exec_lo, s8
.LBB12_57:                              ;   in Loop: Header=BB12_4 Depth=1
	s_and_not1_saveexec_b32 s33, s7
	s_cbranch_execz .LBB12_71
; %bb.58:                               ;   in Loop: Header=BB12_4 Depth=1
                                        ; implicit-def: $vgpr52
                                        ; implicit-def: $vgpr60_vgpr61
	s_mov_b32 s6, exec_lo
	v_cmpx_lt_u32_e32 0x3feccccc, v57
	s_xor_b32 s7, exec_lo, s6
	s_cbranch_execz .LBB12_60
; %bb.59:                               ;   in Loop: Header=BB12_4 Depth=1
	v_add_f64_e64 v[58:59], -|v[44:45]|, 2.0
	v_add_f64_e64 v[60:61], |v[44:45]|, s[18:19]
	v_add_f64_e64 v[62:63], |v[44:45]|, -1.0
	v_cmp_gt_u32_e32 vcc_lo, 0x3ffbb4c3, v57
	v_cmp_gt_u32_e64 s6, 0x3ff3b4c4, v57
	s_delay_alu instid0(VALU_DEP_4) | instskip(SKIP_1) | instid1(VALU_DEP_2)
	v_dual_cndmask_b32 v52, v58, v60, vcc_lo :: v_dual_cndmask_b32 v56, v59, v61, vcc_lo
	v_cndmask_b32_e64 v58, 0, 1, vcc_lo
	v_cndmask_b32_e64 v60, v52, v62, s6
	s_delay_alu instid0(VALU_DEP_3) | instskip(NEXT) | instid1(VALU_DEP_3)
	v_cndmask_b32_e64 v61, v56, v63, s6
	v_cndmask_b32_e64 v52, v58, 2, s6
.LBB12_60:                              ;   in Loop: Header=BB12_4 Depth=1
	s_or_saveexec_b32 s48, s7
	v_mov_b64_e32 v[58:59], 0
	s_xor_b32 exec_lo, exec_lo, s48
	s_cbranch_execz .LBB12_62
; %bb.61:                               ;   in Loop: Header=BB12_4 Depth=1
	v_frexp_mant_f64_e64 v[58:59], |v[44:45]|
	v_cmp_gt_u32_e64 s8, 0x3fcda661, v57
	v_cmp_gt_u32_e64 s7, 0x3fe76944, v57
	v_cmp_neq_f64_e64 s6, 0, v[44:45]
	s_delay_alu instid0(VALU_DEP_4) | instskip(SKIP_1) | instid1(VALU_DEP_1)
	v_cmp_gt_f64_e32 vcc_lo, s[14:15], v[58:59]
	v_cndmask_b32_e64 v52, 0, 1, vcc_lo
	v_ldexp_f64 v[58:59], v[58:59], v52
	v_frexp_exp_i32_f64_e32 v52, v[44:45]
	s_delay_alu instid0(VALU_DEP_2) | instskip(SKIP_1) | instid1(VALU_DEP_3)
	v_add_f64_e32 v[60:61], 1.0, v[58:59]
	v_add_f64_e32 v[66:67], -1.0, v[58:59]
	v_subrev_co_ci_u32_e64 v52, null, 0, v52, vcc_lo
	v_cmp_neq_f64_e64 vcc_lo, 0x7ff00000, |v[44:45]|
	s_delay_alu instid0(VALU_DEP_4) | instskip(SKIP_1) | instid1(VALU_DEP_1)
	v_rcp_f64_e32 v[62:63], v[60:61]
	v_add_f64_e32 v[68:69], -1.0, v[60:61]
	v_add_f64_e64 v[58:59], v[58:59], -v[68:69]
	s_delay_alu instid0(TRANS32_DEP_1) | instskip(NEXT) | instid1(VALU_DEP_1)
	v_fma_f64 v[64:65], -v[60:61], v[62:63], 1.0
	v_fmac_f64_e32 v[62:63], v[64:65], v[62:63]
	s_delay_alu instid0(VALU_DEP_1) | instskip(NEXT) | instid1(VALU_DEP_1)
	v_fma_f64 v[64:65], -v[60:61], v[62:63], 1.0
	v_fmac_f64_e32 v[62:63], v[64:65], v[62:63]
	s_delay_alu instid0(VALU_DEP_1) | instskip(NEXT) | instid1(VALU_DEP_1)
	v_mul_f64_e32 v[64:65], v[66:67], v[62:63]
	v_mul_f64_e32 v[70:71], v[60:61], v[64:65]
	s_delay_alu instid0(VALU_DEP_1) | instskip(NEXT) | instid1(VALU_DEP_1)
	v_fma_f64 v[60:61], v[64:65], v[60:61], -v[70:71]
	v_fmac_f64_e32 v[60:61], v[64:65], v[58:59]
	s_delay_alu instid0(VALU_DEP_1) | instskip(NEXT) | instid1(VALU_DEP_1)
	v_add_f64_e32 v[58:59], v[70:71], v[60:61]
	v_add_f64_e64 v[68:69], v[66:67], -v[58:59]
	v_add_f64_e64 v[70:71], v[58:59], -v[70:71]
	s_delay_alu instid0(VALU_DEP_2) | instskip(NEXT) | instid1(VALU_DEP_2)
	v_add_f64_e64 v[66:67], v[66:67], -v[68:69]
	v_add_f64_e64 v[60:61], v[70:71], -v[60:61]
	s_delay_alu instid0(VALU_DEP_2) | instskip(NEXT) | instid1(VALU_DEP_1)
	v_add_f64_e64 v[58:59], v[66:67], -v[58:59]
	v_add_f64_e32 v[58:59], v[60:61], v[58:59]
	s_delay_alu instid0(VALU_DEP_1) | instskip(NEXT) | instid1(VALU_DEP_1)
	v_add_f64_e32 v[58:59], v[68:69], v[58:59]
	v_mul_f64_e32 v[58:59], v[62:63], v[58:59]
	s_delay_alu instid0(VALU_DEP_1) | instskip(NEXT) | instid1(VALU_DEP_1)
	v_add_f64_e32 v[60:61], v[64:65], v[58:59]
	v_mul_f64_e32 v[62:63], v[60:61], v[60:61]
	s_delay_alu instid0(VALU_DEP_1) | instskip(SKIP_1) | instid1(VALU_DEP_2)
	v_fmamk_f64 v[66:67], v[62:63], 0x3fc3ab76bf559e2b, v[4:5]
	v_mul_f64_e32 v[68:69], v[60:61], v[62:63]
	v_fmaak_f64 v[66:67], v[62:63], v[66:67], 0x3fc7474dd7f4df2e
	s_delay_alu instid0(VALU_DEP_1) | instskip(NEXT) | instid1(VALU_DEP_1)
	v_fmaak_f64 v[66:67], v[62:63], v[66:67], 0x3fcc71c016291751
	v_fmaak_f64 v[66:67], v[62:63], v[66:67], 0x3fd249249b27acf1
	s_delay_alu instid0(VALU_DEP_1) | instskip(NEXT) | instid1(VALU_DEP_1)
	v_fmaak_f64 v[66:67], v[62:63], v[66:67], 0x3fd99999998ef7b6
	v_fmaak_f64 v[62:63], v[62:63], v[66:67], 0x3fe5555555555780
	v_ldexp_f64 v[66:67], v[60:61], 1
	v_add_f64_e64 v[60:61], v[60:61], -v[64:65]
	s_delay_alu instid0(VALU_DEP_3) | instskip(SKIP_1) | instid1(VALU_DEP_3)
	v_mul_f64_e32 v[62:63], v[68:69], v[62:63]
	v_cvt_f64_i32_e32 v[68:69], v52
	v_add_f64_e64 v[58:59], v[58:59], -v[60:61]
	s_delay_alu instid0(VALU_DEP_3) | instskip(NEXT) | instid1(VALU_DEP_3)
	v_add_f64_e32 v[64:65], v[66:67], v[62:63]
	v_mul_f64_e32 v[70:71], 0x3fe62e42fefa39ef, v[68:69]
	s_delay_alu instid0(VALU_DEP_3) | instskip(NEXT) | instid1(VALU_DEP_3)
	v_ldexp_f64 v[58:59], v[58:59], 1
	v_add_f64_e64 v[60:61], v[64:65], -v[66:67]
	s_delay_alu instid0(VALU_DEP_3) | instskip(NEXT) | instid1(VALU_DEP_2)
	v_fma_f64 v[66:67], v[68:69], s[16:17], -v[70:71]
	v_add_f64_e64 v[60:61], v[62:63], -v[60:61]
	s_delay_alu instid0(VALU_DEP_2) | instskip(NEXT) | instid1(VALU_DEP_2)
	v_fmac_f64_e32 v[66:67], 0x3c7abc9e3b39803f, v[68:69]
	v_add_f64_e32 v[58:59], v[58:59], v[60:61]
	s_delay_alu instid0(VALU_DEP_2) | instskip(NEXT) | instid1(VALU_DEP_2)
	v_add_f64_e32 v[60:61], v[70:71], v[66:67]
	v_add_f64_e32 v[62:63], v[64:65], v[58:59]
	s_delay_alu instid0(VALU_DEP_2) | instskip(NEXT) | instid1(VALU_DEP_2)
	v_add_f64_e64 v[70:71], v[60:61], -v[70:71]
	v_add_f64_e32 v[68:69], v[60:61], v[62:63]
	v_add_f64_e64 v[64:65], v[62:63], -v[64:65]
	s_delay_alu instid0(VALU_DEP_3) | instskip(NEXT) | instid1(VALU_DEP_3)
	v_add_f64_e64 v[66:67], v[66:67], -v[70:71]
	v_add_f64_e64 v[72:73], v[68:69], -v[60:61]
	s_delay_alu instid0(VALU_DEP_3) | instskip(NEXT) | instid1(VALU_DEP_2)
	v_add_f64_e64 v[58:59], v[58:59], -v[64:65]
	v_add_f64_e64 v[74:75], v[68:69], -v[72:73]
	;; [unrolled: 1-line block ×3, first 2 shown]
	s_delay_alu instid0(VALU_DEP_3) | instskip(NEXT) | instid1(VALU_DEP_3)
	v_add_f64_e32 v[64:65], v[66:67], v[58:59]
	v_add_f64_e64 v[60:61], v[60:61], -v[74:75]
	s_delay_alu instid0(VALU_DEP_1) | instskip(NEXT) | instid1(VALU_DEP_3)
	v_add_f64_e32 v[60:61], v[62:63], v[60:61]
	v_add_f64_e64 v[62:63], v[64:65], -v[66:67]
	s_delay_alu instid0(VALU_DEP_2) | instskip(NEXT) | instid1(VALU_DEP_2)
	v_add_f64_e32 v[60:61], v[64:65], v[60:61]
	v_add_f64_e64 v[64:65], v[64:65], -v[62:63]
	v_add_f64_e64 v[58:59], v[58:59], -v[62:63]
	s_delay_alu instid0(VALU_DEP_3) | instskip(NEXT) | instid1(VALU_DEP_3)
	v_add_f64_e32 v[70:71], v[68:69], v[60:61]
	v_add_f64_e64 v[62:63], v[66:67], -v[64:65]
	s_delay_alu instid0(VALU_DEP_2) | instskip(NEXT) | instid1(VALU_DEP_2)
	v_add_f64_e64 v[64:65], v[70:71], -v[68:69]
	v_add_f64_e32 v[58:59], v[58:59], v[62:63]
	v_add_f64_e64 v[62:63], |v[44:45]|, s[20:21]
	s_delay_alu instid0(VALU_DEP_3) | instskip(NEXT) | instid1(VALU_DEP_1)
	v_add_f64_e64 v[60:61], v[60:61], -v[64:65]
	v_add_f64_e32 v[58:59], v[58:59], v[60:61]
	v_add_f64_e64 v[60:61], -|v[44:45]|, 1.0
	s_delay_alu instid0(VALU_DEP_2) | instskip(NEXT) | instid1(VALU_DEP_2)
	v_add_f64_e32 v[58:59], v[70:71], v[58:59]
	v_cndmask_b32_e64 v56, v60, v62, s7
	v_cndmask_b32_e64 v62, 0, 1, s7
	s_delay_alu instid0(VALU_DEP_2) | instskip(NEXT) | instid1(VALU_DEP_4)
	v_cndmask_b32_e64 v60, v56, v44, s8
	v_xor_b32_e32 v52, 0x80000000, v59
	v_cndmask_b32_e64 v59, v61, v63, s7
	s_delay_alu instid0(VALU_DEP_2)
	v_cndmask_b32_e32 v52, 0xfff00000, v52, vcc_lo
	s_and_b32 vcc_lo, s6, vcc_lo
	s_delay_alu instid0(VALU_DEP_2) | instid1(SALU_CYCLE_1)
	v_dual_cndmask_b32 v61, v59, v57, s8 :: v_dual_cndmask_b32 v58, 0, v58, vcc_lo
	s_delay_alu instid0(VALU_DEP_2)
	v_cndmask_b32_e64 v59, 0x7ff00000, v52, s6
	v_cndmask_b32_e64 v52, v62, 2, s8
.LBB12_62:                              ;   in Loop: Header=BB12_4 Depth=1
	s_or_b32 exec_lo, exec_lo, s48
	s_delay_alu instid0(SALU_CYCLE_1) | instskip(NEXT) | instid1(VALU_DEP_1)
	s_mov_b32 s6, exec_lo
                                        ; implicit-def: $vgpr62_vgpr63
	v_cmpx_lt_i32_e32 1, v52
	s_xor_b32 s6, exec_lo, s6
	s_cbranch_execz .LBB12_64
; %bb.63:                               ;   in Loop: Header=BB12_4 Depth=1
	v_fmamk_f64 v[62:63], v[60:61], 0x3f8b678bbf2bab09, v[12:13]
	v_fmamk_f64 v[64:65], v[60:61], 0x3f6a5abb57d0cf61, v[14:15]
                                        ; implicit-def: $vgpr52
	s_delay_alu instid0(VALU_DEP_2) | instskip(NEXT) | instid1(VALU_DEP_2)
	v_fmaak_f64 v[62:63], v[60:61], v[62:63], 0x3fef497644ea8450
	v_fmaak_f64 v[64:65], v[60:61], v[64:65], 0x3fe89dfbe45050af
	s_delay_alu instid0(VALU_DEP_2) | instskip(NEXT) | instid1(VALU_DEP_2)
	v_fmaak_f64 v[62:63], v[60:61], v[62:63], 0x3ff7475cd119bd6f
	v_fmaak_f64 v[64:65], v[60:61], v[64:65], 0x40010725a42b18f5
	;; [unrolled: 3-line block ×3, first 2 shown]
	s_delay_alu instid0(VALU_DEP_2) | instskip(NEXT) | instid1(VALU_DEP_2)
	v_fmaak_f64 v[62:63], v[60:61], v[62:63], 0xbfb3c467e37db0c8
	v_fma_f64 v[64:65], v[60:61], v[64:65], 1.0
	s_delay_alu instid0(VALU_DEP_2) | instskip(NEXT) | instid1(VALU_DEP_1)
	v_mul_f64_e32 v[62:63], v[60:61], v[62:63]
	v_div_scale_f64 v[66:67], null, v[64:65], v[64:65], v[62:63]
	s_delay_alu instid0(VALU_DEP_1) | instskip(SKIP_1) | instid1(TRANS32_DEP_1)
	v_rcp_f64_e32 v[68:69], v[66:67]
	v_nop
	v_fma_f64 v[70:71], -v[66:67], v[68:69], 1.0
	s_delay_alu instid0(VALU_DEP_1) | instskip(NEXT) | instid1(VALU_DEP_1)
	v_fmac_f64_e32 v[68:69], v[68:69], v[70:71]
	v_fma_f64 v[70:71], -v[66:67], v[68:69], 1.0
	s_delay_alu instid0(VALU_DEP_1) | instskip(SKIP_1) | instid1(VALU_DEP_1)
	v_fmac_f64_e32 v[68:69], v[68:69], v[70:71]
	v_div_scale_f64 v[70:71], vcc_lo, v[62:63], v[64:65], v[62:63]
	v_mul_f64_e32 v[72:73], v[70:71], v[68:69]
	s_delay_alu instid0(VALU_DEP_1) | instskip(NEXT) | instid1(VALU_DEP_1)
	v_fma_f64 v[66:67], -v[66:67], v[72:73], v[70:71]
	v_div_fmas_f64 v[66:67], v[66:67], v[68:69], v[72:73]
	s_delay_alu instid0(VALU_DEP_1) | instskip(NEXT) | instid1(VALU_DEP_1)
	v_div_fixup_f64 v[62:63], v[66:67], v[64:65], v[62:63]
	v_fmac_f64_e32 v[62:63], -0.5, v[60:61]
                                        ; implicit-def: $vgpr60_vgpr61
.LBB12_64:                              ;   in Loop: Header=BB12_4 Depth=1
	s_and_not1_saveexec_b32 s6, s6
	s_cbranch_execz .LBB12_70
; %bb.65:                               ;   in Loop: Header=BB12_4 Depth=1
	v_mul_f64_e32 v[64:65], v[60:61], v[60:61]
	s_mov_b32 s7, exec_lo
                                        ; implicit-def: $vgpr62_vgpr63
	v_cmpx_ne_u32_e32 1, v52
	s_xor_b32 s7, exec_lo, s7
	s_cbranch_execz .LBB12_67
; %bb.66:                               ;   in Loop: Header=BB12_4 Depth=1
	s_delay_alu instid0(VALU_DEP_2) | instskip(SKIP_1) | instid1(VALU_DEP_2)
	v_fmamk_f64 v[62:63], v[64:65], 0x3f07858e90a45837, v[28:29]
	v_fmamk_f64 v[66:67], v[64:65], 0x3efa7074428cfa52, v[26:27]
	v_fmaak_f64 v[62:63], v[64:65], v[62:63], 0x3f40b6c689b99c00
	s_delay_alu instid0(VALU_DEP_2) | instskip(NEXT) | instid1(VALU_DEP_2)
	v_fmaak_f64 v[66:67], v[64:65], v[66:67], 0x3f538a94116f3f5d
	v_fmaak_f64 v[62:63], v[64:65], v[62:63], 0x3f67add8ccb7926b
	s_delay_alu instid0(VALU_DEP_2) | instskip(NEXT) | instid1(VALU_DEP_2)
	v_fmaak_f64 v[66:67], v[64:65], v[66:67], 0x3f7e404fb68fefe8
	;; [unrolled: 3-line block ×3, first 2 shown]
	v_fmaak_f64 v[62:63], v[64:65], v[62:63], 0x3fd4a34cc4a60fad
	s_delay_alu instid0(VALU_DEP_1) | instskip(NEXT) | instid1(VALU_DEP_3)
	v_mul_f64_e32 v[62:63], v[64:65], v[62:63]
	v_fmaak_f64 v[64:65], v[64:65], v[66:67], 0x3fb3c467e37db0c8
	s_delay_alu instid0(VALU_DEP_1) | instskip(NEXT) | instid1(VALU_DEP_1)
	v_fmac_f64_e32 v[62:63], v[60:61], v[64:65]
                                        ; implicit-def: $vgpr64_vgpr65
	v_fmac_f64_e32 v[62:63], -0.5, v[60:61]
                                        ; implicit-def: $vgpr60_vgpr61
.LBB12_67:                              ;   in Loop: Header=BB12_4 Depth=1
	s_and_not1_saveexec_b32 s7, s7
	s_cbranch_execz .LBB12_69
; %bb.68:                               ;   in Loop: Header=BB12_4 Depth=1
	s_delay_alu instid0(VALU_DEP_2) | instskip(NEXT) | instid1(VALU_DEP_1)
	v_mul_f64_e32 v[62:63], v[60:61], v[64:65]
	v_fmamk_f64 v[66:67], v[62:63], 0xbf347f24ecc38c38, v[32:33]
	v_fmamk_f64 v[68:69], v[62:63], 0x3f35fd3ee8c2d3f4, v[34:35]
	s_delay_alu instid0(VALU_DEP_2) | instskip(NEXT) | instid1(VALU_DEP_2)
	v_fmaak_f64 v[66:67], v[62:63], v[66:67], 0xbf6e2effb3e914d7
	v_fmaak_f64 v[68:69], v[62:63], v[68:69], 0x3f6282d32e15c915
	s_delay_alu instid0(VALU_DEP_2) | instskip(NEXT) | instid1(VALU_DEP_2)
	v_fmaak_f64 v[66:67], v[62:63], v[66:67], 0x3f9266e7970af9ec
	v_fmaak_f64 v[68:69], v[62:63], v[68:69], 0xbf851f9fba91ec6a
	;; [unrolled: 3-line block ×3, first 2 shown]
	s_delay_alu instid0(VALU_DEP_1) | instskip(NEXT) | instid1(VALU_DEP_1)
	v_fmac_f64_e32 v[66:67], v[60:61], v[68:69]
	v_fma_f64 v[60:61], v[62:63], -v[66:67], s[26:27]
	v_fmamk_f64 v[66:67], v[62:63], 0x3f34af6d6c0ebbf7, v[30:31]
	s_delay_alu instid0(VALU_DEP_1) | instskip(NEXT) | instid1(VALU_DEP_1)
	v_fmaak_f64 v[66:67], v[62:63], v[66:67], 0x3f78fce0e370e344
	v_fmaak_f64 v[66:67], v[62:63], v[66:67], 0xbfa0c9a8df35b713
	s_delay_alu instid0(VALU_DEP_1) | instskip(NEXT) | instid1(VALU_DEP_1)
	v_fmaak_f64 v[62:63], v[62:63], v[66:67], 0x3fdef72bc8ee38a2
	v_fma_f64 v[60:61], v[64:65], v[62:63], -v[60:61]
	s_delay_alu instid0(VALU_DEP_1)
	v_add_f64_e32 v[62:63], 0xbfbf19b9bcc38a42, v[60:61]
.LBB12_69:                              ;   in Loop: Header=BB12_4 Depth=1
	s_or_b32 exec_lo, exec_lo, s7
.LBB12_70:                              ;   in Loop: Header=BB12_4 Depth=1
	s_delay_alu instid0(SALU_CYCLE_1) | instskip(NEXT) | instid1(VALU_DEP_1)
	s_or_b32 exec_lo, exec_lo, s6
	v_add_f64_e32 v[58:59], v[58:59], v[62:63]
.LBB12_71:                              ;   in Loop: Header=BB12_4 Depth=1
	s_or_b32 exec_lo, exec_lo, s33
.LBB12_72:                              ;   in Loop: Header=BB12_4 Depth=1
	s_and_not1_saveexec_b32 s7, s9
	s_cbranch_execz .LBB12_74
; %bb.73:                               ;   in Loop: Header=BB12_4 Depth=1
	v_frexp_mant_f64_e64 v[58:59], |v[44:45]|
	v_cmp_neq_f64_e64 s6, 0, v[44:45]
	s_delay_alu instid0(VALU_DEP_2) | instskip(SKIP_1) | instid1(VALU_DEP_1)
	v_cmp_gt_f64_e32 vcc_lo, s[14:15], v[58:59]
	v_cndmask_b32_e64 v52, 0, 1, vcc_lo
	v_ldexp_f64 v[58:59], v[58:59], v52
	v_frexp_exp_i32_f64_e32 v52, v[44:45]
	s_delay_alu instid0(VALU_DEP_2) | instskip(SKIP_1) | instid1(VALU_DEP_3)
	v_add_f64_e32 v[60:61], 1.0, v[58:59]
	v_add_f64_e32 v[66:67], -1.0, v[58:59]
	v_subrev_co_ci_u32_e64 v52, null, 0, v52, vcc_lo
	v_cmp_neq_f64_e64 vcc_lo, 0x7ff00000, |v[44:45]|
	s_delay_alu instid0(VALU_DEP_4) | instskip(SKIP_1) | instid1(VALU_DEP_1)
	v_rcp_f64_e32 v[62:63], v[60:61]
	v_add_f64_e32 v[68:69], -1.0, v[60:61]
	v_add_f64_e64 v[58:59], v[58:59], -v[68:69]
	s_delay_alu instid0(TRANS32_DEP_1) | instskip(NEXT) | instid1(VALU_DEP_1)
	v_fma_f64 v[64:65], -v[60:61], v[62:63], 1.0
	v_fmac_f64_e32 v[62:63], v[64:65], v[62:63]
	s_delay_alu instid0(VALU_DEP_1) | instskip(NEXT) | instid1(VALU_DEP_1)
	v_fma_f64 v[64:65], -v[60:61], v[62:63], 1.0
	v_fmac_f64_e32 v[62:63], v[64:65], v[62:63]
	s_delay_alu instid0(VALU_DEP_1) | instskip(NEXT) | instid1(VALU_DEP_1)
	v_mul_f64_e32 v[64:65], v[66:67], v[62:63]
	v_mul_f64_e32 v[70:71], v[60:61], v[64:65]
	s_delay_alu instid0(VALU_DEP_1) | instskip(NEXT) | instid1(VALU_DEP_1)
	v_fma_f64 v[60:61], v[64:65], v[60:61], -v[70:71]
	v_fmac_f64_e32 v[60:61], v[64:65], v[58:59]
	s_delay_alu instid0(VALU_DEP_1) | instskip(NEXT) | instid1(VALU_DEP_1)
	v_add_f64_e32 v[58:59], v[70:71], v[60:61]
	v_add_f64_e64 v[68:69], v[66:67], -v[58:59]
	v_add_f64_e64 v[70:71], v[58:59], -v[70:71]
	s_delay_alu instid0(VALU_DEP_2) | instskip(NEXT) | instid1(VALU_DEP_2)
	v_add_f64_e64 v[66:67], v[66:67], -v[68:69]
	v_add_f64_e64 v[60:61], v[70:71], -v[60:61]
	s_delay_alu instid0(VALU_DEP_2) | instskip(NEXT) | instid1(VALU_DEP_1)
	v_add_f64_e64 v[58:59], v[66:67], -v[58:59]
	v_add_f64_e32 v[58:59], v[60:61], v[58:59]
	s_delay_alu instid0(VALU_DEP_1) | instskip(NEXT) | instid1(VALU_DEP_1)
	v_add_f64_e32 v[58:59], v[68:69], v[58:59]
	v_mul_f64_e32 v[58:59], v[62:63], v[58:59]
	s_delay_alu instid0(VALU_DEP_1) | instskip(NEXT) | instid1(VALU_DEP_1)
	v_add_f64_e32 v[60:61], v[64:65], v[58:59]
	v_mul_f64_e32 v[62:63], v[60:61], v[60:61]
	s_delay_alu instid0(VALU_DEP_1) | instskip(SKIP_1) | instid1(VALU_DEP_2)
	v_fmamk_f64 v[66:67], v[62:63], 0x3fc3ab76bf559e2b, v[4:5]
	v_mul_f64_e32 v[68:69], v[60:61], v[62:63]
	v_fmaak_f64 v[66:67], v[62:63], v[66:67], 0x3fc7474dd7f4df2e
	s_delay_alu instid0(VALU_DEP_1) | instskip(NEXT) | instid1(VALU_DEP_1)
	v_fmaak_f64 v[66:67], v[62:63], v[66:67], 0x3fcc71c016291751
	v_fmaak_f64 v[66:67], v[62:63], v[66:67], 0x3fd249249b27acf1
	s_delay_alu instid0(VALU_DEP_1) | instskip(NEXT) | instid1(VALU_DEP_1)
	v_fmaak_f64 v[66:67], v[62:63], v[66:67], 0x3fd99999998ef7b6
	v_fmaak_f64 v[62:63], v[62:63], v[66:67], 0x3fe5555555555780
	v_ldexp_f64 v[66:67], v[60:61], 1
	v_add_f64_e64 v[60:61], v[60:61], -v[64:65]
	s_delay_alu instid0(VALU_DEP_3) | instskip(SKIP_1) | instid1(VALU_DEP_3)
	v_mul_f64_e32 v[62:63], v[68:69], v[62:63]
	v_cvt_f64_i32_e32 v[68:69], v52
	v_add_f64_e64 v[58:59], v[58:59], -v[60:61]
	s_delay_alu instid0(VALU_DEP_3) | instskip(NEXT) | instid1(VALU_DEP_3)
	v_add_f64_e32 v[64:65], v[66:67], v[62:63]
	v_mul_f64_e32 v[70:71], 0x3fe62e42fefa39ef, v[68:69]
	s_delay_alu instid0(VALU_DEP_3) | instskip(NEXT) | instid1(VALU_DEP_3)
	v_ldexp_f64 v[58:59], v[58:59], 1
	v_add_f64_e64 v[60:61], v[64:65], -v[66:67]
	s_delay_alu instid0(VALU_DEP_3) | instskip(NEXT) | instid1(VALU_DEP_2)
	v_fma_f64 v[66:67], v[68:69], s[16:17], -v[70:71]
	v_add_f64_e64 v[60:61], v[62:63], -v[60:61]
	s_delay_alu instid0(VALU_DEP_2) | instskip(NEXT) | instid1(VALU_DEP_2)
	v_fmac_f64_e32 v[66:67], 0x3c7abc9e3b39803f, v[68:69]
	v_add_f64_e32 v[58:59], v[58:59], v[60:61]
	s_delay_alu instid0(VALU_DEP_2) | instskip(NEXT) | instid1(VALU_DEP_2)
	v_add_f64_e32 v[60:61], v[70:71], v[66:67]
	v_add_f64_e32 v[62:63], v[64:65], v[58:59]
	s_delay_alu instid0(VALU_DEP_2) | instskip(NEXT) | instid1(VALU_DEP_2)
	v_add_f64_e64 v[70:71], v[60:61], -v[70:71]
	v_add_f64_e32 v[68:69], v[60:61], v[62:63]
	v_add_f64_e64 v[64:65], v[62:63], -v[64:65]
	s_delay_alu instid0(VALU_DEP_3) | instskip(NEXT) | instid1(VALU_DEP_3)
	v_add_f64_e64 v[66:67], v[66:67], -v[70:71]
	v_add_f64_e64 v[72:73], v[68:69], -v[60:61]
	s_delay_alu instid0(VALU_DEP_3) | instskip(NEXT) | instid1(VALU_DEP_2)
	v_add_f64_e64 v[58:59], v[58:59], -v[64:65]
	v_add_f64_e64 v[74:75], v[68:69], -v[72:73]
	;; [unrolled: 1-line block ×3, first 2 shown]
	s_delay_alu instid0(VALU_DEP_3) | instskip(NEXT) | instid1(VALU_DEP_3)
	v_add_f64_e32 v[64:65], v[66:67], v[58:59]
	v_add_f64_e64 v[60:61], v[60:61], -v[74:75]
	s_delay_alu instid0(VALU_DEP_1) | instskip(NEXT) | instid1(VALU_DEP_3)
	v_add_f64_e32 v[60:61], v[62:63], v[60:61]
	v_add_f64_e64 v[62:63], v[64:65], -v[66:67]
	s_delay_alu instid0(VALU_DEP_2) | instskip(NEXT) | instid1(VALU_DEP_2)
	v_add_f64_e32 v[60:61], v[64:65], v[60:61]
	v_add_f64_e64 v[64:65], v[64:65], -v[62:63]
	v_add_f64_e64 v[58:59], v[58:59], -v[62:63]
	s_delay_alu instid0(VALU_DEP_3) | instskip(NEXT) | instid1(VALU_DEP_3)
	v_add_f64_e32 v[70:71], v[68:69], v[60:61]
	v_add_f64_e64 v[62:63], v[66:67], -v[64:65]
	s_delay_alu instid0(VALU_DEP_2) | instskip(NEXT) | instid1(VALU_DEP_2)
	v_add_f64_e64 v[64:65], v[70:71], -v[68:69]
	v_add_f64_e32 v[58:59], v[58:59], v[62:63]
	v_fma_f64 v[62:63], |v[44:45]|, s[30:31], s[28:29]
	s_delay_alu instid0(VALU_DEP_3) | instskip(NEXT) | instid1(VALU_DEP_1)
	v_add_f64_e64 v[60:61], v[60:61], -v[64:65]
	v_add_f64_e32 v[58:59], v[58:59], v[60:61]
	s_delay_alu instid0(VALU_DEP_3) | instskip(NEXT) | instid1(VALU_DEP_2)
	v_fma_f64 v[60:61], |v[44:45]|, v[62:63], s[34:35]
	v_add_f64_e32 v[58:59], v[70:71], v[58:59]
	s_delay_alu instid0(VALU_DEP_2) | instskip(NEXT) | instid1(VALU_DEP_2)
	v_fma_f64 v[60:61], |v[44:45]|, v[60:61], s[36:37]
	v_xor_b32_e32 v52, 0x80000000, v59
	s_delay_alu instid0(VALU_DEP_2) | instskip(NEXT) | instid1(VALU_DEP_2)
	v_fma_f64 v[60:61], |v[44:45]|, v[60:61], s[38:39]
	v_cndmask_b32_e32 v52, 0xfff00000, v52, vcc_lo
	s_and_b32 vcc_lo, s6, vcc_lo
	v_cndmask_b32_e32 v58, 0, v58, vcc_lo
	s_delay_alu instid0(VALU_DEP_2) | instskip(NEXT) | instid1(VALU_DEP_1)
	v_cndmask_b32_e64 v59, 0x7ff00000, v52, s6
	v_fma_f64 v[58:59], |v[44:45]|, v[60:61], v[58:59]
.LBB12_74:                              ;   in Loop: Header=BB12_4 Depth=1
	s_or_b32 exec_lo, exec_lo, s7
	s_delay_alu instid0(SALU_CYCLE_1)
	s_mov_b32 s6, exec_lo
	v_cmpx_le_f64_e32 0, v[44:45]
	s_xor_b32 s7, exec_lo, s6
	s_cbranch_execz .LBB12_76
; %bb.75:                               ;   in Loop: Header=BB12_4 Depth=1
	v_cmp_eq_f64_e32 vcc_lo, 1.0, v[44:45]
	v_cmp_eq_f64_e64 s6, 2.0, v[44:45]
	s_or_b32 s6, vcc_lo, s6
	s_delay_alu instid0(SALU_CYCLE_1)
	v_cndmask_b32_e64 v59, v59, 0, s6
	v_cndmask_b32_e64 v58, v58, 0, s6
.LBB12_76:                              ;   in Loop: Header=BB12_4 Depth=1
	s_and_not1_saveexec_b32 s7, s7
	s_cbranch_execz .LBB12_80
; %bb.77:                               ;   in Loop: Header=BB12_4 Depth=1
	v_add_nc_u32_e32 v52, 0xc32fffff, v57
	s_mov_b32 s8, exec_lo
	s_delay_alu instid0(VALU_DEP_1)
	v_cmpx_gt_u32_e32 0x65fffff, v52
	s_cbranch_execz .LBB12_79
; %bb.78:                               ;   in Loop: Header=BB12_4 Depth=1
	v_mul_f64_e64 v[60:61], |v[44:45]|, 0.5
	v_cmp_class_f64_e64 s6, v[44:45], 0x1f8
	s_delay_alu instid0(VALU_DEP_2) | instskip(SKIP_1) | instid1(VALU_DEP_2)
	v_fract_f64_e32 v[62:63], v[60:61]
	v_cmp_neq_f64_e64 vcc_lo, 0x7ff00000, |v[60:61]|
	v_add_f64_e32 v[62:63], v[62:63], v[62:63]
	s_delay_alu instid0(VALU_DEP_1) | instskip(SKIP_1) | instid1(VALU_DEP_2)
	v_dual_cndmask_b32 v52, 0, v62, vcc_lo :: v_dual_cndmask_b32 v56, 0, v63, vcc_lo
	v_cmp_gt_f64_e64 vcc_lo, |v[44:45]|, 1.0
	v_cndmask_b32_e32 v61, v57, v56, vcc_lo
	s_delay_alu instid0(VALU_DEP_3) | instskip(NEXT) | instid1(VALU_DEP_1)
	v_cndmask_b32_e32 v60, v44, v52, vcc_lo
	v_add_f64_e32 v[62:63], v[60:61], v[60:61]
	s_delay_alu instid0(VALU_DEP_1) | instskip(NEXT) | instid1(VALU_DEP_1)
	v_rndne_f64_e32 v[62:63], v[62:63]
	v_cvt_i32_f64_e32 v52, v[62:63]
	s_delay_alu instid0(VALU_DEP_1) | instskip(SKIP_2) | instid1(VALU_DEP_3)
	v_and_b32_e32 v56, 1, v52
	v_fmac_f64_e32 v[60:61], -0.5, v[62:63]
	v_lshlrev_b32_e32 v52, 30, v52
	v_cmp_eq_u32_e32 vcc_lo, 0, v56
	s_delay_alu instid0(VALU_DEP_3) | instskip(NEXT) | instid1(VALU_DEP_1)
	v_mul_f64_e32 v[64:65], v[60:61], v[60:61]
	v_fmamk_f64 v[66:67], v[64:65], 0x3f3e357ef99eb0bb, v[36:37]
	v_mul_f64_e32 v[68:69], v[60:61], v[64:65]
	v_fmamk_f64 v[70:71], v[64:65], 0xbf1b167302e21c33, v[38:39]
	s_delay_alu instid0(VALU_DEP_3) | instskip(NEXT) | instid1(VALU_DEP_2)
	v_fmaak_f64 v[66:67], v[64:65], v[66:67], 0x3fb50782d5f14825
	v_fmaak_f64 v[70:71], v[64:65], v[70:71], 0xbf9a6d1e7294bff9
	s_delay_alu instid0(VALU_DEP_2) | instskip(NEXT) | instid1(VALU_DEP_1)
	v_fmaak_f64 v[66:67], v[64:65], v[66:67], 0xbfe32d2ccdfe9424
	v_fmaak_f64 v[66:67], v[64:65], v[66:67], 0x400466bc67754fff
	s_delay_alu instid0(VALU_DEP_1) | instskip(NEXT) | instid1(VALU_DEP_1)
	v_fmaak_f64 v[66:67], v[64:65], v[66:67], 0xc014abbce625be09
	v_mul_f64_e32 v[66:67], v[68:69], v[66:67]
	v_fmaak_f64 v[68:69], v[64:65], v[70:71], 0x3fce1f5067b90b37
	s_delay_alu instid0(VALU_DEP_1) | instskip(NEXT) | instid1(VALU_DEP_1)
	v_fmaak_f64 v[68:69], v[64:65], v[68:69], 0xbff55d3c7e3c325b
	v_fmaak_f64 v[68:69], v[64:65], v[68:69], 0x40103c1f081b5a67
	s_delay_alu instid0(VALU_DEP_1) | instskip(NEXT) | instid1(VALU_DEP_1)
	v_fmaak_f64 v[68:69], v[64:65], v[68:69], 0xc013bd3cc9be45de
	v_fma_f64 v[62:63], v[64:65], v[68:69], 1.0
	v_fmac_f64_e32 v[66:67], 0x400921fb54442d18, v[60:61]
	s_delay_alu instid0(VALU_DEP_1) | instskip(NEXT) | instid1(VALU_DEP_2)
	v_dual_cndmask_b32 v56, v62, v66, vcc_lo :: v_dual_bitop2_b32 v52, v52, v45 bitop3:0x14
	v_cndmask_b32_e32 v60, v63, v67, vcc_lo
	s_delay_alu instid0(VALU_DEP_1) | instskip(NEXT) | instid1(VALU_DEP_3)
	v_bitop3_b32 v52, v60, v52, 0x80000000 bitop3:0x78
	v_cndmask_b32_e64 v60, 0, v56, s6
	s_delay_alu instid0(VALU_DEP_2) | instskip(SKIP_1) | instid1(VALU_DEP_2)
	v_cndmask_b32_e64 v61, 0x7ff80000, v52, s6
	v_cmp_class_f64_e64 s6, v[44:45], 0x204
	v_mul_f64_e32 v[60:61], v[44:45], v[60:61]
	s_delay_alu instid0(VALU_DEP_1) | instskip(NEXT) | instid1(VALU_DEP_2)
	v_and_b32_e32 v63, 0x7fffffff, v61
	v_mov_b32_e32 v62, v60
	s_delay_alu instid0(VALU_DEP_1) | instskip(SKIP_1) | instid1(VALU_DEP_2)
	v_div_scale_f64 v[64:65], null, v[62:63], v[62:63], s[40:41]
	v_div_scale_f64 v[62:63], vcc_lo, s[40:41], v[62:63], s[40:41]
	v_rcp_f64_e32 v[66:67], v[64:65]
	v_nop
	s_delay_alu instid0(TRANS32_DEP_1) | instskip(NEXT) | instid1(VALU_DEP_1)
	v_fma_f64 v[68:69], -v[64:65], v[66:67], 1.0
	v_fmac_f64_e32 v[66:67], v[66:67], v[68:69]
	s_delay_alu instid0(VALU_DEP_1) | instskip(NEXT) | instid1(VALU_DEP_1)
	v_fma_f64 v[68:69], -v[64:65], v[66:67], 1.0
	v_fmac_f64_e32 v[66:67], v[66:67], v[68:69]
	s_delay_alu instid0(VALU_DEP_1) | instskip(NEXT) | instid1(VALU_DEP_1)
	v_mul_f64_e32 v[68:69], v[62:63], v[66:67]
	v_fma_f64 v[62:63], -v[64:65], v[68:69], v[62:63]
	s_delay_alu instid0(VALU_DEP_1) | instskip(NEXT) | instid1(VALU_DEP_1)
	v_div_fmas_f64 v[62:63], v[62:63], v[66:67], v[68:69]
	v_div_fixup_f64 v[60:61], v[62:63], |v[60:61]|, s[40:41]
	s_delay_alu instid0(VALU_DEP_1) | instskip(NEXT) | instid1(VALU_DEP_1)
	v_frexp_mant_f64_e32 v[62:63], v[60:61]
	v_cmp_gt_f64_e32 vcc_lo, s[14:15], v[62:63]
	v_cndmask_b32_e64 v52, 0, 1, vcc_lo
	s_delay_alu instid0(VALU_DEP_1) | instskip(SKIP_1) | instid1(VALU_DEP_1)
	v_ldexp_f64 v[62:63], v[62:63], v52
	v_frexp_exp_i32_f64_e32 v52, v[60:61]
	v_subrev_co_ci_u32_e64 v52, null, 0, v52, vcc_lo
	v_cmp_class_f64_e64 vcc_lo, v[60:61], 0x204
	s_delay_alu instid0(VALU_DEP_4) | instskip(SKIP_1) | instid1(VALU_DEP_2)
	v_add_f64_e32 v[64:65], 1.0, v[62:63]
	v_add_f64_e32 v[70:71], -1.0, v[62:63]
	v_rcp_f64_e32 v[66:67], v[64:65]
	v_add_f64_e32 v[72:73], -1.0, v[64:65]
	s_delay_alu instid0(VALU_DEP_1) | instskip(NEXT) | instid1(TRANS32_DEP_1)
	v_add_f64_e64 v[62:63], v[62:63], -v[72:73]
	v_fma_f64 v[68:69], -v[64:65], v[66:67], 1.0
	s_delay_alu instid0(VALU_DEP_1) | instskip(NEXT) | instid1(VALU_DEP_1)
	v_fmac_f64_e32 v[66:67], v[68:69], v[66:67]
	v_fma_f64 v[68:69], -v[64:65], v[66:67], 1.0
	s_delay_alu instid0(VALU_DEP_1) | instskip(NEXT) | instid1(VALU_DEP_1)
	v_fmac_f64_e32 v[66:67], v[68:69], v[66:67]
	v_mul_f64_e32 v[68:69], v[70:71], v[66:67]
	s_delay_alu instid0(VALU_DEP_1) | instskip(NEXT) | instid1(VALU_DEP_1)
	v_mul_f64_e32 v[74:75], v[64:65], v[68:69]
	v_fma_f64 v[64:65], v[68:69], v[64:65], -v[74:75]
	s_delay_alu instid0(VALU_DEP_1) | instskip(NEXT) | instid1(VALU_DEP_1)
	v_fmac_f64_e32 v[64:65], v[68:69], v[62:63]
	v_add_f64_e32 v[62:63], v[74:75], v[64:65]
	s_delay_alu instid0(VALU_DEP_1) | instskip(SKIP_1) | instid1(VALU_DEP_2)
	v_add_f64_e64 v[72:73], v[70:71], -v[62:63]
	v_add_f64_e64 v[74:75], v[62:63], -v[74:75]
	;; [unrolled: 1-line block ×3, first 2 shown]
	s_delay_alu instid0(VALU_DEP_2) | instskip(NEXT) | instid1(VALU_DEP_2)
	v_add_f64_e64 v[64:65], v[74:75], -v[64:65]
	v_add_f64_e64 v[62:63], v[70:71], -v[62:63]
	s_delay_alu instid0(VALU_DEP_1) | instskip(NEXT) | instid1(VALU_DEP_1)
	v_add_f64_e32 v[62:63], v[64:65], v[62:63]
	v_add_f64_e32 v[62:63], v[72:73], v[62:63]
	s_delay_alu instid0(VALU_DEP_1) | instskip(NEXT) | instid1(VALU_DEP_1)
	v_mul_f64_e32 v[62:63], v[66:67], v[62:63]
	v_add_f64_e32 v[64:65], v[68:69], v[62:63]
	s_delay_alu instid0(VALU_DEP_1) | instskip(NEXT) | instid1(VALU_DEP_1)
	v_mul_f64_e32 v[66:67], v[64:65], v[64:65]
	v_fmamk_f64 v[70:71], v[66:67], 0x3fc3ab76bf559e2b, v[4:5]
	v_mul_f64_e32 v[72:73], v[64:65], v[66:67]
	s_delay_alu instid0(VALU_DEP_2) | instskip(NEXT) | instid1(VALU_DEP_1)
	v_fmaak_f64 v[70:71], v[66:67], v[70:71], 0x3fc7474dd7f4df2e
	v_fmaak_f64 v[70:71], v[66:67], v[70:71], 0x3fcc71c016291751
	s_delay_alu instid0(VALU_DEP_1) | instskip(NEXT) | instid1(VALU_DEP_1)
	v_fmaak_f64 v[70:71], v[66:67], v[70:71], 0x3fd249249b27acf1
	v_fmaak_f64 v[70:71], v[66:67], v[70:71], 0x3fd99999998ef7b6
	s_delay_alu instid0(VALU_DEP_1) | instskip(SKIP_2) | instid1(VALU_DEP_3)
	v_fmaak_f64 v[66:67], v[66:67], v[70:71], 0x3fe5555555555780
	v_ldexp_f64 v[70:71], v[64:65], 1
	v_add_f64_e64 v[64:65], v[64:65], -v[68:69]
	v_mul_f64_e32 v[66:67], v[72:73], v[66:67]
	v_cvt_f64_i32_e32 v[72:73], v52
	s_delay_alu instid0(VALU_DEP_3) | instskip(NEXT) | instid1(VALU_DEP_3)
	v_add_f64_e64 v[62:63], v[62:63], -v[64:65]
	v_add_f64_e32 v[68:69], v[70:71], v[66:67]
	s_delay_alu instid0(VALU_DEP_3) | instskip(NEXT) | instid1(VALU_DEP_3)
	v_mul_f64_e32 v[74:75], 0x3fe62e42fefa39ef, v[72:73]
	v_ldexp_f64 v[62:63], v[62:63], 1
	s_delay_alu instid0(VALU_DEP_3) | instskip(NEXT) | instid1(VALU_DEP_3)
	v_add_f64_e64 v[64:65], v[68:69], -v[70:71]
	v_fma_f64 v[70:71], v[72:73], s[16:17], -v[74:75]
	s_delay_alu instid0(VALU_DEP_2) | instskip(NEXT) | instid1(VALU_DEP_2)
	v_add_f64_e64 v[64:65], v[66:67], -v[64:65]
	v_fmac_f64_e32 v[70:71], 0x3c7abc9e3b39803f, v[72:73]
	s_delay_alu instid0(VALU_DEP_2) | instskip(NEXT) | instid1(VALU_DEP_2)
	v_add_f64_e32 v[62:63], v[62:63], v[64:65]
	v_add_f64_e32 v[64:65], v[74:75], v[70:71]
	s_delay_alu instid0(VALU_DEP_2) | instskip(NEXT) | instid1(VALU_DEP_2)
	v_add_f64_e32 v[66:67], v[68:69], v[62:63]
	v_add_f64_e64 v[74:75], v[64:65], -v[74:75]
	s_delay_alu instid0(VALU_DEP_2) | instskip(SKIP_1) | instid1(VALU_DEP_3)
	v_add_f64_e32 v[72:73], v[64:65], v[66:67]
	v_add_f64_e64 v[68:69], v[66:67], -v[68:69]
	v_add_f64_e64 v[70:71], v[70:71], -v[74:75]
	s_delay_alu instid0(VALU_DEP_3) | instskip(NEXT) | instid1(VALU_DEP_3)
	v_add_f64_e64 v[76:77], v[72:73], -v[64:65]
	v_add_f64_e64 v[62:63], v[62:63], -v[68:69]
	s_delay_alu instid0(VALU_DEP_2) | instskip(SKIP_1) | instid1(VALU_DEP_3)
	v_add_f64_e64 v[78:79], v[72:73], -v[76:77]
	v_add_f64_e64 v[66:67], v[66:67], -v[76:77]
	v_add_f64_e32 v[68:69], v[70:71], v[62:63]
	s_delay_alu instid0(VALU_DEP_3) | instskip(NEXT) | instid1(VALU_DEP_1)
	v_add_f64_e64 v[64:65], v[64:65], -v[78:79]
	v_add_f64_e32 v[64:65], v[66:67], v[64:65]
	s_delay_alu instid0(VALU_DEP_3) | instskip(NEXT) | instid1(VALU_DEP_2)
	v_add_f64_e64 v[66:67], v[68:69], -v[70:71]
	v_add_f64_e32 v[64:65], v[68:69], v[64:65]
	s_delay_alu instid0(VALU_DEP_2) | instskip(SKIP_1) | instid1(VALU_DEP_3)
	v_add_f64_e64 v[68:69], v[68:69], -v[66:67]
	v_add_f64_e64 v[62:63], v[62:63], -v[66:67]
	v_add_f64_e32 v[74:75], v[72:73], v[64:65]
	s_delay_alu instid0(VALU_DEP_3) | instskip(NEXT) | instid1(VALU_DEP_2)
	v_add_f64_e64 v[66:67], v[70:71], -v[68:69]
	v_add_f64_e64 v[68:69], v[74:75], -v[72:73]
	s_delay_alu instid0(VALU_DEP_2) | instskip(NEXT) | instid1(VALU_DEP_2)
	v_add_f64_e32 v[62:63], v[62:63], v[66:67]
	v_add_f64_e64 v[64:65], v[64:65], -v[68:69]
	s_delay_alu instid0(VALU_DEP_1) | instskip(NEXT) | instid1(VALU_DEP_1)
	v_add_f64_e32 v[62:63], v[62:63], v[64:65]
	v_add_f64_e32 v[62:63], v[74:75], v[62:63]
	s_delay_alu instid0(VALU_DEP_1) | instskip(SKIP_2) | instid1(VALU_DEP_3)
	v_dual_cndmask_b32 v52, v62, v60, vcc_lo :: v_dual_cndmask_b32 v56, v63, v61, vcc_lo
	v_cmp_neq_f64_e32 vcc_lo, 0, v[60:61]
	v_fract_f64_e32 v[60:61], v[44:45]
	v_cndmask_b32_e32 v63, 0xfff00000, v56, vcc_lo
	s_delay_alu instid0(VALU_DEP_4) | instskip(NEXT) | instid1(VALU_DEP_3)
	v_cndmask_b32_e32 v62, 0, v52, vcc_lo
	v_cmp_eq_f64_e32 vcc_lo, 0, v[60:61]
	s_delay_alu instid0(VALU_DEP_2)
	v_add_f64_e64 v[58:59], v[62:63], -v[58:59]
	s_or_b32 s6, s6, vcc_lo
	s_delay_alu instid0(VALU_DEP_1) | instid1(SALU_CYCLE_1)
	v_cndmask_b32_e64 v59, v59, 0x7ff00000, s6
	s_delay_alu instid0(VALU_DEP_2)
	v_cndmask_b32_e64 v58, v58, 0, s6
.LBB12_79:                              ;   in Loop: Header=BB12_4 Depth=1
	s_or_b32 exec_lo, exec_lo, s8
.LBB12_80:                              ;   in Loop: Header=BB12_4 Depth=1
	s_delay_alu instid0(SALU_CYCLE_1) | instskip(SKIP_3) | instid1(VALU_DEP_2)
	s_or_b32 exec_lo, exec_lo, s7
	v_and_b32_e32 v61, 0x7fffffff, v49
	v_mov_b32_e32 v60, v48
                                        ; implicit-def: $vgpr62_vgpr63
	s_mov_b32 s6, exec_lo
	v_cmpx_lt_u32_e32 0x3f6fffff, v61
	s_xor_b32 s9, exec_lo, s6
	s_cbranch_execz .LBB12_106
; %bb.81:                               ;   in Loop: Header=BB12_4 Depth=1
                                        ; implicit-def: $vgpr62_vgpr63
	s_mov_b32 s6, exec_lo
	v_cmpx_lt_u32_e32 0x3fffffff, v61
	s_xor_b32 s7, exec_lo, s6
	s_cbranch_execz .LBB12_91
; %bb.82:                               ;   in Loop: Header=BB12_4 Depth=1
	;; [unrolled: 6-line block ×4, first 2 shown]
	v_frexp_mant_f64_e64 v[62:63], |v[48:49]|
	v_cmp_neq_f64_e64 s6, 0, v[48:49]
	s_delay_alu instid0(VALU_DEP_2) | instskip(SKIP_1) | instid1(VALU_DEP_1)
	v_cmp_gt_f64_e32 vcc_lo, s[14:15], v[62:63]
	v_cndmask_b32_e64 v52, 0, 1, vcc_lo
	v_ldexp_f64 v[62:63], v[62:63], v52
	v_frexp_exp_i32_f64_e32 v52, v[48:49]
	s_delay_alu instid0(VALU_DEP_2) | instskip(SKIP_1) | instid1(VALU_DEP_3)
	v_add_f64_e32 v[64:65], 1.0, v[62:63]
	v_add_f64_e32 v[70:71], -1.0, v[62:63]
	v_subrev_co_ci_u32_e64 v52, null, 0, v52, vcc_lo
	v_cmp_neq_f64_e64 vcc_lo, 0x7ff00000, |v[48:49]|
	s_delay_alu instid0(VALU_DEP_4) | instskip(SKIP_1) | instid1(VALU_DEP_1)
	v_rcp_f64_e32 v[66:67], v[64:65]
	v_add_f64_e32 v[72:73], -1.0, v[64:65]
	v_add_f64_e64 v[62:63], v[62:63], -v[72:73]
	s_delay_alu instid0(TRANS32_DEP_1) | instskip(NEXT) | instid1(VALU_DEP_1)
	v_fma_f64 v[68:69], -v[64:65], v[66:67], 1.0
	v_fmac_f64_e32 v[66:67], v[68:69], v[66:67]
	s_delay_alu instid0(VALU_DEP_1) | instskip(NEXT) | instid1(VALU_DEP_1)
	v_fma_f64 v[68:69], -v[64:65], v[66:67], 1.0
	v_fmac_f64_e32 v[66:67], v[68:69], v[66:67]
	s_delay_alu instid0(VALU_DEP_1) | instskip(NEXT) | instid1(VALU_DEP_1)
	v_mul_f64_e32 v[68:69], v[70:71], v[66:67]
	v_mul_f64_e32 v[74:75], v[64:65], v[68:69]
	s_delay_alu instid0(VALU_DEP_1) | instskip(NEXT) | instid1(VALU_DEP_1)
	v_fma_f64 v[64:65], v[68:69], v[64:65], -v[74:75]
	v_fmac_f64_e32 v[64:65], v[68:69], v[62:63]
	s_delay_alu instid0(VALU_DEP_1) | instskip(NEXT) | instid1(VALU_DEP_1)
	v_add_f64_e32 v[62:63], v[74:75], v[64:65]
	v_add_f64_e64 v[72:73], v[70:71], -v[62:63]
	v_add_f64_e64 v[74:75], v[62:63], -v[74:75]
	s_delay_alu instid0(VALU_DEP_2) | instskip(NEXT) | instid1(VALU_DEP_2)
	v_add_f64_e64 v[70:71], v[70:71], -v[72:73]
	v_add_f64_e64 v[64:65], v[74:75], -v[64:65]
	s_delay_alu instid0(VALU_DEP_2) | instskip(NEXT) | instid1(VALU_DEP_1)
	v_add_f64_e64 v[62:63], v[70:71], -v[62:63]
	v_add_f64_e32 v[62:63], v[64:65], v[62:63]
	s_delay_alu instid0(VALU_DEP_1) | instskip(NEXT) | instid1(VALU_DEP_1)
	v_add_f64_e32 v[62:63], v[72:73], v[62:63]
	v_mul_f64_e32 v[62:63], v[66:67], v[62:63]
	s_delay_alu instid0(VALU_DEP_1) | instskip(NEXT) | instid1(VALU_DEP_1)
	v_add_f64_e32 v[64:65], v[68:69], v[62:63]
	v_mul_f64_e32 v[66:67], v[64:65], v[64:65]
	s_delay_alu instid0(VALU_DEP_1) | instskip(SKIP_1) | instid1(VALU_DEP_2)
	v_fmamk_f64 v[70:71], v[66:67], 0x3fc3ab76bf559e2b, v[4:5]
	v_mul_f64_e32 v[72:73], v[64:65], v[66:67]
	v_fmaak_f64 v[70:71], v[66:67], v[70:71], 0x3fc7474dd7f4df2e
	s_delay_alu instid0(VALU_DEP_1) | instskip(NEXT) | instid1(VALU_DEP_1)
	v_fmaak_f64 v[70:71], v[66:67], v[70:71], 0x3fcc71c016291751
	v_fmaak_f64 v[70:71], v[66:67], v[70:71], 0x3fd249249b27acf1
	s_delay_alu instid0(VALU_DEP_1) | instskip(NEXT) | instid1(VALU_DEP_1)
	v_fmaak_f64 v[70:71], v[66:67], v[70:71], 0x3fd99999998ef7b6
	v_fmaak_f64 v[66:67], v[66:67], v[70:71], 0x3fe5555555555780
	v_ldexp_f64 v[70:71], v[64:65], 1
	v_add_f64_e64 v[64:65], v[64:65], -v[68:69]
	s_delay_alu instid0(VALU_DEP_3) | instskip(SKIP_1) | instid1(VALU_DEP_3)
	v_mul_f64_e32 v[66:67], v[72:73], v[66:67]
	v_cvt_f64_i32_e32 v[72:73], v52
	v_add_f64_e64 v[62:63], v[62:63], -v[64:65]
	s_delay_alu instid0(VALU_DEP_3) | instskip(NEXT) | instid1(VALU_DEP_3)
	v_add_f64_e32 v[68:69], v[70:71], v[66:67]
	v_mul_f64_e32 v[74:75], 0x3fe62e42fefa39ef, v[72:73]
	s_delay_alu instid0(VALU_DEP_3) | instskip(NEXT) | instid1(VALU_DEP_3)
	v_ldexp_f64 v[62:63], v[62:63], 1
	v_add_f64_e64 v[64:65], v[68:69], -v[70:71]
	s_delay_alu instid0(VALU_DEP_3) | instskip(NEXT) | instid1(VALU_DEP_2)
	v_fma_f64 v[70:71], v[72:73], s[16:17], -v[74:75]
	v_add_f64_e64 v[64:65], v[66:67], -v[64:65]
	s_delay_alu instid0(VALU_DEP_2) | instskip(NEXT) | instid1(VALU_DEP_2)
	v_fmac_f64_e32 v[70:71], 0x3c7abc9e3b39803f, v[72:73]
	v_add_f64_e32 v[62:63], v[62:63], v[64:65]
	s_delay_alu instid0(VALU_DEP_2) | instskip(NEXT) | instid1(VALU_DEP_2)
	v_add_f64_e32 v[64:65], v[74:75], v[70:71]
	v_add_f64_e32 v[66:67], v[68:69], v[62:63]
	s_delay_alu instid0(VALU_DEP_2) | instskip(NEXT) | instid1(VALU_DEP_2)
	v_add_f64_e64 v[74:75], v[64:65], -v[74:75]
	v_add_f64_e32 v[72:73], v[64:65], v[66:67]
	v_add_f64_e64 v[68:69], v[66:67], -v[68:69]
	s_delay_alu instid0(VALU_DEP_3) | instskip(NEXT) | instid1(VALU_DEP_3)
	v_add_f64_e64 v[70:71], v[70:71], -v[74:75]
	v_add_f64_e64 v[76:77], v[72:73], -v[64:65]
	s_delay_alu instid0(VALU_DEP_3) | instskip(NEXT) | instid1(VALU_DEP_2)
	v_add_f64_e64 v[62:63], v[62:63], -v[68:69]
	v_add_f64_e64 v[78:79], v[72:73], -v[76:77]
	;; [unrolled: 1-line block ×3, first 2 shown]
	s_delay_alu instid0(VALU_DEP_3) | instskip(NEXT) | instid1(VALU_DEP_3)
	v_add_f64_e32 v[68:69], v[70:71], v[62:63]
	v_add_f64_e64 v[64:65], v[64:65], -v[78:79]
	s_delay_alu instid0(VALU_DEP_1) | instskip(NEXT) | instid1(VALU_DEP_3)
	v_add_f64_e32 v[64:65], v[66:67], v[64:65]
	v_add_f64_e64 v[66:67], v[68:69], -v[70:71]
	s_delay_alu instid0(VALU_DEP_2) | instskip(NEXT) | instid1(VALU_DEP_2)
	v_add_f64_e32 v[64:65], v[68:69], v[64:65]
	v_add_f64_e64 v[68:69], v[68:69], -v[66:67]
	v_add_f64_e64 v[62:63], v[62:63], -v[66:67]
	s_delay_alu instid0(VALU_DEP_3) | instskip(NEXT) | instid1(VALU_DEP_3)
	v_add_f64_e32 v[74:75], v[72:73], v[64:65]
	v_add_f64_e64 v[66:67], v[70:71], -v[68:69]
	s_delay_alu instid0(VALU_DEP_2) | instskip(NEXT) | instid1(VALU_DEP_2)
	v_add_f64_e64 v[68:69], v[74:75], -v[72:73]
	v_add_f64_e32 v[62:63], v[62:63], v[66:67]
	s_delay_alu instid0(VALU_DEP_2) | instskip(NEXT) | instid1(VALU_DEP_1)
	v_add_f64_e64 v[64:65], v[64:65], -v[68:69]
	v_add_f64_e32 v[62:63], v[62:63], v[64:65]
	s_delay_alu instid0(VALU_DEP_1) | instskip(NEXT) | instid1(VALU_DEP_1)
	v_add_f64_e32 v[62:63], v[74:75], v[62:63]
	v_cndmask_b32_e32 v52, 0x7ff00000, v63, vcc_lo
	s_and_b32 vcc_lo, s6, vcc_lo
	s_delay_alu instid0(VALU_DEP_2) | instskip(NEXT) | instid1(VALU_DEP_2)
	v_cndmask_b32_e32 v62, 0, v62, vcc_lo
	v_cndmask_b32_e64 v63, 0xfff00000, v52, s6
	s_delay_alu instid0(VALU_DEP_1)
	v_fma_f64 v[62:63], |v[48:49]|, v[62:63], -|v[48:49]|
.LBB12_85:                              ;   in Loop: Header=BB12_4 Depth=1
	s_and_not1_saveexec_b32 s33, s33
	s_cbranch_execz .LBB12_87
; %bb.86:                               ;   in Loop: Header=BB12_4 Depth=1
	v_frexp_mant_f64_e64 v[62:63], |v[48:49]|
	v_cmp_neq_f64_e64 s6, 0, v[48:49]
	v_mov_b32_e32 v60, v48
	s_delay_alu instid0(VALU_DEP_1) | instskip(NEXT) | instid1(VALU_DEP_4)
	v_div_scale_f64 v[76:77], null, v[60:61], v[60:61], 1.0
	v_cmp_gt_f64_e32 vcc_lo, s[14:15], v[62:63]
	s_delay_alu instid0(VALU_DEP_2) | instskip(SKIP_1) | instid1(VALU_DEP_1)
	v_rcp_f64_e32 v[80:81], v[76:77]
	v_cndmask_b32_e64 v52, 0, 1, vcc_lo
	v_ldexp_f64 v[62:63], v[62:63], v52
	v_frexp_exp_i32_f64_e32 v52, v[48:49]
	s_delay_alu instid0(TRANS32_DEP_1) | instskip(NEXT) | instid1(VALU_DEP_3)
	v_fma_f64 v[84:85], -v[76:77], v[80:81], 1.0
	v_add_f64_e32 v[64:65], 1.0, v[62:63]
	v_add_f64_e32 v[70:71], -1.0, v[62:63]
	s_delay_alu instid0(VALU_DEP_4) | instskip(NEXT) | instid1(VALU_DEP_4)
	v_subrev_co_ci_u32_e64 v52, null, 0, v52, vcc_lo
	v_fmac_f64_e32 v[80:81], v[80:81], v[84:85]
	s_delay_alu instid0(VALU_DEP_4) | instskip(SKIP_1) | instid1(VALU_DEP_1)
	v_rcp_f64_e32 v[66:67], v[64:65]
	v_add_f64_e32 v[72:73], -1.0, v[64:65]
	v_add_f64_e64 v[62:63], v[62:63], -v[72:73]
	s_delay_alu instid0(TRANS32_DEP_1) | instskip(NEXT) | instid1(VALU_DEP_1)
	v_fma_f64 v[68:69], -v[64:65], v[66:67], 1.0
	v_fmac_f64_e32 v[66:67], v[68:69], v[66:67]
	s_delay_alu instid0(VALU_DEP_1) | instskip(NEXT) | instid1(VALU_DEP_1)
	v_fma_f64 v[68:69], -v[64:65], v[66:67], 1.0
	v_fmac_f64_e32 v[66:67], v[68:69], v[66:67]
	s_delay_alu instid0(VALU_DEP_1) | instskip(NEXT) | instid1(VALU_DEP_1)
	v_mul_f64_e32 v[68:69], v[70:71], v[66:67]
	v_mul_f64_e32 v[74:75], v[64:65], v[68:69]
	s_delay_alu instid0(VALU_DEP_1) | instskip(NEXT) | instid1(VALU_DEP_1)
	v_fma_f64 v[64:65], v[68:69], v[64:65], -v[74:75]
	v_fmac_f64_e32 v[64:65], v[68:69], v[62:63]
	s_delay_alu instid0(VALU_DEP_1) | instskip(NEXT) | instid1(VALU_DEP_1)
	v_add_f64_e32 v[62:63], v[74:75], v[64:65]
	v_add_f64_e64 v[72:73], v[70:71], -v[62:63]
	v_add_f64_e64 v[74:75], v[62:63], -v[74:75]
	s_delay_alu instid0(VALU_DEP_2) | instskip(NEXT) | instid1(VALU_DEP_2)
	v_add_f64_e64 v[70:71], v[70:71], -v[72:73]
	v_add_f64_e64 v[64:65], v[74:75], -v[64:65]
	s_delay_alu instid0(VALU_DEP_2) | instskip(NEXT) | instid1(VALU_DEP_1)
	v_add_f64_e64 v[62:63], v[70:71], -v[62:63]
	v_add_f64_e32 v[62:63], v[64:65], v[62:63]
	s_delay_alu instid0(VALU_DEP_1) | instskip(NEXT) | instid1(VALU_DEP_1)
	v_add_f64_e32 v[62:63], v[72:73], v[62:63]
	v_mul_f64_e32 v[62:63], v[66:67], v[62:63]
	s_delay_alu instid0(VALU_DEP_1) | instskip(NEXT) | instid1(VALU_DEP_1)
	v_add_f64_e32 v[64:65], v[68:69], v[62:63]
	v_mul_f64_e32 v[66:67], v[64:65], v[64:65]
	s_delay_alu instid0(VALU_DEP_1) | instskip(SKIP_1) | instid1(VALU_DEP_2)
	v_fmamk_f64 v[70:71], v[66:67], 0x3fc3ab76bf559e2b, v[4:5]
	v_mul_f64_e32 v[72:73], v[64:65], v[66:67]
	v_fmaak_f64 v[70:71], v[66:67], v[70:71], 0x3fc7474dd7f4df2e
	s_delay_alu instid0(VALU_DEP_1) | instskip(NEXT) | instid1(VALU_DEP_1)
	v_fmaak_f64 v[70:71], v[66:67], v[70:71], 0x3fcc71c016291751
	v_fmaak_f64 v[70:71], v[66:67], v[70:71], 0x3fd249249b27acf1
	s_delay_alu instid0(VALU_DEP_1) | instskip(NEXT) | instid1(VALU_DEP_1)
	v_fmaak_f64 v[70:71], v[66:67], v[70:71], 0x3fd99999998ef7b6
	v_fmaak_f64 v[66:67], v[66:67], v[70:71], 0x3fe5555555555780
	v_ldexp_f64 v[70:71], v[64:65], 1
	v_add_f64_e64 v[64:65], v[64:65], -v[68:69]
	s_delay_alu instid0(VALU_DEP_3) | instskip(SKIP_1) | instid1(VALU_DEP_3)
	v_mul_f64_e32 v[66:67], v[72:73], v[66:67]
	v_cvt_f64_i32_e32 v[72:73], v52
	v_add_f64_e64 v[62:63], v[62:63], -v[64:65]
	s_delay_alu instid0(VALU_DEP_3) | instskip(NEXT) | instid1(VALU_DEP_3)
	v_add_f64_e32 v[68:69], v[70:71], v[66:67]
	v_mul_f64_e32 v[74:75], 0x3fe62e42fefa39ef, v[72:73]
	s_delay_alu instid0(VALU_DEP_3) | instskip(NEXT) | instid1(VALU_DEP_3)
	v_ldexp_f64 v[62:63], v[62:63], 1
	v_add_f64_e64 v[64:65], v[68:69], -v[70:71]
	s_delay_alu instid0(VALU_DEP_3) | instskip(NEXT) | instid1(VALU_DEP_2)
	v_fma_f64 v[70:71], v[72:73], s[16:17], -v[74:75]
	v_add_f64_e64 v[64:65], v[66:67], -v[64:65]
	s_delay_alu instid0(VALU_DEP_2) | instskip(NEXT) | instid1(VALU_DEP_2)
	v_fmac_f64_e32 v[70:71], 0x3c7abc9e3b39803f, v[72:73]
	v_add_f64_e32 v[62:63], v[62:63], v[64:65]
	s_delay_alu instid0(VALU_DEP_2) | instskip(NEXT) | instid1(VALU_DEP_2)
	v_add_f64_e32 v[64:65], v[74:75], v[70:71]
	v_add_f64_e32 v[66:67], v[68:69], v[62:63]
	s_delay_alu instid0(VALU_DEP_2) | instskip(NEXT) | instid1(VALU_DEP_2)
	v_add_f64_e64 v[74:75], v[64:65], -v[74:75]
	v_add_f64_e32 v[72:73], v[64:65], v[66:67]
	v_add_f64_e64 v[68:69], v[66:67], -v[68:69]
	s_delay_alu instid0(VALU_DEP_3) | instskip(NEXT) | instid1(VALU_DEP_3)
	v_add_f64_e64 v[70:71], v[70:71], -v[74:75]
	v_add_f64_e64 v[78:79], v[72:73], -v[64:65]
	s_delay_alu instid0(VALU_DEP_3) | instskip(NEXT) | instid1(VALU_DEP_2)
	v_add_f64_e64 v[62:63], v[62:63], -v[68:69]
	v_add_f64_e64 v[82:83], v[72:73], -v[78:79]
	;; [unrolled: 1-line block ×3, first 2 shown]
	s_delay_alu instid0(VALU_DEP_3) | instskip(SKIP_1) | instid1(VALU_DEP_4)
	v_add_f64_e32 v[68:69], v[70:71], v[62:63]
	v_div_scale_f64 v[78:79], vcc_lo, 1.0, v[60:61], 1.0
	v_add_f64_e64 v[64:65], v[64:65], -v[82:83]
	s_delay_alu instid0(VALU_DEP_3) | instskip(NEXT) | instid1(VALU_DEP_2)
	v_add_f64_e64 v[74:75], v[68:69], -v[70:71]
	v_add_f64_e32 v[64:65], v[66:67], v[64:65]
	v_fma_f64 v[66:67], -v[76:77], v[80:81], 1.0
	s_delay_alu instid0(VALU_DEP_3) | instskip(NEXT) | instid1(VALU_DEP_3)
	v_add_f64_e64 v[62:63], v[62:63], -v[74:75]
	v_add_f64_e32 v[64:65], v[68:69], v[64:65]
	s_delay_alu instid0(VALU_DEP_3) | instskip(SKIP_1) | instid1(VALU_DEP_3)
	v_fmac_f64_e32 v[80:81], v[80:81], v[66:67]
	v_add_f64_e64 v[66:67], v[68:69], -v[74:75]
	v_add_f64_e32 v[68:69], v[72:73], v[64:65]
	s_delay_alu instid0(VALU_DEP_3) | instskip(NEXT) | instid1(VALU_DEP_3)
	v_mul_f64_e32 v[82:83], v[78:79], v[80:81]
	v_add_f64_e64 v[66:67], v[70:71], -v[66:67]
	s_delay_alu instid0(VALU_DEP_3) | instskip(NEXT) | instid1(VALU_DEP_3)
	v_add_f64_e64 v[70:71], v[68:69], -v[72:73]
	v_fma_f64 v[72:73], -v[76:77], v[82:83], v[78:79]
	s_delay_alu instid0(VALU_DEP_3) | instskip(NEXT) | instid1(VALU_DEP_3)
	v_add_f64_e32 v[62:63], v[62:63], v[66:67]
	v_add_f64_e64 v[64:65], v[64:65], -v[70:71]
	s_delay_alu instid0(VALU_DEP_3) | instskip(SKIP_2) | instid1(VALU_DEP_4)
	v_div_fmas_f64 v[66:67], v[72:73], v[80:81], v[82:83]
	v_cmp_neq_f64_e64 vcc_lo, 0x7ff00000, |v[48:49]|
	v_add_f64_e64 v[70:71], |v[48:49]|, -0.5
	v_add_f64_e32 v[62:63], v[62:63], v[64:65]
	s_delay_alu instid0(VALU_DEP_4) | instskip(NEXT) | instid1(VALU_DEP_2)
	v_div_fixup_f64 v[64:65], v[66:67], |v[48:49]|, 1.0
	v_add_f64_e32 v[62:63], v[68:69], v[62:63]
	s_delay_alu instid0(VALU_DEP_2) | instskip(NEXT) | instid1(VALU_DEP_2)
	v_mul_f64_e32 v[66:67], v[64:65], v[64:65]
	v_add_f64_e32 v[68:69], -1.0, v[62:63]
	s_delay_alu instid0(VALU_DEP_2) | instskip(NEXT) | instid1(VALU_DEP_1)
	v_fmamk_f64 v[62:63], v[66:67], 0xbf5ab89d0b9e43e4, v[6:7]
	v_fmaak_f64 v[62:63], v[66:67], v[62:63], 0xbf4380cb8c0fe741
	s_delay_alu instid0(VALU_DEP_1) | instskip(NEXT) | instid1(VALU_DEP_1)
	v_fmaak_f64 v[62:63], v[66:67], v[62:63], 0x3f4a019f98cf38b6
	v_fmaak_f64 v[62:63], v[66:67], v[62:63], 0xbf66c16c16b02e5c
	s_delay_alu instid0(VALU_DEP_1) | instskip(SKIP_2) | instid1(VALU_DEP_2)
	v_fmaak_f64 v[62:63], v[66:67], v[62:63], 0x3fb555555555553b
	v_cndmask_b32_e32 v52, 0x7ff00000, v69, vcc_lo
	s_and_b32 vcc_lo, s6, vcc_lo
	v_fmaak_f64 v[62:63], v[64:65], v[62:63], 0x3fdacfe390c97d69
	s_delay_alu instid0(VALU_DEP_2) | instskip(SKIP_1) | instid1(VALU_DEP_1)
	v_cndmask_b32_e64 v65, 0xfff00000, v52, s6
	v_cndmask_b32_e32 v64, 0, v68, vcc_lo
	v_fmac_f64_e32 v[62:63], v[70:71], v[64:65]
.LBB12_87:                              ;   in Loop: Header=BB12_4 Depth=1
	s_or_b32 exec_lo, exec_lo, s33
.LBB12_88:                              ;   in Loop: Header=BB12_4 Depth=1
	s_and_not1_saveexec_b32 s8, s8
	s_cbranch_execz .LBB12_90
; %bb.89:                               ;   in Loop: Header=BB12_4 Depth=1
	v_cvt_i32_f64_e32 v52, v[60:61]
	s_delay_alu instid0(VALU_DEP_1) | instskip(SKIP_2) | instid1(VALU_DEP_3)
	v_cvt_f64_i32_e32 v[62:63], v52
	v_cmp_lt_i32_e32 vcc_lo, 2, v52
	v_cmp_lt_i32_e64 s6, 3, v52
	v_add_f64_e64 v[62:63], |v[48:49]|, -v[62:63]
	s_delay_alu instid0(VALU_DEP_1) | instskip(SKIP_2) | instid1(VALU_DEP_2)
	v_add_f64_e32 v[68:69], 4.0, v[62:63]
	v_add_f64_e32 v[64:65], 2.0, v[62:63]
	v_add_f64_e32 v[66:67], 0x40080000, v[62:63]
	v_cndmask_b32_e32 v65, 0x3ff00000, v65, vcc_lo
	s_delay_alu instid0(VALU_DEP_3) | instskip(SKIP_1) | instid1(VALU_DEP_4)
	v_cndmask_b32_e32 v64, 0, v64, vcc_lo
	v_cmp_lt_i32_e32 vcc_lo, 4, v52
	v_cndmask_b32_e64 v67, 0x3ff00000, v67, s6
	v_cndmask_b32_e32 v69, 0x3ff00000, v69, vcc_lo
	v_dual_cndmask_b32 v68, 0, v68, vcc_lo :: v_dual_cndmask_b32 v66, 0, v66, s6
	v_cmp_lt_i32_e32 vcc_lo, 5, v52
	s_delay_alu instid0(VALU_DEP_2) | instskip(SKIP_1) | instid1(VALU_DEP_2)
	v_mul_f64_e32 v[64:65], v[64:65], v[66:67]
	v_add_f64_e32 v[66:67], 0x40140000, v[62:63]
	v_mul_f64_e32 v[64:65], v[68:69], v[64:65]
	v_add_f64_e32 v[68:69], 0x40180000, v[62:63]
	s_delay_alu instid0(VALU_DEP_3) | instskip(NEXT) | instid1(VALU_DEP_4)
	v_cndmask_b32_e32 v67, 0x3ff00000, v67, vcc_lo
	v_cndmask_b32_e32 v66, 0, v66, vcc_lo
	v_cmp_lt_i32_e32 vcc_lo, 6, v52
	s_delay_alu instid0(VALU_DEP_2) | instskip(SKIP_2) | instid1(VALU_DEP_1)
	v_mul_f64_e32 v[64:65], v[66:67], v[64:65]
	v_cndmask_b32_e32 v67, 0x3ff00000, v69, vcc_lo
	v_cndmask_b32_e32 v66, 0, v68, vcc_lo
	v_mul_f64_e32 v[64:65], v[66:67], v[64:65]
	s_delay_alu instid0(VALU_DEP_1) | instskip(NEXT) | instid1(VALU_DEP_1)
	v_frexp_mant_f64_e32 v[66:67], v[64:65]
	v_cmp_gt_f64_e32 vcc_lo, s[14:15], v[66:67]
	v_cndmask_b32_e64 v52, 0, 1, vcc_lo
	s_delay_alu instid0(VALU_DEP_1) | instskip(SKIP_1) | instid1(VALU_DEP_2)
	v_ldexp_f64 v[66:67], v[66:67], v52
	v_frexp_exp_i32_f64_e32 v52, v[64:65]
	v_add_f64_e32 v[68:69], 1.0, v[66:67]
	v_add_f64_e32 v[74:75], -1.0, v[66:67]
	s_delay_alu instid0(VALU_DEP_3) | instskip(NEXT) | instid1(VALU_DEP_3)
	v_subrev_co_ci_u32_e64 v52, null, 0, v52, vcc_lo
	v_rcp_f64_e32 v[70:71], v[68:69]
	v_add_f64_e32 v[76:77], -1.0, v[68:69]
	s_delay_alu instid0(VALU_DEP_1) | instskip(NEXT) | instid1(TRANS32_DEP_1)
	v_add_f64_e64 v[66:67], v[66:67], -v[76:77]
	v_fma_f64 v[72:73], -v[68:69], v[70:71], 1.0
	s_delay_alu instid0(VALU_DEP_1) | instskip(NEXT) | instid1(VALU_DEP_1)
	v_fmac_f64_e32 v[70:71], v[72:73], v[70:71]
	v_fma_f64 v[72:73], -v[68:69], v[70:71], 1.0
	s_delay_alu instid0(VALU_DEP_1) | instskip(NEXT) | instid1(VALU_DEP_1)
	v_fmac_f64_e32 v[70:71], v[72:73], v[70:71]
	v_mul_f64_e32 v[72:73], v[74:75], v[70:71]
	s_delay_alu instid0(VALU_DEP_1) | instskip(NEXT) | instid1(VALU_DEP_1)
	v_mul_f64_e32 v[78:79], v[68:69], v[72:73]
	v_fma_f64 v[68:69], v[72:73], v[68:69], -v[78:79]
	s_delay_alu instid0(VALU_DEP_1) | instskip(NEXT) | instid1(VALU_DEP_1)
	v_fmac_f64_e32 v[68:69], v[72:73], v[66:67]
	v_add_f64_e32 v[66:67], v[78:79], v[68:69]
	s_delay_alu instid0(VALU_DEP_1) | instskip(SKIP_1) | instid1(VALU_DEP_2)
	v_add_f64_e64 v[76:77], v[74:75], -v[66:67]
	v_add_f64_e64 v[78:79], v[66:67], -v[78:79]
	;; [unrolled: 1-line block ×3, first 2 shown]
	s_delay_alu instid0(VALU_DEP_2) | instskip(NEXT) | instid1(VALU_DEP_2)
	v_add_f64_e64 v[68:69], v[78:79], -v[68:69]
	v_add_f64_e64 v[66:67], v[74:75], -v[66:67]
	s_delay_alu instid0(VALU_DEP_1) | instskip(NEXT) | instid1(VALU_DEP_1)
	v_add_f64_e32 v[66:67], v[68:69], v[66:67]
	v_add_f64_e32 v[66:67], v[76:77], v[66:67]
	s_delay_alu instid0(VALU_DEP_1) | instskip(NEXT) | instid1(VALU_DEP_1)
	v_mul_f64_e32 v[66:67], v[70:71], v[66:67]
	v_add_f64_e32 v[68:69], v[72:73], v[66:67]
	s_delay_alu instid0(VALU_DEP_1) | instskip(NEXT) | instid1(VALU_DEP_1)
	v_mul_f64_e32 v[70:71], v[68:69], v[68:69]
	v_fmamk_f64 v[74:75], v[70:71], 0x3fc3ab76bf559e2b, v[4:5]
	v_mul_f64_e32 v[76:77], v[68:69], v[70:71]
	s_delay_alu instid0(VALU_DEP_2) | instskip(NEXT) | instid1(VALU_DEP_1)
	v_fmaak_f64 v[74:75], v[70:71], v[74:75], 0x3fc7474dd7f4df2e
	v_fmaak_f64 v[74:75], v[70:71], v[74:75], 0x3fcc71c016291751
	s_delay_alu instid0(VALU_DEP_1) | instskip(NEXT) | instid1(VALU_DEP_1)
	v_fmaak_f64 v[74:75], v[70:71], v[74:75], 0x3fd249249b27acf1
	v_fmaak_f64 v[74:75], v[70:71], v[74:75], 0x3fd99999998ef7b6
	s_delay_alu instid0(VALU_DEP_1) | instskip(SKIP_2) | instid1(VALU_DEP_3)
	v_fmaak_f64 v[70:71], v[70:71], v[74:75], 0x3fe5555555555780
	v_ldexp_f64 v[74:75], v[68:69], 1
	v_add_f64_e64 v[68:69], v[68:69], -v[72:73]
	v_mul_f64_e32 v[70:71], v[76:77], v[70:71]
	v_cvt_f64_i32_e32 v[76:77], v52
	s_delay_alu instid0(VALU_DEP_3) | instskip(NEXT) | instid1(VALU_DEP_3)
	v_add_f64_e64 v[66:67], v[66:67], -v[68:69]
	v_add_f64_e32 v[72:73], v[74:75], v[70:71]
	s_delay_alu instid0(VALU_DEP_3) | instskip(NEXT) | instid1(VALU_DEP_3)
	v_mul_f64_e32 v[78:79], 0x3fe62e42fefa39ef, v[76:77]
	v_ldexp_f64 v[66:67], v[66:67], 1
	s_delay_alu instid0(VALU_DEP_3) | instskip(NEXT) | instid1(VALU_DEP_3)
	v_add_f64_e64 v[68:69], v[72:73], -v[74:75]
	v_fma_f64 v[74:75], v[76:77], s[16:17], -v[78:79]
	s_delay_alu instid0(VALU_DEP_2) | instskip(NEXT) | instid1(VALU_DEP_2)
	v_add_f64_e64 v[68:69], v[70:71], -v[68:69]
	v_fmac_f64_e32 v[74:75], 0x3c7abc9e3b39803f, v[76:77]
	v_fmamk_f64 v[70:71], v[62:63], 0x3f00bfecdd17e945, v[8:9]
	s_delay_alu instid0(VALU_DEP_1) | instskip(NEXT) | instid1(VALU_DEP_1)
	v_fmaak_f64 v[70:71], v[62:63], v[70:71], 0x3f9b481c7e939961
	v_fmaak_f64 v[70:71], v[62:63], v[70:71], 0x3fc2bb9cbee5f2f7
	s_delay_alu instid0(VALU_DEP_1) | instskip(NEXT) | instid1(VALU_DEP_1)
	v_fmaak_f64 v[70:71], v[62:63], v[70:71], 0x3fd4d98f4f139f59
	v_fmaak_f64 v[70:71], v[62:63], v[70:71], 0x3fcb848b36e20878
	v_add_f64_e32 v[66:67], v[66:67], v[68:69]
	v_fmamk_f64 v[68:69], v[62:63], 0x3edebaf7a5b38140, v[10:11]
	v_add_f64_e32 v[76:77], v[78:79], v[74:75]
	s_delay_alu instid0(VALU_DEP_4) | instskip(NEXT) | instid1(VALU_DEP_3)
	v_fmaak_f64 v[70:71], v[62:63], v[70:71], 0xbfb3c467e37db0c8
	v_fmaak_f64 v[68:69], v[62:63], v[68:69], 0x3f9317ea742ed475
	s_delay_alu instid0(VALU_DEP_2) | instskip(NEXT) | instid1(VALU_DEP_2)
	v_mul_f64_e32 v[70:71], v[62:63], v[70:71]
	v_fmaak_f64 v[68:69], v[62:63], v[68:69], 0x3fc601edccfbdf27
	s_delay_alu instid0(VALU_DEP_1) | instskip(NEXT) | instid1(VALU_DEP_1)
	v_fmaak_f64 v[68:69], v[62:63], v[68:69], 0x3fe71a1893d3dcdc
	v_fmaak_f64 v[68:69], v[62:63], v[68:69], 0x3ff645a762c4ab74
	v_add_f64_e32 v[80:81], v[72:73], v[66:67]
	v_add_f64_e64 v[78:79], v[76:77], -v[78:79]
	s_delay_alu instid0(VALU_DEP_3) | instskip(NEXT) | instid1(VALU_DEP_3)
	v_fma_f64 v[68:69], v[62:63], v[68:69], 1.0
	v_add_f64_e32 v[82:83], v[76:77], v[80:81]
	v_add_f64_e64 v[72:73], v[80:81], -v[72:73]
	s_delay_alu instid0(VALU_DEP_4) | instskip(NEXT) | instid1(VALU_DEP_4)
	v_add_f64_e64 v[74:75], v[74:75], -v[78:79]
	v_div_scale_f64 v[84:85], null, v[68:69], v[68:69], v[70:71]
	s_delay_alu instid0(VALU_DEP_4) | instskip(NEXT) | instid1(VALU_DEP_4)
	v_add_f64_e64 v[86:87], v[82:83], -v[76:77]
	v_add_f64_e64 v[66:67], v[66:67], -v[72:73]
	s_delay_alu instid0(VALU_DEP_3) | instskip(NEXT) | instid1(VALU_DEP_2)
	v_rcp_f64_e32 v[88:89], v[84:85]
	v_add_f64_e64 v[90:91], v[82:83], -v[86:87]
	v_add_f64_e64 v[72:73], v[80:81], -v[86:87]
	s_delay_alu instid0(VALU_DEP_3) | instskip(SKIP_1) | instid1(TRANS32_DEP_1)
	v_add_f64_e32 v[78:79], v[74:75], v[66:67]
	v_div_scale_f64 v[86:87], vcc_lo, v[70:71], v[68:69], v[70:71]
	v_fma_f64 v[92:93], -v[84:85], v[88:89], 1.0
	v_add_f64_e64 v[76:77], v[76:77], -v[90:91]
	s_delay_alu instid0(VALU_DEP_4) | instskip(NEXT) | instid1(VALU_DEP_3)
	v_add_f64_e64 v[80:81], v[78:79], -v[74:75]
	v_fmac_f64_e32 v[88:89], v[88:89], v[92:93]
	s_delay_alu instid0(VALU_DEP_3) | instskip(NEXT) | instid1(VALU_DEP_3)
	v_add_f64_e32 v[72:73], v[72:73], v[76:77]
	v_add_f64_e64 v[66:67], v[66:67], -v[80:81]
	s_delay_alu instid0(VALU_DEP_3) | instskip(NEXT) | instid1(VALU_DEP_3)
	v_fma_f64 v[76:77], -v[84:85], v[88:89], 1.0
	v_add_f64_e32 v[72:73], v[78:79], v[72:73]
	s_delay_alu instid0(VALU_DEP_2) | instskip(SKIP_1) | instid1(VALU_DEP_3)
	v_fmac_f64_e32 v[88:89], v[88:89], v[76:77]
	v_add_f64_e64 v[76:77], v[78:79], -v[80:81]
	v_add_f64_e32 v[78:79], v[82:83], v[72:73]
	s_delay_alu instid0(VALU_DEP_3) | instskip(NEXT) | instid1(VALU_DEP_3)
	v_mul_f64_e32 v[90:91], v[86:87], v[88:89]
	v_add_f64_e64 v[74:75], v[74:75], -v[76:77]
	s_delay_alu instid0(VALU_DEP_3) | instskip(NEXT) | instid1(VALU_DEP_3)
	v_add_f64_e64 v[76:77], v[78:79], -v[82:83]
	v_fma_f64 v[80:81], -v[84:85], v[90:91], v[86:87]
	s_delay_alu instid0(VALU_DEP_3) | instskip(NEXT) | instid1(VALU_DEP_3)
	v_add_f64_e32 v[66:67], v[66:67], v[74:75]
	v_add_f64_e64 v[72:73], v[72:73], -v[76:77]
	s_delay_alu instid0(VALU_DEP_3) | instskip(SKIP_1) | instid1(VALU_DEP_3)
	v_div_fmas_f64 v[74:75], v[80:81], v[88:89], v[90:91]
	v_cmp_class_f64_e64 vcc_lo, v[64:65], 0x204
	v_add_f64_e32 v[66:67], v[66:67], v[72:73]
	s_delay_alu instid0(VALU_DEP_3) | instskip(NEXT) | instid1(VALU_DEP_2)
	v_div_fixup_f64 v[68:69], v[74:75], v[68:69], v[70:71]
	v_add_f64_e32 v[66:67], v[78:79], v[66:67]
	s_delay_alu instid0(VALU_DEP_2) | instskip(NEXT) | instid1(VALU_DEP_2)
	v_fmac_f64_e32 v[68:69], 0.5, v[62:63]
	v_dual_cndmask_b32 v52, v66, v64, vcc_lo :: v_dual_cndmask_b32 v56, v67, v65, vcc_lo
	v_cmp_ngt_f64_e32 vcc_lo, 0, v[64:65]
	s_delay_alu instid0(VALU_DEP_2) | instskip(SKIP_1) | instid1(VALU_DEP_4)
	v_cndmask_b32_e32 v56, 0x7ff80000, v56, vcc_lo
	v_cmp_nge_f64_e32 vcc_lo, 0, v[64:65]
	v_cndmask_b32_e32 v62, 0, v52, vcc_lo
	v_cmp_neq_f64_e32 vcc_lo, 0, v[64:65]
	s_delay_alu instid0(VALU_DEP_4) | instskip(NEXT) | instid1(VALU_DEP_1)
	v_cndmask_b32_e32 v63, 0xfff00000, v56, vcc_lo
	v_add_f64_e32 v[62:63], v[68:69], v[62:63]
.LBB12_90:                              ;   in Loop: Header=BB12_4 Depth=1
	s_or_b32 exec_lo, exec_lo, s8
.LBB12_91:                              ;   in Loop: Header=BB12_4 Depth=1
	s_and_not1_saveexec_b32 s33, s7
	s_cbranch_execz .LBB12_105
; %bb.92:                               ;   in Loop: Header=BB12_4 Depth=1
                                        ; implicit-def: $vgpr52
                                        ; implicit-def: $vgpr64_vgpr65
	s_mov_b32 s6, exec_lo
	v_cmpx_lt_u32_e32 0x3feccccc, v61
	s_xor_b32 s7, exec_lo, s6
	s_cbranch_execz .LBB12_94
; %bb.93:                               ;   in Loop: Header=BB12_4 Depth=1
	v_add_f64_e64 v[62:63], -|v[48:49]|, 2.0
	v_add_f64_e64 v[64:65], |v[48:49]|, s[18:19]
	v_add_f64_e64 v[66:67], |v[48:49]|, -1.0
	v_cmp_gt_u32_e32 vcc_lo, 0x3ffbb4c3, v61
	v_cmp_gt_u32_e64 s6, 0x3ff3b4c4, v61
	v_cndmask_b32_e64 v60, 0, 1, vcc_lo
	v_dual_cndmask_b32 v52, v62, v64, vcc_lo :: v_dual_cndmask_b32 v56, v63, v65, vcc_lo
	s_delay_alu instid0(VALU_DEP_1) | instskip(NEXT) | instid1(VALU_DEP_2)
	v_cndmask_b32_e64 v64, v52, v66, s6
	v_cndmask_b32_e64 v65, v56, v67, s6
	s_delay_alu instid0(VALU_DEP_4)
	v_cndmask_b32_e64 v52, v60, 2, s6
.LBB12_94:                              ;   in Loop: Header=BB12_4 Depth=1
	s_or_saveexec_b32 s48, s7
	v_mov_b64_e32 v[62:63], 0
	s_xor_b32 exec_lo, exec_lo, s48
	s_cbranch_execz .LBB12_96
; %bb.95:                               ;   in Loop: Header=BB12_4 Depth=1
	v_frexp_mant_f64_e64 v[62:63], |v[48:49]|
	v_cmp_gt_u32_e64 s8, 0x3fcda661, v61
	v_cmp_gt_u32_e64 s7, 0x3fe76944, v61
	v_cmp_neq_f64_e64 s6, 0, v[48:49]
	s_delay_alu instid0(VALU_DEP_4) | instskip(SKIP_1) | instid1(VALU_DEP_1)
	v_cmp_gt_f64_e32 vcc_lo, s[14:15], v[62:63]
	v_cndmask_b32_e64 v52, 0, 1, vcc_lo
	v_ldexp_f64 v[62:63], v[62:63], v52
	v_frexp_exp_i32_f64_e32 v52, v[48:49]
	s_delay_alu instid0(VALU_DEP_2) | instskip(SKIP_1) | instid1(VALU_DEP_3)
	v_add_f64_e32 v[64:65], 1.0, v[62:63]
	v_add_f64_e32 v[70:71], -1.0, v[62:63]
	v_subrev_co_ci_u32_e64 v52, null, 0, v52, vcc_lo
	v_cmp_neq_f64_e64 vcc_lo, 0x7ff00000, |v[48:49]|
	s_delay_alu instid0(VALU_DEP_4) | instskip(SKIP_1) | instid1(VALU_DEP_1)
	v_rcp_f64_e32 v[66:67], v[64:65]
	v_add_f64_e32 v[72:73], -1.0, v[64:65]
	v_add_f64_e64 v[62:63], v[62:63], -v[72:73]
	s_delay_alu instid0(TRANS32_DEP_1) | instskip(NEXT) | instid1(VALU_DEP_1)
	v_fma_f64 v[68:69], -v[64:65], v[66:67], 1.0
	v_fmac_f64_e32 v[66:67], v[68:69], v[66:67]
	s_delay_alu instid0(VALU_DEP_1) | instskip(NEXT) | instid1(VALU_DEP_1)
	v_fma_f64 v[68:69], -v[64:65], v[66:67], 1.0
	v_fmac_f64_e32 v[66:67], v[68:69], v[66:67]
	s_delay_alu instid0(VALU_DEP_1) | instskip(NEXT) | instid1(VALU_DEP_1)
	v_mul_f64_e32 v[68:69], v[70:71], v[66:67]
	v_mul_f64_e32 v[74:75], v[64:65], v[68:69]
	s_delay_alu instid0(VALU_DEP_1) | instskip(NEXT) | instid1(VALU_DEP_1)
	v_fma_f64 v[64:65], v[68:69], v[64:65], -v[74:75]
	v_fmac_f64_e32 v[64:65], v[68:69], v[62:63]
	s_delay_alu instid0(VALU_DEP_1) | instskip(NEXT) | instid1(VALU_DEP_1)
	v_add_f64_e32 v[62:63], v[74:75], v[64:65]
	v_add_f64_e64 v[72:73], v[70:71], -v[62:63]
	v_add_f64_e64 v[74:75], v[62:63], -v[74:75]
	s_delay_alu instid0(VALU_DEP_2) | instskip(NEXT) | instid1(VALU_DEP_2)
	v_add_f64_e64 v[70:71], v[70:71], -v[72:73]
	v_add_f64_e64 v[64:65], v[74:75], -v[64:65]
	s_delay_alu instid0(VALU_DEP_2) | instskip(NEXT) | instid1(VALU_DEP_1)
	v_add_f64_e64 v[62:63], v[70:71], -v[62:63]
	v_add_f64_e32 v[62:63], v[64:65], v[62:63]
	s_delay_alu instid0(VALU_DEP_1) | instskip(NEXT) | instid1(VALU_DEP_1)
	v_add_f64_e32 v[62:63], v[72:73], v[62:63]
	v_mul_f64_e32 v[62:63], v[66:67], v[62:63]
	s_delay_alu instid0(VALU_DEP_1) | instskip(NEXT) | instid1(VALU_DEP_1)
	v_add_f64_e32 v[64:65], v[68:69], v[62:63]
	v_mul_f64_e32 v[66:67], v[64:65], v[64:65]
	s_delay_alu instid0(VALU_DEP_1) | instskip(SKIP_1) | instid1(VALU_DEP_2)
	v_fmamk_f64 v[70:71], v[66:67], 0x3fc3ab76bf559e2b, v[4:5]
	v_mul_f64_e32 v[72:73], v[64:65], v[66:67]
	v_fmaak_f64 v[70:71], v[66:67], v[70:71], 0x3fc7474dd7f4df2e
	s_delay_alu instid0(VALU_DEP_1) | instskip(NEXT) | instid1(VALU_DEP_1)
	v_fmaak_f64 v[70:71], v[66:67], v[70:71], 0x3fcc71c016291751
	v_fmaak_f64 v[70:71], v[66:67], v[70:71], 0x3fd249249b27acf1
	s_delay_alu instid0(VALU_DEP_1) | instskip(NEXT) | instid1(VALU_DEP_1)
	v_fmaak_f64 v[70:71], v[66:67], v[70:71], 0x3fd99999998ef7b6
	v_fmaak_f64 v[66:67], v[66:67], v[70:71], 0x3fe5555555555780
	v_ldexp_f64 v[70:71], v[64:65], 1
	v_add_f64_e64 v[64:65], v[64:65], -v[68:69]
	s_delay_alu instid0(VALU_DEP_3) | instskip(SKIP_1) | instid1(VALU_DEP_3)
	v_mul_f64_e32 v[66:67], v[72:73], v[66:67]
	v_cvt_f64_i32_e32 v[72:73], v52
	v_add_f64_e64 v[62:63], v[62:63], -v[64:65]
	s_delay_alu instid0(VALU_DEP_3) | instskip(NEXT) | instid1(VALU_DEP_3)
	v_add_f64_e32 v[68:69], v[70:71], v[66:67]
	v_mul_f64_e32 v[74:75], 0x3fe62e42fefa39ef, v[72:73]
	s_delay_alu instid0(VALU_DEP_3) | instskip(NEXT) | instid1(VALU_DEP_3)
	v_ldexp_f64 v[62:63], v[62:63], 1
	v_add_f64_e64 v[64:65], v[68:69], -v[70:71]
	s_delay_alu instid0(VALU_DEP_3) | instskip(NEXT) | instid1(VALU_DEP_2)
	v_fma_f64 v[70:71], v[72:73], s[16:17], -v[74:75]
	v_add_f64_e64 v[64:65], v[66:67], -v[64:65]
	s_delay_alu instid0(VALU_DEP_2) | instskip(NEXT) | instid1(VALU_DEP_2)
	v_fmac_f64_e32 v[70:71], 0x3c7abc9e3b39803f, v[72:73]
	v_add_f64_e32 v[62:63], v[62:63], v[64:65]
	s_delay_alu instid0(VALU_DEP_2) | instskip(NEXT) | instid1(VALU_DEP_2)
	v_add_f64_e32 v[64:65], v[74:75], v[70:71]
	v_add_f64_e32 v[66:67], v[68:69], v[62:63]
	s_delay_alu instid0(VALU_DEP_2) | instskip(NEXT) | instid1(VALU_DEP_2)
	v_add_f64_e64 v[74:75], v[64:65], -v[74:75]
	v_add_f64_e32 v[72:73], v[64:65], v[66:67]
	v_add_f64_e64 v[68:69], v[66:67], -v[68:69]
	s_delay_alu instid0(VALU_DEP_3) | instskip(NEXT) | instid1(VALU_DEP_3)
	v_add_f64_e64 v[70:71], v[70:71], -v[74:75]
	v_add_f64_e64 v[76:77], v[72:73], -v[64:65]
	s_delay_alu instid0(VALU_DEP_3) | instskip(NEXT) | instid1(VALU_DEP_2)
	v_add_f64_e64 v[62:63], v[62:63], -v[68:69]
	v_add_f64_e64 v[78:79], v[72:73], -v[76:77]
	;; [unrolled: 1-line block ×3, first 2 shown]
	s_delay_alu instid0(VALU_DEP_3) | instskip(NEXT) | instid1(VALU_DEP_3)
	v_add_f64_e32 v[68:69], v[70:71], v[62:63]
	v_add_f64_e64 v[64:65], v[64:65], -v[78:79]
	s_delay_alu instid0(VALU_DEP_1) | instskip(NEXT) | instid1(VALU_DEP_3)
	v_add_f64_e32 v[64:65], v[66:67], v[64:65]
	v_add_f64_e64 v[66:67], v[68:69], -v[70:71]
	s_delay_alu instid0(VALU_DEP_2) | instskip(NEXT) | instid1(VALU_DEP_2)
	v_add_f64_e32 v[64:65], v[68:69], v[64:65]
	v_add_f64_e64 v[68:69], v[68:69], -v[66:67]
	v_add_f64_e64 v[62:63], v[62:63], -v[66:67]
	s_delay_alu instid0(VALU_DEP_3) | instskip(NEXT) | instid1(VALU_DEP_3)
	v_add_f64_e32 v[74:75], v[72:73], v[64:65]
	v_add_f64_e64 v[66:67], v[70:71], -v[68:69]
	s_delay_alu instid0(VALU_DEP_2) | instskip(NEXT) | instid1(VALU_DEP_2)
	v_add_f64_e64 v[68:69], v[74:75], -v[72:73]
	v_add_f64_e32 v[62:63], v[62:63], v[66:67]
	v_add_f64_e64 v[66:67], |v[48:49]|, s[20:21]
	s_delay_alu instid0(VALU_DEP_3) | instskip(NEXT) | instid1(VALU_DEP_1)
	v_add_f64_e64 v[64:65], v[64:65], -v[68:69]
	v_add_f64_e32 v[62:63], v[62:63], v[64:65]
	v_add_f64_e64 v[64:65], -|v[48:49]|, 1.0
	s_delay_alu instid0(VALU_DEP_2) | instskip(NEXT) | instid1(VALU_DEP_2)
	v_add_f64_e32 v[62:63], v[74:75], v[62:63]
	v_dual_cndmask_b32 v56, v64, v66, s7 :: v_dual_cndmask_b32 v60, v65, v67, s7
	v_cndmask_b32_e64 v66, 0, 1, s7
	s_delay_alu instid0(VALU_DEP_2) | instskip(NEXT) | instid1(VALU_DEP_3)
	v_cndmask_b32_e64 v64, v56, v48, s8
	v_cndmask_b32_e64 v65, v60, v61, s8
	v_xor_b32_e32 v52, 0x80000000, v63
	s_delay_alu instid0(VALU_DEP_1) | instskip(SKIP_2) | instid1(VALU_DEP_2)
	v_cndmask_b32_e32 v52, 0xfff00000, v52, vcc_lo
	s_and_b32 vcc_lo, s6, vcc_lo
	v_cndmask_b32_e32 v62, 0, v62, vcc_lo
	v_cndmask_b32_e64 v63, 0x7ff00000, v52, s6
	v_cndmask_b32_e64 v52, v66, 2, s8
.LBB12_96:                              ;   in Loop: Header=BB12_4 Depth=1
	s_or_b32 exec_lo, exec_lo, s48
	s_delay_alu instid0(SALU_CYCLE_1) | instskip(NEXT) | instid1(VALU_DEP_1)
	s_mov_b32 s6, exec_lo
                                        ; implicit-def: $vgpr66_vgpr67
	v_cmpx_lt_i32_e32 1, v52
	s_xor_b32 s6, exec_lo, s6
	s_cbranch_execz .LBB12_98
; %bb.97:                               ;   in Loop: Header=BB12_4 Depth=1
	v_fmamk_f64 v[66:67], v[64:65], 0x3f8b678bbf2bab09, v[12:13]
	v_fmamk_f64 v[68:69], v[64:65], 0x3f6a5abb57d0cf61, v[14:15]
                                        ; implicit-def: $vgpr52
	s_delay_alu instid0(VALU_DEP_2) | instskip(NEXT) | instid1(VALU_DEP_2)
	v_fmaak_f64 v[66:67], v[64:65], v[66:67], 0x3fef497644ea8450
	v_fmaak_f64 v[68:69], v[64:65], v[68:69], 0x3fe89dfbe45050af
	s_delay_alu instid0(VALU_DEP_2) | instskip(NEXT) | instid1(VALU_DEP_2)
	v_fmaak_f64 v[66:67], v[64:65], v[66:67], 0x3ff7475cd119bd6f
	v_fmaak_f64 v[68:69], v[64:65], v[68:69], 0x40010725a42b18f5
	;; [unrolled: 3-line block ×3, first 2 shown]
	s_delay_alu instid0(VALU_DEP_2) | instskip(NEXT) | instid1(VALU_DEP_2)
	v_fmaak_f64 v[66:67], v[64:65], v[66:67], 0xbfb3c467e37db0c8
	v_fma_f64 v[68:69], v[64:65], v[68:69], 1.0
	s_delay_alu instid0(VALU_DEP_2) | instskip(NEXT) | instid1(VALU_DEP_1)
	v_mul_f64_e32 v[66:67], v[64:65], v[66:67]
	v_div_scale_f64 v[70:71], null, v[68:69], v[68:69], v[66:67]
	s_delay_alu instid0(VALU_DEP_1) | instskip(SKIP_1) | instid1(TRANS32_DEP_1)
	v_rcp_f64_e32 v[72:73], v[70:71]
	v_nop
	v_fma_f64 v[74:75], -v[70:71], v[72:73], 1.0
	s_delay_alu instid0(VALU_DEP_1) | instskip(NEXT) | instid1(VALU_DEP_1)
	v_fmac_f64_e32 v[72:73], v[72:73], v[74:75]
	v_fma_f64 v[74:75], -v[70:71], v[72:73], 1.0
	s_delay_alu instid0(VALU_DEP_1) | instskip(SKIP_1) | instid1(VALU_DEP_1)
	v_fmac_f64_e32 v[72:73], v[72:73], v[74:75]
	v_div_scale_f64 v[74:75], vcc_lo, v[66:67], v[68:69], v[66:67]
	v_mul_f64_e32 v[76:77], v[74:75], v[72:73]
	s_delay_alu instid0(VALU_DEP_1) | instskip(NEXT) | instid1(VALU_DEP_1)
	v_fma_f64 v[70:71], -v[70:71], v[76:77], v[74:75]
	v_div_fmas_f64 v[70:71], v[70:71], v[72:73], v[76:77]
	s_delay_alu instid0(VALU_DEP_1) | instskip(NEXT) | instid1(VALU_DEP_1)
	v_div_fixup_f64 v[66:67], v[70:71], v[68:69], v[66:67]
	v_fmac_f64_e32 v[66:67], -0.5, v[64:65]
                                        ; implicit-def: $vgpr64_vgpr65
.LBB12_98:                              ;   in Loop: Header=BB12_4 Depth=1
	s_and_not1_saveexec_b32 s6, s6
	s_cbranch_execz .LBB12_104
; %bb.99:                               ;   in Loop: Header=BB12_4 Depth=1
	v_mul_f64_e32 v[68:69], v[64:65], v[64:65]
	s_mov_b32 s7, exec_lo
                                        ; implicit-def: $vgpr66_vgpr67
	v_cmpx_ne_u32_e32 1, v52
	s_xor_b32 s7, exec_lo, s7
	s_cbranch_execz .LBB12_101
; %bb.100:                              ;   in Loop: Header=BB12_4 Depth=1
	s_delay_alu instid0(VALU_DEP_2) | instskip(SKIP_1) | instid1(VALU_DEP_2)
	v_fmamk_f64 v[66:67], v[68:69], 0x3f07858e90a45837, v[28:29]
	v_fmamk_f64 v[70:71], v[68:69], 0x3efa7074428cfa52, v[26:27]
	v_fmaak_f64 v[66:67], v[68:69], v[66:67], 0x3f40b6c689b99c00
	s_delay_alu instid0(VALU_DEP_2) | instskip(NEXT) | instid1(VALU_DEP_2)
	v_fmaak_f64 v[70:71], v[68:69], v[70:71], 0x3f538a94116f3f5d
	v_fmaak_f64 v[66:67], v[68:69], v[66:67], 0x3f67add8ccb7926b
	s_delay_alu instid0(VALU_DEP_2) | instskip(NEXT) | instid1(VALU_DEP_2)
	v_fmaak_f64 v[70:71], v[68:69], v[70:71], 0x3f7e404fb68fefe8
	;; [unrolled: 3-line block ×3, first 2 shown]
	v_fmaak_f64 v[66:67], v[68:69], v[66:67], 0x3fd4a34cc4a60fad
	s_delay_alu instid0(VALU_DEP_1) | instskip(NEXT) | instid1(VALU_DEP_3)
	v_mul_f64_e32 v[66:67], v[68:69], v[66:67]
	v_fmaak_f64 v[68:69], v[68:69], v[70:71], 0x3fb3c467e37db0c8
	s_delay_alu instid0(VALU_DEP_1) | instskip(NEXT) | instid1(VALU_DEP_1)
	v_fmac_f64_e32 v[66:67], v[64:65], v[68:69]
                                        ; implicit-def: $vgpr68_vgpr69
	v_fmac_f64_e32 v[66:67], -0.5, v[64:65]
                                        ; implicit-def: $vgpr64_vgpr65
.LBB12_101:                             ;   in Loop: Header=BB12_4 Depth=1
	s_and_not1_saveexec_b32 s7, s7
	s_cbranch_execz .LBB12_103
; %bb.102:                              ;   in Loop: Header=BB12_4 Depth=1
	s_delay_alu instid0(VALU_DEP_2) | instskip(NEXT) | instid1(VALU_DEP_1)
	v_mul_f64_e32 v[66:67], v[64:65], v[68:69]
	v_fmamk_f64 v[70:71], v[66:67], 0xbf347f24ecc38c38, v[32:33]
	v_fmamk_f64 v[72:73], v[66:67], 0x3f35fd3ee8c2d3f4, v[34:35]
	s_delay_alu instid0(VALU_DEP_2) | instskip(NEXT) | instid1(VALU_DEP_2)
	v_fmaak_f64 v[70:71], v[66:67], v[70:71], 0xbf6e2effb3e914d7
	v_fmaak_f64 v[72:73], v[66:67], v[72:73], 0x3f6282d32e15c915
	s_delay_alu instid0(VALU_DEP_2) | instskip(NEXT) | instid1(VALU_DEP_2)
	v_fmaak_f64 v[70:71], v[66:67], v[70:71], 0x3f9266e7970af9ec
	v_fmaak_f64 v[72:73], v[66:67], v[72:73], 0xbf851f9fba91ec6a
	;; [unrolled: 3-line block ×3, first 2 shown]
	s_delay_alu instid0(VALU_DEP_1) | instskip(NEXT) | instid1(VALU_DEP_1)
	v_fmac_f64_e32 v[70:71], v[64:65], v[72:73]
	v_fma_f64 v[64:65], v[66:67], -v[70:71], s[26:27]
	v_fmamk_f64 v[70:71], v[66:67], 0x3f34af6d6c0ebbf7, v[30:31]
	s_delay_alu instid0(VALU_DEP_1) | instskip(NEXT) | instid1(VALU_DEP_1)
	v_fmaak_f64 v[70:71], v[66:67], v[70:71], 0x3f78fce0e370e344
	v_fmaak_f64 v[70:71], v[66:67], v[70:71], 0xbfa0c9a8df35b713
	s_delay_alu instid0(VALU_DEP_1) | instskip(NEXT) | instid1(VALU_DEP_1)
	v_fmaak_f64 v[66:67], v[66:67], v[70:71], 0x3fdef72bc8ee38a2
	v_fma_f64 v[64:65], v[68:69], v[66:67], -v[64:65]
	s_delay_alu instid0(VALU_DEP_1)
	v_add_f64_e32 v[66:67], 0xbfbf19b9bcc38a42, v[64:65]
.LBB12_103:                             ;   in Loop: Header=BB12_4 Depth=1
	s_or_b32 exec_lo, exec_lo, s7
.LBB12_104:                             ;   in Loop: Header=BB12_4 Depth=1
	s_delay_alu instid0(SALU_CYCLE_1) | instskip(NEXT) | instid1(VALU_DEP_1)
	s_or_b32 exec_lo, exec_lo, s6
	v_add_f64_e32 v[62:63], v[62:63], v[66:67]
.LBB12_105:                             ;   in Loop: Header=BB12_4 Depth=1
	s_or_b32 exec_lo, exec_lo, s33
.LBB12_106:                             ;   in Loop: Header=BB12_4 Depth=1
	s_and_not1_saveexec_b32 s7, s9
	s_cbranch_execz .LBB12_108
; %bb.107:                              ;   in Loop: Header=BB12_4 Depth=1
	v_frexp_mant_f64_e64 v[62:63], |v[48:49]|
	v_cmp_neq_f64_e64 s6, 0, v[48:49]
	s_delay_alu instid0(VALU_DEP_2) | instskip(SKIP_1) | instid1(VALU_DEP_1)
	v_cmp_gt_f64_e32 vcc_lo, s[14:15], v[62:63]
	v_cndmask_b32_e64 v52, 0, 1, vcc_lo
	v_ldexp_f64 v[62:63], v[62:63], v52
	v_frexp_exp_i32_f64_e32 v52, v[48:49]
	s_delay_alu instid0(VALU_DEP_2) | instskip(SKIP_1) | instid1(VALU_DEP_3)
	v_add_f64_e32 v[64:65], 1.0, v[62:63]
	v_add_f64_e32 v[70:71], -1.0, v[62:63]
	v_subrev_co_ci_u32_e64 v52, null, 0, v52, vcc_lo
	v_cmp_neq_f64_e64 vcc_lo, 0x7ff00000, |v[48:49]|
	s_delay_alu instid0(VALU_DEP_4) | instskip(SKIP_1) | instid1(VALU_DEP_1)
	v_rcp_f64_e32 v[66:67], v[64:65]
	v_add_f64_e32 v[72:73], -1.0, v[64:65]
	v_add_f64_e64 v[62:63], v[62:63], -v[72:73]
	s_delay_alu instid0(TRANS32_DEP_1) | instskip(NEXT) | instid1(VALU_DEP_1)
	v_fma_f64 v[68:69], -v[64:65], v[66:67], 1.0
	v_fmac_f64_e32 v[66:67], v[68:69], v[66:67]
	s_delay_alu instid0(VALU_DEP_1) | instskip(NEXT) | instid1(VALU_DEP_1)
	v_fma_f64 v[68:69], -v[64:65], v[66:67], 1.0
	v_fmac_f64_e32 v[66:67], v[68:69], v[66:67]
	s_delay_alu instid0(VALU_DEP_1) | instskip(NEXT) | instid1(VALU_DEP_1)
	v_mul_f64_e32 v[68:69], v[70:71], v[66:67]
	v_mul_f64_e32 v[74:75], v[64:65], v[68:69]
	s_delay_alu instid0(VALU_DEP_1) | instskip(NEXT) | instid1(VALU_DEP_1)
	v_fma_f64 v[64:65], v[68:69], v[64:65], -v[74:75]
	v_fmac_f64_e32 v[64:65], v[68:69], v[62:63]
	s_delay_alu instid0(VALU_DEP_1) | instskip(NEXT) | instid1(VALU_DEP_1)
	v_add_f64_e32 v[62:63], v[74:75], v[64:65]
	v_add_f64_e64 v[72:73], v[70:71], -v[62:63]
	v_add_f64_e64 v[74:75], v[62:63], -v[74:75]
	s_delay_alu instid0(VALU_DEP_2) | instskip(NEXT) | instid1(VALU_DEP_2)
	v_add_f64_e64 v[70:71], v[70:71], -v[72:73]
	v_add_f64_e64 v[64:65], v[74:75], -v[64:65]
	s_delay_alu instid0(VALU_DEP_2) | instskip(NEXT) | instid1(VALU_DEP_1)
	v_add_f64_e64 v[62:63], v[70:71], -v[62:63]
	v_add_f64_e32 v[62:63], v[64:65], v[62:63]
	s_delay_alu instid0(VALU_DEP_1) | instskip(NEXT) | instid1(VALU_DEP_1)
	v_add_f64_e32 v[62:63], v[72:73], v[62:63]
	v_mul_f64_e32 v[62:63], v[66:67], v[62:63]
	s_delay_alu instid0(VALU_DEP_1) | instskip(NEXT) | instid1(VALU_DEP_1)
	v_add_f64_e32 v[64:65], v[68:69], v[62:63]
	v_mul_f64_e32 v[66:67], v[64:65], v[64:65]
	s_delay_alu instid0(VALU_DEP_1) | instskip(SKIP_1) | instid1(VALU_DEP_2)
	v_fmamk_f64 v[70:71], v[66:67], 0x3fc3ab76bf559e2b, v[4:5]
	v_mul_f64_e32 v[72:73], v[64:65], v[66:67]
	v_fmaak_f64 v[70:71], v[66:67], v[70:71], 0x3fc7474dd7f4df2e
	s_delay_alu instid0(VALU_DEP_1) | instskip(NEXT) | instid1(VALU_DEP_1)
	v_fmaak_f64 v[70:71], v[66:67], v[70:71], 0x3fcc71c016291751
	v_fmaak_f64 v[70:71], v[66:67], v[70:71], 0x3fd249249b27acf1
	s_delay_alu instid0(VALU_DEP_1) | instskip(NEXT) | instid1(VALU_DEP_1)
	v_fmaak_f64 v[70:71], v[66:67], v[70:71], 0x3fd99999998ef7b6
	v_fmaak_f64 v[66:67], v[66:67], v[70:71], 0x3fe5555555555780
	v_ldexp_f64 v[70:71], v[64:65], 1
	v_add_f64_e64 v[64:65], v[64:65], -v[68:69]
	s_delay_alu instid0(VALU_DEP_3) | instskip(SKIP_1) | instid1(VALU_DEP_3)
	v_mul_f64_e32 v[66:67], v[72:73], v[66:67]
	v_cvt_f64_i32_e32 v[72:73], v52
	v_add_f64_e64 v[62:63], v[62:63], -v[64:65]
	s_delay_alu instid0(VALU_DEP_3) | instskip(NEXT) | instid1(VALU_DEP_3)
	v_add_f64_e32 v[68:69], v[70:71], v[66:67]
	v_mul_f64_e32 v[74:75], 0x3fe62e42fefa39ef, v[72:73]
	s_delay_alu instid0(VALU_DEP_3) | instskip(NEXT) | instid1(VALU_DEP_3)
	v_ldexp_f64 v[62:63], v[62:63], 1
	v_add_f64_e64 v[64:65], v[68:69], -v[70:71]
	s_delay_alu instid0(VALU_DEP_3) | instskip(NEXT) | instid1(VALU_DEP_2)
	v_fma_f64 v[70:71], v[72:73], s[16:17], -v[74:75]
	v_add_f64_e64 v[64:65], v[66:67], -v[64:65]
	s_delay_alu instid0(VALU_DEP_2) | instskip(NEXT) | instid1(VALU_DEP_2)
	v_fmac_f64_e32 v[70:71], 0x3c7abc9e3b39803f, v[72:73]
	v_add_f64_e32 v[62:63], v[62:63], v[64:65]
	s_delay_alu instid0(VALU_DEP_2) | instskip(NEXT) | instid1(VALU_DEP_2)
	v_add_f64_e32 v[64:65], v[74:75], v[70:71]
	v_add_f64_e32 v[66:67], v[68:69], v[62:63]
	s_delay_alu instid0(VALU_DEP_2) | instskip(NEXT) | instid1(VALU_DEP_2)
	v_add_f64_e64 v[74:75], v[64:65], -v[74:75]
	v_add_f64_e32 v[72:73], v[64:65], v[66:67]
	v_add_f64_e64 v[68:69], v[66:67], -v[68:69]
	s_delay_alu instid0(VALU_DEP_3) | instskip(NEXT) | instid1(VALU_DEP_3)
	v_add_f64_e64 v[70:71], v[70:71], -v[74:75]
	v_add_f64_e64 v[76:77], v[72:73], -v[64:65]
	s_delay_alu instid0(VALU_DEP_3) | instskip(NEXT) | instid1(VALU_DEP_2)
	v_add_f64_e64 v[62:63], v[62:63], -v[68:69]
	v_add_f64_e64 v[78:79], v[72:73], -v[76:77]
	;; [unrolled: 1-line block ×3, first 2 shown]
	s_delay_alu instid0(VALU_DEP_3) | instskip(NEXT) | instid1(VALU_DEP_3)
	v_add_f64_e32 v[68:69], v[70:71], v[62:63]
	v_add_f64_e64 v[64:65], v[64:65], -v[78:79]
	s_delay_alu instid0(VALU_DEP_1) | instskip(NEXT) | instid1(VALU_DEP_3)
	v_add_f64_e32 v[64:65], v[66:67], v[64:65]
	v_add_f64_e64 v[66:67], v[68:69], -v[70:71]
	s_delay_alu instid0(VALU_DEP_2) | instskip(NEXT) | instid1(VALU_DEP_2)
	v_add_f64_e32 v[64:65], v[68:69], v[64:65]
	v_add_f64_e64 v[68:69], v[68:69], -v[66:67]
	v_add_f64_e64 v[62:63], v[62:63], -v[66:67]
	s_delay_alu instid0(VALU_DEP_3) | instskip(NEXT) | instid1(VALU_DEP_3)
	v_add_f64_e32 v[74:75], v[72:73], v[64:65]
	v_add_f64_e64 v[66:67], v[70:71], -v[68:69]
	s_delay_alu instid0(VALU_DEP_2) | instskip(NEXT) | instid1(VALU_DEP_2)
	v_add_f64_e64 v[68:69], v[74:75], -v[72:73]
	v_add_f64_e32 v[62:63], v[62:63], v[66:67]
	v_fma_f64 v[66:67], |v[48:49]|, s[30:31], s[28:29]
	s_delay_alu instid0(VALU_DEP_3) | instskip(NEXT) | instid1(VALU_DEP_1)
	v_add_f64_e64 v[64:65], v[64:65], -v[68:69]
	v_add_f64_e32 v[62:63], v[62:63], v[64:65]
	s_delay_alu instid0(VALU_DEP_3) | instskip(NEXT) | instid1(VALU_DEP_2)
	v_fma_f64 v[64:65], |v[48:49]|, v[66:67], s[34:35]
	v_add_f64_e32 v[62:63], v[74:75], v[62:63]
	s_delay_alu instid0(VALU_DEP_2) | instskip(NEXT) | instid1(VALU_DEP_2)
	v_fma_f64 v[64:65], |v[48:49]|, v[64:65], s[36:37]
	v_xor_b32_e32 v52, 0x80000000, v63
	s_delay_alu instid0(VALU_DEP_2) | instskip(NEXT) | instid1(VALU_DEP_2)
	v_fma_f64 v[64:65], |v[48:49]|, v[64:65], s[38:39]
	v_cndmask_b32_e32 v52, 0xfff00000, v52, vcc_lo
	s_and_b32 vcc_lo, s6, vcc_lo
	v_cndmask_b32_e32 v62, 0, v62, vcc_lo
	s_delay_alu instid0(VALU_DEP_2) | instskip(NEXT) | instid1(VALU_DEP_1)
	v_cndmask_b32_e64 v63, 0x7ff00000, v52, s6
	v_fma_f64 v[62:63], |v[48:49]|, v[64:65], v[62:63]
.LBB12_108:                             ;   in Loop: Header=BB12_4 Depth=1
	s_or_b32 exec_lo, exec_lo, s7
	s_delay_alu instid0(SALU_CYCLE_1)
	s_mov_b32 s6, exec_lo
	v_cmpx_le_f64_e32 0, v[48:49]
	s_xor_b32 s7, exec_lo, s6
	s_cbranch_execz .LBB12_110
; %bb.109:                              ;   in Loop: Header=BB12_4 Depth=1
	v_cmp_eq_f64_e32 vcc_lo, 1.0, v[48:49]
	v_cmp_eq_f64_e64 s6, 2.0, v[48:49]
	s_or_b32 s6, vcc_lo, s6
	s_delay_alu instid0(SALU_CYCLE_1)
	v_cndmask_b32_e64 v63, v63, 0, s6
	v_cndmask_b32_e64 v62, v62, 0, s6
.LBB12_110:                             ;   in Loop: Header=BB12_4 Depth=1
	s_and_not1_saveexec_b32 s7, s7
	s_cbranch_execz .LBB12_114
; %bb.111:                              ;   in Loop: Header=BB12_4 Depth=1
	v_add_nc_u32_e32 v52, 0xc32fffff, v61
	s_mov_b32 s8, exec_lo
	s_delay_alu instid0(VALU_DEP_1)
	v_cmpx_gt_u32_e32 0x65fffff, v52
	s_cbranch_execz .LBB12_113
; %bb.112:                              ;   in Loop: Header=BB12_4 Depth=1
	v_mul_f64_e64 v[64:65], |v[48:49]|, 0.5
	v_cmp_class_f64_e64 s6, v[48:49], 0x1f8
	s_delay_alu instid0(VALU_DEP_2) | instskip(SKIP_1) | instid1(VALU_DEP_2)
	v_fract_f64_e32 v[66:67], v[64:65]
	v_cmp_neq_f64_e64 vcc_lo, 0x7ff00000, |v[64:65]|
	v_add_f64_e32 v[66:67], v[66:67], v[66:67]
	s_delay_alu instid0(VALU_DEP_1) | instskip(SKIP_1) | instid1(VALU_DEP_2)
	v_dual_cndmask_b32 v52, 0, v66, vcc_lo :: v_dual_cndmask_b32 v56, 0, v67, vcc_lo
	v_cmp_gt_f64_e64 vcc_lo, |v[48:49]|, 1.0
	v_cndmask_b32_e32 v65, v61, v56, vcc_lo
	s_delay_alu instid0(VALU_DEP_3) | instskip(NEXT) | instid1(VALU_DEP_1)
	v_cndmask_b32_e32 v64, v48, v52, vcc_lo
	v_add_f64_e32 v[66:67], v[64:65], v[64:65]
	s_delay_alu instid0(VALU_DEP_1) | instskip(NEXT) | instid1(VALU_DEP_1)
	v_rndne_f64_e32 v[66:67], v[66:67]
	v_cvt_i32_f64_e32 v52, v[66:67]
	s_delay_alu instid0(VALU_DEP_1) | instskip(SKIP_2) | instid1(VALU_DEP_3)
	v_and_b32_e32 v56, 1, v52
	v_fmac_f64_e32 v[64:65], -0.5, v[66:67]
	v_lshlrev_b32_e32 v52, 30, v52
	v_cmp_eq_u32_e32 vcc_lo, 0, v56
	s_delay_alu instid0(VALU_DEP_3) | instskip(NEXT) | instid1(VALU_DEP_1)
	v_mul_f64_e32 v[68:69], v[64:65], v[64:65]
	v_fmamk_f64 v[70:71], v[68:69], 0x3f3e357ef99eb0bb, v[36:37]
	v_mul_f64_e32 v[72:73], v[64:65], v[68:69]
	v_fmamk_f64 v[74:75], v[68:69], 0xbf1b167302e21c33, v[38:39]
	s_delay_alu instid0(VALU_DEP_3) | instskip(NEXT) | instid1(VALU_DEP_2)
	v_fmaak_f64 v[70:71], v[68:69], v[70:71], 0x3fb50782d5f14825
	v_fmaak_f64 v[74:75], v[68:69], v[74:75], 0xbf9a6d1e7294bff9
	s_delay_alu instid0(VALU_DEP_2) | instskip(NEXT) | instid1(VALU_DEP_1)
	v_fmaak_f64 v[70:71], v[68:69], v[70:71], 0xbfe32d2ccdfe9424
	v_fmaak_f64 v[70:71], v[68:69], v[70:71], 0x400466bc67754fff
	s_delay_alu instid0(VALU_DEP_1) | instskip(NEXT) | instid1(VALU_DEP_1)
	v_fmaak_f64 v[70:71], v[68:69], v[70:71], 0xc014abbce625be09
	v_mul_f64_e32 v[70:71], v[72:73], v[70:71]
	v_fmaak_f64 v[72:73], v[68:69], v[74:75], 0x3fce1f5067b90b37
	s_delay_alu instid0(VALU_DEP_1) | instskip(NEXT) | instid1(VALU_DEP_1)
	v_fmaak_f64 v[72:73], v[68:69], v[72:73], 0xbff55d3c7e3c325b
	v_fmaak_f64 v[72:73], v[68:69], v[72:73], 0x40103c1f081b5a67
	s_delay_alu instid0(VALU_DEP_1) | instskip(NEXT) | instid1(VALU_DEP_1)
	v_fmaak_f64 v[72:73], v[68:69], v[72:73], 0xc013bd3cc9be45de
	v_fma_f64 v[66:67], v[68:69], v[72:73], 1.0
	v_fmac_f64_e32 v[70:71], 0x400921fb54442d18, v[64:65]
	s_delay_alu instid0(VALU_DEP_1) | instskip(NEXT) | instid1(VALU_DEP_1)
	v_dual_cndmask_b32 v56, v66, v70, vcc_lo :: v_dual_bitop2_b32 v52, v52, v49 bitop3:0x14
	v_dual_cndmask_b32 v60, v67, v71, vcc_lo :: v_dual_cndmask_b32 v64, 0, v56, s6
	s_delay_alu instid0(VALU_DEP_1) | instskip(NEXT) | instid1(VALU_DEP_1)
	v_bitop3_b32 v52, v60, v52, 0x80000000 bitop3:0x78
	v_cndmask_b32_e64 v65, 0x7ff80000, v52, s6
	v_cmp_class_f64_e64 s6, v[48:49], 0x204
	s_delay_alu instid0(VALU_DEP_2) | instskip(NEXT) | instid1(VALU_DEP_1)
	v_mul_f64_e32 v[64:65], v[48:49], v[64:65]
	v_and_b32_e32 v67, 0x7fffffff, v65
	s_delay_alu instid0(VALU_DEP_2) | instskip(NEXT) | instid1(VALU_DEP_1)
	v_mov_b32_e32 v66, v64
	v_div_scale_f64 v[68:69], null, v[66:67], v[66:67], s[40:41]
	v_div_scale_f64 v[66:67], vcc_lo, s[40:41], v[66:67], s[40:41]
	s_delay_alu instid0(VALU_DEP_2) | instskip(SKIP_1) | instid1(TRANS32_DEP_1)
	v_rcp_f64_e32 v[70:71], v[68:69]
	v_nop
	v_fma_f64 v[72:73], -v[68:69], v[70:71], 1.0
	s_delay_alu instid0(VALU_DEP_1) | instskip(NEXT) | instid1(VALU_DEP_1)
	v_fmac_f64_e32 v[70:71], v[70:71], v[72:73]
	v_fma_f64 v[72:73], -v[68:69], v[70:71], 1.0
	s_delay_alu instid0(VALU_DEP_1) | instskip(NEXT) | instid1(VALU_DEP_1)
	v_fmac_f64_e32 v[70:71], v[70:71], v[72:73]
	v_mul_f64_e32 v[72:73], v[66:67], v[70:71]
	s_delay_alu instid0(VALU_DEP_1) | instskip(NEXT) | instid1(VALU_DEP_1)
	v_fma_f64 v[66:67], -v[68:69], v[72:73], v[66:67]
	v_div_fmas_f64 v[66:67], v[66:67], v[70:71], v[72:73]
	s_delay_alu instid0(VALU_DEP_1) | instskip(NEXT) | instid1(VALU_DEP_1)
	v_div_fixup_f64 v[64:65], v[66:67], |v[64:65]|, s[40:41]
	v_frexp_mant_f64_e32 v[66:67], v[64:65]
	s_delay_alu instid0(VALU_DEP_1) | instskip(SKIP_1) | instid1(VALU_DEP_1)
	v_cmp_gt_f64_e32 vcc_lo, s[14:15], v[66:67]
	v_cndmask_b32_e64 v52, 0, 1, vcc_lo
	v_ldexp_f64 v[66:67], v[66:67], v52
	v_frexp_exp_i32_f64_e32 v52, v[64:65]
	s_delay_alu instid0(VALU_DEP_1) | instskip(SKIP_1) | instid1(VALU_DEP_4)
	v_subrev_co_ci_u32_e64 v52, null, 0, v52, vcc_lo
	v_cmp_class_f64_e64 vcc_lo, v[64:65], 0x204
	v_add_f64_e32 v[68:69], 1.0, v[66:67]
	v_add_f64_e32 v[74:75], -1.0, v[66:67]
	s_delay_alu instid0(VALU_DEP_2) | instskip(SKIP_1) | instid1(VALU_DEP_1)
	v_rcp_f64_e32 v[70:71], v[68:69]
	v_add_f64_e32 v[76:77], -1.0, v[68:69]
	v_add_f64_e64 v[66:67], v[66:67], -v[76:77]
	s_delay_alu instid0(TRANS32_DEP_1) | instskip(NEXT) | instid1(VALU_DEP_1)
	v_fma_f64 v[72:73], -v[68:69], v[70:71], 1.0
	v_fmac_f64_e32 v[70:71], v[72:73], v[70:71]
	s_delay_alu instid0(VALU_DEP_1) | instskip(NEXT) | instid1(VALU_DEP_1)
	v_fma_f64 v[72:73], -v[68:69], v[70:71], 1.0
	v_fmac_f64_e32 v[70:71], v[72:73], v[70:71]
	s_delay_alu instid0(VALU_DEP_1) | instskip(NEXT) | instid1(VALU_DEP_1)
	v_mul_f64_e32 v[72:73], v[74:75], v[70:71]
	v_mul_f64_e32 v[78:79], v[68:69], v[72:73]
	s_delay_alu instid0(VALU_DEP_1) | instskip(NEXT) | instid1(VALU_DEP_1)
	v_fma_f64 v[68:69], v[72:73], v[68:69], -v[78:79]
	v_fmac_f64_e32 v[68:69], v[72:73], v[66:67]
	s_delay_alu instid0(VALU_DEP_1) | instskip(NEXT) | instid1(VALU_DEP_1)
	v_add_f64_e32 v[66:67], v[78:79], v[68:69]
	v_add_f64_e64 v[76:77], v[74:75], -v[66:67]
	v_add_f64_e64 v[78:79], v[66:67], -v[78:79]
	s_delay_alu instid0(VALU_DEP_2) | instskip(NEXT) | instid1(VALU_DEP_2)
	v_add_f64_e64 v[74:75], v[74:75], -v[76:77]
	v_add_f64_e64 v[68:69], v[78:79], -v[68:69]
	s_delay_alu instid0(VALU_DEP_2) | instskip(NEXT) | instid1(VALU_DEP_1)
	v_add_f64_e64 v[66:67], v[74:75], -v[66:67]
	v_add_f64_e32 v[66:67], v[68:69], v[66:67]
	s_delay_alu instid0(VALU_DEP_1) | instskip(NEXT) | instid1(VALU_DEP_1)
	v_add_f64_e32 v[66:67], v[76:77], v[66:67]
	v_mul_f64_e32 v[66:67], v[70:71], v[66:67]
	s_delay_alu instid0(VALU_DEP_1) | instskip(NEXT) | instid1(VALU_DEP_1)
	v_add_f64_e32 v[68:69], v[72:73], v[66:67]
	v_mul_f64_e32 v[70:71], v[68:69], v[68:69]
	s_delay_alu instid0(VALU_DEP_1) | instskip(SKIP_1) | instid1(VALU_DEP_2)
	v_fmamk_f64 v[74:75], v[70:71], 0x3fc3ab76bf559e2b, v[4:5]
	v_mul_f64_e32 v[76:77], v[68:69], v[70:71]
	v_fmaak_f64 v[74:75], v[70:71], v[74:75], 0x3fc7474dd7f4df2e
	s_delay_alu instid0(VALU_DEP_1) | instskip(NEXT) | instid1(VALU_DEP_1)
	v_fmaak_f64 v[74:75], v[70:71], v[74:75], 0x3fcc71c016291751
	v_fmaak_f64 v[74:75], v[70:71], v[74:75], 0x3fd249249b27acf1
	s_delay_alu instid0(VALU_DEP_1) | instskip(NEXT) | instid1(VALU_DEP_1)
	v_fmaak_f64 v[74:75], v[70:71], v[74:75], 0x3fd99999998ef7b6
	v_fmaak_f64 v[70:71], v[70:71], v[74:75], 0x3fe5555555555780
	v_ldexp_f64 v[74:75], v[68:69], 1
	v_add_f64_e64 v[68:69], v[68:69], -v[72:73]
	s_delay_alu instid0(VALU_DEP_3) | instskip(SKIP_1) | instid1(VALU_DEP_3)
	v_mul_f64_e32 v[70:71], v[76:77], v[70:71]
	v_cvt_f64_i32_e32 v[76:77], v52
	v_add_f64_e64 v[66:67], v[66:67], -v[68:69]
	s_delay_alu instid0(VALU_DEP_3) | instskip(NEXT) | instid1(VALU_DEP_3)
	v_add_f64_e32 v[72:73], v[74:75], v[70:71]
	v_mul_f64_e32 v[78:79], 0x3fe62e42fefa39ef, v[76:77]
	s_delay_alu instid0(VALU_DEP_3) | instskip(NEXT) | instid1(VALU_DEP_3)
	v_ldexp_f64 v[66:67], v[66:67], 1
	v_add_f64_e64 v[68:69], v[72:73], -v[74:75]
	s_delay_alu instid0(VALU_DEP_3) | instskip(NEXT) | instid1(VALU_DEP_2)
	v_fma_f64 v[74:75], v[76:77], s[16:17], -v[78:79]
	v_add_f64_e64 v[68:69], v[70:71], -v[68:69]
	s_delay_alu instid0(VALU_DEP_2) | instskip(NEXT) | instid1(VALU_DEP_2)
	v_fmac_f64_e32 v[74:75], 0x3c7abc9e3b39803f, v[76:77]
	v_add_f64_e32 v[66:67], v[66:67], v[68:69]
	s_delay_alu instid0(VALU_DEP_2) | instskip(NEXT) | instid1(VALU_DEP_2)
	v_add_f64_e32 v[68:69], v[78:79], v[74:75]
	v_add_f64_e32 v[70:71], v[72:73], v[66:67]
	s_delay_alu instid0(VALU_DEP_2) | instskip(NEXT) | instid1(VALU_DEP_2)
	v_add_f64_e64 v[78:79], v[68:69], -v[78:79]
	v_add_f64_e32 v[76:77], v[68:69], v[70:71]
	v_add_f64_e64 v[72:73], v[70:71], -v[72:73]
	s_delay_alu instid0(VALU_DEP_3) | instskip(NEXT) | instid1(VALU_DEP_3)
	v_add_f64_e64 v[74:75], v[74:75], -v[78:79]
	v_add_f64_e64 v[80:81], v[76:77], -v[68:69]
	s_delay_alu instid0(VALU_DEP_3) | instskip(NEXT) | instid1(VALU_DEP_2)
	v_add_f64_e64 v[66:67], v[66:67], -v[72:73]
	v_add_f64_e64 v[82:83], v[76:77], -v[80:81]
	;; [unrolled: 1-line block ×3, first 2 shown]
	s_delay_alu instid0(VALU_DEP_3) | instskip(NEXT) | instid1(VALU_DEP_3)
	v_add_f64_e32 v[72:73], v[74:75], v[66:67]
	v_add_f64_e64 v[68:69], v[68:69], -v[82:83]
	s_delay_alu instid0(VALU_DEP_1) | instskip(NEXT) | instid1(VALU_DEP_3)
	v_add_f64_e32 v[68:69], v[70:71], v[68:69]
	v_add_f64_e64 v[70:71], v[72:73], -v[74:75]
	s_delay_alu instid0(VALU_DEP_2) | instskip(NEXT) | instid1(VALU_DEP_2)
	v_add_f64_e32 v[68:69], v[72:73], v[68:69]
	v_add_f64_e64 v[72:73], v[72:73], -v[70:71]
	v_add_f64_e64 v[66:67], v[66:67], -v[70:71]
	s_delay_alu instid0(VALU_DEP_3) | instskip(NEXT) | instid1(VALU_DEP_3)
	v_add_f64_e32 v[78:79], v[76:77], v[68:69]
	v_add_f64_e64 v[70:71], v[74:75], -v[72:73]
	s_delay_alu instid0(VALU_DEP_2) | instskip(NEXT) | instid1(VALU_DEP_2)
	v_add_f64_e64 v[72:73], v[78:79], -v[76:77]
	v_add_f64_e32 v[66:67], v[66:67], v[70:71]
	s_delay_alu instid0(VALU_DEP_2) | instskip(NEXT) | instid1(VALU_DEP_1)
	v_add_f64_e64 v[68:69], v[68:69], -v[72:73]
	v_add_f64_e32 v[66:67], v[66:67], v[68:69]
	s_delay_alu instid0(VALU_DEP_1) | instskip(NEXT) | instid1(VALU_DEP_1)
	v_add_f64_e32 v[66:67], v[78:79], v[66:67]
	v_dual_cndmask_b32 v52, v66, v64, vcc_lo :: v_dual_cndmask_b32 v56, v67, v65, vcc_lo
	v_cmp_neq_f64_e32 vcc_lo, 0, v[64:65]
	v_fract_f64_e32 v[64:65], v[48:49]
	s_delay_alu instid0(VALU_DEP_3) | instskip(NEXT) | instid1(VALU_DEP_4)
	v_cndmask_b32_e32 v67, 0xfff00000, v56, vcc_lo
	v_cndmask_b32_e32 v66, 0, v52, vcc_lo
	s_delay_alu instid0(VALU_DEP_3) | instskip(NEXT) | instid1(VALU_DEP_2)
	v_cmp_eq_f64_e32 vcc_lo, 0, v[64:65]
	v_add_f64_e64 v[62:63], v[66:67], -v[62:63]
	s_or_b32 s6, s6, vcc_lo
	s_delay_alu instid0(VALU_DEP_1) | instid1(SALU_CYCLE_1)
	v_cndmask_b32_e64 v63, v63, 0x7ff00000, s6
	s_delay_alu instid0(VALU_DEP_2)
	v_cndmask_b32_e64 v62, v62, 0, s6
.LBB12_113:                             ;   in Loop: Header=BB12_4 Depth=1
	s_or_b32 exec_lo, exec_lo, s8
.LBB12_114:                             ;   in Loop: Header=BB12_4 Depth=1
	s_delay_alu instid0(SALU_CYCLE_1) | instskip(SKIP_3) | instid1(VALU_DEP_2)
	s_or_b32 exec_lo, exec_lo, s7
	v_and_b32_e32 v65, 0x7fffffff, v41
	v_mov_b32_e32 v64, v40
                                        ; implicit-def: $vgpr66_vgpr67
	s_mov_b32 s6, exec_lo
	v_cmpx_lt_u32_e32 0x3f6fffff, v65
	s_xor_b32 s9, exec_lo, s6
	s_cbranch_execz .LBB12_140
; %bb.115:                              ;   in Loop: Header=BB12_4 Depth=1
                                        ; implicit-def: $vgpr66_vgpr67
	s_mov_b32 s6, exec_lo
	v_cmpx_lt_u32_e32 0x3fffffff, v65
	s_xor_b32 s7, exec_lo, s6
	s_cbranch_execz .LBB12_125
; %bb.116:                              ;   in Loop: Header=BB12_4 Depth=1
	;; [unrolled: 6-line block ×4, first 2 shown]
	v_frexp_mant_f64_e64 v[66:67], |v[40:41]|
	v_cmp_neq_f64_e64 s6, 0, v[40:41]
	s_delay_alu instid0(VALU_DEP_2) | instskip(SKIP_1) | instid1(VALU_DEP_1)
	v_cmp_gt_f64_e32 vcc_lo, s[14:15], v[66:67]
	v_cndmask_b32_e64 v52, 0, 1, vcc_lo
	v_ldexp_f64 v[66:67], v[66:67], v52
	v_frexp_exp_i32_f64_e32 v52, v[40:41]
	s_delay_alu instid0(VALU_DEP_2) | instskip(SKIP_1) | instid1(VALU_DEP_3)
	v_add_f64_e32 v[68:69], 1.0, v[66:67]
	v_add_f64_e32 v[74:75], -1.0, v[66:67]
	v_subrev_co_ci_u32_e64 v52, null, 0, v52, vcc_lo
	v_cmp_neq_f64_e64 vcc_lo, 0x7ff00000, |v[40:41]|
	s_delay_alu instid0(VALU_DEP_4) | instskip(SKIP_1) | instid1(VALU_DEP_1)
	v_rcp_f64_e32 v[70:71], v[68:69]
	v_add_f64_e32 v[76:77], -1.0, v[68:69]
	v_add_f64_e64 v[66:67], v[66:67], -v[76:77]
	s_delay_alu instid0(TRANS32_DEP_1) | instskip(NEXT) | instid1(VALU_DEP_1)
	v_fma_f64 v[72:73], -v[68:69], v[70:71], 1.0
	v_fmac_f64_e32 v[70:71], v[72:73], v[70:71]
	s_delay_alu instid0(VALU_DEP_1) | instskip(NEXT) | instid1(VALU_DEP_1)
	v_fma_f64 v[72:73], -v[68:69], v[70:71], 1.0
	v_fmac_f64_e32 v[70:71], v[72:73], v[70:71]
	s_delay_alu instid0(VALU_DEP_1) | instskip(NEXT) | instid1(VALU_DEP_1)
	v_mul_f64_e32 v[72:73], v[74:75], v[70:71]
	v_mul_f64_e32 v[78:79], v[68:69], v[72:73]
	s_delay_alu instid0(VALU_DEP_1) | instskip(NEXT) | instid1(VALU_DEP_1)
	v_fma_f64 v[68:69], v[72:73], v[68:69], -v[78:79]
	v_fmac_f64_e32 v[68:69], v[72:73], v[66:67]
	s_delay_alu instid0(VALU_DEP_1) | instskip(NEXT) | instid1(VALU_DEP_1)
	v_add_f64_e32 v[66:67], v[78:79], v[68:69]
	v_add_f64_e64 v[76:77], v[74:75], -v[66:67]
	v_add_f64_e64 v[78:79], v[66:67], -v[78:79]
	s_delay_alu instid0(VALU_DEP_2) | instskip(NEXT) | instid1(VALU_DEP_2)
	v_add_f64_e64 v[74:75], v[74:75], -v[76:77]
	v_add_f64_e64 v[68:69], v[78:79], -v[68:69]
	s_delay_alu instid0(VALU_DEP_2) | instskip(NEXT) | instid1(VALU_DEP_1)
	v_add_f64_e64 v[66:67], v[74:75], -v[66:67]
	v_add_f64_e32 v[66:67], v[68:69], v[66:67]
	s_delay_alu instid0(VALU_DEP_1) | instskip(NEXT) | instid1(VALU_DEP_1)
	v_add_f64_e32 v[66:67], v[76:77], v[66:67]
	v_mul_f64_e32 v[66:67], v[70:71], v[66:67]
	s_delay_alu instid0(VALU_DEP_1) | instskip(NEXT) | instid1(VALU_DEP_1)
	v_add_f64_e32 v[68:69], v[72:73], v[66:67]
	v_mul_f64_e32 v[70:71], v[68:69], v[68:69]
	s_delay_alu instid0(VALU_DEP_1) | instskip(SKIP_1) | instid1(VALU_DEP_2)
	v_fmamk_f64 v[74:75], v[70:71], 0x3fc3ab76bf559e2b, v[4:5]
	v_mul_f64_e32 v[76:77], v[68:69], v[70:71]
	v_fmaak_f64 v[74:75], v[70:71], v[74:75], 0x3fc7474dd7f4df2e
	s_delay_alu instid0(VALU_DEP_1) | instskip(NEXT) | instid1(VALU_DEP_1)
	v_fmaak_f64 v[74:75], v[70:71], v[74:75], 0x3fcc71c016291751
	v_fmaak_f64 v[74:75], v[70:71], v[74:75], 0x3fd249249b27acf1
	s_delay_alu instid0(VALU_DEP_1) | instskip(NEXT) | instid1(VALU_DEP_1)
	v_fmaak_f64 v[74:75], v[70:71], v[74:75], 0x3fd99999998ef7b6
	v_fmaak_f64 v[70:71], v[70:71], v[74:75], 0x3fe5555555555780
	v_ldexp_f64 v[74:75], v[68:69], 1
	v_add_f64_e64 v[68:69], v[68:69], -v[72:73]
	s_delay_alu instid0(VALU_DEP_3) | instskip(SKIP_1) | instid1(VALU_DEP_3)
	v_mul_f64_e32 v[70:71], v[76:77], v[70:71]
	v_cvt_f64_i32_e32 v[76:77], v52
	v_add_f64_e64 v[66:67], v[66:67], -v[68:69]
	s_delay_alu instid0(VALU_DEP_3) | instskip(NEXT) | instid1(VALU_DEP_3)
	v_add_f64_e32 v[72:73], v[74:75], v[70:71]
	v_mul_f64_e32 v[78:79], 0x3fe62e42fefa39ef, v[76:77]
	s_delay_alu instid0(VALU_DEP_3) | instskip(NEXT) | instid1(VALU_DEP_3)
	v_ldexp_f64 v[66:67], v[66:67], 1
	v_add_f64_e64 v[68:69], v[72:73], -v[74:75]
	s_delay_alu instid0(VALU_DEP_3) | instskip(NEXT) | instid1(VALU_DEP_2)
	v_fma_f64 v[74:75], v[76:77], s[16:17], -v[78:79]
	v_add_f64_e64 v[68:69], v[70:71], -v[68:69]
	s_delay_alu instid0(VALU_DEP_2) | instskip(NEXT) | instid1(VALU_DEP_2)
	v_fmac_f64_e32 v[74:75], 0x3c7abc9e3b39803f, v[76:77]
	v_add_f64_e32 v[66:67], v[66:67], v[68:69]
	s_delay_alu instid0(VALU_DEP_2) | instskip(NEXT) | instid1(VALU_DEP_2)
	v_add_f64_e32 v[68:69], v[78:79], v[74:75]
	v_add_f64_e32 v[70:71], v[72:73], v[66:67]
	s_delay_alu instid0(VALU_DEP_2) | instskip(NEXT) | instid1(VALU_DEP_2)
	v_add_f64_e64 v[78:79], v[68:69], -v[78:79]
	v_add_f64_e32 v[76:77], v[68:69], v[70:71]
	v_add_f64_e64 v[72:73], v[70:71], -v[72:73]
	s_delay_alu instid0(VALU_DEP_3) | instskip(NEXT) | instid1(VALU_DEP_3)
	v_add_f64_e64 v[74:75], v[74:75], -v[78:79]
	v_add_f64_e64 v[80:81], v[76:77], -v[68:69]
	s_delay_alu instid0(VALU_DEP_3) | instskip(NEXT) | instid1(VALU_DEP_2)
	v_add_f64_e64 v[66:67], v[66:67], -v[72:73]
	v_add_f64_e64 v[82:83], v[76:77], -v[80:81]
	;; [unrolled: 1-line block ×3, first 2 shown]
	s_delay_alu instid0(VALU_DEP_3) | instskip(NEXT) | instid1(VALU_DEP_3)
	v_add_f64_e32 v[72:73], v[74:75], v[66:67]
	v_add_f64_e64 v[68:69], v[68:69], -v[82:83]
	s_delay_alu instid0(VALU_DEP_1) | instskip(NEXT) | instid1(VALU_DEP_3)
	v_add_f64_e32 v[68:69], v[70:71], v[68:69]
	v_add_f64_e64 v[70:71], v[72:73], -v[74:75]
	s_delay_alu instid0(VALU_DEP_2) | instskip(NEXT) | instid1(VALU_DEP_2)
	v_add_f64_e32 v[68:69], v[72:73], v[68:69]
	v_add_f64_e64 v[72:73], v[72:73], -v[70:71]
	v_add_f64_e64 v[66:67], v[66:67], -v[70:71]
	s_delay_alu instid0(VALU_DEP_3) | instskip(NEXT) | instid1(VALU_DEP_3)
	v_add_f64_e32 v[78:79], v[76:77], v[68:69]
	v_add_f64_e64 v[70:71], v[74:75], -v[72:73]
	s_delay_alu instid0(VALU_DEP_2) | instskip(NEXT) | instid1(VALU_DEP_2)
	v_add_f64_e64 v[72:73], v[78:79], -v[76:77]
	v_add_f64_e32 v[66:67], v[66:67], v[70:71]
	s_delay_alu instid0(VALU_DEP_2) | instskip(NEXT) | instid1(VALU_DEP_1)
	v_add_f64_e64 v[68:69], v[68:69], -v[72:73]
	v_add_f64_e32 v[66:67], v[66:67], v[68:69]
	s_delay_alu instid0(VALU_DEP_1) | instskip(NEXT) | instid1(VALU_DEP_1)
	v_add_f64_e32 v[66:67], v[78:79], v[66:67]
	v_cndmask_b32_e32 v52, 0x7ff00000, v67, vcc_lo
	s_and_b32 vcc_lo, s6, vcc_lo
	s_delay_alu instid0(VALU_DEP_2) | instskip(NEXT) | instid1(VALU_DEP_2)
	v_cndmask_b32_e32 v66, 0, v66, vcc_lo
	v_cndmask_b32_e64 v67, 0xfff00000, v52, s6
	s_delay_alu instid0(VALU_DEP_1)
	v_fma_f64 v[66:67], |v[40:41]|, v[66:67], -|v[40:41]|
.LBB12_119:                             ;   in Loop: Header=BB12_4 Depth=1
	s_and_not1_saveexec_b32 s33, s33
	s_cbranch_execz .LBB12_121
; %bb.120:                              ;   in Loop: Header=BB12_4 Depth=1
	v_frexp_mant_f64_e64 v[66:67], |v[40:41]|
	v_cmp_neq_f64_e64 s6, 0, v[40:41]
	v_mov_b32_e32 v64, v40
	s_delay_alu instid0(VALU_DEP_1) | instskip(NEXT) | instid1(VALU_DEP_4)
	v_div_scale_f64 v[80:81], null, v[64:65], v[64:65], 1.0
	v_cmp_gt_f64_e32 vcc_lo, s[14:15], v[66:67]
	s_delay_alu instid0(VALU_DEP_2) | instskip(SKIP_1) | instid1(VALU_DEP_1)
	v_rcp_f64_e32 v[84:85], v[80:81]
	v_cndmask_b32_e64 v52, 0, 1, vcc_lo
	v_ldexp_f64 v[66:67], v[66:67], v52
	v_frexp_exp_i32_f64_e32 v52, v[40:41]
	s_delay_alu instid0(TRANS32_DEP_1) | instskip(NEXT) | instid1(VALU_DEP_3)
	v_fma_f64 v[88:89], -v[80:81], v[84:85], 1.0
	v_add_f64_e32 v[68:69], 1.0, v[66:67]
	v_add_f64_e32 v[74:75], -1.0, v[66:67]
	s_delay_alu instid0(VALU_DEP_4) | instskip(NEXT) | instid1(VALU_DEP_4)
	v_subrev_co_ci_u32_e64 v52, null, 0, v52, vcc_lo
	v_fmac_f64_e32 v[84:85], v[84:85], v[88:89]
	s_delay_alu instid0(VALU_DEP_4) | instskip(SKIP_1) | instid1(VALU_DEP_1)
	v_rcp_f64_e32 v[70:71], v[68:69]
	v_add_f64_e32 v[76:77], -1.0, v[68:69]
	v_add_f64_e64 v[66:67], v[66:67], -v[76:77]
	s_delay_alu instid0(TRANS32_DEP_1) | instskip(NEXT) | instid1(VALU_DEP_1)
	v_fma_f64 v[72:73], -v[68:69], v[70:71], 1.0
	v_fmac_f64_e32 v[70:71], v[72:73], v[70:71]
	s_delay_alu instid0(VALU_DEP_1) | instskip(NEXT) | instid1(VALU_DEP_1)
	v_fma_f64 v[72:73], -v[68:69], v[70:71], 1.0
	v_fmac_f64_e32 v[70:71], v[72:73], v[70:71]
	s_delay_alu instid0(VALU_DEP_1) | instskip(NEXT) | instid1(VALU_DEP_1)
	v_mul_f64_e32 v[72:73], v[74:75], v[70:71]
	v_mul_f64_e32 v[78:79], v[68:69], v[72:73]
	s_delay_alu instid0(VALU_DEP_1) | instskip(NEXT) | instid1(VALU_DEP_1)
	v_fma_f64 v[68:69], v[72:73], v[68:69], -v[78:79]
	v_fmac_f64_e32 v[68:69], v[72:73], v[66:67]
	s_delay_alu instid0(VALU_DEP_1) | instskip(NEXT) | instid1(VALU_DEP_1)
	v_add_f64_e32 v[66:67], v[78:79], v[68:69]
	v_add_f64_e64 v[76:77], v[74:75], -v[66:67]
	v_add_f64_e64 v[78:79], v[66:67], -v[78:79]
	s_delay_alu instid0(VALU_DEP_2) | instskip(NEXT) | instid1(VALU_DEP_2)
	v_add_f64_e64 v[74:75], v[74:75], -v[76:77]
	v_add_f64_e64 v[68:69], v[78:79], -v[68:69]
	s_delay_alu instid0(VALU_DEP_2) | instskip(NEXT) | instid1(VALU_DEP_1)
	v_add_f64_e64 v[66:67], v[74:75], -v[66:67]
	v_add_f64_e32 v[66:67], v[68:69], v[66:67]
	s_delay_alu instid0(VALU_DEP_1) | instskip(NEXT) | instid1(VALU_DEP_1)
	v_add_f64_e32 v[66:67], v[76:77], v[66:67]
	v_mul_f64_e32 v[66:67], v[70:71], v[66:67]
	s_delay_alu instid0(VALU_DEP_1) | instskip(NEXT) | instid1(VALU_DEP_1)
	v_add_f64_e32 v[68:69], v[72:73], v[66:67]
	v_mul_f64_e32 v[70:71], v[68:69], v[68:69]
	s_delay_alu instid0(VALU_DEP_1) | instskip(SKIP_1) | instid1(VALU_DEP_2)
	v_fmamk_f64 v[74:75], v[70:71], 0x3fc3ab76bf559e2b, v[4:5]
	v_mul_f64_e32 v[76:77], v[68:69], v[70:71]
	v_fmaak_f64 v[74:75], v[70:71], v[74:75], 0x3fc7474dd7f4df2e
	s_delay_alu instid0(VALU_DEP_1) | instskip(NEXT) | instid1(VALU_DEP_1)
	v_fmaak_f64 v[74:75], v[70:71], v[74:75], 0x3fcc71c016291751
	v_fmaak_f64 v[74:75], v[70:71], v[74:75], 0x3fd249249b27acf1
	s_delay_alu instid0(VALU_DEP_1) | instskip(NEXT) | instid1(VALU_DEP_1)
	v_fmaak_f64 v[74:75], v[70:71], v[74:75], 0x3fd99999998ef7b6
	v_fmaak_f64 v[70:71], v[70:71], v[74:75], 0x3fe5555555555780
	v_ldexp_f64 v[74:75], v[68:69], 1
	v_add_f64_e64 v[68:69], v[68:69], -v[72:73]
	s_delay_alu instid0(VALU_DEP_3) | instskip(SKIP_1) | instid1(VALU_DEP_3)
	v_mul_f64_e32 v[70:71], v[76:77], v[70:71]
	v_cvt_f64_i32_e32 v[76:77], v52
	v_add_f64_e64 v[66:67], v[66:67], -v[68:69]
	s_delay_alu instid0(VALU_DEP_3) | instskip(NEXT) | instid1(VALU_DEP_3)
	v_add_f64_e32 v[72:73], v[74:75], v[70:71]
	v_mul_f64_e32 v[78:79], 0x3fe62e42fefa39ef, v[76:77]
	s_delay_alu instid0(VALU_DEP_3) | instskip(NEXT) | instid1(VALU_DEP_3)
	v_ldexp_f64 v[66:67], v[66:67], 1
	v_add_f64_e64 v[68:69], v[72:73], -v[74:75]
	s_delay_alu instid0(VALU_DEP_3) | instskip(NEXT) | instid1(VALU_DEP_2)
	v_fma_f64 v[74:75], v[76:77], s[16:17], -v[78:79]
	v_add_f64_e64 v[68:69], v[70:71], -v[68:69]
	s_delay_alu instid0(VALU_DEP_2) | instskip(NEXT) | instid1(VALU_DEP_2)
	v_fmac_f64_e32 v[74:75], 0x3c7abc9e3b39803f, v[76:77]
	v_add_f64_e32 v[66:67], v[66:67], v[68:69]
	s_delay_alu instid0(VALU_DEP_2) | instskip(NEXT) | instid1(VALU_DEP_2)
	v_add_f64_e32 v[68:69], v[78:79], v[74:75]
	v_add_f64_e32 v[70:71], v[72:73], v[66:67]
	s_delay_alu instid0(VALU_DEP_2) | instskip(NEXT) | instid1(VALU_DEP_2)
	v_add_f64_e64 v[78:79], v[68:69], -v[78:79]
	v_add_f64_e32 v[76:77], v[68:69], v[70:71]
	v_add_f64_e64 v[72:73], v[70:71], -v[72:73]
	s_delay_alu instid0(VALU_DEP_3) | instskip(NEXT) | instid1(VALU_DEP_3)
	v_add_f64_e64 v[74:75], v[74:75], -v[78:79]
	v_add_f64_e64 v[82:83], v[76:77], -v[68:69]
	s_delay_alu instid0(VALU_DEP_3) | instskip(NEXT) | instid1(VALU_DEP_2)
	v_add_f64_e64 v[66:67], v[66:67], -v[72:73]
	v_add_f64_e64 v[86:87], v[76:77], -v[82:83]
	v_add_f64_e64 v[70:71], v[70:71], -v[82:83]
	s_delay_alu instid0(VALU_DEP_3) | instskip(SKIP_1) | instid1(VALU_DEP_4)
	v_add_f64_e32 v[72:73], v[74:75], v[66:67]
	v_div_scale_f64 v[82:83], vcc_lo, 1.0, v[64:65], 1.0
	v_add_f64_e64 v[68:69], v[68:69], -v[86:87]
	s_delay_alu instid0(VALU_DEP_3) | instskip(NEXT) | instid1(VALU_DEP_2)
	v_add_f64_e64 v[78:79], v[72:73], -v[74:75]
	v_add_f64_e32 v[68:69], v[70:71], v[68:69]
	v_fma_f64 v[70:71], -v[80:81], v[84:85], 1.0
	s_delay_alu instid0(VALU_DEP_3) | instskip(NEXT) | instid1(VALU_DEP_3)
	v_add_f64_e64 v[66:67], v[66:67], -v[78:79]
	v_add_f64_e32 v[68:69], v[72:73], v[68:69]
	s_delay_alu instid0(VALU_DEP_3) | instskip(SKIP_1) | instid1(VALU_DEP_3)
	v_fmac_f64_e32 v[84:85], v[84:85], v[70:71]
	v_add_f64_e64 v[70:71], v[72:73], -v[78:79]
	v_add_f64_e32 v[72:73], v[76:77], v[68:69]
	s_delay_alu instid0(VALU_DEP_3) | instskip(NEXT) | instid1(VALU_DEP_3)
	v_mul_f64_e32 v[86:87], v[82:83], v[84:85]
	v_add_f64_e64 v[70:71], v[74:75], -v[70:71]
	s_delay_alu instid0(VALU_DEP_3) | instskip(NEXT) | instid1(VALU_DEP_3)
	v_add_f64_e64 v[74:75], v[72:73], -v[76:77]
	v_fma_f64 v[76:77], -v[80:81], v[86:87], v[82:83]
	s_delay_alu instid0(VALU_DEP_3) | instskip(NEXT) | instid1(VALU_DEP_3)
	v_add_f64_e32 v[66:67], v[66:67], v[70:71]
	v_add_f64_e64 v[68:69], v[68:69], -v[74:75]
	s_delay_alu instid0(VALU_DEP_3) | instskip(SKIP_2) | instid1(VALU_DEP_4)
	v_div_fmas_f64 v[70:71], v[76:77], v[84:85], v[86:87]
	v_cmp_neq_f64_e64 vcc_lo, 0x7ff00000, |v[40:41]|
	v_add_f64_e64 v[74:75], |v[40:41]|, -0.5
	v_add_f64_e32 v[66:67], v[66:67], v[68:69]
	s_delay_alu instid0(VALU_DEP_4) | instskip(NEXT) | instid1(VALU_DEP_2)
	v_div_fixup_f64 v[68:69], v[70:71], |v[40:41]|, 1.0
	v_add_f64_e32 v[66:67], v[72:73], v[66:67]
	s_delay_alu instid0(VALU_DEP_2) | instskip(NEXT) | instid1(VALU_DEP_2)
	v_mul_f64_e32 v[70:71], v[68:69], v[68:69]
	v_add_f64_e32 v[72:73], -1.0, v[66:67]
	s_delay_alu instid0(VALU_DEP_2) | instskip(NEXT) | instid1(VALU_DEP_1)
	v_fmamk_f64 v[66:67], v[70:71], 0xbf5ab89d0b9e43e4, v[6:7]
	v_fmaak_f64 v[66:67], v[70:71], v[66:67], 0xbf4380cb8c0fe741
	s_delay_alu instid0(VALU_DEP_1) | instskip(NEXT) | instid1(VALU_DEP_1)
	v_fmaak_f64 v[66:67], v[70:71], v[66:67], 0x3f4a019f98cf38b6
	v_fmaak_f64 v[66:67], v[70:71], v[66:67], 0xbf66c16c16b02e5c
	s_delay_alu instid0(VALU_DEP_1) | instskip(SKIP_2) | instid1(VALU_DEP_2)
	v_fmaak_f64 v[66:67], v[70:71], v[66:67], 0x3fb555555555553b
	v_cndmask_b32_e32 v52, 0x7ff00000, v73, vcc_lo
	s_and_b32 vcc_lo, s6, vcc_lo
	v_fmaak_f64 v[66:67], v[68:69], v[66:67], 0x3fdacfe390c97d69
	s_delay_alu instid0(VALU_DEP_2) | instskip(SKIP_1) | instid1(VALU_DEP_1)
	v_cndmask_b32_e64 v69, 0xfff00000, v52, s6
	v_cndmask_b32_e32 v68, 0, v72, vcc_lo
	v_fmac_f64_e32 v[66:67], v[74:75], v[68:69]
.LBB12_121:                             ;   in Loop: Header=BB12_4 Depth=1
	s_or_b32 exec_lo, exec_lo, s33
.LBB12_122:                             ;   in Loop: Header=BB12_4 Depth=1
	s_and_not1_saveexec_b32 s8, s8
	s_cbranch_execz .LBB12_124
; %bb.123:                              ;   in Loop: Header=BB12_4 Depth=1
	v_cvt_i32_f64_e32 v52, v[64:65]
	s_delay_alu instid0(VALU_DEP_1) | instskip(SKIP_2) | instid1(VALU_DEP_3)
	v_cvt_f64_i32_e32 v[66:67], v52
	v_cmp_lt_i32_e32 vcc_lo, 2, v52
	v_cmp_lt_i32_e64 s6, 3, v52
	v_add_f64_e64 v[66:67], |v[40:41]|, -v[66:67]
	s_delay_alu instid0(VALU_DEP_1) | instskip(SKIP_2) | instid1(VALU_DEP_2)
	v_add_f64_e32 v[72:73], 4.0, v[66:67]
	v_add_f64_e32 v[68:69], 2.0, v[66:67]
	v_add_f64_e32 v[70:71], 0x40080000, v[66:67]
	v_cndmask_b32_e32 v69, 0x3ff00000, v69, vcc_lo
	s_delay_alu instid0(VALU_DEP_3) | instskip(SKIP_1) | instid1(VALU_DEP_4)
	v_cndmask_b32_e32 v68, 0, v68, vcc_lo
	v_cmp_lt_i32_e32 vcc_lo, 4, v52
	v_cndmask_b32_e64 v71, 0x3ff00000, v71, s6
	v_cndmask_b32_e32 v73, 0x3ff00000, v73, vcc_lo
	v_dual_cndmask_b32 v72, 0, v72, vcc_lo :: v_dual_cndmask_b32 v70, 0, v70, s6
	v_cmp_lt_i32_e32 vcc_lo, 5, v52
	s_delay_alu instid0(VALU_DEP_2) | instskip(SKIP_1) | instid1(VALU_DEP_2)
	v_mul_f64_e32 v[68:69], v[68:69], v[70:71]
	v_add_f64_e32 v[70:71], 0x40140000, v[66:67]
	v_mul_f64_e32 v[68:69], v[72:73], v[68:69]
	v_add_f64_e32 v[72:73], 0x40180000, v[66:67]
	s_delay_alu instid0(VALU_DEP_3) | instskip(NEXT) | instid1(VALU_DEP_4)
	v_cndmask_b32_e32 v71, 0x3ff00000, v71, vcc_lo
	v_cndmask_b32_e32 v70, 0, v70, vcc_lo
	v_cmp_lt_i32_e32 vcc_lo, 6, v52
	s_delay_alu instid0(VALU_DEP_2) | instskip(SKIP_2) | instid1(VALU_DEP_1)
	v_mul_f64_e32 v[68:69], v[70:71], v[68:69]
	v_cndmask_b32_e32 v71, 0x3ff00000, v73, vcc_lo
	v_cndmask_b32_e32 v70, 0, v72, vcc_lo
	v_mul_f64_e32 v[68:69], v[70:71], v[68:69]
	s_delay_alu instid0(VALU_DEP_1) | instskip(NEXT) | instid1(VALU_DEP_1)
	v_frexp_mant_f64_e32 v[70:71], v[68:69]
	v_cmp_gt_f64_e32 vcc_lo, s[14:15], v[70:71]
	v_cndmask_b32_e64 v52, 0, 1, vcc_lo
	s_delay_alu instid0(VALU_DEP_1) | instskip(SKIP_1) | instid1(VALU_DEP_2)
	v_ldexp_f64 v[70:71], v[70:71], v52
	v_frexp_exp_i32_f64_e32 v52, v[68:69]
	v_add_f64_e32 v[72:73], 1.0, v[70:71]
	v_add_f64_e32 v[78:79], -1.0, v[70:71]
	s_delay_alu instid0(VALU_DEP_3) | instskip(NEXT) | instid1(VALU_DEP_3)
	v_subrev_co_ci_u32_e64 v52, null, 0, v52, vcc_lo
	v_rcp_f64_e32 v[74:75], v[72:73]
	v_add_f64_e32 v[80:81], -1.0, v[72:73]
	s_delay_alu instid0(VALU_DEP_1) | instskip(NEXT) | instid1(TRANS32_DEP_1)
	v_add_f64_e64 v[70:71], v[70:71], -v[80:81]
	v_fma_f64 v[76:77], -v[72:73], v[74:75], 1.0
	s_delay_alu instid0(VALU_DEP_1) | instskip(NEXT) | instid1(VALU_DEP_1)
	v_fmac_f64_e32 v[74:75], v[76:77], v[74:75]
	v_fma_f64 v[76:77], -v[72:73], v[74:75], 1.0
	s_delay_alu instid0(VALU_DEP_1) | instskip(NEXT) | instid1(VALU_DEP_1)
	v_fmac_f64_e32 v[74:75], v[76:77], v[74:75]
	v_mul_f64_e32 v[76:77], v[78:79], v[74:75]
	s_delay_alu instid0(VALU_DEP_1) | instskip(NEXT) | instid1(VALU_DEP_1)
	v_mul_f64_e32 v[82:83], v[72:73], v[76:77]
	v_fma_f64 v[72:73], v[76:77], v[72:73], -v[82:83]
	s_delay_alu instid0(VALU_DEP_1) | instskip(NEXT) | instid1(VALU_DEP_1)
	v_fmac_f64_e32 v[72:73], v[76:77], v[70:71]
	v_add_f64_e32 v[70:71], v[82:83], v[72:73]
	s_delay_alu instid0(VALU_DEP_1) | instskip(SKIP_1) | instid1(VALU_DEP_2)
	v_add_f64_e64 v[80:81], v[78:79], -v[70:71]
	v_add_f64_e64 v[82:83], v[70:71], -v[82:83]
	;; [unrolled: 1-line block ×3, first 2 shown]
	s_delay_alu instid0(VALU_DEP_2) | instskip(NEXT) | instid1(VALU_DEP_2)
	v_add_f64_e64 v[72:73], v[82:83], -v[72:73]
	v_add_f64_e64 v[70:71], v[78:79], -v[70:71]
	s_delay_alu instid0(VALU_DEP_1) | instskip(NEXT) | instid1(VALU_DEP_1)
	v_add_f64_e32 v[70:71], v[72:73], v[70:71]
	v_add_f64_e32 v[70:71], v[80:81], v[70:71]
	s_delay_alu instid0(VALU_DEP_1) | instskip(NEXT) | instid1(VALU_DEP_1)
	v_mul_f64_e32 v[70:71], v[74:75], v[70:71]
	v_add_f64_e32 v[72:73], v[76:77], v[70:71]
	s_delay_alu instid0(VALU_DEP_1) | instskip(NEXT) | instid1(VALU_DEP_1)
	v_mul_f64_e32 v[74:75], v[72:73], v[72:73]
	v_fmamk_f64 v[78:79], v[74:75], 0x3fc3ab76bf559e2b, v[4:5]
	v_mul_f64_e32 v[80:81], v[72:73], v[74:75]
	s_delay_alu instid0(VALU_DEP_2) | instskip(NEXT) | instid1(VALU_DEP_1)
	v_fmaak_f64 v[78:79], v[74:75], v[78:79], 0x3fc7474dd7f4df2e
	v_fmaak_f64 v[78:79], v[74:75], v[78:79], 0x3fcc71c016291751
	s_delay_alu instid0(VALU_DEP_1) | instskip(NEXT) | instid1(VALU_DEP_1)
	v_fmaak_f64 v[78:79], v[74:75], v[78:79], 0x3fd249249b27acf1
	v_fmaak_f64 v[78:79], v[74:75], v[78:79], 0x3fd99999998ef7b6
	s_delay_alu instid0(VALU_DEP_1) | instskip(SKIP_2) | instid1(VALU_DEP_3)
	v_fmaak_f64 v[74:75], v[74:75], v[78:79], 0x3fe5555555555780
	v_ldexp_f64 v[78:79], v[72:73], 1
	v_add_f64_e64 v[72:73], v[72:73], -v[76:77]
	v_mul_f64_e32 v[74:75], v[80:81], v[74:75]
	v_cvt_f64_i32_e32 v[80:81], v52
	s_delay_alu instid0(VALU_DEP_3) | instskip(NEXT) | instid1(VALU_DEP_3)
	v_add_f64_e64 v[70:71], v[70:71], -v[72:73]
	v_add_f64_e32 v[76:77], v[78:79], v[74:75]
	s_delay_alu instid0(VALU_DEP_3) | instskip(NEXT) | instid1(VALU_DEP_3)
	v_mul_f64_e32 v[82:83], 0x3fe62e42fefa39ef, v[80:81]
	v_ldexp_f64 v[70:71], v[70:71], 1
	s_delay_alu instid0(VALU_DEP_3) | instskip(NEXT) | instid1(VALU_DEP_3)
	v_add_f64_e64 v[72:73], v[76:77], -v[78:79]
	v_fma_f64 v[78:79], v[80:81], s[16:17], -v[82:83]
	s_delay_alu instid0(VALU_DEP_2) | instskip(NEXT) | instid1(VALU_DEP_2)
	v_add_f64_e64 v[72:73], v[74:75], -v[72:73]
	v_fmac_f64_e32 v[78:79], 0x3c7abc9e3b39803f, v[80:81]
	v_fmamk_f64 v[74:75], v[66:67], 0x3f00bfecdd17e945, v[8:9]
	s_delay_alu instid0(VALU_DEP_1) | instskip(NEXT) | instid1(VALU_DEP_1)
	v_fmaak_f64 v[74:75], v[66:67], v[74:75], 0x3f9b481c7e939961
	v_fmaak_f64 v[74:75], v[66:67], v[74:75], 0x3fc2bb9cbee5f2f7
	s_delay_alu instid0(VALU_DEP_1) | instskip(NEXT) | instid1(VALU_DEP_1)
	v_fmaak_f64 v[74:75], v[66:67], v[74:75], 0x3fd4d98f4f139f59
	v_fmaak_f64 v[74:75], v[66:67], v[74:75], 0x3fcb848b36e20878
	v_add_f64_e32 v[70:71], v[70:71], v[72:73]
	v_fmamk_f64 v[72:73], v[66:67], 0x3edebaf7a5b38140, v[10:11]
	v_add_f64_e32 v[80:81], v[82:83], v[78:79]
	s_delay_alu instid0(VALU_DEP_4) | instskip(NEXT) | instid1(VALU_DEP_3)
	v_fmaak_f64 v[74:75], v[66:67], v[74:75], 0xbfb3c467e37db0c8
	v_fmaak_f64 v[72:73], v[66:67], v[72:73], 0x3f9317ea742ed475
	s_delay_alu instid0(VALU_DEP_2) | instskip(NEXT) | instid1(VALU_DEP_2)
	v_mul_f64_e32 v[74:75], v[66:67], v[74:75]
	v_fmaak_f64 v[72:73], v[66:67], v[72:73], 0x3fc601edccfbdf27
	s_delay_alu instid0(VALU_DEP_1) | instskip(NEXT) | instid1(VALU_DEP_1)
	v_fmaak_f64 v[72:73], v[66:67], v[72:73], 0x3fe71a1893d3dcdc
	v_fmaak_f64 v[72:73], v[66:67], v[72:73], 0x3ff645a762c4ab74
	v_add_f64_e32 v[84:85], v[76:77], v[70:71]
	v_add_f64_e64 v[82:83], v[80:81], -v[82:83]
	s_delay_alu instid0(VALU_DEP_3) | instskip(NEXT) | instid1(VALU_DEP_3)
	v_fma_f64 v[72:73], v[66:67], v[72:73], 1.0
	v_add_f64_e32 v[86:87], v[80:81], v[84:85]
	v_add_f64_e64 v[76:77], v[84:85], -v[76:77]
	s_delay_alu instid0(VALU_DEP_4) | instskip(NEXT) | instid1(VALU_DEP_4)
	v_add_f64_e64 v[78:79], v[78:79], -v[82:83]
	v_div_scale_f64 v[88:89], null, v[72:73], v[72:73], v[74:75]
	s_delay_alu instid0(VALU_DEP_4) | instskip(NEXT) | instid1(VALU_DEP_4)
	v_add_f64_e64 v[90:91], v[86:87], -v[80:81]
	v_add_f64_e64 v[70:71], v[70:71], -v[76:77]
	s_delay_alu instid0(VALU_DEP_3) | instskip(NEXT) | instid1(VALU_DEP_2)
	v_rcp_f64_e32 v[92:93], v[88:89]
	v_add_f64_e64 v[94:95], v[86:87], -v[90:91]
	v_add_f64_e64 v[76:77], v[84:85], -v[90:91]
	s_delay_alu instid0(VALU_DEP_3) | instskip(SKIP_1) | instid1(TRANS32_DEP_1)
	v_add_f64_e32 v[82:83], v[78:79], v[70:71]
	v_div_scale_f64 v[90:91], vcc_lo, v[74:75], v[72:73], v[74:75]
	v_fma_f64 v[96:97], -v[88:89], v[92:93], 1.0
	v_add_f64_e64 v[80:81], v[80:81], -v[94:95]
	s_delay_alu instid0(VALU_DEP_4) | instskip(NEXT) | instid1(VALU_DEP_3)
	v_add_f64_e64 v[84:85], v[82:83], -v[78:79]
	v_fmac_f64_e32 v[92:93], v[92:93], v[96:97]
	s_delay_alu instid0(VALU_DEP_3) | instskip(NEXT) | instid1(VALU_DEP_3)
	v_add_f64_e32 v[76:77], v[76:77], v[80:81]
	v_add_f64_e64 v[70:71], v[70:71], -v[84:85]
	s_delay_alu instid0(VALU_DEP_3) | instskip(NEXT) | instid1(VALU_DEP_3)
	v_fma_f64 v[80:81], -v[88:89], v[92:93], 1.0
	v_add_f64_e32 v[76:77], v[82:83], v[76:77]
	s_delay_alu instid0(VALU_DEP_2) | instskip(SKIP_1) | instid1(VALU_DEP_3)
	v_fmac_f64_e32 v[92:93], v[92:93], v[80:81]
	v_add_f64_e64 v[80:81], v[82:83], -v[84:85]
	v_add_f64_e32 v[82:83], v[86:87], v[76:77]
	s_delay_alu instid0(VALU_DEP_3) | instskip(NEXT) | instid1(VALU_DEP_3)
	v_mul_f64_e32 v[94:95], v[90:91], v[92:93]
	v_add_f64_e64 v[78:79], v[78:79], -v[80:81]
	s_delay_alu instid0(VALU_DEP_3) | instskip(NEXT) | instid1(VALU_DEP_3)
	v_add_f64_e64 v[80:81], v[82:83], -v[86:87]
	v_fma_f64 v[84:85], -v[88:89], v[94:95], v[90:91]
	s_delay_alu instid0(VALU_DEP_3) | instskip(NEXT) | instid1(VALU_DEP_3)
	v_add_f64_e32 v[70:71], v[70:71], v[78:79]
	v_add_f64_e64 v[76:77], v[76:77], -v[80:81]
	s_delay_alu instid0(VALU_DEP_3) | instskip(SKIP_1) | instid1(VALU_DEP_3)
	v_div_fmas_f64 v[78:79], v[84:85], v[92:93], v[94:95]
	v_cmp_class_f64_e64 vcc_lo, v[68:69], 0x204
	v_add_f64_e32 v[70:71], v[70:71], v[76:77]
	s_delay_alu instid0(VALU_DEP_3) | instskip(NEXT) | instid1(VALU_DEP_2)
	v_div_fixup_f64 v[72:73], v[78:79], v[72:73], v[74:75]
	v_add_f64_e32 v[70:71], v[82:83], v[70:71]
	s_delay_alu instid0(VALU_DEP_2) | instskip(NEXT) | instid1(VALU_DEP_2)
	v_fmac_f64_e32 v[72:73], 0.5, v[66:67]
	v_dual_cndmask_b32 v52, v70, v68, vcc_lo :: v_dual_cndmask_b32 v56, v71, v69, vcc_lo
	v_cmp_ngt_f64_e32 vcc_lo, 0, v[68:69]
	s_delay_alu instid0(VALU_DEP_2) | instskip(SKIP_1) | instid1(VALU_DEP_4)
	v_cndmask_b32_e32 v56, 0x7ff80000, v56, vcc_lo
	v_cmp_nge_f64_e32 vcc_lo, 0, v[68:69]
	v_cndmask_b32_e32 v66, 0, v52, vcc_lo
	v_cmp_neq_f64_e32 vcc_lo, 0, v[68:69]
	s_delay_alu instid0(VALU_DEP_4) | instskip(NEXT) | instid1(VALU_DEP_1)
	v_cndmask_b32_e32 v67, 0xfff00000, v56, vcc_lo
	v_add_f64_e32 v[66:67], v[72:73], v[66:67]
.LBB12_124:                             ;   in Loop: Header=BB12_4 Depth=1
	s_or_b32 exec_lo, exec_lo, s8
.LBB12_125:                             ;   in Loop: Header=BB12_4 Depth=1
	s_and_not1_saveexec_b32 s33, s7
	s_cbranch_execz .LBB12_139
; %bb.126:                              ;   in Loop: Header=BB12_4 Depth=1
                                        ; implicit-def: $vgpr52
                                        ; implicit-def: $vgpr68_vgpr69
	s_mov_b32 s6, exec_lo
	v_cmpx_lt_u32_e32 0x3feccccc, v65
	s_xor_b32 s7, exec_lo, s6
	s_cbranch_execz .LBB12_128
; %bb.127:                              ;   in Loop: Header=BB12_4 Depth=1
	v_add_f64_e64 v[66:67], -|v[40:41]|, 2.0
	v_add_f64_e64 v[68:69], |v[40:41]|, s[18:19]
	v_add_f64_e64 v[70:71], |v[40:41]|, -1.0
	v_cmp_gt_u32_e32 vcc_lo, 0x3ffbb4c3, v65
	v_cmp_gt_u32_e64 s6, 0x3ff3b4c4, v65
	v_cndmask_b32_e64 v60, 0, 1, vcc_lo
	v_dual_cndmask_b32 v52, v66, v68, vcc_lo :: v_dual_cndmask_b32 v56, v67, v69, vcc_lo
	s_delay_alu instid0(VALU_DEP_1) | instskip(NEXT) | instid1(VALU_DEP_2)
	v_cndmask_b32_e64 v68, v52, v70, s6
	v_cndmask_b32_e64 v69, v56, v71, s6
	s_delay_alu instid0(VALU_DEP_4)
	v_cndmask_b32_e64 v52, v60, 2, s6
.LBB12_128:                             ;   in Loop: Header=BB12_4 Depth=1
	s_or_saveexec_b32 s48, s7
	v_mov_b64_e32 v[66:67], 0
	s_xor_b32 exec_lo, exec_lo, s48
	s_cbranch_execz .LBB12_130
; %bb.129:                              ;   in Loop: Header=BB12_4 Depth=1
	v_frexp_mant_f64_e64 v[66:67], |v[40:41]|
	v_cmp_gt_u32_e64 s8, 0x3fcda661, v65
	v_cmp_gt_u32_e64 s7, 0x3fe76944, v65
	v_cmp_neq_f64_e64 s6, 0, v[40:41]
	s_delay_alu instid0(VALU_DEP_2) | instskip(SKIP_2) | instid1(VALU_DEP_1)
	v_cndmask_b32_e64 v64, 0, 1, s7
	v_cmp_gt_f64_e32 vcc_lo, s[14:15], v[66:67]
	v_cndmask_b32_e64 v52, 0, 1, vcc_lo
	v_ldexp_f64 v[66:67], v[66:67], v52
	v_frexp_exp_i32_f64_e32 v52, v[40:41]
	s_delay_alu instid0(VALU_DEP_2) | instskip(SKIP_1) | instid1(VALU_DEP_3)
	v_add_f64_e32 v[68:69], 1.0, v[66:67]
	v_add_f64_e32 v[74:75], -1.0, v[66:67]
	v_subrev_co_ci_u32_e64 v52, null, 0, v52, vcc_lo
	v_cmp_neq_f64_e64 vcc_lo, 0x7ff00000, |v[40:41]|
	s_delay_alu instid0(VALU_DEP_4) | instskip(SKIP_1) | instid1(VALU_DEP_1)
	v_rcp_f64_e32 v[70:71], v[68:69]
	v_add_f64_e32 v[76:77], -1.0, v[68:69]
	v_add_f64_e64 v[66:67], v[66:67], -v[76:77]
	s_delay_alu instid0(TRANS32_DEP_1) | instskip(NEXT) | instid1(VALU_DEP_1)
	v_fma_f64 v[72:73], -v[68:69], v[70:71], 1.0
	v_fmac_f64_e32 v[70:71], v[72:73], v[70:71]
	s_delay_alu instid0(VALU_DEP_1) | instskip(NEXT) | instid1(VALU_DEP_1)
	v_fma_f64 v[72:73], -v[68:69], v[70:71], 1.0
	v_fmac_f64_e32 v[70:71], v[72:73], v[70:71]
	s_delay_alu instid0(VALU_DEP_1) | instskip(NEXT) | instid1(VALU_DEP_1)
	v_mul_f64_e32 v[72:73], v[74:75], v[70:71]
	v_mul_f64_e32 v[78:79], v[68:69], v[72:73]
	s_delay_alu instid0(VALU_DEP_1) | instskip(NEXT) | instid1(VALU_DEP_1)
	v_fma_f64 v[68:69], v[72:73], v[68:69], -v[78:79]
	v_fmac_f64_e32 v[68:69], v[72:73], v[66:67]
	s_delay_alu instid0(VALU_DEP_1) | instskip(NEXT) | instid1(VALU_DEP_1)
	v_add_f64_e32 v[66:67], v[78:79], v[68:69]
	v_add_f64_e64 v[76:77], v[74:75], -v[66:67]
	v_add_f64_e64 v[78:79], v[66:67], -v[78:79]
	s_delay_alu instid0(VALU_DEP_2) | instskip(NEXT) | instid1(VALU_DEP_2)
	v_add_f64_e64 v[74:75], v[74:75], -v[76:77]
	v_add_f64_e64 v[68:69], v[78:79], -v[68:69]
	s_delay_alu instid0(VALU_DEP_2) | instskip(NEXT) | instid1(VALU_DEP_1)
	v_add_f64_e64 v[66:67], v[74:75], -v[66:67]
	v_add_f64_e32 v[66:67], v[68:69], v[66:67]
	s_delay_alu instid0(VALU_DEP_1) | instskip(NEXT) | instid1(VALU_DEP_1)
	v_add_f64_e32 v[66:67], v[76:77], v[66:67]
	v_mul_f64_e32 v[66:67], v[70:71], v[66:67]
	s_delay_alu instid0(VALU_DEP_1) | instskip(NEXT) | instid1(VALU_DEP_1)
	v_add_f64_e32 v[68:69], v[72:73], v[66:67]
	v_mul_f64_e32 v[70:71], v[68:69], v[68:69]
	s_delay_alu instid0(VALU_DEP_1) | instskip(SKIP_1) | instid1(VALU_DEP_2)
	v_fmamk_f64 v[74:75], v[70:71], 0x3fc3ab76bf559e2b, v[4:5]
	v_mul_f64_e32 v[76:77], v[68:69], v[70:71]
	v_fmaak_f64 v[74:75], v[70:71], v[74:75], 0x3fc7474dd7f4df2e
	s_delay_alu instid0(VALU_DEP_1) | instskip(NEXT) | instid1(VALU_DEP_1)
	v_fmaak_f64 v[74:75], v[70:71], v[74:75], 0x3fcc71c016291751
	v_fmaak_f64 v[74:75], v[70:71], v[74:75], 0x3fd249249b27acf1
	s_delay_alu instid0(VALU_DEP_1) | instskip(NEXT) | instid1(VALU_DEP_1)
	v_fmaak_f64 v[74:75], v[70:71], v[74:75], 0x3fd99999998ef7b6
	v_fmaak_f64 v[70:71], v[70:71], v[74:75], 0x3fe5555555555780
	v_ldexp_f64 v[74:75], v[68:69], 1
	v_add_f64_e64 v[68:69], v[68:69], -v[72:73]
	s_delay_alu instid0(VALU_DEP_3) | instskip(SKIP_1) | instid1(VALU_DEP_3)
	v_mul_f64_e32 v[70:71], v[76:77], v[70:71]
	v_cvt_f64_i32_e32 v[76:77], v52
	v_add_f64_e64 v[66:67], v[66:67], -v[68:69]
	s_delay_alu instid0(VALU_DEP_3) | instskip(NEXT) | instid1(VALU_DEP_3)
	v_add_f64_e32 v[72:73], v[74:75], v[70:71]
	v_mul_f64_e32 v[78:79], 0x3fe62e42fefa39ef, v[76:77]
	s_delay_alu instid0(VALU_DEP_3) | instskip(NEXT) | instid1(VALU_DEP_3)
	v_ldexp_f64 v[66:67], v[66:67], 1
	v_add_f64_e64 v[68:69], v[72:73], -v[74:75]
	s_delay_alu instid0(VALU_DEP_3) | instskip(NEXT) | instid1(VALU_DEP_2)
	v_fma_f64 v[74:75], v[76:77], s[16:17], -v[78:79]
	v_add_f64_e64 v[68:69], v[70:71], -v[68:69]
	s_delay_alu instid0(VALU_DEP_2) | instskip(NEXT) | instid1(VALU_DEP_2)
	v_fmac_f64_e32 v[74:75], 0x3c7abc9e3b39803f, v[76:77]
	v_add_f64_e32 v[66:67], v[66:67], v[68:69]
	s_delay_alu instid0(VALU_DEP_2) | instskip(NEXT) | instid1(VALU_DEP_2)
	v_add_f64_e32 v[68:69], v[78:79], v[74:75]
	v_add_f64_e32 v[70:71], v[72:73], v[66:67]
	s_delay_alu instid0(VALU_DEP_2) | instskip(NEXT) | instid1(VALU_DEP_2)
	v_add_f64_e64 v[78:79], v[68:69], -v[78:79]
	v_add_f64_e32 v[76:77], v[68:69], v[70:71]
	v_add_f64_e64 v[72:73], v[70:71], -v[72:73]
	s_delay_alu instid0(VALU_DEP_3) | instskip(NEXT) | instid1(VALU_DEP_3)
	v_add_f64_e64 v[74:75], v[74:75], -v[78:79]
	v_add_f64_e64 v[80:81], v[76:77], -v[68:69]
	s_delay_alu instid0(VALU_DEP_3) | instskip(NEXT) | instid1(VALU_DEP_2)
	v_add_f64_e64 v[66:67], v[66:67], -v[72:73]
	v_add_f64_e64 v[82:83], v[76:77], -v[80:81]
	v_add_f64_e64 v[70:71], v[70:71], -v[80:81]
	s_delay_alu instid0(VALU_DEP_3) | instskip(NEXT) | instid1(VALU_DEP_3)
	v_add_f64_e32 v[72:73], v[74:75], v[66:67]
	v_add_f64_e64 v[68:69], v[68:69], -v[82:83]
	s_delay_alu instid0(VALU_DEP_1) | instskip(NEXT) | instid1(VALU_DEP_3)
	v_add_f64_e32 v[68:69], v[70:71], v[68:69]
	v_add_f64_e64 v[70:71], v[72:73], -v[74:75]
	s_delay_alu instid0(VALU_DEP_2) | instskip(NEXT) | instid1(VALU_DEP_2)
	v_add_f64_e32 v[68:69], v[72:73], v[68:69]
	v_add_f64_e64 v[72:73], v[72:73], -v[70:71]
	v_add_f64_e64 v[66:67], v[66:67], -v[70:71]
	s_delay_alu instid0(VALU_DEP_3) | instskip(NEXT) | instid1(VALU_DEP_3)
	v_add_f64_e32 v[78:79], v[76:77], v[68:69]
	v_add_f64_e64 v[70:71], v[74:75], -v[72:73]
	s_delay_alu instid0(VALU_DEP_2) | instskip(NEXT) | instid1(VALU_DEP_2)
	v_add_f64_e64 v[72:73], v[78:79], -v[76:77]
	v_add_f64_e32 v[66:67], v[66:67], v[70:71]
	v_add_f64_e64 v[70:71], |v[40:41]|, s[20:21]
	s_delay_alu instid0(VALU_DEP_3) | instskip(NEXT) | instid1(VALU_DEP_1)
	v_add_f64_e64 v[68:69], v[68:69], -v[72:73]
	v_add_f64_e32 v[66:67], v[66:67], v[68:69]
	v_add_f64_e64 v[68:69], -|v[40:41]|, 1.0
	s_delay_alu instid0(VALU_DEP_2) | instskip(NEXT) | instid1(VALU_DEP_2)
	v_add_f64_e32 v[66:67], v[78:79], v[66:67]
	v_dual_cndmask_b32 v56, v68, v70, s7 :: v_dual_cndmask_b32 v60, v69, v71, s7
	s_delay_alu instid0(VALU_DEP_1) | instskip(NEXT) | instid1(VALU_DEP_2)
	v_cndmask_b32_e64 v68, v56, v40, s8
	v_cndmask_b32_e64 v69, v60, v65, s8
	s_delay_alu instid0(VALU_DEP_4) | instskip(NEXT) | instid1(VALU_DEP_1)
	v_xor_b32_e32 v52, 0x80000000, v67
	v_cndmask_b32_e32 v52, 0xfff00000, v52, vcc_lo
	s_and_b32 vcc_lo, s6, vcc_lo
	v_cndmask_b32_e32 v66, 0, v66, vcc_lo
	s_delay_alu instid0(VALU_DEP_2)
	v_cndmask_b32_e64 v67, 0x7ff00000, v52, s6
	v_cndmask_b32_e64 v52, v64, 2, s8
.LBB12_130:                             ;   in Loop: Header=BB12_4 Depth=1
	s_or_b32 exec_lo, exec_lo, s48
	s_delay_alu instid0(SALU_CYCLE_1) | instskip(NEXT) | instid1(VALU_DEP_1)
	s_mov_b32 s6, exec_lo
                                        ; implicit-def: $vgpr70_vgpr71
	v_cmpx_lt_i32_e32 1, v52
	s_xor_b32 s6, exec_lo, s6
	s_cbranch_execz .LBB12_132
; %bb.131:                              ;   in Loop: Header=BB12_4 Depth=1
	v_fmamk_f64 v[70:71], v[68:69], 0x3f8b678bbf2bab09, v[12:13]
	v_fmamk_f64 v[72:73], v[68:69], 0x3f6a5abb57d0cf61, v[14:15]
                                        ; implicit-def: $vgpr52
	s_delay_alu instid0(VALU_DEP_2) | instskip(NEXT) | instid1(VALU_DEP_2)
	v_fmaak_f64 v[70:71], v[68:69], v[70:71], 0x3fef497644ea8450
	v_fmaak_f64 v[72:73], v[68:69], v[72:73], 0x3fe89dfbe45050af
	s_delay_alu instid0(VALU_DEP_2) | instskip(NEXT) | instid1(VALU_DEP_2)
	v_fmaak_f64 v[70:71], v[68:69], v[70:71], 0x3ff7475cd119bd6f
	v_fmaak_f64 v[72:73], v[68:69], v[72:73], 0x40010725a42b18f5
	;; [unrolled: 3-line block ×3, first 2 shown]
	s_delay_alu instid0(VALU_DEP_2) | instskip(NEXT) | instid1(VALU_DEP_2)
	v_fmaak_f64 v[70:71], v[68:69], v[70:71], 0xbfb3c467e37db0c8
	v_fma_f64 v[72:73], v[68:69], v[72:73], 1.0
	s_delay_alu instid0(VALU_DEP_2) | instskip(NEXT) | instid1(VALU_DEP_1)
	v_mul_f64_e32 v[70:71], v[68:69], v[70:71]
	v_div_scale_f64 v[74:75], null, v[72:73], v[72:73], v[70:71]
	s_delay_alu instid0(VALU_DEP_1) | instskip(SKIP_1) | instid1(TRANS32_DEP_1)
	v_rcp_f64_e32 v[76:77], v[74:75]
	v_nop
	v_fma_f64 v[78:79], -v[74:75], v[76:77], 1.0
	s_delay_alu instid0(VALU_DEP_1) | instskip(NEXT) | instid1(VALU_DEP_1)
	v_fmac_f64_e32 v[76:77], v[76:77], v[78:79]
	v_fma_f64 v[78:79], -v[74:75], v[76:77], 1.0
	s_delay_alu instid0(VALU_DEP_1) | instskip(SKIP_1) | instid1(VALU_DEP_1)
	v_fmac_f64_e32 v[76:77], v[76:77], v[78:79]
	v_div_scale_f64 v[78:79], vcc_lo, v[70:71], v[72:73], v[70:71]
	v_mul_f64_e32 v[80:81], v[78:79], v[76:77]
	s_delay_alu instid0(VALU_DEP_1) | instskip(NEXT) | instid1(VALU_DEP_1)
	v_fma_f64 v[74:75], -v[74:75], v[80:81], v[78:79]
	v_div_fmas_f64 v[74:75], v[74:75], v[76:77], v[80:81]
	s_delay_alu instid0(VALU_DEP_1) | instskip(NEXT) | instid1(VALU_DEP_1)
	v_div_fixup_f64 v[70:71], v[74:75], v[72:73], v[70:71]
	v_fmac_f64_e32 v[70:71], -0.5, v[68:69]
                                        ; implicit-def: $vgpr68_vgpr69
.LBB12_132:                             ;   in Loop: Header=BB12_4 Depth=1
	s_and_not1_saveexec_b32 s6, s6
	s_cbranch_execz .LBB12_138
; %bb.133:                              ;   in Loop: Header=BB12_4 Depth=1
	v_mul_f64_e32 v[72:73], v[68:69], v[68:69]
	s_mov_b32 s7, exec_lo
                                        ; implicit-def: $vgpr70_vgpr71
	v_cmpx_ne_u32_e32 1, v52
	s_xor_b32 s7, exec_lo, s7
	s_cbranch_execz .LBB12_135
; %bb.134:                              ;   in Loop: Header=BB12_4 Depth=1
	s_delay_alu instid0(VALU_DEP_2) | instskip(SKIP_1) | instid1(VALU_DEP_2)
	v_fmamk_f64 v[70:71], v[72:73], 0x3f07858e90a45837, v[28:29]
	v_fmamk_f64 v[74:75], v[72:73], 0x3efa7074428cfa52, v[26:27]
	v_fmaak_f64 v[70:71], v[72:73], v[70:71], 0x3f40b6c689b99c00
	s_delay_alu instid0(VALU_DEP_2) | instskip(NEXT) | instid1(VALU_DEP_2)
	v_fmaak_f64 v[74:75], v[72:73], v[74:75], 0x3f538a94116f3f5d
	v_fmaak_f64 v[70:71], v[72:73], v[70:71], 0x3f67add8ccb7926b
	s_delay_alu instid0(VALU_DEP_2) | instskip(NEXT) | instid1(VALU_DEP_2)
	v_fmaak_f64 v[74:75], v[72:73], v[74:75], 0x3f7e404fb68fefe8
	;; [unrolled: 3-line block ×3, first 2 shown]
	v_fmaak_f64 v[70:71], v[72:73], v[70:71], 0x3fd4a34cc4a60fad
	s_delay_alu instid0(VALU_DEP_1) | instskip(NEXT) | instid1(VALU_DEP_3)
	v_mul_f64_e32 v[70:71], v[72:73], v[70:71]
	v_fmaak_f64 v[72:73], v[72:73], v[74:75], 0x3fb3c467e37db0c8
	s_delay_alu instid0(VALU_DEP_1) | instskip(NEXT) | instid1(VALU_DEP_1)
	v_fmac_f64_e32 v[70:71], v[68:69], v[72:73]
                                        ; implicit-def: $vgpr72_vgpr73
	v_fmac_f64_e32 v[70:71], -0.5, v[68:69]
                                        ; implicit-def: $vgpr68_vgpr69
.LBB12_135:                             ;   in Loop: Header=BB12_4 Depth=1
	s_and_not1_saveexec_b32 s7, s7
	s_cbranch_execz .LBB12_137
; %bb.136:                              ;   in Loop: Header=BB12_4 Depth=1
	s_delay_alu instid0(VALU_DEP_2) | instskip(NEXT) | instid1(VALU_DEP_1)
	v_mul_f64_e32 v[70:71], v[68:69], v[72:73]
	v_fmamk_f64 v[74:75], v[70:71], 0xbf347f24ecc38c38, v[32:33]
	v_fmamk_f64 v[76:77], v[70:71], 0x3f35fd3ee8c2d3f4, v[34:35]
	s_delay_alu instid0(VALU_DEP_2) | instskip(NEXT) | instid1(VALU_DEP_2)
	v_fmaak_f64 v[74:75], v[70:71], v[74:75], 0xbf6e2effb3e914d7
	v_fmaak_f64 v[76:77], v[70:71], v[76:77], 0x3f6282d32e15c915
	s_delay_alu instid0(VALU_DEP_2) | instskip(NEXT) | instid1(VALU_DEP_2)
	v_fmaak_f64 v[74:75], v[70:71], v[74:75], 0x3f9266e7970af9ec
	v_fmaak_f64 v[76:77], v[70:71], v[76:77], 0xbf851f9fba91ec6a
	;; [unrolled: 3-line block ×3, first 2 shown]
	s_delay_alu instid0(VALU_DEP_1) | instskip(NEXT) | instid1(VALU_DEP_1)
	v_fmac_f64_e32 v[74:75], v[68:69], v[76:77]
	v_fma_f64 v[68:69], v[70:71], -v[74:75], s[26:27]
	v_fmamk_f64 v[74:75], v[70:71], 0x3f34af6d6c0ebbf7, v[30:31]
	s_delay_alu instid0(VALU_DEP_1) | instskip(NEXT) | instid1(VALU_DEP_1)
	v_fmaak_f64 v[74:75], v[70:71], v[74:75], 0x3f78fce0e370e344
	v_fmaak_f64 v[74:75], v[70:71], v[74:75], 0xbfa0c9a8df35b713
	s_delay_alu instid0(VALU_DEP_1) | instskip(NEXT) | instid1(VALU_DEP_1)
	v_fmaak_f64 v[70:71], v[70:71], v[74:75], 0x3fdef72bc8ee38a2
	v_fma_f64 v[68:69], v[72:73], v[70:71], -v[68:69]
	s_delay_alu instid0(VALU_DEP_1)
	v_add_f64_e32 v[70:71], 0xbfbf19b9bcc38a42, v[68:69]
.LBB12_137:                             ;   in Loop: Header=BB12_4 Depth=1
	s_or_b32 exec_lo, exec_lo, s7
.LBB12_138:                             ;   in Loop: Header=BB12_4 Depth=1
	s_delay_alu instid0(SALU_CYCLE_1) | instskip(NEXT) | instid1(VALU_DEP_1)
	s_or_b32 exec_lo, exec_lo, s6
	v_add_f64_e32 v[66:67], v[66:67], v[70:71]
.LBB12_139:                             ;   in Loop: Header=BB12_4 Depth=1
	s_or_b32 exec_lo, exec_lo, s33
.LBB12_140:                             ;   in Loop: Header=BB12_4 Depth=1
	s_and_not1_saveexec_b32 s7, s9
	s_cbranch_execz .LBB12_142
; %bb.141:                              ;   in Loop: Header=BB12_4 Depth=1
	v_frexp_mant_f64_e64 v[66:67], |v[40:41]|
	v_cmp_neq_f64_e64 s6, 0, v[40:41]
	s_delay_alu instid0(VALU_DEP_2) | instskip(SKIP_1) | instid1(VALU_DEP_1)
	v_cmp_gt_f64_e32 vcc_lo, s[14:15], v[66:67]
	v_cndmask_b32_e64 v52, 0, 1, vcc_lo
	v_ldexp_f64 v[66:67], v[66:67], v52
	v_frexp_exp_i32_f64_e32 v52, v[40:41]
	s_delay_alu instid0(VALU_DEP_2) | instskip(SKIP_1) | instid1(VALU_DEP_3)
	v_add_f64_e32 v[68:69], 1.0, v[66:67]
	v_add_f64_e32 v[74:75], -1.0, v[66:67]
	v_subrev_co_ci_u32_e64 v52, null, 0, v52, vcc_lo
	v_cmp_neq_f64_e64 vcc_lo, 0x7ff00000, |v[40:41]|
	s_delay_alu instid0(VALU_DEP_4) | instskip(SKIP_1) | instid1(VALU_DEP_1)
	v_rcp_f64_e32 v[70:71], v[68:69]
	v_add_f64_e32 v[76:77], -1.0, v[68:69]
	v_add_f64_e64 v[66:67], v[66:67], -v[76:77]
	s_delay_alu instid0(TRANS32_DEP_1) | instskip(NEXT) | instid1(VALU_DEP_1)
	v_fma_f64 v[72:73], -v[68:69], v[70:71], 1.0
	v_fmac_f64_e32 v[70:71], v[72:73], v[70:71]
	s_delay_alu instid0(VALU_DEP_1) | instskip(NEXT) | instid1(VALU_DEP_1)
	v_fma_f64 v[72:73], -v[68:69], v[70:71], 1.0
	v_fmac_f64_e32 v[70:71], v[72:73], v[70:71]
	s_delay_alu instid0(VALU_DEP_1) | instskip(NEXT) | instid1(VALU_DEP_1)
	v_mul_f64_e32 v[72:73], v[74:75], v[70:71]
	v_mul_f64_e32 v[78:79], v[68:69], v[72:73]
	s_delay_alu instid0(VALU_DEP_1) | instskip(NEXT) | instid1(VALU_DEP_1)
	v_fma_f64 v[68:69], v[72:73], v[68:69], -v[78:79]
	v_fmac_f64_e32 v[68:69], v[72:73], v[66:67]
	s_delay_alu instid0(VALU_DEP_1) | instskip(NEXT) | instid1(VALU_DEP_1)
	v_add_f64_e32 v[66:67], v[78:79], v[68:69]
	v_add_f64_e64 v[76:77], v[74:75], -v[66:67]
	v_add_f64_e64 v[78:79], v[66:67], -v[78:79]
	s_delay_alu instid0(VALU_DEP_2) | instskip(NEXT) | instid1(VALU_DEP_2)
	v_add_f64_e64 v[74:75], v[74:75], -v[76:77]
	v_add_f64_e64 v[68:69], v[78:79], -v[68:69]
	s_delay_alu instid0(VALU_DEP_2) | instskip(NEXT) | instid1(VALU_DEP_1)
	v_add_f64_e64 v[66:67], v[74:75], -v[66:67]
	v_add_f64_e32 v[66:67], v[68:69], v[66:67]
	s_delay_alu instid0(VALU_DEP_1) | instskip(NEXT) | instid1(VALU_DEP_1)
	v_add_f64_e32 v[66:67], v[76:77], v[66:67]
	v_mul_f64_e32 v[66:67], v[70:71], v[66:67]
	s_delay_alu instid0(VALU_DEP_1) | instskip(NEXT) | instid1(VALU_DEP_1)
	v_add_f64_e32 v[68:69], v[72:73], v[66:67]
	v_mul_f64_e32 v[70:71], v[68:69], v[68:69]
	s_delay_alu instid0(VALU_DEP_1) | instskip(SKIP_1) | instid1(VALU_DEP_2)
	v_fmamk_f64 v[74:75], v[70:71], 0x3fc3ab76bf559e2b, v[4:5]
	v_mul_f64_e32 v[76:77], v[68:69], v[70:71]
	v_fmaak_f64 v[74:75], v[70:71], v[74:75], 0x3fc7474dd7f4df2e
	s_delay_alu instid0(VALU_DEP_1) | instskip(NEXT) | instid1(VALU_DEP_1)
	v_fmaak_f64 v[74:75], v[70:71], v[74:75], 0x3fcc71c016291751
	v_fmaak_f64 v[74:75], v[70:71], v[74:75], 0x3fd249249b27acf1
	s_delay_alu instid0(VALU_DEP_1) | instskip(NEXT) | instid1(VALU_DEP_1)
	v_fmaak_f64 v[74:75], v[70:71], v[74:75], 0x3fd99999998ef7b6
	v_fmaak_f64 v[70:71], v[70:71], v[74:75], 0x3fe5555555555780
	v_ldexp_f64 v[74:75], v[68:69], 1
	v_add_f64_e64 v[68:69], v[68:69], -v[72:73]
	s_delay_alu instid0(VALU_DEP_3) | instskip(SKIP_1) | instid1(VALU_DEP_3)
	v_mul_f64_e32 v[70:71], v[76:77], v[70:71]
	v_cvt_f64_i32_e32 v[76:77], v52
	v_add_f64_e64 v[66:67], v[66:67], -v[68:69]
	s_delay_alu instid0(VALU_DEP_3) | instskip(NEXT) | instid1(VALU_DEP_3)
	v_add_f64_e32 v[72:73], v[74:75], v[70:71]
	v_mul_f64_e32 v[78:79], 0x3fe62e42fefa39ef, v[76:77]
	s_delay_alu instid0(VALU_DEP_3) | instskip(NEXT) | instid1(VALU_DEP_3)
	v_ldexp_f64 v[66:67], v[66:67], 1
	v_add_f64_e64 v[68:69], v[72:73], -v[74:75]
	s_delay_alu instid0(VALU_DEP_3) | instskip(NEXT) | instid1(VALU_DEP_2)
	v_fma_f64 v[74:75], v[76:77], s[16:17], -v[78:79]
	v_add_f64_e64 v[68:69], v[70:71], -v[68:69]
	s_delay_alu instid0(VALU_DEP_2) | instskip(NEXT) | instid1(VALU_DEP_2)
	v_fmac_f64_e32 v[74:75], 0x3c7abc9e3b39803f, v[76:77]
	v_add_f64_e32 v[66:67], v[66:67], v[68:69]
	s_delay_alu instid0(VALU_DEP_2) | instskip(NEXT) | instid1(VALU_DEP_2)
	v_add_f64_e32 v[68:69], v[78:79], v[74:75]
	v_add_f64_e32 v[70:71], v[72:73], v[66:67]
	s_delay_alu instid0(VALU_DEP_2) | instskip(NEXT) | instid1(VALU_DEP_2)
	v_add_f64_e64 v[78:79], v[68:69], -v[78:79]
	v_add_f64_e32 v[76:77], v[68:69], v[70:71]
	v_add_f64_e64 v[72:73], v[70:71], -v[72:73]
	s_delay_alu instid0(VALU_DEP_3) | instskip(NEXT) | instid1(VALU_DEP_3)
	v_add_f64_e64 v[74:75], v[74:75], -v[78:79]
	v_add_f64_e64 v[80:81], v[76:77], -v[68:69]
	s_delay_alu instid0(VALU_DEP_3) | instskip(NEXT) | instid1(VALU_DEP_2)
	v_add_f64_e64 v[66:67], v[66:67], -v[72:73]
	v_add_f64_e64 v[82:83], v[76:77], -v[80:81]
	;; [unrolled: 1-line block ×3, first 2 shown]
	s_delay_alu instid0(VALU_DEP_3) | instskip(NEXT) | instid1(VALU_DEP_3)
	v_add_f64_e32 v[72:73], v[74:75], v[66:67]
	v_add_f64_e64 v[68:69], v[68:69], -v[82:83]
	s_delay_alu instid0(VALU_DEP_1) | instskip(NEXT) | instid1(VALU_DEP_3)
	v_add_f64_e32 v[68:69], v[70:71], v[68:69]
	v_add_f64_e64 v[70:71], v[72:73], -v[74:75]
	s_delay_alu instid0(VALU_DEP_2) | instskip(NEXT) | instid1(VALU_DEP_2)
	v_add_f64_e32 v[68:69], v[72:73], v[68:69]
	v_add_f64_e64 v[72:73], v[72:73], -v[70:71]
	v_add_f64_e64 v[66:67], v[66:67], -v[70:71]
	s_delay_alu instid0(VALU_DEP_3) | instskip(NEXT) | instid1(VALU_DEP_3)
	v_add_f64_e32 v[78:79], v[76:77], v[68:69]
	v_add_f64_e64 v[70:71], v[74:75], -v[72:73]
	s_delay_alu instid0(VALU_DEP_2) | instskip(NEXT) | instid1(VALU_DEP_2)
	v_add_f64_e64 v[72:73], v[78:79], -v[76:77]
	v_add_f64_e32 v[66:67], v[66:67], v[70:71]
	v_fma_f64 v[70:71], |v[40:41]|, s[30:31], s[28:29]
	s_delay_alu instid0(VALU_DEP_3) | instskip(NEXT) | instid1(VALU_DEP_1)
	v_add_f64_e64 v[68:69], v[68:69], -v[72:73]
	v_add_f64_e32 v[66:67], v[66:67], v[68:69]
	s_delay_alu instid0(VALU_DEP_3) | instskip(NEXT) | instid1(VALU_DEP_2)
	v_fma_f64 v[68:69], |v[40:41]|, v[70:71], s[34:35]
	v_add_f64_e32 v[66:67], v[78:79], v[66:67]
	s_delay_alu instid0(VALU_DEP_2) | instskip(NEXT) | instid1(VALU_DEP_2)
	v_fma_f64 v[68:69], |v[40:41]|, v[68:69], s[36:37]
	v_xor_b32_e32 v52, 0x80000000, v67
	s_delay_alu instid0(VALU_DEP_2) | instskip(NEXT) | instid1(VALU_DEP_2)
	v_fma_f64 v[68:69], |v[40:41]|, v[68:69], s[38:39]
	v_cndmask_b32_e32 v52, 0xfff00000, v52, vcc_lo
	s_and_b32 vcc_lo, s6, vcc_lo
	v_cndmask_b32_e32 v66, 0, v66, vcc_lo
	s_delay_alu instid0(VALU_DEP_2) | instskip(NEXT) | instid1(VALU_DEP_1)
	v_cndmask_b32_e64 v67, 0x7ff00000, v52, s6
	v_fma_f64 v[66:67], |v[40:41]|, v[68:69], v[66:67]
.LBB12_142:                             ;   in Loop: Header=BB12_4 Depth=1
	s_or_b32 exec_lo, exec_lo, s7
	s_delay_alu instid0(SALU_CYCLE_1)
	s_mov_b32 s6, exec_lo
	v_cmpx_le_f64_e32 0, v[40:41]
	s_xor_b32 s7, exec_lo, s6
	s_cbranch_execnz .LBB12_148
; %bb.143:                              ;   in Loop: Header=BB12_4 Depth=1
	s_and_not1_saveexec_b32 s7, s7
	s_cbranch_execnz .LBB12_149
.LBB12_144:                             ;   in Loop: Header=BB12_4 Depth=1
	s_or_b32 exec_lo, exec_lo, s7
	s_and_saveexec_b32 s6, s5
	s_delay_alu instid0(SALU_CYCLE_1)
	s_xor_b32 s6, exec_lo, s6
	s_cbranch_execnz .LBB12_152
.LBB12_145:                             ;   in Loop: Header=BB12_4 Depth=1
	s_or_b32 exec_lo, exec_lo, s6
	s_and_saveexec_b32 s5, s4
	s_cbranch_execnz .LBB12_153
.LBB12_146:                             ;   in Loop: Header=BB12_4 Depth=1
	s_or_b32 exec_lo, exec_lo, s5
	s_and_saveexec_b32 s4, s3
	s_cbranch_execnz .LBB12_154
.LBB12_147:                             ;   in Loop: Header=BB12_4 Depth=1
	s_or_b32 exec_lo, exec_lo, s4
	s_and_saveexec_b32 s3, s2
	s_cbranch_execz .LBB12_3
	s_branch .LBB12_155
.LBB12_148:                             ;   in Loop: Header=BB12_4 Depth=1
	v_cmp_eq_f64_e32 vcc_lo, 1.0, v[40:41]
	v_cmp_eq_f64_e64 s6, 2.0, v[40:41]
	s_or_b32 s6, vcc_lo, s6
	s_delay_alu instid0(SALU_CYCLE_1)
	v_cndmask_b32_e64 v67, v67, 0, s6
	v_cndmask_b32_e64 v66, v66, 0, s6
	s_and_not1_saveexec_b32 s7, s7
	s_cbranch_execz .LBB12_144
.LBB12_149:                             ;   in Loop: Header=BB12_4 Depth=1
	v_add_nc_u32_e32 v52, 0xc32fffff, v65
	s_mov_b32 s8, exec_lo
	s_delay_alu instid0(VALU_DEP_1)
	v_cmpx_gt_u32_e32 0x65fffff, v52
	s_cbranch_execz .LBB12_151
; %bb.150:                              ;   in Loop: Header=BB12_4 Depth=1
	v_mul_f64_e64 v[68:69], |v[40:41]|, 0.5
	v_cmp_class_f64_e64 s6, v[40:41], 0x1f8
	s_delay_alu instid0(VALU_DEP_2) | instskip(SKIP_1) | instid1(VALU_DEP_2)
	v_fract_f64_e32 v[70:71], v[68:69]
	v_cmp_neq_f64_e64 vcc_lo, 0x7ff00000, |v[68:69]|
	v_add_f64_e32 v[70:71], v[70:71], v[70:71]
	s_delay_alu instid0(VALU_DEP_1) | instskip(SKIP_1) | instid1(VALU_DEP_2)
	v_dual_cndmask_b32 v52, 0, v70, vcc_lo :: v_dual_cndmask_b32 v56, 0, v71, vcc_lo
	v_cmp_gt_f64_e64 vcc_lo, |v[40:41]|, 1.0
	v_cndmask_b32_e32 v69, v65, v56, vcc_lo
	s_delay_alu instid0(VALU_DEP_3) | instskip(NEXT) | instid1(VALU_DEP_1)
	v_cndmask_b32_e32 v68, v40, v52, vcc_lo
	v_add_f64_e32 v[70:71], v[68:69], v[68:69]
	s_delay_alu instid0(VALU_DEP_1) | instskip(NEXT) | instid1(VALU_DEP_1)
	v_rndne_f64_e32 v[70:71], v[70:71]
	v_cvt_i32_f64_e32 v52, v[70:71]
	s_delay_alu instid0(VALU_DEP_1) | instskip(SKIP_2) | instid1(VALU_DEP_3)
	v_and_b32_e32 v56, 1, v52
	v_fmac_f64_e32 v[68:69], -0.5, v[70:71]
	v_lshlrev_b32_e32 v52, 30, v52
	v_cmp_eq_u32_e32 vcc_lo, 0, v56
	s_delay_alu instid0(VALU_DEP_3) | instskip(NEXT) | instid1(VALU_DEP_1)
	v_mul_f64_e32 v[72:73], v[68:69], v[68:69]
	v_fmamk_f64 v[74:75], v[72:73], 0x3f3e357ef99eb0bb, v[36:37]
	v_mul_f64_e32 v[76:77], v[68:69], v[72:73]
	v_fmamk_f64 v[78:79], v[72:73], 0xbf1b167302e21c33, v[38:39]
	s_delay_alu instid0(VALU_DEP_3) | instskip(NEXT) | instid1(VALU_DEP_2)
	v_fmaak_f64 v[74:75], v[72:73], v[74:75], 0x3fb50782d5f14825
	v_fmaak_f64 v[78:79], v[72:73], v[78:79], 0xbf9a6d1e7294bff9
	s_delay_alu instid0(VALU_DEP_2) | instskip(NEXT) | instid1(VALU_DEP_1)
	v_fmaak_f64 v[74:75], v[72:73], v[74:75], 0xbfe32d2ccdfe9424
	v_fmaak_f64 v[74:75], v[72:73], v[74:75], 0x400466bc67754fff
	s_delay_alu instid0(VALU_DEP_1) | instskip(NEXT) | instid1(VALU_DEP_1)
	v_fmaak_f64 v[74:75], v[72:73], v[74:75], 0xc014abbce625be09
	v_mul_f64_e32 v[74:75], v[76:77], v[74:75]
	v_fmaak_f64 v[76:77], v[72:73], v[78:79], 0x3fce1f5067b90b37
	s_delay_alu instid0(VALU_DEP_1) | instskip(NEXT) | instid1(VALU_DEP_1)
	v_fmaak_f64 v[76:77], v[72:73], v[76:77], 0xbff55d3c7e3c325b
	v_fmaak_f64 v[76:77], v[72:73], v[76:77], 0x40103c1f081b5a67
	s_delay_alu instid0(VALU_DEP_1) | instskip(NEXT) | instid1(VALU_DEP_1)
	v_fmaak_f64 v[76:77], v[72:73], v[76:77], 0xc013bd3cc9be45de
	v_fma_f64 v[70:71], v[72:73], v[76:77], 1.0
	v_fmac_f64_e32 v[74:75], 0x400921fb54442d18, v[68:69]
	s_delay_alu instid0(VALU_DEP_1) | instskip(NEXT) | instid1(VALU_DEP_1)
	v_dual_cndmask_b32 v56, v70, v74, vcc_lo :: v_dual_bitop2_b32 v52, v52, v41 bitop3:0x14
	v_dual_cndmask_b32 v60, v71, v75, vcc_lo :: v_dual_cndmask_b32 v68, 0, v56, s6
	s_delay_alu instid0(VALU_DEP_1) | instskip(NEXT) | instid1(VALU_DEP_1)
	v_bitop3_b32 v52, v60, v52, 0x80000000 bitop3:0x78
	v_cndmask_b32_e64 v69, 0x7ff80000, v52, s6
	v_cmp_class_f64_e64 s6, v[40:41], 0x204
	s_delay_alu instid0(VALU_DEP_2) | instskip(NEXT) | instid1(VALU_DEP_1)
	v_mul_f64_e32 v[68:69], v[40:41], v[68:69]
	v_and_b32_e32 v71, 0x7fffffff, v69
	s_delay_alu instid0(VALU_DEP_2) | instskip(NEXT) | instid1(VALU_DEP_1)
	v_mov_b32_e32 v70, v68
	v_div_scale_f64 v[72:73], null, v[70:71], v[70:71], s[40:41]
	v_div_scale_f64 v[70:71], vcc_lo, s[40:41], v[70:71], s[40:41]
	s_delay_alu instid0(VALU_DEP_2) | instskip(SKIP_1) | instid1(TRANS32_DEP_1)
	v_rcp_f64_e32 v[74:75], v[72:73]
	v_nop
	v_fma_f64 v[76:77], -v[72:73], v[74:75], 1.0
	s_delay_alu instid0(VALU_DEP_1) | instskip(NEXT) | instid1(VALU_DEP_1)
	v_fmac_f64_e32 v[74:75], v[74:75], v[76:77]
	v_fma_f64 v[76:77], -v[72:73], v[74:75], 1.0
	s_delay_alu instid0(VALU_DEP_1) | instskip(NEXT) | instid1(VALU_DEP_1)
	v_fmac_f64_e32 v[74:75], v[74:75], v[76:77]
	v_mul_f64_e32 v[76:77], v[70:71], v[74:75]
	s_delay_alu instid0(VALU_DEP_1) | instskip(NEXT) | instid1(VALU_DEP_1)
	v_fma_f64 v[70:71], -v[72:73], v[76:77], v[70:71]
	v_div_fmas_f64 v[70:71], v[70:71], v[74:75], v[76:77]
	s_delay_alu instid0(VALU_DEP_1) | instskip(NEXT) | instid1(VALU_DEP_1)
	v_div_fixup_f64 v[68:69], v[70:71], |v[68:69]|, s[40:41]
	v_frexp_mant_f64_e32 v[70:71], v[68:69]
	s_delay_alu instid0(VALU_DEP_1) | instskip(SKIP_1) | instid1(VALU_DEP_1)
	v_cmp_gt_f64_e32 vcc_lo, s[14:15], v[70:71]
	v_cndmask_b32_e64 v52, 0, 1, vcc_lo
	v_ldexp_f64 v[70:71], v[70:71], v52
	v_frexp_exp_i32_f64_e32 v52, v[68:69]
	s_delay_alu instid0(VALU_DEP_1) | instskip(SKIP_1) | instid1(VALU_DEP_4)
	v_subrev_co_ci_u32_e64 v52, null, 0, v52, vcc_lo
	v_cmp_class_f64_e64 vcc_lo, v[68:69], 0x204
	v_add_f64_e32 v[72:73], 1.0, v[70:71]
	v_add_f64_e32 v[78:79], -1.0, v[70:71]
	s_delay_alu instid0(VALU_DEP_2) | instskip(SKIP_1) | instid1(VALU_DEP_1)
	v_rcp_f64_e32 v[74:75], v[72:73]
	v_add_f64_e32 v[80:81], -1.0, v[72:73]
	v_add_f64_e64 v[70:71], v[70:71], -v[80:81]
	s_delay_alu instid0(TRANS32_DEP_1) | instskip(NEXT) | instid1(VALU_DEP_1)
	v_fma_f64 v[76:77], -v[72:73], v[74:75], 1.0
	v_fmac_f64_e32 v[74:75], v[76:77], v[74:75]
	s_delay_alu instid0(VALU_DEP_1) | instskip(NEXT) | instid1(VALU_DEP_1)
	v_fma_f64 v[76:77], -v[72:73], v[74:75], 1.0
	v_fmac_f64_e32 v[74:75], v[76:77], v[74:75]
	s_delay_alu instid0(VALU_DEP_1) | instskip(NEXT) | instid1(VALU_DEP_1)
	v_mul_f64_e32 v[76:77], v[78:79], v[74:75]
	v_mul_f64_e32 v[82:83], v[72:73], v[76:77]
	s_delay_alu instid0(VALU_DEP_1) | instskip(NEXT) | instid1(VALU_DEP_1)
	v_fma_f64 v[72:73], v[76:77], v[72:73], -v[82:83]
	v_fmac_f64_e32 v[72:73], v[76:77], v[70:71]
	s_delay_alu instid0(VALU_DEP_1) | instskip(NEXT) | instid1(VALU_DEP_1)
	v_add_f64_e32 v[70:71], v[82:83], v[72:73]
	v_add_f64_e64 v[80:81], v[78:79], -v[70:71]
	v_add_f64_e64 v[82:83], v[70:71], -v[82:83]
	s_delay_alu instid0(VALU_DEP_2) | instskip(NEXT) | instid1(VALU_DEP_2)
	v_add_f64_e64 v[78:79], v[78:79], -v[80:81]
	v_add_f64_e64 v[72:73], v[82:83], -v[72:73]
	s_delay_alu instid0(VALU_DEP_2) | instskip(NEXT) | instid1(VALU_DEP_1)
	v_add_f64_e64 v[70:71], v[78:79], -v[70:71]
	v_add_f64_e32 v[70:71], v[72:73], v[70:71]
	s_delay_alu instid0(VALU_DEP_1) | instskip(NEXT) | instid1(VALU_DEP_1)
	v_add_f64_e32 v[70:71], v[80:81], v[70:71]
	v_mul_f64_e32 v[70:71], v[74:75], v[70:71]
	s_delay_alu instid0(VALU_DEP_1) | instskip(NEXT) | instid1(VALU_DEP_1)
	v_add_f64_e32 v[72:73], v[76:77], v[70:71]
	v_mul_f64_e32 v[74:75], v[72:73], v[72:73]
	s_delay_alu instid0(VALU_DEP_1) | instskip(SKIP_1) | instid1(VALU_DEP_2)
	v_fmamk_f64 v[78:79], v[74:75], 0x3fc3ab76bf559e2b, v[4:5]
	v_mul_f64_e32 v[80:81], v[72:73], v[74:75]
	v_fmaak_f64 v[78:79], v[74:75], v[78:79], 0x3fc7474dd7f4df2e
	s_delay_alu instid0(VALU_DEP_1) | instskip(NEXT) | instid1(VALU_DEP_1)
	v_fmaak_f64 v[78:79], v[74:75], v[78:79], 0x3fcc71c016291751
	v_fmaak_f64 v[78:79], v[74:75], v[78:79], 0x3fd249249b27acf1
	s_delay_alu instid0(VALU_DEP_1) | instskip(NEXT) | instid1(VALU_DEP_1)
	v_fmaak_f64 v[78:79], v[74:75], v[78:79], 0x3fd99999998ef7b6
	v_fmaak_f64 v[74:75], v[74:75], v[78:79], 0x3fe5555555555780
	v_ldexp_f64 v[78:79], v[72:73], 1
	v_add_f64_e64 v[72:73], v[72:73], -v[76:77]
	s_delay_alu instid0(VALU_DEP_3) | instskip(SKIP_1) | instid1(VALU_DEP_3)
	v_mul_f64_e32 v[74:75], v[80:81], v[74:75]
	v_cvt_f64_i32_e32 v[80:81], v52
	v_add_f64_e64 v[70:71], v[70:71], -v[72:73]
	s_delay_alu instid0(VALU_DEP_3) | instskip(NEXT) | instid1(VALU_DEP_3)
	v_add_f64_e32 v[76:77], v[78:79], v[74:75]
	v_mul_f64_e32 v[82:83], 0x3fe62e42fefa39ef, v[80:81]
	s_delay_alu instid0(VALU_DEP_3) | instskip(NEXT) | instid1(VALU_DEP_3)
	v_ldexp_f64 v[70:71], v[70:71], 1
	v_add_f64_e64 v[72:73], v[76:77], -v[78:79]
	s_delay_alu instid0(VALU_DEP_3) | instskip(NEXT) | instid1(VALU_DEP_2)
	v_fma_f64 v[78:79], v[80:81], s[16:17], -v[82:83]
	v_add_f64_e64 v[72:73], v[74:75], -v[72:73]
	s_delay_alu instid0(VALU_DEP_2) | instskip(NEXT) | instid1(VALU_DEP_2)
	v_fmac_f64_e32 v[78:79], 0x3c7abc9e3b39803f, v[80:81]
	v_add_f64_e32 v[70:71], v[70:71], v[72:73]
	s_delay_alu instid0(VALU_DEP_2) | instskip(NEXT) | instid1(VALU_DEP_2)
	v_add_f64_e32 v[72:73], v[82:83], v[78:79]
	v_add_f64_e32 v[74:75], v[76:77], v[70:71]
	s_delay_alu instid0(VALU_DEP_2) | instskip(NEXT) | instid1(VALU_DEP_2)
	v_add_f64_e64 v[82:83], v[72:73], -v[82:83]
	v_add_f64_e32 v[80:81], v[72:73], v[74:75]
	v_add_f64_e64 v[76:77], v[74:75], -v[76:77]
	s_delay_alu instid0(VALU_DEP_3) | instskip(NEXT) | instid1(VALU_DEP_3)
	v_add_f64_e64 v[78:79], v[78:79], -v[82:83]
	v_add_f64_e64 v[84:85], v[80:81], -v[72:73]
	s_delay_alu instid0(VALU_DEP_3) | instskip(NEXT) | instid1(VALU_DEP_2)
	v_add_f64_e64 v[70:71], v[70:71], -v[76:77]
	v_add_f64_e64 v[86:87], v[80:81], -v[84:85]
	;; [unrolled: 1-line block ×3, first 2 shown]
	s_delay_alu instid0(VALU_DEP_3) | instskip(NEXT) | instid1(VALU_DEP_3)
	v_add_f64_e32 v[76:77], v[78:79], v[70:71]
	v_add_f64_e64 v[72:73], v[72:73], -v[86:87]
	s_delay_alu instid0(VALU_DEP_1) | instskip(NEXT) | instid1(VALU_DEP_3)
	v_add_f64_e32 v[72:73], v[74:75], v[72:73]
	v_add_f64_e64 v[74:75], v[76:77], -v[78:79]
	s_delay_alu instid0(VALU_DEP_2) | instskip(NEXT) | instid1(VALU_DEP_2)
	v_add_f64_e32 v[72:73], v[76:77], v[72:73]
	v_add_f64_e64 v[76:77], v[76:77], -v[74:75]
	v_add_f64_e64 v[70:71], v[70:71], -v[74:75]
	s_delay_alu instid0(VALU_DEP_3) | instskip(NEXT) | instid1(VALU_DEP_3)
	v_add_f64_e32 v[82:83], v[80:81], v[72:73]
	v_add_f64_e64 v[74:75], v[78:79], -v[76:77]
	s_delay_alu instid0(VALU_DEP_2) | instskip(NEXT) | instid1(VALU_DEP_2)
	v_add_f64_e64 v[76:77], v[82:83], -v[80:81]
	v_add_f64_e32 v[70:71], v[70:71], v[74:75]
	s_delay_alu instid0(VALU_DEP_2) | instskip(NEXT) | instid1(VALU_DEP_1)
	v_add_f64_e64 v[72:73], v[72:73], -v[76:77]
	v_add_f64_e32 v[70:71], v[70:71], v[72:73]
	s_delay_alu instid0(VALU_DEP_1) | instskip(NEXT) | instid1(VALU_DEP_1)
	v_add_f64_e32 v[70:71], v[82:83], v[70:71]
	v_dual_cndmask_b32 v52, v70, v68, vcc_lo :: v_dual_cndmask_b32 v56, v71, v69, vcc_lo
	v_cmp_neq_f64_e32 vcc_lo, 0, v[68:69]
	v_fract_f64_e32 v[68:69], v[40:41]
	s_delay_alu instid0(VALU_DEP_3) | instskip(NEXT) | instid1(VALU_DEP_4)
	v_cndmask_b32_e32 v71, 0xfff00000, v56, vcc_lo
	v_cndmask_b32_e32 v70, 0, v52, vcc_lo
	s_delay_alu instid0(VALU_DEP_3) | instskip(NEXT) | instid1(VALU_DEP_2)
	v_cmp_eq_f64_e32 vcc_lo, 0, v[68:69]
	v_add_f64_e64 v[66:67], v[70:71], -v[66:67]
	s_or_b32 s6, s6, vcc_lo
	s_delay_alu instid0(VALU_DEP_1) | instid1(SALU_CYCLE_1)
	v_cndmask_b32_e64 v67, v67, 0x7ff00000, s6
	s_delay_alu instid0(VALU_DEP_2)
	v_cndmask_b32_e64 v66, v66, 0, s6
.LBB12_151:                             ;   in Loop: Header=BB12_4 Depth=1
	s_or_b32 exec_lo, exec_lo, s8
	s_delay_alu instid0(SALU_CYCLE_1) | instskip(SKIP_1) | instid1(SALU_CYCLE_1)
	s_or_b32 exec_lo, exec_lo, s7
	s_and_saveexec_b32 s6, s5
	s_xor_b32 s6, exec_lo, s6
	s_cbranch_execz .LBB12_145
.LBB12_152:                             ;   in Loop: Header=BB12_4 Depth=1
	v_cmp_gt_f64_e32 vcc_lo, 0, v[50:51]
	v_cmp_class_f64_e64 s7, v[50:51], 0x264
	v_cmp_lt_u32_e64 s5, 0x432fffff, v53
	s_and_b32 s5, vcc_lo, s5
	v_cmp_u_f64_e32 vcc_lo, v[50:51], v[50:51]
	s_or_b32 s5, s7, s5
	s_delay_alu instid0(SALU_CYCLE_1) | instskip(SKIP_1) | instid1(VALU_DEP_1)
	v_cndmask_b32_e64 v52, v54, 0, s5
	v_cndmask_b32_e64 v53, v55, 0x7ff00000, s5
	v_dual_cndmask_b32 v51, v53, v51 :: v_dual_cndmask_b32 v50, v52, v50
	global_store_b64 v[18:19], v[50:51], off
	s_wait_xcnt 0x0
	s_or_b32 exec_lo, exec_lo, s6
	s_and_saveexec_b32 s5, s4
	s_cbranch_execz .LBB12_146
.LBB12_153:                             ;   in Loop: Header=BB12_4 Depth=1
	v_cmp_gt_f64_e32 vcc_lo, 0, v[44:45]
	v_cmp_class_f64_e64 s6, v[44:45], 0x264
	v_cmp_lt_u32_e64 s4, 0x432fffff, v57
	s_and_b32 s4, vcc_lo, s4
	v_cmp_u_f64_e32 vcc_lo, v[44:45], v[44:45]
	s_or_b32 s4, s6, s4
	s_delay_alu instid0(SALU_CYCLE_1) | instskip(SKIP_1) | instid1(VALU_DEP_1)
	v_cndmask_b32_e64 v50, v58, 0, s4
	v_cndmask_b32_e64 v51, v59, 0x7ff00000, s4
	v_dual_cndmask_b32 v45, v51, v45 :: v_dual_cndmask_b32 v44, v50, v44
	global_store_b64 v[24:25], v[44:45], off
	s_wait_xcnt 0x0
	s_or_b32 exec_lo, exec_lo, s5
	s_and_saveexec_b32 s4, s3
	s_cbranch_execz .LBB12_147
.LBB12_154:                             ;   in Loop: Header=BB12_4 Depth=1
	v_cmp_gt_f64_e32 vcc_lo, 0, v[48:49]
	v_cmp_class_f64_e64 s5, v[48:49], 0x264
	v_cmp_lt_u32_e64 s3, 0x432fffff, v61
	s_and_b32 s3, vcc_lo, s3
	v_cmp_u_f64_e32 vcc_lo, v[48:49], v[48:49]
	s_or_b32 s3, s5, s3
	s_delay_alu instid0(SALU_CYCLE_1) | instskip(SKIP_1) | instid1(VALU_DEP_1)
	v_cndmask_b32_e64 v44, v62, 0, s3
	v_cndmask_b32_e64 v45, v63, 0x7ff00000, s3
	v_dual_cndmask_b32 v45, v45, v49 :: v_dual_cndmask_b32 v44, v44, v48
	global_store_b64 v[46:47], v[44:45], off
	s_wait_xcnt 0x0
	s_or_b32 exec_lo, exec_lo, s4
	s_and_saveexec_b32 s3, s2
	s_cbranch_execz .LBB12_3
.LBB12_155:                             ;   in Loop: Header=BB12_4 Depth=1
	v_cmp_gt_f64_e32 vcc_lo, 0, v[40:41]
	v_cmp_class_f64_e64 s4, v[40:41], 0x264
	v_cmp_lt_u32_e64 s2, 0x432fffff, v65
	s_and_b32 s2, vcc_lo, s2
	v_cmp_u_f64_e32 vcc_lo, v[40:41], v[40:41]
	s_or_b32 s2, s4, s2
	s_delay_alu instid0(SALU_CYCLE_1) | instskip(SKIP_1) | instid1(VALU_DEP_1)
	v_cndmask_b32_e64 v44, v66, 0, s2
	v_cndmask_b32_e64 v45, v67, 0x7ff00000, s2
	v_dual_cndmask_b32 v41, v45, v41 :: v_dual_cndmask_b32 v40, v44, v40
	global_store_b64 v[42:43], v[40:41], off
	s_branch .LBB12_3
.LBB12_156:
	s_cbranch_execz .LBB12_158
	s_branch .LBB12_297
.LBB12_157:
.LBB12_158:
	v_min_i64 v[10:11], 0x10000, s[12:13]
	v_dual_mov_b32 v3, 0 :: v_dual_lshlrev_b32 v2, 2, v0
	s_mov_b32 s2, exec_lo
	s_delay_alu instid0(VALU_DEP_1)
	v_cmpx_lt_i64_e64 v[2:3], v[10:11]
	s_cbranch_execz .LBB12_297
; %bb.159:
	v_mov_b64_e32 v[12:13], 0x3fc385386b47b09a
	v_mov_b64_e32 v[14:15], 0x3f4b67ba4cdad5d1
	;; [unrolled: 1-line block ×13, first 2 shown]
	v_mov_b32_e32 v1, v3
	s_mov_b64 s[8:9], 0x3fe5555555555555
	s_mov_b64 s[12:13], 0x3fe62e42fefa39ef
	;; [unrolled: 1-line block ×11, first 2 shown]
	s_add_nc_u64 s[34:35], s[0:1], 0xd30
	s_mov_b32 s7, 0
	s_mov_b32 s33, 0
                                        ; implicit-def: $vgpr2_vgpr3
                                        ; implicit-def: $vgpr2_vgpr3
	;; [unrolled: 1-line block ×51, first 2 shown]
	s_branch .LBB12_162
.LBB12_160:                             ;   in Loop: Header=BB12_162 Depth=1
	s_or_b32 exec_lo, exec_lo, s2
.LBB12_161:                             ;   in Loop: Header=BB12_162 Depth=1
	s_delay_alu instid0(SALU_CYCLE_1)
	s_or_b32 exec_lo, exec_lo, s1
	v_cmp_gt_f64_e64 s0, 0, v[8:9]
	v_cmp_gt_f64_e64 s1, 0, v[6:7]
	;; [unrolled: 1-line block ×3, first 2 shown]
	v_cmp_class_f64_e64 s37, v[8:9], 0x264
	v_cmp_class_f64_e64 s38, v[6:7], 0x264
	;; [unrolled: 1-line block ×3, first 2 shown]
	v_cmp_gt_f64_e32 vcc_lo, 0, v[2:3]
	v_cmp_lt_u32_e64 s4, 0x432fffff, v45
	v_cmp_lt_u32_e64 s5, 0x432fffff, v41
	v_cmp_lt_u32_e64 s6, 0x432fffff, v53
	v_cmp_class_f64_e64 s36, v[2:3], 0x264
	v_cmp_lt_u32_e64 s3, 0x432fffff, v49
	s_and_b32 s0, s0, s4
	s_and_b32 s1, s1, s5
	;; [unrolled: 1-line block ×3, first 2 shown]
	s_or_b32 s0, s37, s0
	s_or_b32 s1, s38, s1
	;; [unrolled: 1-line block ×3, first 2 shown]
	s_and_b32 s3, vcc_lo, s3
	v_cndmask_b32_e64 v41, v46, 0, s0
	v_cndmask_b32_e64 v42, v42, 0, s1
	;; [unrolled: 1-line block ×3, first 2 shown]
	v_cmp_u_f64_e32 vcc_lo, v[2:3], v[2:3]
	v_cndmask_b32_e64 v46, v47, 0x7ff00000, s0
	v_cmp_u_f64_e64 s0, v[8:9], v[8:9]
	v_cndmask_b32_e64 v43, v43, 0x7ff00000, s1
	v_cmp_u_f64_e64 s1, v[6:7], v[6:7]
	;; [unrolled: 2-line block ×3, first 2 shown]
	s_or_b32 s3, s36, s3
	s_delay_alu instid0(SALU_CYCLE_1) | instskip(SKIP_1) | instid1(VALU_DEP_1)
	v_cndmask_b32_e64 v45, v51, 0x7ff00000, s3
	v_cndmask_b32_e64 v40, v50, 0, s3
	v_dual_cndmask_b32 v3, v45, v3 :: v_dual_cndmask_b32 v2, v40, v2
	v_dual_cndmask_b32 v9, v46, v9, s0 :: v_dual_cndmask_b32 v8, v41, v8, s0
	v_dual_cndmask_b32 v7, v43, v7, s1 :: v_dual_cndmask_b32 v6, v42, v6, s1
	;; [unrolled: 1-line block ×3, first 2 shown]
	s_clause 0x1
	global_store_b128 v[38:39], v[6:9], off
	global_store_b128 v[38:39], v[2:5], off offset:16
	s_load_b32 s0, s[34:35], 0xc
	s_wait_kmcnt 0x0
	s_and_b32 s6, s0, 0xffff
	s_delay_alu instid0(SALU_CYCLE_1) | instskip(NEXT) | instid1(VALU_DEP_1)
	v_add_nc_u64_e32 v[0:1], s[6:7], v[0:1]
	v_lshlrev_b64_e32 v[2:3], 2, v[0:1]
	s_delay_alu instid0(VALU_DEP_1) | instskip(SKIP_1) | instid1(SALU_CYCLE_1)
	v_cmp_ge_i64_e32 vcc_lo, v[2:3], v[10:11]
	s_or_b32 s33, vcc_lo, s33
	s_and_not1_b32 exec_lo, exec_lo, s33
	s_cbranch_execz .LBB12_297
.LBB12_162:                             ; =>This Inner Loop Header: Depth=1
	v_lshlrev_b64_e32 v[2:3], 5, v[0:1]
                                        ; implicit-def: $vgpr42_vgpr43
	s_mov_b32 s0, exec_lo
	s_delay_alu instid0(VALU_DEP_1)
	v_add_nc_u64_e32 v[38:39], s[10:11], v[2:3]
	s_clause 0x1
	global_load_b128 v[6:9], v[38:39], off
	global_load_b128 v[2:5], v[38:39], off offset:16
	s_wait_loadcnt 0x1
	v_and_b32_e32 v41, 0x7fffffff, v7
	v_mov_b32_e32 v40, v6
	s_wait_xcnt 0x0
	s_delay_alu instid0(VALU_DEP_2)
	v_cmpx_lt_u32_e32 0x3f6fffff, v41
	s_xor_b32 s3, exec_lo, s0
	s_cbranch_execz .LBB12_188
; %bb.163:                              ;   in Loop: Header=BB12_162 Depth=1
                                        ; implicit-def: $vgpr42_vgpr43
	s_mov_b32 s0, exec_lo
	v_cmpx_lt_u32_e32 0x3fffffff, v41
	s_xor_b32 s1, exec_lo, s0
	s_cbranch_execz .LBB12_173
; %bb.164:                              ;   in Loop: Header=BB12_162 Depth=1
                                        ; implicit-def: $vgpr42_vgpr43
	s_mov_b32 s0, exec_lo
	;; [unrolled: 6-line block ×3, first 2 shown]
	v_cmpx_lt_u32_e32 0x438fffff, v41
	s_xor_b32 s4, exec_lo, s0
	s_cbranch_execz .LBB12_167
; %bb.166:                              ;   in Loop: Header=BB12_162 Depth=1
	v_frexp_mant_f64_e64 v[42:43], |v[6:7]|
	v_cmp_neq_f64_e64 s0, 0, v[6:7]
	s_delay_alu instid0(VALU_DEP_2) | instskip(SKIP_1) | instid1(VALU_DEP_1)
	v_cmp_gt_f64_e32 vcc_lo, s[8:9], v[42:43]
	v_cndmask_b32_e64 v40, 0, 1, vcc_lo
	v_ldexp_f64 v[42:43], v[42:43], v40
	v_frexp_exp_i32_f64_e32 v40, v[6:7]
	s_delay_alu instid0(VALU_DEP_2) | instskip(SKIP_1) | instid1(VALU_DEP_3)
	v_add_f64_e32 v[44:45], 1.0, v[42:43]
	v_add_f64_e32 v[50:51], -1.0, v[42:43]
	v_subrev_co_ci_u32_e64 v40, null, 0, v40, vcc_lo
	v_cmp_neq_f64_e64 vcc_lo, 0x7ff00000, |v[6:7]|
	s_delay_alu instid0(VALU_DEP_4) | instskip(SKIP_1) | instid1(VALU_DEP_1)
	v_rcp_f64_e32 v[46:47], v[44:45]
	v_add_f64_e32 v[52:53], -1.0, v[44:45]
	v_add_f64_e64 v[42:43], v[42:43], -v[52:53]
	s_delay_alu instid0(TRANS32_DEP_1) | instskip(NEXT) | instid1(VALU_DEP_1)
	v_fma_f64 v[48:49], -v[44:45], v[46:47], 1.0
	v_fmac_f64_e32 v[46:47], v[48:49], v[46:47]
	s_delay_alu instid0(VALU_DEP_1) | instskip(NEXT) | instid1(VALU_DEP_1)
	v_fma_f64 v[48:49], -v[44:45], v[46:47], 1.0
	v_fmac_f64_e32 v[46:47], v[48:49], v[46:47]
	s_delay_alu instid0(VALU_DEP_1) | instskip(NEXT) | instid1(VALU_DEP_1)
	v_mul_f64_e32 v[48:49], v[50:51], v[46:47]
	v_mul_f64_e32 v[54:55], v[44:45], v[48:49]
	s_delay_alu instid0(VALU_DEP_1) | instskip(NEXT) | instid1(VALU_DEP_1)
	v_fma_f64 v[44:45], v[48:49], v[44:45], -v[54:55]
	v_fmac_f64_e32 v[44:45], v[48:49], v[42:43]
	s_delay_alu instid0(VALU_DEP_1) | instskip(NEXT) | instid1(VALU_DEP_1)
	v_add_f64_e32 v[42:43], v[54:55], v[44:45]
	v_add_f64_e64 v[52:53], v[50:51], -v[42:43]
	v_add_f64_e64 v[54:55], v[42:43], -v[54:55]
	s_delay_alu instid0(VALU_DEP_2) | instskip(NEXT) | instid1(VALU_DEP_2)
	v_add_f64_e64 v[50:51], v[50:51], -v[52:53]
	v_add_f64_e64 v[44:45], v[54:55], -v[44:45]
	s_delay_alu instid0(VALU_DEP_2) | instskip(NEXT) | instid1(VALU_DEP_1)
	v_add_f64_e64 v[42:43], v[50:51], -v[42:43]
	v_add_f64_e32 v[42:43], v[44:45], v[42:43]
	s_delay_alu instid0(VALU_DEP_1) | instskip(NEXT) | instid1(VALU_DEP_1)
	v_add_f64_e32 v[42:43], v[52:53], v[42:43]
	v_mul_f64_e32 v[42:43], v[46:47], v[42:43]
	s_delay_alu instid0(VALU_DEP_1) | instskip(NEXT) | instid1(VALU_DEP_1)
	v_add_f64_e32 v[44:45], v[48:49], v[42:43]
	v_mul_f64_e32 v[46:47], v[44:45], v[44:45]
	s_delay_alu instid0(VALU_DEP_1) | instskip(SKIP_1) | instid1(VALU_DEP_2)
	v_fmamk_f64 v[50:51], v[46:47], 0x3fc3ab76bf559e2b, v[12:13]
	v_mul_f64_e32 v[52:53], v[44:45], v[46:47]
	v_fmaak_f64 v[50:51], v[46:47], v[50:51], 0x3fc7474dd7f4df2e
	s_delay_alu instid0(VALU_DEP_1) | instskip(NEXT) | instid1(VALU_DEP_1)
	v_fmaak_f64 v[50:51], v[46:47], v[50:51], 0x3fcc71c016291751
	v_fmaak_f64 v[50:51], v[46:47], v[50:51], 0x3fd249249b27acf1
	s_delay_alu instid0(VALU_DEP_1) | instskip(NEXT) | instid1(VALU_DEP_1)
	v_fmaak_f64 v[50:51], v[46:47], v[50:51], 0x3fd99999998ef7b6
	v_fmaak_f64 v[46:47], v[46:47], v[50:51], 0x3fe5555555555780
	v_ldexp_f64 v[50:51], v[44:45], 1
	v_add_f64_e64 v[44:45], v[44:45], -v[48:49]
	s_delay_alu instid0(VALU_DEP_3) | instskip(SKIP_1) | instid1(VALU_DEP_3)
	v_mul_f64_e32 v[46:47], v[52:53], v[46:47]
	v_cvt_f64_i32_e32 v[52:53], v40
	v_add_f64_e64 v[42:43], v[42:43], -v[44:45]
	s_delay_alu instid0(VALU_DEP_3) | instskip(NEXT) | instid1(VALU_DEP_3)
	v_add_f64_e32 v[48:49], v[50:51], v[46:47]
	v_mul_f64_e32 v[54:55], 0x3fe62e42fefa39ef, v[52:53]
	s_delay_alu instid0(VALU_DEP_3) | instskip(NEXT) | instid1(VALU_DEP_3)
	v_ldexp_f64 v[42:43], v[42:43], 1
	v_add_f64_e64 v[44:45], v[48:49], -v[50:51]
	s_delay_alu instid0(VALU_DEP_3) | instskip(NEXT) | instid1(VALU_DEP_2)
	v_fma_f64 v[50:51], v[52:53], s[12:13], -v[54:55]
	v_add_f64_e64 v[44:45], v[46:47], -v[44:45]
	s_delay_alu instid0(VALU_DEP_2) | instskip(NEXT) | instid1(VALU_DEP_2)
	v_fmac_f64_e32 v[50:51], 0x3c7abc9e3b39803f, v[52:53]
	v_add_f64_e32 v[42:43], v[42:43], v[44:45]
	s_delay_alu instid0(VALU_DEP_2) | instskip(NEXT) | instid1(VALU_DEP_2)
	v_add_f64_e32 v[44:45], v[54:55], v[50:51]
	v_add_f64_e32 v[46:47], v[48:49], v[42:43]
	s_delay_alu instid0(VALU_DEP_2) | instskip(NEXT) | instid1(VALU_DEP_2)
	v_add_f64_e64 v[54:55], v[44:45], -v[54:55]
	v_add_f64_e32 v[52:53], v[44:45], v[46:47]
	v_add_f64_e64 v[48:49], v[46:47], -v[48:49]
	s_delay_alu instid0(VALU_DEP_3) | instskip(NEXT) | instid1(VALU_DEP_3)
	v_add_f64_e64 v[50:51], v[50:51], -v[54:55]
	v_add_f64_e64 v[56:57], v[52:53], -v[44:45]
	s_delay_alu instid0(VALU_DEP_3) | instskip(NEXT) | instid1(VALU_DEP_2)
	v_add_f64_e64 v[42:43], v[42:43], -v[48:49]
	v_add_f64_e64 v[58:59], v[52:53], -v[56:57]
	;; [unrolled: 1-line block ×3, first 2 shown]
	s_delay_alu instid0(VALU_DEP_3) | instskip(NEXT) | instid1(VALU_DEP_3)
	v_add_f64_e32 v[48:49], v[50:51], v[42:43]
	v_add_f64_e64 v[44:45], v[44:45], -v[58:59]
	s_delay_alu instid0(VALU_DEP_1) | instskip(NEXT) | instid1(VALU_DEP_3)
	v_add_f64_e32 v[44:45], v[46:47], v[44:45]
	v_add_f64_e64 v[46:47], v[48:49], -v[50:51]
	s_delay_alu instid0(VALU_DEP_2) | instskip(NEXT) | instid1(VALU_DEP_2)
	v_add_f64_e32 v[44:45], v[48:49], v[44:45]
	v_add_f64_e64 v[48:49], v[48:49], -v[46:47]
	v_add_f64_e64 v[42:43], v[42:43], -v[46:47]
	s_delay_alu instid0(VALU_DEP_3) | instskip(NEXT) | instid1(VALU_DEP_3)
	v_add_f64_e32 v[54:55], v[52:53], v[44:45]
	v_add_f64_e64 v[46:47], v[50:51], -v[48:49]
	s_delay_alu instid0(VALU_DEP_2) | instskip(NEXT) | instid1(VALU_DEP_2)
	v_add_f64_e64 v[48:49], v[54:55], -v[52:53]
	v_add_f64_e32 v[42:43], v[42:43], v[46:47]
	s_delay_alu instid0(VALU_DEP_2) | instskip(NEXT) | instid1(VALU_DEP_1)
	v_add_f64_e64 v[44:45], v[44:45], -v[48:49]
	v_add_f64_e32 v[42:43], v[42:43], v[44:45]
	s_delay_alu instid0(VALU_DEP_1) | instskip(NEXT) | instid1(VALU_DEP_1)
	v_add_f64_e32 v[42:43], v[54:55], v[42:43]
	v_cndmask_b32_e32 v40, 0x7ff00000, v43, vcc_lo
	s_and_b32 vcc_lo, s0, vcc_lo
	s_delay_alu instid0(VALU_DEP_2) | instskip(NEXT) | instid1(VALU_DEP_2)
	v_cndmask_b32_e32 v42, 0, v42, vcc_lo
	v_cndmask_b32_e64 v43, 0xfff00000, v40, s0
	s_delay_alu instid0(VALU_DEP_1)
	v_fma_f64 v[42:43], |v[6:7]|, v[42:43], -|v[6:7]|
.LBB12_167:                             ;   in Loop: Header=BB12_162 Depth=1
	s_and_not1_saveexec_b32 s4, s4
	s_cbranch_execz .LBB12_169
; %bb.168:                              ;   in Loop: Header=BB12_162 Depth=1
	v_frexp_mant_f64_e64 v[42:43], |v[6:7]|
	v_and_b32_e32 v57, 0x7fffffff, v7
	v_cmp_neq_f64_e64 s0, 0, v[6:7]
	v_mov_b32_e32 v56, v6
	s_delay_alu instid0(VALU_DEP_1) | instskip(SKIP_1) | instid1(VALU_DEP_2)
	v_div_scale_f64 v[58:59], null, v[56:57], v[56:57], 1.0
	v_cmp_gt_f64_e32 vcc_lo, s[8:9], v[42:43]
	v_rcp_f64_e32 v[62:63], v[58:59]
	v_cndmask_b32_e64 v40, 0, 1, vcc_lo
	s_delay_alu instid0(VALU_DEP_1) | instskip(SKIP_1) | instid1(TRANS32_DEP_1)
	v_ldexp_f64 v[42:43], v[42:43], v40
	v_frexp_exp_i32_f64_e32 v40, v[6:7]
	v_fma_f64 v[66:67], -v[58:59], v[62:63], 1.0
	s_delay_alu instid0(VALU_DEP_3) | instskip(SKIP_1) | instid1(VALU_DEP_4)
	v_add_f64_e32 v[44:45], 1.0, v[42:43]
	v_add_f64_e32 v[50:51], -1.0, v[42:43]
	v_subrev_co_ci_u32_e64 v40, null, 0, v40, vcc_lo
	v_div_scale_f64 v[56:57], vcc_lo, 1.0, v[56:57], 1.0
	v_fmac_f64_e32 v[62:63], v[62:63], v[66:67]
	v_rcp_f64_e32 v[46:47], v[44:45]
	v_add_f64_e32 v[52:53], -1.0, v[44:45]
	s_delay_alu instid0(VALU_DEP_1) | instskip(NEXT) | instid1(TRANS32_DEP_1)
	v_add_f64_e64 v[42:43], v[42:43], -v[52:53]
	v_fma_f64 v[48:49], -v[44:45], v[46:47], 1.0
	s_delay_alu instid0(VALU_DEP_1) | instskip(NEXT) | instid1(VALU_DEP_1)
	v_fmac_f64_e32 v[46:47], v[48:49], v[46:47]
	v_fma_f64 v[48:49], -v[44:45], v[46:47], 1.0
	s_delay_alu instid0(VALU_DEP_1) | instskip(NEXT) | instid1(VALU_DEP_1)
	v_fmac_f64_e32 v[46:47], v[48:49], v[46:47]
	v_mul_f64_e32 v[48:49], v[50:51], v[46:47]
	s_delay_alu instid0(VALU_DEP_1) | instskip(NEXT) | instid1(VALU_DEP_1)
	v_mul_f64_e32 v[54:55], v[44:45], v[48:49]
	v_fma_f64 v[44:45], v[48:49], v[44:45], -v[54:55]
	s_delay_alu instid0(VALU_DEP_1) | instskip(NEXT) | instid1(VALU_DEP_1)
	v_fmac_f64_e32 v[44:45], v[48:49], v[42:43]
	v_add_f64_e32 v[42:43], v[54:55], v[44:45]
	s_delay_alu instid0(VALU_DEP_1) | instskip(SKIP_1) | instid1(VALU_DEP_2)
	v_add_f64_e64 v[52:53], v[50:51], -v[42:43]
	v_add_f64_e64 v[54:55], v[42:43], -v[54:55]
	;; [unrolled: 1-line block ×3, first 2 shown]
	s_delay_alu instid0(VALU_DEP_2) | instskip(NEXT) | instid1(VALU_DEP_2)
	v_add_f64_e64 v[44:45], v[54:55], -v[44:45]
	v_add_f64_e64 v[42:43], v[50:51], -v[42:43]
	s_delay_alu instid0(VALU_DEP_1) | instskip(NEXT) | instid1(VALU_DEP_1)
	v_add_f64_e32 v[42:43], v[44:45], v[42:43]
	v_add_f64_e32 v[42:43], v[52:53], v[42:43]
	s_delay_alu instid0(VALU_DEP_1) | instskip(NEXT) | instid1(VALU_DEP_1)
	v_mul_f64_e32 v[42:43], v[46:47], v[42:43]
	v_add_f64_e32 v[44:45], v[48:49], v[42:43]
	s_delay_alu instid0(VALU_DEP_1) | instskip(NEXT) | instid1(VALU_DEP_1)
	v_mul_f64_e32 v[46:47], v[44:45], v[44:45]
	v_fmamk_f64 v[50:51], v[46:47], 0x3fc3ab76bf559e2b, v[12:13]
	v_mul_f64_e32 v[52:53], v[44:45], v[46:47]
	s_delay_alu instid0(VALU_DEP_2) | instskip(NEXT) | instid1(VALU_DEP_1)
	v_fmaak_f64 v[50:51], v[46:47], v[50:51], 0x3fc7474dd7f4df2e
	v_fmaak_f64 v[50:51], v[46:47], v[50:51], 0x3fcc71c016291751
	s_delay_alu instid0(VALU_DEP_1) | instskip(NEXT) | instid1(VALU_DEP_1)
	v_fmaak_f64 v[50:51], v[46:47], v[50:51], 0x3fd249249b27acf1
	v_fmaak_f64 v[50:51], v[46:47], v[50:51], 0x3fd99999998ef7b6
	s_delay_alu instid0(VALU_DEP_1) | instskip(SKIP_2) | instid1(VALU_DEP_3)
	v_fmaak_f64 v[46:47], v[46:47], v[50:51], 0x3fe5555555555780
	v_ldexp_f64 v[50:51], v[44:45], 1
	v_add_f64_e64 v[44:45], v[44:45], -v[48:49]
	v_mul_f64_e32 v[46:47], v[52:53], v[46:47]
	v_cvt_f64_i32_e32 v[52:53], v40
	s_delay_alu instid0(VALU_DEP_3) | instskip(NEXT) | instid1(VALU_DEP_3)
	v_add_f64_e64 v[42:43], v[42:43], -v[44:45]
	v_add_f64_e32 v[48:49], v[50:51], v[46:47]
	s_delay_alu instid0(VALU_DEP_3) | instskip(NEXT) | instid1(VALU_DEP_3)
	v_mul_f64_e32 v[54:55], 0x3fe62e42fefa39ef, v[52:53]
	v_ldexp_f64 v[42:43], v[42:43], 1
	s_delay_alu instid0(VALU_DEP_3) | instskip(NEXT) | instid1(VALU_DEP_3)
	v_add_f64_e64 v[44:45], v[48:49], -v[50:51]
	v_fma_f64 v[50:51], v[52:53], s[12:13], -v[54:55]
	s_delay_alu instid0(VALU_DEP_2) | instskip(NEXT) | instid1(VALU_DEP_2)
	v_add_f64_e64 v[44:45], v[46:47], -v[44:45]
	v_fmac_f64_e32 v[50:51], 0x3c7abc9e3b39803f, v[52:53]
	s_delay_alu instid0(VALU_DEP_2) | instskip(NEXT) | instid1(VALU_DEP_2)
	v_add_f64_e32 v[42:43], v[42:43], v[44:45]
	v_add_f64_e32 v[44:45], v[54:55], v[50:51]
	s_delay_alu instid0(VALU_DEP_2) | instskip(NEXT) | instid1(VALU_DEP_2)
	v_add_f64_e32 v[46:47], v[48:49], v[42:43]
	v_add_f64_e64 v[54:55], v[44:45], -v[54:55]
	s_delay_alu instid0(VALU_DEP_2) | instskip(SKIP_1) | instid1(VALU_DEP_3)
	v_add_f64_e32 v[52:53], v[44:45], v[46:47]
	v_add_f64_e64 v[48:49], v[46:47], -v[48:49]
	v_add_f64_e64 v[50:51], v[50:51], -v[54:55]
	s_delay_alu instid0(VALU_DEP_3) | instskip(NEXT) | instid1(VALU_DEP_3)
	v_add_f64_e64 v[60:61], v[52:53], -v[44:45]
	v_add_f64_e64 v[42:43], v[42:43], -v[48:49]
	s_delay_alu instid0(VALU_DEP_2) | instskip(SKIP_1) | instid1(VALU_DEP_3)
	v_add_f64_e64 v[64:65], v[52:53], -v[60:61]
	v_add_f64_e64 v[46:47], v[46:47], -v[60:61]
	v_add_f64_e32 v[48:49], v[50:51], v[42:43]
	s_delay_alu instid0(VALU_DEP_3) | instskip(NEXT) | instid1(VALU_DEP_2)
	v_add_f64_e64 v[44:45], v[44:45], -v[64:65]
	v_add_f64_e64 v[54:55], v[48:49], -v[50:51]
	s_delay_alu instid0(VALU_DEP_2) | instskip(SKIP_1) | instid1(VALU_DEP_3)
	v_add_f64_e32 v[44:45], v[46:47], v[44:45]
	v_fma_f64 v[46:47], -v[58:59], v[62:63], 1.0
	v_add_f64_e64 v[42:43], v[42:43], -v[54:55]
	s_delay_alu instid0(VALU_DEP_3) | instskip(NEXT) | instid1(VALU_DEP_3)
	v_add_f64_e32 v[44:45], v[48:49], v[44:45]
	v_fmac_f64_e32 v[62:63], v[62:63], v[46:47]
	v_add_f64_e64 v[46:47], v[48:49], -v[54:55]
	s_delay_alu instid0(VALU_DEP_3) | instskip(NEXT) | instid1(VALU_DEP_3)
	v_add_f64_e32 v[48:49], v[52:53], v[44:45]
	v_mul_f64_e32 v[60:61], v[56:57], v[62:63]
	s_delay_alu instid0(VALU_DEP_3) | instskip(NEXT) | instid1(VALU_DEP_3)
	v_add_f64_e64 v[46:47], v[50:51], -v[46:47]
	v_add_f64_e64 v[50:51], v[48:49], -v[52:53]
	s_delay_alu instid0(VALU_DEP_3) | instskip(NEXT) | instid1(VALU_DEP_3)
	v_fma_f64 v[52:53], -v[58:59], v[60:61], v[56:57]
	v_add_f64_e32 v[42:43], v[42:43], v[46:47]
	s_delay_alu instid0(VALU_DEP_3) | instskip(NEXT) | instid1(VALU_DEP_3)
	v_add_f64_e64 v[44:45], v[44:45], -v[50:51]
	v_div_fmas_f64 v[46:47], v[52:53], v[62:63], v[60:61]
	v_cmp_neq_f64_e64 vcc_lo, 0x7ff00000, |v[6:7]|
	v_add_f64_e64 v[50:51], |v[6:7]|, -0.5
	s_delay_alu instid0(VALU_DEP_4) | instskip(NEXT) | instid1(VALU_DEP_4)
	v_add_f64_e32 v[42:43], v[42:43], v[44:45]
	v_div_fixup_f64 v[44:45], v[46:47], |v[6:7]|, 1.0
	s_delay_alu instid0(VALU_DEP_2) | instskip(NEXT) | instid1(VALU_DEP_2)
	v_add_f64_e32 v[42:43], v[48:49], v[42:43]
	v_mul_f64_e32 v[46:47], v[44:45], v[44:45]
	s_delay_alu instid0(VALU_DEP_2) | instskip(NEXT) | instid1(VALU_DEP_2)
	v_add_f64_e32 v[48:49], -1.0, v[42:43]
	v_fmamk_f64 v[42:43], v[46:47], 0xbf5ab89d0b9e43e4, v[14:15]
	s_delay_alu instid0(VALU_DEP_1) | instskip(NEXT) | instid1(VALU_DEP_1)
	v_fmaak_f64 v[42:43], v[46:47], v[42:43], 0xbf4380cb8c0fe741
	v_fmaak_f64 v[42:43], v[46:47], v[42:43], 0x3f4a019f98cf38b6
	s_delay_alu instid0(VALU_DEP_1) | instskip(NEXT) | instid1(VALU_DEP_1)
	v_fmaak_f64 v[42:43], v[46:47], v[42:43], 0xbf66c16c16b02e5c
	v_fmaak_f64 v[42:43], v[46:47], v[42:43], 0x3fb555555555553b
	v_cndmask_b32_e32 v40, 0x7ff00000, v49, vcc_lo
	s_and_b32 vcc_lo, s0, vcc_lo
	s_delay_alu instid0(VALU_DEP_2) | instskip(NEXT) | instid1(VALU_DEP_2)
	v_fmaak_f64 v[42:43], v[44:45], v[42:43], 0x3fdacfe390c97d69
	v_cndmask_b32_e64 v45, 0xfff00000, v40, s0
	v_cndmask_b32_e32 v44, 0, v48, vcc_lo
	s_delay_alu instid0(VALU_DEP_1)
	v_fmac_f64_e32 v[42:43], v[50:51], v[44:45]
.LBB12_169:                             ;   in Loop: Header=BB12_162 Depth=1
	s_or_b32 exec_lo, exec_lo, s4
.LBB12_170:                             ;   in Loop: Header=BB12_162 Depth=1
	s_and_not1_saveexec_b32 s2, s2
	s_cbranch_execz .LBB12_172
; %bb.171:                              ;   in Loop: Header=BB12_162 Depth=1
	v_cvt_i32_f64_e32 v40, v[40:41]
	s_delay_alu instid0(VALU_DEP_1) | instskip(SKIP_2) | instid1(VALU_DEP_3)
	v_cvt_f64_i32_e32 v[42:43], v40
	v_cmp_lt_i32_e32 vcc_lo, 2, v40
	v_cmp_lt_i32_e64 s0, 3, v40
	v_add_f64_e64 v[42:43], |v[6:7]|, -v[42:43]
	s_delay_alu instid0(VALU_DEP_1) | instskip(SKIP_2) | instid1(VALU_DEP_2)
	v_add_f64_e32 v[48:49], 4.0, v[42:43]
	v_add_f64_e32 v[44:45], 2.0, v[42:43]
	v_add_f64_e32 v[46:47], 0x40080000, v[42:43]
	v_cndmask_b32_e32 v45, 0x3ff00000, v45, vcc_lo
	s_delay_alu instid0(VALU_DEP_3) | instskip(SKIP_1) | instid1(VALU_DEP_4)
	v_cndmask_b32_e32 v44, 0, v44, vcc_lo
	v_cmp_lt_i32_e32 vcc_lo, 4, v40
	v_cndmask_b32_e64 v47, 0x3ff00000, v47, s0
	v_cndmask_b32_e32 v49, 0x3ff00000, v49, vcc_lo
	v_dual_cndmask_b32 v48, 0, v48, vcc_lo :: v_dual_cndmask_b32 v46, 0, v46, s0
	v_cmp_lt_i32_e32 vcc_lo, 5, v40
	s_delay_alu instid0(VALU_DEP_2) | instskip(SKIP_1) | instid1(VALU_DEP_2)
	v_mul_f64_e32 v[44:45], v[44:45], v[46:47]
	v_add_f64_e32 v[46:47], 0x40140000, v[42:43]
	v_mul_f64_e32 v[44:45], v[48:49], v[44:45]
	v_add_f64_e32 v[48:49], 0x40180000, v[42:43]
	s_delay_alu instid0(VALU_DEP_3) | instskip(NEXT) | instid1(VALU_DEP_4)
	v_cndmask_b32_e32 v47, 0x3ff00000, v47, vcc_lo
	v_cndmask_b32_e32 v46, 0, v46, vcc_lo
	v_cmp_lt_i32_e32 vcc_lo, 6, v40
	s_delay_alu instid0(VALU_DEP_2) | instskip(SKIP_2) | instid1(VALU_DEP_1)
	v_mul_f64_e32 v[44:45], v[46:47], v[44:45]
	v_cndmask_b32_e32 v47, 0x3ff00000, v49, vcc_lo
	v_cndmask_b32_e32 v46, 0, v48, vcc_lo
	v_mul_f64_e32 v[44:45], v[46:47], v[44:45]
	s_delay_alu instid0(VALU_DEP_1) | instskip(NEXT) | instid1(VALU_DEP_1)
	v_frexp_mant_f64_e32 v[46:47], v[44:45]
	v_cmp_gt_f64_e32 vcc_lo, s[8:9], v[46:47]
	v_cndmask_b32_e64 v40, 0, 1, vcc_lo
	s_delay_alu instid0(VALU_DEP_1) | instskip(SKIP_1) | instid1(VALU_DEP_2)
	v_ldexp_f64 v[46:47], v[46:47], v40
	v_frexp_exp_i32_f64_e32 v40, v[44:45]
	v_add_f64_e32 v[48:49], 1.0, v[46:47]
	v_add_f64_e32 v[54:55], -1.0, v[46:47]
	s_delay_alu instid0(VALU_DEP_3) | instskip(NEXT) | instid1(VALU_DEP_3)
	v_subrev_co_ci_u32_e64 v40, null, 0, v40, vcc_lo
	v_rcp_f64_e32 v[50:51], v[48:49]
	v_add_f64_e32 v[56:57], -1.0, v[48:49]
	s_delay_alu instid0(VALU_DEP_1) | instskip(NEXT) | instid1(TRANS32_DEP_1)
	v_add_f64_e64 v[46:47], v[46:47], -v[56:57]
	v_fma_f64 v[52:53], -v[48:49], v[50:51], 1.0
	s_delay_alu instid0(VALU_DEP_1) | instskip(NEXT) | instid1(VALU_DEP_1)
	v_fmac_f64_e32 v[50:51], v[52:53], v[50:51]
	v_fma_f64 v[52:53], -v[48:49], v[50:51], 1.0
	s_delay_alu instid0(VALU_DEP_1) | instskip(NEXT) | instid1(VALU_DEP_1)
	v_fmac_f64_e32 v[50:51], v[52:53], v[50:51]
	v_mul_f64_e32 v[52:53], v[54:55], v[50:51]
	s_delay_alu instid0(VALU_DEP_1) | instskip(NEXT) | instid1(VALU_DEP_1)
	v_mul_f64_e32 v[58:59], v[48:49], v[52:53]
	v_fma_f64 v[48:49], v[52:53], v[48:49], -v[58:59]
	s_delay_alu instid0(VALU_DEP_1) | instskip(NEXT) | instid1(VALU_DEP_1)
	v_fmac_f64_e32 v[48:49], v[52:53], v[46:47]
	v_add_f64_e32 v[46:47], v[58:59], v[48:49]
	s_delay_alu instid0(VALU_DEP_1) | instskip(SKIP_1) | instid1(VALU_DEP_2)
	v_add_f64_e64 v[56:57], v[54:55], -v[46:47]
	v_add_f64_e64 v[58:59], v[46:47], -v[58:59]
	;; [unrolled: 1-line block ×3, first 2 shown]
	s_delay_alu instid0(VALU_DEP_2) | instskip(NEXT) | instid1(VALU_DEP_2)
	v_add_f64_e64 v[48:49], v[58:59], -v[48:49]
	v_add_f64_e64 v[46:47], v[54:55], -v[46:47]
	s_delay_alu instid0(VALU_DEP_1) | instskip(NEXT) | instid1(VALU_DEP_1)
	v_add_f64_e32 v[46:47], v[48:49], v[46:47]
	v_add_f64_e32 v[46:47], v[56:57], v[46:47]
	s_delay_alu instid0(VALU_DEP_1) | instskip(NEXT) | instid1(VALU_DEP_1)
	v_mul_f64_e32 v[46:47], v[50:51], v[46:47]
	v_add_f64_e32 v[48:49], v[52:53], v[46:47]
	s_delay_alu instid0(VALU_DEP_1) | instskip(NEXT) | instid1(VALU_DEP_1)
	v_mul_f64_e32 v[50:51], v[48:49], v[48:49]
	v_fmamk_f64 v[54:55], v[50:51], 0x3fc3ab76bf559e2b, v[12:13]
	v_mul_f64_e32 v[56:57], v[48:49], v[50:51]
	s_delay_alu instid0(VALU_DEP_2) | instskip(NEXT) | instid1(VALU_DEP_1)
	v_fmaak_f64 v[54:55], v[50:51], v[54:55], 0x3fc7474dd7f4df2e
	v_fmaak_f64 v[54:55], v[50:51], v[54:55], 0x3fcc71c016291751
	s_delay_alu instid0(VALU_DEP_1) | instskip(NEXT) | instid1(VALU_DEP_1)
	v_fmaak_f64 v[54:55], v[50:51], v[54:55], 0x3fd249249b27acf1
	v_fmaak_f64 v[54:55], v[50:51], v[54:55], 0x3fd99999998ef7b6
	s_delay_alu instid0(VALU_DEP_1) | instskip(SKIP_2) | instid1(VALU_DEP_3)
	v_fmaak_f64 v[50:51], v[50:51], v[54:55], 0x3fe5555555555780
	v_ldexp_f64 v[54:55], v[48:49], 1
	v_add_f64_e64 v[48:49], v[48:49], -v[52:53]
	v_mul_f64_e32 v[50:51], v[56:57], v[50:51]
	v_cvt_f64_i32_e32 v[56:57], v40
	s_delay_alu instid0(VALU_DEP_3) | instskip(NEXT) | instid1(VALU_DEP_3)
	v_add_f64_e64 v[46:47], v[46:47], -v[48:49]
	v_add_f64_e32 v[52:53], v[54:55], v[50:51]
	s_delay_alu instid0(VALU_DEP_3) | instskip(NEXT) | instid1(VALU_DEP_3)
	v_mul_f64_e32 v[58:59], 0x3fe62e42fefa39ef, v[56:57]
	v_ldexp_f64 v[46:47], v[46:47], 1
	s_delay_alu instid0(VALU_DEP_3) | instskip(NEXT) | instid1(VALU_DEP_3)
	v_add_f64_e64 v[48:49], v[52:53], -v[54:55]
	v_fma_f64 v[54:55], v[56:57], s[12:13], -v[58:59]
	s_delay_alu instid0(VALU_DEP_2) | instskip(NEXT) | instid1(VALU_DEP_2)
	v_add_f64_e64 v[48:49], v[50:51], -v[48:49]
	v_fmac_f64_e32 v[54:55], 0x3c7abc9e3b39803f, v[56:57]
	v_fmamk_f64 v[50:51], v[42:43], 0x3f00bfecdd17e945, v[16:17]
	s_delay_alu instid0(VALU_DEP_1) | instskip(NEXT) | instid1(VALU_DEP_1)
	v_fmaak_f64 v[50:51], v[42:43], v[50:51], 0x3f9b481c7e939961
	v_fmaak_f64 v[50:51], v[42:43], v[50:51], 0x3fc2bb9cbee5f2f7
	s_delay_alu instid0(VALU_DEP_1) | instskip(NEXT) | instid1(VALU_DEP_1)
	v_fmaak_f64 v[50:51], v[42:43], v[50:51], 0x3fd4d98f4f139f59
	v_fmaak_f64 v[50:51], v[42:43], v[50:51], 0x3fcb848b36e20878
	v_add_f64_e32 v[46:47], v[46:47], v[48:49]
	v_fmamk_f64 v[48:49], v[42:43], 0x3edebaf7a5b38140, v[18:19]
	v_add_f64_e32 v[56:57], v[58:59], v[54:55]
	s_delay_alu instid0(VALU_DEP_4) | instskip(NEXT) | instid1(VALU_DEP_3)
	v_fmaak_f64 v[50:51], v[42:43], v[50:51], 0xbfb3c467e37db0c8
	v_fmaak_f64 v[48:49], v[42:43], v[48:49], 0x3f9317ea742ed475
	s_delay_alu instid0(VALU_DEP_2) | instskip(NEXT) | instid1(VALU_DEP_2)
	v_mul_f64_e32 v[50:51], v[42:43], v[50:51]
	v_fmaak_f64 v[48:49], v[42:43], v[48:49], 0x3fc601edccfbdf27
	s_delay_alu instid0(VALU_DEP_1) | instskip(NEXT) | instid1(VALU_DEP_1)
	v_fmaak_f64 v[48:49], v[42:43], v[48:49], 0x3fe71a1893d3dcdc
	v_fmaak_f64 v[48:49], v[42:43], v[48:49], 0x3ff645a762c4ab74
	v_add_f64_e32 v[60:61], v[52:53], v[46:47]
	v_add_f64_e64 v[58:59], v[56:57], -v[58:59]
	s_delay_alu instid0(VALU_DEP_3) | instskip(NEXT) | instid1(VALU_DEP_3)
	v_fma_f64 v[48:49], v[42:43], v[48:49], 1.0
	v_add_f64_e32 v[62:63], v[56:57], v[60:61]
	v_add_f64_e64 v[52:53], v[60:61], -v[52:53]
	s_delay_alu instid0(VALU_DEP_4) | instskip(NEXT) | instid1(VALU_DEP_4)
	v_add_f64_e64 v[54:55], v[54:55], -v[58:59]
	v_div_scale_f64 v[64:65], null, v[48:49], v[48:49], v[50:51]
	s_delay_alu instid0(VALU_DEP_4) | instskip(NEXT) | instid1(VALU_DEP_4)
	v_add_f64_e64 v[66:67], v[62:63], -v[56:57]
	v_add_f64_e64 v[46:47], v[46:47], -v[52:53]
	s_delay_alu instid0(VALU_DEP_3) | instskip(NEXT) | instid1(VALU_DEP_2)
	v_rcp_f64_e32 v[68:69], v[64:65]
	v_add_f64_e64 v[70:71], v[62:63], -v[66:67]
	v_add_f64_e64 v[52:53], v[60:61], -v[66:67]
	s_delay_alu instid0(VALU_DEP_3) | instskip(SKIP_1) | instid1(TRANS32_DEP_1)
	v_add_f64_e32 v[58:59], v[54:55], v[46:47]
	v_div_scale_f64 v[66:67], vcc_lo, v[50:51], v[48:49], v[50:51]
	v_fma_f64 v[72:73], -v[64:65], v[68:69], 1.0
	v_add_f64_e64 v[56:57], v[56:57], -v[70:71]
	s_delay_alu instid0(VALU_DEP_4) | instskip(NEXT) | instid1(VALU_DEP_3)
	v_add_f64_e64 v[60:61], v[58:59], -v[54:55]
	v_fmac_f64_e32 v[68:69], v[68:69], v[72:73]
	s_delay_alu instid0(VALU_DEP_3) | instskip(NEXT) | instid1(VALU_DEP_3)
	v_add_f64_e32 v[52:53], v[52:53], v[56:57]
	v_add_f64_e64 v[46:47], v[46:47], -v[60:61]
	s_delay_alu instid0(VALU_DEP_3) | instskip(NEXT) | instid1(VALU_DEP_3)
	v_fma_f64 v[56:57], -v[64:65], v[68:69], 1.0
	v_add_f64_e32 v[52:53], v[58:59], v[52:53]
	s_delay_alu instid0(VALU_DEP_2) | instskip(SKIP_1) | instid1(VALU_DEP_3)
	v_fmac_f64_e32 v[68:69], v[68:69], v[56:57]
	v_add_f64_e64 v[56:57], v[58:59], -v[60:61]
	v_add_f64_e32 v[58:59], v[62:63], v[52:53]
	s_delay_alu instid0(VALU_DEP_3) | instskip(NEXT) | instid1(VALU_DEP_3)
	v_mul_f64_e32 v[70:71], v[66:67], v[68:69]
	v_add_f64_e64 v[54:55], v[54:55], -v[56:57]
	s_delay_alu instid0(VALU_DEP_3) | instskip(NEXT) | instid1(VALU_DEP_3)
	v_add_f64_e64 v[56:57], v[58:59], -v[62:63]
	v_fma_f64 v[60:61], -v[64:65], v[70:71], v[66:67]
	s_delay_alu instid0(VALU_DEP_3) | instskip(NEXT) | instid1(VALU_DEP_3)
	v_add_f64_e32 v[46:47], v[46:47], v[54:55]
	v_add_f64_e64 v[52:53], v[52:53], -v[56:57]
	s_delay_alu instid0(VALU_DEP_3) | instskip(SKIP_1) | instid1(VALU_DEP_3)
	v_div_fmas_f64 v[54:55], v[60:61], v[68:69], v[70:71]
	v_cmp_class_f64_e64 vcc_lo, v[44:45], 0x204
	v_add_f64_e32 v[46:47], v[46:47], v[52:53]
	s_delay_alu instid0(VALU_DEP_3) | instskip(NEXT) | instid1(VALU_DEP_2)
	v_div_fixup_f64 v[48:49], v[54:55], v[48:49], v[50:51]
	v_add_f64_e32 v[46:47], v[58:59], v[46:47]
	s_delay_alu instid0(VALU_DEP_2) | instskip(NEXT) | instid1(VALU_DEP_2)
	v_fmac_f64_e32 v[48:49], 0.5, v[42:43]
	v_dual_cndmask_b32 v40, v46, v44, vcc_lo :: v_dual_cndmask_b32 v42, v47, v45, vcc_lo
	v_cmp_ngt_f64_e32 vcc_lo, 0, v[44:45]
	s_delay_alu instid0(VALU_DEP_2) | instskip(SKIP_1) | instid1(VALU_DEP_4)
	v_cndmask_b32_e32 v43, 0x7ff80000, v42, vcc_lo
	v_cmp_nge_f64_e32 vcc_lo, 0, v[44:45]
	v_cndmask_b32_e32 v42, 0, v40, vcc_lo
	v_cmp_neq_f64_e32 vcc_lo, 0, v[44:45]
	s_delay_alu instid0(VALU_DEP_4) | instskip(NEXT) | instid1(VALU_DEP_1)
	v_cndmask_b32_e32 v43, 0xfff00000, v43, vcc_lo
	v_add_f64_e32 v[42:43], v[48:49], v[42:43]
.LBB12_172:                             ;   in Loop: Header=BB12_162 Depth=1
	s_or_b32 exec_lo, exec_lo, s2
.LBB12_173:                             ;   in Loop: Header=BB12_162 Depth=1
	s_and_not1_saveexec_b32 s4, s1
	s_cbranch_execz .LBB12_187
; %bb.174:                              ;   in Loop: Header=BB12_162 Depth=1
                                        ; implicit-def: $vgpr40
                                        ; implicit-def: $vgpr42_vgpr43
	s_mov_b32 s0, exec_lo
	v_cmpx_lt_u32_e32 0x3feccccc, v41
	s_xor_b32 s1, exec_lo, s0
	s_cbranch_execz .LBB12_176
; %bb.175:                              ;   in Loop: Header=BB12_162 Depth=1
	v_add_f64_e64 v[42:43], -|v[6:7]|, 2.0
	v_add_f64_e64 v[44:45], |v[6:7]|, s[14:15]
	v_add_f64_e64 v[46:47], |v[6:7]|, -1.0
	v_cmp_gt_u32_e32 vcc_lo, 0x3ffbb4c3, v41
	v_cmp_gt_u32_e64 s0, 0x3ff3b4c4, v41
	s_delay_alu instid0(VALU_DEP_4) | instskip(SKIP_1) | instid1(VALU_DEP_2)
	v_dual_cndmask_b32 v40, v42, v44, vcc_lo :: v_dual_cndmask_b32 v42, v43, v45, vcc_lo
	v_cndmask_b32_e64 v44, 0, 1, vcc_lo
	v_dual_cndmask_b32 v43, v42, v47, s0 :: v_dual_cndmask_b32 v42, v40, v46, s0
	s_delay_alu instid0(VALU_DEP_2)
	v_cndmask_b32_e64 v40, v44, 2, s0
.LBB12_176:                             ;   in Loop: Header=BB12_162 Depth=1
	s_or_saveexec_b32 s5, s1
	v_mov_b64_e32 v[44:45], 0
	s_xor_b32 exec_lo, exec_lo, s5
	s_cbranch_execz .LBB12_178
; %bb.177:                              ;   in Loop: Header=BB12_162 Depth=1
	v_frexp_mant_f64_e64 v[42:43], |v[6:7]|
	v_cmp_gt_u32_e64 s2, 0x3fcda661, v41
	v_cmp_gt_u32_e64 s1, 0x3fe76944, v41
	v_cmp_neq_f64_e64 s0, 0, v[6:7]
	s_delay_alu instid0(VALU_DEP_4) | instskip(SKIP_1) | instid1(VALU_DEP_1)
	v_cmp_gt_f64_e32 vcc_lo, s[8:9], v[42:43]
	v_cndmask_b32_e64 v40, 0, 1, vcc_lo
	v_ldexp_f64 v[42:43], v[42:43], v40
	v_frexp_exp_i32_f64_e32 v40, v[6:7]
	s_delay_alu instid0(VALU_DEP_2) | instskip(SKIP_1) | instid1(VALU_DEP_3)
	v_add_f64_e32 v[44:45], 1.0, v[42:43]
	v_add_f64_e32 v[50:51], -1.0, v[42:43]
	v_subrev_co_ci_u32_e64 v40, null, 0, v40, vcc_lo
	v_cmp_neq_f64_e64 vcc_lo, 0x7ff00000, |v[6:7]|
	s_delay_alu instid0(VALU_DEP_4) | instskip(SKIP_1) | instid1(VALU_DEP_1)
	v_rcp_f64_e32 v[46:47], v[44:45]
	v_add_f64_e32 v[52:53], -1.0, v[44:45]
	v_add_f64_e64 v[42:43], v[42:43], -v[52:53]
	s_delay_alu instid0(TRANS32_DEP_1) | instskip(NEXT) | instid1(VALU_DEP_1)
	v_fma_f64 v[48:49], -v[44:45], v[46:47], 1.0
	v_fmac_f64_e32 v[46:47], v[48:49], v[46:47]
	s_delay_alu instid0(VALU_DEP_1) | instskip(NEXT) | instid1(VALU_DEP_1)
	v_fma_f64 v[48:49], -v[44:45], v[46:47], 1.0
	v_fmac_f64_e32 v[46:47], v[48:49], v[46:47]
	s_delay_alu instid0(VALU_DEP_1) | instskip(NEXT) | instid1(VALU_DEP_1)
	v_mul_f64_e32 v[48:49], v[50:51], v[46:47]
	v_mul_f64_e32 v[54:55], v[44:45], v[48:49]
	s_delay_alu instid0(VALU_DEP_1) | instskip(NEXT) | instid1(VALU_DEP_1)
	v_fma_f64 v[44:45], v[48:49], v[44:45], -v[54:55]
	v_fmac_f64_e32 v[44:45], v[48:49], v[42:43]
	s_delay_alu instid0(VALU_DEP_1) | instskip(NEXT) | instid1(VALU_DEP_1)
	v_add_f64_e32 v[42:43], v[54:55], v[44:45]
	v_add_f64_e64 v[52:53], v[50:51], -v[42:43]
	v_add_f64_e64 v[54:55], v[42:43], -v[54:55]
	s_delay_alu instid0(VALU_DEP_2) | instskip(NEXT) | instid1(VALU_DEP_2)
	v_add_f64_e64 v[50:51], v[50:51], -v[52:53]
	v_add_f64_e64 v[44:45], v[54:55], -v[44:45]
	s_delay_alu instid0(VALU_DEP_2) | instskip(NEXT) | instid1(VALU_DEP_1)
	v_add_f64_e64 v[42:43], v[50:51], -v[42:43]
	v_add_f64_e32 v[42:43], v[44:45], v[42:43]
	s_delay_alu instid0(VALU_DEP_1) | instskip(NEXT) | instid1(VALU_DEP_1)
	v_add_f64_e32 v[42:43], v[52:53], v[42:43]
	v_mul_f64_e32 v[42:43], v[46:47], v[42:43]
	s_delay_alu instid0(VALU_DEP_1) | instskip(NEXT) | instid1(VALU_DEP_1)
	v_add_f64_e32 v[44:45], v[48:49], v[42:43]
	v_mul_f64_e32 v[46:47], v[44:45], v[44:45]
	s_delay_alu instid0(VALU_DEP_1) | instskip(SKIP_1) | instid1(VALU_DEP_2)
	v_fmamk_f64 v[50:51], v[46:47], 0x3fc3ab76bf559e2b, v[12:13]
	v_mul_f64_e32 v[52:53], v[44:45], v[46:47]
	v_fmaak_f64 v[50:51], v[46:47], v[50:51], 0x3fc7474dd7f4df2e
	s_delay_alu instid0(VALU_DEP_1) | instskip(NEXT) | instid1(VALU_DEP_1)
	v_fmaak_f64 v[50:51], v[46:47], v[50:51], 0x3fcc71c016291751
	v_fmaak_f64 v[50:51], v[46:47], v[50:51], 0x3fd249249b27acf1
	s_delay_alu instid0(VALU_DEP_1) | instskip(NEXT) | instid1(VALU_DEP_1)
	v_fmaak_f64 v[50:51], v[46:47], v[50:51], 0x3fd99999998ef7b6
	v_fmaak_f64 v[46:47], v[46:47], v[50:51], 0x3fe5555555555780
	v_ldexp_f64 v[50:51], v[44:45], 1
	v_add_f64_e64 v[44:45], v[44:45], -v[48:49]
	s_delay_alu instid0(VALU_DEP_3) | instskip(SKIP_1) | instid1(VALU_DEP_3)
	v_mul_f64_e32 v[46:47], v[52:53], v[46:47]
	v_cvt_f64_i32_e32 v[52:53], v40
	v_add_f64_e64 v[42:43], v[42:43], -v[44:45]
	s_delay_alu instid0(VALU_DEP_3) | instskip(NEXT) | instid1(VALU_DEP_3)
	v_add_f64_e32 v[48:49], v[50:51], v[46:47]
	v_mul_f64_e32 v[54:55], 0x3fe62e42fefa39ef, v[52:53]
	s_delay_alu instid0(VALU_DEP_3) | instskip(NEXT) | instid1(VALU_DEP_3)
	v_ldexp_f64 v[42:43], v[42:43], 1
	v_add_f64_e64 v[44:45], v[48:49], -v[50:51]
	s_delay_alu instid0(VALU_DEP_3) | instskip(NEXT) | instid1(VALU_DEP_2)
	v_fma_f64 v[50:51], v[52:53], s[12:13], -v[54:55]
	v_add_f64_e64 v[44:45], v[46:47], -v[44:45]
	s_delay_alu instid0(VALU_DEP_2) | instskip(NEXT) | instid1(VALU_DEP_2)
	v_fmac_f64_e32 v[50:51], 0x3c7abc9e3b39803f, v[52:53]
	v_add_f64_e32 v[42:43], v[42:43], v[44:45]
	s_delay_alu instid0(VALU_DEP_2) | instskip(NEXT) | instid1(VALU_DEP_2)
	v_add_f64_e32 v[44:45], v[54:55], v[50:51]
	v_add_f64_e32 v[46:47], v[48:49], v[42:43]
	s_delay_alu instid0(VALU_DEP_2) | instskip(NEXT) | instid1(VALU_DEP_2)
	v_add_f64_e64 v[54:55], v[44:45], -v[54:55]
	v_add_f64_e32 v[52:53], v[44:45], v[46:47]
	v_add_f64_e64 v[48:49], v[46:47], -v[48:49]
	s_delay_alu instid0(VALU_DEP_3) | instskip(NEXT) | instid1(VALU_DEP_3)
	v_add_f64_e64 v[50:51], v[50:51], -v[54:55]
	v_add_f64_e64 v[56:57], v[52:53], -v[44:45]
	s_delay_alu instid0(VALU_DEP_3) | instskip(NEXT) | instid1(VALU_DEP_2)
	v_add_f64_e64 v[42:43], v[42:43], -v[48:49]
	v_add_f64_e64 v[58:59], v[52:53], -v[56:57]
	v_add_f64_e64 v[46:47], v[46:47], -v[56:57]
	s_delay_alu instid0(VALU_DEP_3) | instskip(NEXT) | instid1(VALU_DEP_3)
	v_add_f64_e32 v[48:49], v[50:51], v[42:43]
	v_add_f64_e64 v[44:45], v[44:45], -v[58:59]
	s_delay_alu instid0(VALU_DEP_1) | instskip(NEXT) | instid1(VALU_DEP_3)
	v_add_f64_e32 v[44:45], v[46:47], v[44:45]
	v_add_f64_e64 v[46:47], v[48:49], -v[50:51]
	s_delay_alu instid0(VALU_DEP_2) | instskip(NEXT) | instid1(VALU_DEP_2)
	v_add_f64_e32 v[44:45], v[48:49], v[44:45]
	v_add_f64_e64 v[48:49], v[48:49], -v[46:47]
	v_add_f64_e64 v[42:43], v[42:43], -v[46:47]
	s_delay_alu instid0(VALU_DEP_3) | instskip(NEXT) | instid1(VALU_DEP_3)
	v_add_f64_e32 v[54:55], v[52:53], v[44:45]
	v_add_f64_e64 v[46:47], v[50:51], -v[48:49]
	s_delay_alu instid0(VALU_DEP_2) | instskip(NEXT) | instid1(VALU_DEP_2)
	v_add_f64_e64 v[48:49], v[54:55], -v[52:53]
	v_add_f64_e32 v[42:43], v[42:43], v[46:47]
	v_add_f64_e64 v[46:47], |v[6:7]|, s[16:17]
	s_delay_alu instid0(VALU_DEP_3) | instskip(NEXT) | instid1(VALU_DEP_1)
	v_add_f64_e64 v[44:45], v[44:45], -v[48:49]
	v_add_f64_e32 v[42:43], v[42:43], v[44:45]
	s_delay_alu instid0(VALU_DEP_1) | instskip(SKIP_1) | instid1(VALU_DEP_2)
	v_add_f64_e32 v[44:45], v[54:55], v[42:43]
	v_add_f64_e64 v[42:43], -|v[6:7]|, 1.0
	v_xor_b32_e32 v40, 0x80000000, v45
	v_and_b32_e32 v45, 0x7fffffff, v7
	s_delay_alu instid0(VALU_DEP_3) | instskip(SKIP_1) | instid1(VALU_DEP_4)
	v_dual_cndmask_b32 v42, v42, v46, s1 :: v_dual_cndmask_b32 v43, v43, v47, s1
	v_cndmask_b32_e64 v46, 0, 1, s1
	v_cndmask_b32_e32 v40, 0xfff00000, v40, vcc_lo
	s_and_b32 vcc_lo, s0, vcc_lo
	s_delay_alu instid0(VALU_DEP_3) | instskip(SKIP_1) | instid1(VALU_DEP_3)
	v_dual_cndmask_b32 v42, v42, v6, s2 :: v_dual_cndmask_b32 v43, v43, v45, s2
	v_cndmask_b32_e32 v44, 0, v44, vcc_lo
	v_cndmask_b32_e64 v45, 0x7ff00000, v40, s0
	v_cndmask_b32_e64 v40, v46, 2, s2
.LBB12_178:                             ;   in Loop: Header=BB12_162 Depth=1
	s_or_b32 exec_lo, exec_lo, s5
	s_delay_alu instid0(SALU_CYCLE_1) | instskip(NEXT) | instid1(VALU_DEP_1)
	s_mov_b32 s0, exec_lo
                                        ; implicit-def: $vgpr46_vgpr47
	v_cmpx_lt_i32_e32 1, v40
	s_xor_b32 s0, exec_lo, s0
	s_cbranch_execz .LBB12_180
; %bb.179:                              ;   in Loop: Header=BB12_162 Depth=1
	s_delay_alu instid0(VALU_DEP_4) | instskip(SKIP_1) | instid1(VALU_DEP_2)
	v_fmamk_f64 v[46:47], v[42:43], 0x3f8b678bbf2bab09, v[20:21]
	v_fmamk_f64 v[48:49], v[42:43], 0x3f6a5abb57d0cf61, v[22:23]
                                        ; implicit-def: $vgpr40
	v_fmaak_f64 v[46:47], v[42:43], v[46:47], 0x3fef497644ea8450
	s_delay_alu instid0(VALU_DEP_2) | instskip(NEXT) | instid1(VALU_DEP_2)
	v_fmaak_f64 v[48:49], v[42:43], v[48:49], 0x3fe89dfbe45050af
	v_fmaak_f64 v[46:47], v[42:43], v[46:47], 0x3ff7475cd119bd6f
	s_delay_alu instid0(VALU_DEP_2) | instskip(NEXT) | instid1(VALU_DEP_2)
	v_fmaak_f64 v[48:49], v[42:43], v[48:49], 0x40010725a42b18f5
	;; [unrolled: 3-line block ×3, first 2 shown]
	v_fmaak_f64 v[46:47], v[42:43], v[46:47], 0xbfb3c467e37db0c8
	s_delay_alu instid0(VALU_DEP_2) | instskip(NEXT) | instid1(VALU_DEP_2)
	v_fma_f64 v[48:49], v[42:43], v[48:49], 1.0
	v_mul_f64_e32 v[46:47], v[42:43], v[46:47]
	s_delay_alu instid0(VALU_DEP_1) | instskip(NEXT) | instid1(VALU_DEP_1)
	v_div_scale_f64 v[50:51], null, v[48:49], v[48:49], v[46:47]
	v_rcp_f64_e32 v[52:53], v[50:51]
	v_nop
	s_delay_alu instid0(TRANS32_DEP_1) | instskip(NEXT) | instid1(VALU_DEP_1)
	v_fma_f64 v[54:55], -v[50:51], v[52:53], 1.0
	v_fmac_f64_e32 v[52:53], v[52:53], v[54:55]
	s_delay_alu instid0(VALU_DEP_1) | instskip(NEXT) | instid1(VALU_DEP_1)
	v_fma_f64 v[54:55], -v[50:51], v[52:53], 1.0
	v_fmac_f64_e32 v[52:53], v[52:53], v[54:55]
	v_div_scale_f64 v[54:55], vcc_lo, v[46:47], v[48:49], v[46:47]
	s_delay_alu instid0(VALU_DEP_1) | instskip(NEXT) | instid1(VALU_DEP_1)
	v_mul_f64_e32 v[56:57], v[54:55], v[52:53]
	v_fma_f64 v[50:51], -v[50:51], v[56:57], v[54:55]
	s_delay_alu instid0(VALU_DEP_1) | instskip(NEXT) | instid1(VALU_DEP_1)
	v_div_fmas_f64 v[50:51], v[50:51], v[52:53], v[56:57]
	v_div_fixup_f64 v[46:47], v[50:51], v[48:49], v[46:47]
	s_delay_alu instid0(VALU_DEP_1)
	v_fmac_f64_e32 v[46:47], -0.5, v[42:43]
                                        ; implicit-def: $vgpr42_vgpr43
.LBB12_180:                             ;   in Loop: Header=BB12_162 Depth=1
	s_and_not1_saveexec_b32 s0, s0
	s_cbranch_execz .LBB12_186
; %bb.181:                              ;   in Loop: Header=BB12_162 Depth=1
	s_delay_alu instid0(VALU_DEP_4)
	v_mul_f64_e32 v[48:49], v[42:43], v[42:43]
	s_mov_b32 s1, exec_lo
                                        ; implicit-def: $vgpr46_vgpr47
	v_cmpx_ne_u32_e32 1, v40
	s_xor_b32 s1, exec_lo, s1
	s_cbranch_execz .LBB12_183
; %bb.182:                              ;   in Loop: Header=BB12_162 Depth=1
	s_delay_alu instid0(VALU_DEP_2) | instskip(SKIP_1) | instid1(VALU_DEP_2)
	v_fmamk_f64 v[46:47], v[48:49], 0x3f07858e90a45837, v[26:27]
	v_fmamk_f64 v[50:51], v[48:49], 0x3efa7074428cfa52, v[24:25]
	v_fmaak_f64 v[46:47], v[48:49], v[46:47], 0x3f40b6c689b99c00
	s_delay_alu instid0(VALU_DEP_2) | instskip(NEXT) | instid1(VALU_DEP_2)
	v_fmaak_f64 v[50:51], v[48:49], v[50:51], 0x3f538a94116f3f5d
	v_fmaak_f64 v[46:47], v[48:49], v[46:47], 0x3f67add8ccb7926b
	s_delay_alu instid0(VALU_DEP_2) | instskip(NEXT) | instid1(VALU_DEP_2)
	v_fmaak_f64 v[50:51], v[48:49], v[50:51], 0x3f7e404fb68fefe8
	;; [unrolled: 3-line block ×3, first 2 shown]
	v_fmaak_f64 v[46:47], v[48:49], v[46:47], 0x3fd4a34cc4a60fad
	s_delay_alu instid0(VALU_DEP_1) | instskip(NEXT) | instid1(VALU_DEP_3)
	v_mul_f64_e32 v[46:47], v[48:49], v[46:47]
	v_fmaak_f64 v[48:49], v[48:49], v[50:51], 0x3fb3c467e37db0c8
	s_delay_alu instid0(VALU_DEP_1) | instskip(NEXT) | instid1(VALU_DEP_1)
	v_fmac_f64_e32 v[46:47], v[42:43], v[48:49]
                                        ; implicit-def: $vgpr48_vgpr49
	v_fmac_f64_e32 v[46:47], -0.5, v[42:43]
                                        ; implicit-def: $vgpr42_vgpr43
.LBB12_183:                             ;   in Loop: Header=BB12_162 Depth=1
	s_and_not1_saveexec_b32 s1, s1
	s_cbranch_execz .LBB12_185
; %bb.184:                              ;   in Loop: Header=BB12_162 Depth=1
	s_delay_alu instid0(VALU_DEP_2) | instskip(NEXT) | instid1(VALU_DEP_1)
	v_mul_f64_e32 v[46:47], v[42:43], v[48:49]
	v_fmamk_f64 v[50:51], v[46:47], 0xbf347f24ecc38c38, v[30:31]
	v_fmamk_f64 v[52:53], v[46:47], 0x3f35fd3ee8c2d3f4, v[32:33]
	s_delay_alu instid0(VALU_DEP_2) | instskip(NEXT) | instid1(VALU_DEP_2)
	v_fmaak_f64 v[50:51], v[46:47], v[50:51], 0xbf6e2effb3e914d7
	v_fmaak_f64 v[52:53], v[46:47], v[52:53], 0x3f6282d32e15c915
	s_delay_alu instid0(VALU_DEP_2) | instskip(NEXT) | instid1(VALU_DEP_2)
	v_fmaak_f64 v[50:51], v[46:47], v[50:51], 0x3f9266e7970af9ec
	v_fmaak_f64 v[52:53], v[46:47], v[52:53], 0xbf851f9fba91ec6a
	;; [unrolled: 3-line block ×3, first 2 shown]
	s_delay_alu instid0(VALU_DEP_1) | instskip(NEXT) | instid1(VALU_DEP_1)
	v_fmac_f64_e32 v[50:51], v[42:43], v[52:53]
	v_fma_f64 v[42:43], v[46:47], -v[50:51], s[18:19]
	v_fmamk_f64 v[50:51], v[46:47], 0x3f34af6d6c0ebbf7, v[28:29]
	s_delay_alu instid0(VALU_DEP_1) | instskip(NEXT) | instid1(VALU_DEP_1)
	v_fmaak_f64 v[50:51], v[46:47], v[50:51], 0x3f78fce0e370e344
	v_fmaak_f64 v[50:51], v[46:47], v[50:51], 0xbfa0c9a8df35b713
	s_delay_alu instid0(VALU_DEP_1) | instskip(NEXT) | instid1(VALU_DEP_1)
	v_fmaak_f64 v[46:47], v[46:47], v[50:51], 0x3fdef72bc8ee38a2
	v_fma_f64 v[42:43], v[48:49], v[46:47], -v[42:43]
	s_delay_alu instid0(VALU_DEP_1)
	v_add_f64_e32 v[46:47], 0xbfbf19b9bcc38a42, v[42:43]
.LBB12_185:                             ;   in Loop: Header=BB12_162 Depth=1
	s_or_b32 exec_lo, exec_lo, s1
.LBB12_186:                             ;   in Loop: Header=BB12_162 Depth=1
	s_delay_alu instid0(SALU_CYCLE_1) | instskip(NEXT) | instid1(VALU_DEP_1)
	s_or_b32 exec_lo, exec_lo, s0
	v_add_f64_e32 v[42:43], v[44:45], v[46:47]
.LBB12_187:                             ;   in Loop: Header=BB12_162 Depth=1
	s_or_b32 exec_lo, exec_lo, s4
.LBB12_188:                             ;   in Loop: Header=BB12_162 Depth=1
	s_and_not1_saveexec_b32 s1, s3
	s_cbranch_execz .LBB12_190
; %bb.189:                              ;   in Loop: Header=BB12_162 Depth=1
	v_frexp_mant_f64_e64 v[42:43], |v[6:7]|
	v_cmp_neq_f64_e64 s0, 0, v[6:7]
	s_delay_alu instid0(VALU_DEP_2) | instskip(SKIP_1) | instid1(VALU_DEP_1)
	v_cmp_gt_f64_e32 vcc_lo, s[8:9], v[42:43]
	v_cndmask_b32_e64 v40, 0, 1, vcc_lo
	v_ldexp_f64 v[42:43], v[42:43], v40
	v_frexp_exp_i32_f64_e32 v40, v[6:7]
	s_delay_alu instid0(VALU_DEP_2) | instskip(SKIP_1) | instid1(VALU_DEP_3)
	v_add_f64_e32 v[44:45], 1.0, v[42:43]
	v_add_f64_e32 v[50:51], -1.0, v[42:43]
	v_subrev_co_ci_u32_e64 v40, null, 0, v40, vcc_lo
	v_cmp_neq_f64_e64 vcc_lo, 0x7ff00000, |v[6:7]|
	s_delay_alu instid0(VALU_DEP_4) | instskip(SKIP_1) | instid1(VALU_DEP_1)
	v_rcp_f64_e32 v[46:47], v[44:45]
	v_add_f64_e32 v[52:53], -1.0, v[44:45]
	v_add_f64_e64 v[42:43], v[42:43], -v[52:53]
	s_delay_alu instid0(TRANS32_DEP_1) | instskip(NEXT) | instid1(VALU_DEP_1)
	v_fma_f64 v[48:49], -v[44:45], v[46:47], 1.0
	v_fmac_f64_e32 v[46:47], v[48:49], v[46:47]
	s_delay_alu instid0(VALU_DEP_1) | instskip(NEXT) | instid1(VALU_DEP_1)
	v_fma_f64 v[48:49], -v[44:45], v[46:47], 1.0
	v_fmac_f64_e32 v[46:47], v[48:49], v[46:47]
	s_delay_alu instid0(VALU_DEP_1) | instskip(NEXT) | instid1(VALU_DEP_1)
	v_mul_f64_e32 v[48:49], v[50:51], v[46:47]
	v_mul_f64_e32 v[54:55], v[44:45], v[48:49]
	s_delay_alu instid0(VALU_DEP_1) | instskip(NEXT) | instid1(VALU_DEP_1)
	v_fma_f64 v[44:45], v[48:49], v[44:45], -v[54:55]
	v_fmac_f64_e32 v[44:45], v[48:49], v[42:43]
	s_delay_alu instid0(VALU_DEP_1) | instskip(NEXT) | instid1(VALU_DEP_1)
	v_add_f64_e32 v[42:43], v[54:55], v[44:45]
	v_add_f64_e64 v[52:53], v[50:51], -v[42:43]
	v_add_f64_e64 v[54:55], v[42:43], -v[54:55]
	s_delay_alu instid0(VALU_DEP_2) | instskip(NEXT) | instid1(VALU_DEP_2)
	v_add_f64_e64 v[50:51], v[50:51], -v[52:53]
	v_add_f64_e64 v[44:45], v[54:55], -v[44:45]
	s_delay_alu instid0(VALU_DEP_2) | instskip(NEXT) | instid1(VALU_DEP_1)
	v_add_f64_e64 v[42:43], v[50:51], -v[42:43]
	v_add_f64_e32 v[42:43], v[44:45], v[42:43]
	s_delay_alu instid0(VALU_DEP_1) | instskip(NEXT) | instid1(VALU_DEP_1)
	v_add_f64_e32 v[42:43], v[52:53], v[42:43]
	v_mul_f64_e32 v[42:43], v[46:47], v[42:43]
	s_delay_alu instid0(VALU_DEP_1) | instskip(NEXT) | instid1(VALU_DEP_1)
	v_add_f64_e32 v[44:45], v[48:49], v[42:43]
	v_mul_f64_e32 v[46:47], v[44:45], v[44:45]
	s_delay_alu instid0(VALU_DEP_1) | instskip(SKIP_1) | instid1(VALU_DEP_2)
	v_fmamk_f64 v[50:51], v[46:47], 0x3fc3ab76bf559e2b, v[12:13]
	v_mul_f64_e32 v[52:53], v[44:45], v[46:47]
	v_fmaak_f64 v[50:51], v[46:47], v[50:51], 0x3fc7474dd7f4df2e
	s_delay_alu instid0(VALU_DEP_1) | instskip(NEXT) | instid1(VALU_DEP_1)
	v_fmaak_f64 v[50:51], v[46:47], v[50:51], 0x3fcc71c016291751
	v_fmaak_f64 v[50:51], v[46:47], v[50:51], 0x3fd249249b27acf1
	s_delay_alu instid0(VALU_DEP_1) | instskip(NEXT) | instid1(VALU_DEP_1)
	v_fmaak_f64 v[50:51], v[46:47], v[50:51], 0x3fd99999998ef7b6
	v_fmaak_f64 v[46:47], v[46:47], v[50:51], 0x3fe5555555555780
	v_ldexp_f64 v[50:51], v[44:45], 1
	v_add_f64_e64 v[44:45], v[44:45], -v[48:49]
	s_delay_alu instid0(VALU_DEP_3) | instskip(SKIP_1) | instid1(VALU_DEP_3)
	v_mul_f64_e32 v[46:47], v[52:53], v[46:47]
	v_cvt_f64_i32_e32 v[52:53], v40
	v_add_f64_e64 v[42:43], v[42:43], -v[44:45]
	s_delay_alu instid0(VALU_DEP_3) | instskip(NEXT) | instid1(VALU_DEP_3)
	v_add_f64_e32 v[48:49], v[50:51], v[46:47]
	v_mul_f64_e32 v[54:55], 0x3fe62e42fefa39ef, v[52:53]
	s_delay_alu instid0(VALU_DEP_3) | instskip(NEXT) | instid1(VALU_DEP_3)
	v_ldexp_f64 v[42:43], v[42:43], 1
	v_add_f64_e64 v[44:45], v[48:49], -v[50:51]
	s_delay_alu instid0(VALU_DEP_3) | instskip(NEXT) | instid1(VALU_DEP_2)
	v_fma_f64 v[50:51], v[52:53], s[12:13], -v[54:55]
	v_add_f64_e64 v[44:45], v[46:47], -v[44:45]
	s_delay_alu instid0(VALU_DEP_2) | instskip(NEXT) | instid1(VALU_DEP_2)
	v_fmac_f64_e32 v[50:51], 0x3c7abc9e3b39803f, v[52:53]
	v_add_f64_e32 v[42:43], v[42:43], v[44:45]
	s_delay_alu instid0(VALU_DEP_2) | instskip(NEXT) | instid1(VALU_DEP_2)
	v_add_f64_e32 v[44:45], v[54:55], v[50:51]
	v_add_f64_e32 v[46:47], v[48:49], v[42:43]
	s_delay_alu instid0(VALU_DEP_2) | instskip(NEXT) | instid1(VALU_DEP_2)
	v_add_f64_e64 v[54:55], v[44:45], -v[54:55]
	v_add_f64_e32 v[52:53], v[44:45], v[46:47]
	v_add_f64_e64 v[48:49], v[46:47], -v[48:49]
	s_delay_alu instid0(VALU_DEP_3) | instskip(NEXT) | instid1(VALU_DEP_3)
	v_add_f64_e64 v[50:51], v[50:51], -v[54:55]
	v_add_f64_e64 v[56:57], v[52:53], -v[44:45]
	s_delay_alu instid0(VALU_DEP_3) | instskip(NEXT) | instid1(VALU_DEP_2)
	v_add_f64_e64 v[42:43], v[42:43], -v[48:49]
	v_add_f64_e64 v[58:59], v[52:53], -v[56:57]
	;; [unrolled: 1-line block ×3, first 2 shown]
	s_delay_alu instid0(VALU_DEP_3) | instskip(NEXT) | instid1(VALU_DEP_3)
	v_add_f64_e32 v[48:49], v[50:51], v[42:43]
	v_add_f64_e64 v[44:45], v[44:45], -v[58:59]
	s_delay_alu instid0(VALU_DEP_1) | instskip(NEXT) | instid1(VALU_DEP_3)
	v_add_f64_e32 v[44:45], v[46:47], v[44:45]
	v_add_f64_e64 v[46:47], v[48:49], -v[50:51]
	s_delay_alu instid0(VALU_DEP_2) | instskip(NEXT) | instid1(VALU_DEP_2)
	v_add_f64_e32 v[44:45], v[48:49], v[44:45]
	v_add_f64_e64 v[48:49], v[48:49], -v[46:47]
	v_add_f64_e64 v[42:43], v[42:43], -v[46:47]
	s_delay_alu instid0(VALU_DEP_3) | instskip(NEXT) | instid1(VALU_DEP_3)
	v_add_f64_e32 v[54:55], v[52:53], v[44:45]
	v_add_f64_e64 v[46:47], v[50:51], -v[48:49]
	s_delay_alu instid0(VALU_DEP_2) | instskip(NEXT) | instid1(VALU_DEP_2)
	v_add_f64_e64 v[48:49], v[54:55], -v[52:53]
	v_add_f64_e32 v[42:43], v[42:43], v[46:47]
	v_fma_f64 v[46:47], |v[6:7]|, s[22:23], s[20:21]
	s_delay_alu instid0(VALU_DEP_3) | instskip(NEXT) | instid1(VALU_DEP_1)
	v_add_f64_e64 v[44:45], v[44:45], -v[48:49]
	v_add_f64_e32 v[42:43], v[42:43], v[44:45]
	s_delay_alu instid0(VALU_DEP_3) | instskip(NEXT) | instid1(VALU_DEP_2)
	v_fma_f64 v[44:45], |v[6:7]|, v[46:47], s[24:25]
	v_add_f64_e32 v[42:43], v[54:55], v[42:43]
	s_delay_alu instid0(VALU_DEP_2) | instskip(NEXT) | instid1(VALU_DEP_2)
	v_fma_f64 v[44:45], |v[6:7]|, v[44:45], s[26:27]
	v_xor_b32_e32 v40, 0x80000000, v43
	s_delay_alu instid0(VALU_DEP_2) | instskip(NEXT) | instid1(VALU_DEP_2)
	v_fma_f64 v[44:45], |v[6:7]|, v[44:45], s[28:29]
	v_cndmask_b32_e32 v40, 0xfff00000, v40, vcc_lo
	s_and_b32 vcc_lo, s0, vcc_lo
	v_cndmask_b32_e32 v42, 0, v42, vcc_lo
	s_delay_alu instid0(VALU_DEP_2) | instskip(NEXT) | instid1(VALU_DEP_1)
	v_cndmask_b32_e64 v43, 0x7ff00000, v40, s0
	v_fma_f64 v[42:43], |v[6:7]|, v[44:45], v[42:43]
.LBB12_190:                             ;   in Loop: Header=BB12_162 Depth=1
	s_or_b32 exec_lo, exec_lo, s1
	s_delay_alu instid0(SALU_CYCLE_1)
	s_mov_b32 s0, exec_lo
	v_cmpx_le_f64_e32 0, v[6:7]
	s_xor_b32 s1, exec_lo, s0
	s_cbranch_execz .LBB12_192
; %bb.191:                              ;   in Loop: Header=BB12_162 Depth=1
	v_cmp_eq_f64_e32 vcc_lo, 1.0, v[6:7]
	v_cmp_eq_f64_e64 s0, 2.0, v[6:7]
	s_or_b32 s0, vcc_lo, s0
	s_delay_alu instid0(SALU_CYCLE_1)
	v_cndmask_b32_e64 v43, v43, 0, s0
	v_cndmask_b32_e64 v42, v42, 0, s0
.LBB12_192:                             ;   in Loop: Header=BB12_162 Depth=1
	s_and_not1_saveexec_b32 s1, s1
	s_cbranch_execz .LBB12_196
; %bb.193:                              ;   in Loop: Header=BB12_162 Depth=1
	v_add_nc_u32_e32 v40, 0xc32fffff, v41
	s_mov_b32 s2, exec_lo
	s_delay_alu instid0(VALU_DEP_1)
	v_cmpx_gt_u32_e32 0x65fffff, v40
	s_cbranch_execz .LBB12_195
; %bb.194:                              ;   in Loop: Header=BB12_162 Depth=1
	v_mul_f64_e64 v[44:45], |v[6:7]|, 0.5
	v_and_b32_e32 v40, 0x7fffffff, v7
	v_cmp_class_f64_e64 s0, v[6:7], 0x1f8
	s_delay_alu instid0(VALU_DEP_3) | instskip(SKIP_1) | instid1(VALU_DEP_2)
	v_fract_f64_e32 v[46:47], v[44:45]
	v_cmp_neq_f64_e64 vcc_lo, 0x7ff00000, |v[44:45]|
	v_add_f64_e32 v[46:47], v[46:47], v[46:47]
	s_delay_alu instid0(VALU_DEP_1) | instskip(SKIP_1) | instid1(VALU_DEP_2)
	v_dual_cndmask_b32 v44, 0, v46 :: v_dual_cndmask_b32 v45, 0, v47
	v_cmp_gt_f64_e64 vcc_lo, |v[6:7]|, 1.0
	v_dual_cndmask_b32 v45, v40, v45 :: v_dual_cndmask_b32 v44, v6, v44
	s_delay_alu instid0(VALU_DEP_1) | instskip(NEXT) | instid1(VALU_DEP_1)
	v_add_f64_e32 v[46:47], v[44:45], v[44:45]
	v_rndne_f64_e32 v[46:47], v[46:47]
	s_delay_alu instid0(VALU_DEP_1) | instskip(SKIP_1) | instid1(VALU_DEP_2)
	v_fmac_f64_e32 v[44:45], -0.5, v[46:47]
	v_cvt_i32_f64_e32 v40, v[46:47]
	v_mul_f64_e32 v[48:49], v[44:45], v[44:45]
	s_delay_alu instid0(VALU_DEP_1) | instskip(SKIP_2) | instid1(VALU_DEP_3)
	v_fmamk_f64 v[50:51], v[48:49], 0x3f3e357ef99eb0bb, v[34:35]
	v_mul_f64_e32 v[52:53], v[44:45], v[48:49]
	v_fmamk_f64 v[54:55], v[48:49], 0xbf1b167302e21c33, v[36:37]
	v_fmaak_f64 v[50:51], v[48:49], v[50:51], 0x3fb50782d5f14825
	s_delay_alu instid0(VALU_DEP_2) | instskip(NEXT) | instid1(VALU_DEP_2)
	v_fmaak_f64 v[54:55], v[48:49], v[54:55], 0xbf9a6d1e7294bff9
	v_fmaak_f64 v[50:51], v[48:49], v[50:51], 0xbfe32d2ccdfe9424
	s_delay_alu instid0(VALU_DEP_1) | instskip(NEXT) | instid1(VALU_DEP_1)
	v_fmaak_f64 v[50:51], v[48:49], v[50:51], 0x400466bc67754fff
	v_fmaak_f64 v[50:51], v[48:49], v[50:51], 0xc014abbce625be09
	s_delay_alu instid0(VALU_DEP_1) | instskip(SKIP_1) | instid1(VALU_DEP_1)
	v_mul_f64_e32 v[50:51], v[52:53], v[50:51]
	v_fmaak_f64 v[52:53], v[48:49], v[54:55], 0x3fce1f5067b90b37
	v_fmaak_f64 v[52:53], v[48:49], v[52:53], 0xbff55d3c7e3c325b
	s_delay_alu instid0(VALU_DEP_1) | instskip(NEXT) | instid1(VALU_DEP_1)
	v_fmaak_f64 v[52:53], v[48:49], v[52:53], 0x40103c1f081b5a67
	v_fmaak_f64 v[52:53], v[48:49], v[52:53], 0xc013bd3cc9be45de
	s_delay_alu instid0(VALU_DEP_1) | instskip(SKIP_2) | instid1(VALU_DEP_1)
	v_fma_f64 v[46:47], v[48:49], v[52:53], 1.0
	v_fmac_f64_e32 v[50:51], 0x400921fb54442d18, v[44:45]
	v_dual_lshlrev_b32 v40, 30, v40 :: v_dual_bitop2_b32 v44, 1, v40 bitop3:0x40
	v_cmp_eq_u32_e32 vcc_lo, 0, v44
	s_delay_alu instid0(VALU_DEP_2) | instskip(NEXT) | instid1(VALU_DEP_1)
	v_dual_cndmask_b32 v44, v46, v50, vcc_lo :: v_dual_bitop2_b32 v40, v40, v7 bitop3:0x14
	v_dual_cndmask_b32 v45, v47, v51, vcc_lo :: v_dual_cndmask_b32 v44, 0, v44, s0
	s_delay_alu instid0(VALU_DEP_1) | instskip(NEXT) | instid1(VALU_DEP_1)
	v_bitop3_b32 v40, v45, v40, 0x80000000 bitop3:0x78
	v_cndmask_b32_e64 v45, 0x7ff80000, v40, s0
	v_cmp_class_f64_e64 s0, v[6:7], 0x204
	s_delay_alu instid0(VALU_DEP_2) | instskip(NEXT) | instid1(VALU_DEP_1)
	v_mul_f64_e32 v[44:45], v[6:7], v[44:45]
	v_and_b32_e32 v47, 0x7fffffff, v45
	s_delay_alu instid0(VALU_DEP_2) | instskip(NEXT) | instid1(VALU_DEP_1)
	v_mov_b32_e32 v46, v44
	v_div_scale_f64 v[48:49], null, v[46:47], v[46:47], s[30:31]
	v_div_scale_f64 v[46:47], vcc_lo, s[30:31], v[46:47], s[30:31]
	s_delay_alu instid0(VALU_DEP_2) | instskip(SKIP_1) | instid1(TRANS32_DEP_1)
	v_rcp_f64_e32 v[50:51], v[48:49]
	v_nop
	v_fma_f64 v[52:53], -v[48:49], v[50:51], 1.0
	s_delay_alu instid0(VALU_DEP_1) | instskip(NEXT) | instid1(VALU_DEP_1)
	v_fmac_f64_e32 v[50:51], v[50:51], v[52:53]
	v_fma_f64 v[52:53], -v[48:49], v[50:51], 1.0
	s_delay_alu instid0(VALU_DEP_1) | instskip(NEXT) | instid1(VALU_DEP_1)
	v_fmac_f64_e32 v[50:51], v[50:51], v[52:53]
	v_mul_f64_e32 v[52:53], v[46:47], v[50:51]
	s_delay_alu instid0(VALU_DEP_1) | instskip(NEXT) | instid1(VALU_DEP_1)
	v_fma_f64 v[46:47], -v[48:49], v[52:53], v[46:47]
	v_div_fmas_f64 v[46:47], v[46:47], v[50:51], v[52:53]
	s_delay_alu instid0(VALU_DEP_1) | instskip(NEXT) | instid1(VALU_DEP_1)
	v_div_fixup_f64 v[44:45], v[46:47], |v[44:45]|, s[30:31]
	v_frexp_mant_f64_e32 v[46:47], v[44:45]
	s_delay_alu instid0(VALU_DEP_1) | instskip(SKIP_1) | instid1(VALU_DEP_1)
	v_cmp_gt_f64_e32 vcc_lo, s[8:9], v[46:47]
	v_cndmask_b32_e64 v40, 0, 1, vcc_lo
	v_ldexp_f64 v[46:47], v[46:47], v40
	v_frexp_exp_i32_f64_e32 v40, v[44:45]
	s_delay_alu instid0(VALU_DEP_1) | instskip(SKIP_1) | instid1(VALU_DEP_4)
	v_subrev_co_ci_u32_e64 v40, null, 0, v40, vcc_lo
	v_cmp_class_f64_e64 vcc_lo, v[44:45], 0x204
	v_add_f64_e32 v[48:49], 1.0, v[46:47]
	v_add_f64_e32 v[54:55], -1.0, v[46:47]
	s_delay_alu instid0(VALU_DEP_2) | instskip(SKIP_1) | instid1(VALU_DEP_1)
	v_rcp_f64_e32 v[50:51], v[48:49]
	v_add_f64_e32 v[56:57], -1.0, v[48:49]
	v_add_f64_e64 v[46:47], v[46:47], -v[56:57]
	s_delay_alu instid0(TRANS32_DEP_1) | instskip(NEXT) | instid1(VALU_DEP_1)
	v_fma_f64 v[52:53], -v[48:49], v[50:51], 1.0
	v_fmac_f64_e32 v[50:51], v[52:53], v[50:51]
	s_delay_alu instid0(VALU_DEP_1) | instskip(NEXT) | instid1(VALU_DEP_1)
	v_fma_f64 v[52:53], -v[48:49], v[50:51], 1.0
	v_fmac_f64_e32 v[50:51], v[52:53], v[50:51]
	s_delay_alu instid0(VALU_DEP_1) | instskip(NEXT) | instid1(VALU_DEP_1)
	v_mul_f64_e32 v[52:53], v[54:55], v[50:51]
	v_mul_f64_e32 v[58:59], v[48:49], v[52:53]
	s_delay_alu instid0(VALU_DEP_1) | instskip(NEXT) | instid1(VALU_DEP_1)
	v_fma_f64 v[48:49], v[52:53], v[48:49], -v[58:59]
	v_fmac_f64_e32 v[48:49], v[52:53], v[46:47]
	s_delay_alu instid0(VALU_DEP_1) | instskip(NEXT) | instid1(VALU_DEP_1)
	v_add_f64_e32 v[46:47], v[58:59], v[48:49]
	v_add_f64_e64 v[56:57], v[54:55], -v[46:47]
	v_add_f64_e64 v[58:59], v[46:47], -v[58:59]
	s_delay_alu instid0(VALU_DEP_2) | instskip(NEXT) | instid1(VALU_DEP_2)
	v_add_f64_e64 v[54:55], v[54:55], -v[56:57]
	v_add_f64_e64 v[48:49], v[58:59], -v[48:49]
	s_delay_alu instid0(VALU_DEP_2) | instskip(NEXT) | instid1(VALU_DEP_1)
	v_add_f64_e64 v[46:47], v[54:55], -v[46:47]
	v_add_f64_e32 v[46:47], v[48:49], v[46:47]
	s_delay_alu instid0(VALU_DEP_1) | instskip(NEXT) | instid1(VALU_DEP_1)
	v_add_f64_e32 v[46:47], v[56:57], v[46:47]
	v_mul_f64_e32 v[46:47], v[50:51], v[46:47]
	s_delay_alu instid0(VALU_DEP_1) | instskip(NEXT) | instid1(VALU_DEP_1)
	v_add_f64_e32 v[48:49], v[52:53], v[46:47]
	v_mul_f64_e32 v[50:51], v[48:49], v[48:49]
	s_delay_alu instid0(VALU_DEP_1) | instskip(SKIP_1) | instid1(VALU_DEP_2)
	v_fmamk_f64 v[54:55], v[50:51], 0x3fc3ab76bf559e2b, v[12:13]
	v_mul_f64_e32 v[56:57], v[48:49], v[50:51]
	v_fmaak_f64 v[54:55], v[50:51], v[54:55], 0x3fc7474dd7f4df2e
	s_delay_alu instid0(VALU_DEP_1) | instskip(NEXT) | instid1(VALU_DEP_1)
	v_fmaak_f64 v[54:55], v[50:51], v[54:55], 0x3fcc71c016291751
	v_fmaak_f64 v[54:55], v[50:51], v[54:55], 0x3fd249249b27acf1
	s_delay_alu instid0(VALU_DEP_1) | instskip(NEXT) | instid1(VALU_DEP_1)
	v_fmaak_f64 v[54:55], v[50:51], v[54:55], 0x3fd99999998ef7b6
	v_fmaak_f64 v[50:51], v[50:51], v[54:55], 0x3fe5555555555780
	v_ldexp_f64 v[54:55], v[48:49], 1
	v_add_f64_e64 v[48:49], v[48:49], -v[52:53]
	s_delay_alu instid0(VALU_DEP_3) | instskip(SKIP_1) | instid1(VALU_DEP_3)
	v_mul_f64_e32 v[50:51], v[56:57], v[50:51]
	v_cvt_f64_i32_e32 v[56:57], v40
	v_add_f64_e64 v[46:47], v[46:47], -v[48:49]
	s_delay_alu instid0(VALU_DEP_3) | instskip(NEXT) | instid1(VALU_DEP_3)
	v_add_f64_e32 v[52:53], v[54:55], v[50:51]
	v_mul_f64_e32 v[58:59], 0x3fe62e42fefa39ef, v[56:57]
	s_delay_alu instid0(VALU_DEP_3) | instskip(NEXT) | instid1(VALU_DEP_3)
	v_ldexp_f64 v[46:47], v[46:47], 1
	v_add_f64_e64 v[48:49], v[52:53], -v[54:55]
	s_delay_alu instid0(VALU_DEP_3) | instskip(NEXT) | instid1(VALU_DEP_2)
	v_fma_f64 v[54:55], v[56:57], s[12:13], -v[58:59]
	v_add_f64_e64 v[48:49], v[50:51], -v[48:49]
	s_delay_alu instid0(VALU_DEP_2) | instskip(NEXT) | instid1(VALU_DEP_2)
	v_fmac_f64_e32 v[54:55], 0x3c7abc9e3b39803f, v[56:57]
	v_add_f64_e32 v[46:47], v[46:47], v[48:49]
	s_delay_alu instid0(VALU_DEP_2) | instskip(NEXT) | instid1(VALU_DEP_2)
	v_add_f64_e32 v[48:49], v[58:59], v[54:55]
	v_add_f64_e32 v[50:51], v[52:53], v[46:47]
	s_delay_alu instid0(VALU_DEP_2) | instskip(NEXT) | instid1(VALU_DEP_2)
	v_add_f64_e64 v[58:59], v[48:49], -v[58:59]
	v_add_f64_e32 v[56:57], v[48:49], v[50:51]
	v_add_f64_e64 v[52:53], v[50:51], -v[52:53]
	s_delay_alu instid0(VALU_DEP_3) | instskip(NEXT) | instid1(VALU_DEP_3)
	v_add_f64_e64 v[54:55], v[54:55], -v[58:59]
	v_add_f64_e64 v[60:61], v[56:57], -v[48:49]
	s_delay_alu instid0(VALU_DEP_3) | instskip(NEXT) | instid1(VALU_DEP_2)
	v_add_f64_e64 v[46:47], v[46:47], -v[52:53]
	v_add_f64_e64 v[62:63], v[56:57], -v[60:61]
	;; [unrolled: 1-line block ×3, first 2 shown]
	s_delay_alu instid0(VALU_DEP_3) | instskip(NEXT) | instid1(VALU_DEP_3)
	v_add_f64_e32 v[52:53], v[54:55], v[46:47]
	v_add_f64_e64 v[48:49], v[48:49], -v[62:63]
	s_delay_alu instid0(VALU_DEP_1) | instskip(NEXT) | instid1(VALU_DEP_3)
	v_add_f64_e32 v[48:49], v[50:51], v[48:49]
	v_add_f64_e64 v[50:51], v[52:53], -v[54:55]
	s_delay_alu instid0(VALU_DEP_2) | instskip(NEXT) | instid1(VALU_DEP_2)
	v_add_f64_e32 v[48:49], v[52:53], v[48:49]
	v_add_f64_e64 v[52:53], v[52:53], -v[50:51]
	v_add_f64_e64 v[46:47], v[46:47], -v[50:51]
	s_delay_alu instid0(VALU_DEP_3) | instskip(NEXT) | instid1(VALU_DEP_3)
	v_add_f64_e32 v[58:59], v[56:57], v[48:49]
	v_add_f64_e64 v[50:51], v[54:55], -v[52:53]
	s_delay_alu instid0(VALU_DEP_2) | instskip(NEXT) | instid1(VALU_DEP_2)
	v_add_f64_e64 v[52:53], v[58:59], -v[56:57]
	v_add_f64_e32 v[46:47], v[46:47], v[50:51]
	s_delay_alu instid0(VALU_DEP_2) | instskip(NEXT) | instid1(VALU_DEP_1)
	v_add_f64_e64 v[48:49], v[48:49], -v[52:53]
	v_add_f64_e32 v[46:47], v[46:47], v[48:49]
	s_delay_alu instid0(VALU_DEP_1) | instskip(NEXT) | instid1(VALU_DEP_1)
	v_add_f64_e32 v[46:47], v[58:59], v[46:47]
	v_dual_cndmask_b32 v40, v46, v44, vcc_lo :: v_dual_cndmask_b32 v46, v47, v45, vcc_lo
	v_cmp_neq_f64_e32 vcc_lo, 0, v[44:45]
	v_fract_f64_e32 v[44:45], v[6:7]
	s_delay_alu instid0(VALU_DEP_3) | instskip(NEXT) | instid1(VALU_DEP_4)
	v_cndmask_b32_e32 v47, 0xfff00000, v46, vcc_lo
	v_cndmask_b32_e32 v46, 0, v40, vcc_lo
	s_delay_alu instid0(VALU_DEP_3) | instskip(NEXT) | instid1(VALU_DEP_2)
	v_cmp_eq_f64_e32 vcc_lo, 0, v[44:45]
	v_add_f64_e64 v[42:43], v[46:47], -v[42:43]
	s_or_b32 s0, s0, vcc_lo
	s_delay_alu instid0(VALU_DEP_1) | instid1(SALU_CYCLE_1)
	v_cndmask_b32_e64 v43, v43, 0x7ff00000, s0
	s_delay_alu instid0(VALU_DEP_2)
	v_cndmask_b32_e64 v42, v42, 0, s0
.LBB12_195:                             ;   in Loop: Header=BB12_162 Depth=1
	s_or_b32 exec_lo, exec_lo, s2
.LBB12_196:                             ;   in Loop: Header=BB12_162 Depth=1
	s_delay_alu instid0(SALU_CYCLE_1) | instskip(SKIP_3) | instid1(VALU_DEP_2)
	s_or_b32 exec_lo, exec_lo, s1
	v_and_b32_e32 v45, 0x7fffffff, v9
	v_mov_b32_e32 v44, v8
                                        ; implicit-def: $vgpr46_vgpr47
	s_mov_b32 s0, exec_lo
	v_cmpx_lt_u32_e32 0x3f6fffff, v45
	s_xor_b32 s3, exec_lo, s0
	s_cbranch_execz .LBB12_222
; %bb.197:                              ;   in Loop: Header=BB12_162 Depth=1
                                        ; implicit-def: $vgpr46_vgpr47
	s_mov_b32 s0, exec_lo
	v_cmpx_lt_u32_e32 0x3fffffff, v45
	s_xor_b32 s1, exec_lo, s0
	s_cbranch_execz .LBB12_207
; %bb.198:                              ;   in Loop: Header=BB12_162 Depth=1
	;; [unrolled: 6-line block ×4, first 2 shown]
	v_frexp_mant_f64_e64 v[46:47], |v[8:9]|
	v_cmp_neq_f64_e64 s0, 0, v[8:9]
	s_delay_alu instid0(VALU_DEP_2) | instskip(SKIP_1) | instid1(VALU_DEP_1)
	v_cmp_gt_f64_e32 vcc_lo, s[8:9], v[46:47]
	v_cndmask_b32_e64 v40, 0, 1, vcc_lo
	v_ldexp_f64 v[46:47], v[46:47], v40
	v_frexp_exp_i32_f64_e32 v40, v[8:9]
	s_delay_alu instid0(VALU_DEP_2) | instskip(SKIP_1) | instid1(VALU_DEP_3)
	v_add_f64_e32 v[48:49], 1.0, v[46:47]
	v_add_f64_e32 v[54:55], -1.0, v[46:47]
	v_subrev_co_ci_u32_e64 v40, null, 0, v40, vcc_lo
	v_cmp_neq_f64_e64 vcc_lo, 0x7ff00000, |v[8:9]|
	s_delay_alu instid0(VALU_DEP_4) | instskip(SKIP_1) | instid1(VALU_DEP_1)
	v_rcp_f64_e32 v[50:51], v[48:49]
	v_add_f64_e32 v[56:57], -1.0, v[48:49]
	v_add_f64_e64 v[46:47], v[46:47], -v[56:57]
	s_delay_alu instid0(TRANS32_DEP_1) | instskip(NEXT) | instid1(VALU_DEP_1)
	v_fma_f64 v[52:53], -v[48:49], v[50:51], 1.0
	v_fmac_f64_e32 v[50:51], v[52:53], v[50:51]
	s_delay_alu instid0(VALU_DEP_1) | instskip(NEXT) | instid1(VALU_DEP_1)
	v_fma_f64 v[52:53], -v[48:49], v[50:51], 1.0
	v_fmac_f64_e32 v[50:51], v[52:53], v[50:51]
	s_delay_alu instid0(VALU_DEP_1) | instskip(NEXT) | instid1(VALU_DEP_1)
	v_mul_f64_e32 v[52:53], v[54:55], v[50:51]
	v_mul_f64_e32 v[58:59], v[48:49], v[52:53]
	s_delay_alu instid0(VALU_DEP_1) | instskip(NEXT) | instid1(VALU_DEP_1)
	v_fma_f64 v[48:49], v[52:53], v[48:49], -v[58:59]
	v_fmac_f64_e32 v[48:49], v[52:53], v[46:47]
	s_delay_alu instid0(VALU_DEP_1) | instskip(NEXT) | instid1(VALU_DEP_1)
	v_add_f64_e32 v[46:47], v[58:59], v[48:49]
	v_add_f64_e64 v[56:57], v[54:55], -v[46:47]
	v_add_f64_e64 v[58:59], v[46:47], -v[58:59]
	s_delay_alu instid0(VALU_DEP_2) | instskip(NEXT) | instid1(VALU_DEP_2)
	v_add_f64_e64 v[54:55], v[54:55], -v[56:57]
	v_add_f64_e64 v[48:49], v[58:59], -v[48:49]
	s_delay_alu instid0(VALU_DEP_2) | instskip(NEXT) | instid1(VALU_DEP_1)
	v_add_f64_e64 v[46:47], v[54:55], -v[46:47]
	v_add_f64_e32 v[46:47], v[48:49], v[46:47]
	s_delay_alu instid0(VALU_DEP_1) | instskip(NEXT) | instid1(VALU_DEP_1)
	v_add_f64_e32 v[46:47], v[56:57], v[46:47]
	v_mul_f64_e32 v[46:47], v[50:51], v[46:47]
	s_delay_alu instid0(VALU_DEP_1) | instskip(NEXT) | instid1(VALU_DEP_1)
	v_add_f64_e32 v[48:49], v[52:53], v[46:47]
	v_mul_f64_e32 v[50:51], v[48:49], v[48:49]
	s_delay_alu instid0(VALU_DEP_1) | instskip(SKIP_1) | instid1(VALU_DEP_2)
	v_fmamk_f64 v[54:55], v[50:51], 0x3fc3ab76bf559e2b, v[12:13]
	v_mul_f64_e32 v[56:57], v[48:49], v[50:51]
	v_fmaak_f64 v[54:55], v[50:51], v[54:55], 0x3fc7474dd7f4df2e
	s_delay_alu instid0(VALU_DEP_1) | instskip(NEXT) | instid1(VALU_DEP_1)
	v_fmaak_f64 v[54:55], v[50:51], v[54:55], 0x3fcc71c016291751
	v_fmaak_f64 v[54:55], v[50:51], v[54:55], 0x3fd249249b27acf1
	s_delay_alu instid0(VALU_DEP_1) | instskip(NEXT) | instid1(VALU_DEP_1)
	v_fmaak_f64 v[54:55], v[50:51], v[54:55], 0x3fd99999998ef7b6
	v_fmaak_f64 v[50:51], v[50:51], v[54:55], 0x3fe5555555555780
	v_ldexp_f64 v[54:55], v[48:49], 1
	v_add_f64_e64 v[48:49], v[48:49], -v[52:53]
	s_delay_alu instid0(VALU_DEP_3) | instskip(SKIP_1) | instid1(VALU_DEP_3)
	v_mul_f64_e32 v[50:51], v[56:57], v[50:51]
	v_cvt_f64_i32_e32 v[56:57], v40
	v_add_f64_e64 v[46:47], v[46:47], -v[48:49]
	s_delay_alu instid0(VALU_DEP_3) | instskip(NEXT) | instid1(VALU_DEP_3)
	v_add_f64_e32 v[52:53], v[54:55], v[50:51]
	v_mul_f64_e32 v[58:59], 0x3fe62e42fefa39ef, v[56:57]
	s_delay_alu instid0(VALU_DEP_3) | instskip(NEXT) | instid1(VALU_DEP_3)
	v_ldexp_f64 v[46:47], v[46:47], 1
	v_add_f64_e64 v[48:49], v[52:53], -v[54:55]
	s_delay_alu instid0(VALU_DEP_3) | instskip(NEXT) | instid1(VALU_DEP_2)
	v_fma_f64 v[54:55], v[56:57], s[12:13], -v[58:59]
	v_add_f64_e64 v[48:49], v[50:51], -v[48:49]
	s_delay_alu instid0(VALU_DEP_2) | instskip(NEXT) | instid1(VALU_DEP_2)
	v_fmac_f64_e32 v[54:55], 0x3c7abc9e3b39803f, v[56:57]
	v_add_f64_e32 v[46:47], v[46:47], v[48:49]
	s_delay_alu instid0(VALU_DEP_2) | instskip(NEXT) | instid1(VALU_DEP_2)
	v_add_f64_e32 v[48:49], v[58:59], v[54:55]
	v_add_f64_e32 v[50:51], v[52:53], v[46:47]
	s_delay_alu instid0(VALU_DEP_2) | instskip(NEXT) | instid1(VALU_DEP_2)
	v_add_f64_e64 v[58:59], v[48:49], -v[58:59]
	v_add_f64_e32 v[56:57], v[48:49], v[50:51]
	v_add_f64_e64 v[52:53], v[50:51], -v[52:53]
	s_delay_alu instid0(VALU_DEP_3) | instskip(NEXT) | instid1(VALU_DEP_3)
	v_add_f64_e64 v[54:55], v[54:55], -v[58:59]
	v_add_f64_e64 v[60:61], v[56:57], -v[48:49]
	s_delay_alu instid0(VALU_DEP_3) | instskip(NEXT) | instid1(VALU_DEP_2)
	v_add_f64_e64 v[46:47], v[46:47], -v[52:53]
	v_add_f64_e64 v[62:63], v[56:57], -v[60:61]
	;; [unrolled: 1-line block ×3, first 2 shown]
	s_delay_alu instid0(VALU_DEP_3) | instskip(NEXT) | instid1(VALU_DEP_3)
	v_add_f64_e32 v[52:53], v[54:55], v[46:47]
	v_add_f64_e64 v[48:49], v[48:49], -v[62:63]
	s_delay_alu instid0(VALU_DEP_1) | instskip(NEXT) | instid1(VALU_DEP_3)
	v_add_f64_e32 v[48:49], v[50:51], v[48:49]
	v_add_f64_e64 v[50:51], v[52:53], -v[54:55]
	s_delay_alu instid0(VALU_DEP_2) | instskip(NEXT) | instid1(VALU_DEP_2)
	v_add_f64_e32 v[48:49], v[52:53], v[48:49]
	v_add_f64_e64 v[52:53], v[52:53], -v[50:51]
	v_add_f64_e64 v[46:47], v[46:47], -v[50:51]
	s_delay_alu instid0(VALU_DEP_3) | instskip(NEXT) | instid1(VALU_DEP_3)
	v_add_f64_e32 v[58:59], v[56:57], v[48:49]
	v_add_f64_e64 v[50:51], v[54:55], -v[52:53]
	s_delay_alu instid0(VALU_DEP_2) | instskip(NEXT) | instid1(VALU_DEP_2)
	v_add_f64_e64 v[52:53], v[58:59], -v[56:57]
	v_add_f64_e32 v[46:47], v[46:47], v[50:51]
	s_delay_alu instid0(VALU_DEP_2) | instskip(NEXT) | instid1(VALU_DEP_1)
	v_add_f64_e64 v[48:49], v[48:49], -v[52:53]
	v_add_f64_e32 v[46:47], v[46:47], v[48:49]
	s_delay_alu instid0(VALU_DEP_1) | instskip(NEXT) | instid1(VALU_DEP_1)
	v_add_f64_e32 v[46:47], v[58:59], v[46:47]
	v_cndmask_b32_e32 v40, 0x7ff00000, v47, vcc_lo
	s_and_b32 vcc_lo, s0, vcc_lo
	s_delay_alu instid0(VALU_DEP_2) | instskip(NEXT) | instid1(VALU_DEP_2)
	v_cndmask_b32_e32 v46, 0, v46, vcc_lo
	v_cndmask_b32_e64 v47, 0xfff00000, v40, s0
	s_delay_alu instid0(VALU_DEP_1)
	v_fma_f64 v[46:47], |v[8:9]|, v[46:47], -|v[8:9]|
.LBB12_201:                             ;   in Loop: Header=BB12_162 Depth=1
	s_and_not1_saveexec_b32 s4, s4
	s_cbranch_execz .LBB12_203
; %bb.202:                              ;   in Loop: Header=BB12_162 Depth=1
	v_frexp_mant_f64_e64 v[46:47], |v[8:9]|
	v_and_b32_e32 v61, 0x7fffffff, v9
	v_cmp_neq_f64_e64 s0, 0, v[8:9]
	v_mov_b32_e32 v60, v8
	s_delay_alu instid0(VALU_DEP_1) | instskip(SKIP_1) | instid1(VALU_DEP_2)
	v_div_scale_f64 v[62:63], null, v[60:61], v[60:61], 1.0
	v_cmp_gt_f64_e32 vcc_lo, s[8:9], v[46:47]
	v_rcp_f64_e32 v[66:67], v[62:63]
	v_cndmask_b32_e64 v40, 0, 1, vcc_lo
	s_delay_alu instid0(VALU_DEP_1) | instskip(SKIP_1) | instid1(TRANS32_DEP_1)
	v_ldexp_f64 v[46:47], v[46:47], v40
	v_frexp_exp_i32_f64_e32 v40, v[8:9]
	v_fma_f64 v[70:71], -v[62:63], v[66:67], 1.0
	s_delay_alu instid0(VALU_DEP_3) | instskip(SKIP_1) | instid1(VALU_DEP_4)
	v_add_f64_e32 v[48:49], 1.0, v[46:47]
	v_add_f64_e32 v[54:55], -1.0, v[46:47]
	v_subrev_co_ci_u32_e64 v40, null, 0, v40, vcc_lo
	v_div_scale_f64 v[60:61], vcc_lo, 1.0, v[60:61], 1.0
	v_fmac_f64_e32 v[66:67], v[66:67], v[70:71]
	v_rcp_f64_e32 v[50:51], v[48:49]
	v_add_f64_e32 v[56:57], -1.0, v[48:49]
	s_delay_alu instid0(VALU_DEP_1) | instskip(NEXT) | instid1(TRANS32_DEP_1)
	v_add_f64_e64 v[46:47], v[46:47], -v[56:57]
	v_fma_f64 v[52:53], -v[48:49], v[50:51], 1.0
	s_delay_alu instid0(VALU_DEP_1) | instskip(NEXT) | instid1(VALU_DEP_1)
	v_fmac_f64_e32 v[50:51], v[52:53], v[50:51]
	v_fma_f64 v[52:53], -v[48:49], v[50:51], 1.0
	s_delay_alu instid0(VALU_DEP_1) | instskip(NEXT) | instid1(VALU_DEP_1)
	v_fmac_f64_e32 v[50:51], v[52:53], v[50:51]
	v_mul_f64_e32 v[52:53], v[54:55], v[50:51]
	s_delay_alu instid0(VALU_DEP_1) | instskip(NEXT) | instid1(VALU_DEP_1)
	v_mul_f64_e32 v[58:59], v[48:49], v[52:53]
	v_fma_f64 v[48:49], v[52:53], v[48:49], -v[58:59]
	s_delay_alu instid0(VALU_DEP_1) | instskip(NEXT) | instid1(VALU_DEP_1)
	v_fmac_f64_e32 v[48:49], v[52:53], v[46:47]
	v_add_f64_e32 v[46:47], v[58:59], v[48:49]
	s_delay_alu instid0(VALU_DEP_1) | instskip(SKIP_1) | instid1(VALU_DEP_2)
	v_add_f64_e64 v[56:57], v[54:55], -v[46:47]
	v_add_f64_e64 v[58:59], v[46:47], -v[58:59]
	;; [unrolled: 1-line block ×3, first 2 shown]
	s_delay_alu instid0(VALU_DEP_2) | instskip(NEXT) | instid1(VALU_DEP_2)
	v_add_f64_e64 v[48:49], v[58:59], -v[48:49]
	v_add_f64_e64 v[46:47], v[54:55], -v[46:47]
	s_delay_alu instid0(VALU_DEP_1) | instskip(NEXT) | instid1(VALU_DEP_1)
	v_add_f64_e32 v[46:47], v[48:49], v[46:47]
	v_add_f64_e32 v[46:47], v[56:57], v[46:47]
	s_delay_alu instid0(VALU_DEP_1) | instskip(NEXT) | instid1(VALU_DEP_1)
	v_mul_f64_e32 v[46:47], v[50:51], v[46:47]
	v_add_f64_e32 v[48:49], v[52:53], v[46:47]
	s_delay_alu instid0(VALU_DEP_1) | instskip(NEXT) | instid1(VALU_DEP_1)
	v_mul_f64_e32 v[50:51], v[48:49], v[48:49]
	v_fmamk_f64 v[54:55], v[50:51], 0x3fc3ab76bf559e2b, v[12:13]
	v_mul_f64_e32 v[56:57], v[48:49], v[50:51]
	s_delay_alu instid0(VALU_DEP_2) | instskip(NEXT) | instid1(VALU_DEP_1)
	v_fmaak_f64 v[54:55], v[50:51], v[54:55], 0x3fc7474dd7f4df2e
	v_fmaak_f64 v[54:55], v[50:51], v[54:55], 0x3fcc71c016291751
	s_delay_alu instid0(VALU_DEP_1) | instskip(NEXT) | instid1(VALU_DEP_1)
	v_fmaak_f64 v[54:55], v[50:51], v[54:55], 0x3fd249249b27acf1
	v_fmaak_f64 v[54:55], v[50:51], v[54:55], 0x3fd99999998ef7b6
	s_delay_alu instid0(VALU_DEP_1) | instskip(SKIP_2) | instid1(VALU_DEP_3)
	v_fmaak_f64 v[50:51], v[50:51], v[54:55], 0x3fe5555555555780
	v_ldexp_f64 v[54:55], v[48:49], 1
	v_add_f64_e64 v[48:49], v[48:49], -v[52:53]
	v_mul_f64_e32 v[50:51], v[56:57], v[50:51]
	v_cvt_f64_i32_e32 v[56:57], v40
	s_delay_alu instid0(VALU_DEP_3) | instskip(NEXT) | instid1(VALU_DEP_3)
	v_add_f64_e64 v[46:47], v[46:47], -v[48:49]
	v_add_f64_e32 v[52:53], v[54:55], v[50:51]
	s_delay_alu instid0(VALU_DEP_3) | instskip(NEXT) | instid1(VALU_DEP_3)
	v_mul_f64_e32 v[58:59], 0x3fe62e42fefa39ef, v[56:57]
	v_ldexp_f64 v[46:47], v[46:47], 1
	s_delay_alu instid0(VALU_DEP_3) | instskip(NEXT) | instid1(VALU_DEP_3)
	v_add_f64_e64 v[48:49], v[52:53], -v[54:55]
	v_fma_f64 v[54:55], v[56:57], s[12:13], -v[58:59]
	s_delay_alu instid0(VALU_DEP_2) | instskip(NEXT) | instid1(VALU_DEP_2)
	v_add_f64_e64 v[48:49], v[50:51], -v[48:49]
	v_fmac_f64_e32 v[54:55], 0x3c7abc9e3b39803f, v[56:57]
	s_delay_alu instid0(VALU_DEP_2) | instskip(NEXT) | instid1(VALU_DEP_2)
	v_add_f64_e32 v[46:47], v[46:47], v[48:49]
	v_add_f64_e32 v[48:49], v[58:59], v[54:55]
	s_delay_alu instid0(VALU_DEP_2) | instskip(NEXT) | instid1(VALU_DEP_2)
	v_add_f64_e32 v[50:51], v[52:53], v[46:47]
	v_add_f64_e64 v[58:59], v[48:49], -v[58:59]
	s_delay_alu instid0(VALU_DEP_2) | instskip(SKIP_1) | instid1(VALU_DEP_3)
	v_add_f64_e32 v[56:57], v[48:49], v[50:51]
	v_add_f64_e64 v[52:53], v[50:51], -v[52:53]
	v_add_f64_e64 v[54:55], v[54:55], -v[58:59]
	s_delay_alu instid0(VALU_DEP_3) | instskip(NEXT) | instid1(VALU_DEP_3)
	v_add_f64_e64 v[64:65], v[56:57], -v[48:49]
	v_add_f64_e64 v[46:47], v[46:47], -v[52:53]
	s_delay_alu instid0(VALU_DEP_2) | instskip(SKIP_1) | instid1(VALU_DEP_3)
	v_add_f64_e64 v[68:69], v[56:57], -v[64:65]
	v_add_f64_e64 v[50:51], v[50:51], -v[64:65]
	v_add_f64_e32 v[52:53], v[54:55], v[46:47]
	s_delay_alu instid0(VALU_DEP_3) | instskip(NEXT) | instid1(VALU_DEP_2)
	v_add_f64_e64 v[48:49], v[48:49], -v[68:69]
	v_add_f64_e64 v[58:59], v[52:53], -v[54:55]
	s_delay_alu instid0(VALU_DEP_2) | instskip(SKIP_1) | instid1(VALU_DEP_3)
	v_add_f64_e32 v[48:49], v[50:51], v[48:49]
	v_fma_f64 v[50:51], -v[62:63], v[66:67], 1.0
	v_add_f64_e64 v[46:47], v[46:47], -v[58:59]
	s_delay_alu instid0(VALU_DEP_3) | instskip(NEXT) | instid1(VALU_DEP_3)
	v_add_f64_e32 v[48:49], v[52:53], v[48:49]
	v_fmac_f64_e32 v[66:67], v[66:67], v[50:51]
	v_add_f64_e64 v[50:51], v[52:53], -v[58:59]
	s_delay_alu instid0(VALU_DEP_3) | instskip(NEXT) | instid1(VALU_DEP_3)
	v_add_f64_e32 v[52:53], v[56:57], v[48:49]
	v_mul_f64_e32 v[64:65], v[60:61], v[66:67]
	s_delay_alu instid0(VALU_DEP_3) | instskip(NEXT) | instid1(VALU_DEP_3)
	v_add_f64_e64 v[50:51], v[54:55], -v[50:51]
	v_add_f64_e64 v[54:55], v[52:53], -v[56:57]
	s_delay_alu instid0(VALU_DEP_3) | instskip(NEXT) | instid1(VALU_DEP_3)
	v_fma_f64 v[56:57], -v[62:63], v[64:65], v[60:61]
	v_add_f64_e32 v[46:47], v[46:47], v[50:51]
	s_delay_alu instid0(VALU_DEP_3) | instskip(NEXT) | instid1(VALU_DEP_3)
	v_add_f64_e64 v[48:49], v[48:49], -v[54:55]
	v_div_fmas_f64 v[50:51], v[56:57], v[66:67], v[64:65]
	v_cmp_neq_f64_e64 vcc_lo, 0x7ff00000, |v[8:9]|
	v_add_f64_e64 v[54:55], |v[8:9]|, -0.5
	s_delay_alu instid0(VALU_DEP_4) | instskip(NEXT) | instid1(VALU_DEP_4)
	v_add_f64_e32 v[46:47], v[46:47], v[48:49]
	v_div_fixup_f64 v[48:49], v[50:51], |v[8:9]|, 1.0
	s_delay_alu instid0(VALU_DEP_2) | instskip(NEXT) | instid1(VALU_DEP_2)
	v_add_f64_e32 v[46:47], v[52:53], v[46:47]
	v_mul_f64_e32 v[50:51], v[48:49], v[48:49]
	s_delay_alu instid0(VALU_DEP_2) | instskip(NEXT) | instid1(VALU_DEP_2)
	v_add_f64_e32 v[52:53], -1.0, v[46:47]
	v_fmamk_f64 v[46:47], v[50:51], 0xbf5ab89d0b9e43e4, v[14:15]
	s_delay_alu instid0(VALU_DEP_1) | instskip(NEXT) | instid1(VALU_DEP_1)
	v_fmaak_f64 v[46:47], v[50:51], v[46:47], 0xbf4380cb8c0fe741
	v_fmaak_f64 v[46:47], v[50:51], v[46:47], 0x3f4a019f98cf38b6
	s_delay_alu instid0(VALU_DEP_1) | instskip(NEXT) | instid1(VALU_DEP_1)
	v_fmaak_f64 v[46:47], v[50:51], v[46:47], 0xbf66c16c16b02e5c
	v_fmaak_f64 v[46:47], v[50:51], v[46:47], 0x3fb555555555553b
	v_cndmask_b32_e32 v40, 0x7ff00000, v53, vcc_lo
	s_and_b32 vcc_lo, s0, vcc_lo
	s_delay_alu instid0(VALU_DEP_2) | instskip(NEXT) | instid1(VALU_DEP_2)
	v_fmaak_f64 v[46:47], v[48:49], v[46:47], 0x3fdacfe390c97d69
	v_cndmask_b32_e64 v49, 0xfff00000, v40, s0
	v_cndmask_b32_e32 v48, 0, v52, vcc_lo
	s_delay_alu instid0(VALU_DEP_1)
	v_fmac_f64_e32 v[46:47], v[54:55], v[48:49]
.LBB12_203:                             ;   in Loop: Header=BB12_162 Depth=1
	s_or_b32 exec_lo, exec_lo, s4
.LBB12_204:                             ;   in Loop: Header=BB12_162 Depth=1
	s_and_not1_saveexec_b32 s2, s2
	s_cbranch_execz .LBB12_206
; %bb.205:                              ;   in Loop: Header=BB12_162 Depth=1
	v_cvt_i32_f64_e32 v40, v[44:45]
	s_delay_alu instid0(VALU_DEP_1) | instskip(SKIP_2) | instid1(VALU_DEP_3)
	v_cvt_f64_i32_e32 v[46:47], v40
	v_cmp_lt_i32_e32 vcc_lo, 2, v40
	v_cmp_lt_i32_e64 s0, 3, v40
	v_add_f64_e64 v[46:47], |v[8:9]|, -v[46:47]
	s_delay_alu instid0(VALU_DEP_1) | instskip(SKIP_2) | instid1(VALU_DEP_2)
	v_add_f64_e32 v[52:53], 4.0, v[46:47]
	v_add_f64_e32 v[48:49], 2.0, v[46:47]
	v_add_f64_e32 v[50:51], 0x40080000, v[46:47]
	v_cndmask_b32_e32 v49, 0x3ff00000, v49, vcc_lo
	s_delay_alu instid0(VALU_DEP_3) | instskip(SKIP_1) | instid1(VALU_DEP_4)
	v_cndmask_b32_e32 v48, 0, v48, vcc_lo
	v_cmp_lt_i32_e32 vcc_lo, 4, v40
	v_cndmask_b32_e64 v51, 0x3ff00000, v51, s0
	v_cndmask_b32_e32 v53, 0x3ff00000, v53, vcc_lo
	v_dual_cndmask_b32 v52, 0, v52, vcc_lo :: v_dual_cndmask_b32 v50, 0, v50, s0
	v_cmp_lt_i32_e32 vcc_lo, 5, v40
	s_delay_alu instid0(VALU_DEP_2) | instskip(SKIP_1) | instid1(VALU_DEP_2)
	v_mul_f64_e32 v[48:49], v[48:49], v[50:51]
	v_add_f64_e32 v[50:51], 0x40140000, v[46:47]
	v_mul_f64_e32 v[48:49], v[52:53], v[48:49]
	v_add_f64_e32 v[52:53], 0x40180000, v[46:47]
	s_delay_alu instid0(VALU_DEP_3) | instskip(NEXT) | instid1(VALU_DEP_4)
	v_cndmask_b32_e32 v51, 0x3ff00000, v51, vcc_lo
	v_cndmask_b32_e32 v50, 0, v50, vcc_lo
	v_cmp_lt_i32_e32 vcc_lo, 6, v40
	s_delay_alu instid0(VALU_DEP_2) | instskip(SKIP_2) | instid1(VALU_DEP_1)
	v_mul_f64_e32 v[48:49], v[50:51], v[48:49]
	v_cndmask_b32_e32 v51, 0x3ff00000, v53, vcc_lo
	v_cndmask_b32_e32 v50, 0, v52, vcc_lo
	v_mul_f64_e32 v[48:49], v[50:51], v[48:49]
	s_delay_alu instid0(VALU_DEP_1) | instskip(NEXT) | instid1(VALU_DEP_1)
	v_frexp_mant_f64_e32 v[50:51], v[48:49]
	v_cmp_gt_f64_e32 vcc_lo, s[8:9], v[50:51]
	v_cndmask_b32_e64 v40, 0, 1, vcc_lo
	s_delay_alu instid0(VALU_DEP_1) | instskip(SKIP_1) | instid1(VALU_DEP_2)
	v_ldexp_f64 v[50:51], v[50:51], v40
	v_frexp_exp_i32_f64_e32 v40, v[48:49]
	v_add_f64_e32 v[52:53], 1.0, v[50:51]
	v_add_f64_e32 v[58:59], -1.0, v[50:51]
	s_delay_alu instid0(VALU_DEP_3) | instskip(NEXT) | instid1(VALU_DEP_3)
	v_subrev_co_ci_u32_e64 v40, null, 0, v40, vcc_lo
	v_rcp_f64_e32 v[54:55], v[52:53]
	v_add_f64_e32 v[60:61], -1.0, v[52:53]
	s_delay_alu instid0(VALU_DEP_1) | instskip(NEXT) | instid1(TRANS32_DEP_1)
	v_add_f64_e64 v[50:51], v[50:51], -v[60:61]
	v_fma_f64 v[56:57], -v[52:53], v[54:55], 1.0
	s_delay_alu instid0(VALU_DEP_1) | instskip(NEXT) | instid1(VALU_DEP_1)
	v_fmac_f64_e32 v[54:55], v[56:57], v[54:55]
	v_fma_f64 v[56:57], -v[52:53], v[54:55], 1.0
	s_delay_alu instid0(VALU_DEP_1) | instskip(NEXT) | instid1(VALU_DEP_1)
	v_fmac_f64_e32 v[54:55], v[56:57], v[54:55]
	v_mul_f64_e32 v[56:57], v[58:59], v[54:55]
	s_delay_alu instid0(VALU_DEP_1) | instskip(NEXT) | instid1(VALU_DEP_1)
	v_mul_f64_e32 v[62:63], v[52:53], v[56:57]
	v_fma_f64 v[52:53], v[56:57], v[52:53], -v[62:63]
	s_delay_alu instid0(VALU_DEP_1) | instskip(NEXT) | instid1(VALU_DEP_1)
	v_fmac_f64_e32 v[52:53], v[56:57], v[50:51]
	v_add_f64_e32 v[50:51], v[62:63], v[52:53]
	s_delay_alu instid0(VALU_DEP_1) | instskip(SKIP_1) | instid1(VALU_DEP_2)
	v_add_f64_e64 v[60:61], v[58:59], -v[50:51]
	v_add_f64_e64 v[62:63], v[50:51], -v[62:63]
	;; [unrolled: 1-line block ×3, first 2 shown]
	s_delay_alu instid0(VALU_DEP_2) | instskip(NEXT) | instid1(VALU_DEP_2)
	v_add_f64_e64 v[52:53], v[62:63], -v[52:53]
	v_add_f64_e64 v[50:51], v[58:59], -v[50:51]
	s_delay_alu instid0(VALU_DEP_1) | instskip(NEXT) | instid1(VALU_DEP_1)
	v_add_f64_e32 v[50:51], v[52:53], v[50:51]
	v_add_f64_e32 v[50:51], v[60:61], v[50:51]
	s_delay_alu instid0(VALU_DEP_1) | instskip(NEXT) | instid1(VALU_DEP_1)
	v_mul_f64_e32 v[50:51], v[54:55], v[50:51]
	v_add_f64_e32 v[52:53], v[56:57], v[50:51]
	s_delay_alu instid0(VALU_DEP_1) | instskip(NEXT) | instid1(VALU_DEP_1)
	v_mul_f64_e32 v[54:55], v[52:53], v[52:53]
	v_fmamk_f64 v[58:59], v[54:55], 0x3fc3ab76bf559e2b, v[12:13]
	v_mul_f64_e32 v[60:61], v[52:53], v[54:55]
	s_delay_alu instid0(VALU_DEP_2) | instskip(NEXT) | instid1(VALU_DEP_1)
	v_fmaak_f64 v[58:59], v[54:55], v[58:59], 0x3fc7474dd7f4df2e
	v_fmaak_f64 v[58:59], v[54:55], v[58:59], 0x3fcc71c016291751
	s_delay_alu instid0(VALU_DEP_1) | instskip(NEXT) | instid1(VALU_DEP_1)
	v_fmaak_f64 v[58:59], v[54:55], v[58:59], 0x3fd249249b27acf1
	v_fmaak_f64 v[58:59], v[54:55], v[58:59], 0x3fd99999998ef7b6
	s_delay_alu instid0(VALU_DEP_1) | instskip(SKIP_2) | instid1(VALU_DEP_3)
	v_fmaak_f64 v[54:55], v[54:55], v[58:59], 0x3fe5555555555780
	v_ldexp_f64 v[58:59], v[52:53], 1
	v_add_f64_e64 v[52:53], v[52:53], -v[56:57]
	v_mul_f64_e32 v[54:55], v[60:61], v[54:55]
	v_cvt_f64_i32_e32 v[60:61], v40
	s_delay_alu instid0(VALU_DEP_3) | instskip(NEXT) | instid1(VALU_DEP_3)
	v_add_f64_e64 v[50:51], v[50:51], -v[52:53]
	v_add_f64_e32 v[56:57], v[58:59], v[54:55]
	s_delay_alu instid0(VALU_DEP_3) | instskip(NEXT) | instid1(VALU_DEP_3)
	v_mul_f64_e32 v[62:63], 0x3fe62e42fefa39ef, v[60:61]
	v_ldexp_f64 v[50:51], v[50:51], 1
	s_delay_alu instid0(VALU_DEP_3) | instskip(NEXT) | instid1(VALU_DEP_3)
	v_add_f64_e64 v[52:53], v[56:57], -v[58:59]
	v_fma_f64 v[58:59], v[60:61], s[12:13], -v[62:63]
	s_delay_alu instid0(VALU_DEP_2) | instskip(NEXT) | instid1(VALU_DEP_2)
	v_add_f64_e64 v[52:53], v[54:55], -v[52:53]
	v_fmac_f64_e32 v[58:59], 0x3c7abc9e3b39803f, v[60:61]
	v_fmamk_f64 v[54:55], v[46:47], 0x3f00bfecdd17e945, v[16:17]
	s_delay_alu instid0(VALU_DEP_1) | instskip(NEXT) | instid1(VALU_DEP_1)
	v_fmaak_f64 v[54:55], v[46:47], v[54:55], 0x3f9b481c7e939961
	v_fmaak_f64 v[54:55], v[46:47], v[54:55], 0x3fc2bb9cbee5f2f7
	s_delay_alu instid0(VALU_DEP_1) | instskip(NEXT) | instid1(VALU_DEP_1)
	v_fmaak_f64 v[54:55], v[46:47], v[54:55], 0x3fd4d98f4f139f59
	v_fmaak_f64 v[54:55], v[46:47], v[54:55], 0x3fcb848b36e20878
	v_add_f64_e32 v[50:51], v[50:51], v[52:53]
	v_fmamk_f64 v[52:53], v[46:47], 0x3edebaf7a5b38140, v[18:19]
	v_add_f64_e32 v[60:61], v[62:63], v[58:59]
	s_delay_alu instid0(VALU_DEP_4) | instskip(NEXT) | instid1(VALU_DEP_3)
	v_fmaak_f64 v[54:55], v[46:47], v[54:55], 0xbfb3c467e37db0c8
	v_fmaak_f64 v[52:53], v[46:47], v[52:53], 0x3f9317ea742ed475
	s_delay_alu instid0(VALU_DEP_2) | instskip(NEXT) | instid1(VALU_DEP_2)
	v_mul_f64_e32 v[54:55], v[46:47], v[54:55]
	v_fmaak_f64 v[52:53], v[46:47], v[52:53], 0x3fc601edccfbdf27
	s_delay_alu instid0(VALU_DEP_1) | instskip(NEXT) | instid1(VALU_DEP_1)
	v_fmaak_f64 v[52:53], v[46:47], v[52:53], 0x3fe71a1893d3dcdc
	v_fmaak_f64 v[52:53], v[46:47], v[52:53], 0x3ff645a762c4ab74
	v_add_f64_e32 v[64:65], v[56:57], v[50:51]
	v_add_f64_e64 v[62:63], v[60:61], -v[62:63]
	s_delay_alu instid0(VALU_DEP_3) | instskip(NEXT) | instid1(VALU_DEP_3)
	v_fma_f64 v[52:53], v[46:47], v[52:53], 1.0
	v_add_f64_e32 v[66:67], v[60:61], v[64:65]
	v_add_f64_e64 v[56:57], v[64:65], -v[56:57]
	s_delay_alu instid0(VALU_DEP_4) | instskip(NEXT) | instid1(VALU_DEP_4)
	v_add_f64_e64 v[58:59], v[58:59], -v[62:63]
	v_div_scale_f64 v[68:69], null, v[52:53], v[52:53], v[54:55]
	s_delay_alu instid0(VALU_DEP_4) | instskip(NEXT) | instid1(VALU_DEP_4)
	v_add_f64_e64 v[70:71], v[66:67], -v[60:61]
	v_add_f64_e64 v[50:51], v[50:51], -v[56:57]
	s_delay_alu instid0(VALU_DEP_3) | instskip(NEXT) | instid1(VALU_DEP_2)
	v_rcp_f64_e32 v[72:73], v[68:69]
	v_add_f64_e64 v[74:75], v[66:67], -v[70:71]
	v_add_f64_e64 v[56:57], v[64:65], -v[70:71]
	s_delay_alu instid0(VALU_DEP_3) | instskip(SKIP_1) | instid1(TRANS32_DEP_1)
	v_add_f64_e32 v[62:63], v[58:59], v[50:51]
	v_div_scale_f64 v[70:71], vcc_lo, v[54:55], v[52:53], v[54:55]
	v_fma_f64 v[76:77], -v[68:69], v[72:73], 1.0
	v_add_f64_e64 v[60:61], v[60:61], -v[74:75]
	s_delay_alu instid0(VALU_DEP_4) | instskip(NEXT) | instid1(VALU_DEP_3)
	v_add_f64_e64 v[64:65], v[62:63], -v[58:59]
	v_fmac_f64_e32 v[72:73], v[72:73], v[76:77]
	s_delay_alu instid0(VALU_DEP_3) | instskip(NEXT) | instid1(VALU_DEP_3)
	v_add_f64_e32 v[56:57], v[56:57], v[60:61]
	v_add_f64_e64 v[50:51], v[50:51], -v[64:65]
	s_delay_alu instid0(VALU_DEP_3) | instskip(NEXT) | instid1(VALU_DEP_3)
	v_fma_f64 v[60:61], -v[68:69], v[72:73], 1.0
	v_add_f64_e32 v[56:57], v[62:63], v[56:57]
	s_delay_alu instid0(VALU_DEP_2) | instskip(SKIP_1) | instid1(VALU_DEP_3)
	v_fmac_f64_e32 v[72:73], v[72:73], v[60:61]
	v_add_f64_e64 v[60:61], v[62:63], -v[64:65]
	v_add_f64_e32 v[62:63], v[66:67], v[56:57]
	s_delay_alu instid0(VALU_DEP_3) | instskip(NEXT) | instid1(VALU_DEP_3)
	v_mul_f64_e32 v[74:75], v[70:71], v[72:73]
	v_add_f64_e64 v[58:59], v[58:59], -v[60:61]
	s_delay_alu instid0(VALU_DEP_3) | instskip(NEXT) | instid1(VALU_DEP_3)
	v_add_f64_e64 v[60:61], v[62:63], -v[66:67]
	v_fma_f64 v[64:65], -v[68:69], v[74:75], v[70:71]
	s_delay_alu instid0(VALU_DEP_3) | instskip(NEXT) | instid1(VALU_DEP_3)
	v_add_f64_e32 v[50:51], v[50:51], v[58:59]
	v_add_f64_e64 v[56:57], v[56:57], -v[60:61]
	s_delay_alu instid0(VALU_DEP_3) | instskip(SKIP_1) | instid1(VALU_DEP_3)
	v_div_fmas_f64 v[58:59], v[64:65], v[72:73], v[74:75]
	v_cmp_class_f64_e64 vcc_lo, v[48:49], 0x204
	v_add_f64_e32 v[50:51], v[50:51], v[56:57]
	s_delay_alu instid0(VALU_DEP_3) | instskip(NEXT) | instid1(VALU_DEP_2)
	v_div_fixup_f64 v[52:53], v[58:59], v[52:53], v[54:55]
	v_add_f64_e32 v[50:51], v[62:63], v[50:51]
	s_delay_alu instid0(VALU_DEP_2) | instskip(NEXT) | instid1(VALU_DEP_2)
	v_fmac_f64_e32 v[52:53], 0.5, v[46:47]
	v_dual_cndmask_b32 v40, v50, v48, vcc_lo :: v_dual_cndmask_b32 v44, v51, v49, vcc_lo
	v_cmp_ngt_f64_e32 vcc_lo, 0, v[48:49]
	s_delay_alu instid0(VALU_DEP_2) | instskip(SKIP_1) | instid1(VALU_DEP_4)
	v_cndmask_b32_e32 v44, 0x7ff80000, v44, vcc_lo
	v_cmp_nge_f64_e32 vcc_lo, 0, v[48:49]
	v_cndmask_b32_e32 v46, 0, v40, vcc_lo
	v_cmp_neq_f64_e32 vcc_lo, 0, v[48:49]
	s_delay_alu instid0(VALU_DEP_4) | instskip(NEXT) | instid1(VALU_DEP_1)
	v_cndmask_b32_e32 v47, 0xfff00000, v44, vcc_lo
	v_add_f64_e32 v[46:47], v[52:53], v[46:47]
.LBB12_206:                             ;   in Loop: Header=BB12_162 Depth=1
	s_or_b32 exec_lo, exec_lo, s2
.LBB12_207:                             ;   in Loop: Header=BB12_162 Depth=1
	s_and_not1_saveexec_b32 s4, s1
	s_cbranch_execz .LBB12_221
; %bb.208:                              ;   in Loop: Header=BB12_162 Depth=1
                                        ; implicit-def: $vgpr40
                                        ; implicit-def: $vgpr48_vgpr49
	s_mov_b32 s0, exec_lo
	v_cmpx_lt_u32_e32 0x3feccccc, v45
	s_xor_b32 s1, exec_lo, s0
	s_cbranch_execz .LBB12_210
; %bb.209:                              ;   in Loop: Header=BB12_162 Depth=1
	v_add_f64_e64 v[46:47], -|v[8:9]|, 2.0
	v_add_f64_e64 v[48:49], |v[8:9]|, s[14:15]
	v_add_f64_e64 v[50:51], |v[8:9]|, -1.0
	v_cmp_gt_u32_e32 vcc_lo, 0x3ffbb4c3, v45
	v_cmp_gt_u32_e64 s0, 0x3ff3b4c4, v45
	s_delay_alu instid0(VALU_DEP_4) | instskip(SKIP_1) | instid1(VALU_DEP_2)
	v_dual_cndmask_b32 v40, v46, v48, vcc_lo :: v_dual_cndmask_b32 v44, v47, v49, vcc_lo
	v_cndmask_b32_e64 v46, 0, 1, vcc_lo
	v_cndmask_b32_e64 v48, v40, v50, s0
	s_delay_alu instid0(VALU_DEP_3) | instskip(NEXT) | instid1(VALU_DEP_3)
	v_cndmask_b32_e64 v49, v44, v51, s0
	v_cndmask_b32_e64 v40, v46, 2, s0
.LBB12_210:                             ;   in Loop: Header=BB12_162 Depth=1
	s_or_saveexec_b32 s5, s1
	v_mov_b64_e32 v[46:47], 0
	s_xor_b32 exec_lo, exec_lo, s5
	s_cbranch_execz .LBB12_212
; %bb.211:                              ;   in Loop: Header=BB12_162 Depth=1
	v_frexp_mant_f64_e64 v[46:47], |v[8:9]|
	v_and_b32_e32 v44, 0x7fffffff, v9
	v_cmp_gt_u32_e64 s2, 0x3fcda661, v45
	v_cmp_gt_u32_e64 s1, 0x3fe76944, v45
	v_cmp_neq_f64_e64 s0, 0, v[8:9]
	v_cmp_gt_f64_e32 vcc_lo, s[8:9], v[46:47]
	v_cndmask_b32_e64 v40, 0, 1, vcc_lo
	s_delay_alu instid0(VALU_DEP_1) | instskip(SKIP_1) | instid1(VALU_DEP_2)
	v_ldexp_f64 v[46:47], v[46:47], v40
	v_frexp_exp_i32_f64_e32 v40, v[8:9]
	v_add_f64_e32 v[48:49], 1.0, v[46:47]
	v_add_f64_e32 v[54:55], -1.0, v[46:47]
	s_delay_alu instid0(VALU_DEP_3) | instskip(SKIP_1) | instid1(VALU_DEP_4)
	v_subrev_co_ci_u32_e64 v40, null, 0, v40, vcc_lo
	v_cmp_neq_f64_e64 vcc_lo, 0x7ff00000, |v[8:9]|
	v_rcp_f64_e32 v[50:51], v[48:49]
	v_add_f64_e32 v[56:57], -1.0, v[48:49]
	s_delay_alu instid0(VALU_DEP_1) | instskip(NEXT) | instid1(TRANS32_DEP_1)
	v_add_f64_e64 v[46:47], v[46:47], -v[56:57]
	v_fma_f64 v[52:53], -v[48:49], v[50:51], 1.0
	s_delay_alu instid0(VALU_DEP_1) | instskip(NEXT) | instid1(VALU_DEP_1)
	v_fmac_f64_e32 v[50:51], v[52:53], v[50:51]
	v_fma_f64 v[52:53], -v[48:49], v[50:51], 1.0
	s_delay_alu instid0(VALU_DEP_1) | instskip(NEXT) | instid1(VALU_DEP_1)
	v_fmac_f64_e32 v[50:51], v[52:53], v[50:51]
	v_mul_f64_e32 v[52:53], v[54:55], v[50:51]
	s_delay_alu instid0(VALU_DEP_1) | instskip(NEXT) | instid1(VALU_DEP_1)
	v_mul_f64_e32 v[58:59], v[48:49], v[52:53]
	v_fma_f64 v[48:49], v[52:53], v[48:49], -v[58:59]
	s_delay_alu instid0(VALU_DEP_1) | instskip(NEXT) | instid1(VALU_DEP_1)
	v_fmac_f64_e32 v[48:49], v[52:53], v[46:47]
	v_add_f64_e32 v[46:47], v[58:59], v[48:49]
	s_delay_alu instid0(VALU_DEP_1) | instskip(SKIP_1) | instid1(VALU_DEP_2)
	v_add_f64_e64 v[56:57], v[54:55], -v[46:47]
	v_add_f64_e64 v[58:59], v[46:47], -v[58:59]
	;; [unrolled: 1-line block ×3, first 2 shown]
	s_delay_alu instid0(VALU_DEP_2) | instskip(NEXT) | instid1(VALU_DEP_2)
	v_add_f64_e64 v[48:49], v[58:59], -v[48:49]
	v_add_f64_e64 v[46:47], v[54:55], -v[46:47]
	s_delay_alu instid0(VALU_DEP_1) | instskip(NEXT) | instid1(VALU_DEP_1)
	v_add_f64_e32 v[46:47], v[48:49], v[46:47]
	v_add_f64_e32 v[46:47], v[56:57], v[46:47]
	s_delay_alu instid0(VALU_DEP_1) | instskip(NEXT) | instid1(VALU_DEP_1)
	v_mul_f64_e32 v[46:47], v[50:51], v[46:47]
	v_add_f64_e32 v[48:49], v[52:53], v[46:47]
	s_delay_alu instid0(VALU_DEP_1) | instskip(NEXT) | instid1(VALU_DEP_1)
	v_mul_f64_e32 v[50:51], v[48:49], v[48:49]
	v_fmamk_f64 v[54:55], v[50:51], 0x3fc3ab76bf559e2b, v[12:13]
	v_mul_f64_e32 v[56:57], v[48:49], v[50:51]
	s_delay_alu instid0(VALU_DEP_2) | instskip(NEXT) | instid1(VALU_DEP_1)
	v_fmaak_f64 v[54:55], v[50:51], v[54:55], 0x3fc7474dd7f4df2e
	v_fmaak_f64 v[54:55], v[50:51], v[54:55], 0x3fcc71c016291751
	s_delay_alu instid0(VALU_DEP_1) | instskip(NEXT) | instid1(VALU_DEP_1)
	v_fmaak_f64 v[54:55], v[50:51], v[54:55], 0x3fd249249b27acf1
	v_fmaak_f64 v[54:55], v[50:51], v[54:55], 0x3fd99999998ef7b6
	s_delay_alu instid0(VALU_DEP_1) | instskip(SKIP_2) | instid1(VALU_DEP_3)
	v_fmaak_f64 v[50:51], v[50:51], v[54:55], 0x3fe5555555555780
	v_ldexp_f64 v[54:55], v[48:49], 1
	v_add_f64_e64 v[48:49], v[48:49], -v[52:53]
	v_mul_f64_e32 v[50:51], v[56:57], v[50:51]
	v_cvt_f64_i32_e32 v[56:57], v40
	s_delay_alu instid0(VALU_DEP_3) | instskip(NEXT) | instid1(VALU_DEP_3)
	v_add_f64_e64 v[46:47], v[46:47], -v[48:49]
	v_add_f64_e32 v[52:53], v[54:55], v[50:51]
	s_delay_alu instid0(VALU_DEP_3) | instskip(NEXT) | instid1(VALU_DEP_3)
	v_mul_f64_e32 v[58:59], 0x3fe62e42fefa39ef, v[56:57]
	v_ldexp_f64 v[46:47], v[46:47], 1
	s_delay_alu instid0(VALU_DEP_3) | instskip(NEXT) | instid1(VALU_DEP_3)
	v_add_f64_e64 v[48:49], v[52:53], -v[54:55]
	v_fma_f64 v[54:55], v[56:57], s[12:13], -v[58:59]
	s_delay_alu instid0(VALU_DEP_2) | instskip(NEXT) | instid1(VALU_DEP_2)
	v_add_f64_e64 v[48:49], v[50:51], -v[48:49]
	v_fmac_f64_e32 v[54:55], 0x3c7abc9e3b39803f, v[56:57]
	s_delay_alu instid0(VALU_DEP_2) | instskip(NEXT) | instid1(VALU_DEP_2)
	v_add_f64_e32 v[46:47], v[46:47], v[48:49]
	v_add_f64_e32 v[48:49], v[58:59], v[54:55]
	s_delay_alu instid0(VALU_DEP_2) | instskip(NEXT) | instid1(VALU_DEP_2)
	v_add_f64_e32 v[50:51], v[52:53], v[46:47]
	v_add_f64_e64 v[58:59], v[48:49], -v[58:59]
	s_delay_alu instid0(VALU_DEP_2) | instskip(SKIP_1) | instid1(VALU_DEP_3)
	v_add_f64_e32 v[56:57], v[48:49], v[50:51]
	v_add_f64_e64 v[52:53], v[50:51], -v[52:53]
	v_add_f64_e64 v[54:55], v[54:55], -v[58:59]
	s_delay_alu instid0(VALU_DEP_3) | instskip(NEXT) | instid1(VALU_DEP_3)
	v_add_f64_e64 v[60:61], v[56:57], -v[48:49]
	v_add_f64_e64 v[46:47], v[46:47], -v[52:53]
	s_delay_alu instid0(VALU_DEP_2) | instskip(SKIP_1) | instid1(VALU_DEP_3)
	v_add_f64_e64 v[62:63], v[56:57], -v[60:61]
	v_add_f64_e64 v[50:51], v[50:51], -v[60:61]
	v_add_f64_e32 v[52:53], v[54:55], v[46:47]
	s_delay_alu instid0(VALU_DEP_3) | instskip(NEXT) | instid1(VALU_DEP_1)
	v_add_f64_e64 v[48:49], v[48:49], -v[62:63]
	v_add_f64_e32 v[48:49], v[50:51], v[48:49]
	s_delay_alu instid0(VALU_DEP_3) | instskip(NEXT) | instid1(VALU_DEP_2)
	v_add_f64_e64 v[50:51], v[52:53], -v[54:55]
	v_add_f64_e32 v[48:49], v[52:53], v[48:49]
	s_delay_alu instid0(VALU_DEP_2) | instskip(SKIP_1) | instid1(VALU_DEP_3)
	v_add_f64_e64 v[52:53], v[52:53], -v[50:51]
	v_add_f64_e64 v[46:47], v[46:47], -v[50:51]
	v_add_f64_e32 v[58:59], v[56:57], v[48:49]
	s_delay_alu instid0(VALU_DEP_3) | instskip(NEXT) | instid1(VALU_DEP_2)
	v_add_f64_e64 v[50:51], v[54:55], -v[52:53]
	v_add_f64_e64 v[52:53], v[58:59], -v[56:57]
	s_delay_alu instid0(VALU_DEP_2) | instskip(SKIP_1) | instid1(VALU_DEP_3)
	v_add_f64_e32 v[46:47], v[46:47], v[50:51]
	v_add_f64_e64 v[50:51], |v[8:9]|, s[16:17]
	v_add_f64_e64 v[48:49], v[48:49], -v[52:53]
	s_delay_alu instid0(VALU_DEP_1) | instskip(SKIP_1) | instid1(VALU_DEP_2)
	v_add_f64_e32 v[46:47], v[46:47], v[48:49]
	v_add_f64_e64 v[48:49], -|v[8:9]|, 1.0
	v_add_f64_e32 v[46:47], v[58:59], v[46:47]
	s_delay_alu instid0(VALU_DEP_1) | instskip(NEXT) | instid1(VALU_DEP_3)
	v_xor_b32_e32 v40, 0x80000000, v47
	v_dual_cndmask_b32 v47, v48, v50, s1 :: v_dual_cndmask_b32 v48, v49, v51, s1
	v_cndmask_b32_e64 v50, 0, 1, s1
	s_delay_alu instid0(VALU_DEP_3) | instskip(SKIP_1) | instid1(VALU_DEP_3)
	v_cndmask_b32_e32 v40, 0xfff00000, v40, vcc_lo
	s_and_b32 vcc_lo, s0, vcc_lo
	v_cndmask_b32_e64 v49, v48, v44, s2
	v_dual_cndmask_b32 v48, v47, v8, s2 :: v_dual_cndmask_b32 v46, 0, v46, vcc_lo
	s_delay_alu instid0(VALU_DEP_3)
	v_cndmask_b32_e64 v47, 0x7ff00000, v40, s0
	v_cndmask_b32_e64 v40, v50, 2, s2
.LBB12_212:                             ;   in Loop: Header=BB12_162 Depth=1
	s_or_b32 exec_lo, exec_lo, s5
	s_delay_alu instid0(SALU_CYCLE_1) | instskip(NEXT) | instid1(VALU_DEP_1)
	s_mov_b32 s0, exec_lo
                                        ; implicit-def: $vgpr50_vgpr51
	v_cmpx_lt_i32_e32 1, v40
	s_xor_b32 s0, exec_lo, s0
	s_cbranch_execz .LBB12_214
; %bb.213:                              ;   in Loop: Header=BB12_162 Depth=1
	v_fmamk_f64 v[50:51], v[48:49], 0x3f8b678bbf2bab09, v[20:21]
	v_fmamk_f64 v[52:53], v[48:49], 0x3f6a5abb57d0cf61, v[22:23]
                                        ; implicit-def: $vgpr40
	s_delay_alu instid0(VALU_DEP_2) | instskip(NEXT) | instid1(VALU_DEP_2)
	v_fmaak_f64 v[50:51], v[48:49], v[50:51], 0x3fef497644ea8450
	v_fmaak_f64 v[52:53], v[48:49], v[52:53], 0x3fe89dfbe45050af
	s_delay_alu instid0(VALU_DEP_2) | instskip(NEXT) | instid1(VALU_DEP_2)
	v_fmaak_f64 v[50:51], v[48:49], v[50:51], 0x3ff7475cd119bd6f
	v_fmaak_f64 v[52:53], v[48:49], v[52:53], 0x40010725a42b18f5
	;; [unrolled: 3-line block ×3, first 2 shown]
	s_delay_alu instid0(VALU_DEP_2) | instskip(NEXT) | instid1(VALU_DEP_2)
	v_fmaak_f64 v[50:51], v[48:49], v[50:51], 0xbfb3c467e37db0c8
	v_fma_f64 v[52:53], v[48:49], v[52:53], 1.0
	s_delay_alu instid0(VALU_DEP_2) | instskip(NEXT) | instid1(VALU_DEP_1)
	v_mul_f64_e32 v[50:51], v[48:49], v[50:51]
	v_div_scale_f64 v[54:55], null, v[52:53], v[52:53], v[50:51]
	s_delay_alu instid0(VALU_DEP_1) | instskip(SKIP_1) | instid1(TRANS32_DEP_1)
	v_rcp_f64_e32 v[56:57], v[54:55]
	v_nop
	v_fma_f64 v[58:59], -v[54:55], v[56:57], 1.0
	s_delay_alu instid0(VALU_DEP_1) | instskip(NEXT) | instid1(VALU_DEP_1)
	v_fmac_f64_e32 v[56:57], v[56:57], v[58:59]
	v_fma_f64 v[58:59], -v[54:55], v[56:57], 1.0
	s_delay_alu instid0(VALU_DEP_1) | instskip(SKIP_1) | instid1(VALU_DEP_1)
	v_fmac_f64_e32 v[56:57], v[56:57], v[58:59]
	v_div_scale_f64 v[58:59], vcc_lo, v[50:51], v[52:53], v[50:51]
	v_mul_f64_e32 v[60:61], v[58:59], v[56:57]
	s_delay_alu instid0(VALU_DEP_1) | instskip(NEXT) | instid1(VALU_DEP_1)
	v_fma_f64 v[54:55], -v[54:55], v[60:61], v[58:59]
	v_div_fmas_f64 v[54:55], v[54:55], v[56:57], v[60:61]
	s_delay_alu instid0(VALU_DEP_1) | instskip(NEXT) | instid1(VALU_DEP_1)
	v_div_fixup_f64 v[50:51], v[54:55], v[52:53], v[50:51]
	v_fmac_f64_e32 v[50:51], -0.5, v[48:49]
                                        ; implicit-def: $vgpr48_vgpr49
.LBB12_214:                             ;   in Loop: Header=BB12_162 Depth=1
	s_and_not1_saveexec_b32 s0, s0
	s_cbranch_execz .LBB12_220
; %bb.215:                              ;   in Loop: Header=BB12_162 Depth=1
	v_mul_f64_e32 v[52:53], v[48:49], v[48:49]
	s_mov_b32 s1, exec_lo
                                        ; implicit-def: $vgpr50_vgpr51
	v_cmpx_ne_u32_e32 1, v40
	s_xor_b32 s1, exec_lo, s1
	s_cbranch_execz .LBB12_217
; %bb.216:                              ;   in Loop: Header=BB12_162 Depth=1
	s_delay_alu instid0(VALU_DEP_2) | instskip(SKIP_1) | instid1(VALU_DEP_2)
	v_fmamk_f64 v[50:51], v[52:53], 0x3f07858e90a45837, v[26:27]
	v_fmamk_f64 v[54:55], v[52:53], 0x3efa7074428cfa52, v[24:25]
	v_fmaak_f64 v[50:51], v[52:53], v[50:51], 0x3f40b6c689b99c00
	s_delay_alu instid0(VALU_DEP_2) | instskip(NEXT) | instid1(VALU_DEP_2)
	v_fmaak_f64 v[54:55], v[52:53], v[54:55], 0x3f538a94116f3f5d
	v_fmaak_f64 v[50:51], v[52:53], v[50:51], 0x3f67add8ccb7926b
	s_delay_alu instid0(VALU_DEP_2) | instskip(NEXT) | instid1(VALU_DEP_2)
	v_fmaak_f64 v[54:55], v[52:53], v[54:55], 0x3f7e404fb68fefe8
	;; [unrolled: 3-line block ×3, first 2 shown]
	v_fmaak_f64 v[50:51], v[52:53], v[50:51], 0x3fd4a34cc4a60fad
	s_delay_alu instid0(VALU_DEP_1) | instskip(NEXT) | instid1(VALU_DEP_3)
	v_mul_f64_e32 v[50:51], v[52:53], v[50:51]
	v_fmaak_f64 v[52:53], v[52:53], v[54:55], 0x3fb3c467e37db0c8
	s_delay_alu instid0(VALU_DEP_1) | instskip(NEXT) | instid1(VALU_DEP_1)
	v_fmac_f64_e32 v[50:51], v[48:49], v[52:53]
                                        ; implicit-def: $vgpr52_vgpr53
	v_fmac_f64_e32 v[50:51], -0.5, v[48:49]
                                        ; implicit-def: $vgpr48_vgpr49
.LBB12_217:                             ;   in Loop: Header=BB12_162 Depth=1
	s_and_not1_saveexec_b32 s1, s1
	s_cbranch_execz .LBB12_219
; %bb.218:                              ;   in Loop: Header=BB12_162 Depth=1
	s_delay_alu instid0(VALU_DEP_2) | instskip(NEXT) | instid1(VALU_DEP_1)
	v_mul_f64_e32 v[50:51], v[48:49], v[52:53]
	v_fmamk_f64 v[54:55], v[50:51], 0xbf347f24ecc38c38, v[30:31]
	v_fmamk_f64 v[56:57], v[50:51], 0x3f35fd3ee8c2d3f4, v[32:33]
	s_delay_alu instid0(VALU_DEP_2) | instskip(NEXT) | instid1(VALU_DEP_2)
	v_fmaak_f64 v[54:55], v[50:51], v[54:55], 0xbf6e2effb3e914d7
	v_fmaak_f64 v[56:57], v[50:51], v[56:57], 0x3f6282d32e15c915
	s_delay_alu instid0(VALU_DEP_2) | instskip(NEXT) | instid1(VALU_DEP_2)
	v_fmaak_f64 v[54:55], v[50:51], v[54:55], 0x3f9266e7970af9ec
	v_fmaak_f64 v[56:57], v[50:51], v[56:57], 0xbf851f9fba91ec6a
	;; [unrolled: 3-line block ×3, first 2 shown]
	s_delay_alu instid0(VALU_DEP_1) | instskip(NEXT) | instid1(VALU_DEP_1)
	v_fmac_f64_e32 v[54:55], v[48:49], v[56:57]
	v_fma_f64 v[48:49], v[50:51], -v[54:55], s[18:19]
	v_fmamk_f64 v[54:55], v[50:51], 0x3f34af6d6c0ebbf7, v[28:29]
	s_delay_alu instid0(VALU_DEP_1) | instskip(NEXT) | instid1(VALU_DEP_1)
	v_fmaak_f64 v[54:55], v[50:51], v[54:55], 0x3f78fce0e370e344
	v_fmaak_f64 v[54:55], v[50:51], v[54:55], 0xbfa0c9a8df35b713
	s_delay_alu instid0(VALU_DEP_1) | instskip(NEXT) | instid1(VALU_DEP_1)
	v_fmaak_f64 v[50:51], v[50:51], v[54:55], 0x3fdef72bc8ee38a2
	v_fma_f64 v[48:49], v[52:53], v[50:51], -v[48:49]
	s_delay_alu instid0(VALU_DEP_1)
	v_add_f64_e32 v[50:51], 0xbfbf19b9bcc38a42, v[48:49]
.LBB12_219:                             ;   in Loop: Header=BB12_162 Depth=1
	s_or_b32 exec_lo, exec_lo, s1
.LBB12_220:                             ;   in Loop: Header=BB12_162 Depth=1
	s_delay_alu instid0(SALU_CYCLE_1) | instskip(NEXT) | instid1(VALU_DEP_1)
	s_or_b32 exec_lo, exec_lo, s0
	v_add_f64_e32 v[46:47], v[46:47], v[50:51]
.LBB12_221:                             ;   in Loop: Header=BB12_162 Depth=1
	s_or_b32 exec_lo, exec_lo, s4
.LBB12_222:                             ;   in Loop: Header=BB12_162 Depth=1
	s_and_not1_saveexec_b32 s1, s3
	s_cbranch_execz .LBB12_224
; %bb.223:                              ;   in Loop: Header=BB12_162 Depth=1
	v_frexp_mant_f64_e64 v[46:47], |v[8:9]|
	v_cmp_neq_f64_e64 s0, 0, v[8:9]
	s_delay_alu instid0(VALU_DEP_2) | instskip(SKIP_1) | instid1(VALU_DEP_1)
	v_cmp_gt_f64_e32 vcc_lo, s[8:9], v[46:47]
	v_cndmask_b32_e64 v40, 0, 1, vcc_lo
	v_ldexp_f64 v[46:47], v[46:47], v40
	v_frexp_exp_i32_f64_e32 v40, v[8:9]
	s_delay_alu instid0(VALU_DEP_2) | instskip(SKIP_1) | instid1(VALU_DEP_3)
	v_add_f64_e32 v[48:49], 1.0, v[46:47]
	v_add_f64_e32 v[54:55], -1.0, v[46:47]
	v_subrev_co_ci_u32_e64 v40, null, 0, v40, vcc_lo
	v_cmp_neq_f64_e64 vcc_lo, 0x7ff00000, |v[8:9]|
	s_delay_alu instid0(VALU_DEP_4) | instskip(SKIP_1) | instid1(VALU_DEP_1)
	v_rcp_f64_e32 v[50:51], v[48:49]
	v_add_f64_e32 v[56:57], -1.0, v[48:49]
	v_add_f64_e64 v[46:47], v[46:47], -v[56:57]
	s_delay_alu instid0(TRANS32_DEP_1) | instskip(NEXT) | instid1(VALU_DEP_1)
	v_fma_f64 v[52:53], -v[48:49], v[50:51], 1.0
	v_fmac_f64_e32 v[50:51], v[52:53], v[50:51]
	s_delay_alu instid0(VALU_DEP_1) | instskip(NEXT) | instid1(VALU_DEP_1)
	v_fma_f64 v[52:53], -v[48:49], v[50:51], 1.0
	v_fmac_f64_e32 v[50:51], v[52:53], v[50:51]
	s_delay_alu instid0(VALU_DEP_1) | instskip(NEXT) | instid1(VALU_DEP_1)
	v_mul_f64_e32 v[52:53], v[54:55], v[50:51]
	v_mul_f64_e32 v[58:59], v[48:49], v[52:53]
	s_delay_alu instid0(VALU_DEP_1) | instskip(NEXT) | instid1(VALU_DEP_1)
	v_fma_f64 v[48:49], v[52:53], v[48:49], -v[58:59]
	v_fmac_f64_e32 v[48:49], v[52:53], v[46:47]
	s_delay_alu instid0(VALU_DEP_1) | instskip(NEXT) | instid1(VALU_DEP_1)
	v_add_f64_e32 v[46:47], v[58:59], v[48:49]
	v_add_f64_e64 v[56:57], v[54:55], -v[46:47]
	v_add_f64_e64 v[58:59], v[46:47], -v[58:59]
	s_delay_alu instid0(VALU_DEP_2) | instskip(NEXT) | instid1(VALU_DEP_2)
	v_add_f64_e64 v[54:55], v[54:55], -v[56:57]
	v_add_f64_e64 v[48:49], v[58:59], -v[48:49]
	s_delay_alu instid0(VALU_DEP_2) | instskip(NEXT) | instid1(VALU_DEP_1)
	v_add_f64_e64 v[46:47], v[54:55], -v[46:47]
	v_add_f64_e32 v[46:47], v[48:49], v[46:47]
	s_delay_alu instid0(VALU_DEP_1) | instskip(NEXT) | instid1(VALU_DEP_1)
	v_add_f64_e32 v[46:47], v[56:57], v[46:47]
	v_mul_f64_e32 v[46:47], v[50:51], v[46:47]
	s_delay_alu instid0(VALU_DEP_1) | instskip(NEXT) | instid1(VALU_DEP_1)
	v_add_f64_e32 v[48:49], v[52:53], v[46:47]
	v_mul_f64_e32 v[50:51], v[48:49], v[48:49]
	s_delay_alu instid0(VALU_DEP_1) | instskip(SKIP_1) | instid1(VALU_DEP_2)
	v_fmamk_f64 v[54:55], v[50:51], 0x3fc3ab76bf559e2b, v[12:13]
	v_mul_f64_e32 v[56:57], v[48:49], v[50:51]
	v_fmaak_f64 v[54:55], v[50:51], v[54:55], 0x3fc7474dd7f4df2e
	s_delay_alu instid0(VALU_DEP_1) | instskip(NEXT) | instid1(VALU_DEP_1)
	v_fmaak_f64 v[54:55], v[50:51], v[54:55], 0x3fcc71c016291751
	v_fmaak_f64 v[54:55], v[50:51], v[54:55], 0x3fd249249b27acf1
	s_delay_alu instid0(VALU_DEP_1) | instskip(NEXT) | instid1(VALU_DEP_1)
	v_fmaak_f64 v[54:55], v[50:51], v[54:55], 0x3fd99999998ef7b6
	v_fmaak_f64 v[50:51], v[50:51], v[54:55], 0x3fe5555555555780
	v_ldexp_f64 v[54:55], v[48:49], 1
	v_add_f64_e64 v[48:49], v[48:49], -v[52:53]
	s_delay_alu instid0(VALU_DEP_3) | instskip(SKIP_1) | instid1(VALU_DEP_3)
	v_mul_f64_e32 v[50:51], v[56:57], v[50:51]
	v_cvt_f64_i32_e32 v[56:57], v40
	v_add_f64_e64 v[46:47], v[46:47], -v[48:49]
	s_delay_alu instid0(VALU_DEP_3) | instskip(NEXT) | instid1(VALU_DEP_3)
	v_add_f64_e32 v[52:53], v[54:55], v[50:51]
	v_mul_f64_e32 v[58:59], 0x3fe62e42fefa39ef, v[56:57]
	s_delay_alu instid0(VALU_DEP_3) | instskip(NEXT) | instid1(VALU_DEP_3)
	v_ldexp_f64 v[46:47], v[46:47], 1
	v_add_f64_e64 v[48:49], v[52:53], -v[54:55]
	s_delay_alu instid0(VALU_DEP_3) | instskip(NEXT) | instid1(VALU_DEP_2)
	v_fma_f64 v[54:55], v[56:57], s[12:13], -v[58:59]
	v_add_f64_e64 v[48:49], v[50:51], -v[48:49]
	s_delay_alu instid0(VALU_DEP_2) | instskip(NEXT) | instid1(VALU_DEP_2)
	v_fmac_f64_e32 v[54:55], 0x3c7abc9e3b39803f, v[56:57]
	v_add_f64_e32 v[46:47], v[46:47], v[48:49]
	s_delay_alu instid0(VALU_DEP_2) | instskip(NEXT) | instid1(VALU_DEP_2)
	v_add_f64_e32 v[48:49], v[58:59], v[54:55]
	v_add_f64_e32 v[50:51], v[52:53], v[46:47]
	s_delay_alu instid0(VALU_DEP_2) | instskip(NEXT) | instid1(VALU_DEP_2)
	v_add_f64_e64 v[58:59], v[48:49], -v[58:59]
	v_add_f64_e32 v[56:57], v[48:49], v[50:51]
	v_add_f64_e64 v[52:53], v[50:51], -v[52:53]
	s_delay_alu instid0(VALU_DEP_3) | instskip(NEXT) | instid1(VALU_DEP_3)
	v_add_f64_e64 v[54:55], v[54:55], -v[58:59]
	v_add_f64_e64 v[60:61], v[56:57], -v[48:49]
	s_delay_alu instid0(VALU_DEP_3) | instskip(NEXT) | instid1(VALU_DEP_2)
	v_add_f64_e64 v[46:47], v[46:47], -v[52:53]
	v_add_f64_e64 v[62:63], v[56:57], -v[60:61]
	;; [unrolled: 1-line block ×3, first 2 shown]
	s_delay_alu instid0(VALU_DEP_3) | instskip(NEXT) | instid1(VALU_DEP_3)
	v_add_f64_e32 v[52:53], v[54:55], v[46:47]
	v_add_f64_e64 v[48:49], v[48:49], -v[62:63]
	s_delay_alu instid0(VALU_DEP_1) | instskip(NEXT) | instid1(VALU_DEP_3)
	v_add_f64_e32 v[48:49], v[50:51], v[48:49]
	v_add_f64_e64 v[50:51], v[52:53], -v[54:55]
	s_delay_alu instid0(VALU_DEP_2) | instskip(NEXT) | instid1(VALU_DEP_2)
	v_add_f64_e32 v[48:49], v[52:53], v[48:49]
	v_add_f64_e64 v[52:53], v[52:53], -v[50:51]
	v_add_f64_e64 v[46:47], v[46:47], -v[50:51]
	s_delay_alu instid0(VALU_DEP_3) | instskip(NEXT) | instid1(VALU_DEP_3)
	v_add_f64_e32 v[58:59], v[56:57], v[48:49]
	v_add_f64_e64 v[50:51], v[54:55], -v[52:53]
	s_delay_alu instid0(VALU_DEP_2) | instskip(NEXT) | instid1(VALU_DEP_2)
	v_add_f64_e64 v[52:53], v[58:59], -v[56:57]
	v_add_f64_e32 v[46:47], v[46:47], v[50:51]
	v_fma_f64 v[50:51], |v[8:9]|, s[22:23], s[20:21]
	s_delay_alu instid0(VALU_DEP_3) | instskip(NEXT) | instid1(VALU_DEP_1)
	v_add_f64_e64 v[48:49], v[48:49], -v[52:53]
	v_add_f64_e32 v[46:47], v[46:47], v[48:49]
	s_delay_alu instid0(VALU_DEP_3) | instskip(NEXT) | instid1(VALU_DEP_2)
	v_fma_f64 v[48:49], |v[8:9]|, v[50:51], s[24:25]
	v_add_f64_e32 v[46:47], v[58:59], v[46:47]
	s_delay_alu instid0(VALU_DEP_2) | instskip(NEXT) | instid1(VALU_DEP_2)
	v_fma_f64 v[48:49], |v[8:9]|, v[48:49], s[26:27]
	v_xor_b32_e32 v40, 0x80000000, v47
	s_delay_alu instid0(VALU_DEP_2) | instskip(NEXT) | instid1(VALU_DEP_2)
	v_fma_f64 v[48:49], |v[8:9]|, v[48:49], s[28:29]
	v_cndmask_b32_e32 v40, 0xfff00000, v40, vcc_lo
	s_and_b32 vcc_lo, s0, vcc_lo
	v_cndmask_b32_e32 v46, 0, v46, vcc_lo
	s_delay_alu instid0(VALU_DEP_2) | instskip(NEXT) | instid1(VALU_DEP_1)
	v_cndmask_b32_e64 v47, 0x7ff00000, v40, s0
	v_fma_f64 v[46:47], |v[8:9]|, v[48:49], v[46:47]
.LBB12_224:                             ;   in Loop: Header=BB12_162 Depth=1
	s_or_b32 exec_lo, exec_lo, s1
	s_delay_alu instid0(SALU_CYCLE_1)
	s_mov_b32 s0, exec_lo
	v_cmpx_le_f64_e32 0, v[8:9]
	s_xor_b32 s1, exec_lo, s0
	s_cbranch_execz .LBB12_226
; %bb.225:                              ;   in Loop: Header=BB12_162 Depth=1
	v_cmp_eq_f64_e32 vcc_lo, 1.0, v[8:9]
	v_cmp_eq_f64_e64 s0, 2.0, v[8:9]
	s_or_b32 s0, vcc_lo, s0
	s_delay_alu instid0(SALU_CYCLE_1)
	v_cndmask_b32_e64 v47, v47, 0, s0
	v_cndmask_b32_e64 v46, v46, 0, s0
.LBB12_226:                             ;   in Loop: Header=BB12_162 Depth=1
	s_and_not1_saveexec_b32 s1, s1
	s_cbranch_execz .LBB12_230
; %bb.227:                              ;   in Loop: Header=BB12_162 Depth=1
	v_add_nc_u32_e32 v40, 0xc32fffff, v45
	s_mov_b32 s2, exec_lo
	s_delay_alu instid0(VALU_DEP_1)
	v_cmpx_gt_u32_e32 0x65fffff, v40
	s_cbranch_execz .LBB12_229
; %bb.228:                              ;   in Loop: Header=BB12_162 Depth=1
	v_mul_f64_e64 v[48:49], |v[8:9]|, 0.5
	v_and_b32_e32 v40, 0x7fffffff, v9
	v_cmp_class_f64_e64 s0, v[8:9], 0x1f8
	s_delay_alu instid0(VALU_DEP_3) | instskip(SKIP_1) | instid1(VALU_DEP_2)
	v_fract_f64_e32 v[50:51], v[48:49]
	v_cmp_neq_f64_e64 vcc_lo, 0x7ff00000, |v[48:49]|
	v_add_f64_e32 v[50:51], v[50:51], v[50:51]
	s_delay_alu instid0(VALU_DEP_1) | instskip(SKIP_1) | instid1(VALU_DEP_2)
	v_dual_cndmask_b32 v44, 0, v50, vcc_lo :: v_dual_cndmask_b32 v48, 0, v51, vcc_lo
	v_cmp_gt_f64_e64 vcc_lo, |v[8:9]|, 1.0
	v_cndmask_b32_e32 v49, v40, v48, vcc_lo
	s_delay_alu instid0(VALU_DEP_3) | instskip(NEXT) | instid1(VALU_DEP_1)
	v_cndmask_b32_e32 v48, v8, v44, vcc_lo
	v_add_f64_e32 v[50:51], v[48:49], v[48:49]
	s_delay_alu instid0(VALU_DEP_1) | instskip(NEXT) | instid1(VALU_DEP_1)
	v_rndne_f64_e32 v[50:51], v[50:51]
	v_cvt_i32_f64_e32 v40, v[50:51]
	v_fmac_f64_e32 v[48:49], -0.5, v[50:51]
	s_delay_alu instid0(VALU_DEP_2) | instskip(NEXT) | instid1(VALU_DEP_1)
	v_dual_lshlrev_b32 v40, 30, v40 :: v_dual_bitop2_b32 v44, 1, v40 bitop3:0x40
	v_cmp_eq_u32_e32 vcc_lo, 0, v44
	s_delay_alu instid0(VALU_DEP_3) | instskip(NEXT) | instid1(VALU_DEP_1)
	v_mul_f64_e32 v[52:53], v[48:49], v[48:49]
	v_fmamk_f64 v[54:55], v[52:53], 0x3f3e357ef99eb0bb, v[34:35]
	v_mul_f64_e32 v[56:57], v[48:49], v[52:53]
	v_fmamk_f64 v[58:59], v[52:53], 0xbf1b167302e21c33, v[36:37]
	s_delay_alu instid0(VALU_DEP_3) | instskip(NEXT) | instid1(VALU_DEP_2)
	v_fmaak_f64 v[54:55], v[52:53], v[54:55], 0x3fb50782d5f14825
	v_fmaak_f64 v[58:59], v[52:53], v[58:59], 0xbf9a6d1e7294bff9
	s_delay_alu instid0(VALU_DEP_2) | instskip(NEXT) | instid1(VALU_DEP_1)
	v_fmaak_f64 v[54:55], v[52:53], v[54:55], 0xbfe32d2ccdfe9424
	v_fmaak_f64 v[54:55], v[52:53], v[54:55], 0x400466bc67754fff
	s_delay_alu instid0(VALU_DEP_1) | instskip(NEXT) | instid1(VALU_DEP_1)
	v_fmaak_f64 v[54:55], v[52:53], v[54:55], 0xc014abbce625be09
	v_mul_f64_e32 v[54:55], v[56:57], v[54:55]
	v_fmaak_f64 v[56:57], v[52:53], v[58:59], 0x3fce1f5067b90b37
	s_delay_alu instid0(VALU_DEP_1) | instskip(NEXT) | instid1(VALU_DEP_1)
	v_fmaak_f64 v[56:57], v[52:53], v[56:57], 0xbff55d3c7e3c325b
	v_fmaak_f64 v[56:57], v[52:53], v[56:57], 0x40103c1f081b5a67
	s_delay_alu instid0(VALU_DEP_1) | instskip(NEXT) | instid1(VALU_DEP_1)
	v_fmaak_f64 v[56:57], v[52:53], v[56:57], 0xc013bd3cc9be45de
	v_fma_f64 v[50:51], v[52:53], v[56:57], 1.0
	v_fmac_f64_e32 v[54:55], 0x400921fb54442d18, v[48:49]
	s_delay_alu instid0(VALU_DEP_1) | instskip(NEXT) | instid1(VALU_DEP_2)
	v_dual_cndmask_b32 v44, v50, v54, vcc_lo :: v_dual_bitop2_b32 v40, v40, v9 bitop3:0x14
	v_cndmask_b32_e32 v48, v51, v55, vcc_lo
	s_delay_alu instid0(VALU_DEP_1) | instskip(NEXT) | instid1(VALU_DEP_3)
	v_bitop3_b32 v40, v48, v40, 0x80000000 bitop3:0x78
	v_cndmask_b32_e64 v48, 0, v44, s0
	s_delay_alu instid0(VALU_DEP_2) | instskip(SKIP_1) | instid1(VALU_DEP_2)
	v_cndmask_b32_e64 v49, 0x7ff80000, v40, s0
	v_cmp_class_f64_e64 s0, v[8:9], 0x204
	v_mul_f64_e32 v[48:49], v[8:9], v[48:49]
	s_delay_alu instid0(VALU_DEP_1) | instskip(NEXT) | instid1(VALU_DEP_2)
	v_and_b32_e32 v51, 0x7fffffff, v49
	v_mov_b32_e32 v50, v48
	s_delay_alu instid0(VALU_DEP_1) | instskip(SKIP_1) | instid1(VALU_DEP_2)
	v_div_scale_f64 v[52:53], null, v[50:51], v[50:51], s[30:31]
	v_div_scale_f64 v[50:51], vcc_lo, s[30:31], v[50:51], s[30:31]
	v_rcp_f64_e32 v[54:55], v[52:53]
	v_nop
	s_delay_alu instid0(TRANS32_DEP_1) | instskip(NEXT) | instid1(VALU_DEP_1)
	v_fma_f64 v[56:57], -v[52:53], v[54:55], 1.0
	v_fmac_f64_e32 v[54:55], v[54:55], v[56:57]
	s_delay_alu instid0(VALU_DEP_1) | instskip(NEXT) | instid1(VALU_DEP_1)
	v_fma_f64 v[56:57], -v[52:53], v[54:55], 1.0
	v_fmac_f64_e32 v[54:55], v[54:55], v[56:57]
	s_delay_alu instid0(VALU_DEP_1) | instskip(NEXT) | instid1(VALU_DEP_1)
	v_mul_f64_e32 v[56:57], v[50:51], v[54:55]
	v_fma_f64 v[50:51], -v[52:53], v[56:57], v[50:51]
	s_delay_alu instid0(VALU_DEP_1) | instskip(NEXT) | instid1(VALU_DEP_1)
	v_div_fmas_f64 v[50:51], v[50:51], v[54:55], v[56:57]
	v_div_fixup_f64 v[48:49], v[50:51], |v[48:49]|, s[30:31]
	s_delay_alu instid0(VALU_DEP_1) | instskip(NEXT) | instid1(VALU_DEP_1)
	v_frexp_mant_f64_e32 v[50:51], v[48:49]
	v_cmp_gt_f64_e32 vcc_lo, s[8:9], v[50:51]
	v_cndmask_b32_e64 v40, 0, 1, vcc_lo
	s_delay_alu instid0(VALU_DEP_1) | instskip(SKIP_1) | instid1(VALU_DEP_1)
	v_ldexp_f64 v[50:51], v[50:51], v40
	v_frexp_exp_i32_f64_e32 v40, v[48:49]
	v_subrev_co_ci_u32_e64 v40, null, 0, v40, vcc_lo
	v_cmp_class_f64_e64 vcc_lo, v[48:49], 0x204
	s_delay_alu instid0(VALU_DEP_4) | instskip(SKIP_1) | instid1(VALU_DEP_2)
	v_add_f64_e32 v[52:53], 1.0, v[50:51]
	v_add_f64_e32 v[58:59], -1.0, v[50:51]
	v_rcp_f64_e32 v[54:55], v[52:53]
	v_add_f64_e32 v[60:61], -1.0, v[52:53]
	s_delay_alu instid0(VALU_DEP_1) | instskip(NEXT) | instid1(TRANS32_DEP_1)
	v_add_f64_e64 v[50:51], v[50:51], -v[60:61]
	v_fma_f64 v[56:57], -v[52:53], v[54:55], 1.0
	s_delay_alu instid0(VALU_DEP_1) | instskip(NEXT) | instid1(VALU_DEP_1)
	v_fmac_f64_e32 v[54:55], v[56:57], v[54:55]
	v_fma_f64 v[56:57], -v[52:53], v[54:55], 1.0
	s_delay_alu instid0(VALU_DEP_1) | instskip(NEXT) | instid1(VALU_DEP_1)
	v_fmac_f64_e32 v[54:55], v[56:57], v[54:55]
	v_mul_f64_e32 v[56:57], v[58:59], v[54:55]
	s_delay_alu instid0(VALU_DEP_1) | instskip(NEXT) | instid1(VALU_DEP_1)
	v_mul_f64_e32 v[62:63], v[52:53], v[56:57]
	v_fma_f64 v[52:53], v[56:57], v[52:53], -v[62:63]
	s_delay_alu instid0(VALU_DEP_1) | instskip(NEXT) | instid1(VALU_DEP_1)
	v_fmac_f64_e32 v[52:53], v[56:57], v[50:51]
	v_add_f64_e32 v[50:51], v[62:63], v[52:53]
	s_delay_alu instid0(VALU_DEP_1) | instskip(SKIP_1) | instid1(VALU_DEP_2)
	v_add_f64_e64 v[60:61], v[58:59], -v[50:51]
	v_add_f64_e64 v[62:63], v[50:51], -v[62:63]
	;; [unrolled: 1-line block ×3, first 2 shown]
	s_delay_alu instid0(VALU_DEP_2) | instskip(NEXT) | instid1(VALU_DEP_2)
	v_add_f64_e64 v[52:53], v[62:63], -v[52:53]
	v_add_f64_e64 v[50:51], v[58:59], -v[50:51]
	s_delay_alu instid0(VALU_DEP_1) | instskip(NEXT) | instid1(VALU_DEP_1)
	v_add_f64_e32 v[50:51], v[52:53], v[50:51]
	v_add_f64_e32 v[50:51], v[60:61], v[50:51]
	s_delay_alu instid0(VALU_DEP_1) | instskip(NEXT) | instid1(VALU_DEP_1)
	v_mul_f64_e32 v[50:51], v[54:55], v[50:51]
	v_add_f64_e32 v[52:53], v[56:57], v[50:51]
	s_delay_alu instid0(VALU_DEP_1) | instskip(NEXT) | instid1(VALU_DEP_1)
	v_mul_f64_e32 v[54:55], v[52:53], v[52:53]
	v_fmamk_f64 v[58:59], v[54:55], 0x3fc3ab76bf559e2b, v[12:13]
	v_mul_f64_e32 v[60:61], v[52:53], v[54:55]
	s_delay_alu instid0(VALU_DEP_2) | instskip(NEXT) | instid1(VALU_DEP_1)
	v_fmaak_f64 v[58:59], v[54:55], v[58:59], 0x3fc7474dd7f4df2e
	v_fmaak_f64 v[58:59], v[54:55], v[58:59], 0x3fcc71c016291751
	s_delay_alu instid0(VALU_DEP_1) | instskip(NEXT) | instid1(VALU_DEP_1)
	v_fmaak_f64 v[58:59], v[54:55], v[58:59], 0x3fd249249b27acf1
	v_fmaak_f64 v[58:59], v[54:55], v[58:59], 0x3fd99999998ef7b6
	s_delay_alu instid0(VALU_DEP_1) | instskip(SKIP_2) | instid1(VALU_DEP_3)
	v_fmaak_f64 v[54:55], v[54:55], v[58:59], 0x3fe5555555555780
	v_ldexp_f64 v[58:59], v[52:53], 1
	v_add_f64_e64 v[52:53], v[52:53], -v[56:57]
	v_mul_f64_e32 v[54:55], v[60:61], v[54:55]
	v_cvt_f64_i32_e32 v[60:61], v40
	s_delay_alu instid0(VALU_DEP_3) | instskip(NEXT) | instid1(VALU_DEP_3)
	v_add_f64_e64 v[50:51], v[50:51], -v[52:53]
	v_add_f64_e32 v[56:57], v[58:59], v[54:55]
	s_delay_alu instid0(VALU_DEP_3) | instskip(NEXT) | instid1(VALU_DEP_3)
	v_mul_f64_e32 v[62:63], 0x3fe62e42fefa39ef, v[60:61]
	v_ldexp_f64 v[50:51], v[50:51], 1
	s_delay_alu instid0(VALU_DEP_3) | instskip(NEXT) | instid1(VALU_DEP_3)
	v_add_f64_e64 v[52:53], v[56:57], -v[58:59]
	v_fma_f64 v[58:59], v[60:61], s[12:13], -v[62:63]
	s_delay_alu instid0(VALU_DEP_2) | instskip(NEXT) | instid1(VALU_DEP_2)
	v_add_f64_e64 v[52:53], v[54:55], -v[52:53]
	v_fmac_f64_e32 v[58:59], 0x3c7abc9e3b39803f, v[60:61]
	s_delay_alu instid0(VALU_DEP_2) | instskip(NEXT) | instid1(VALU_DEP_2)
	v_add_f64_e32 v[50:51], v[50:51], v[52:53]
	v_add_f64_e32 v[52:53], v[62:63], v[58:59]
	s_delay_alu instid0(VALU_DEP_2) | instskip(NEXT) | instid1(VALU_DEP_2)
	v_add_f64_e32 v[54:55], v[56:57], v[50:51]
	v_add_f64_e64 v[62:63], v[52:53], -v[62:63]
	s_delay_alu instid0(VALU_DEP_2) | instskip(SKIP_1) | instid1(VALU_DEP_3)
	v_add_f64_e32 v[60:61], v[52:53], v[54:55]
	v_add_f64_e64 v[56:57], v[54:55], -v[56:57]
	v_add_f64_e64 v[58:59], v[58:59], -v[62:63]
	s_delay_alu instid0(VALU_DEP_3) | instskip(NEXT) | instid1(VALU_DEP_3)
	v_add_f64_e64 v[64:65], v[60:61], -v[52:53]
	v_add_f64_e64 v[50:51], v[50:51], -v[56:57]
	s_delay_alu instid0(VALU_DEP_2) | instskip(SKIP_1) | instid1(VALU_DEP_3)
	v_add_f64_e64 v[66:67], v[60:61], -v[64:65]
	v_add_f64_e64 v[54:55], v[54:55], -v[64:65]
	v_add_f64_e32 v[56:57], v[58:59], v[50:51]
	s_delay_alu instid0(VALU_DEP_3) | instskip(NEXT) | instid1(VALU_DEP_1)
	v_add_f64_e64 v[52:53], v[52:53], -v[66:67]
	v_add_f64_e32 v[52:53], v[54:55], v[52:53]
	s_delay_alu instid0(VALU_DEP_3) | instskip(NEXT) | instid1(VALU_DEP_2)
	v_add_f64_e64 v[54:55], v[56:57], -v[58:59]
	v_add_f64_e32 v[52:53], v[56:57], v[52:53]
	s_delay_alu instid0(VALU_DEP_2) | instskip(SKIP_1) | instid1(VALU_DEP_3)
	v_add_f64_e64 v[56:57], v[56:57], -v[54:55]
	v_add_f64_e64 v[50:51], v[50:51], -v[54:55]
	v_add_f64_e32 v[62:63], v[60:61], v[52:53]
	s_delay_alu instid0(VALU_DEP_3) | instskip(NEXT) | instid1(VALU_DEP_2)
	v_add_f64_e64 v[54:55], v[58:59], -v[56:57]
	v_add_f64_e64 v[56:57], v[62:63], -v[60:61]
	s_delay_alu instid0(VALU_DEP_2) | instskip(NEXT) | instid1(VALU_DEP_2)
	v_add_f64_e32 v[50:51], v[50:51], v[54:55]
	v_add_f64_e64 v[52:53], v[52:53], -v[56:57]
	s_delay_alu instid0(VALU_DEP_1) | instskip(NEXT) | instid1(VALU_DEP_1)
	v_add_f64_e32 v[50:51], v[50:51], v[52:53]
	v_add_f64_e32 v[50:51], v[62:63], v[50:51]
	s_delay_alu instid0(VALU_DEP_1) | instskip(SKIP_2) | instid1(VALU_DEP_3)
	v_dual_cndmask_b32 v40, v50, v48, vcc_lo :: v_dual_cndmask_b32 v44, v51, v49, vcc_lo
	v_cmp_neq_f64_e32 vcc_lo, 0, v[48:49]
	v_fract_f64_e32 v[48:49], v[8:9]
	v_cndmask_b32_e32 v51, 0xfff00000, v44, vcc_lo
	s_delay_alu instid0(VALU_DEP_4) | instskip(NEXT) | instid1(VALU_DEP_3)
	v_cndmask_b32_e32 v50, 0, v40, vcc_lo
	v_cmp_eq_f64_e32 vcc_lo, 0, v[48:49]
	s_delay_alu instid0(VALU_DEP_2)
	v_add_f64_e64 v[46:47], v[50:51], -v[46:47]
	s_or_b32 s0, s0, vcc_lo
	s_delay_alu instid0(VALU_DEP_1) | instid1(SALU_CYCLE_1)
	v_cndmask_b32_e64 v47, v47, 0x7ff00000, s0
	s_delay_alu instid0(VALU_DEP_2)
	v_cndmask_b32_e64 v46, v46, 0, s0
.LBB12_229:                             ;   in Loop: Header=BB12_162 Depth=1
	s_or_b32 exec_lo, exec_lo, s2
.LBB12_230:                             ;   in Loop: Header=BB12_162 Depth=1
	s_delay_alu instid0(SALU_CYCLE_1) | instskip(SKIP_4) | instid1(VALU_DEP_2)
	s_or_b32 exec_lo, exec_lo, s1
	s_wait_loadcnt 0x0
	v_and_b32_e32 v49, 0x7fffffff, v3
	v_mov_b32_e32 v48, v2
                                        ; implicit-def: $vgpr50_vgpr51
	s_mov_b32 s0, exec_lo
	v_cmpx_lt_u32_e32 0x3f6fffff, v49
	s_xor_b32 s3, exec_lo, s0
	s_cbranch_execz .LBB12_256
; %bb.231:                              ;   in Loop: Header=BB12_162 Depth=1
                                        ; implicit-def: $vgpr50_vgpr51
	s_mov_b32 s0, exec_lo
	v_cmpx_lt_u32_e32 0x3fffffff, v49
	s_xor_b32 s1, exec_lo, s0
	s_cbranch_execz .LBB12_241
; %bb.232:                              ;   in Loop: Header=BB12_162 Depth=1
	;; [unrolled: 6-line block ×4, first 2 shown]
	v_frexp_mant_f64_e64 v[50:51], |v[2:3]|
	v_cmp_neq_f64_e64 s0, 0, v[2:3]
	s_delay_alu instid0(VALU_DEP_2) | instskip(SKIP_1) | instid1(VALU_DEP_1)
	v_cmp_gt_f64_e32 vcc_lo, s[8:9], v[50:51]
	v_cndmask_b32_e64 v40, 0, 1, vcc_lo
	v_ldexp_f64 v[50:51], v[50:51], v40
	v_frexp_exp_i32_f64_e32 v40, v[2:3]
	s_delay_alu instid0(VALU_DEP_2) | instskip(SKIP_1) | instid1(VALU_DEP_3)
	v_add_f64_e32 v[52:53], 1.0, v[50:51]
	v_add_f64_e32 v[58:59], -1.0, v[50:51]
	v_subrev_co_ci_u32_e64 v40, null, 0, v40, vcc_lo
	v_cmp_neq_f64_e64 vcc_lo, 0x7ff00000, |v[2:3]|
	s_delay_alu instid0(VALU_DEP_4) | instskip(SKIP_1) | instid1(VALU_DEP_1)
	v_rcp_f64_e32 v[54:55], v[52:53]
	v_add_f64_e32 v[60:61], -1.0, v[52:53]
	v_add_f64_e64 v[50:51], v[50:51], -v[60:61]
	s_delay_alu instid0(TRANS32_DEP_1) | instskip(NEXT) | instid1(VALU_DEP_1)
	v_fma_f64 v[56:57], -v[52:53], v[54:55], 1.0
	v_fmac_f64_e32 v[54:55], v[56:57], v[54:55]
	s_delay_alu instid0(VALU_DEP_1) | instskip(NEXT) | instid1(VALU_DEP_1)
	v_fma_f64 v[56:57], -v[52:53], v[54:55], 1.0
	v_fmac_f64_e32 v[54:55], v[56:57], v[54:55]
	s_delay_alu instid0(VALU_DEP_1) | instskip(NEXT) | instid1(VALU_DEP_1)
	v_mul_f64_e32 v[56:57], v[58:59], v[54:55]
	v_mul_f64_e32 v[62:63], v[52:53], v[56:57]
	s_delay_alu instid0(VALU_DEP_1) | instskip(NEXT) | instid1(VALU_DEP_1)
	v_fma_f64 v[52:53], v[56:57], v[52:53], -v[62:63]
	v_fmac_f64_e32 v[52:53], v[56:57], v[50:51]
	s_delay_alu instid0(VALU_DEP_1) | instskip(NEXT) | instid1(VALU_DEP_1)
	v_add_f64_e32 v[50:51], v[62:63], v[52:53]
	v_add_f64_e64 v[60:61], v[58:59], -v[50:51]
	v_add_f64_e64 v[62:63], v[50:51], -v[62:63]
	s_delay_alu instid0(VALU_DEP_2) | instskip(NEXT) | instid1(VALU_DEP_2)
	v_add_f64_e64 v[58:59], v[58:59], -v[60:61]
	v_add_f64_e64 v[52:53], v[62:63], -v[52:53]
	s_delay_alu instid0(VALU_DEP_2) | instskip(NEXT) | instid1(VALU_DEP_1)
	v_add_f64_e64 v[50:51], v[58:59], -v[50:51]
	v_add_f64_e32 v[50:51], v[52:53], v[50:51]
	s_delay_alu instid0(VALU_DEP_1) | instskip(NEXT) | instid1(VALU_DEP_1)
	v_add_f64_e32 v[50:51], v[60:61], v[50:51]
	v_mul_f64_e32 v[50:51], v[54:55], v[50:51]
	s_delay_alu instid0(VALU_DEP_1) | instskip(NEXT) | instid1(VALU_DEP_1)
	v_add_f64_e32 v[52:53], v[56:57], v[50:51]
	v_mul_f64_e32 v[54:55], v[52:53], v[52:53]
	s_delay_alu instid0(VALU_DEP_1) | instskip(SKIP_1) | instid1(VALU_DEP_2)
	v_fmamk_f64 v[58:59], v[54:55], 0x3fc3ab76bf559e2b, v[12:13]
	v_mul_f64_e32 v[60:61], v[52:53], v[54:55]
	v_fmaak_f64 v[58:59], v[54:55], v[58:59], 0x3fc7474dd7f4df2e
	s_delay_alu instid0(VALU_DEP_1) | instskip(NEXT) | instid1(VALU_DEP_1)
	v_fmaak_f64 v[58:59], v[54:55], v[58:59], 0x3fcc71c016291751
	v_fmaak_f64 v[58:59], v[54:55], v[58:59], 0x3fd249249b27acf1
	s_delay_alu instid0(VALU_DEP_1) | instskip(NEXT) | instid1(VALU_DEP_1)
	v_fmaak_f64 v[58:59], v[54:55], v[58:59], 0x3fd99999998ef7b6
	v_fmaak_f64 v[54:55], v[54:55], v[58:59], 0x3fe5555555555780
	v_ldexp_f64 v[58:59], v[52:53], 1
	v_add_f64_e64 v[52:53], v[52:53], -v[56:57]
	s_delay_alu instid0(VALU_DEP_3) | instskip(SKIP_1) | instid1(VALU_DEP_3)
	v_mul_f64_e32 v[54:55], v[60:61], v[54:55]
	v_cvt_f64_i32_e32 v[60:61], v40
	v_add_f64_e64 v[50:51], v[50:51], -v[52:53]
	s_delay_alu instid0(VALU_DEP_3) | instskip(NEXT) | instid1(VALU_DEP_3)
	v_add_f64_e32 v[56:57], v[58:59], v[54:55]
	v_mul_f64_e32 v[62:63], 0x3fe62e42fefa39ef, v[60:61]
	s_delay_alu instid0(VALU_DEP_3) | instskip(NEXT) | instid1(VALU_DEP_3)
	v_ldexp_f64 v[50:51], v[50:51], 1
	v_add_f64_e64 v[52:53], v[56:57], -v[58:59]
	s_delay_alu instid0(VALU_DEP_3) | instskip(NEXT) | instid1(VALU_DEP_2)
	v_fma_f64 v[58:59], v[60:61], s[12:13], -v[62:63]
	v_add_f64_e64 v[52:53], v[54:55], -v[52:53]
	s_delay_alu instid0(VALU_DEP_2) | instskip(NEXT) | instid1(VALU_DEP_2)
	v_fmac_f64_e32 v[58:59], 0x3c7abc9e3b39803f, v[60:61]
	v_add_f64_e32 v[50:51], v[50:51], v[52:53]
	s_delay_alu instid0(VALU_DEP_2) | instskip(NEXT) | instid1(VALU_DEP_2)
	v_add_f64_e32 v[52:53], v[62:63], v[58:59]
	v_add_f64_e32 v[54:55], v[56:57], v[50:51]
	s_delay_alu instid0(VALU_DEP_2) | instskip(NEXT) | instid1(VALU_DEP_2)
	v_add_f64_e64 v[62:63], v[52:53], -v[62:63]
	v_add_f64_e32 v[60:61], v[52:53], v[54:55]
	v_add_f64_e64 v[56:57], v[54:55], -v[56:57]
	s_delay_alu instid0(VALU_DEP_3) | instskip(NEXT) | instid1(VALU_DEP_3)
	v_add_f64_e64 v[58:59], v[58:59], -v[62:63]
	v_add_f64_e64 v[64:65], v[60:61], -v[52:53]
	s_delay_alu instid0(VALU_DEP_3) | instskip(NEXT) | instid1(VALU_DEP_2)
	v_add_f64_e64 v[50:51], v[50:51], -v[56:57]
	v_add_f64_e64 v[66:67], v[60:61], -v[64:65]
	;; [unrolled: 1-line block ×3, first 2 shown]
	s_delay_alu instid0(VALU_DEP_3) | instskip(NEXT) | instid1(VALU_DEP_3)
	v_add_f64_e32 v[56:57], v[58:59], v[50:51]
	v_add_f64_e64 v[52:53], v[52:53], -v[66:67]
	s_delay_alu instid0(VALU_DEP_1) | instskip(NEXT) | instid1(VALU_DEP_3)
	v_add_f64_e32 v[52:53], v[54:55], v[52:53]
	v_add_f64_e64 v[54:55], v[56:57], -v[58:59]
	s_delay_alu instid0(VALU_DEP_2) | instskip(NEXT) | instid1(VALU_DEP_2)
	v_add_f64_e32 v[52:53], v[56:57], v[52:53]
	v_add_f64_e64 v[56:57], v[56:57], -v[54:55]
	v_add_f64_e64 v[50:51], v[50:51], -v[54:55]
	s_delay_alu instid0(VALU_DEP_3) | instskip(NEXT) | instid1(VALU_DEP_3)
	v_add_f64_e32 v[62:63], v[60:61], v[52:53]
	v_add_f64_e64 v[54:55], v[58:59], -v[56:57]
	s_delay_alu instid0(VALU_DEP_2) | instskip(NEXT) | instid1(VALU_DEP_2)
	v_add_f64_e64 v[56:57], v[62:63], -v[60:61]
	v_add_f64_e32 v[50:51], v[50:51], v[54:55]
	s_delay_alu instid0(VALU_DEP_2) | instskip(NEXT) | instid1(VALU_DEP_1)
	v_add_f64_e64 v[52:53], v[52:53], -v[56:57]
	v_add_f64_e32 v[50:51], v[50:51], v[52:53]
	s_delay_alu instid0(VALU_DEP_1) | instskip(NEXT) | instid1(VALU_DEP_1)
	v_add_f64_e32 v[50:51], v[62:63], v[50:51]
	v_cndmask_b32_e32 v40, 0x7ff00000, v51, vcc_lo
	s_and_b32 vcc_lo, s0, vcc_lo
	s_delay_alu instid0(VALU_DEP_2) | instskip(NEXT) | instid1(VALU_DEP_2)
	v_cndmask_b32_e32 v50, 0, v50, vcc_lo
	v_cndmask_b32_e64 v51, 0xfff00000, v40, s0
	s_delay_alu instid0(VALU_DEP_1)
	v_fma_f64 v[50:51], |v[2:3]|, v[50:51], -|v[2:3]|
.LBB12_235:                             ;   in Loop: Header=BB12_162 Depth=1
	s_and_not1_saveexec_b32 s4, s4
	s_cbranch_execz .LBB12_237
; %bb.236:                              ;   in Loop: Header=BB12_162 Depth=1
	v_frexp_mant_f64_e64 v[50:51], |v[2:3]|
	v_and_b32_e32 v65, 0x7fffffff, v3
	v_cmp_neq_f64_e64 s0, 0, v[2:3]
	v_mov_b32_e32 v64, v2
	s_delay_alu instid0(VALU_DEP_1) | instskip(SKIP_1) | instid1(VALU_DEP_2)
	v_div_scale_f64 v[66:67], null, v[64:65], v[64:65], 1.0
	v_cmp_gt_f64_e32 vcc_lo, s[8:9], v[50:51]
	v_rcp_f64_e32 v[70:71], v[66:67]
	v_cndmask_b32_e64 v40, 0, 1, vcc_lo
	s_delay_alu instid0(VALU_DEP_1) | instskip(SKIP_1) | instid1(TRANS32_DEP_1)
	v_ldexp_f64 v[50:51], v[50:51], v40
	v_frexp_exp_i32_f64_e32 v40, v[2:3]
	v_fma_f64 v[74:75], -v[66:67], v[70:71], 1.0
	s_delay_alu instid0(VALU_DEP_3) | instskip(SKIP_1) | instid1(VALU_DEP_4)
	v_add_f64_e32 v[52:53], 1.0, v[50:51]
	v_add_f64_e32 v[58:59], -1.0, v[50:51]
	v_subrev_co_ci_u32_e64 v40, null, 0, v40, vcc_lo
	v_div_scale_f64 v[64:65], vcc_lo, 1.0, v[64:65], 1.0
	v_fmac_f64_e32 v[70:71], v[70:71], v[74:75]
	v_rcp_f64_e32 v[54:55], v[52:53]
	v_add_f64_e32 v[60:61], -1.0, v[52:53]
	s_delay_alu instid0(VALU_DEP_1) | instskip(NEXT) | instid1(TRANS32_DEP_1)
	v_add_f64_e64 v[50:51], v[50:51], -v[60:61]
	v_fma_f64 v[56:57], -v[52:53], v[54:55], 1.0
	s_delay_alu instid0(VALU_DEP_1) | instskip(NEXT) | instid1(VALU_DEP_1)
	v_fmac_f64_e32 v[54:55], v[56:57], v[54:55]
	v_fma_f64 v[56:57], -v[52:53], v[54:55], 1.0
	s_delay_alu instid0(VALU_DEP_1) | instskip(NEXT) | instid1(VALU_DEP_1)
	v_fmac_f64_e32 v[54:55], v[56:57], v[54:55]
	v_mul_f64_e32 v[56:57], v[58:59], v[54:55]
	s_delay_alu instid0(VALU_DEP_1) | instskip(NEXT) | instid1(VALU_DEP_1)
	v_mul_f64_e32 v[62:63], v[52:53], v[56:57]
	v_fma_f64 v[52:53], v[56:57], v[52:53], -v[62:63]
	s_delay_alu instid0(VALU_DEP_1) | instskip(NEXT) | instid1(VALU_DEP_1)
	v_fmac_f64_e32 v[52:53], v[56:57], v[50:51]
	v_add_f64_e32 v[50:51], v[62:63], v[52:53]
	s_delay_alu instid0(VALU_DEP_1) | instskip(SKIP_1) | instid1(VALU_DEP_2)
	v_add_f64_e64 v[60:61], v[58:59], -v[50:51]
	v_add_f64_e64 v[62:63], v[50:51], -v[62:63]
	;; [unrolled: 1-line block ×3, first 2 shown]
	s_delay_alu instid0(VALU_DEP_2) | instskip(NEXT) | instid1(VALU_DEP_2)
	v_add_f64_e64 v[52:53], v[62:63], -v[52:53]
	v_add_f64_e64 v[50:51], v[58:59], -v[50:51]
	s_delay_alu instid0(VALU_DEP_1) | instskip(NEXT) | instid1(VALU_DEP_1)
	v_add_f64_e32 v[50:51], v[52:53], v[50:51]
	v_add_f64_e32 v[50:51], v[60:61], v[50:51]
	s_delay_alu instid0(VALU_DEP_1) | instskip(NEXT) | instid1(VALU_DEP_1)
	v_mul_f64_e32 v[50:51], v[54:55], v[50:51]
	v_add_f64_e32 v[52:53], v[56:57], v[50:51]
	s_delay_alu instid0(VALU_DEP_1) | instskip(NEXT) | instid1(VALU_DEP_1)
	v_mul_f64_e32 v[54:55], v[52:53], v[52:53]
	v_fmamk_f64 v[58:59], v[54:55], 0x3fc3ab76bf559e2b, v[12:13]
	v_mul_f64_e32 v[60:61], v[52:53], v[54:55]
	s_delay_alu instid0(VALU_DEP_2) | instskip(NEXT) | instid1(VALU_DEP_1)
	v_fmaak_f64 v[58:59], v[54:55], v[58:59], 0x3fc7474dd7f4df2e
	v_fmaak_f64 v[58:59], v[54:55], v[58:59], 0x3fcc71c016291751
	s_delay_alu instid0(VALU_DEP_1) | instskip(NEXT) | instid1(VALU_DEP_1)
	v_fmaak_f64 v[58:59], v[54:55], v[58:59], 0x3fd249249b27acf1
	v_fmaak_f64 v[58:59], v[54:55], v[58:59], 0x3fd99999998ef7b6
	s_delay_alu instid0(VALU_DEP_1) | instskip(SKIP_2) | instid1(VALU_DEP_3)
	v_fmaak_f64 v[54:55], v[54:55], v[58:59], 0x3fe5555555555780
	v_ldexp_f64 v[58:59], v[52:53], 1
	v_add_f64_e64 v[52:53], v[52:53], -v[56:57]
	v_mul_f64_e32 v[54:55], v[60:61], v[54:55]
	v_cvt_f64_i32_e32 v[60:61], v40
	s_delay_alu instid0(VALU_DEP_3) | instskip(NEXT) | instid1(VALU_DEP_3)
	v_add_f64_e64 v[50:51], v[50:51], -v[52:53]
	v_add_f64_e32 v[56:57], v[58:59], v[54:55]
	s_delay_alu instid0(VALU_DEP_3) | instskip(NEXT) | instid1(VALU_DEP_3)
	v_mul_f64_e32 v[62:63], 0x3fe62e42fefa39ef, v[60:61]
	v_ldexp_f64 v[50:51], v[50:51], 1
	s_delay_alu instid0(VALU_DEP_3) | instskip(NEXT) | instid1(VALU_DEP_3)
	v_add_f64_e64 v[52:53], v[56:57], -v[58:59]
	v_fma_f64 v[58:59], v[60:61], s[12:13], -v[62:63]
	s_delay_alu instid0(VALU_DEP_2) | instskip(NEXT) | instid1(VALU_DEP_2)
	v_add_f64_e64 v[52:53], v[54:55], -v[52:53]
	v_fmac_f64_e32 v[58:59], 0x3c7abc9e3b39803f, v[60:61]
	s_delay_alu instid0(VALU_DEP_2) | instskip(NEXT) | instid1(VALU_DEP_2)
	v_add_f64_e32 v[50:51], v[50:51], v[52:53]
	v_add_f64_e32 v[52:53], v[62:63], v[58:59]
	s_delay_alu instid0(VALU_DEP_2) | instskip(NEXT) | instid1(VALU_DEP_2)
	v_add_f64_e32 v[54:55], v[56:57], v[50:51]
	v_add_f64_e64 v[62:63], v[52:53], -v[62:63]
	s_delay_alu instid0(VALU_DEP_2) | instskip(SKIP_1) | instid1(VALU_DEP_3)
	v_add_f64_e32 v[60:61], v[52:53], v[54:55]
	v_add_f64_e64 v[56:57], v[54:55], -v[56:57]
	v_add_f64_e64 v[58:59], v[58:59], -v[62:63]
	s_delay_alu instid0(VALU_DEP_3) | instskip(NEXT) | instid1(VALU_DEP_3)
	v_add_f64_e64 v[68:69], v[60:61], -v[52:53]
	v_add_f64_e64 v[50:51], v[50:51], -v[56:57]
	s_delay_alu instid0(VALU_DEP_2) | instskip(SKIP_1) | instid1(VALU_DEP_3)
	v_add_f64_e64 v[72:73], v[60:61], -v[68:69]
	v_add_f64_e64 v[54:55], v[54:55], -v[68:69]
	v_add_f64_e32 v[56:57], v[58:59], v[50:51]
	s_delay_alu instid0(VALU_DEP_3) | instskip(NEXT) | instid1(VALU_DEP_2)
	v_add_f64_e64 v[52:53], v[52:53], -v[72:73]
	v_add_f64_e64 v[62:63], v[56:57], -v[58:59]
	s_delay_alu instid0(VALU_DEP_2) | instskip(SKIP_1) | instid1(VALU_DEP_3)
	v_add_f64_e32 v[52:53], v[54:55], v[52:53]
	v_fma_f64 v[54:55], -v[66:67], v[70:71], 1.0
	v_add_f64_e64 v[50:51], v[50:51], -v[62:63]
	s_delay_alu instid0(VALU_DEP_3) | instskip(NEXT) | instid1(VALU_DEP_3)
	v_add_f64_e32 v[52:53], v[56:57], v[52:53]
	v_fmac_f64_e32 v[70:71], v[70:71], v[54:55]
	v_add_f64_e64 v[54:55], v[56:57], -v[62:63]
	s_delay_alu instid0(VALU_DEP_3) | instskip(NEXT) | instid1(VALU_DEP_3)
	v_add_f64_e32 v[56:57], v[60:61], v[52:53]
	v_mul_f64_e32 v[68:69], v[64:65], v[70:71]
	s_delay_alu instid0(VALU_DEP_3) | instskip(NEXT) | instid1(VALU_DEP_3)
	v_add_f64_e64 v[54:55], v[58:59], -v[54:55]
	v_add_f64_e64 v[58:59], v[56:57], -v[60:61]
	s_delay_alu instid0(VALU_DEP_3) | instskip(NEXT) | instid1(VALU_DEP_3)
	v_fma_f64 v[60:61], -v[66:67], v[68:69], v[64:65]
	v_add_f64_e32 v[50:51], v[50:51], v[54:55]
	s_delay_alu instid0(VALU_DEP_3) | instskip(NEXT) | instid1(VALU_DEP_3)
	v_add_f64_e64 v[52:53], v[52:53], -v[58:59]
	v_div_fmas_f64 v[54:55], v[60:61], v[70:71], v[68:69]
	v_cmp_neq_f64_e64 vcc_lo, 0x7ff00000, |v[2:3]|
	v_add_f64_e64 v[58:59], |v[2:3]|, -0.5
	s_delay_alu instid0(VALU_DEP_4) | instskip(NEXT) | instid1(VALU_DEP_4)
	v_add_f64_e32 v[50:51], v[50:51], v[52:53]
	v_div_fixup_f64 v[52:53], v[54:55], |v[2:3]|, 1.0
	s_delay_alu instid0(VALU_DEP_2) | instskip(NEXT) | instid1(VALU_DEP_2)
	v_add_f64_e32 v[50:51], v[56:57], v[50:51]
	v_mul_f64_e32 v[54:55], v[52:53], v[52:53]
	s_delay_alu instid0(VALU_DEP_2) | instskip(NEXT) | instid1(VALU_DEP_2)
	v_add_f64_e32 v[56:57], -1.0, v[50:51]
	v_fmamk_f64 v[50:51], v[54:55], 0xbf5ab89d0b9e43e4, v[14:15]
	s_delay_alu instid0(VALU_DEP_1) | instskip(NEXT) | instid1(VALU_DEP_1)
	v_fmaak_f64 v[50:51], v[54:55], v[50:51], 0xbf4380cb8c0fe741
	v_fmaak_f64 v[50:51], v[54:55], v[50:51], 0x3f4a019f98cf38b6
	s_delay_alu instid0(VALU_DEP_1) | instskip(NEXT) | instid1(VALU_DEP_1)
	v_fmaak_f64 v[50:51], v[54:55], v[50:51], 0xbf66c16c16b02e5c
	v_fmaak_f64 v[50:51], v[54:55], v[50:51], 0x3fb555555555553b
	v_cndmask_b32_e32 v40, 0x7ff00000, v57, vcc_lo
	s_and_b32 vcc_lo, s0, vcc_lo
	s_delay_alu instid0(VALU_DEP_2) | instskip(NEXT) | instid1(VALU_DEP_2)
	v_fmaak_f64 v[50:51], v[52:53], v[50:51], 0x3fdacfe390c97d69
	v_cndmask_b32_e64 v53, 0xfff00000, v40, s0
	v_cndmask_b32_e32 v52, 0, v56, vcc_lo
	s_delay_alu instid0(VALU_DEP_1)
	v_fmac_f64_e32 v[50:51], v[58:59], v[52:53]
.LBB12_237:                             ;   in Loop: Header=BB12_162 Depth=1
	s_or_b32 exec_lo, exec_lo, s4
.LBB12_238:                             ;   in Loop: Header=BB12_162 Depth=1
	s_and_not1_saveexec_b32 s2, s2
	s_cbranch_execz .LBB12_240
; %bb.239:                              ;   in Loop: Header=BB12_162 Depth=1
	v_cvt_i32_f64_e32 v40, v[48:49]
	s_delay_alu instid0(VALU_DEP_1) | instskip(SKIP_2) | instid1(VALU_DEP_3)
	v_cvt_f64_i32_e32 v[50:51], v40
	v_cmp_lt_i32_e32 vcc_lo, 2, v40
	v_cmp_lt_i32_e64 s0, 3, v40
	v_add_f64_e64 v[50:51], |v[2:3]|, -v[50:51]
	s_delay_alu instid0(VALU_DEP_1) | instskip(SKIP_2) | instid1(VALU_DEP_2)
	v_add_f64_e32 v[56:57], 4.0, v[50:51]
	v_add_f64_e32 v[52:53], 2.0, v[50:51]
	v_add_f64_e32 v[54:55], 0x40080000, v[50:51]
	v_cndmask_b32_e32 v53, 0x3ff00000, v53, vcc_lo
	s_delay_alu instid0(VALU_DEP_3) | instskip(SKIP_1) | instid1(VALU_DEP_4)
	v_cndmask_b32_e32 v52, 0, v52, vcc_lo
	v_cmp_lt_i32_e32 vcc_lo, 4, v40
	v_cndmask_b32_e64 v55, 0x3ff00000, v55, s0
	v_cndmask_b32_e32 v57, 0x3ff00000, v57, vcc_lo
	v_dual_cndmask_b32 v56, 0, v56, vcc_lo :: v_dual_cndmask_b32 v54, 0, v54, s0
	v_cmp_lt_i32_e32 vcc_lo, 5, v40
	s_delay_alu instid0(VALU_DEP_2) | instskip(SKIP_1) | instid1(VALU_DEP_2)
	v_mul_f64_e32 v[52:53], v[52:53], v[54:55]
	v_add_f64_e32 v[54:55], 0x40140000, v[50:51]
	v_mul_f64_e32 v[52:53], v[56:57], v[52:53]
	v_add_f64_e32 v[56:57], 0x40180000, v[50:51]
	s_delay_alu instid0(VALU_DEP_3) | instskip(NEXT) | instid1(VALU_DEP_4)
	v_cndmask_b32_e32 v55, 0x3ff00000, v55, vcc_lo
	v_cndmask_b32_e32 v54, 0, v54, vcc_lo
	v_cmp_lt_i32_e32 vcc_lo, 6, v40
	s_delay_alu instid0(VALU_DEP_2) | instskip(SKIP_2) | instid1(VALU_DEP_1)
	v_mul_f64_e32 v[52:53], v[54:55], v[52:53]
	v_cndmask_b32_e32 v55, 0x3ff00000, v57, vcc_lo
	v_cndmask_b32_e32 v54, 0, v56, vcc_lo
	v_mul_f64_e32 v[52:53], v[54:55], v[52:53]
	s_delay_alu instid0(VALU_DEP_1) | instskip(NEXT) | instid1(VALU_DEP_1)
	v_frexp_mant_f64_e32 v[54:55], v[52:53]
	v_cmp_gt_f64_e32 vcc_lo, s[8:9], v[54:55]
	v_cndmask_b32_e64 v40, 0, 1, vcc_lo
	s_delay_alu instid0(VALU_DEP_1) | instskip(SKIP_1) | instid1(VALU_DEP_2)
	v_ldexp_f64 v[54:55], v[54:55], v40
	v_frexp_exp_i32_f64_e32 v40, v[52:53]
	v_add_f64_e32 v[56:57], 1.0, v[54:55]
	v_add_f64_e32 v[62:63], -1.0, v[54:55]
	s_delay_alu instid0(VALU_DEP_3) | instskip(NEXT) | instid1(VALU_DEP_3)
	v_subrev_co_ci_u32_e64 v40, null, 0, v40, vcc_lo
	v_rcp_f64_e32 v[58:59], v[56:57]
	v_add_f64_e32 v[64:65], -1.0, v[56:57]
	s_delay_alu instid0(VALU_DEP_1) | instskip(NEXT) | instid1(TRANS32_DEP_1)
	v_add_f64_e64 v[54:55], v[54:55], -v[64:65]
	v_fma_f64 v[60:61], -v[56:57], v[58:59], 1.0
	s_delay_alu instid0(VALU_DEP_1) | instskip(NEXT) | instid1(VALU_DEP_1)
	v_fmac_f64_e32 v[58:59], v[60:61], v[58:59]
	v_fma_f64 v[60:61], -v[56:57], v[58:59], 1.0
	s_delay_alu instid0(VALU_DEP_1) | instskip(NEXT) | instid1(VALU_DEP_1)
	v_fmac_f64_e32 v[58:59], v[60:61], v[58:59]
	v_mul_f64_e32 v[60:61], v[62:63], v[58:59]
	s_delay_alu instid0(VALU_DEP_1) | instskip(NEXT) | instid1(VALU_DEP_1)
	v_mul_f64_e32 v[66:67], v[56:57], v[60:61]
	v_fma_f64 v[56:57], v[60:61], v[56:57], -v[66:67]
	s_delay_alu instid0(VALU_DEP_1) | instskip(NEXT) | instid1(VALU_DEP_1)
	v_fmac_f64_e32 v[56:57], v[60:61], v[54:55]
	v_add_f64_e32 v[54:55], v[66:67], v[56:57]
	s_delay_alu instid0(VALU_DEP_1) | instskip(SKIP_1) | instid1(VALU_DEP_2)
	v_add_f64_e64 v[64:65], v[62:63], -v[54:55]
	v_add_f64_e64 v[66:67], v[54:55], -v[66:67]
	;; [unrolled: 1-line block ×3, first 2 shown]
	s_delay_alu instid0(VALU_DEP_2) | instskip(NEXT) | instid1(VALU_DEP_2)
	v_add_f64_e64 v[56:57], v[66:67], -v[56:57]
	v_add_f64_e64 v[54:55], v[62:63], -v[54:55]
	s_delay_alu instid0(VALU_DEP_1) | instskip(NEXT) | instid1(VALU_DEP_1)
	v_add_f64_e32 v[54:55], v[56:57], v[54:55]
	v_add_f64_e32 v[54:55], v[64:65], v[54:55]
	s_delay_alu instid0(VALU_DEP_1) | instskip(NEXT) | instid1(VALU_DEP_1)
	v_mul_f64_e32 v[54:55], v[58:59], v[54:55]
	v_add_f64_e32 v[56:57], v[60:61], v[54:55]
	s_delay_alu instid0(VALU_DEP_1) | instskip(NEXT) | instid1(VALU_DEP_1)
	v_mul_f64_e32 v[58:59], v[56:57], v[56:57]
	v_fmamk_f64 v[62:63], v[58:59], 0x3fc3ab76bf559e2b, v[12:13]
	v_mul_f64_e32 v[64:65], v[56:57], v[58:59]
	s_delay_alu instid0(VALU_DEP_2) | instskip(NEXT) | instid1(VALU_DEP_1)
	v_fmaak_f64 v[62:63], v[58:59], v[62:63], 0x3fc7474dd7f4df2e
	v_fmaak_f64 v[62:63], v[58:59], v[62:63], 0x3fcc71c016291751
	s_delay_alu instid0(VALU_DEP_1) | instskip(NEXT) | instid1(VALU_DEP_1)
	v_fmaak_f64 v[62:63], v[58:59], v[62:63], 0x3fd249249b27acf1
	v_fmaak_f64 v[62:63], v[58:59], v[62:63], 0x3fd99999998ef7b6
	s_delay_alu instid0(VALU_DEP_1) | instskip(SKIP_2) | instid1(VALU_DEP_3)
	v_fmaak_f64 v[58:59], v[58:59], v[62:63], 0x3fe5555555555780
	v_ldexp_f64 v[62:63], v[56:57], 1
	v_add_f64_e64 v[56:57], v[56:57], -v[60:61]
	v_mul_f64_e32 v[58:59], v[64:65], v[58:59]
	v_cvt_f64_i32_e32 v[64:65], v40
	s_delay_alu instid0(VALU_DEP_3) | instskip(NEXT) | instid1(VALU_DEP_3)
	v_add_f64_e64 v[54:55], v[54:55], -v[56:57]
	v_add_f64_e32 v[60:61], v[62:63], v[58:59]
	s_delay_alu instid0(VALU_DEP_3) | instskip(NEXT) | instid1(VALU_DEP_3)
	v_mul_f64_e32 v[66:67], 0x3fe62e42fefa39ef, v[64:65]
	v_ldexp_f64 v[54:55], v[54:55], 1
	s_delay_alu instid0(VALU_DEP_3) | instskip(NEXT) | instid1(VALU_DEP_3)
	v_add_f64_e64 v[56:57], v[60:61], -v[62:63]
	v_fma_f64 v[62:63], v[64:65], s[12:13], -v[66:67]
	s_delay_alu instid0(VALU_DEP_2) | instskip(NEXT) | instid1(VALU_DEP_2)
	v_add_f64_e64 v[56:57], v[58:59], -v[56:57]
	v_fmac_f64_e32 v[62:63], 0x3c7abc9e3b39803f, v[64:65]
	v_fmamk_f64 v[58:59], v[50:51], 0x3f00bfecdd17e945, v[16:17]
	s_delay_alu instid0(VALU_DEP_1) | instskip(NEXT) | instid1(VALU_DEP_1)
	v_fmaak_f64 v[58:59], v[50:51], v[58:59], 0x3f9b481c7e939961
	v_fmaak_f64 v[58:59], v[50:51], v[58:59], 0x3fc2bb9cbee5f2f7
	s_delay_alu instid0(VALU_DEP_1) | instskip(NEXT) | instid1(VALU_DEP_1)
	v_fmaak_f64 v[58:59], v[50:51], v[58:59], 0x3fd4d98f4f139f59
	v_fmaak_f64 v[58:59], v[50:51], v[58:59], 0x3fcb848b36e20878
	v_add_f64_e32 v[54:55], v[54:55], v[56:57]
	v_fmamk_f64 v[56:57], v[50:51], 0x3edebaf7a5b38140, v[18:19]
	v_add_f64_e32 v[64:65], v[66:67], v[62:63]
	s_delay_alu instid0(VALU_DEP_4) | instskip(NEXT) | instid1(VALU_DEP_3)
	v_fmaak_f64 v[58:59], v[50:51], v[58:59], 0xbfb3c467e37db0c8
	v_fmaak_f64 v[56:57], v[50:51], v[56:57], 0x3f9317ea742ed475
	s_delay_alu instid0(VALU_DEP_2) | instskip(NEXT) | instid1(VALU_DEP_2)
	v_mul_f64_e32 v[58:59], v[50:51], v[58:59]
	v_fmaak_f64 v[56:57], v[50:51], v[56:57], 0x3fc601edccfbdf27
	s_delay_alu instid0(VALU_DEP_1) | instskip(NEXT) | instid1(VALU_DEP_1)
	v_fmaak_f64 v[56:57], v[50:51], v[56:57], 0x3fe71a1893d3dcdc
	v_fmaak_f64 v[56:57], v[50:51], v[56:57], 0x3ff645a762c4ab74
	v_add_f64_e32 v[68:69], v[60:61], v[54:55]
	v_add_f64_e64 v[66:67], v[64:65], -v[66:67]
	s_delay_alu instid0(VALU_DEP_3) | instskip(NEXT) | instid1(VALU_DEP_3)
	v_fma_f64 v[56:57], v[50:51], v[56:57], 1.0
	v_add_f64_e32 v[70:71], v[64:65], v[68:69]
	v_add_f64_e64 v[60:61], v[68:69], -v[60:61]
	s_delay_alu instid0(VALU_DEP_4) | instskip(NEXT) | instid1(VALU_DEP_4)
	v_add_f64_e64 v[62:63], v[62:63], -v[66:67]
	v_div_scale_f64 v[72:73], null, v[56:57], v[56:57], v[58:59]
	s_delay_alu instid0(VALU_DEP_4) | instskip(NEXT) | instid1(VALU_DEP_4)
	v_add_f64_e64 v[74:75], v[70:71], -v[64:65]
	v_add_f64_e64 v[54:55], v[54:55], -v[60:61]
	s_delay_alu instid0(VALU_DEP_3) | instskip(NEXT) | instid1(VALU_DEP_2)
	v_rcp_f64_e32 v[76:77], v[72:73]
	v_add_f64_e64 v[78:79], v[70:71], -v[74:75]
	v_add_f64_e64 v[60:61], v[68:69], -v[74:75]
	s_delay_alu instid0(VALU_DEP_3) | instskip(SKIP_1) | instid1(TRANS32_DEP_1)
	v_add_f64_e32 v[66:67], v[62:63], v[54:55]
	v_div_scale_f64 v[74:75], vcc_lo, v[58:59], v[56:57], v[58:59]
	v_fma_f64 v[80:81], -v[72:73], v[76:77], 1.0
	v_add_f64_e64 v[64:65], v[64:65], -v[78:79]
	s_delay_alu instid0(VALU_DEP_4) | instskip(NEXT) | instid1(VALU_DEP_3)
	v_add_f64_e64 v[68:69], v[66:67], -v[62:63]
	v_fmac_f64_e32 v[76:77], v[76:77], v[80:81]
	s_delay_alu instid0(VALU_DEP_3) | instskip(NEXT) | instid1(VALU_DEP_3)
	v_add_f64_e32 v[60:61], v[60:61], v[64:65]
	v_add_f64_e64 v[54:55], v[54:55], -v[68:69]
	s_delay_alu instid0(VALU_DEP_3) | instskip(NEXT) | instid1(VALU_DEP_3)
	v_fma_f64 v[64:65], -v[72:73], v[76:77], 1.0
	v_add_f64_e32 v[60:61], v[66:67], v[60:61]
	s_delay_alu instid0(VALU_DEP_2) | instskip(SKIP_1) | instid1(VALU_DEP_3)
	v_fmac_f64_e32 v[76:77], v[76:77], v[64:65]
	v_add_f64_e64 v[64:65], v[66:67], -v[68:69]
	v_add_f64_e32 v[66:67], v[70:71], v[60:61]
	s_delay_alu instid0(VALU_DEP_3) | instskip(NEXT) | instid1(VALU_DEP_3)
	v_mul_f64_e32 v[78:79], v[74:75], v[76:77]
	v_add_f64_e64 v[62:63], v[62:63], -v[64:65]
	s_delay_alu instid0(VALU_DEP_3) | instskip(NEXT) | instid1(VALU_DEP_3)
	v_add_f64_e64 v[64:65], v[66:67], -v[70:71]
	v_fma_f64 v[68:69], -v[72:73], v[78:79], v[74:75]
	s_delay_alu instid0(VALU_DEP_3) | instskip(NEXT) | instid1(VALU_DEP_3)
	v_add_f64_e32 v[54:55], v[54:55], v[62:63]
	v_add_f64_e64 v[60:61], v[60:61], -v[64:65]
	s_delay_alu instid0(VALU_DEP_3) | instskip(SKIP_1) | instid1(VALU_DEP_3)
	v_div_fmas_f64 v[62:63], v[68:69], v[76:77], v[78:79]
	v_cmp_class_f64_e64 vcc_lo, v[52:53], 0x204
	v_add_f64_e32 v[54:55], v[54:55], v[60:61]
	s_delay_alu instid0(VALU_DEP_3) | instskip(NEXT) | instid1(VALU_DEP_2)
	v_div_fixup_f64 v[56:57], v[62:63], v[56:57], v[58:59]
	v_add_f64_e32 v[54:55], v[66:67], v[54:55]
	s_delay_alu instid0(VALU_DEP_2) | instskip(NEXT) | instid1(VALU_DEP_2)
	v_fmac_f64_e32 v[56:57], 0.5, v[50:51]
	v_dual_cndmask_b32 v40, v54, v52, vcc_lo :: v_dual_cndmask_b32 v44, v55, v53, vcc_lo
	v_cmp_ngt_f64_e32 vcc_lo, 0, v[52:53]
	s_delay_alu instid0(VALU_DEP_2) | instskip(SKIP_1) | instid1(VALU_DEP_4)
	v_cndmask_b32_e32 v44, 0x7ff80000, v44, vcc_lo
	v_cmp_nge_f64_e32 vcc_lo, 0, v[52:53]
	v_cndmask_b32_e32 v50, 0, v40, vcc_lo
	v_cmp_neq_f64_e32 vcc_lo, 0, v[52:53]
	s_delay_alu instid0(VALU_DEP_4) | instskip(NEXT) | instid1(VALU_DEP_1)
	v_cndmask_b32_e32 v51, 0xfff00000, v44, vcc_lo
	v_add_f64_e32 v[50:51], v[56:57], v[50:51]
.LBB12_240:                             ;   in Loop: Header=BB12_162 Depth=1
	s_or_b32 exec_lo, exec_lo, s2
.LBB12_241:                             ;   in Loop: Header=BB12_162 Depth=1
	s_and_not1_saveexec_b32 s4, s1
	s_cbranch_execz .LBB12_255
; %bb.242:                              ;   in Loop: Header=BB12_162 Depth=1
                                        ; implicit-def: $vgpr40
                                        ; implicit-def: $vgpr52_vgpr53
	s_mov_b32 s0, exec_lo
	v_cmpx_lt_u32_e32 0x3feccccc, v49
	s_xor_b32 s1, exec_lo, s0
	s_cbranch_execz .LBB12_244
; %bb.243:                              ;   in Loop: Header=BB12_162 Depth=1
	v_add_f64_e64 v[50:51], -|v[2:3]|, 2.0
	v_add_f64_e64 v[52:53], |v[2:3]|, s[14:15]
	v_add_f64_e64 v[54:55], |v[2:3]|, -1.0
	v_cmp_gt_u32_e32 vcc_lo, 0x3ffbb4c3, v49
	v_cmp_gt_u32_e64 s0, 0x3ff3b4c4, v49
	v_cndmask_b32_e64 v48, 0, 1, vcc_lo
	v_dual_cndmask_b32 v40, v50, v52, vcc_lo :: v_dual_cndmask_b32 v44, v51, v53, vcc_lo
	s_delay_alu instid0(VALU_DEP_1) | instskip(NEXT) | instid1(VALU_DEP_2)
	v_cndmask_b32_e64 v52, v40, v54, s0
	v_cndmask_b32_e64 v53, v44, v55, s0
	s_delay_alu instid0(VALU_DEP_4)
	v_cndmask_b32_e64 v40, v48, 2, s0
.LBB12_244:                             ;   in Loop: Header=BB12_162 Depth=1
	s_or_saveexec_b32 s5, s1
	v_mov_b64_e32 v[50:51], 0
	s_xor_b32 exec_lo, exec_lo, s5
	s_cbranch_execz .LBB12_246
; %bb.245:                              ;   in Loop: Header=BB12_162 Depth=1
	v_frexp_mant_f64_e64 v[50:51], |v[2:3]|
	v_and_b32_e32 v44, 0x7fffffff, v3
	v_cmp_gt_u32_e64 s2, 0x3fcda661, v49
	v_cmp_gt_u32_e64 s1, 0x3fe76944, v49
	v_cmp_neq_f64_e64 s0, 0, v[2:3]
	v_cmp_gt_f64_e32 vcc_lo, s[8:9], v[50:51]
	v_cndmask_b32_e64 v40, 0, 1, vcc_lo
	s_delay_alu instid0(VALU_DEP_1) | instskip(SKIP_1) | instid1(VALU_DEP_2)
	v_ldexp_f64 v[50:51], v[50:51], v40
	v_frexp_exp_i32_f64_e32 v40, v[2:3]
	v_add_f64_e32 v[52:53], 1.0, v[50:51]
	v_add_f64_e32 v[58:59], -1.0, v[50:51]
	s_delay_alu instid0(VALU_DEP_3) | instskip(SKIP_1) | instid1(VALU_DEP_4)
	v_subrev_co_ci_u32_e64 v40, null, 0, v40, vcc_lo
	v_cmp_neq_f64_e64 vcc_lo, 0x7ff00000, |v[2:3]|
	v_rcp_f64_e32 v[54:55], v[52:53]
	v_add_f64_e32 v[60:61], -1.0, v[52:53]
	s_delay_alu instid0(VALU_DEP_1) | instskip(NEXT) | instid1(TRANS32_DEP_1)
	v_add_f64_e64 v[50:51], v[50:51], -v[60:61]
	v_fma_f64 v[56:57], -v[52:53], v[54:55], 1.0
	s_delay_alu instid0(VALU_DEP_1) | instskip(NEXT) | instid1(VALU_DEP_1)
	v_fmac_f64_e32 v[54:55], v[56:57], v[54:55]
	v_fma_f64 v[56:57], -v[52:53], v[54:55], 1.0
	s_delay_alu instid0(VALU_DEP_1) | instskip(NEXT) | instid1(VALU_DEP_1)
	v_fmac_f64_e32 v[54:55], v[56:57], v[54:55]
	v_mul_f64_e32 v[56:57], v[58:59], v[54:55]
	s_delay_alu instid0(VALU_DEP_1) | instskip(NEXT) | instid1(VALU_DEP_1)
	v_mul_f64_e32 v[62:63], v[52:53], v[56:57]
	v_fma_f64 v[52:53], v[56:57], v[52:53], -v[62:63]
	s_delay_alu instid0(VALU_DEP_1) | instskip(NEXT) | instid1(VALU_DEP_1)
	v_fmac_f64_e32 v[52:53], v[56:57], v[50:51]
	v_add_f64_e32 v[50:51], v[62:63], v[52:53]
	s_delay_alu instid0(VALU_DEP_1) | instskip(SKIP_1) | instid1(VALU_DEP_2)
	v_add_f64_e64 v[60:61], v[58:59], -v[50:51]
	v_add_f64_e64 v[62:63], v[50:51], -v[62:63]
	;; [unrolled: 1-line block ×3, first 2 shown]
	s_delay_alu instid0(VALU_DEP_2) | instskip(NEXT) | instid1(VALU_DEP_2)
	v_add_f64_e64 v[52:53], v[62:63], -v[52:53]
	v_add_f64_e64 v[50:51], v[58:59], -v[50:51]
	s_delay_alu instid0(VALU_DEP_1) | instskip(NEXT) | instid1(VALU_DEP_1)
	v_add_f64_e32 v[50:51], v[52:53], v[50:51]
	v_add_f64_e32 v[50:51], v[60:61], v[50:51]
	s_delay_alu instid0(VALU_DEP_1) | instskip(NEXT) | instid1(VALU_DEP_1)
	v_mul_f64_e32 v[50:51], v[54:55], v[50:51]
	v_add_f64_e32 v[52:53], v[56:57], v[50:51]
	s_delay_alu instid0(VALU_DEP_1) | instskip(NEXT) | instid1(VALU_DEP_1)
	v_mul_f64_e32 v[54:55], v[52:53], v[52:53]
	v_fmamk_f64 v[58:59], v[54:55], 0x3fc3ab76bf559e2b, v[12:13]
	v_mul_f64_e32 v[60:61], v[52:53], v[54:55]
	s_delay_alu instid0(VALU_DEP_2) | instskip(NEXT) | instid1(VALU_DEP_1)
	v_fmaak_f64 v[58:59], v[54:55], v[58:59], 0x3fc7474dd7f4df2e
	v_fmaak_f64 v[58:59], v[54:55], v[58:59], 0x3fcc71c016291751
	s_delay_alu instid0(VALU_DEP_1) | instskip(NEXT) | instid1(VALU_DEP_1)
	v_fmaak_f64 v[58:59], v[54:55], v[58:59], 0x3fd249249b27acf1
	v_fmaak_f64 v[58:59], v[54:55], v[58:59], 0x3fd99999998ef7b6
	s_delay_alu instid0(VALU_DEP_1) | instskip(SKIP_2) | instid1(VALU_DEP_3)
	v_fmaak_f64 v[54:55], v[54:55], v[58:59], 0x3fe5555555555780
	v_ldexp_f64 v[58:59], v[52:53], 1
	v_add_f64_e64 v[52:53], v[52:53], -v[56:57]
	v_mul_f64_e32 v[54:55], v[60:61], v[54:55]
	v_cvt_f64_i32_e32 v[60:61], v40
	s_delay_alu instid0(VALU_DEP_3) | instskip(NEXT) | instid1(VALU_DEP_3)
	v_add_f64_e64 v[50:51], v[50:51], -v[52:53]
	v_add_f64_e32 v[56:57], v[58:59], v[54:55]
	s_delay_alu instid0(VALU_DEP_3) | instskip(NEXT) | instid1(VALU_DEP_3)
	v_mul_f64_e32 v[62:63], 0x3fe62e42fefa39ef, v[60:61]
	v_ldexp_f64 v[50:51], v[50:51], 1
	s_delay_alu instid0(VALU_DEP_3) | instskip(NEXT) | instid1(VALU_DEP_3)
	v_add_f64_e64 v[52:53], v[56:57], -v[58:59]
	v_fma_f64 v[58:59], v[60:61], s[12:13], -v[62:63]
	s_delay_alu instid0(VALU_DEP_2) | instskip(NEXT) | instid1(VALU_DEP_2)
	v_add_f64_e64 v[52:53], v[54:55], -v[52:53]
	v_fmac_f64_e32 v[58:59], 0x3c7abc9e3b39803f, v[60:61]
	s_delay_alu instid0(VALU_DEP_2) | instskip(NEXT) | instid1(VALU_DEP_2)
	v_add_f64_e32 v[50:51], v[50:51], v[52:53]
	v_add_f64_e32 v[52:53], v[62:63], v[58:59]
	s_delay_alu instid0(VALU_DEP_2) | instskip(NEXT) | instid1(VALU_DEP_2)
	v_add_f64_e32 v[54:55], v[56:57], v[50:51]
	v_add_f64_e64 v[62:63], v[52:53], -v[62:63]
	s_delay_alu instid0(VALU_DEP_2) | instskip(SKIP_1) | instid1(VALU_DEP_3)
	v_add_f64_e32 v[60:61], v[52:53], v[54:55]
	v_add_f64_e64 v[56:57], v[54:55], -v[56:57]
	v_add_f64_e64 v[58:59], v[58:59], -v[62:63]
	s_delay_alu instid0(VALU_DEP_3) | instskip(NEXT) | instid1(VALU_DEP_3)
	v_add_f64_e64 v[64:65], v[60:61], -v[52:53]
	v_add_f64_e64 v[50:51], v[50:51], -v[56:57]
	s_delay_alu instid0(VALU_DEP_2) | instskip(SKIP_1) | instid1(VALU_DEP_3)
	v_add_f64_e64 v[66:67], v[60:61], -v[64:65]
	v_add_f64_e64 v[54:55], v[54:55], -v[64:65]
	v_add_f64_e32 v[56:57], v[58:59], v[50:51]
	s_delay_alu instid0(VALU_DEP_3) | instskip(NEXT) | instid1(VALU_DEP_1)
	v_add_f64_e64 v[52:53], v[52:53], -v[66:67]
	v_add_f64_e32 v[52:53], v[54:55], v[52:53]
	s_delay_alu instid0(VALU_DEP_3) | instskip(NEXT) | instid1(VALU_DEP_2)
	v_add_f64_e64 v[54:55], v[56:57], -v[58:59]
	v_add_f64_e32 v[52:53], v[56:57], v[52:53]
	s_delay_alu instid0(VALU_DEP_2) | instskip(SKIP_1) | instid1(VALU_DEP_3)
	v_add_f64_e64 v[56:57], v[56:57], -v[54:55]
	v_add_f64_e64 v[50:51], v[50:51], -v[54:55]
	v_add_f64_e32 v[62:63], v[60:61], v[52:53]
	s_delay_alu instid0(VALU_DEP_3) | instskip(NEXT) | instid1(VALU_DEP_2)
	v_add_f64_e64 v[54:55], v[58:59], -v[56:57]
	v_add_f64_e64 v[56:57], v[62:63], -v[60:61]
	s_delay_alu instid0(VALU_DEP_2) | instskip(SKIP_1) | instid1(VALU_DEP_3)
	v_add_f64_e32 v[50:51], v[50:51], v[54:55]
	v_add_f64_e64 v[54:55], |v[2:3]|, s[16:17]
	v_add_f64_e64 v[52:53], v[52:53], -v[56:57]
	s_delay_alu instid0(VALU_DEP_1) | instskip(SKIP_1) | instid1(VALU_DEP_2)
	v_add_f64_e32 v[50:51], v[50:51], v[52:53]
	v_add_f64_e64 v[52:53], -|v[2:3]|, 1.0
	v_add_f64_e32 v[50:51], v[62:63], v[50:51]
	s_delay_alu instid0(VALU_DEP_2) | instskip(SKIP_1) | instid1(VALU_DEP_2)
	v_cndmask_b32_e64 v48, v52, v54, s1
	v_cndmask_b32_e64 v54, 0, 1, s1
	;; [unrolled: 1-line block ×3, first 2 shown]
	s_delay_alu instid0(VALU_DEP_4) | instskip(SKIP_1) | instid1(VALU_DEP_2)
	v_xor_b32_e32 v40, 0x80000000, v51
	v_cndmask_b32_e64 v51, v53, v55, s1
	v_cndmask_b32_e32 v40, 0xfff00000, v40, vcc_lo
	s_and_b32 vcc_lo, s0, vcc_lo
	s_delay_alu instid0(VALU_DEP_2) | instid1(SALU_CYCLE_1)
	v_dual_cndmask_b32 v53, v51, v44, s2 :: v_dual_cndmask_b32 v50, 0, v50, vcc_lo
	s_delay_alu instid0(VALU_DEP_2)
	v_cndmask_b32_e64 v51, 0x7ff00000, v40, s0
	v_cndmask_b32_e64 v40, v54, 2, s2
.LBB12_246:                             ;   in Loop: Header=BB12_162 Depth=1
	s_or_b32 exec_lo, exec_lo, s5
	s_delay_alu instid0(SALU_CYCLE_1) | instskip(NEXT) | instid1(VALU_DEP_1)
	s_mov_b32 s0, exec_lo
                                        ; implicit-def: $vgpr54_vgpr55
	v_cmpx_lt_i32_e32 1, v40
	s_xor_b32 s0, exec_lo, s0
	s_cbranch_execz .LBB12_248
; %bb.247:                              ;   in Loop: Header=BB12_162 Depth=1
	v_fmamk_f64 v[54:55], v[52:53], 0x3f8b678bbf2bab09, v[20:21]
	v_fmamk_f64 v[56:57], v[52:53], 0x3f6a5abb57d0cf61, v[22:23]
                                        ; implicit-def: $vgpr40
	s_delay_alu instid0(VALU_DEP_2) | instskip(NEXT) | instid1(VALU_DEP_2)
	v_fmaak_f64 v[54:55], v[52:53], v[54:55], 0x3fef497644ea8450
	v_fmaak_f64 v[56:57], v[52:53], v[56:57], 0x3fe89dfbe45050af
	s_delay_alu instid0(VALU_DEP_2) | instskip(NEXT) | instid1(VALU_DEP_2)
	v_fmaak_f64 v[54:55], v[52:53], v[54:55], 0x3ff7475cd119bd6f
	v_fmaak_f64 v[56:57], v[52:53], v[56:57], 0x40010725a42b18f5
	s_delay_alu instid0(VALU_DEP_2) | instskip(NEXT) | instid1(VALU_DEP_2)
	v_fmaak_f64 v[54:55], v[52:53], v[54:55], 0x3fe4401e8b005dff
	v_fmaak_f64 v[56:57], v[52:53], v[56:57], 0x4003a5d7c2bd619c
	s_delay_alu instid0(VALU_DEP_2) | instskip(NEXT) | instid1(VALU_DEP_2)
	v_fmaak_f64 v[54:55], v[52:53], v[54:55], 0xbfb3c467e37db0c8
	v_fma_f64 v[56:57], v[52:53], v[56:57], 1.0
	s_delay_alu instid0(VALU_DEP_2) | instskip(NEXT) | instid1(VALU_DEP_1)
	v_mul_f64_e32 v[54:55], v[52:53], v[54:55]
	v_div_scale_f64 v[58:59], null, v[56:57], v[56:57], v[54:55]
	s_delay_alu instid0(VALU_DEP_1) | instskip(SKIP_1) | instid1(TRANS32_DEP_1)
	v_rcp_f64_e32 v[60:61], v[58:59]
	v_nop
	v_fma_f64 v[62:63], -v[58:59], v[60:61], 1.0
	s_delay_alu instid0(VALU_DEP_1) | instskip(NEXT) | instid1(VALU_DEP_1)
	v_fmac_f64_e32 v[60:61], v[60:61], v[62:63]
	v_fma_f64 v[62:63], -v[58:59], v[60:61], 1.0
	s_delay_alu instid0(VALU_DEP_1) | instskip(SKIP_1) | instid1(VALU_DEP_1)
	v_fmac_f64_e32 v[60:61], v[60:61], v[62:63]
	v_div_scale_f64 v[62:63], vcc_lo, v[54:55], v[56:57], v[54:55]
	v_mul_f64_e32 v[64:65], v[62:63], v[60:61]
	s_delay_alu instid0(VALU_DEP_1) | instskip(NEXT) | instid1(VALU_DEP_1)
	v_fma_f64 v[58:59], -v[58:59], v[64:65], v[62:63]
	v_div_fmas_f64 v[58:59], v[58:59], v[60:61], v[64:65]
	s_delay_alu instid0(VALU_DEP_1) | instskip(NEXT) | instid1(VALU_DEP_1)
	v_div_fixup_f64 v[54:55], v[58:59], v[56:57], v[54:55]
	v_fmac_f64_e32 v[54:55], -0.5, v[52:53]
                                        ; implicit-def: $vgpr52_vgpr53
.LBB12_248:                             ;   in Loop: Header=BB12_162 Depth=1
	s_and_not1_saveexec_b32 s0, s0
	s_cbranch_execz .LBB12_254
; %bb.249:                              ;   in Loop: Header=BB12_162 Depth=1
	v_mul_f64_e32 v[56:57], v[52:53], v[52:53]
	s_mov_b32 s1, exec_lo
                                        ; implicit-def: $vgpr54_vgpr55
	v_cmpx_ne_u32_e32 1, v40
	s_xor_b32 s1, exec_lo, s1
	s_cbranch_execz .LBB12_251
; %bb.250:                              ;   in Loop: Header=BB12_162 Depth=1
	s_delay_alu instid0(VALU_DEP_2) | instskip(SKIP_1) | instid1(VALU_DEP_2)
	v_fmamk_f64 v[54:55], v[56:57], 0x3f07858e90a45837, v[26:27]
	v_fmamk_f64 v[58:59], v[56:57], 0x3efa7074428cfa52, v[24:25]
	v_fmaak_f64 v[54:55], v[56:57], v[54:55], 0x3f40b6c689b99c00
	s_delay_alu instid0(VALU_DEP_2) | instskip(NEXT) | instid1(VALU_DEP_2)
	v_fmaak_f64 v[58:59], v[56:57], v[58:59], 0x3f538a94116f3f5d
	v_fmaak_f64 v[54:55], v[56:57], v[54:55], 0x3f67add8ccb7926b
	s_delay_alu instid0(VALU_DEP_2) | instskip(NEXT) | instid1(VALU_DEP_2)
	v_fmaak_f64 v[58:59], v[56:57], v[58:59], 0x3f7e404fb68fefe8
	;; [unrolled: 3-line block ×3, first 2 shown]
	v_fmaak_f64 v[54:55], v[56:57], v[54:55], 0x3fd4a34cc4a60fad
	s_delay_alu instid0(VALU_DEP_1) | instskip(NEXT) | instid1(VALU_DEP_3)
	v_mul_f64_e32 v[54:55], v[56:57], v[54:55]
	v_fmaak_f64 v[56:57], v[56:57], v[58:59], 0x3fb3c467e37db0c8
	s_delay_alu instid0(VALU_DEP_1) | instskip(NEXT) | instid1(VALU_DEP_1)
	v_fmac_f64_e32 v[54:55], v[52:53], v[56:57]
                                        ; implicit-def: $vgpr56_vgpr57
	v_fmac_f64_e32 v[54:55], -0.5, v[52:53]
                                        ; implicit-def: $vgpr52_vgpr53
.LBB12_251:                             ;   in Loop: Header=BB12_162 Depth=1
	s_and_not1_saveexec_b32 s1, s1
	s_cbranch_execz .LBB12_253
; %bb.252:                              ;   in Loop: Header=BB12_162 Depth=1
	s_delay_alu instid0(VALU_DEP_2) | instskip(NEXT) | instid1(VALU_DEP_1)
	v_mul_f64_e32 v[54:55], v[52:53], v[56:57]
	v_fmamk_f64 v[58:59], v[54:55], 0xbf347f24ecc38c38, v[30:31]
	v_fmamk_f64 v[60:61], v[54:55], 0x3f35fd3ee8c2d3f4, v[32:33]
	s_delay_alu instid0(VALU_DEP_2) | instskip(NEXT) | instid1(VALU_DEP_2)
	v_fmaak_f64 v[58:59], v[54:55], v[58:59], 0xbf6e2effb3e914d7
	v_fmaak_f64 v[60:61], v[54:55], v[60:61], 0x3f6282d32e15c915
	s_delay_alu instid0(VALU_DEP_2) | instskip(NEXT) | instid1(VALU_DEP_2)
	v_fmaak_f64 v[58:59], v[54:55], v[58:59], 0x3f9266e7970af9ec
	v_fmaak_f64 v[60:61], v[54:55], v[60:61], 0xbf851f9fba91ec6a
	s_delay_alu instid0(VALU_DEP_2) | instskip(NEXT) | instid1(VALU_DEP_2)
	v_fmaak_f64 v[58:59], v[54:55], v[58:59], 0xbfc2e4278dc6c509
	v_fmaak_f64 v[60:61], v[54:55], v[60:61], 0x3fb08b4294d5419b
	s_delay_alu instid0(VALU_DEP_1) | instskip(NEXT) | instid1(VALU_DEP_1)
	v_fmac_f64_e32 v[58:59], v[52:53], v[60:61]
	v_fma_f64 v[52:53], v[54:55], -v[58:59], s[18:19]
	v_fmamk_f64 v[58:59], v[54:55], 0x3f34af6d6c0ebbf7, v[28:29]
	s_delay_alu instid0(VALU_DEP_1) | instskip(NEXT) | instid1(VALU_DEP_1)
	v_fmaak_f64 v[58:59], v[54:55], v[58:59], 0x3f78fce0e370e344
	v_fmaak_f64 v[58:59], v[54:55], v[58:59], 0xbfa0c9a8df35b713
	s_delay_alu instid0(VALU_DEP_1) | instskip(NEXT) | instid1(VALU_DEP_1)
	v_fmaak_f64 v[54:55], v[54:55], v[58:59], 0x3fdef72bc8ee38a2
	v_fma_f64 v[52:53], v[56:57], v[54:55], -v[52:53]
	s_delay_alu instid0(VALU_DEP_1)
	v_add_f64_e32 v[54:55], 0xbfbf19b9bcc38a42, v[52:53]
.LBB12_253:                             ;   in Loop: Header=BB12_162 Depth=1
	s_or_b32 exec_lo, exec_lo, s1
.LBB12_254:                             ;   in Loop: Header=BB12_162 Depth=1
	s_delay_alu instid0(SALU_CYCLE_1) | instskip(NEXT) | instid1(VALU_DEP_1)
	s_or_b32 exec_lo, exec_lo, s0
	v_add_f64_e32 v[50:51], v[50:51], v[54:55]
.LBB12_255:                             ;   in Loop: Header=BB12_162 Depth=1
	s_or_b32 exec_lo, exec_lo, s4
.LBB12_256:                             ;   in Loop: Header=BB12_162 Depth=1
	s_and_not1_saveexec_b32 s1, s3
	s_cbranch_execz .LBB12_258
; %bb.257:                              ;   in Loop: Header=BB12_162 Depth=1
	v_frexp_mant_f64_e64 v[50:51], |v[2:3]|
	v_cmp_neq_f64_e64 s0, 0, v[2:3]
	s_delay_alu instid0(VALU_DEP_2) | instskip(SKIP_1) | instid1(VALU_DEP_1)
	v_cmp_gt_f64_e32 vcc_lo, s[8:9], v[50:51]
	v_cndmask_b32_e64 v40, 0, 1, vcc_lo
	v_ldexp_f64 v[50:51], v[50:51], v40
	v_frexp_exp_i32_f64_e32 v40, v[2:3]
	s_delay_alu instid0(VALU_DEP_2) | instskip(SKIP_1) | instid1(VALU_DEP_3)
	v_add_f64_e32 v[52:53], 1.0, v[50:51]
	v_add_f64_e32 v[58:59], -1.0, v[50:51]
	v_subrev_co_ci_u32_e64 v40, null, 0, v40, vcc_lo
	v_cmp_neq_f64_e64 vcc_lo, 0x7ff00000, |v[2:3]|
	s_delay_alu instid0(VALU_DEP_4) | instskip(SKIP_1) | instid1(VALU_DEP_1)
	v_rcp_f64_e32 v[54:55], v[52:53]
	v_add_f64_e32 v[60:61], -1.0, v[52:53]
	v_add_f64_e64 v[50:51], v[50:51], -v[60:61]
	s_delay_alu instid0(TRANS32_DEP_1) | instskip(NEXT) | instid1(VALU_DEP_1)
	v_fma_f64 v[56:57], -v[52:53], v[54:55], 1.0
	v_fmac_f64_e32 v[54:55], v[56:57], v[54:55]
	s_delay_alu instid0(VALU_DEP_1) | instskip(NEXT) | instid1(VALU_DEP_1)
	v_fma_f64 v[56:57], -v[52:53], v[54:55], 1.0
	v_fmac_f64_e32 v[54:55], v[56:57], v[54:55]
	s_delay_alu instid0(VALU_DEP_1) | instskip(NEXT) | instid1(VALU_DEP_1)
	v_mul_f64_e32 v[56:57], v[58:59], v[54:55]
	v_mul_f64_e32 v[62:63], v[52:53], v[56:57]
	s_delay_alu instid0(VALU_DEP_1) | instskip(NEXT) | instid1(VALU_DEP_1)
	v_fma_f64 v[52:53], v[56:57], v[52:53], -v[62:63]
	v_fmac_f64_e32 v[52:53], v[56:57], v[50:51]
	s_delay_alu instid0(VALU_DEP_1) | instskip(NEXT) | instid1(VALU_DEP_1)
	v_add_f64_e32 v[50:51], v[62:63], v[52:53]
	v_add_f64_e64 v[60:61], v[58:59], -v[50:51]
	v_add_f64_e64 v[62:63], v[50:51], -v[62:63]
	s_delay_alu instid0(VALU_DEP_2) | instskip(NEXT) | instid1(VALU_DEP_2)
	v_add_f64_e64 v[58:59], v[58:59], -v[60:61]
	v_add_f64_e64 v[52:53], v[62:63], -v[52:53]
	s_delay_alu instid0(VALU_DEP_2) | instskip(NEXT) | instid1(VALU_DEP_1)
	v_add_f64_e64 v[50:51], v[58:59], -v[50:51]
	v_add_f64_e32 v[50:51], v[52:53], v[50:51]
	s_delay_alu instid0(VALU_DEP_1) | instskip(NEXT) | instid1(VALU_DEP_1)
	v_add_f64_e32 v[50:51], v[60:61], v[50:51]
	v_mul_f64_e32 v[50:51], v[54:55], v[50:51]
	s_delay_alu instid0(VALU_DEP_1) | instskip(NEXT) | instid1(VALU_DEP_1)
	v_add_f64_e32 v[52:53], v[56:57], v[50:51]
	v_mul_f64_e32 v[54:55], v[52:53], v[52:53]
	s_delay_alu instid0(VALU_DEP_1) | instskip(SKIP_1) | instid1(VALU_DEP_2)
	v_fmamk_f64 v[58:59], v[54:55], 0x3fc3ab76bf559e2b, v[12:13]
	v_mul_f64_e32 v[60:61], v[52:53], v[54:55]
	v_fmaak_f64 v[58:59], v[54:55], v[58:59], 0x3fc7474dd7f4df2e
	s_delay_alu instid0(VALU_DEP_1) | instskip(NEXT) | instid1(VALU_DEP_1)
	v_fmaak_f64 v[58:59], v[54:55], v[58:59], 0x3fcc71c016291751
	v_fmaak_f64 v[58:59], v[54:55], v[58:59], 0x3fd249249b27acf1
	s_delay_alu instid0(VALU_DEP_1) | instskip(NEXT) | instid1(VALU_DEP_1)
	v_fmaak_f64 v[58:59], v[54:55], v[58:59], 0x3fd99999998ef7b6
	v_fmaak_f64 v[54:55], v[54:55], v[58:59], 0x3fe5555555555780
	v_ldexp_f64 v[58:59], v[52:53], 1
	v_add_f64_e64 v[52:53], v[52:53], -v[56:57]
	s_delay_alu instid0(VALU_DEP_3) | instskip(SKIP_1) | instid1(VALU_DEP_3)
	v_mul_f64_e32 v[54:55], v[60:61], v[54:55]
	v_cvt_f64_i32_e32 v[60:61], v40
	v_add_f64_e64 v[50:51], v[50:51], -v[52:53]
	s_delay_alu instid0(VALU_DEP_3) | instskip(NEXT) | instid1(VALU_DEP_3)
	v_add_f64_e32 v[56:57], v[58:59], v[54:55]
	v_mul_f64_e32 v[62:63], 0x3fe62e42fefa39ef, v[60:61]
	s_delay_alu instid0(VALU_DEP_3) | instskip(NEXT) | instid1(VALU_DEP_3)
	v_ldexp_f64 v[50:51], v[50:51], 1
	v_add_f64_e64 v[52:53], v[56:57], -v[58:59]
	s_delay_alu instid0(VALU_DEP_3) | instskip(NEXT) | instid1(VALU_DEP_2)
	v_fma_f64 v[58:59], v[60:61], s[12:13], -v[62:63]
	v_add_f64_e64 v[52:53], v[54:55], -v[52:53]
	s_delay_alu instid0(VALU_DEP_2) | instskip(NEXT) | instid1(VALU_DEP_2)
	v_fmac_f64_e32 v[58:59], 0x3c7abc9e3b39803f, v[60:61]
	v_add_f64_e32 v[50:51], v[50:51], v[52:53]
	s_delay_alu instid0(VALU_DEP_2) | instskip(NEXT) | instid1(VALU_DEP_2)
	v_add_f64_e32 v[52:53], v[62:63], v[58:59]
	v_add_f64_e32 v[54:55], v[56:57], v[50:51]
	s_delay_alu instid0(VALU_DEP_2) | instskip(NEXT) | instid1(VALU_DEP_2)
	v_add_f64_e64 v[62:63], v[52:53], -v[62:63]
	v_add_f64_e32 v[60:61], v[52:53], v[54:55]
	v_add_f64_e64 v[56:57], v[54:55], -v[56:57]
	s_delay_alu instid0(VALU_DEP_3) | instskip(NEXT) | instid1(VALU_DEP_3)
	v_add_f64_e64 v[58:59], v[58:59], -v[62:63]
	v_add_f64_e64 v[64:65], v[60:61], -v[52:53]
	s_delay_alu instid0(VALU_DEP_3) | instskip(NEXT) | instid1(VALU_DEP_2)
	v_add_f64_e64 v[50:51], v[50:51], -v[56:57]
	v_add_f64_e64 v[66:67], v[60:61], -v[64:65]
	;; [unrolled: 1-line block ×3, first 2 shown]
	s_delay_alu instid0(VALU_DEP_3) | instskip(NEXT) | instid1(VALU_DEP_3)
	v_add_f64_e32 v[56:57], v[58:59], v[50:51]
	v_add_f64_e64 v[52:53], v[52:53], -v[66:67]
	s_delay_alu instid0(VALU_DEP_1) | instskip(NEXT) | instid1(VALU_DEP_3)
	v_add_f64_e32 v[52:53], v[54:55], v[52:53]
	v_add_f64_e64 v[54:55], v[56:57], -v[58:59]
	s_delay_alu instid0(VALU_DEP_2) | instskip(NEXT) | instid1(VALU_DEP_2)
	v_add_f64_e32 v[52:53], v[56:57], v[52:53]
	v_add_f64_e64 v[56:57], v[56:57], -v[54:55]
	v_add_f64_e64 v[50:51], v[50:51], -v[54:55]
	s_delay_alu instid0(VALU_DEP_3) | instskip(NEXT) | instid1(VALU_DEP_3)
	v_add_f64_e32 v[62:63], v[60:61], v[52:53]
	v_add_f64_e64 v[54:55], v[58:59], -v[56:57]
	s_delay_alu instid0(VALU_DEP_2) | instskip(NEXT) | instid1(VALU_DEP_2)
	v_add_f64_e64 v[56:57], v[62:63], -v[60:61]
	v_add_f64_e32 v[50:51], v[50:51], v[54:55]
	v_fma_f64 v[54:55], |v[2:3]|, s[22:23], s[20:21]
	s_delay_alu instid0(VALU_DEP_3) | instskip(NEXT) | instid1(VALU_DEP_1)
	v_add_f64_e64 v[52:53], v[52:53], -v[56:57]
	v_add_f64_e32 v[50:51], v[50:51], v[52:53]
	s_delay_alu instid0(VALU_DEP_3) | instskip(NEXT) | instid1(VALU_DEP_2)
	v_fma_f64 v[52:53], |v[2:3]|, v[54:55], s[24:25]
	v_add_f64_e32 v[50:51], v[62:63], v[50:51]
	s_delay_alu instid0(VALU_DEP_2) | instskip(NEXT) | instid1(VALU_DEP_2)
	v_fma_f64 v[52:53], |v[2:3]|, v[52:53], s[26:27]
	v_xor_b32_e32 v40, 0x80000000, v51
	s_delay_alu instid0(VALU_DEP_2) | instskip(NEXT) | instid1(VALU_DEP_2)
	v_fma_f64 v[52:53], |v[2:3]|, v[52:53], s[28:29]
	v_cndmask_b32_e32 v40, 0xfff00000, v40, vcc_lo
	s_and_b32 vcc_lo, s0, vcc_lo
	v_cndmask_b32_e32 v50, 0, v50, vcc_lo
	s_delay_alu instid0(VALU_DEP_2) | instskip(NEXT) | instid1(VALU_DEP_1)
	v_cndmask_b32_e64 v51, 0x7ff00000, v40, s0
	v_fma_f64 v[50:51], |v[2:3]|, v[52:53], v[50:51]
.LBB12_258:                             ;   in Loop: Header=BB12_162 Depth=1
	s_or_b32 exec_lo, exec_lo, s1
	s_delay_alu instid0(SALU_CYCLE_1)
	s_mov_b32 s0, exec_lo
	v_cmpx_le_f64_e32 0, v[2:3]
	s_xor_b32 s1, exec_lo, s0
	s_cbranch_execz .LBB12_260
; %bb.259:                              ;   in Loop: Header=BB12_162 Depth=1
	v_cmp_eq_f64_e32 vcc_lo, 1.0, v[2:3]
	v_cmp_eq_f64_e64 s0, 2.0, v[2:3]
	s_or_b32 s0, vcc_lo, s0
	s_delay_alu instid0(SALU_CYCLE_1)
	v_cndmask_b32_e64 v51, v51, 0, s0
	v_cndmask_b32_e64 v50, v50, 0, s0
.LBB12_260:                             ;   in Loop: Header=BB12_162 Depth=1
	s_and_not1_saveexec_b32 s1, s1
	s_cbranch_execz .LBB12_264
; %bb.261:                              ;   in Loop: Header=BB12_162 Depth=1
	v_add_nc_u32_e32 v40, 0xc32fffff, v49
	s_mov_b32 s2, exec_lo
	s_delay_alu instid0(VALU_DEP_1)
	v_cmpx_gt_u32_e32 0x65fffff, v40
	s_cbranch_execz .LBB12_263
; %bb.262:                              ;   in Loop: Header=BB12_162 Depth=1
	v_mul_f64_e64 v[52:53], |v[2:3]|, 0.5
	v_and_b32_e32 v40, 0x7fffffff, v3
	v_cmp_class_f64_e64 s0, v[2:3], 0x1f8
	s_delay_alu instid0(VALU_DEP_3) | instskip(SKIP_1) | instid1(VALU_DEP_2)
	v_fract_f64_e32 v[54:55], v[52:53]
	v_cmp_neq_f64_e64 vcc_lo, 0x7ff00000, |v[52:53]|
	v_add_f64_e32 v[54:55], v[54:55], v[54:55]
	s_delay_alu instid0(VALU_DEP_1) | instskip(SKIP_1) | instid1(VALU_DEP_2)
	v_dual_cndmask_b32 v44, 0, v54, vcc_lo :: v_dual_cndmask_b32 v48, 0, v55, vcc_lo
	v_cmp_gt_f64_e64 vcc_lo, |v[2:3]|, 1.0
	v_cndmask_b32_e32 v53, v40, v48, vcc_lo
	s_delay_alu instid0(VALU_DEP_3) | instskip(NEXT) | instid1(VALU_DEP_1)
	v_cndmask_b32_e32 v52, v2, v44, vcc_lo
	v_add_f64_e32 v[54:55], v[52:53], v[52:53]
	s_delay_alu instid0(VALU_DEP_1) | instskip(NEXT) | instid1(VALU_DEP_1)
	v_rndne_f64_e32 v[54:55], v[54:55]
	v_cvt_i32_f64_e32 v40, v[54:55]
	v_fmac_f64_e32 v[52:53], -0.5, v[54:55]
	s_delay_alu instid0(VALU_DEP_2) | instskip(NEXT) | instid1(VALU_DEP_1)
	v_dual_lshlrev_b32 v40, 30, v40 :: v_dual_bitop2_b32 v44, 1, v40 bitop3:0x40
	v_cmp_eq_u32_e32 vcc_lo, 0, v44
	s_delay_alu instid0(VALU_DEP_3) | instskip(NEXT) | instid1(VALU_DEP_1)
	v_mul_f64_e32 v[56:57], v[52:53], v[52:53]
	v_fmamk_f64 v[58:59], v[56:57], 0x3f3e357ef99eb0bb, v[34:35]
	v_mul_f64_e32 v[60:61], v[52:53], v[56:57]
	v_fmamk_f64 v[62:63], v[56:57], 0xbf1b167302e21c33, v[36:37]
	s_delay_alu instid0(VALU_DEP_3) | instskip(NEXT) | instid1(VALU_DEP_2)
	v_fmaak_f64 v[58:59], v[56:57], v[58:59], 0x3fb50782d5f14825
	v_fmaak_f64 v[62:63], v[56:57], v[62:63], 0xbf9a6d1e7294bff9
	s_delay_alu instid0(VALU_DEP_2) | instskip(NEXT) | instid1(VALU_DEP_1)
	v_fmaak_f64 v[58:59], v[56:57], v[58:59], 0xbfe32d2ccdfe9424
	v_fmaak_f64 v[58:59], v[56:57], v[58:59], 0x400466bc67754fff
	s_delay_alu instid0(VALU_DEP_1) | instskip(NEXT) | instid1(VALU_DEP_1)
	v_fmaak_f64 v[58:59], v[56:57], v[58:59], 0xc014abbce625be09
	v_mul_f64_e32 v[58:59], v[60:61], v[58:59]
	v_fmaak_f64 v[60:61], v[56:57], v[62:63], 0x3fce1f5067b90b37
	s_delay_alu instid0(VALU_DEP_1) | instskip(NEXT) | instid1(VALU_DEP_1)
	v_fmaak_f64 v[60:61], v[56:57], v[60:61], 0xbff55d3c7e3c325b
	v_fmaak_f64 v[60:61], v[56:57], v[60:61], 0x40103c1f081b5a67
	s_delay_alu instid0(VALU_DEP_1) | instskip(NEXT) | instid1(VALU_DEP_1)
	v_fmaak_f64 v[60:61], v[56:57], v[60:61], 0xc013bd3cc9be45de
	v_fma_f64 v[54:55], v[56:57], v[60:61], 1.0
	v_fmac_f64_e32 v[58:59], 0x400921fb54442d18, v[52:53]
	s_delay_alu instid0(VALU_DEP_1) | instskip(NEXT) | instid1(VALU_DEP_1)
	v_dual_cndmask_b32 v44, v54, v58, vcc_lo :: v_dual_bitop2_b32 v40, v40, v3 bitop3:0x14
	v_dual_cndmask_b32 v48, v55, v59, vcc_lo :: v_dual_cndmask_b32 v52, 0, v44, s0
	s_delay_alu instid0(VALU_DEP_1) | instskip(NEXT) | instid1(VALU_DEP_1)
	v_bitop3_b32 v40, v48, v40, 0x80000000 bitop3:0x78
	v_cndmask_b32_e64 v53, 0x7ff80000, v40, s0
	v_cmp_class_f64_e64 s0, v[2:3], 0x204
	s_delay_alu instid0(VALU_DEP_2) | instskip(NEXT) | instid1(VALU_DEP_1)
	v_mul_f64_e32 v[52:53], v[2:3], v[52:53]
	v_and_b32_e32 v55, 0x7fffffff, v53
	s_delay_alu instid0(VALU_DEP_2) | instskip(NEXT) | instid1(VALU_DEP_1)
	v_mov_b32_e32 v54, v52
	v_div_scale_f64 v[56:57], null, v[54:55], v[54:55], s[30:31]
	v_div_scale_f64 v[54:55], vcc_lo, s[30:31], v[54:55], s[30:31]
	s_delay_alu instid0(VALU_DEP_2) | instskip(SKIP_1) | instid1(TRANS32_DEP_1)
	v_rcp_f64_e32 v[58:59], v[56:57]
	v_nop
	v_fma_f64 v[60:61], -v[56:57], v[58:59], 1.0
	s_delay_alu instid0(VALU_DEP_1) | instskip(NEXT) | instid1(VALU_DEP_1)
	v_fmac_f64_e32 v[58:59], v[58:59], v[60:61]
	v_fma_f64 v[60:61], -v[56:57], v[58:59], 1.0
	s_delay_alu instid0(VALU_DEP_1) | instskip(NEXT) | instid1(VALU_DEP_1)
	v_fmac_f64_e32 v[58:59], v[58:59], v[60:61]
	v_mul_f64_e32 v[60:61], v[54:55], v[58:59]
	s_delay_alu instid0(VALU_DEP_1) | instskip(NEXT) | instid1(VALU_DEP_1)
	v_fma_f64 v[54:55], -v[56:57], v[60:61], v[54:55]
	v_div_fmas_f64 v[54:55], v[54:55], v[58:59], v[60:61]
	s_delay_alu instid0(VALU_DEP_1) | instskip(NEXT) | instid1(VALU_DEP_1)
	v_div_fixup_f64 v[52:53], v[54:55], |v[52:53]|, s[30:31]
	v_frexp_mant_f64_e32 v[54:55], v[52:53]
	s_delay_alu instid0(VALU_DEP_1) | instskip(SKIP_1) | instid1(VALU_DEP_1)
	v_cmp_gt_f64_e32 vcc_lo, s[8:9], v[54:55]
	v_cndmask_b32_e64 v40, 0, 1, vcc_lo
	v_ldexp_f64 v[54:55], v[54:55], v40
	v_frexp_exp_i32_f64_e32 v40, v[52:53]
	s_delay_alu instid0(VALU_DEP_1) | instskip(SKIP_1) | instid1(VALU_DEP_4)
	v_subrev_co_ci_u32_e64 v40, null, 0, v40, vcc_lo
	v_cmp_class_f64_e64 vcc_lo, v[52:53], 0x204
	v_add_f64_e32 v[56:57], 1.0, v[54:55]
	v_add_f64_e32 v[62:63], -1.0, v[54:55]
	s_delay_alu instid0(VALU_DEP_2) | instskip(SKIP_1) | instid1(VALU_DEP_1)
	v_rcp_f64_e32 v[58:59], v[56:57]
	v_add_f64_e32 v[64:65], -1.0, v[56:57]
	v_add_f64_e64 v[54:55], v[54:55], -v[64:65]
	s_delay_alu instid0(TRANS32_DEP_1) | instskip(NEXT) | instid1(VALU_DEP_1)
	v_fma_f64 v[60:61], -v[56:57], v[58:59], 1.0
	v_fmac_f64_e32 v[58:59], v[60:61], v[58:59]
	s_delay_alu instid0(VALU_DEP_1) | instskip(NEXT) | instid1(VALU_DEP_1)
	v_fma_f64 v[60:61], -v[56:57], v[58:59], 1.0
	v_fmac_f64_e32 v[58:59], v[60:61], v[58:59]
	s_delay_alu instid0(VALU_DEP_1) | instskip(NEXT) | instid1(VALU_DEP_1)
	v_mul_f64_e32 v[60:61], v[62:63], v[58:59]
	v_mul_f64_e32 v[66:67], v[56:57], v[60:61]
	s_delay_alu instid0(VALU_DEP_1) | instskip(NEXT) | instid1(VALU_DEP_1)
	v_fma_f64 v[56:57], v[60:61], v[56:57], -v[66:67]
	v_fmac_f64_e32 v[56:57], v[60:61], v[54:55]
	s_delay_alu instid0(VALU_DEP_1) | instskip(NEXT) | instid1(VALU_DEP_1)
	v_add_f64_e32 v[54:55], v[66:67], v[56:57]
	v_add_f64_e64 v[64:65], v[62:63], -v[54:55]
	v_add_f64_e64 v[66:67], v[54:55], -v[66:67]
	s_delay_alu instid0(VALU_DEP_2) | instskip(NEXT) | instid1(VALU_DEP_2)
	v_add_f64_e64 v[62:63], v[62:63], -v[64:65]
	v_add_f64_e64 v[56:57], v[66:67], -v[56:57]
	s_delay_alu instid0(VALU_DEP_2) | instskip(NEXT) | instid1(VALU_DEP_1)
	v_add_f64_e64 v[54:55], v[62:63], -v[54:55]
	v_add_f64_e32 v[54:55], v[56:57], v[54:55]
	s_delay_alu instid0(VALU_DEP_1) | instskip(NEXT) | instid1(VALU_DEP_1)
	v_add_f64_e32 v[54:55], v[64:65], v[54:55]
	v_mul_f64_e32 v[54:55], v[58:59], v[54:55]
	s_delay_alu instid0(VALU_DEP_1) | instskip(NEXT) | instid1(VALU_DEP_1)
	v_add_f64_e32 v[56:57], v[60:61], v[54:55]
	v_mul_f64_e32 v[58:59], v[56:57], v[56:57]
	s_delay_alu instid0(VALU_DEP_1) | instskip(SKIP_1) | instid1(VALU_DEP_2)
	v_fmamk_f64 v[62:63], v[58:59], 0x3fc3ab76bf559e2b, v[12:13]
	v_mul_f64_e32 v[64:65], v[56:57], v[58:59]
	v_fmaak_f64 v[62:63], v[58:59], v[62:63], 0x3fc7474dd7f4df2e
	s_delay_alu instid0(VALU_DEP_1) | instskip(NEXT) | instid1(VALU_DEP_1)
	v_fmaak_f64 v[62:63], v[58:59], v[62:63], 0x3fcc71c016291751
	v_fmaak_f64 v[62:63], v[58:59], v[62:63], 0x3fd249249b27acf1
	s_delay_alu instid0(VALU_DEP_1) | instskip(NEXT) | instid1(VALU_DEP_1)
	v_fmaak_f64 v[62:63], v[58:59], v[62:63], 0x3fd99999998ef7b6
	v_fmaak_f64 v[58:59], v[58:59], v[62:63], 0x3fe5555555555780
	v_ldexp_f64 v[62:63], v[56:57], 1
	v_add_f64_e64 v[56:57], v[56:57], -v[60:61]
	s_delay_alu instid0(VALU_DEP_3) | instskip(SKIP_1) | instid1(VALU_DEP_3)
	v_mul_f64_e32 v[58:59], v[64:65], v[58:59]
	v_cvt_f64_i32_e32 v[64:65], v40
	v_add_f64_e64 v[54:55], v[54:55], -v[56:57]
	s_delay_alu instid0(VALU_DEP_3) | instskip(NEXT) | instid1(VALU_DEP_3)
	v_add_f64_e32 v[60:61], v[62:63], v[58:59]
	v_mul_f64_e32 v[66:67], 0x3fe62e42fefa39ef, v[64:65]
	s_delay_alu instid0(VALU_DEP_3) | instskip(NEXT) | instid1(VALU_DEP_3)
	v_ldexp_f64 v[54:55], v[54:55], 1
	v_add_f64_e64 v[56:57], v[60:61], -v[62:63]
	s_delay_alu instid0(VALU_DEP_3) | instskip(NEXT) | instid1(VALU_DEP_2)
	v_fma_f64 v[62:63], v[64:65], s[12:13], -v[66:67]
	v_add_f64_e64 v[56:57], v[58:59], -v[56:57]
	s_delay_alu instid0(VALU_DEP_2) | instskip(NEXT) | instid1(VALU_DEP_2)
	v_fmac_f64_e32 v[62:63], 0x3c7abc9e3b39803f, v[64:65]
	v_add_f64_e32 v[54:55], v[54:55], v[56:57]
	s_delay_alu instid0(VALU_DEP_2) | instskip(NEXT) | instid1(VALU_DEP_2)
	v_add_f64_e32 v[56:57], v[66:67], v[62:63]
	v_add_f64_e32 v[58:59], v[60:61], v[54:55]
	s_delay_alu instid0(VALU_DEP_2) | instskip(NEXT) | instid1(VALU_DEP_2)
	v_add_f64_e64 v[66:67], v[56:57], -v[66:67]
	v_add_f64_e32 v[64:65], v[56:57], v[58:59]
	v_add_f64_e64 v[60:61], v[58:59], -v[60:61]
	s_delay_alu instid0(VALU_DEP_3) | instskip(NEXT) | instid1(VALU_DEP_3)
	v_add_f64_e64 v[62:63], v[62:63], -v[66:67]
	v_add_f64_e64 v[68:69], v[64:65], -v[56:57]
	s_delay_alu instid0(VALU_DEP_3) | instskip(NEXT) | instid1(VALU_DEP_2)
	v_add_f64_e64 v[54:55], v[54:55], -v[60:61]
	v_add_f64_e64 v[70:71], v[64:65], -v[68:69]
	;; [unrolled: 1-line block ×3, first 2 shown]
	s_delay_alu instid0(VALU_DEP_3) | instskip(NEXT) | instid1(VALU_DEP_3)
	v_add_f64_e32 v[60:61], v[62:63], v[54:55]
	v_add_f64_e64 v[56:57], v[56:57], -v[70:71]
	s_delay_alu instid0(VALU_DEP_1) | instskip(NEXT) | instid1(VALU_DEP_3)
	v_add_f64_e32 v[56:57], v[58:59], v[56:57]
	v_add_f64_e64 v[58:59], v[60:61], -v[62:63]
	s_delay_alu instid0(VALU_DEP_2) | instskip(NEXT) | instid1(VALU_DEP_2)
	v_add_f64_e32 v[56:57], v[60:61], v[56:57]
	v_add_f64_e64 v[60:61], v[60:61], -v[58:59]
	v_add_f64_e64 v[54:55], v[54:55], -v[58:59]
	s_delay_alu instid0(VALU_DEP_3) | instskip(NEXT) | instid1(VALU_DEP_3)
	v_add_f64_e32 v[66:67], v[64:65], v[56:57]
	v_add_f64_e64 v[58:59], v[62:63], -v[60:61]
	s_delay_alu instid0(VALU_DEP_2) | instskip(NEXT) | instid1(VALU_DEP_2)
	v_add_f64_e64 v[60:61], v[66:67], -v[64:65]
	v_add_f64_e32 v[54:55], v[54:55], v[58:59]
	s_delay_alu instid0(VALU_DEP_2) | instskip(NEXT) | instid1(VALU_DEP_1)
	v_add_f64_e64 v[56:57], v[56:57], -v[60:61]
	v_add_f64_e32 v[54:55], v[54:55], v[56:57]
	s_delay_alu instid0(VALU_DEP_1) | instskip(NEXT) | instid1(VALU_DEP_1)
	v_add_f64_e32 v[54:55], v[66:67], v[54:55]
	v_dual_cndmask_b32 v40, v54, v52, vcc_lo :: v_dual_cndmask_b32 v44, v55, v53, vcc_lo
	v_cmp_neq_f64_e32 vcc_lo, 0, v[52:53]
	v_fract_f64_e32 v[52:53], v[2:3]
	s_delay_alu instid0(VALU_DEP_3) | instskip(NEXT) | instid1(VALU_DEP_4)
	v_cndmask_b32_e32 v55, 0xfff00000, v44, vcc_lo
	v_cndmask_b32_e32 v54, 0, v40, vcc_lo
	s_delay_alu instid0(VALU_DEP_3) | instskip(NEXT) | instid1(VALU_DEP_2)
	v_cmp_eq_f64_e32 vcc_lo, 0, v[52:53]
	v_add_f64_e64 v[50:51], v[54:55], -v[50:51]
	s_or_b32 s0, s0, vcc_lo
	s_delay_alu instid0(VALU_DEP_1) | instid1(SALU_CYCLE_1)
	v_cndmask_b32_e64 v51, v51, 0x7ff00000, s0
	s_delay_alu instid0(VALU_DEP_2)
	v_cndmask_b32_e64 v50, v50, 0, s0
.LBB12_263:                             ;   in Loop: Header=BB12_162 Depth=1
	s_or_b32 exec_lo, exec_lo, s2
.LBB12_264:                             ;   in Loop: Header=BB12_162 Depth=1
	s_delay_alu instid0(SALU_CYCLE_1) | instskip(SKIP_3) | instid1(VALU_DEP_2)
	s_or_b32 exec_lo, exec_lo, s1
	v_and_b32_e32 v53, 0x7fffffff, v5
	v_mov_b32_e32 v52, v4
                                        ; implicit-def: $vgpr54_vgpr55
	s_mov_b32 s0, exec_lo
	v_cmpx_lt_u32_e32 0x3f6fffff, v53
	s_xor_b32 s3, exec_lo, s0
	s_cbranch_execz .LBB12_290
; %bb.265:                              ;   in Loop: Header=BB12_162 Depth=1
                                        ; implicit-def: $vgpr54_vgpr55
	s_mov_b32 s0, exec_lo
	v_cmpx_lt_u32_e32 0x3fffffff, v53
	s_xor_b32 s1, exec_lo, s0
	s_cbranch_execz .LBB12_275
; %bb.266:                              ;   in Loop: Header=BB12_162 Depth=1
	;; [unrolled: 6-line block ×4, first 2 shown]
	v_frexp_mant_f64_e64 v[54:55], |v[4:5]|
	v_cmp_neq_f64_e64 s0, 0, v[4:5]
	s_delay_alu instid0(VALU_DEP_2) | instskip(SKIP_1) | instid1(VALU_DEP_1)
	v_cmp_gt_f64_e32 vcc_lo, s[8:9], v[54:55]
	v_cndmask_b32_e64 v40, 0, 1, vcc_lo
	v_ldexp_f64 v[54:55], v[54:55], v40
	v_frexp_exp_i32_f64_e32 v40, v[4:5]
	s_delay_alu instid0(VALU_DEP_2) | instskip(SKIP_1) | instid1(VALU_DEP_3)
	v_add_f64_e32 v[56:57], 1.0, v[54:55]
	v_add_f64_e32 v[62:63], -1.0, v[54:55]
	v_subrev_co_ci_u32_e64 v40, null, 0, v40, vcc_lo
	v_cmp_neq_f64_e64 vcc_lo, 0x7ff00000, |v[4:5]|
	s_delay_alu instid0(VALU_DEP_4) | instskip(SKIP_1) | instid1(VALU_DEP_1)
	v_rcp_f64_e32 v[58:59], v[56:57]
	v_add_f64_e32 v[64:65], -1.0, v[56:57]
	v_add_f64_e64 v[54:55], v[54:55], -v[64:65]
	s_delay_alu instid0(TRANS32_DEP_1) | instskip(NEXT) | instid1(VALU_DEP_1)
	v_fma_f64 v[60:61], -v[56:57], v[58:59], 1.0
	v_fmac_f64_e32 v[58:59], v[60:61], v[58:59]
	s_delay_alu instid0(VALU_DEP_1) | instskip(NEXT) | instid1(VALU_DEP_1)
	v_fma_f64 v[60:61], -v[56:57], v[58:59], 1.0
	v_fmac_f64_e32 v[58:59], v[60:61], v[58:59]
	s_delay_alu instid0(VALU_DEP_1) | instskip(NEXT) | instid1(VALU_DEP_1)
	v_mul_f64_e32 v[60:61], v[62:63], v[58:59]
	v_mul_f64_e32 v[66:67], v[56:57], v[60:61]
	s_delay_alu instid0(VALU_DEP_1) | instskip(NEXT) | instid1(VALU_DEP_1)
	v_fma_f64 v[56:57], v[60:61], v[56:57], -v[66:67]
	v_fmac_f64_e32 v[56:57], v[60:61], v[54:55]
	s_delay_alu instid0(VALU_DEP_1) | instskip(NEXT) | instid1(VALU_DEP_1)
	v_add_f64_e32 v[54:55], v[66:67], v[56:57]
	v_add_f64_e64 v[64:65], v[62:63], -v[54:55]
	v_add_f64_e64 v[66:67], v[54:55], -v[66:67]
	s_delay_alu instid0(VALU_DEP_2) | instskip(NEXT) | instid1(VALU_DEP_2)
	v_add_f64_e64 v[62:63], v[62:63], -v[64:65]
	v_add_f64_e64 v[56:57], v[66:67], -v[56:57]
	s_delay_alu instid0(VALU_DEP_2) | instskip(NEXT) | instid1(VALU_DEP_1)
	v_add_f64_e64 v[54:55], v[62:63], -v[54:55]
	v_add_f64_e32 v[54:55], v[56:57], v[54:55]
	s_delay_alu instid0(VALU_DEP_1) | instskip(NEXT) | instid1(VALU_DEP_1)
	v_add_f64_e32 v[54:55], v[64:65], v[54:55]
	v_mul_f64_e32 v[54:55], v[58:59], v[54:55]
	s_delay_alu instid0(VALU_DEP_1) | instskip(NEXT) | instid1(VALU_DEP_1)
	v_add_f64_e32 v[56:57], v[60:61], v[54:55]
	v_mul_f64_e32 v[58:59], v[56:57], v[56:57]
	s_delay_alu instid0(VALU_DEP_1) | instskip(SKIP_1) | instid1(VALU_DEP_2)
	v_fmamk_f64 v[62:63], v[58:59], 0x3fc3ab76bf559e2b, v[12:13]
	v_mul_f64_e32 v[64:65], v[56:57], v[58:59]
	v_fmaak_f64 v[62:63], v[58:59], v[62:63], 0x3fc7474dd7f4df2e
	s_delay_alu instid0(VALU_DEP_1) | instskip(NEXT) | instid1(VALU_DEP_1)
	v_fmaak_f64 v[62:63], v[58:59], v[62:63], 0x3fcc71c016291751
	v_fmaak_f64 v[62:63], v[58:59], v[62:63], 0x3fd249249b27acf1
	s_delay_alu instid0(VALU_DEP_1) | instskip(NEXT) | instid1(VALU_DEP_1)
	v_fmaak_f64 v[62:63], v[58:59], v[62:63], 0x3fd99999998ef7b6
	v_fmaak_f64 v[58:59], v[58:59], v[62:63], 0x3fe5555555555780
	v_ldexp_f64 v[62:63], v[56:57], 1
	v_add_f64_e64 v[56:57], v[56:57], -v[60:61]
	s_delay_alu instid0(VALU_DEP_3) | instskip(SKIP_1) | instid1(VALU_DEP_3)
	v_mul_f64_e32 v[58:59], v[64:65], v[58:59]
	v_cvt_f64_i32_e32 v[64:65], v40
	v_add_f64_e64 v[54:55], v[54:55], -v[56:57]
	s_delay_alu instid0(VALU_DEP_3) | instskip(NEXT) | instid1(VALU_DEP_3)
	v_add_f64_e32 v[60:61], v[62:63], v[58:59]
	v_mul_f64_e32 v[66:67], 0x3fe62e42fefa39ef, v[64:65]
	s_delay_alu instid0(VALU_DEP_3) | instskip(NEXT) | instid1(VALU_DEP_3)
	v_ldexp_f64 v[54:55], v[54:55], 1
	v_add_f64_e64 v[56:57], v[60:61], -v[62:63]
	s_delay_alu instid0(VALU_DEP_3) | instskip(NEXT) | instid1(VALU_DEP_2)
	v_fma_f64 v[62:63], v[64:65], s[12:13], -v[66:67]
	v_add_f64_e64 v[56:57], v[58:59], -v[56:57]
	s_delay_alu instid0(VALU_DEP_2) | instskip(NEXT) | instid1(VALU_DEP_2)
	v_fmac_f64_e32 v[62:63], 0x3c7abc9e3b39803f, v[64:65]
	v_add_f64_e32 v[54:55], v[54:55], v[56:57]
	s_delay_alu instid0(VALU_DEP_2) | instskip(NEXT) | instid1(VALU_DEP_2)
	v_add_f64_e32 v[56:57], v[66:67], v[62:63]
	v_add_f64_e32 v[58:59], v[60:61], v[54:55]
	s_delay_alu instid0(VALU_DEP_2) | instskip(NEXT) | instid1(VALU_DEP_2)
	v_add_f64_e64 v[66:67], v[56:57], -v[66:67]
	v_add_f64_e32 v[64:65], v[56:57], v[58:59]
	v_add_f64_e64 v[60:61], v[58:59], -v[60:61]
	s_delay_alu instid0(VALU_DEP_3) | instskip(NEXT) | instid1(VALU_DEP_3)
	v_add_f64_e64 v[62:63], v[62:63], -v[66:67]
	v_add_f64_e64 v[68:69], v[64:65], -v[56:57]
	s_delay_alu instid0(VALU_DEP_3) | instskip(NEXT) | instid1(VALU_DEP_2)
	v_add_f64_e64 v[54:55], v[54:55], -v[60:61]
	v_add_f64_e64 v[70:71], v[64:65], -v[68:69]
	;; [unrolled: 1-line block ×3, first 2 shown]
	s_delay_alu instid0(VALU_DEP_3) | instskip(NEXT) | instid1(VALU_DEP_3)
	v_add_f64_e32 v[60:61], v[62:63], v[54:55]
	v_add_f64_e64 v[56:57], v[56:57], -v[70:71]
	s_delay_alu instid0(VALU_DEP_1) | instskip(NEXT) | instid1(VALU_DEP_3)
	v_add_f64_e32 v[56:57], v[58:59], v[56:57]
	v_add_f64_e64 v[58:59], v[60:61], -v[62:63]
	s_delay_alu instid0(VALU_DEP_2) | instskip(NEXT) | instid1(VALU_DEP_2)
	v_add_f64_e32 v[56:57], v[60:61], v[56:57]
	v_add_f64_e64 v[60:61], v[60:61], -v[58:59]
	v_add_f64_e64 v[54:55], v[54:55], -v[58:59]
	s_delay_alu instid0(VALU_DEP_3) | instskip(NEXT) | instid1(VALU_DEP_3)
	v_add_f64_e32 v[66:67], v[64:65], v[56:57]
	v_add_f64_e64 v[58:59], v[62:63], -v[60:61]
	s_delay_alu instid0(VALU_DEP_2) | instskip(NEXT) | instid1(VALU_DEP_2)
	v_add_f64_e64 v[60:61], v[66:67], -v[64:65]
	v_add_f64_e32 v[54:55], v[54:55], v[58:59]
	s_delay_alu instid0(VALU_DEP_2) | instskip(NEXT) | instid1(VALU_DEP_1)
	v_add_f64_e64 v[56:57], v[56:57], -v[60:61]
	v_add_f64_e32 v[54:55], v[54:55], v[56:57]
	s_delay_alu instid0(VALU_DEP_1) | instskip(NEXT) | instid1(VALU_DEP_1)
	v_add_f64_e32 v[54:55], v[66:67], v[54:55]
	v_cndmask_b32_e32 v40, 0x7ff00000, v55, vcc_lo
	s_and_b32 vcc_lo, s0, vcc_lo
	s_delay_alu instid0(VALU_DEP_2) | instskip(NEXT) | instid1(VALU_DEP_2)
	v_cndmask_b32_e32 v54, 0, v54, vcc_lo
	v_cndmask_b32_e64 v55, 0xfff00000, v40, s0
	s_delay_alu instid0(VALU_DEP_1)
	v_fma_f64 v[54:55], |v[4:5]|, v[54:55], -|v[4:5]|
.LBB12_269:                             ;   in Loop: Header=BB12_162 Depth=1
	s_and_not1_saveexec_b32 s4, s4
	s_cbranch_execz .LBB12_271
; %bb.270:                              ;   in Loop: Header=BB12_162 Depth=1
	v_frexp_mant_f64_e64 v[54:55], |v[4:5]|
	v_and_b32_e32 v69, 0x7fffffff, v5
	v_cmp_neq_f64_e64 s0, 0, v[4:5]
	v_mov_b32_e32 v68, v4
	s_delay_alu instid0(VALU_DEP_1) | instskip(SKIP_1) | instid1(VALU_DEP_2)
	v_div_scale_f64 v[70:71], null, v[68:69], v[68:69], 1.0
	v_cmp_gt_f64_e32 vcc_lo, s[8:9], v[54:55]
	v_rcp_f64_e32 v[74:75], v[70:71]
	v_cndmask_b32_e64 v40, 0, 1, vcc_lo
	s_delay_alu instid0(VALU_DEP_1) | instskip(SKIP_1) | instid1(TRANS32_DEP_1)
	v_ldexp_f64 v[54:55], v[54:55], v40
	v_frexp_exp_i32_f64_e32 v40, v[4:5]
	v_fma_f64 v[78:79], -v[70:71], v[74:75], 1.0
	s_delay_alu instid0(VALU_DEP_3) | instskip(SKIP_1) | instid1(VALU_DEP_4)
	v_add_f64_e32 v[56:57], 1.0, v[54:55]
	v_add_f64_e32 v[62:63], -1.0, v[54:55]
	v_subrev_co_ci_u32_e64 v40, null, 0, v40, vcc_lo
	v_div_scale_f64 v[68:69], vcc_lo, 1.0, v[68:69], 1.0
	v_fmac_f64_e32 v[74:75], v[74:75], v[78:79]
	v_rcp_f64_e32 v[58:59], v[56:57]
	v_add_f64_e32 v[64:65], -1.0, v[56:57]
	s_delay_alu instid0(VALU_DEP_1) | instskip(NEXT) | instid1(TRANS32_DEP_1)
	v_add_f64_e64 v[54:55], v[54:55], -v[64:65]
	v_fma_f64 v[60:61], -v[56:57], v[58:59], 1.0
	s_delay_alu instid0(VALU_DEP_1) | instskip(NEXT) | instid1(VALU_DEP_1)
	v_fmac_f64_e32 v[58:59], v[60:61], v[58:59]
	v_fma_f64 v[60:61], -v[56:57], v[58:59], 1.0
	s_delay_alu instid0(VALU_DEP_1) | instskip(NEXT) | instid1(VALU_DEP_1)
	v_fmac_f64_e32 v[58:59], v[60:61], v[58:59]
	v_mul_f64_e32 v[60:61], v[62:63], v[58:59]
	s_delay_alu instid0(VALU_DEP_1) | instskip(NEXT) | instid1(VALU_DEP_1)
	v_mul_f64_e32 v[66:67], v[56:57], v[60:61]
	v_fma_f64 v[56:57], v[60:61], v[56:57], -v[66:67]
	s_delay_alu instid0(VALU_DEP_1) | instskip(NEXT) | instid1(VALU_DEP_1)
	v_fmac_f64_e32 v[56:57], v[60:61], v[54:55]
	v_add_f64_e32 v[54:55], v[66:67], v[56:57]
	s_delay_alu instid0(VALU_DEP_1) | instskip(SKIP_1) | instid1(VALU_DEP_2)
	v_add_f64_e64 v[64:65], v[62:63], -v[54:55]
	v_add_f64_e64 v[66:67], v[54:55], -v[66:67]
	;; [unrolled: 1-line block ×3, first 2 shown]
	s_delay_alu instid0(VALU_DEP_2) | instskip(NEXT) | instid1(VALU_DEP_2)
	v_add_f64_e64 v[56:57], v[66:67], -v[56:57]
	v_add_f64_e64 v[54:55], v[62:63], -v[54:55]
	s_delay_alu instid0(VALU_DEP_1) | instskip(NEXT) | instid1(VALU_DEP_1)
	v_add_f64_e32 v[54:55], v[56:57], v[54:55]
	v_add_f64_e32 v[54:55], v[64:65], v[54:55]
	s_delay_alu instid0(VALU_DEP_1) | instskip(NEXT) | instid1(VALU_DEP_1)
	v_mul_f64_e32 v[54:55], v[58:59], v[54:55]
	v_add_f64_e32 v[56:57], v[60:61], v[54:55]
	s_delay_alu instid0(VALU_DEP_1) | instskip(NEXT) | instid1(VALU_DEP_1)
	v_mul_f64_e32 v[58:59], v[56:57], v[56:57]
	v_fmamk_f64 v[62:63], v[58:59], 0x3fc3ab76bf559e2b, v[12:13]
	v_mul_f64_e32 v[64:65], v[56:57], v[58:59]
	s_delay_alu instid0(VALU_DEP_2) | instskip(NEXT) | instid1(VALU_DEP_1)
	v_fmaak_f64 v[62:63], v[58:59], v[62:63], 0x3fc7474dd7f4df2e
	v_fmaak_f64 v[62:63], v[58:59], v[62:63], 0x3fcc71c016291751
	s_delay_alu instid0(VALU_DEP_1) | instskip(NEXT) | instid1(VALU_DEP_1)
	v_fmaak_f64 v[62:63], v[58:59], v[62:63], 0x3fd249249b27acf1
	v_fmaak_f64 v[62:63], v[58:59], v[62:63], 0x3fd99999998ef7b6
	s_delay_alu instid0(VALU_DEP_1) | instskip(SKIP_2) | instid1(VALU_DEP_3)
	v_fmaak_f64 v[58:59], v[58:59], v[62:63], 0x3fe5555555555780
	v_ldexp_f64 v[62:63], v[56:57], 1
	v_add_f64_e64 v[56:57], v[56:57], -v[60:61]
	v_mul_f64_e32 v[58:59], v[64:65], v[58:59]
	v_cvt_f64_i32_e32 v[64:65], v40
	s_delay_alu instid0(VALU_DEP_3) | instskip(NEXT) | instid1(VALU_DEP_3)
	v_add_f64_e64 v[54:55], v[54:55], -v[56:57]
	v_add_f64_e32 v[60:61], v[62:63], v[58:59]
	s_delay_alu instid0(VALU_DEP_3) | instskip(NEXT) | instid1(VALU_DEP_3)
	v_mul_f64_e32 v[66:67], 0x3fe62e42fefa39ef, v[64:65]
	v_ldexp_f64 v[54:55], v[54:55], 1
	s_delay_alu instid0(VALU_DEP_3) | instskip(NEXT) | instid1(VALU_DEP_3)
	v_add_f64_e64 v[56:57], v[60:61], -v[62:63]
	v_fma_f64 v[62:63], v[64:65], s[12:13], -v[66:67]
	s_delay_alu instid0(VALU_DEP_2) | instskip(NEXT) | instid1(VALU_DEP_2)
	v_add_f64_e64 v[56:57], v[58:59], -v[56:57]
	v_fmac_f64_e32 v[62:63], 0x3c7abc9e3b39803f, v[64:65]
	s_delay_alu instid0(VALU_DEP_2) | instskip(NEXT) | instid1(VALU_DEP_2)
	v_add_f64_e32 v[54:55], v[54:55], v[56:57]
	v_add_f64_e32 v[56:57], v[66:67], v[62:63]
	s_delay_alu instid0(VALU_DEP_2) | instskip(NEXT) | instid1(VALU_DEP_2)
	v_add_f64_e32 v[58:59], v[60:61], v[54:55]
	v_add_f64_e64 v[66:67], v[56:57], -v[66:67]
	s_delay_alu instid0(VALU_DEP_2) | instskip(SKIP_1) | instid1(VALU_DEP_3)
	v_add_f64_e32 v[64:65], v[56:57], v[58:59]
	v_add_f64_e64 v[60:61], v[58:59], -v[60:61]
	v_add_f64_e64 v[62:63], v[62:63], -v[66:67]
	s_delay_alu instid0(VALU_DEP_3) | instskip(NEXT) | instid1(VALU_DEP_3)
	v_add_f64_e64 v[72:73], v[64:65], -v[56:57]
	v_add_f64_e64 v[54:55], v[54:55], -v[60:61]
	s_delay_alu instid0(VALU_DEP_2) | instskip(SKIP_1) | instid1(VALU_DEP_3)
	v_add_f64_e64 v[76:77], v[64:65], -v[72:73]
	v_add_f64_e64 v[58:59], v[58:59], -v[72:73]
	v_add_f64_e32 v[60:61], v[62:63], v[54:55]
	s_delay_alu instid0(VALU_DEP_3) | instskip(NEXT) | instid1(VALU_DEP_2)
	v_add_f64_e64 v[56:57], v[56:57], -v[76:77]
	v_add_f64_e64 v[66:67], v[60:61], -v[62:63]
	s_delay_alu instid0(VALU_DEP_2) | instskip(SKIP_1) | instid1(VALU_DEP_3)
	v_add_f64_e32 v[56:57], v[58:59], v[56:57]
	v_fma_f64 v[58:59], -v[70:71], v[74:75], 1.0
	v_add_f64_e64 v[54:55], v[54:55], -v[66:67]
	s_delay_alu instid0(VALU_DEP_3) | instskip(NEXT) | instid1(VALU_DEP_3)
	v_add_f64_e32 v[56:57], v[60:61], v[56:57]
	v_fmac_f64_e32 v[74:75], v[74:75], v[58:59]
	v_add_f64_e64 v[58:59], v[60:61], -v[66:67]
	s_delay_alu instid0(VALU_DEP_3) | instskip(NEXT) | instid1(VALU_DEP_3)
	v_add_f64_e32 v[60:61], v[64:65], v[56:57]
	v_mul_f64_e32 v[72:73], v[68:69], v[74:75]
	s_delay_alu instid0(VALU_DEP_3) | instskip(NEXT) | instid1(VALU_DEP_3)
	v_add_f64_e64 v[58:59], v[62:63], -v[58:59]
	v_add_f64_e64 v[62:63], v[60:61], -v[64:65]
	s_delay_alu instid0(VALU_DEP_3) | instskip(NEXT) | instid1(VALU_DEP_3)
	v_fma_f64 v[64:65], -v[70:71], v[72:73], v[68:69]
	v_add_f64_e32 v[54:55], v[54:55], v[58:59]
	s_delay_alu instid0(VALU_DEP_3) | instskip(NEXT) | instid1(VALU_DEP_3)
	v_add_f64_e64 v[56:57], v[56:57], -v[62:63]
	v_div_fmas_f64 v[58:59], v[64:65], v[74:75], v[72:73]
	v_cmp_neq_f64_e64 vcc_lo, 0x7ff00000, |v[4:5]|
	v_add_f64_e64 v[62:63], |v[4:5]|, -0.5
	s_delay_alu instid0(VALU_DEP_4) | instskip(NEXT) | instid1(VALU_DEP_4)
	v_add_f64_e32 v[54:55], v[54:55], v[56:57]
	v_div_fixup_f64 v[56:57], v[58:59], |v[4:5]|, 1.0
	s_delay_alu instid0(VALU_DEP_2) | instskip(NEXT) | instid1(VALU_DEP_2)
	v_add_f64_e32 v[54:55], v[60:61], v[54:55]
	v_mul_f64_e32 v[58:59], v[56:57], v[56:57]
	s_delay_alu instid0(VALU_DEP_2) | instskip(NEXT) | instid1(VALU_DEP_2)
	v_add_f64_e32 v[60:61], -1.0, v[54:55]
	v_fmamk_f64 v[54:55], v[58:59], 0xbf5ab89d0b9e43e4, v[14:15]
	s_delay_alu instid0(VALU_DEP_1) | instskip(NEXT) | instid1(VALU_DEP_1)
	v_fmaak_f64 v[54:55], v[58:59], v[54:55], 0xbf4380cb8c0fe741
	v_fmaak_f64 v[54:55], v[58:59], v[54:55], 0x3f4a019f98cf38b6
	s_delay_alu instid0(VALU_DEP_1) | instskip(NEXT) | instid1(VALU_DEP_1)
	v_fmaak_f64 v[54:55], v[58:59], v[54:55], 0xbf66c16c16b02e5c
	v_fmaak_f64 v[54:55], v[58:59], v[54:55], 0x3fb555555555553b
	v_cndmask_b32_e32 v40, 0x7ff00000, v61, vcc_lo
	s_and_b32 vcc_lo, s0, vcc_lo
	s_delay_alu instid0(VALU_DEP_2) | instskip(NEXT) | instid1(VALU_DEP_2)
	v_fmaak_f64 v[54:55], v[56:57], v[54:55], 0x3fdacfe390c97d69
	v_cndmask_b32_e64 v57, 0xfff00000, v40, s0
	v_cndmask_b32_e32 v56, 0, v60, vcc_lo
	s_delay_alu instid0(VALU_DEP_1)
	v_fmac_f64_e32 v[54:55], v[62:63], v[56:57]
.LBB12_271:                             ;   in Loop: Header=BB12_162 Depth=1
	s_or_b32 exec_lo, exec_lo, s4
.LBB12_272:                             ;   in Loop: Header=BB12_162 Depth=1
	s_and_not1_saveexec_b32 s2, s2
	s_cbranch_execz .LBB12_274
; %bb.273:                              ;   in Loop: Header=BB12_162 Depth=1
	v_cvt_i32_f64_e32 v40, v[52:53]
	s_delay_alu instid0(VALU_DEP_1) | instskip(SKIP_2) | instid1(VALU_DEP_3)
	v_cvt_f64_i32_e32 v[54:55], v40
	v_cmp_lt_i32_e32 vcc_lo, 2, v40
	v_cmp_lt_i32_e64 s0, 3, v40
	v_add_f64_e64 v[54:55], |v[4:5]|, -v[54:55]
	s_delay_alu instid0(VALU_DEP_1) | instskip(SKIP_2) | instid1(VALU_DEP_2)
	v_add_f64_e32 v[60:61], 4.0, v[54:55]
	v_add_f64_e32 v[56:57], 2.0, v[54:55]
	v_add_f64_e32 v[58:59], 0x40080000, v[54:55]
	v_cndmask_b32_e32 v57, 0x3ff00000, v57, vcc_lo
	s_delay_alu instid0(VALU_DEP_3) | instskip(SKIP_1) | instid1(VALU_DEP_4)
	v_cndmask_b32_e32 v56, 0, v56, vcc_lo
	v_cmp_lt_i32_e32 vcc_lo, 4, v40
	v_cndmask_b32_e64 v59, 0x3ff00000, v59, s0
	v_cndmask_b32_e32 v61, 0x3ff00000, v61, vcc_lo
	v_dual_cndmask_b32 v60, 0, v60, vcc_lo :: v_dual_cndmask_b32 v58, 0, v58, s0
	v_cmp_lt_i32_e32 vcc_lo, 5, v40
	s_delay_alu instid0(VALU_DEP_2) | instskip(SKIP_1) | instid1(VALU_DEP_2)
	v_mul_f64_e32 v[56:57], v[56:57], v[58:59]
	v_add_f64_e32 v[58:59], 0x40140000, v[54:55]
	v_mul_f64_e32 v[56:57], v[60:61], v[56:57]
	v_add_f64_e32 v[60:61], 0x40180000, v[54:55]
	s_delay_alu instid0(VALU_DEP_3) | instskip(NEXT) | instid1(VALU_DEP_4)
	v_cndmask_b32_e32 v59, 0x3ff00000, v59, vcc_lo
	v_cndmask_b32_e32 v58, 0, v58, vcc_lo
	v_cmp_lt_i32_e32 vcc_lo, 6, v40
	s_delay_alu instid0(VALU_DEP_2) | instskip(SKIP_2) | instid1(VALU_DEP_1)
	v_mul_f64_e32 v[56:57], v[58:59], v[56:57]
	v_cndmask_b32_e32 v59, 0x3ff00000, v61, vcc_lo
	v_cndmask_b32_e32 v58, 0, v60, vcc_lo
	v_mul_f64_e32 v[56:57], v[58:59], v[56:57]
	s_delay_alu instid0(VALU_DEP_1) | instskip(NEXT) | instid1(VALU_DEP_1)
	v_frexp_mant_f64_e32 v[58:59], v[56:57]
	v_cmp_gt_f64_e32 vcc_lo, s[8:9], v[58:59]
	v_cndmask_b32_e64 v40, 0, 1, vcc_lo
	s_delay_alu instid0(VALU_DEP_1) | instskip(SKIP_1) | instid1(VALU_DEP_2)
	v_ldexp_f64 v[58:59], v[58:59], v40
	v_frexp_exp_i32_f64_e32 v40, v[56:57]
	v_add_f64_e32 v[60:61], 1.0, v[58:59]
	v_add_f64_e32 v[66:67], -1.0, v[58:59]
	s_delay_alu instid0(VALU_DEP_3) | instskip(NEXT) | instid1(VALU_DEP_3)
	v_subrev_co_ci_u32_e64 v40, null, 0, v40, vcc_lo
	v_rcp_f64_e32 v[62:63], v[60:61]
	v_add_f64_e32 v[68:69], -1.0, v[60:61]
	s_delay_alu instid0(VALU_DEP_1) | instskip(NEXT) | instid1(TRANS32_DEP_1)
	v_add_f64_e64 v[58:59], v[58:59], -v[68:69]
	v_fma_f64 v[64:65], -v[60:61], v[62:63], 1.0
	s_delay_alu instid0(VALU_DEP_1) | instskip(NEXT) | instid1(VALU_DEP_1)
	v_fmac_f64_e32 v[62:63], v[64:65], v[62:63]
	v_fma_f64 v[64:65], -v[60:61], v[62:63], 1.0
	s_delay_alu instid0(VALU_DEP_1) | instskip(NEXT) | instid1(VALU_DEP_1)
	v_fmac_f64_e32 v[62:63], v[64:65], v[62:63]
	v_mul_f64_e32 v[64:65], v[66:67], v[62:63]
	s_delay_alu instid0(VALU_DEP_1) | instskip(NEXT) | instid1(VALU_DEP_1)
	v_mul_f64_e32 v[70:71], v[60:61], v[64:65]
	v_fma_f64 v[60:61], v[64:65], v[60:61], -v[70:71]
	s_delay_alu instid0(VALU_DEP_1) | instskip(NEXT) | instid1(VALU_DEP_1)
	v_fmac_f64_e32 v[60:61], v[64:65], v[58:59]
	v_add_f64_e32 v[58:59], v[70:71], v[60:61]
	s_delay_alu instid0(VALU_DEP_1) | instskip(SKIP_1) | instid1(VALU_DEP_2)
	v_add_f64_e64 v[68:69], v[66:67], -v[58:59]
	v_add_f64_e64 v[70:71], v[58:59], -v[70:71]
	;; [unrolled: 1-line block ×3, first 2 shown]
	s_delay_alu instid0(VALU_DEP_2) | instskip(NEXT) | instid1(VALU_DEP_2)
	v_add_f64_e64 v[60:61], v[70:71], -v[60:61]
	v_add_f64_e64 v[58:59], v[66:67], -v[58:59]
	s_delay_alu instid0(VALU_DEP_1) | instskip(NEXT) | instid1(VALU_DEP_1)
	v_add_f64_e32 v[58:59], v[60:61], v[58:59]
	v_add_f64_e32 v[58:59], v[68:69], v[58:59]
	s_delay_alu instid0(VALU_DEP_1) | instskip(NEXT) | instid1(VALU_DEP_1)
	v_mul_f64_e32 v[58:59], v[62:63], v[58:59]
	v_add_f64_e32 v[60:61], v[64:65], v[58:59]
	s_delay_alu instid0(VALU_DEP_1) | instskip(NEXT) | instid1(VALU_DEP_1)
	v_mul_f64_e32 v[62:63], v[60:61], v[60:61]
	v_fmamk_f64 v[66:67], v[62:63], 0x3fc3ab76bf559e2b, v[12:13]
	v_mul_f64_e32 v[68:69], v[60:61], v[62:63]
	s_delay_alu instid0(VALU_DEP_2) | instskip(NEXT) | instid1(VALU_DEP_1)
	v_fmaak_f64 v[66:67], v[62:63], v[66:67], 0x3fc7474dd7f4df2e
	v_fmaak_f64 v[66:67], v[62:63], v[66:67], 0x3fcc71c016291751
	s_delay_alu instid0(VALU_DEP_1) | instskip(NEXT) | instid1(VALU_DEP_1)
	v_fmaak_f64 v[66:67], v[62:63], v[66:67], 0x3fd249249b27acf1
	v_fmaak_f64 v[66:67], v[62:63], v[66:67], 0x3fd99999998ef7b6
	s_delay_alu instid0(VALU_DEP_1) | instskip(SKIP_2) | instid1(VALU_DEP_3)
	v_fmaak_f64 v[62:63], v[62:63], v[66:67], 0x3fe5555555555780
	v_ldexp_f64 v[66:67], v[60:61], 1
	v_add_f64_e64 v[60:61], v[60:61], -v[64:65]
	v_mul_f64_e32 v[62:63], v[68:69], v[62:63]
	v_cvt_f64_i32_e32 v[68:69], v40
	s_delay_alu instid0(VALU_DEP_3) | instskip(NEXT) | instid1(VALU_DEP_3)
	v_add_f64_e64 v[58:59], v[58:59], -v[60:61]
	v_add_f64_e32 v[64:65], v[66:67], v[62:63]
	s_delay_alu instid0(VALU_DEP_3) | instskip(NEXT) | instid1(VALU_DEP_3)
	v_mul_f64_e32 v[70:71], 0x3fe62e42fefa39ef, v[68:69]
	v_ldexp_f64 v[58:59], v[58:59], 1
	s_delay_alu instid0(VALU_DEP_3) | instskip(NEXT) | instid1(VALU_DEP_3)
	v_add_f64_e64 v[60:61], v[64:65], -v[66:67]
	v_fma_f64 v[66:67], v[68:69], s[12:13], -v[70:71]
	s_delay_alu instid0(VALU_DEP_2) | instskip(NEXT) | instid1(VALU_DEP_2)
	v_add_f64_e64 v[60:61], v[62:63], -v[60:61]
	v_fmac_f64_e32 v[66:67], 0x3c7abc9e3b39803f, v[68:69]
	v_fmamk_f64 v[62:63], v[54:55], 0x3f00bfecdd17e945, v[16:17]
	s_delay_alu instid0(VALU_DEP_1) | instskip(NEXT) | instid1(VALU_DEP_1)
	v_fmaak_f64 v[62:63], v[54:55], v[62:63], 0x3f9b481c7e939961
	v_fmaak_f64 v[62:63], v[54:55], v[62:63], 0x3fc2bb9cbee5f2f7
	s_delay_alu instid0(VALU_DEP_1) | instskip(NEXT) | instid1(VALU_DEP_1)
	v_fmaak_f64 v[62:63], v[54:55], v[62:63], 0x3fd4d98f4f139f59
	v_fmaak_f64 v[62:63], v[54:55], v[62:63], 0x3fcb848b36e20878
	v_add_f64_e32 v[58:59], v[58:59], v[60:61]
	v_fmamk_f64 v[60:61], v[54:55], 0x3edebaf7a5b38140, v[18:19]
	v_add_f64_e32 v[68:69], v[70:71], v[66:67]
	s_delay_alu instid0(VALU_DEP_4) | instskip(NEXT) | instid1(VALU_DEP_3)
	v_fmaak_f64 v[62:63], v[54:55], v[62:63], 0xbfb3c467e37db0c8
	v_fmaak_f64 v[60:61], v[54:55], v[60:61], 0x3f9317ea742ed475
	s_delay_alu instid0(VALU_DEP_2) | instskip(NEXT) | instid1(VALU_DEP_2)
	v_mul_f64_e32 v[62:63], v[54:55], v[62:63]
	v_fmaak_f64 v[60:61], v[54:55], v[60:61], 0x3fc601edccfbdf27
	s_delay_alu instid0(VALU_DEP_1) | instskip(NEXT) | instid1(VALU_DEP_1)
	v_fmaak_f64 v[60:61], v[54:55], v[60:61], 0x3fe71a1893d3dcdc
	v_fmaak_f64 v[60:61], v[54:55], v[60:61], 0x3ff645a762c4ab74
	v_add_f64_e32 v[72:73], v[64:65], v[58:59]
	v_add_f64_e64 v[70:71], v[68:69], -v[70:71]
	s_delay_alu instid0(VALU_DEP_3) | instskip(NEXT) | instid1(VALU_DEP_3)
	v_fma_f64 v[60:61], v[54:55], v[60:61], 1.0
	v_add_f64_e32 v[74:75], v[68:69], v[72:73]
	v_add_f64_e64 v[64:65], v[72:73], -v[64:65]
	s_delay_alu instid0(VALU_DEP_4) | instskip(NEXT) | instid1(VALU_DEP_4)
	v_add_f64_e64 v[66:67], v[66:67], -v[70:71]
	v_div_scale_f64 v[76:77], null, v[60:61], v[60:61], v[62:63]
	s_delay_alu instid0(VALU_DEP_4) | instskip(NEXT) | instid1(VALU_DEP_4)
	v_add_f64_e64 v[78:79], v[74:75], -v[68:69]
	v_add_f64_e64 v[58:59], v[58:59], -v[64:65]
	s_delay_alu instid0(VALU_DEP_3) | instskip(NEXT) | instid1(VALU_DEP_2)
	v_rcp_f64_e32 v[80:81], v[76:77]
	v_add_f64_e64 v[82:83], v[74:75], -v[78:79]
	v_add_f64_e64 v[64:65], v[72:73], -v[78:79]
	s_delay_alu instid0(VALU_DEP_3) | instskip(SKIP_1) | instid1(TRANS32_DEP_1)
	v_add_f64_e32 v[70:71], v[66:67], v[58:59]
	v_div_scale_f64 v[78:79], vcc_lo, v[62:63], v[60:61], v[62:63]
	v_fma_f64 v[84:85], -v[76:77], v[80:81], 1.0
	v_add_f64_e64 v[68:69], v[68:69], -v[82:83]
	s_delay_alu instid0(VALU_DEP_4) | instskip(NEXT) | instid1(VALU_DEP_3)
	v_add_f64_e64 v[72:73], v[70:71], -v[66:67]
	v_fmac_f64_e32 v[80:81], v[80:81], v[84:85]
	s_delay_alu instid0(VALU_DEP_3) | instskip(NEXT) | instid1(VALU_DEP_3)
	v_add_f64_e32 v[64:65], v[64:65], v[68:69]
	v_add_f64_e64 v[58:59], v[58:59], -v[72:73]
	s_delay_alu instid0(VALU_DEP_3) | instskip(NEXT) | instid1(VALU_DEP_3)
	v_fma_f64 v[68:69], -v[76:77], v[80:81], 1.0
	v_add_f64_e32 v[64:65], v[70:71], v[64:65]
	s_delay_alu instid0(VALU_DEP_2) | instskip(SKIP_1) | instid1(VALU_DEP_3)
	v_fmac_f64_e32 v[80:81], v[80:81], v[68:69]
	v_add_f64_e64 v[68:69], v[70:71], -v[72:73]
	v_add_f64_e32 v[70:71], v[74:75], v[64:65]
	s_delay_alu instid0(VALU_DEP_3) | instskip(NEXT) | instid1(VALU_DEP_3)
	v_mul_f64_e32 v[82:83], v[78:79], v[80:81]
	v_add_f64_e64 v[66:67], v[66:67], -v[68:69]
	s_delay_alu instid0(VALU_DEP_3) | instskip(NEXT) | instid1(VALU_DEP_3)
	v_add_f64_e64 v[68:69], v[70:71], -v[74:75]
	v_fma_f64 v[72:73], -v[76:77], v[82:83], v[78:79]
	s_delay_alu instid0(VALU_DEP_3) | instskip(NEXT) | instid1(VALU_DEP_3)
	v_add_f64_e32 v[58:59], v[58:59], v[66:67]
	v_add_f64_e64 v[64:65], v[64:65], -v[68:69]
	s_delay_alu instid0(VALU_DEP_3) | instskip(SKIP_1) | instid1(VALU_DEP_3)
	v_div_fmas_f64 v[66:67], v[72:73], v[80:81], v[82:83]
	v_cmp_class_f64_e64 vcc_lo, v[56:57], 0x204
	v_add_f64_e32 v[58:59], v[58:59], v[64:65]
	s_delay_alu instid0(VALU_DEP_3) | instskip(NEXT) | instid1(VALU_DEP_2)
	v_div_fixup_f64 v[60:61], v[66:67], v[60:61], v[62:63]
	v_add_f64_e32 v[58:59], v[70:71], v[58:59]
	s_delay_alu instid0(VALU_DEP_2) | instskip(NEXT) | instid1(VALU_DEP_2)
	v_fmac_f64_e32 v[60:61], 0.5, v[54:55]
	v_dual_cndmask_b32 v40, v58, v56, vcc_lo :: v_dual_cndmask_b32 v44, v59, v57, vcc_lo
	v_cmp_ngt_f64_e32 vcc_lo, 0, v[56:57]
	s_delay_alu instid0(VALU_DEP_2) | instskip(SKIP_1) | instid1(VALU_DEP_4)
	v_cndmask_b32_e32 v44, 0x7ff80000, v44, vcc_lo
	v_cmp_nge_f64_e32 vcc_lo, 0, v[56:57]
	v_cndmask_b32_e32 v54, 0, v40, vcc_lo
	v_cmp_neq_f64_e32 vcc_lo, 0, v[56:57]
	s_delay_alu instid0(VALU_DEP_4) | instskip(NEXT) | instid1(VALU_DEP_1)
	v_cndmask_b32_e32 v55, 0xfff00000, v44, vcc_lo
	v_add_f64_e32 v[54:55], v[60:61], v[54:55]
.LBB12_274:                             ;   in Loop: Header=BB12_162 Depth=1
	s_or_b32 exec_lo, exec_lo, s2
.LBB12_275:                             ;   in Loop: Header=BB12_162 Depth=1
	s_and_not1_saveexec_b32 s4, s1
	s_cbranch_execz .LBB12_289
; %bb.276:                              ;   in Loop: Header=BB12_162 Depth=1
                                        ; implicit-def: $vgpr40
                                        ; implicit-def: $vgpr56_vgpr57
	s_mov_b32 s0, exec_lo
	v_cmpx_lt_u32_e32 0x3feccccc, v53
	s_xor_b32 s1, exec_lo, s0
	s_cbranch_execz .LBB12_278
; %bb.277:                              ;   in Loop: Header=BB12_162 Depth=1
	v_add_f64_e64 v[54:55], -|v[4:5]|, 2.0
	v_add_f64_e64 v[56:57], |v[4:5]|, s[14:15]
	v_add_f64_e64 v[58:59], |v[4:5]|, -1.0
	v_cmp_gt_u32_e32 vcc_lo, 0x3ffbb4c3, v53
	v_cmp_gt_u32_e64 s0, 0x3ff3b4c4, v53
	v_cndmask_b32_e64 v48, 0, 1, vcc_lo
	v_dual_cndmask_b32 v40, v54, v56, vcc_lo :: v_dual_cndmask_b32 v44, v55, v57, vcc_lo
	s_delay_alu instid0(VALU_DEP_1) | instskip(NEXT) | instid1(VALU_DEP_2)
	v_cndmask_b32_e64 v56, v40, v58, s0
	v_cndmask_b32_e64 v57, v44, v59, s0
	s_delay_alu instid0(VALU_DEP_4)
	v_cndmask_b32_e64 v40, v48, 2, s0
.LBB12_278:                             ;   in Loop: Header=BB12_162 Depth=1
	s_or_saveexec_b32 s5, s1
	v_mov_b64_e32 v[54:55], 0
	s_xor_b32 exec_lo, exec_lo, s5
	s_cbranch_execz .LBB12_280
; %bb.279:                              ;   in Loop: Header=BB12_162 Depth=1
	v_frexp_mant_f64_e64 v[54:55], |v[4:5]|
	v_and_b32_e32 v44, 0x7fffffff, v5
	v_cmp_gt_u32_e64 s2, 0x3fcda661, v53
	v_cmp_gt_u32_e64 s1, 0x3fe76944, v53
	v_cmp_neq_f64_e64 s0, 0, v[4:5]
	v_cmp_gt_f64_e32 vcc_lo, s[8:9], v[54:55]
	v_cndmask_b32_e64 v40, 0, 1, vcc_lo
	s_delay_alu instid0(VALU_DEP_1) | instskip(SKIP_1) | instid1(VALU_DEP_2)
	v_ldexp_f64 v[54:55], v[54:55], v40
	v_frexp_exp_i32_f64_e32 v40, v[4:5]
	v_add_f64_e32 v[56:57], 1.0, v[54:55]
	v_add_f64_e32 v[62:63], -1.0, v[54:55]
	s_delay_alu instid0(VALU_DEP_3) | instskip(SKIP_1) | instid1(VALU_DEP_4)
	v_subrev_co_ci_u32_e64 v40, null, 0, v40, vcc_lo
	v_cmp_neq_f64_e64 vcc_lo, 0x7ff00000, |v[4:5]|
	v_rcp_f64_e32 v[58:59], v[56:57]
	v_add_f64_e32 v[64:65], -1.0, v[56:57]
	s_delay_alu instid0(VALU_DEP_1) | instskip(NEXT) | instid1(TRANS32_DEP_1)
	v_add_f64_e64 v[54:55], v[54:55], -v[64:65]
	v_fma_f64 v[60:61], -v[56:57], v[58:59], 1.0
	s_delay_alu instid0(VALU_DEP_1) | instskip(NEXT) | instid1(VALU_DEP_1)
	v_fmac_f64_e32 v[58:59], v[60:61], v[58:59]
	v_fma_f64 v[60:61], -v[56:57], v[58:59], 1.0
	s_delay_alu instid0(VALU_DEP_1) | instskip(NEXT) | instid1(VALU_DEP_1)
	v_fmac_f64_e32 v[58:59], v[60:61], v[58:59]
	v_mul_f64_e32 v[60:61], v[62:63], v[58:59]
	s_delay_alu instid0(VALU_DEP_1) | instskip(NEXT) | instid1(VALU_DEP_1)
	v_mul_f64_e32 v[66:67], v[56:57], v[60:61]
	v_fma_f64 v[56:57], v[60:61], v[56:57], -v[66:67]
	s_delay_alu instid0(VALU_DEP_1) | instskip(NEXT) | instid1(VALU_DEP_1)
	v_fmac_f64_e32 v[56:57], v[60:61], v[54:55]
	v_add_f64_e32 v[54:55], v[66:67], v[56:57]
	s_delay_alu instid0(VALU_DEP_1) | instskip(SKIP_1) | instid1(VALU_DEP_2)
	v_add_f64_e64 v[64:65], v[62:63], -v[54:55]
	v_add_f64_e64 v[66:67], v[54:55], -v[66:67]
	;; [unrolled: 1-line block ×3, first 2 shown]
	s_delay_alu instid0(VALU_DEP_2) | instskip(NEXT) | instid1(VALU_DEP_2)
	v_add_f64_e64 v[56:57], v[66:67], -v[56:57]
	v_add_f64_e64 v[54:55], v[62:63], -v[54:55]
	s_delay_alu instid0(VALU_DEP_1) | instskip(NEXT) | instid1(VALU_DEP_1)
	v_add_f64_e32 v[54:55], v[56:57], v[54:55]
	v_add_f64_e32 v[54:55], v[64:65], v[54:55]
	s_delay_alu instid0(VALU_DEP_1) | instskip(NEXT) | instid1(VALU_DEP_1)
	v_mul_f64_e32 v[54:55], v[58:59], v[54:55]
	v_add_f64_e32 v[56:57], v[60:61], v[54:55]
	s_delay_alu instid0(VALU_DEP_1) | instskip(NEXT) | instid1(VALU_DEP_1)
	v_mul_f64_e32 v[58:59], v[56:57], v[56:57]
	v_fmamk_f64 v[62:63], v[58:59], 0x3fc3ab76bf559e2b, v[12:13]
	v_mul_f64_e32 v[64:65], v[56:57], v[58:59]
	s_delay_alu instid0(VALU_DEP_2) | instskip(NEXT) | instid1(VALU_DEP_1)
	v_fmaak_f64 v[62:63], v[58:59], v[62:63], 0x3fc7474dd7f4df2e
	v_fmaak_f64 v[62:63], v[58:59], v[62:63], 0x3fcc71c016291751
	s_delay_alu instid0(VALU_DEP_1) | instskip(NEXT) | instid1(VALU_DEP_1)
	v_fmaak_f64 v[62:63], v[58:59], v[62:63], 0x3fd249249b27acf1
	v_fmaak_f64 v[62:63], v[58:59], v[62:63], 0x3fd99999998ef7b6
	s_delay_alu instid0(VALU_DEP_1) | instskip(SKIP_2) | instid1(VALU_DEP_3)
	v_fmaak_f64 v[58:59], v[58:59], v[62:63], 0x3fe5555555555780
	v_ldexp_f64 v[62:63], v[56:57], 1
	v_add_f64_e64 v[56:57], v[56:57], -v[60:61]
	v_mul_f64_e32 v[58:59], v[64:65], v[58:59]
	v_cvt_f64_i32_e32 v[64:65], v40
	s_delay_alu instid0(VALU_DEP_3) | instskip(NEXT) | instid1(VALU_DEP_3)
	v_add_f64_e64 v[54:55], v[54:55], -v[56:57]
	v_add_f64_e32 v[60:61], v[62:63], v[58:59]
	s_delay_alu instid0(VALU_DEP_3) | instskip(NEXT) | instid1(VALU_DEP_3)
	v_mul_f64_e32 v[66:67], 0x3fe62e42fefa39ef, v[64:65]
	v_ldexp_f64 v[54:55], v[54:55], 1
	s_delay_alu instid0(VALU_DEP_3) | instskip(NEXT) | instid1(VALU_DEP_3)
	v_add_f64_e64 v[56:57], v[60:61], -v[62:63]
	v_fma_f64 v[62:63], v[64:65], s[12:13], -v[66:67]
	s_delay_alu instid0(VALU_DEP_2) | instskip(NEXT) | instid1(VALU_DEP_2)
	v_add_f64_e64 v[56:57], v[58:59], -v[56:57]
	v_fmac_f64_e32 v[62:63], 0x3c7abc9e3b39803f, v[64:65]
	s_delay_alu instid0(VALU_DEP_2) | instskip(NEXT) | instid1(VALU_DEP_2)
	v_add_f64_e32 v[54:55], v[54:55], v[56:57]
	v_add_f64_e32 v[56:57], v[66:67], v[62:63]
	s_delay_alu instid0(VALU_DEP_2) | instskip(NEXT) | instid1(VALU_DEP_2)
	v_add_f64_e32 v[58:59], v[60:61], v[54:55]
	v_add_f64_e64 v[66:67], v[56:57], -v[66:67]
	s_delay_alu instid0(VALU_DEP_2) | instskip(SKIP_1) | instid1(VALU_DEP_3)
	v_add_f64_e32 v[64:65], v[56:57], v[58:59]
	v_add_f64_e64 v[60:61], v[58:59], -v[60:61]
	v_add_f64_e64 v[62:63], v[62:63], -v[66:67]
	s_delay_alu instid0(VALU_DEP_3) | instskip(NEXT) | instid1(VALU_DEP_3)
	v_add_f64_e64 v[68:69], v[64:65], -v[56:57]
	v_add_f64_e64 v[54:55], v[54:55], -v[60:61]
	s_delay_alu instid0(VALU_DEP_2) | instskip(SKIP_1) | instid1(VALU_DEP_3)
	v_add_f64_e64 v[70:71], v[64:65], -v[68:69]
	v_add_f64_e64 v[58:59], v[58:59], -v[68:69]
	v_add_f64_e32 v[60:61], v[62:63], v[54:55]
	s_delay_alu instid0(VALU_DEP_3) | instskip(NEXT) | instid1(VALU_DEP_1)
	v_add_f64_e64 v[56:57], v[56:57], -v[70:71]
	v_add_f64_e32 v[56:57], v[58:59], v[56:57]
	s_delay_alu instid0(VALU_DEP_3) | instskip(NEXT) | instid1(VALU_DEP_2)
	v_add_f64_e64 v[58:59], v[60:61], -v[62:63]
	v_add_f64_e32 v[56:57], v[60:61], v[56:57]
	s_delay_alu instid0(VALU_DEP_2) | instskip(SKIP_1) | instid1(VALU_DEP_3)
	v_add_f64_e64 v[60:61], v[60:61], -v[58:59]
	v_add_f64_e64 v[54:55], v[54:55], -v[58:59]
	v_add_f64_e32 v[66:67], v[64:65], v[56:57]
	s_delay_alu instid0(VALU_DEP_3) | instskip(NEXT) | instid1(VALU_DEP_2)
	v_add_f64_e64 v[58:59], v[62:63], -v[60:61]
	v_add_f64_e64 v[60:61], v[66:67], -v[64:65]
	s_delay_alu instid0(VALU_DEP_2) | instskip(SKIP_1) | instid1(VALU_DEP_3)
	v_add_f64_e32 v[54:55], v[54:55], v[58:59]
	v_add_f64_e64 v[58:59], |v[4:5]|, s[16:17]
	v_add_f64_e64 v[56:57], v[56:57], -v[60:61]
	s_delay_alu instid0(VALU_DEP_1) | instskip(SKIP_1) | instid1(VALU_DEP_2)
	v_add_f64_e32 v[54:55], v[54:55], v[56:57]
	v_add_f64_e64 v[56:57], -|v[4:5]|, 1.0
	v_add_f64_e32 v[54:55], v[66:67], v[54:55]
	s_delay_alu instid0(VALU_DEP_2) | instskip(SKIP_1) | instid1(VALU_DEP_2)
	v_dual_cndmask_b32 v48, v56, v58, s1 :: v_dual_cndmask_b32 v52, v57, v59, s1
	v_cndmask_b32_e64 v58, 0, 1, s1
	v_cndmask_b32_e64 v56, v48, v4, s2
	s_delay_alu instid0(VALU_DEP_3) | instskip(SKIP_1) | instid1(VALU_DEP_1)
	v_cndmask_b32_e64 v57, v52, v44, s2
	v_xor_b32_e32 v40, 0x80000000, v55
	v_cndmask_b32_e32 v40, 0xfff00000, v40, vcc_lo
	s_and_b32 vcc_lo, s0, vcc_lo
	v_cndmask_b32_e32 v54, 0, v54, vcc_lo
	s_delay_alu instid0(VALU_DEP_2)
	v_cndmask_b32_e64 v55, 0x7ff00000, v40, s0
	v_cndmask_b32_e64 v40, v58, 2, s2
.LBB12_280:                             ;   in Loop: Header=BB12_162 Depth=1
	s_or_b32 exec_lo, exec_lo, s5
	s_delay_alu instid0(SALU_CYCLE_1) | instskip(NEXT) | instid1(VALU_DEP_1)
	s_mov_b32 s0, exec_lo
                                        ; implicit-def: $vgpr58_vgpr59
	v_cmpx_lt_i32_e32 1, v40
	s_xor_b32 s0, exec_lo, s0
	s_cbranch_execz .LBB12_282
; %bb.281:                              ;   in Loop: Header=BB12_162 Depth=1
	v_fmamk_f64 v[58:59], v[56:57], 0x3f8b678bbf2bab09, v[20:21]
	v_fmamk_f64 v[60:61], v[56:57], 0x3f6a5abb57d0cf61, v[22:23]
                                        ; implicit-def: $vgpr40
	s_delay_alu instid0(VALU_DEP_2) | instskip(NEXT) | instid1(VALU_DEP_2)
	v_fmaak_f64 v[58:59], v[56:57], v[58:59], 0x3fef497644ea8450
	v_fmaak_f64 v[60:61], v[56:57], v[60:61], 0x3fe89dfbe45050af
	s_delay_alu instid0(VALU_DEP_2) | instskip(NEXT) | instid1(VALU_DEP_2)
	v_fmaak_f64 v[58:59], v[56:57], v[58:59], 0x3ff7475cd119bd6f
	v_fmaak_f64 v[60:61], v[56:57], v[60:61], 0x40010725a42b18f5
	;; [unrolled: 3-line block ×3, first 2 shown]
	s_delay_alu instid0(VALU_DEP_2) | instskip(NEXT) | instid1(VALU_DEP_2)
	v_fmaak_f64 v[58:59], v[56:57], v[58:59], 0xbfb3c467e37db0c8
	v_fma_f64 v[60:61], v[56:57], v[60:61], 1.0
	s_delay_alu instid0(VALU_DEP_2) | instskip(NEXT) | instid1(VALU_DEP_1)
	v_mul_f64_e32 v[58:59], v[56:57], v[58:59]
	v_div_scale_f64 v[62:63], null, v[60:61], v[60:61], v[58:59]
	s_delay_alu instid0(VALU_DEP_1) | instskip(SKIP_1) | instid1(TRANS32_DEP_1)
	v_rcp_f64_e32 v[64:65], v[62:63]
	v_nop
	v_fma_f64 v[66:67], -v[62:63], v[64:65], 1.0
	s_delay_alu instid0(VALU_DEP_1) | instskip(NEXT) | instid1(VALU_DEP_1)
	v_fmac_f64_e32 v[64:65], v[64:65], v[66:67]
	v_fma_f64 v[66:67], -v[62:63], v[64:65], 1.0
	s_delay_alu instid0(VALU_DEP_1) | instskip(SKIP_1) | instid1(VALU_DEP_1)
	v_fmac_f64_e32 v[64:65], v[64:65], v[66:67]
	v_div_scale_f64 v[66:67], vcc_lo, v[58:59], v[60:61], v[58:59]
	v_mul_f64_e32 v[68:69], v[66:67], v[64:65]
	s_delay_alu instid0(VALU_DEP_1) | instskip(NEXT) | instid1(VALU_DEP_1)
	v_fma_f64 v[62:63], -v[62:63], v[68:69], v[66:67]
	v_div_fmas_f64 v[62:63], v[62:63], v[64:65], v[68:69]
	s_delay_alu instid0(VALU_DEP_1) | instskip(NEXT) | instid1(VALU_DEP_1)
	v_div_fixup_f64 v[58:59], v[62:63], v[60:61], v[58:59]
	v_fmac_f64_e32 v[58:59], -0.5, v[56:57]
                                        ; implicit-def: $vgpr56_vgpr57
.LBB12_282:                             ;   in Loop: Header=BB12_162 Depth=1
	s_and_not1_saveexec_b32 s0, s0
	s_cbranch_execz .LBB12_288
; %bb.283:                              ;   in Loop: Header=BB12_162 Depth=1
	v_mul_f64_e32 v[60:61], v[56:57], v[56:57]
	s_mov_b32 s1, exec_lo
                                        ; implicit-def: $vgpr58_vgpr59
	v_cmpx_ne_u32_e32 1, v40
	s_xor_b32 s1, exec_lo, s1
	s_cbranch_execz .LBB12_285
; %bb.284:                              ;   in Loop: Header=BB12_162 Depth=1
	s_delay_alu instid0(VALU_DEP_2) | instskip(SKIP_1) | instid1(VALU_DEP_2)
	v_fmamk_f64 v[58:59], v[60:61], 0x3f07858e90a45837, v[26:27]
	v_fmamk_f64 v[62:63], v[60:61], 0x3efa7074428cfa52, v[24:25]
	v_fmaak_f64 v[58:59], v[60:61], v[58:59], 0x3f40b6c689b99c00
	s_delay_alu instid0(VALU_DEP_2) | instskip(NEXT) | instid1(VALU_DEP_2)
	v_fmaak_f64 v[62:63], v[60:61], v[62:63], 0x3f538a94116f3f5d
	v_fmaak_f64 v[58:59], v[60:61], v[58:59], 0x3f67add8ccb7926b
	s_delay_alu instid0(VALU_DEP_2) | instskip(NEXT) | instid1(VALU_DEP_2)
	v_fmaak_f64 v[62:63], v[60:61], v[62:63], 0x3f7e404fb68fefe8
	v_fmaak_f64 v[58:59], v[60:61], v[58:59], 0x3f951322ac92547b
	s_delay_alu instid0(VALU_DEP_2) | instskip(NEXT) | instid1(VALU_DEP_2)
	v_fmaak_f64 v[62:63], v[60:61], v[62:63], 0x3fb13e001a5562a7
	v_fmaak_f64 v[58:59], v[60:61], v[58:59], 0x3fd4a34cc4a60fad
	s_delay_alu instid0(VALU_DEP_1) | instskip(NEXT) | instid1(VALU_DEP_3)
	v_mul_f64_e32 v[58:59], v[60:61], v[58:59]
	v_fmaak_f64 v[60:61], v[60:61], v[62:63], 0x3fb3c467e37db0c8
	s_delay_alu instid0(VALU_DEP_1) | instskip(NEXT) | instid1(VALU_DEP_1)
	v_fmac_f64_e32 v[58:59], v[56:57], v[60:61]
                                        ; implicit-def: $vgpr60_vgpr61
	v_fmac_f64_e32 v[58:59], -0.5, v[56:57]
                                        ; implicit-def: $vgpr56_vgpr57
.LBB12_285:                             ;   in Loop: Header=BB12_162 Depth=1
	s_and_not1_saveexec_b32 s1, s1
	s_cbranch_execz .LBB12_287
; %bb.286:                              ;   in Loop: Header=BB12_162 Depth=1
	s_delay_alu instid0(VALU_DEP_2) | instskip(NEXT) | instid1(VALU_DEP_1)
	v_mul_f64_e32 v[58:59], v[56:57], v[60:61]
	v_fmamk_f64 v[62:63], v[58:59], 0xbf347f24ecc38c38, v[30:31]
	v_fmamk_f64 v[64:65], v[58:59], 0x3f35fd3ee8c2d3f4, v[32:33]
	s_delay_alu instid0(VALU_DEP_2) | instskip(NEXT) | instid1(VALU_DEP_2)
	v_fmaak_f64 v[62:63], v[58:59], v[62:63], 0xbf6e2effb3e914d7
	v_fmaak_f64 v[64:65], v[58:59], v[64:65], 0x3f6282d32e15c915
	s_delay_alu instid0(VALU_DEP_2) | instskip(NEXT) | instid1(VALU_DEP_2)
	v_fmaak_f64 v[62:63], v[58:59], v[62:63], 0x3f9266e7970af9ec
	v_fmaak_f64 v[64:65], v[58:59], v[64:65], 0xbf851f9fba91ec6a
	;; [unrolled: 3-line block ×3, first 2 shown]
	s_delay_alu instid0(VALU_DEP_1) | instskip(NEXT) | instid1(VALU_DEP_1)
	v_fmac_f64_e32 v[62:63], v[56:57], v[64:65]
	v_fma_f64 v[56:57], v[58:59], -v[62:63], s[18:19]
	v_fmamk_f64 v[62:63], v[58:59], 0x3f34af6d6c0ebbf7, v[28:29]
	s_delay_alu instid0(VALU_DEP_1) | instskip(NEXT) | instid1(VALU_DEP_1)
	v_fmaak_f64 v[62:63], v[58:59], v[62:63], 0x3f78fce0e370e344
	v_fmaak_f64 v[62:63], v[58:59], v[62:63], 0xbfa0c9a8df35b713
	s_delay_alu instid0(VALU_DEP_1) | instskip(NEXT) | instid1(VALU_DEP_1)
	v_fmaak_f64 v[58:59], v[58:59], v[62:63], 0x3fdef72bc8ee38a2
	v_fma_f64 v[56:57], v[60:61], v[58:59], -v[56:57]
	s_delay_alu instid0(VALU_DEP_1)
	v_add_f64_e32 v[58:59], 0xbfbf19b9bcc38a42, v[56:57]
.LBB12_287:                             ;   in Loop: Header=BB12_162 Depth=1
	s_or_b32 exec_lo, exec_lo, s1
.LBB12_288:                             ;   in Loop: Header=BB12_162 Depth=1
	s_delay_alu instid0(SALU_CYCLE_1) | instskip(NEXT) | instid1(VALU_DEP_1)
	s_or_b32 exec_lo, exec_lo, s0
	v_add_f64_e32 v[54:55], v[54:55], v[58:59]
.LBB12_289:                             ;   in Loop: Header=BB12_162 Depth=1
	s_or_b32 exec_lo, exec_lo, s4
.LBB12_290:                             ;   in Loop: Header=BB12_162 Depth=1
	s_and_not1_saveexec_b32 s1, s3
	s_cbranch_execz .LBB12_292
; %bb.291:                              ;   in Loop: Header=BB12_162 Depth=1
	v_frexp_mant_f64_e64 v[54:55], |v[4:5]|
	v_cmp_neq_f64_e64 s0, 0, v[4:5]
	s_delay_alu instid0(VALU_DEP_2) | instskip(SKIP_1) | instid1(VALU_DEP_1)
	v_cmp_gt_f64_e32 vcc_lo, s[8:9], v[54:55]
	v_cndmask_b32_e64 v40, 0, 1, vcc_lo
	v_ldexp_f64 v[54:55], v[54:55], v40
	v_frexp_exp_i32_f64_e32 v40, v[4:5]
	s_delay_alu instid0(VALU_DEP_2) | instskip(SKIP_1) | instid1(VALU_DEP_3)
	v_add_f64_e32 v[56:57], 1.0, v[54:55]
	v_add_f64_e32 v[62:63], -1.0, v[54:55]
	v_subrev_co_ci_u32_e64 v40, null, 0, v40, vcc_lo
	v_cmp_neq_f64_e64 vcc_lo, 0x7ff00000, |v[4:5]|
	s_delay_alu instid0(VALU_DEP_4) | instskip(SKIP_1) | instid1(VALU_DEP_1)
	v_rcp_f64_e32 v[58:59], v[56:57]
	v_add_f64_e32 v[64:65], -1.0, v[56:57]
	v_add_f64_e64 v[54:55], v[54:55], -v[64:65]
	s_delay_alu instid0(TRANS32_DEP_1) | instskip(NEXT) | instid1(VALU_DEP_1)
	v_fma_f64 v[60:61], -v[56:57], v[58:59], 1.0
	v_fmac_f64_e32 v[58:59], v[60:61], v[58:59]
	s_delay_alu instid0(VALU_DEP_1) | instskip(NEXT) | instid1(VALU_DEP_1)
	v_fma_f64 v[60:61], -v[56:57], v[58:59], 1.0
	v_fmac_f64_e32 v[58:59], v[60:61], v[58:59]
	s_delay_alu instid0(VALU_DEP_1) | instskip(NEXT) | instid1(VALU_DEP_1)
	v_mul_f64_e32 v[60:61], v[62:63], v[58:59]
	v_mul_f64_e32 v[66:67], v[56:57], v[60:61]
	s_delay_alu instid0(VALU_DEP_1) | instskip(NEXT) | instid1(VALU_DEP_1)
	v_fma_f64 v[56:57], v[60:61], v[56:57], -v[66:67]
	v_fmac_f64_e32 v[56:57], v[60:61], v[54:55]
	s_delay_alu instid0(VALU_DEP_1) | instskip(NEXT) | instid1(VALU_DEP_1)
	v_add_f64_e32 v[54:55], v[66:67], v[56:57]
	v_add_f64_e64 v[64:65], v[62:63], -v[54:55]
	v_add_f64_e64 v[66:67], v[54:55], -v[66:67]
	s_delay_alu instid0(VALU_DEP_2) | instskip(NEXT) | instid1(VALU_DEP_2)
	v_add_f64_e64 v[62:63], v[62:63], -v[64:65]
	v_add_f64_e64 v[56:57], v[66:67], -v[56:57]
	s_delay_alu instid0(VALU_DEP_2) | instskip(NEXT) | instid1(VALU_DEP_1)
	v_add_f64_e64 v[54:55], v[62:63], -v[54:55]
	v_add_f64_e32 v[54:55], v[56:57], v[54:55]
	s_delay_alu instid0(VALU_DEP_1) | instskip(NEXT) | instid1(VALU_DEP_1)
	v_add_f64_e32 v[54:55], v[64:65], v[54:55]
	v_mul_f64_e32 v[54:55], v[58:59], v[54:55]
	s_delay_alu instid0(VALU_DEP_1) | instskip(NEXT) | instid1(VALU_DEP_1)
	v_add_f64_e32 v[56:57], v[60:61], v[54:55]
	v_mul_f64_e32 v[58:59], v[56:57], v[56:57]
	s_delay_alu instid0(VALU_DEP_1) | instskip(SKIP_1) | instid1(VALU_DEP_2)
	v_fmamk_f64 v[62:63], v[58:59], 0x3fc3ab76bf559e2b, v[12:13]
	v_mul_f64_e32 v[64:65], v[56:57], v[58:59]
	v_fmaak_f64 v[62:63], v[58:59], v[62:63], 0x3fc7474dd7f4df2e
	s_delay_alu instid0(VALU_DEP_1) | instskip(NEXT) | instid1(VALU_DEP_1)
	v_fmaak_f64 v[62:63], v[58:59], v[62:63], 0x3fcc71c016291751
	v_fmaak_f64 v[62:63], v[58:59], v[62:63], 0x3fd249249b27acf1
	s_delay_alu instid0(VALU_DEP_1) | instskip(NEXT) | instid1(VALU_DEP_1)
	v_fmaak_f64 v[62:63], v[58:59], v[62:63], 0x3fd99999998ef7b6
	v_fmaak_f64 v[58:59], v[58:59], v[62:63], 0x3fe5555555555780
	v_ldexp_f64 v[62:63], v[56:57], 1
	v_add_f64_e64 v[56:57], v[56:57], -v[60:61]
	s_delay_alu instid0(VALU_DEP_3) | instskip(SKIP_1) | instid1(VALU_DEP_3)
	v_mul_f64_e32 v[58:59], v[64:65], v[58:59]
	v_cvt_f64_i32_e32 v[64:65], v40
	v_add_f64_e64 v[54:55], v[54:55], -v[56:57]
	s_delay_alu instid0(VALU_DEP_3) | instskip(NEXT) | instid1(VALU_DEP_3)
	v_add_f64_e32 v[60:61], v[62:63], v[58:59]
	v_mul_f64_e32 v[66:67], 0x3fe62e42fefa39ef, v[64:65]
	s_delay_alu instid0(VALU_DEP_3) | instskip(NEXT) | instid1(VALU_DEP_3)
	v_ldexp_f64 v[54:55], v[54:55], 1
	v_add_f64_e64 v[56:57], v[60:61], -v[62:63]
	s_delay_alu instid0(VALU_DEP_3) | instskip(NEXT) | instid1(VALU_DEP_2)
	v_fma_f64 v[62:63], v[64:65], s[12:13], -v[66:67]
	v_add_f64_e64 v[56:57], v[58:59], -v[56:57]
	s_delay_alu instid0(VALU_DEP_2) | instskip(NEXT) | instid1(VALU_DEP_2)
	v_fmac_f64_e32 v[62:63], 0x3c7abc9e3b39803f, v[64:65]
	v_add_f64_e32 v[54:55], v[54:55], v[56:57]
	s_delay_alu instid0(VALU_DEP_2) | instskip(NEXT) | instid1(VALU_DEP_2)
	v_add_f64_e32 v[56:57], v[66:67], v[62:63]
	v_add_f64_e32 v[58:59], v[60:61], v[54:55]
	s_delay_alu instid0(VALU_DEP_2) | instskip(NEXT) | instid1(VALU_DEP_2)
	v_add_f64_e64 v[66:67], v[56:57], -v[66:67]
	v_add_f64_e32 v[64:65], v[56:57], v[58:59]
	v_add_f64_e64 v[60:61], v[58:59], -v[60:61]
	s_delay_alu instid0(VALU_DEP_3) | instskip(NEXT) | instid1(VALU_DEP_3)
	v_add_f64_e64 v[62:63], v[62:63], -v[66:67]
	v_add_f64_e64 v[68:69], v[64:65], -v[56:57]
	s_delay_alu instid0(VALU_DEP_3) | instskip(NEXT) | instid1(VALU_DEP_2)
	v_add_f64_e64 v[54:55], v[54:55], -v[60:61]
	v_add_f64_e64 v[70:71], v[64:65], -v[68:69]
	;; [unrolled: 1-line block ×3, first 2 shown]
	s_delay_alu instid0(VALU_DEP_3) | instskip(NEXT) | instid1(VALU_DEP_3)
	v_add_f64_e32 v[60:61], v[62:63], v[54:55]
	v_add_f64_e64 v[56:57], v[56:57], -v[70:71]
	s_delay_alu instid0(VALU_DEP_1) | instskip(NEXT) | instid1(VALU_DEP_3)
	v_add_f64_e32 v[56:57], v[58:59], v[56:57]
	v_add_f64_e64 v[58:59], v[60:61], -v[62:63]
	s_delay_alu instid0(VALU_DEP_2) | instskip(NEXT) | instid1(VALU_DEP_2)
	v_add_f64_e32 v[56:57], v[60:61], v[56:57]
	v_add_f64_e64 v[60:61], v[60:61], -v[58:59]
	v_add_f64_e64 v[54:55], v[54:55], -v[58:59]
	s_delay_alu instid0(VALU_DEP_3) | instskip(NEXT) | instid1(VALU_DEP_3)
	v_add_f64_e32 v[66:67], v[64:65], v[56:57]
	v_add_f64_e64 v[58:59], v[62:63], -v[60:61]
	s_delay_alu instid0(VALU_DEP_2) | instskip(NEXT) | instid1(VALU_DEP_2)
	v_add_f64_e64 v[60:61], v[66:67], -v[64:65]
	v_add_f64_e32 v[54:55], v[54:55], v[58:59]
	v_fma_f64 v[58:59], |v[4:5]|, s[22:23], s[20:21]
	s_delay_alu instid0(VALU_DEP_3) | instskip(NEXT) | instid1(VALU_DEP_1)
	v_add_f64_e64 v[56:57], v[56:57], -v[60:61]
	v_add_f64_e32 v[54:55], v[54:55], v[56:57]
	s_delay_alu instid0(VALU_DEP_3) | instskip(NEXT) | instid1(VALU_DEP_2)
	v_fma_f64 v[56:57], |v[4:5]|, v[58:59], s[24:25]
	v_add_f64_e32 v[54:55], v[66:67], v[54:55]
	s_delay_alu instid0(VALU_DEP_2) | instskip(NEXT) | instid1(VALU_DEP_2)
	v_fma_f64 v[56:57], |v[4:5]|, v[56:57], s[26:27]
	v_xor_b32_e32 v40, 0x80000000, v55
	s_delay_alu instid0(VALU_DEP_2) | instskip(NEXT) | instid1(VALU_DEP_2)
	v_fma_f64 v[56:57], |v[4:5]|, v[56:57], s[28:29]
	v_cndmask_b32_e32 v40, 0xfff00000, v40, vcc_lo
	s_and_b32 vcc_lo, s0, vcc_lo
	v_cndmask_b32_e32 v54, 0, v54, vcc_lo
	s_delay_alu instid0(VALU_DEP_2) | instskip(NEXT) | instid1(VALU_DEP_1)
	v_cndmask_b32_e64 v55, 0x7ff00000, v40, s0
	v_fma_f64 v[54:55], |v[4:5]|, v[56:57], v[54:55]
.LBB12_292:                             ;   in Loop: Header=BB12_162 Depth=1
	s_or_b32 exec_lo, exec_lo, s1
	s_delay_alu instid0(SALU_CYCLE_1)
	s_mov_b32 s0, exec_lo
	v_cmpx_le_f64_e32 0, v[4:5]
	s_xor_b32 s1, exec_lo, s0
	s_cbranch_execz .LBB12_294
; %bb.293:                              ;   in Loop: Header=BB12_162 Depth=1
	v_cmp_eq_f64_e32 vcc_lo, 1.0, v[4:5]
	v_cmp_eq_f64_e64 s0, 2.0, v[4:5]
	s_or_b32 s0, vcc_lo, s0
	s_delay_alu instid0(SALU_CYCLE_1)
	v_cndmask_b32_e64 v55, v55, 0, s0
	v_cndmask_b32_e64 v54, v54, 0, s0
.LBB12_294:                             ;   in Loop: Header=BB12_162 Depth=1
	s_and_not1_saveexec_b32 s1, s1
	s_cbranch_execz .LBB12_161
; %bb.295:                              ;   in Loop: Header=BB12_162 Depth=1
	v_add_nc_u32_e32 v40, 0xc32fffff, v53
	s_mov_b32 s2, exec_lo
	s_delay_alu instid0(VALU_DEP_1)
	v_cmpx_gt_u32_e32 0x65fffff, v40
	s_cbranch_execz .LBB12_160
; %bb.296:                              ;   in Loop: Header=BB12_162 Depth=1
	v_mul_f64_e64 v[56:57], |v[4:5]|, 0.5
	v_and_b32_e32 v40, 0x7fffffff, v5
	v_cmp_class_f64_e64 s0, v[4:5], 0x1f8
	s_delay_alu instid0(VALU_DEP_3) | instskip(SKIP_1) | instid1(VALU_DEP_2)
	v_fract_f64_e32 v[58:59], v[56:57]
	v_cmp_neq_f64_e64 vcc_lo, 0x7ff00000, |v[56:57]|
	v_add_f64_e32 v[58:59], v[58:59], v[58:59]
	s_delay_alu instid0(VALU_DEP_1) | instskip(SKIP_1) | instid1(VALU_DEP_2)
	v_dual_cndmask_b32 v44, 0, v58, vcc_lo :: v_dual_cndmask_b32 v48, 0, v59, vcc_lo
	v_cmp_gt_f64_e64 vcc_lo, |v[4:5]|, 1.0
	v_cndmask_b32_e32 v57, v40, v48, vcc_lo
	s_delay_alu instid0(VALU_DEP_3) | instskip(NEXT) | instid1(VALU_DEP_1)
	v_cndmask_b32_e32 v56, v4, v44, vcc_lo
	v_add_f64_e32 v[58:59], v[56:57], v[56:57]
	s_delay_alu instid0(VALU_DEP_1) | instskip(NEXT) | instid1(VALU_DEP_1)
	v_rndne_f64_e32 v[58:59], v[58:59]
	v_cvt_i32_f64_e32 v40, v[58:59]
	v_fmac_f64_e32 v[56:57], -0.5, v[58:59]
	s_delay_alu instid0(VALU_DEP_2) | instskip(NEXT) | instid1(VALU_DEP_1)
	v_dual_lshlrev_b32 v40, 30, v40 :: v_dual_bitop2_b32 v44, 1, v40 bitop3:0x40
	v_cmp_eq_u32_e32 vcc_lo, 0, v44
	s_delay_alu instid0(VALU_DEP_3) | instskip(NEXT) | instid1(VALU_DEP_1)
	v_mul_f64_e32 v[60:61], v[56:57], v[56:57]
	v_fmamk_f64 v[62:63], v[60:61], 0x3f3e357ef99eb0bb, v[34:35]
	v_mul_f64_e32 v[64:65], v[56:57], v[60:61]
	v_fmamk_f64 v[66:67], v[60:61], 0xbf1b167302e21c33, v[36:37]
	s_delay_alu instid0(VALU_DEP_3) | instskip(NEXT) | instid1(VALU_DEP_2)
	v_fmaak_f64 v[62:63], v[60:61], v[62:63], 0x3fb50782d5f14825
	v_fmaak_f64 v[66:67], v[60:61], v[66:67], 0xbf9a6d1e7294bff9
	s_delay_alu instid0(VALU_DEP_2) | instskip(NEXT) | instid1(VALU_DEP_1)
	v_fmaak_f64 v[62:63], v[60:61], v[62:63], 0xbfe32d2ccdfe9424
	v_fmaak_f64 v[62:63], v[60:61], v[62:63], 0x400466bc67754fff
	s_delay_alu instid0(VALU_DEP_1) | instskip(NEXT) | instid1(VALU_DEP_1)
	v_fmaak_f64 v[62:63], v[60:61], v[62:63], 0xc014abbce625be09
	v_mul_f64_e32 v[62:63], v[64:65], v[62:63]
	v_fmaak_f64 v[64:65], v[60:61], v[66:67], 0x3fce1f5067b90b37
	s_delay_alu instid0(VALU_DEP_1) | instskip(NEXT) | instid1(VALU_DEP_1)
	v_fmaak_f64 v[64:65], v[60:61], v[64:65], 0xbff55d3c7e3c325b
	v_fmaak_f64 v[64:65], v[60:61], v[64:65], 0x40103c1f081b5a67
	s_delay_alu instid0(VALU_DEP_1) | instskip(NEXT) | instid1(VALU_DEP_1)
	v_fmaak_f64 v[64:65], v[60:61], v[64:65], 0xc013bd3cc9be45de
	v_fma_f64 v[58:59], v[60:61], v[64:65], 1.0
	v_fmac_f64_e32 v[62:63], 0x400921fb54442d18, v[56:57]
	s_delay_alu instid0(VALU_DEP_1) | instskip(NEXT) | instid1(VALU_DEP_1)
	v_dual_cndmask_b32 v44, v58, v62, vcc_lo :: v_dual_bitop2_b32 v40, v40, v5 bitop3:0x14
	v_dual_cndmask_b32 v48, v59, v63, vcc_lo :: v_dual_cndmask_b32 v56, 0, v44, s0
	s_delay_alu instid0(VALU_DEP_1) | instskip(NEXT) | instid1(VALU_DEP_1)
	v_bitop3_b32 v40, v48, v40, 0x80000000 bitop3:0x78
	v_cndmask_b32_e64 v57, 0x7ff80000, v40, s0
	v_cmp_class_f64_e64 s0, v[4:5], 0x204
	s_delay_alu instid0(VALU_DEP_2) | instskip(NEXT) | instid1(VALU_DEP_1)
	v_mul_f64_e32 v[56:57], v[4:5], v[56:57]
	v_and_b32_e32 v59, 0x7fffffff, v57
	s_delay_alu instid0(VALU_DEP_2) | instskip(NEXT) | instid1(VALU_DEP_1)
	v_mov_b32_e32 v58, v56
	v_div_scale_f64 v[60:61], null, v[58:59], v[58:59], s[30:31]
	v_div_scale_f64 v[58:59], vcc_lo, s[30:31], v[58:59], s[30:31]
	s_delay_alu instid0(VALU_DEP_2) | instskip(SKIP_1) | instid1(TRANS32_DEP_1)
	v_rcp_f64_e32 v[62:63], v[60:61]
	v_nop
	v_fma_f64 v[64:65], -v[60:61], v[62:63], 1.0
	s_delay_alu instid0(VALU_DEP_1) | instskip(NEXT) | instid1(VALU_DEP_1)
	v_fmac_f64_e32 v[62:63], v[62:63], v[64:65]
	v_fma_f64 v[64:65], -v[60:61], v[62:63], 1.0
	s_delay_alu instid0(VALU_DEP_1) | instskip(NEXT) | instid1(VALU_DEP_1)
	v_fmac_f64_e32 v[62:63], v[62:63], v[64:65]
	v_mul_f64_e32 v[64:65], v[58:59], v[62:63]
	s_delay_alu instid0(VALU_DEP_1) | instskip(NEXT) | instid1(VALU_DEP_1)
	v_fma_f64 v[58:59], -v[60:61], v[64:65], v[58:59]
	v_div_fmas_f64 v[58:59], v[58:59], v[62:63], v[64:65]
	s_delay_alu instid0(VALU_DEP_1) | instskip(NEXT) | instid1(VALU_DEP_1)
	v_div_fixup_f64 v[56:57], v[58:59], |v[56:57]|, s[30:31]
	v_frexp_mant_f64_e32 v[58:59], v[56:57]
	s_delay_alu instid0(VALU_DEP_1) | instskip(SKIP_1) | instid1(VALU_DEP_1)
	v_cmp_gt_f64_e32 vcc_lo, s[8:9], v[58:59]
	v_cndmask_b32_e64 v40, 0, 1, vcc_lo
	v_ldexp_f64 v[58:59], v[58:59], v40
	v_frexp_exp_i32_f64_e32 v40, v[56:57]
	s_delay_alu instid0(VALU_DEP_1) | instskip(SKIP_1) | instid1(VALU_DEP_4)
	v_subrev_co_ci_u32_e64 v40, null, 0, v40, vcc_lo
	v_cmp_class_f64_e64 vcc_lo, v[56:57], 0x204
	v_add_f64_e32 v[60:61], 1.0, v[58:59]
	v_add_f64_e32 v[66:67], -1.0, v[58:59]
	s_delay_alu instid0(VALU_DEP_2) | instskip(SKIP_1) | instid1(VALU_DEP_1)
	v_rcp_f64_e32 v[62:63], v[60:61]
	v_add_f64_e32 v[68:69], -1.0, v[60:61]
	v_add_f64_e64 v[58:59], v[58:59], -v[68:69]
	s_delay_alu instid0(TRANS32_DEP_1) | instskip(NEXT) | instid1(VALU_DEP_1)
	v_fma_f64 v[64:65], -v[60:61], v[62:63], 1.0
	v_fmac_f64_e32 v[62:63], v[64:65], v[62:63]
	s_delay_alu instid0(VALU_DEP_1) | instskip(NEXT) | instid1(VALU_DEP_1)
	v_fma_f64 v[64:65], -v[60:61], v[62:63], 1.0
	v_fmac_f64_e32 v[62:63], v[64:65], v[62:63]
	s_delay_alu instid0(VALU_DEP_1) | instskip(NEXT) | instid1(VALU_DEP_1)
	v_mul_f64_e32 v[64:65], v[66:67], v[62:63]
	v_mul_f64_e32 v[70:71], v[60:61], v[64:65]
	s_delay_alu instid0(VALU_DEP_1) | instskip(NEXT) | instid1(VALU_DEP_1)
	v_fma_f64 v[60:61], v[64:65], v[60:61], -v[70:71]
	v_fmac_f64_e32 v[60:61], v[64:65], v[58:59]
	s_delay_alu instid0(VALU_DEP_1) | instskip(NEXT) | instid1(VALU_DEP_1)
	v_add_f64_e32 v[58:59], v[70:71], v[60:61]
	v_add_f64_e64 v[68:69], v[66:67], -v[58:59]
	v_add_f64_e64 v[70:71], v[58:59], -v[70:71]
	s_delay_alu instid0(VALU_DEP_2) | instskip(NEXT) | instid1(VALU_DEP_2)
	v_add_f64_e64 v[66:67], v[66:67], -v[68:69]
	v_add_f64_e64 v[60:61], v[70:71], -v[60:61]
	s_delay_alu instid0(VALU_DEP_2) | instskip(NEXT) | instid1(VALU_DEP_1)
	v_add_f64_e64 v[58:59], v[66:67], -v[58:59]
	v_add_f64_e32 v[58:59], v[60:61], v[58:59]
	s_delay_alu instid0(VALU_DEP_1) | instskip(NEXT) | instid1(VALU_DEP_1)
	v_add_f64_e32 v[58:59], v[68:69], v[58:59]
	v_mul_f64_e32 v[58:59], v[62:63], v[58:59]
	s_delay_alu instid0(VALU_DEP_1) | instskip(NEXT) | instid1(VALU_DEP_1)
	v_add_f64_e32 v[60:61], v[64:65], v[58:59]
	v_mul_f64_e32 v[62:63], v[60:61], v[60:61]
	s_delay_alu instid0(VALU_DEP_1) | instskip(SKIP_1) | instid1(VALU_DEP_2)
	v_fmamk_f64 v[66:67], v[62:63], 0x3fc3ab76bf559e2b, v[12:13]
	v_mul_f64_e32 v[68:69], v[60:61], v[62:63]
	v_fmaak_f64 v[66:67], v[62:63], v[66:67], 0x3fc7474dd7f4df2e
	s_delay_alu instid0(VALU_DEP_1) | instskip(NEXT) | instid1(VALU_DEP_1)
	v_fmaak_f64 v[66:67], v[62:63], v[66:67], 0x3fcc71c016291751
	v_fmaak_f64 v[66:67], v[62:63], v[66:67], 0x3fd249249b27acf1
	s_delay_alu instid0(VALU_DEP_1) | instskip(NEXT) | instid1(VALU_DEP_1)
	v_fmaak_f64 v[66:67], v[62:63], v[66:67], 0x3fd99999998ef7b6
	v_fmaak_f64 v[62:63], v[62:63], v[66:67], 0x3fe5555555555780
	v_ldexp_f64 v[66:67], v[60:61], 1
	v_add_f64_e64 v[60:61], v[60:61], -v[64:65]
	s_delay_alu instid0(VALU_DEP_3) | instskip(SKIP_1) | instid1(VALU_DEP_3)
	v_mul_f64_e32 v[62:63], v[68:69], v[62:63]
	v_cvt_f64_i32_e32 v[68:69], v40
	v_add_f64_e64 v[58:59], v[58:59], -v[60:61]
	s_delay_alu instid0(VALU_DEP_3) | instskip(NEXT) | instid1(VALU_DEP_3)
	v_add_f64_e32 v[64:65], v[66:67], v[62:63]
	v_mul_f64_e32 v[70:71], 0x3fe62e42fefa39ef, v[68:69]
	s_delay_alu instid0(VALU_DEP_3) | instskip(NEXT) | instid1(VALU_DEP_3)
	v_ldexp_f64 v[58:59], v[58:59], 1
	v_add_f64_e64 v[60:61], v[64:65], -v[66:67]
	s_delay_alu instid0(VALU_DEP_3) | instskip(NEXT) | instid1(VALU_DEP_2)
	v_fma_f64 v[66:67], v[68:69], s[12:13], -v[70:71]
	v_add_f64_e64 v[60:61], v[62:63], -v[60:61]
	s_delay_alu instid0(VALU_DEP_2) | instskip(NEXT) | instid1(VALU_DEP_2)
	v_fmac_f64_e32 v[66:67], 0x3c7abc9e3b39803f, v[68:69]
	v_add_f64_e32 v[58:59], v[58:59], v[60:61]
	s_delay_alu instid0(VALU_DEP_2) | instskip(NEXT) | instid1(VALU_DEP_2)
	v_add_f64_e32 v[60:61], v[70:71], v[66:67]
	v_add_f64_e32 v[62:63], v[64:65], v[58:59]
	s_delay_alu instid0(VALU_DEP_2) | instskip(NEXT) | instid1(VALU_DEP_2)
	v_add_f64_e64 v[70:71], v[60:61], -v[70:71]
	v_add_f64_e32 v[68:69], v[60:61], v[62:63]
	v_add_f64_e64 v[64:65], v[62:63], -v[64:65]
	s_delay_alu instid0(VALU_DEP_3) | instskip(NEXT) | instid1(VALU_DEP_3)
	v_add_f64_e64 v[66:67], v[66:67], -v[70:71]
	v_add_f64_e64 v[72:73], v[68:69], -v[60:61]
	s_delay_alu instid0(VALU_DEP_3) | instskip(NEXT) | instid1(VALU_DEP_2)
	v_add_f64_e64 v[58:59], v[58:59], -v[64:65]
	v_add_f64_e64 v[74:75], v[68:69], -v[72:73]
	;; [unrolled: 1-line block ×3, first 2 shown]
	s_delay_alu instid0(VALU_DEP_3) | instskip(NEXT) | instid1(VALU_DEP_3)
	v_add_f64_e32 v[64:65], v[66:67], v[58:59]
	v_add_f64_e64 v[60:61], v[60:61], -v[74:75]
	s_delay_alu instid0(VALU_DEP_1) | instskip(NEXT) | instid1(VALU_DEP_3)
	v_add_f64_e32 v[60:61], v[62:63], v[60:61]
	v_add_f64_e64 v[62:63], v[64:65], -v[66:67]
	s_delay_alu instid0(VALU_DEP_2) | instskip(NEXT) | instid1(VALU_DEP_2)
	v_add_f64_e32 v[60:61], v[64:65], v[60:61]
	v_add_f64_e64 v[64:65], v[64:65], -v[62:63]
	v_add_f64_e64 v[58:59], v[58:59], -v[62:63]
	s_delay_alu instid0(VALU_DEP_3) | instskip(NEXT) | instid1(VALU_DEP_3)
	v_add_f64_e32 v[70:71], v[68:69], v[60:61]
	v_add_f64_e64 v[62:63], v[66:67], -v[64:65]
	s_delay_alu instid0(VALU_DEP_2) | instskip(NEXT) | instid1(VALU_DEP_2)
	v_add_f64_e64 v[64:65], v[70:71], -v[68:69]
	v_add_f64_e32 v[58:59], v[58:59], v[62:63]
	s_delay_alu instid0(VALU_DEP_2) | instskip(NEXT) | instid1(VALU_DEP_1)
	v_add_f64_e64 v[60:61], v[60:61], -v[64:65]
	v_add_f64_e32 v[58:59], v[58:59], v[60:61]
	s_delay_alu instid0(VALU_DEP_1) | instskip(NEXT) | instid1(VALU_DEP_1)
	v_add_f64_e32 v[58:59], v[70:71], v[58:59]
	v_dual_cndmask_b32 v40, v58, v56, vcc_lo :: v_dual_cndmask_b32 v44, v59, v57, vcc_lo
	v_cmp_neq_f64_e32 vcc_lo, 0, v[56:57]
	v_fract_f64_e32 v[56:57], v[4:5]
	s_delay_alu instid0(VALU_DEP_3) | instskip(NEXT) | instid1(VALU_DEP_4)
	v_cndmask_b32_e32 v59, 0xfff00000, v44, vcc_lo
	v_cndmask_b32_e32 v58, 0, v40, vcc_lo
	s_delay_alu instid0(VALU_DEP_3) | instskip(NEXT) | instid1(VALU_DEP_2)
	v_cmp_eq_f64_e32 vcc_lo, 0, v[56:57]
	v_add_f64_e64 v[54:55], v[58:59], -v[54:55]
	s_or_b32 s0, s0, vcc_lo
	s_delay_alu instid0(VALU_DEP_1) | instid1(SALU_CYCLE_1)
	v_cndmask_b32_e64 v55, v55, 0x7ff00000, s0
	s_delay_alu instid0(VALU_DEP_2)
	v_cndmask_b32_e64 v54, v54, 0, s0
	s_branch .LBB12_160
.LBB12_297:
	s_sendmsg sendmsg(MSG_DEALLOC_VGPRS)
	s_endpgm
	.section	.rodata,"a",@progbits
	.p2align	6, 0x0
	.amdhsa_kernel _ZN2at6native12_GLOBAL__N_125multi_tensor_apply_kernelINS1_18TensorListMetadataILi1EEENS1_14UnaryOpFunctorIdLi1ELi1ELi0EEEJNS0_6LgammaIdEEEEEvT_T0_DpT1_
		.amdhsa_group_segment_fixed_size 0
		.amdhsa_private_segment_fixed_size 0
		.amdhsa_kernarg_size 3632
		.amdhsa_user_sgpr_count 2
		.amdhsa_user_sgpr_dispatch_ptr 0
		.amdhsa_user_sgpr_queue_ptr 0
		.amdhsa_user_sgpr_kernarg_segment_ptr 1
		.amdhsa_user_sgpr_dispatch_id 0
		.amdhsa_user_sgpr_kernarg_preload_length 0
		.amdhsa_user_sgpr_kernarg_preload_offset 0
		.amdhsa_user_sgpr_private_segment_size 0
		.amdhsa_wavefront_size32 1
		.amdhsa_uses_dynamic_stack 0
		.amdhsa_enable_private_segment 0
		.amdhsa_system_sgpr_workgroup_id_x 1
		.amdhsa_system_sgpr_workgroup_id_y 0
		.amdhsa_system_sgpr_workgroup_id_z 0
		.amdhsa_system_sgpr_workgroup_info 0
		.amdhsa_system_vgpr_workitem_id 0
		.amdhsa_next_free_vgpr 98
		.amdhsa_next_free_sgpr 49
		.amdhsa_named_barrier_count 0
		.amdhsa_reserve_vcc 1
		.amdhsa_float_round_mode_32 0
		.amdhsa_float_round_mode_16_64 0
		.amdhsa_float_denorm_mode_32 3
		.amdhsa_float_denorm_mode_16_64 3
		.amdhsa_fp16_overflow 0
		.amdhsa_memory_ordered 1
		.amdhsa_forward_progress 1
		.amdhsa_inst_pref_size 255
		.amdhsa_round_robin_scheduling 0
		.amdhsa_exception_fp_ieee_invalid_op 0
		.amdhsa_exception_fp_denorm_src 0
		.amdhsa_exception_fp_ieee_div_zero 0
		.amdhsa_exception_fp_ieee_overflow 0
		.amdhsa_exception_fp_ieee_underflow 0
		.amdhsa_exception_fp_ieee_inexact 0
		.amdhsa_exception_int_div_zero 0
	.end_amdhsa_kernel
	.section	.text._ZN2at6native12_GLOBAL__N_125multi_tensor_apply_kernelINS1_18TensorListMetadataILi1EEENS1_14UnaryOpFunctorIdLi1ELi1ELi0EEEJNS0_6LgammaIdEEEEEvT_T0_DpT1_,"axG",@progbits,_ZN2at6native12_GLOBAL__N_125multi_tensor_apply_kernelINS1_18TensorListMetadataILi1EEENS1_14UnaryOpFunctorIdLi1ELi1ELi0EEEJNS0_6LgammaIdEEEEEvT_T0_DpT1_,comdat
.Lfunc_end12:
	.size	_ZN2at6native12_GLOBAL__N_125multi_tensor_apply_kernelINS1_18TensorListMetadataILi1EEENS1_14UnaryOpFunctorIdLi1ELi1ELi0EEEJNS0_6LgammaIdEEEEEvT_T0_DpT1_, .Lfunc_end12-_ZN2at6native12_GLOBAL__N_125multi_tensor_apply_kernelINS1_18TensorListMetadataILi1EEENS1_14UnaryOpFunctorIdLi1ELi1ELi0EEEJNS0_6LgammaIdEEEEEvT_T0_DpT1_
                                        ; -- End function
	.set _ZN2at6native12_GLOBAL__N_125multi_tensor_apply_kernelINS1_18TensorListMetadataILi1EEENS1_14UnaryOpFunctorIdLi1ELi1ELi0EEEJNS0_6LgammaIdEEEEEvT_T0_DpT1_.num_vgpr, 98
	.set _ZN2at6native12_GLOBAL__N_125multi_tensor_apply_kernelINS1_18TensorListMetadataILi1EEENS1_14UnaryOpFunctorIdLi1ELi1ELi0EEEJNS0_6LgammaIdEEEEEvT_T0_DpT1_.num_agpr, 0
	.set _ZN2at6native12_GLOBAL__N_125multi_tensor_apply_kernelINS1_18TensorListMetadataILi1EEENS1_14UnaryOpFunctorIdLi1ELi1ELi0EEEJNS0_6LgammaIdEEEEEvT_T0_DpT1_.numbered_sgpr, 49
	.set _ZN2at6native12_GLOBAL__N_125multi_tensor_apply_kernelINS1_18TensorListMetadataILi1EEENS1_14UnaryOpFunctorIdLi1ELi1ELi0EEEJNS0_6LgammaIdEEEEEvT_T0_DpT1_.num_named_barrier, 0
	.set _ZN2at6native12_GLOBAL__N_125multi_tensor_apply_kernelINS1_18TensorListMetadataILi1EEENS1_14UnaryOpFunctorIdLi1ELi1ELi0EEEJNS0_6LgammaIdEEEEEvT_T0_DpT1_.private_seg_size, 0
	.set _ZN2at6native12_GLOBAL__N_125multi_tensor_apply_kernelINS1_18TensorListMetadataILi1EEENS1_14UnaryOpFunctorIdLi1ELi1ELi0EEEJNS0_6LgammaIdEEEEEvT_T0_DpT1_.uses_vcc, 1
	.set _ZN2at6native12_GLOBAL__N_125multi_tensor_apply_kernelINS1_18TensorListMetadataILi1EEENS1_14UnaryOpFunctorIdLi1ELi1ELi0EEEJNS0_6LgammaIdEEEEEvT_T0_DpT1_.uses_flat_scratch, 0
	.set _ZN2at6native12_GLOBAL__N_125multi_tensor_apply_kernelINS1_18TensorListMetadataILi1EEENS1_14UnaryOpFunctorIdLi1ELi1ELi0EEEJNS0_6LgammaIdEEEEEvT_T0_DpT1_.has_dyn_sized_stack, 0
	.set _ZN2at6native12_GLOBAL__N_125multi_tensor_apply_kernelINS1_18TensorListMetadataILi1EEENS1_14UnaryOpFunctorIdLi1ELi1ELi0EEEJNS0_6LgammaIdEEEEEvT_T0_DpT1_.has_recursion, 0
	.set _ZN2at6native12_GLOBAL__N_125multi_tensor_apply_kernelINS1_18TensorListMetadataILi1EEENS1_14UnaryOpFunctorIdLi1ELi1ELi0EEEJNS0_6LgammaIdEEEEEvT_T0_DpT1_.has_indirect_call, 0
	.section	.AMDGPU.csdata,"",@progbits
; Kernel info:
; codeLenInByte = 53736
; TotalNumSgprs: 51
; NumVgprs: 98
; ScratchSize: 0
; MemoryBound: 1
; FloatMode: 240
; IeeeMode: 1
; LDSByteSize: 0 bytes/workgroup (compile time only)
; SGPRBlocks: 0
; VGPRBlocks: 6
; NumSGPRsForWavesPerEU: 51
; NumVGPRsForWavesPerEU: 98
; NamedBarCnt: 0
; Occupancy: 9
; WaveLimiterHint : 0
; COMPUTE_PGM_RSRC2:SCRATCH_EN: 0
; COMPUTE_PGM_RSRC2:USER_SGPR: 2
; COMPUTE_PGM_RSRC2:TRAP_HANDLER: 0
; COMPUTE_PGM_RSRC2:TGID_X_EN: 1
; COMPUTE_PGM_RSRC2:TGID_Y_EN: 0
; COMPUTE_PGM_RSRC2:TGID_Z_EN: 0
; COMPUTE_PGM_RSRC2:TIDIG_COMP_CNT: 0
	.section	.text._ZN2at6native12_GLOBAL__N_125multi_tensor_apply_kernelINS1_18TensorListMetadataILi1EEENS1_14UnaryOpFunctorIfLi1ELi1ELi0EEEJNS0_6LgammaIfEEEEEvT_T0_DpT1_,"axG",@progbits,_ZN2at6native12_GLOBAL__N_125multi_tensor_apply_kernelINS1_18TensorListMetadataILi1EEENS1_14UnaryOpFunctorIfLi1ELi1ELi0EEEJNS0_6LgammaIfEEEEEvT_T0_DpT1_,comdat
	.globl	_ZN2at6native12_GLOBAL__N_125multi_tensor_apply_kernelINS1_18TensorListMetadataILi1EEENS1_14UnaryOpFunctorIfLi1ELi1ELi0EEEJNS0_6LgammaIfEEEEEvT_T0_DpT1_ ; -- Begin function _ZN2at6native12_GLOBAL__N_125multi_tensor_apply_kernelINS1_18TensorListMetadataILi1EEENS1_14UnaryOpFunctorIfLi1ELi1ELi0EEEJNS0_6LgammaIfEEEEEvT_T0_DpT1_
	.p2align	8
	.type	_ZN2at6native12_GLOBAL__N_125multi_tensor_apply_kernelINS1_18TensorListMetadataILi1EEENS1_14UnaryOpFunctorIfLi1ELi1ELi0EEEJNS0_6LgammaIfEEEEEvT_T0_DpT1_,@function
_ZN2at6native12_GLOBAL__N_125multi_tensor_apply_kernelINS1_18TensorListMetadataILi1EEENS1_14UnaryOpFunctorIfLi1ELi1ELi0EEEJNS0_6LgammaIfEEEEEvT_T0_DpT1_: ; @_ZN2at6native12_GLOBAL__N_125multi_tensor_apply_kernelINS1_18TensorListMetadataILi1EEENS1_14UnaryOpFunctorIfLi1ELi1ELi0EEEJNS0_6LgammaIfEEEEEvT_T0_DpT1_
; %bb.0:
	s_bfe_u32 s2, ttmp6, 0x4000c
	s_and_b32 s3, ttmp6, 15
	s_add_co_i32 s2, s2, 1
	s_getreg_b32 s4, hwreg(HW_REG_IB_STS2, 6, 4)
	s_mul_i32 s2, ttmp9, s2
	s_delay_alu instid0(SALU_CYCLE_1)
	s_add_co_i32 s3, s3, s2
	s_cmp_eq_u32 s4, 0
	s_cselect_b32 s2, ttmp9, s3
	s_mov_b32 s3, 0
	s_load_u8 s10, s[0:1], s2 offset:0x6e0
	s_add_nc_u64 s[4:5], s[0:1], s[2:3]
	s_mul_u64 s[6:7], s[2:3], 3
	s_delay_alu instid0(SALU_CYCLE_1)
	s_add_nc_u64 s[4:5], s[4:5], s[6:7]
	s_load_b32 s6, s[4:5], 0x820
	s_wait_kmcnt 0x0
	s_clause 0x1
	s_load_b64 s[12:13], s[0:1], s10 offset:0x0 scale_offset
	s_load_b64 s[8:9], s[0:1], s10 offset:0x370 scale_offset
	s_ashr_i32 s7, s6, 31
	s_wait_kmcnt 0x0
	s_and_b64 s[4:5], s[12:13], 15
	s_and_b32 s2, s8, 3
	s_lshl_b64 s[14:15], s[6:7], 18
	s_or_b64 s[2:3], s[4:5], s[2:3]
	s_lshl_b64 s[4:5], s[6:7], 16
	s_cmp_eq_u64 s[2:3], 0
	s_sub_nc_u64 s[16:17], s[8:9], s[4:5]
	s_cbranch_scc1 .LBB13_173
; %bb.1:
	v_cmp_lt_i64_e64 s2, s[16:17], 1
	s_and_b32 vcc_lo, exec_lo, s2
	s_cbranch_vccnz .LBB13_172
; %bb.2:
	s_load_b32 s2, s[0:1], 0xd3c
	v_min_i64 v[2:3], 0x10000, s[16:17]
	v_min_u64 v[4:5], 0x10000, s[16:17]
	v_dual_mov_b32 v1, 0 :: v_dual_lshlrev_b32 v8, 2, v0
	s_mov_b32 s3, 0
	s_add_nc_u64 s[4:5], s[12:13], s[14:15]
	s_mov_b32 s7, s3
	s_delay_alu instid0(VALU_DEP_1) | instskip(SKIP_3) | instid1(VALU_DEP_2)
	v_dual_mov_b32 v9, v1 :: v_dual_mov_b32 v15, v1
	s_mov_b32 s9, s3
	v_mov_b64_e32 v[16:17], 0x4040000040000000
	s_mov_b64 s[18:19], 0
	v_add_nc_u64_e32 v[8:9], s[4:5], v[8:9]
	s_mov_b32 s11, 0xbad5c4e8
	s_mov_b32 s28, 0x3805ff67
	;; [unrolled: 1-line block ×6, first 2 shown]
	s_wait_kmcnt 0x0
	s_and_b32 s2, s2, 0xffff
	s_mov_b32 s34, 0xb9a3f927
	v_add_nc_u64_e32 v[6:7], s[2:3], v[0:1]
	s_lshl_b32 s6, s2, 1
	s_mul_i32 s8, s2, 3
	v_add_nc_u64_e32 v[12:13], s[6:7], v[0:1]
	v_add_nc_u64_e32 v[10:11], s[8:9], v[0:1]
	s_mov_b32 s21, s3
	s_mov_b32 s23, s3
	v_lshlrev_b32_e32 v14, 2, v6
	s_mov_b32 s25, s3
	s_lshl_b32 s20, s2, 2
	s_lshl_b32 s22, s2, 4
	s_mul_u64 s[26:27], s[2:3], 12
	v_add_nc_u64_e32 v[14:15], s[4:5], v[14:15]
	s_lshl_b32 s24, s2, 3
	s_mov_b32 s35, 0x39afe9f7
	s_mov_b32 s36, 0x37d383a2
	;; [unrolled: 1-line block ×6, first 2 shown]
	s_branch .LBB13_4
.LBB13_3:                               ;   in Loop: Header=BB13_4 Depth=1
	s_wait_xcnt 0x0
	s_or_b32 exec_lo, exec_lo, s2
	s_add_nc_u64 s[18:19], s[18:19], s[20:21]
	v_add_nc_u64_e32 v[8:9], s[22:23], v[8:9]
	v_cmp_ge_i64_e32 vcc_lo, s[18:19], v[2:3]
	v_add_nc_u64_e32 v[14:15], s[22:23], v[14:15]
	s_cbranch_vccnz .LBB13_172
.LBB13_4:                               ; =>This Inner Loop Header: Depth=1
	v_add_nc_u64_e32 v[18:19], s[18:19], v[0:1]
	v_mov_b32_e32 v25, 0
	s_delay_alu instid0(VALU_DEP_2)
	v_cmp_lt_u64_e64 s4, v[18:19], v[4:5]
	s_and_saveexec_b32 s2, s4
	s_cbranch_execz .LBB13_6
; %bb.5:                                ;   in Loop: Header=BB13_4 Depth=1
	global_load_b32 v25, v[8:9], off
.LBB13_6:                               ;   in Loop: Header=BB13_4 Depth=1
	s_wait_xcnt 0x0
	s_or_b32 exec_lo, exec_lo, s2
	v_add_nc_u64_e32 v[18:19], s[18:19], v[6:7]
	v_dual_mov_b32 v22, 0 :: v_dual_mov_b32 v24, 0
	s_delay_alu instid0(VALU_DEP_2)
	v_cmp_lt_u64_e64 s3, v[18:19], v[4:5]
	s_and_saveexec_b32 s2, s3
	s_cbranch_execz .LBB13_8
; %bb.7:                                ;   in Loop: Header=BB13_4 Depth=1
	global_load_b32 v24, v[14:15], off
.LBB13_8:                               ;   in Loop: Header=BB13_4 Depth=1
	s_wait_xcnt 0x0
	s_or_b32 exec_lo, exec_lo, s2
	v_add_nc_u64_e32 v[18:19], s[18:19], v[12:13]
	v_add_nc_u64_e32 v[20:21], s[24:25], v[8:9]
	s_delay_alu instid0(VALU_DEP_2)
	v_cmp_lt_u64_e64 s2, v[18:19], v[4:5]
	s_and_saveexec_b32 s5, s2
	s_cbranch_execz .LBB13_10
; %bb.9:                                ;   in Loop: Header=BB13_4 Depth=1
	global_load_b32 v22, v[20:21], off
.LBB13_10:                              ;   in Loop: Header=BB13_4 Depth=1
	s_wait_xcnt 0x0
	s_or_b32 exec_lo, exec_lo, s5
	v_add_nc_u64_e32 v[18:19], s[18:19], v[10:11]
	v_mov_b32_e32 v23, 0
	s_delay_alu instid0(VALU_DEP_2)
	v_cmp_lt_u64_e32 vcc_lo, v[18:19], v[4:5]
	v_add_nc_u64_e32 v[18:19], s[26:27], v[8:9]
	s_and_saveexec_b32 s5, vcc_lo
	s_cbranch_execz .LBB13_12
; %bb.11:                               ;   in Loop: Header=BB13_4 Depth=1
	global_load_b32 v23, v[18:19], off
.LBB13_12:                              ;   in Loop: Header=BB13_4 Depth=1
	s_wait_xcnt 0x0
	s_or_b32 exec_lo, exec_lo, s5
	s_wait_loadcnt 0x0
	v_and_b32_e32 v27, 0x7fffffff, v25
                                        ; implicit-def: $vgpr26
	s_mov_b32 s6, exec_lo
	v_cmpx_ngt_f32_e64 0x3c800000, |v25|
	s_xor_b32 s7, exec_lo, s6
	s_cbranch_execz .LBB13_42
; %bb.13:                               ;   in Loop: Header=BB13_4 Depth=1
                                        ; implicit-def: $vgpr26
	s_mov_b32 s6, exec_lo
	v_cmpx_nlt_f32_e64 |v25|, 2.0
	s_xor_b32 s8, exec_lo, s6
	s_cbranch_execz .LBB13_23
; %bb.14:                               ;   in Loop: Header=BB13_4 Depth=1
	s_mov_b32 s6, exec_lo
                                        ; implicit-def: $vgpr26
	v_cmpx_ngt_f32_e64 0x41000000, |v25|
	s_xor_b32 s6, exec_lo, s6
	s_cbranch_execz .LBB13_20
; %bb.15:                               ;   in Loop: Header=BB13_4 Depth=1
	s_mov_b32 s9, exec_lo
                                        ; implicit-def: $vgpr26
	v_cmpx_ngt_f32_e64 0x5c800000, |v25|
	s_xor_b32 s9, exec_lo, s9
	s_cbranch_execz .LBB13_17
; %bb.16:                               ;   in Loop: Header=BB13_4 Depth=1
	v_cmp_gt_f32_e64 s10, 0x800000, |v25|
	s_delay_alu instid0(VALU_DEP_1) | instskip(NEXT) | instid1(VALU_DEP_1)
	v_cndmask_b32_e64 v26, 0, 32, s10
	v_ldexp_f32 v26, |v25|, v26
	s_delay_alu instid0(VALU_DEP_1) | instskip(SKIP_1) | instid1(TRANS32_DEP_1)
	v_log_f32_e32 v26, v26
	v_nop
	v_mul_f32_e32 v28, 0x3f317217, v26
	v_cmp_gt_f32_e64 s5, 0x7f800000, |v26|
	s_delay_alu instid0(VALU_DEP_2) | instskip(NEXT) | instid1(VALU_DEP_1)
	v_fma_f32 v29, 0x3f317217, v26, -v28
	v_fmac_f32_e32 v29, 0x3377d1cf, v26
	s_delay_alu instid0(VALU_DEP_1) | instskip(NEXT) | instid1(VALU_DEP_1)
	v_add_f32_e32 v28, v28, v29
	v_cndmask_b32_e64 v26, v26, v28, s5
	v_cndmask_b32_e64 v28, 0, 0x41b17218, s10
	s_delay_alu instid0(VALU_DEP_1) | instskip(NEXT) | instid1(VALU_DEP_1)
	v_sub_f32_e32 v26, v26, v28
	v_fma_f32 v26, |v25|, v26, -|v25|
.LBB13_17:                              ;   in Loop: Header=BB13_4 Depth=1
	s_and_not1_saveexec_b32 s9, s9
	s_cbranch_execz .LBB13_19
; %bb.18:                               ;   in Loop: Header=BB13_4 Depth=1
	v_cmp_gt_f32_e64 s10, 0x800000, |v25|
	v_rcp_f32_e64 v28, |v25|
	s_delay_alu instid0(VALU_DEP_1) | instskip(NEXT) | instid1(VALU_DEP_1)
	v_cndmask_b32_e64 v26, 0, 32, s10
	v_ldexp_f32 v26, |v25|, v26
	s_delay_alu instid0(VALU_DEP_1) | instskip(SKIP_1) | instid1(TRANS32_DEP_1)
	v_log_f32_e32 v26, v26
	v_nop
	v_dual_mul_f32 v29, v28, v28 :: v_dual_mul_f32 v30, 0x3f317217, v26
	v_cmp_gt_f32_e64 s5, 0x7f800000, |v26|
	s_delay_alu instid0(VALU_DEP_2) | instskip(NEXT) | instid1(VALU_DEP_1)
	v_fma_f32 v32, 0x3f317217, v26, -v30
	v_fmac_f32_e32 v32, 0x3377d1cf, v26
	s_delay_alu instid0(VALU_DEP_1) | instskip(NEXT) | instid1(VALU_DEP_1)
	v_dual_fmaak_f32 v31, s11, v29, 0x3a5b3dd2 :: v_dual_add_f32 v30, v30, v32
	v_cndmask_b32_e64 v26, v26, v30, s5
	v_cndmask_b32_e64 v30, 0, 0x41b17218, s10
	s_delay_alu instid0(VALU_DEP_1) | instskip(NEXT) | instid1(VALU_DEP_1)
	v_dual_fmaak_f32 v31, v29, v31, 0xba1c065c :: v_dual_sub_f32 v30, v26, v30
	v_fmaak_f32 v31, v29, v31, 0x3a500cfd
	s_delay_alu instid0(VALU_DEP_1) | instskip(NEXT) | instid1(VALU_DEP_1)
	v_fmaak_f32 v31, v29, v31, 0xbb360b61
	v_fmaak_f32 v29, v29, v31, 0x3daaaaab
	s_delay_alu instid0(VALU_DEP_1) | instskip(SKIP_2) | instid1(VALU_DEP_1)
	v_fmaak_f32 v26, v28, v29, 0x3ed67f1d
	v_add_f32_e64 v28, |v25|, -0.5
	v_add_f32_e32 v29, -1.0, v30
	v_fmac_f32_e32 v26, v28, v29
.LBB13_19:                              ;   in Loop: Header=BB13_4 Depth=1
	s_or_b32 exec_lo, exec_lo, s9
.LBB13_20:                              ;   in Loop: Header=BB13_4 Depth=1
	s_and_not1_saveexec_b32 s9, s6
	s_cbranch_execz .LBB13_22
; %bb.21:                               ;   in Loop: Header=BB13_4 Depth=1
	v_cvt_i32_f32_e32 v30, v27
	s_delay_alu instid0(VALU_DEP_1) | instskip(SKIP_1) | instid1(VALU_DEP_2)
	v_cvt_f32_i32_e32 v26, v30
	v_cmp_lt_i32_e64 s5, 3, v30
	v_sub_f32_e64 v26, |v25|, v26
	s_delay_alu instid0(VALU_DEP_1) | instskip(SKIP_1) | instid1(VALU_DEP_2)
	v_pk_add_f32 v[28:29], v[26:27], v[16:17] op_sel_hi:[0,1]
	v_dual_add_f32 v31, 4.0, v26 :: v_dual_add_f32 v32, 0x40a00000, v26
	v_cndmask_b32_e64 v29, 1.0, v29, s5
	v_cmp_lt_i32_e64 s5, 2, v30
	s_delay_alu instid0(VALU_DEP_1) | instskip(SKIP_1) | instid1(VALU_DEP_1)
	v_cndmask_b32_e64 v28, 1.0, v28, s5
	v_cmp_lt_i32_e64 s5, 4, v30
	v_dual_cndmask_b32 v31, 1.0, v31, s5 :: v_dual_mul_f32 v28, v28, v29
	v_add_f32_e32 v29, 0x40c00000, v26
	v_cmp_lt_i32_e64 s5, 5, v30
	s_delay_alu instid0(VALU_DEP_3) | instskip(NEXT) | instid1(VALU_DEP_2)
	v_dual_mul_f32 v28, v31, v28 :: v_dual_fmaak_f32 v31, s28, v26, 0x3af135b4
	v_cndmask_b32_e64 v32, 1.0, v32, s5
	v_cmp_lt_i32_e64 s5, 6, v30
	s_delay_alu instid0(VALU_DEP_1) | instskip(NEXT) | instid1(VALU_DEP_1)
	v_dual_cndmask_b32 v29, 1.0, v29, s5 :: v_dual_mul_f32 v28, v32, v28
	v_dual_mul_f32 v28, v29, v28 :: v_dual_fmaak_f32 v29, s29, v26, 0x3a4beed6
	s_delay_alu instid0(VALU_DEP_1) | instskip(NEXT) | instid1(VALU_DEP_2)
	v_fmaak_f32 v29, v26, v29, 0x3c98bf54
	v_cmp_gt_f32_e64 s5, 0x800000, v28
	s_delay_alu instid0(VALU_DEP_1) | instskip(NEXT) | instid1(VALU_DEP_1)
	v_cndmask_b32_e64 v30, 0, 32, s5
	v_ldexp_f32 v28, v28, v30
	v_fmaak_f32 v30, v26, v31, 0x3cda40e4
	s_delay_alu instid0(VALU_DEP_2) | instskip(SKIP_1) | instid1(TRANS32_DEP_1)
	v_log_f32_e32 v28, v28
	v_nop
	v_mul_f32_e32 v31, 0x3f317217, v28
	v_cmp_gt_f32_e64 s6, 0x7f800000, |v28|
	s_delay_alu instid0(VALU_DEP_2) | instskip(NEXT) | instid1(VALU_DEP_1)
	v_fma_f32 v32, 0x3f317217, v28, -v31
	v_fmac_f32_e32 v32, 0x3377d1cf, v28
	s_delay_alu instid0(VALU_DEP_1) | instskip(NEXT) | instid1(VALU_DEP_1)
	v_dual_add_f32 v31, v31, v32 :: v_dual_fmaak_f32 v30, v26, v30, 0x3e15dce6
	v_cndmask_b32_e64 v28, v28, v31, s6
	s_delay_alu instid0(VALU_DEP_2) | instskip(NEXT) | instid1(VALU_DEP_1)
	v_fmaak_f32 v30, v26, v30, 0x3ea6cc7a
	v_fmaak_f32 v30, v26, v30, 0x3e5c245a
	s_delay_alu instid0(VALU_DEP_1) | instskip(NEXT) | instid1(VALU_DEP_1)
	v_fmaak_f32 v30, v26, v30, 0xbd9e233f
	v_dual_fmaak_f32 v29, v26, v29, 0x3e300f6e :: v_dual_mul_f32 v30, v26, v30
	s_delay_alu instid0(VALU_DEP_1) | instskip(NEXT) | instid1(VALU_DEP_1)
	v_fmaak_f32 v29, v26, v29, 0x3f38d0c5
	v_fmaak_f32 v29, v26, v29, 0x3fb22d3b
	s_delay_alu instid0(VALU_DEP_1) | instskip(NEXT) | instid1(VALU_DEP_1)
	v_fma_f32 v29, v26, v29, 1.0
	v_rcp_f32_e32 v29, v29
	v_nop
	s_delay_alu instid0(TRANS32_DEP_1) | instskip(SKIP_1) | instid1(VALU_DEP_2)
	v_mul_f32_e32 v29, v30, v29
	v_cndmask_b32_e64 v30, 0, 0x41b17218, s5
	v_fmac_f32_e32 v29, 0.5, v26
	s_delay_alu instid0(VALU_DEP_2) | instskip(NEXT) | instid1(VALU_DEP_1)
	v_sub_f32_e32 v26, v28, v30
	v_add_f32_e32 v26, v26, v29
.LBB13_22:                              ;   in Loop: Header=BB13_4 Depth=1
	s_or_b32 exec_lo, exec_lo, s9
.LBB13_23:                              ;   in Loop: Header=BB13_4 Depth=1
	s_and_not1_saveexec_b32 s8, s8
	s_cbranch_execz .LBB13_41
; %bb.24:                               ;   in Loop: Header=BB13_4 Depth=1
                                        ; implicit-def: $vgpr26
                                        ; implicit-def: $vgpr29
                                        ; implicit-def: $vgpr28
	s_mov_b32 s6, exec_lo
	v_cmpx_ge_f32_e64 0x3f666666, |v25|
	s_xor_b32 s9, exec_lo, s6
	s_cbranch_execz .LBB13_26
; %bb.25:                               ;   in Loop: Header=BB13_4 Depth=1
	v_cmp_gt_f32_e64 s6, 0x800000, |v25|
	v_sub_f32_e64 v30, 1.0, |v25|
	v_cmp_gt_f32_e64 s5, 0x3f3b4a23, |v25|
	s_delay_alu instid0(VALU_DEP_3) | instskip(SKIP_1) | instid1(VALU_DEP_2)
	v_cndmask_b32_e64 v26, 0, 32, s6
	v_cndmask_b32_e64 v31, 0, 0x41b17218, s6
	v_ldexp_f32 v26, |v25|, v26
	s_delay_alu instid0(VALU_DEP_1) | instskip(SKIP_1) | instid1(TRANS32_DEP_1)
	v_log_f32_e32 v26, v26
	v_nop
	v_mul_f32_e32 v28, 0x3f317217, v26
	v_cmp_gt_f32_e64 s6, 0x7f800000, |v26|
	s_delay_alu instid0(VALU_DEP_2) | instskip(NEXT) | instid1(VALU_DEP_1)
	v_fma_f32 v29, 0x3f317217, v26, -v28
	v_fmac_f32_e32 v29, 0x3377d1cf, v26
	s_delay_alu instid0(VALU_DEP_1) | instskip(SKIP_1) | instid1(VALU_DEP_2)
	v_add_f32_e32 v28, v28, v29
	v_add_f32_e64 v29, 0xbeec5b0c, |v25|
	v_cndmask_b32_e64 v26, v26, v28, s6
	s_delay_alu instid0(VALU_DEP_2) | instskip(SKIP_2) | instid1(VALU_DEP_4)
	v_cndmask_b32_e64 v28, v30, v29, s5
	v_cndmask_b32_e64 v29, 0, 1, s5
	v_cmp_gt_f32_e64 s5, 0x3e6d3309, |v25|
	v_sub_f32_e32 v26, v26, v31
	s_delay_alu instid0(VALU_DEP_2) | instskip(NEXT) | instid1(VALU_DEP_4)
	v_cndmask_b32_e64 v28, v28, |v25|, s5
	v_cndmask_b32_e64 v29, v29, 2, s5
	s_delay_alu instid0(VALU_DEP_3)
	v_xor_b32_e32 v26, 0x80000000, v26
.LBB13_26:                              ;   in Loop: Header=BB13_4 Depth=1
	s_and_not1_saveexec_b32 s6, s9
	s_cbranch_execz .LBB13_28
; %bb.27:                               ;   in Loop: Header=BB13_4 Depth=1
	v_sub_f32_e64 v26, 2.0, |v25|
	v_add_f32_e64 v28, 0xbfbb16c3, |v25|
	v_cmp_gt_f32_e64 s5, 0x3fdda512, |v25|
	v_add_f32_e64 v29, |v25|, -1.0
	s_delay_alu instid0(VALU_DEP_2) | instskip(SKIP_2) | instid1(VALU_DEP_2)
	v_cndmask_b32_e64 v28, v26, v28, s5
	v_cndmask_b32_e64 v26, v26, 1.0, s5
	v_cmp_gt_f32_e64 s5, 0x3f9d70a4, |v25|
	v_cvt_i32_f32_e32 v26, v26
	s_delay_alu instid0(VALU_DEP_2) | instskip(NEXT) | instid1(VALU_DEP_2)
	v_cndmask_b32_e64 v28, v28, v29, s5
	v_cndmask_b32_e64 v29, v26, 2, s5
	v_mov_b32_e32 v26, 0
.LBB13_28:                              ;   in Loop: Header=BB13_4 Depth=1
	s_or_b32 exec_lo, exec_lo, s6
	s_delay_alu instid0(SALU_CYCLE_1) | instskip(NEXT) | instid1(VALU_DEP_2)
	s_mov_b32 s6, exec_lo
	v_cmpx_lt_i32_e32 0, v29
	s_xor_b32 s6, exec_lo, s6
	s_cbranch_execz .LBB13_36
; %bb.29:                               ;   in Loop: Header=BB13_4 Depth=1
	s_mov_b32 s9, exec_lo
	v_cmpx_lt_i32_e32 1, v29
	s_xor_b32 s9, exec_lo, s9
	s_cbranch_execz .LBB13_33
; %bb.30:                               ;   in Loop: Header=BB13_4 Depth=1
	s_mov_b32 s10, exec_lo
	v_cmpx_eq_u32_e32 2, v29
	s_cbranch_execz .LBB13_32
; %bb.31:                               ;   in Loop: Header=BB13_4 Depth=1
	v_fmaak_f32 v30, s30, v28, 0x3e6a7578
	s_delay_alu instid0(VALU_DEP_1) | instskip(NEXT) | instid1(VALU_DEP_1)
	v_fmaak_f32 v30, v28, v30, 0x3f7a4bb2
	v_fmaak_f32 v30, v28, v30, 0x3fba3ae7
	s_delay_alu instid0(VALU_DEP_1) | instskip(NEXT) | instid1(VALU_DEP_1)
	v_fmaak_f32 v30, v28, v30, 0x3f2200f4
	v_fmaak_f32 v30, v28, v30, 0xbd9e233f
	s_delay_alu instid0(VALU_DEP_1) | instskip(NEXT) | instid1(VALU_DEP_1)
	v_dual_fmaak_f32 v29, s31, v28, 0x3dd572af :: v_dual_mul_f32 v30, v28, v30
	v_fmaak_f32 v29, v28, v29, 0x3f44efdf
	s_delay_alu instid0(VALU_DEP_1) | instskip(NEXT) | instid1(VALU_DEP_1)
	v_fmaak_f32 v29, v28, v29, 0x4008392d
	v_fmaak_f32 v29, v28, v29, 0x401d2ebe
	s_delay_alu instid0(VALU_DEP_1) | instskip(NEXT) | instid1(VALU_DEP_1)
	v_fma_f32 v29, v28, v29, 1.0
	v_rcp_f32_e32 v29, v29
	v_nop
	s_delay_alu instid0(TRANS32_DEP_1) | instskip(NEXT) | instid1(VALU_DEP_1)
	v_mul_f32_e32 v29, v30, v29
	v_fmac_f32_e32 v29, -0.5, v28
	s_delay_alu instid0(VALU_DEP_1)
	v_add_f32_e32 v26, v26, v29
.LBB13_32:                              ;   in Loop: Header=BB13_4 Depth=1
	s_or_b32 exec_lo, exec_lo, s10
                                        ; implicit-def: $vgpr28
.LBB13_33:                              ;   in Loop: Header=BB13_4 Depth=1
	s_and_not1_saveexec_b32 s5, s9
	s_cbranch_execz .LBB13_35
; %bb.34:                               ;   in Loop: Header=BB13_4 Depth=1
	v_mul_f32_e32 v29, v28, v28
	s_delay_alu instid0(VALU_DEP_1) | instskip(NEXT) | instid1(VALU_DEP_1)
	v_mul_f32_e32 v30, v28, v29
	v_fmaak_f32 v31, s34, v30, 0x3a66f867
	v_fmaak_f32 v32, s35, v30, 0xba0d3085
	s_delay_alu instid0(VALU_DEP_2) | instskip(NEXT) | instid1(VALU_DEP_2)
	v_fmaak_f32 v31, v30, v31, 0xbb7177fe
	v_fmaak_f32 v32, v30, v32, 0x3b141699
	s_delay_alu instid0(VALU_DEP_2) | instskip(NEXT) | instid1(VALU_DEP_2)
	;; [unrolled: 3-line block ×3, first 2 shown]
	v_fmaak_f32 v31, v30, v31, 0xbe17213c
	v_fmaak_f32 v32, v30, v32, 0x3d845a15
	s_delay_alu instid0(VALU_DEP_1) | instskip(SKIP_1) | instid1(VALU_DEP_1)
	v_fmac_f32_e32 v31, v28, v32
	v_fmaak_f32 v33, s33, v30, 0xbab7f476
	v_fmaak_f32 v33, v30, v33, 0x3bc7e707
	s_delay_alu instid0(VALU_DEP_1) | instskip(NEXT) | instid1(VALU_DEP_1)
	v_fmaak_f32 v33, v30, v33, 0xbd064d47
	v_fmaak_f32 v28, v30, v33, 0x3ef7b95e
	v_fma_f32 v30, v30, -v31, 0xa2863e55
	s_delay_alu instid0(VALU_DEP_1) | instskip(NEXT) | instid1(VALU_DEP_1)
	v_fma_f32 v28, v29, v28, -v30
	v_add_f32_e32 v28, 0xbdf8cdce, v28
	s_delay_alu instid0(VALU_DEP_1)
	v_add_f32_e32 v26, v26, v28
.LBB13_35:                              ;   in Loop: Header=BB13_4 Depth=1
	s_or_b32 exec_lo, exec_lo, s5
                                        ; implicit-def: $vgpr29
                                        ; implicit-def: $vgpr28
.LBB13_36:                              ;   in Loop: Header=BB13_4 Depth=1
	s_and_not1_saveexec_b32 s6, s6
	s_cbranch_execz .LBB13_40
; %bb.37:                               ;   in Loop: Header=BB13_4 Depth=1
	s_mov_b32 s9, exec_lo
	v_cmpx_eq_u32_e32 0, v29
	s_cbranch_execz .LBB13_39
; %bb.38:                               ;   in Loop: Header=BB13_4 Depth=1
	v_mul_f32_e32 v29, v28, v28
	s_delay_alu instid0(VALU_DEP_1) | instskip(NEXT) | instid1(VALU_DEP_1)
	v_fmaak_f32 v31, s36, v29, 0x39679767
	v_fmaak_f32 v31, v29, v31, 0x3a9c54a1
	s_delay_alu instid0(VALU_DEP_1) | instskip(NEXT) | instid1(VALU_DEP_1)
	v_fmaak_f32 v31, v29, v31, 0x3bf2027e
	v_fmaak_f32 v31, v29, v31, 0x3d89f001
	s_delay_alu instid0(VALU_DEP_1) | instskip(SKIP_1) | instid1(VALU_DEP_1)
	v_fmaak_f32 v31, v29, v31, 0x3d9e233f
	v_fmaak_f32 v30, s37, v29, 0x38e28445
	;; [unrolled: 1-line block ×3, first 2 shown]
	s_delay_alu instid0(VALU_DEP_1) | instskip(NEXT) | instid1(VALU_DEP_1)
	v_fmaak_f32 v30, v29, v30, 0x3b3d6ec6
	v_fmaak_f32 v30, v29, v30, 0x3ca89915
	s_delay_alu instid0(VALU_DEP_1) | instskip(NEXT) | instid1(VALU_DEP_1)
	v_fmaak_f32 v30, v29, v30, 0x3ea51a66
	v_mul_f32_e32 v29, v29, v30
	s_delay_alu instid0(VALU_DEP_1) | instskip(NEXT) | instid1(VALU_DEP_1)
	v_fmac_f32_e32 v29, v28, v31
	v_fmac_f32_e32 v29, -0.5, v28
	s_delay_alu instid0(VALU_DEP_1)
	v_add_f32_e32 v26, v26, v29
.LBB13_39:                              ;   in Loop: Header=BB13_4 Depth=1
	s_or_b32 exec_lo, exec_lo, s9
.LBB13_40:                              ;   in Loop: Header=BB13_4 Depth=1
	s_delay_alu instid0(SALU_CYCLE_1)
	s_or_b32 exec_lo, exec_lo, s6
.LBB13_41:                              ;   in Loop: Header=BB13_4 Depth=1
	s_delay_alu instid0(SALU_CYCLE_1)
	s_or_b32 exec_lo, exec_lo, s8
.LBB13_42:                              ;   in Loop: Header=BB13_4 Depth=1
	s_and_not1_saveexec_b32 s6, s7
	s_cbranch_execz .LBB13_44
; %bb.43:                               ;   in Loop: Header=BB13_4 Depth=1
	v_cmp_gt_f32_e64 s7, 0x800000, |v25|
	v_fma_f32 v30, |v25|, s38, 0xbecd26ab
	s_delay_alu instid0(VALU_DEP_2) | instskip(NEXT) | instid1(VALU_DEP_1)
	v_cndmask_b32_e64 v26, 0, 32, s7
	v_ldexp_f32 v26, |v25|, v26
	s_delay_alu instid0(VALU_DEP_1) | instskip(SKIP_1) | instid1(TRANS32_DEP_1)
	v_log_f32_e32 v26, v26
	v_nop
	v_mul_f32_e32 v28, 0x3f317217, v26
	v_cmp_gt_f32_e64 s5, 0x7f800000, |v26|
	s_delay_alu instid0(VALU_DEP_2) | instskip(NEXT) | instid1(VALU_DEP_1)
	v_fma_f32 v29, 0x3f317217, v26, -v28
	v_fmac_f32_e32 v29, 0x3377d1cf, v26
	s_delay_alu instid0(VALU_DEP_1) | instskip(SKIP_1) | instid1(VALU_DEP_2)
	v_add_f32_e32 v28, v28, v29
	v_fma_f32 v29, |v25|, v30, 0x3f528d33
	v_cndmask_b32_e64 v26, v26, v28, s5
	v_cndmask_b32_e64 v28, 0, 0x41b17218, s7
	s_delay_alu instid0(VALU_DEP_3) | instskip(NEXT) | instid1(VALU_DEP_2)
	v_fma_f32 v29, |v25|, v29, 0xbf13c468
	v_sub_f32_e32 v26, v26, v28
	s_delay_alu instid0(VALU_DEP_1)
	v_fma_f32 v26, |v25|, v29, -v26
.LBB13_44:                              ;   in Loop: Header=BB13_4 Depth=1
	s_or_b32 exec_lo, exec_lo, s6
	v_cmp_le_f32_e64 s5, 0, v25
	s_mov_b32 s7, exec_lo
	v_cmpx_nle_f32_e32 0, v25
	s_xor_b32 s8, exec_lo, s7
	s_cbranch_execz .LBB13_48
; %bb.45:                               ;   in Loop: Header=BB13_4 Depth=1
	v_cmp_gt_f32_e64 s6, 0x4b000000, |v25|
	v_cmp_lt_f32_e64 s7, 0x35000000, |v25|
	s_and_b32 s6, s6, s7
	s_delay_alu instid0(SALU_CYCLE_1)
	s_and_saveexec_b32 s9, s6
	s_cbranch_execz .LBB13_47
; %bb.46:                               ;   in Loop: Header=BB13_4 Depth=1
	v_mul_f32_e64 v28, |v25|, 0.5
	v_xor_b32_e32 v27, v27, v25
	s_delay_alu instid0(VALU_DEP_2) | instskip(SKIP_1) | instid1(VALU_DEP_2)
	v_floor_f32_e32 v29, v28
	v_cmp_neq_f32_e64 s6, 0x7f800000, v28
	v_sub_f32_e32 v29, v28, v29
	s_delay_alu instid0(VALU_DEP_1) | instskip(NEXT) | instid1(VALU_DEP_1)
	v_min_num_f32_e32 v29, 0x3f7fffff, v29
	v_add_f32_e32 v29, v29, v29
	s_delay_alu instid0(VALU_DEP_1) | instskip(SKIP_1) | instid1(VALU_DEP_1)
	v_cndmask_b32_e64 v28, 0, v29, s6
	v_cmp_gt_f32_e64 s6, |v25|, 1.0
	v_cndmask_b32_e64 v28, |v25|, v28, s6
	s_delay_alu instid0(VALU_DEP_1) | instskip(NEXT) | instid1(VALU_DEP_1)
	v_add_f32_e32 v29, v28, v28
	v_rndne_f32_e32 v29, v29
	s_delay_alu instid0(VALU_DEP_1) | instskip(SKIP_1) | instid1(VALU_DEP_2)
	v_fmac_f32_e32 v28, -0.5, v29
	v_cvt_i32_f32_e32 v29, v29
	v_mul_f32_e32 v30, v28, v28
	s_delay_alu instid0(VALU_DEP_1) | instskip(SKIP_1) | instid1(VALU_DEP_2)
	v_fmaak_f32 v31, s39, v30, 0xbf1f24be
	v_dual_fmaak_f32 v32, s40, v30, 0x3e642e9d :: v_dual_mul_f32 v33, v28, v30
	v_fmaak_f32 v31, v30, v31, 0x40234736
	s_delay_alu instid0(VALU_DEP_2) | instskip(NEXT) | instid1(VALU_DEP_2)
	v_fmaak_f32 v32, v30, v32, 0xbfaad1da
	v_fmaak_f32 v31, v30, v31, 0xc0a55e0e
	s_delay_alu instid0(VALU_DEP_1) | instskip(NEXT) | instid1(VALU_DEP_1)
	v_mul_f32_e32 v31, v33, v31
	v_fmac_f32_e32 v31, 0x40490fdb, v28
	v_dual_lshlrev_b32 v29, 30, v29 :: v_dual_bitop2_b32 v33, 1, v29 bitop3:0x40
	v_fmaak_f32 v32, v30, v32, 0x4081e0d3
	s_delay_alu instid0(VALU_DEP_2) | instskip(NEXT) | instid1(VALU_DEP_3)
	v_cmp_eq_u32_e64 s6, 0, v33
	v_and_b32_e32 v29, 0x80000000, v29
	s_delay_alu instid0(VALU_DEP_3) | instskip(NEXT) | instid1(VALU_DEP_1)
	v_fmaak_f32 v32, v30, v32, 0xc09de9e6
	v_fma_f32 v28, v30, v32, 1.0
	s_delay_alu instid0(VALU_DEP_1) | instskip(NEXT) | instid1(VALU_DEP_1)
	v_cndmask_b32_e64 v28, v28, v31, s6
	v_xor3_b32 v27, v27, v29, v28
	s_delay_alu instid0(VALU_DEP_1) | instskip(NEXT) | instid1(VALU_DEP_1)
	v_mul_f32_e32 v27, v25, v27
	v_frexp_mant_f32_e64 v28, |v27|
	v_frexp_exp_i32_f32_e32 v27, v27
	s_delay_alu instid0(VALU_DEP_2) | instskip(SKIP_1) | instid1(TRANS32_DEP_1)
	v_rcp_f32_e32 v28, v28
	v_nop
	v_dual_mul_f32 v28, 0x3f490fdb, v28 :: v_dual_sub_nc_u32 v27, 2, v27
	s_delay_alu instid0(VALU_DEP_1) | instskip(NEXT) | instid1(VALU_DEP_1)
	v_ldexp_f32 v27, v28, v27
	v_cmp_gt_f32_e64 s6, 0x800000, v27
	s_delay_alu instid0(VALU_DEP_1) | instskip(NEXT) | instid1(VALU_DEP_1)
	v_cndmask_b32_e64 v28, 0, 32, s6
	v_ldexp_f32 v27, v27, v28
	s_delay_alu instid0(VALU_DEP_1) | instskip(SKIP_1) | instid1(TRANS32_DEP_1)
	v_log_f32_e32 v27, v27
	v_nop
	v_mul_f32_e32 v28, 0x3f317217, v27
	v_cmp_gt_f32_e64 s7, 0x7f800000, |v27|
	s_delay_alu instid0(VALU_DEP_2) | instskip(NEXT) | instid1(VALU_DEP_1)
	v_fma_f32 v29, 0x3f317217, v27, -v28
	v_fmac_f32_e32 v29, 0x3377d1cf, v27
	s_delay_alu instid0(VALU_DEP_1) | instskip(SKIP_1) | instid1(VALU_DEP_2)
	v_add_f32_e32 v28, v28, v29
	v_floor_f32_e32 v29, v25
	v_cndmask_b32_e64 v27, v27, v28, s7
	v_cndmask_b32_e64 v28, 0, 0x41b17218, s6
	s_delay_alu instid0(VALU_DEP_1) | instskip(NEXT) | instid1(VALU_DEP_1)
	v_dual_sub_f32 v29, v25, v29 :: v_dual_sub_f32 v27, v27, v28
	v_min_num_f32_e32 v28, 0x3f7fffff, v29
	s_delay_alu instid0(VALU_DEP_2) | instskip(NEXT) | instid1(VALU_DEP_2)
	v_sub_f32_e32 v26, v27, v26
	v_cmp_neq_f32_e64 s6, 0, v28
	s_delay_alu instid0(VALU_DEP_1)
	v_cndmask_b32_e64 v26, 0x7f800000, v26, s6
.LBB13_47:                              ;   in Loop: Header=BB13_4 Depth=1
	s_or_b32 exec_lo, exec_lo, s9
.LBB13_48:                              ;   in Loop: Header=BB13_4 Depth=1
	s_and_not1_saveexec_b32 s8, s8
; %bb.49:                               ;   in Loop: Header=BB13_4 Depth=1
	v_cmp_eq_f32_e64 s6, 1.0, v25
	v_cmp_eq_f32_e64 s7, 2.0, v25
	s_or_b32 s6, s6, s7
	s_delay_alu instid0(SALU_CYCLE_1)
	v_cndmask_b32_e64 v26, v26, 0, s6
; %bb.50:                               ;   in Loop: Header=BB13_4 Depth=1
	s_or_b32 exec_lo, exec_lo, s8
	v_and_b32_e32 v28, 0x7fffffff, v24
                                        ; implicit-def: $vgpr27
	s_mov_b32 s7, exec_lo
	v_cmpx_ngt_f32_e64 0x3c800000, |v24|
	s_xor_b32 s8, exec_lo, s7
	s_cbranch_execz .LBB13_80
; %bb.51:                               ;   in Loop: Header=BB13_4 Depth=1
                                        ; implicit-def: $vgpr27
	s_mov_b32 s7, exec_lo
	v_cmpx_nlt_f32_e64 |v24|, 2.0
	s_xor_b32 s9, exec_lo, s7
	s_cbranch_execz .LBB13_61
; %bb.52:                               ;   in Loop: Header=BB13_4 Depth=1
	s_mov_b32 s7, exec_lo
                                        ; implicit-def: $vgpr27
	v_cmpx_ngt_f32_e64 0x41000000, |v24|
	s_xor_b32 s7, exec_lo, s7
	s_cbranch_execz .LBB13_58
; %bb.53:                               ;   in Loop: Header=BB13_4 Depth=1
	s_mov_b32 s10, exec_lo
                                        ; implicit-def: $vgpr27
	v_cmpx_ngt_f32_e64 0x5c800000, |v24|
	s_xor_b32 s10, exec_lo, s10
	s_cbranch_execz .LBB13_55
; %bb.54:                               ;   in Loop: Header=BB13_4 Depth=1
	v_cmp_gt_f32_e64 s41, 0x800000, |v24|
	s_delay_alu instid0(VALU_DEP_1) | instskip(NEXT) | instid1(VALU_DEP_1)
	v_cndmask_b32_e64 v27, 0, 32, s41
	v_ldexp_f32 v27, |v24|, v27
	s_delay_alu instid0(VALU_DEP_1) | instskip(SKIP_1) | instid1(TRANS32_DEP_1)
	v_log_f32_e32 v27, v27
	v_nop
	v_mul_f32_e32 v29, 0x3f317217, v27
	v_cmp_gt_f32_e64 s6, 0x7f800000, |v27|
	s_delay_alu instid0(VALU_DEP_2) | instskip(NEXT) | instid1(VALU_DEP_1)
	v_fma_f32 v30, 0x3f317217, v27, -v29
	v_fmac_f32_e32 v30, 0x3377d1cf, v27
	s_delay_alu instid0(VALU_DEP_1) | instskip(NEXT) | instid1(VALU_DEP_1)
	v_add_f32_e32 v29, v29, v30
	v_cndmask_b32_e64 v27, v27, v29, s6
	v_cndmask_b32_e64 v29, 0, 0x41b17218, s41
	s_delay_alu instid0(VALU_DEP_1) | instskip(NEXT) | instid1(VALU_DEP_1)
	v_sub_f32_e32 v27, v27, v29
	v_fma_f32 v27, |v24|, v27, -|v24|
.LBB13_55:                              ;   in Loop: Header=BB13_4 Depth=1
	s_and_not1_saveexec_b32 s10, s10
	s_cbranch_execz .LBB13_57
; %bb.56:                               ;   in Loop: Header=BB13_4 Depth=1
	v_cmp_gt_f32_e64 s41, 0x800000, |v24|
	v_rcp_f32_e64 v29, |v24|
	s_delay_alu instid0(VALU_DEP_1) | instskip(NEXT) | instid1(VALU_DEP_1)
	v_cndmask_b32_e64 v27, 0, 32, s41
	v_ldexp_f32 v27, |v24|, v27
	s_delay_alu instid0(VALU_DEP_1) | instskip(SKIP_1) | instid1(TRANS32_DEP_1)
	v_log_f32_e32 v27, v27
	v_nop
	v_dual_mul_f32 v30, v29, v29 :: v_dual_mul_f32 v31, 0x3f317217, v27
	v_cmp_gt_f32_e64 s6, 0x7f800000, |v27|
	s_delay_alu instid0(VALU_DEP_2) | instskip(NEXT) | instid1(VALU_DEP_1)
	v_fma_f32 v33, 0x3f317217, v27, -v31
	v_fmac_f32_e32 v33, 0x3377d1cf, v27
	s_delay_alu instid0(VALU_DEP_1) | instskip(NEXT) | instid1(VALU_DEP_1)
	v_dual_fmaak_f32 v32, s11, v30, 0x3a5b3dd2 :: v_dual_add_f32 v31, v31, v33
	v_cndmask_b32_e64 v27, v27, v31, s6
	v_cndmask_b32_e64 v31, 0, 0x41b17218, s41
	s_delay_alu instid0(VALU_DEP_1) | instskip(NEXT) | instid1(VALU_DEP_1)
	v_dual_fmaak_f32 v32, v30, v32, 0xba1c065c :: v_dual_sub_f32 v31, v27, v31
	v_fmaak_f32 v32, v30, v32, 0x3a500cfd
	s_delay_alu instid0(VALU_DEP_1) | instskip(NEXT) | instid1(VALU_DEP_1)
	v_fmaak_f32 v32, v30, v32, 0xbb360b61
	v_fmaak_f32 v30, v30, v32, 0x3daaaaab
	s_delay_alu instid0(VALU_DEP_1) | instskip(SKIP_2) | instid1(VALU_DEP_1)
	v_fmaak_f32 v27, v29, v30, 0x3ed67f1d
	v_add_f32_e64 v29, |v24|, -0.5
	v_add_f32_e32 v30, -1.0, v31
	v_fmac_f32_e32 v27, v29, v30
.LBB13_57:                              ;   in Loop: Header=BB13_4 Depth=1
	s_or_b32 exec_lo, exec_lo, s10
.LBB13_58:                              ;   in Loop: Header=BB13_4 Depth=1
	s_and_not1_saveexec_b32 s10, s7
	s_cbranch_execz .LBB13_60
; %bb.59:                               ;   in Loop: Header=BB13_4 Depth=1
	v_cvt_i32_f32_e32 v27, v28
	s_delay_alu instid0(VALU_DEP_1) | instskip(SKIP_1) | instid1(VALU_DEP_2)
	v_cvt_f32_i32_e32 v29, v27
	v_cmp_lt_i32_e64 s6, 3, v27
	v_sub_f32_e64 v30, |v24|, v29
	s_delay_alu instid0(VALU_DEP_1) | instskip(NEXT) | instid1(VALU_DEP_1)
	v_pk_add_f32 v[32:33], v[30:31], v[16:17] op_sel_hi:[0,1]
	v_dual_add_f32 v29, 4.0, v30 :: v_dual_cndmask_b32 v31, 1.0, v33, s6
	v_cmp_lt_i32_e64 s6, 2, v27
	v_add_f32_e32 v33, 0x40a00000, v30
	s_delay_alu instid0(VALU_DEP_2) | instskip(SKIP_1) | instid1(VALU_DEP_1)
	v_cndmask_b32_e64 v32, 1.0, v32, s6
	v_cmp_lt_i32_e64 s6, 4, v27
	v_dual_cndmask_b32 v29, 1.0, v29, s6 :: v_dual_mul_f32 v31, v32, v31
	v_add_f32_e32 v32, 0x40c00000, v30
	v_cmp_lt_i32_e64 s6, 5, v27
	s_delay_alu instid0(VALU_DEP_1) | instskip(SKIP_1) | instid1(VALU_DEP_1)
	v_dual_mul_f32 v29, v29, v31 :: v_dual_cndmask_b32 v33, 1.0, v33, s6
	v_cmp_lt_i32_e64 s6, 6, v27
	v_dual_mul_f32 v29, v33, v29 :: v_dual_cndmask_b32 v27, 1.0, v32, s6
	s_delay_alu instid0(VALU_DEP_1) | instskip(NEXT) | instid1(VALU_DEP_1)
	v_dual_fmaak_f32 v32, s28, v30, 0x3af135b4 :: v_dual_mul_f32 v27, v27, v29
	v_cmp_gt_f32_e64 s6, 0x800000, v27
	s_delay_alu instid0(VALU_DEP_1) | instskip(NEXT) | instid1(VALU_DEP_1)
	v_cndmask_b32_e64 v31, 0, 32, s6
	v_ldexp_f32 v27, v27, v31
	s_delay_alu instid0(VALU_DEP_4) | instskip(NEXT) | instid1(VALU_DEP_2)
	v_fmaak_f32 v31, v30, v32, 0x3cda40e4
	v_log_f32_e32 v27, v27
	s_delay_alu instid0(VALU_DEP_1) | instskip(NEXT) | instid1(VALU_DEP_1)
	v_fmaak_f32 v31, v30, v31, 0x3e15dce6
	v_fmaak_f32 v31, v30, v31, 0x3ea6cc7a
	s_delay_alu instid0(TRANS32_DEP_1) | instskip(NEXT) | instid1(VALU_DEP_2)
	v_cmp_gt_f32_e64 s7, 0x7f800000, |v27|
	v_fmaak_f32 v31, v30, v31, 0x3e5c245a
	s_delay_alu instid0(VALU_DEP_1) | instskip(NEXT) | instid1(VALU_DEP_1)
	v_fmaak_f32 v31, v30, v31, 0xbd9e233f
	v_mul_f32_e32 v31, v30, v31
	v_mul_f32_e32 v32, 0x3f317217, v27
	s_delay_alu instid0(VALU_DEP_1) | instskip(NEXT) | instid1(VALU_DEP_1)
	v_fma_f32 v33, 0x3f317217, v27, -v32
	v_fmac_f32_e32 v33, 0x3377d1cf, v27
	s_delay_alu instid0(VALU_DEP_1) | instskip(NEXT) | instid1(VALU_DEP_1)
	v_dual_fmaak_f32 v29, s29, v30, 0x3a4beed6 :: v_dual_add_f32 v32, v32, v33
	v_fmaak_f32 v29, v30, v29, 0x3c98bf54
	s_delay_alu instid0(VALU_DEP_2) | instskip(NEXT) | instid1(VALU_DEP_2)
	v_cndmask_b32_e64 v27, v27, v32, s7
	v_fmaak_f32 v29, v30, v29, 0x3e300f6e
	s_delay_alu instid0(VALU_DEP_1) | instskip(NEXT) | instid1(VALU_DEP_1)
	v_fmaak_f32 v29, v30, v29, 0x3f38d0c5
	v_fmaak_f32 v29, v30, v29, 0x3fb22d3b
	s_delay_alu instid0(VALU_DEP_1) | instskip(NEXT) | instid1(VALU_DEP_1)
	v_fma_f32 v29, v30, v29, 1.0
	v_rcp_f32_e32 v29, v29
	v_nop
	s_delay_alu instid0(TRANS32_DEP_1) | instskip(SKIP_1) | instid1(VALU_DEP_1)
	v_mul_f32_e32 v29, v31, v29
	v_cndmask_b32_e64 v31, 0, 0x41b17218, s6
	v_dual_fmac_f32 v29, 0.5, v30 :: v_dual_sub_f32 v27, v27, v31
	s_delay_alu instid0(VALU_DEP_1)
	v_add_f32_e32 v27, v27, v29
.LBB13_60:                              ;   in Loop: Header=BB13_4 Depth=1
	s_or_b32 exec_lo, exec_lo, s10
.LBB13_61:                              ;   in Loop: Header=BB13_4 Depth=1
	s_and_not1_saveexec_b32 s9, s9
	s_cbranch_execz .LBB13_79
; %bb.62:                               ;   in Loop: Header=BB13_4 Depth=1
                                        ; implicit-def: $vgpr27
                                        ; implicit-def: $vgpr30
                                        ; implicit-def: $vgpr29
	s_mov_b32 s7, exec_lo
	v_cmpx_ge_f32_e64 0x3f666666, |v24|
	s_xor_b32 s10, exec_lo, s7
	s_cbranch_execz .LBB13_64
; %bb.63:                               ;   in Loop: Header=BB13_4 Depth=1
	v_cmp_gt_f32_e64 s7, 0x800000, |v24|
	v_sub_f32_e64 v31, 1.0, |v24|
	v_cmp_gt_f32_e64 s6, 0x3f3b4a23, |v24|
	s_delay_alu instid0(VALU_DEP_3) | instskip(SKIP_1) | instid1(VALU_DEP_2)
	v_cndmask_b32_e64 v27, 0, 32, s7
	v_cndmask_b32_e64 v32, 0, 0x41b17218, s7
	v_ldexp_f32 v27, |v24|, v27
	s_delay_alu instid0(VALU_DEP_1) | instskip(SKIP_1) | instid1(TRANS32_DEP_1)
	v_log_f32_e32 v27, v27
	v_nop
	v_mul_f32_e32 v29, 0x3f317217, v27
	v_cmp_gt_f32_e64 s7, 0x7f800000, |v27|
	s_delay_alu instid0(VALU_DEP_2) | instskip(NEXT) | instid1(VALU_DEP_1)
	v_fma_f32 v30, 0x3f317217, v27, -v29
	v_fmac_f32_e32 v30, 0x3377d1cf, v27
	s_delay_alu instid0(VALU_DEP_1) | instskip(SKIP_1) | instid1(VALU_DEP_2)
	v_add_f32_e32 v29, v29, v30
	v_add_f32_e64 v30, 0xbeec5b0c, |v24|
	v_cndmask_b32_e64 v27, v27, v29, s7
	s_delay_alu instid0(VALU_DEP_2) | instskip(SKIP_2) | instid1(VALU_DEP_4)
	v_cndmask_b32_e64 v29, v31, v30, s6
	v_cndmask_b32_e64 v30, 0, 1, s6
	v_cmp_gt_f32_e64 s6, 0x3e6d3309, |v24|
	v_sub_f32_e32 v27, v27, v32
	s_delay_alu instid0(VALU_DEP_2) | instskip(NEXT) | instid1(VALU_DEP_4)
	v_cndmask_b32_e64 v29, v29, |v24|, s6
	v_cndmask_b32_e64 v30, v30, 2, s6
	s_delay_alu instid0(VALU_DEP_3)
	v_xor_b32_e32 v27, 0x80000000, v27
.LBB13_64:                              ;   in Loop: Header=BB13_4 Depth=1
	s_and_not1_saveexec_b32 s7, s10
	s_cbranch_execz .LBB13_66
; %bb.65:                               ;   in Loop: Header=BB13_4 Depth=1
	v_sub_f32_e64 v27, 2.0, |v24|
	v_add_f32_e64 v29, 0xbfbb16c3, |v24|
	v_cmp_gt_f32_e64 s6, 0x3fdda512, |v24|
	v_add_f32_e64 v30, |v24|, -1.0
	s_delay_alu instid0(VALU_DEP_2) | instskip(SKIP_2) | instid1(VALU_DEP_2)
	v_cndmask_b32_e64 v29, v27, v29, s6
	v_cndmask_b32_e64 v27, v27, 1.0, s6
	v_cmp_gt_f32_e64 s6, 0x3f9d70a4, |v24|
	v_cvt_i32_f32_e32 v27, v27
	s_delay_alu instid0(VALU_DEP_2) | instskip(NEXT) | instid1(VALU_DEP_2)
	v_cndmask_b32_e64 v29, v29, v30, s6
	v_cndmask_b32_e64 v30, v27, 2, s6
	v_mov_b32_e32 v27, 0
.LBB13_66:                              ;   in Loop: Header=BB13_4 Depth=1
	s_or_b32 exec_lo, exec_lo, s7
	s_delay_alu instid0(SALU_CYCLE_1) | instskip(NEXT) | instid1(VALU_DEP_2)
	s_mov_b32 s7, exec_lo
	v_cmpx_lt_i32_e32 0, v30
	s_xor_b32 s7, exec_lo, s7
	s_cbranch_execz .LBB13_74
; %bb.67:                               ;   in Loop: Header=BB13_4 Depth=1
	s_mov_b32 s10, exec_lo
	v_cmpx_lt_i32_e32 1, v30
	s_xor_b32 s10, exec_lo, s10
	s_cbranch_execz .LBB13_71
; %bb.68:                               ;   in Loop: Header=BB13_4 Depth=1
	s_mov_b32 s41, exec_lo
	v_cmpx_eq_u32_e32 2, v30
	s_cbranch_execz .LBB13_70
; %bb.69:                               ;   in Loop: Header=BB13_4 Depth=1
	v_fmaak_f32 v31, s30, v29, 0x3e6a7578
	s_delay_alu instid0(VALU_DEP_1) | instskip(NEXT) | instid1(VALU_DEP_1)
	v_fmaak_f32 v31, v29, v31, 0x3f7a4bb2
	v_fmaak_f32 v31, v29, v31, 0x3fba3ae7
	s_delay_alu instid0(VALU_DEP_1) | instskip(NEXT) | instid1(VALU_DEP_1)
	v_fmaak_f32 v31, v29, v31, 0x3f2200f4
	v_fmaak_f32 v31, v29, v31, 0xbd9e233f
	s_delay_alu instid0(VALU_DEP_1) | instskip(NEXT) | instid1(VALU_DEP_1)
	v_dual_fmaak_f32 v30, s31, v29, 0x3dd572af :: v_dual_mul_f32 v31, v29, v31
	v_fmaak_f32 v30, v29, v30, 0x3f44efdf
	s_delay_alu instid0(VALU_DEP_1) | instskip(NEXT) | instid1(VALU_DEP_1)
	v_fmaak_f32 v30, v29, v30, 0x4008392d
	v_fmaak_f32 v30, v29, v30, 0x401d2ebe
	s_delay_alu instid0(VALU_DEP_1) | instskip(NEXT) | instid1(VALU_DEP_1)
	v_fma_f32 v30, v29, v30, 1.0
	v_rcp_f32_e32 v30, v30
	v_nop
	s_delay_alu instid0(TRANS32_DEP_1) | instskip(NEXT) | instid1(VALU_DEP_1)
	v_mul_f32_e32 v30, v31, v30
	v_fmac_f32_e32 v30, -0.5, v29
	s_delay_alu instid0(VALU_DEP_1)
	v_add_f32_e32 v27, v27, v30
.LBB13_70:                              ;   in Loop: Header=BB13_4 Depth=1
	s_or_b32 exec_lo, exec_lo, s41
                                        ; implicit-def: $vgpr29
.LBB13_71:                              ;   in Loop: Header=BB13_4 Depth=1
	s_and_not1_saveexec_b32 s6, s10
	s_cbranch_execz .LBB13_73
; %bb.72:                               ;   in Loop: Header=BB13_4 Depth=1
	v_mul_f32_e32 v30, v29, v29
	s_delay_alu instid0(VALU_DEP_1) | instskip(NEXT) | instid1(VALU_DEP_1)
	v_mul_f32_e32 v31, v29, v30
	v_fmaak_f32 v32, s34, v31, 0x3a66f867
	v_fmaak_f32 v33, s35, v31, 0xba0d3085
	s_delay_alu instid0(VALU_DEP_2) | instskip(NEXT) | instid1(VALU_DEP_2)
	v_fmaak_f32 v32, v31, v32, 0xbb7177fe
	v_fmaak_f32 v33, v31, v33, 0x3b141699
	s_delay_alu instid0(VALU_DEP_2) | instskip(NEXT) | instid1(VALU_DEP_2)
	;; [unrolled: 3-line block ×3, first 2 shown]
	v_fmaak_f32 v32, v31, v32, 0xbe17213c
	v_fmaak_f32 v33, v31, v33, 0x3d845a15
	s_delay_alu instid0(VALU_DEP_1) | instskip(SKIP_1) | instid1(VALU_DEP_1)
	v_fmac_f32_e32 v32, v29, v33
	v_fmaak_f32 v34, s33, v31, 0xbab7f476
	v_fmaak_f32 v34, v31, v34, 0x3bc7e707
	s_delay_alu instid0(VALU_DEP_1) | instskip(NEXT) | instid1(VALU_DEP_1)
	v_fmaak_f32 v34, v31, v34, 0xbd064d47
	v_fmaak_f32 v29, v31, v34, 0x3ef7b95e
	v_fma_f32 v31, v31, -v32, 0xa2863e55
	s_delay_alu instid0(VALU_DEP_1) | instskip(NEXT) | instid1(VALU_DEP_1)
	v_fma_f32 v29, v30, v29, -v31
	v_add_f32_e32 v29, 0xbdf8cdce, v29
	s_delay_alu instid0(VALU_DEP_1)
	v_add_f32_e32 v27, v27, v29
.LBB13_73:                              ;   in Loop: Header=BB13_4 Depth=1
	s_or_b32 exec_lo, exec_lo, s6
                                        ; implicit-def: $vgpr30
                                        ; implicit-def: $vgpr29
.LBB13_74:                              ;   in Loop: Header=BB13_4 Depth=1
	s_and_not1_saveexec_b32 s7, s7
	s_cbranch_execz .LBB13_78
; %bb.75:                               ;   in Loop: Header=BB13_4 Depth=1
	s_mov_b32 s10, exec_lo
	v_cmpx_eq_u32_e32 0, v30
	s_cbranch_execz .LBB13_77
; %bb.76:                               ;   in Loop: Header=BB13_4 Depth=1
	v_mul_f32_e32 v30, v29, v29
	s_delay_alu instid0(VALU_DEP_1) | instskip(NEXT) | instid1(VALU_DEP_1)
	v_fmaak_f32 v32, s36, v30, 0x39679767
	v_fmaak_f32 v32, v30, v32, 0x3a9c54a1
	s_delay_alu instid0(VALU_DEP_1) | instskip(NEXT) | instid1(VALU_DEP_1)
	v_fmaak_f32 v32, v30, v32, 0x3bf2027e
	v_fmaak_f32 v32, v30, v32, 0x3d89f001
	s_delay_alu instid0(VALU_DEP_1) | instskip(SKIP_1) | instid1(VALU_DEP_1)
	v_fmaak_f32 v32, v30, v32, 0x3d9e233f
	v_fmaak_f32 v31, s37, v30, 0x38e28445
	;; [unrolled: 1-line block ×3, first 2 shown]
	s_delay_alu instid0(VALU_DEP_1) | instskip(NEXT) | instid1(VALU_DEP_1)
	v_fmaak_f32 v31, v30, v31, 0x3b3d6ec6
	v_fmaak_f32 v31, v30, v31, 0x3ca89915
	s_delay_alu instid0(VALU_DEP_1) | instskip(NEXT) | instid1(VALU_DEP_1)
	v_fmaak_f32 v31, v30, v31, 0x3ea51a66
	v_mul_f32_e32 v30, v30, v31
	s_delay_alu instid0(VALU_DEP_1) | instskip(NEXT) | instid1(VALU_DEP_1)
	v_fmac_f32_e32 v30, v29, v32
	v_fmac_f32_e32 v30, -0.5, v29
	s_delay_alu instid0(VALU_DEP_1)
	v_add_f32_e32 v27, v27, v30
.LBB13_77:                              ;   in Loop: Header=BB13_4 Depth=1
	s_or_b32 exec_lo, exec_lo, s10
.LBB13_78:                              ;   in Loop: Header=BB13_4 Depth=1
	s_delay_alu instid0(SALU_CYCLE_1)
	s_or_b32 exec_lo, exec_lo, s7
.LBB13_79:                              ;   in Loop: Header=BB13_4 Depth=1
	s_delay_alu instid0(SALU_CYCLE_1)
	s_or_b32 exec_lo, exec_lo, s9
.LBB13_80:                              ;   in Loop: Header=BB13_4 Depth=1
	s_and_not1_saveexec_b32 s7, s8
	s_cbranch_execz .LBB13_82
; %bb.81:                               ;   in Loop: Header=BB13_4 Depth=1
	v_cmp_gt_f32_e64 s8, 0x800000, |v24|
	v_fma_f32 v31, |v24|, s38, 0xbecd26ab
	s_delay_alu instid0(VALU_DEP_2) | instskip(NEXT) | instid1(VALU_DEP_1)
	v_cndmask_b32_e64 v27, 0, 32, s8
	v_ldexp_f32 v27, |v24|, v27
	s_delay_alu instid0(VALU_DEP_1) | instskip(SKIP_1) | instid1(TRANS32_DEP_1)
	v_log_f32_e32 v27, v27
	v_nop
	v_mul_f32_e32 v29, 0x3f317217, v27
	v_cmp_gt_f32_e64 s6, 0x7f800000, |v27|
	s_delay_alu instid0(VALU_DEP_2) | instskip(NEXT) | instid1(VALU_DEP_1)
	v_fma_f32 v30, 0x3f317217, v27, -v29
	v_fmac_f32_e32 v30, 0x3377d1cf, v27
	s_delay_alu instid0(VALU_DEP_1) | instskip(SKIP_1) | instid1(VALU_DEP_2)
	v_add_f32_e32 v29, v29, v30
	v_fma_f32 v30, |v24|, v31, 0x3f528d33
	v_cndmask_b32_e64 v27, v27, v29, s6
	v_cndmask_b32_e64 v29, 0, 0x41b17218, s8
	s_delay_alu instid0(VALU_DEP_3) | instskip(NEXT) | instid1(VALU_DEP_2)
	v_fma_f32 v30, |v24|, v30, 0xbf13c468
	v_sub_f32_e32 v27, v27, v29
	s_delay_alu instid0(VALU_DEP_1)
	v_fma_f32 v27, |v24|, v30, -v27
.LBB13_82:                              ;   in Loop: Header=BB13_4 Depth=1
	s_or_b32 exec_lo, exec_lo, s7
	v_cmp_le_f32_e64 s6, 0, v24
	s_mov_b32 s8, exec_lo
	v_cmpx_nle_f32_e32 0, v24
	s_xor_b32 s9, exec_lo, s8
	s_cbranch_execz .LBB13_86
; %bb.83:                               ;   in Loop: Header=BB13_4 Depth=1
	v_cmp_gt_f32_e64 s7, 0x4b000000, |v24|
	v_cmp_lt_f32_e64 s8, 0x35000000, |v24|
	s_and_b32 s7, s7, s8
	s_delay_alu instid0(SALU_CYCLE_1)
	s_and_saveexec_b32 s10, s7
	s_cbranch_execz .LBB13_85
; %bb.84:                               ;   in Loop: Header=BB13_4 Depth=1
	v_mul_f32_e64 v29, |v24|, 0.5
	v_xor_b32_e32 v28, v28, v24
	s_delay_alu instid0(VALU_DEP_2) | instskip(SKIP_1) | instid1(VALU_DEP_2)
	v_floor_f32_e32 v30, v29
	v_cmp_neq_f32_e64 s7, 0x7f800000, v29
	v_sub_f32_e32 v30, v29, v30
	s_delay_alu instid0(VALU_DEP_1) | instskip(NEXT) | instid1(VALU_DEP_1)
	v_min_num_f32_e32 v30, 0x3f7fffff, v30
	v_add_f32_e32 v30, v30, v30
	s_delay_alu instid0(VALU_DEP_1) | instskip(SKIP_1) | instid1(VALU_DEP_1)
	v_cndmask_b32_e64 v29, 0, v30, s7
	v_cmp_gt_f32_e64 s7, |v24|, 1.0
	v_cndmask_b32_e64 v29, |v24|, v29, s7
	s_delay_alu instid0(VALU_DEP_1) | instskip(NEXT) | instid1(VALU_DEP_1)
	v_add_f32_e32 v30, v29, v29
	v_rndne_f32_e32 v30, v30
	s_delay_alu instid0(VALU_DEP_1) | instskip(SKIP_1) | instid1(VALU_DEP_2)
	v_fmac_f32_e32 v29, -0.5, v30
	v_cvt_i32_f32_e32 v30, v30
	v_mul_f32_e32 v31, v29, v29
	s_delay_alu instid0(VALU_DEP_1) | instskip(SKIP_1) | instid1(VALU_DEP_2)
	v_fmaak_f32 v32, s39, v31, 0xbf1f24be
	v_dual_fmaak_f32 v33, s40, v31, 0x3e642e9d :: v_dual_mul_f32 v34, v29, v31
	v_fmaak_f32 v32, v31, v32, 0x40234736
	s_delay_alu instid0(VALU_DEP_2) | instskip(NEXT) | instid1(VALU_DEP_2)
	v_fmaak_f32 v33, v31, v33, 0xbfaad1da
	v_fmaak_f32 v32, v31, v32, 0xc0a55e0e
	s_delay_alu instid0(VALU_DEP_1) | instskip(NEXT) | instid1(VALU_DEP_1)
	v_mul_f32_e32 v32, v34, v32
	v_fmac_f32_e32 v32, 0x40490fdb, v29
	v_dual_lshlrev_b32 v30, 30, v30 :: v_dual_bitop2_b32 v34, 1, v30 bitop3:0x40
	v_fmaak_f32 v33, v31, v33, 0x4081e0d3
	s_delay_alu instid0(VALU_DEP_2) | instskip(NEXT) | instid1(VALU_DEP_3)
	v_cmp_eq_u32_e64 s7, 0, v34
	v_and_b32_e32 v30, 0x80000000, v30
	s_delay_alu instid0(VALU_DEP_3) | instskip(NEXT) | instid1(VALU_DEP_1)
	v_fmaak_f32 v33, v31, v33, 0xc09de9e6
	v_fma_f32 v29, v31, v33, 1.0
	s_delay_alu instid0(VALU_DEP_1) | instskip(NEXT) | instid1(VALU_DEP_1)
	v_cndmask_b32_e64 v29, v29, v32, s7
	v_xor3_b32 v28, v28, v30, v29
	s_delay_alu instid0(VALU_DEP_1) | instskip(NEXT) | instid1(VALU_DEP_1)
	v_mul_f32_e32 v28, v24, v28
	v_frexp_mant_f32_e64 v29, |v28|
	v_frexp_exp_i32_f32_e32 v28, v28
	s_delay_alu instid0(VALU_DEP_2) | instskip(SKIP_1) | instid1(TRANS32_DEP_1)
	v_rcp_f32_e32 v29, v29
	v_nop
	v_dual_mul_f32 v29, 0x3f490fdb, v29 :: v_dual_sub_nc_u32 v28, 2, v28
	s_delay_alu instid0(VALU_DEP_1) | instskip(NEXT) | instid1(VALU_DEP_1)
	v_ldexp_f32 v28, v29, v28
	v_cmp_gt_f32_e64 s7, 0x800000, v28
	s_delay_alu instid0(VALU_DEP_1) | instskip(NEXT) | instid1(VALU_DEP_1)
	v_cndmask_b32_e64 v29, 0, 32, s7
	v_ldexp_f32 v28, v28, v29
	s_delay_alu instid0(VALU_DEP_1) | instskip(SKIP_1) | instid1(TRANS32_DEP_1)
	v_log_f32_e32 v28, v28
	v_nop
	v_mul_f32_e32 v29, 0x3f317217, v28
	v_cmp_gt_f32_e64 s8, 0x7f800000, |v28|
	s_delay_alu instid0(VALU_DEP_2) | instskip(NEXT) | instid1(VALU_DEP_1)
	v_fma_f32 v30, 0x3f317217, v28, -v29
	v_fmac_f32_e32 v30, 0x3377d1cf, v28
	s_delay_alu instid0(VALU_DEP_1) | instskip(SKIP_1) | instid1(VALU_DEP_2)
	v_add_f32_e32 v29, v29, v30
	v_floor_f32_e32 v30, v24
	v_cndmask_b32_e64 v28, v28, v29, s8
	v_cndmask_b32_e64 v29, 0, 0x41b17218, s7
	s_delay_alu instid0(VALU_DEP_3) | instskip(NEXT) | instid1(VALU_DEP_1)
	v_sub_f32_e32 v30, v24, v30
	v_dual_sub_f32 v28, v28, v29 :: v_dual_min_num_f32 v29, 0x3f7fffff, v30
	s_delay_alu instid0(VALU_DEP_1) | instskip(NEXT) | instid1(VALU_DEP_2)
	v_sub_f32_e32 v27, v28, v27
	v_cmp_neq_f32_e64 s7, 0, v29
	s_delay_alu instid0(VALU_DEP_1)
	v_cndmask_b32_e64 v27, 0x7f800000, v27, s7
.LBB13_85:                              ;   in Loop: Header=BB13_4 Depth=1
	s_or_b32 exec_lo, exec_lo, s10
.LBB13_86:                              ;   in Loop: Header=BB13_4 Depth=1
	s_and_not1_saveexec_b32 s9, s9
; %bb.87:                               ;   in Loop: Header=BB13_4 Depth=1
	v_cmp_eq_f32_e64 s7, 1.0, v24
	v_cmp_eq_f32_e64 s8, 2.0, v24
	s_or_b32 s7, s7, s8
	s_delay_alu instid0(SALU_CYCLE_1)
	v_cndmask_b32_e64 v27, v27, 0, s7
; %bb.88:                               ;   in Loop: Header=BB13_4 Depth=1
	s_or_b32 exec_lo, exec_lo, s9
	v_and_b32_e32 v29, 0x7fffffff, v22
                                        ; implicit-def: $vgpr28
	s_mov_b32 s8, exec_lo
	v_cmpx_ngt_f32_e64 0x3c800000, |v22|
	s_xor_b32 s9, exec_lo, s8
	s_cbranch_execz .LBB13_118
; %bb.89:                               ;   in Loop: Header=BB13_4 Depth=1
                                        ; implicit-def: $vgpr28
	s_mov_b32 s8, exec_lo
	v_cmpx_nlt_f32_e64 |v22|, 2.0
	s_xor_b32 s10, exec_lo, s8
	s_cbranch_execz .LBB13_99
; %bb.90:                               ;   in Loop: Header=BB13_4 Depth=1
	s_mov_b32 s8, exec_lo
                                        ; implicit-def: $vgpr28
	v_cmpx_ngt_f32_e64 0x41000000, |v22|
	s_xor_b32 s8, exec_lo, s8
	s_cbranch_execz .LBB13_96
; %bb.91:                               ;   in Loop: Header=BB13_4 Depth=1
	s_mov_b32 s41, exec_lo
                                        ; implicit-def: $vgpr28
	v_cmpx_ngt_f32_e64 0x5c800000, |v22|
	s_xor_b32 s41, exec_lo, s41
	s_cbranch_execz .LBB13_93
; %bb.92:                               ;   in Loop: Header=BB13_4 Depth=1
	v_cmp_gt_f32_e64 s42, 0x800000, |v22|
	s_delay_alu instid0(VALU_DEP_1) | instskip(NEXT) | instid1(VALU_DEP_1)
	v_cndmask_b32_e64 v28, 0, 32, s42
	v_ldexp_f32 v28, |v22|, v28
	s_delay_alu instid0(VALU_DEP_1) | instskip(SKIP_1) | instid1(TRANS32_DEP_1)
	v_log_f32_e32 v28, v28
	v_nop
	v_mul_f32_e32 v30, 0x3f317217, v28
	v_cmp_gt_f32_e64 s7, 0x7f800000, |v28|
	s_delay_alu instid0(VALU_DEP_2) | instskip(NEXT) | instid1(VALU_DEP_1)
	v_fma_f32 v31, 0x3f317217, v28, -v30
	v_fmac_f32_e32 v31, 0x3377d1cf, v28
	s_delay_alu instid0(VALU_DEP_1) | instskip(NEXT) | instid1(VALU_DEP_1)
	v_add_f32_e32 v30, v30, v31
	v_cndmask_b32_e64 v28, v28, v30, s7
	v_cndmask_b32_e64 v30, 0, 0x41b17218, s42
	s_delay_alu instid0(VALU_DEP_1) | instskip(NEXT) | instid1(VALU_DEP_1)
	v_sub_f32_e32 v28, v28, v30
	v_fma_f32 v28, |v22|, v28, -|v22|
.LBB13_93:                              ;   in Loop: Header=BB13_4 Depth=1
	s_and_not1_saveexec_b32 s41, s41
	s_cbranch_execz .LBB13_95
; %bb.94:                               ;   in Loop: Header=BB13_4 Depth=1
	v_cmp_gt_f32_e64 s42, 0x800000, |v22|
	v_rcp_f32_e64 v30, |v22|
	s_delay_alu instid0(VALU_DEP_1) | instskip(NEXT) | instid1(VALU_DEP_1)
	v_cndmask_b32_e64 v28, 0, 32, s42
	v_ldexp_f32 v28, |v22|, v28
	s_delay_alu instid0(VALU_DEP_1) | instskip(SKIP_1) | instid1(TRANS32_DEP_1)
	v_log_f32_e32 v28, v28
	v_nop
	v_dual_mul_f32 v31, v30, v30 :: v_dual_mul_f32 v32, 0x3f317217, v28
	v_cmp_gt_f32_e64 s7, 0x7f800000, |v28|
	s_delay_alu instid0(VALU_DEP_2) | instskip(NEXT) | instid1(VALU_DEP_1)
	v_fma_f32 v34, 0x3f317217, v28, -v32
	v_fmac_f32_e32 v34, 0x3377d1cf, v28
	s_delay_alu instid0(VALU_DEP_1) | instskip(NEXT) | instid1(VALU_DEP_1)
	v_dual_fmaak_f32 v33, s11, v31, 0x3a5b3dd2 :: v_dual_add_f32 v32, v32, v34
	v_cndmask_b32_e64 v28, v28, v32, s7
	v_cndmask_b32_e64 v32, 0, 0x41b17218, s42
	s_delay_alu instid0(VALU_DEP_1) | instskip(NEXT) | instid1(VALU_DEP_1)
	v_dual_fmaak_f32 v33, v31, v33, 0xba1c065c :: v_dual_sub_f32 v32, v28, v32
	v_fmaak_f32 v33, v31, v33, 0x3a500cfd
	s_delay_alu instid0(VALU_DEP_1) | instskip(NEXT) | instid1(VALU_DEP_1)
	v_fmaak_f32 v33, v31, v33, 0xbb360b61
	v_fmaak_f32 v31, v31, v33, 0x3daaaaab
	s_delay_alu instid0(VALU_DEP_1) | instskip(SKIP_2) | instid1(VALU_DEP_1)
	v_fmaak_f32 v28, v30, v31, 0x3ed67f1d
	v_add_f32_e64 v30, |v22|, -0.5
	v_add_f32_e32 v31, -1.0, v32
	v_fmac_f32_e32 v28, v30, v31
.LBB13_95:                              ;   in Loop: Header=BB13_4 Depth=1
	s_or_b32 exec_lo, exec_lo, s41
.LBB13_96:                              ;   in Loop: Header=BB13_4 Depth=1
	s_and_not1_saveexec_b32 s41, s8
	s_cbranch_execz .LBB13_98
; %bb.97:                               ;   in Loop: Header=BB13_4 Depth=1
	v_cvt_i32_f32_e32 v32, v29
	s_delay_alu instid0(VALU_DEP_1) | instskip(SKIP_1) | instid1(VALU_DEP_2)
	v_cvt_f32_i32_e32 v28, v32
	v_cmp_lt_i32_e64 s7, 3, v32
	v_sub_f32_e64 v28, |v22|, v28
	s_delay_alu instid0(VALU_DEP_1) | instskip(SKIP_1) | instid1(VALU_DEP_2)
	v_pk_add_f32 v[30:31], v[28:29], v[16:17] op_sel_hi:[0,1]
	v_dual_add_f32 v33, 4.0, v28 :: v_dual_add_f32 v34, 0x40a00000, v28
	v_cndmask_b32_e64 v31, 1.0, v31, s7
	v_cmp_lt_i32_e64 s7, 2, v32
	s_delay_alu instid0(VALU_DEP_1) | instskip(SKIP_1) | instid1(VALU_DEP_1)
	v_cndmask_b32_e64 v30, 1.0, v30, s7
	v_cmp_lt_i32_e64 s7, 4, v32
	v_dual_cndmask_b32 v33, 1.0, v33, s7 :: v_dual_mul_f32 v30, v30, v31
	v_add_f32_e32 v31, 0x40c00000, v28
	v_cmp_lt_i32_e64 s7, 5, v32
	s_delay_alu instid0(VALU_DEP_3) | instskip(NEXT) | instid1(VALU_DEP_2)
	v_dual_mul_f32 v30, v33, v30 :: v_dual_fmaak_f32 v33, s28, v28, 0x3af135b4
	v_cndmask_b32_e64 v34, 1.0, v34, s7
	v_cmp_lt_i32_e64 s7, 6, v32
	s_delay_alu instid0(VALU_DEP_1) | instskip(NEXT) | instid1(VALU_DEP_1)
	v_dual_cndmask_b32 v31, 1.0, v31, s7 :: v_dual_mul_f32 v30, v34, v30
	v_dual_mul_f32 v30, v31, v30 :: v_dual_fmaak_f32 v31, s29, v28, 0x3a4beed6
	s_delay_alu instid0(VALU_DEP_1) | instskip(NEXT) | instid1(VALU_DEP_2)
	v_fmaak_f32 v31, v28, v31, 0x3c98bf54
	v_cmp_gt_f32_e64 s7, 0x800000, v30
	s_delay_alu instid0(VALU_DEP_1) | instskip(NEXT) | instid1(VALU_DEP_1)
	v_cndmask_b32_e64 v32, 0, 32, s7
	v_ldexp_f32 v30, v30, v32
	v_fmaak_f32 v32, v28, v33, 0x3cda40e4
	s_delay_alu instid0(VALU_DEP_2) | instskip(SKIP_1) | instid1(TRANS32_DEP_1)
	v_log_f32_e32 v30, v30
	v_nop
	v_mul_f32_e32 v33, 0x3f317217, v30
	v_cmp_gt_f32_e64 s8, 0x7f800000, |v30|
	s_delay_alu instid0(VALU_DEP_2) | instskip(NEXT) | instid1(VALU_DEP_1)
	v_fma_f32 v34, 0x3f317217, v30, -v33
	v_fmac_f32_e32 v34, 0x3377d1cf, v30
	s_delay_alu instid0(VALU_DEP_1) | instskip(NEXT) | instid1(VALU_DEP_1)
	v_dual_add_f32 v33, v33, v34 :: v_dual_fmaak_f32 v32, v28, v32, 0x3e15dce6
	v_cndmask_b32_e64 v30, v30, v33, s8
	s_delay_alu instid0(VALU_DEP_2) | instskip(NEXT) | instid1(VALU_DEP_1)
	v_fmaak_f32 v32, v28, v32, 0x3ea6cc7a
	v_fmaak_f32 v32, v28, v32, 0x3e5c245a
	s_delay_alu instid0(VALU_DEP_1) | instskip(NEXT) | instid1(VALU_DEP_1)
	v_fmaak_f32 v32, v28, v32, 0xbd9e233f
	v_dual_fmaak_f32 v31, v28, v31, 0x3e300f6e :: v_dual_mul_f32 v32, v28, v32
	s_delay_alu instid0(VALU_DEP_1) | instskip(NEXT) | instid1(VALU_DEP_1)
	v_fmaak_f32 v31, v28, v31, 0x3f38d0c5
	v_fmaak_f32 v31, v28, v31, 0x3fb22d3b
	s_delay_alu instid0(VALU_DEP_1) | instskip(NEXT) | instid1(VALU_DEP_1)
	v_fma_f32 v31, v28, v31, 1.0
	v_rcp_f32_e32 v31, v31
	v_nop
	s_delay_alu instid0(TRANS32_DEP_1) | instskip(SKIP_1) | instid1(VALU_DEP_2)
	v_mul_f32_e32 v31, v32, v31
	v_cndmask_b32_e64 v32, 0, 0x41b17218, s7
	v_fmac_f32_e32 v31, 0.5, v28
	s_delay_alu instid0(VALU_DEP_2) | instskip(NEXT) | instid1(VALU_DEP_1)
	v_sub_f32_e32 v28, v30, v32
	v_add_f32_e32 v28, v28, v31
.LBB13_98:                              ;   in Loop: Header=BB13_4 Depth=1
	s_or_b32 exec_lo, exec_lo, s41
.LBB13_99:                              ;   in Loop: Header=BB13_4 Depth=1
	s_and_not1_saveexec_b32 s10, s10
	s_cbranch_execz .LBB13_117
; %bb.100:                              ;   in Loop: Header=BB13_4 Depth=1
                                        ; implicit-def: $vgpr28
                                        ; implicit-def: $vgpr31
                                        ; implicit-def: $vgpr30
	s_mov_b32 s8, exec_lo
	v_cmpx_ge_f32_e64 0x3f666666, |v22|
	s_xor_b32 s41, exec_lo, s8
	s_cbranch_execz .LBB13_102
; %bb.101:                              ;   in Loop: Header=BB13_4 Depth=1
	v_cmp_gt_f32_e64 s8, 0x800000, |v22|
	v_sub_f32_e64 v32, 1.0, |v22|
	v_cmp_gt_f32_e64 s7, 0x3f3b4a23, |v22|
	s_delay_alu instid0(VALU_DEP_3) | instskip(SKIP_1) | instid1(VALU_DEP_2)
	v_cndmask_b32_e64 v28, 0, 32, s8
	v_cndmask_b32_e64 v33, 0, 0x41b17218, s8
	v_ldexp_f32 v28, |v22|, v28
	s_delay_alu instid0(VALU_DEP_1) | instskip(SKIP_1) | instid1(TRANS32_DEP_1)
	v_log_f32_e32 v28, v28
	v_nop
	v_mul_f32_e32 v30, 0x3f317217, v28
	v_cmp_gt_f32_e64 s8, 0x7f800000, |v28|
	s_delay_alu instid0(VALU_DEP_2) | instskip(NEXT) | instid1(VALU_DEP_1)
	v_fma_f32 v31, 0x3f317217, v28, -v30
	v_fmac_f32_e32 v31, 0x3377d1cf, v28
	s_delay_alu instid0(VALU_DEP_1) | instskip(SKIP_1) | instid1(VALU_DEP_2)
	v_add_f32_e32 v30, v30, v31
	v_add_f32_e64 v31, 0xbeec5b0c, |v22|
	v_cndmask_b32_e64 v28, v28, v30, s8
	s_delay_alu instid0(VALU_DEP_2) | instskip(SKIP_2) | instid1(VALU_DEP_4)
	v_cndmask_b32_e64 v30, v32, v31, s7
	v_cndmask_b32_e64 v31, 0, 1, s7
	v_cmp_gt_f32_e64 s7, 0x3e6d3309, |v22|
	v_sub_f32_e32 v28, v28, v33
	s_delay_alu instid0(VALU_DEP_2) | instskip(NEXT) | instid1(VALU_DEP_4)
	v_cndmask_b32_e64 v30, v30, |v22|, s7
	v_cndmask_b32_e64 v31, v31, 2, s7
	s_delay_alu instid0(VALU_DEP_3)
	v_xor_b32_e32 v28, 0x80000000, v28
.LBB13_102:                             ;   in Loop: Header=BB13_4 Depth=1
	s_and_not1_saveexec_b32 s8, s41
	s_cbranch_execz .LBB13_104
; %bb.103:                              ;   in Loop: Header=BB13_4 Depth=1
	v_sub_f32_e64 v28, 2.0, |v22|
	v_add_f32_e64 v30, 0xbfbb16c3, |v22|
	v_cmp_gt_f32_e64 s7, 0x3fdda512, |v22|
	v_add_f32_e64 v31, |v22|, -1.0
	s_delay_alu instid0(VALU_DEP_2) | instskip(SKIP_2) | instid1(VALU_DEP_2)
	v_cndmask_b32_e64 v30, v28, v30, s7
	v_cndmask_b32_e64 v28, v28, 1.0, s7
	v_cmp_gt_f32_e64 s7, 0x3f9d70a4, |v22|
	v_cvt_i32_f32_e32 v28, v28
	s_delay_alu instid0(VALU_DEP_2) | instskip(NEXT) | instid1(VALU_DEP_2)
	v_cndmask_b32_e64 v30, v30, v31, s7
	v_cndmask_b32_e64 v31, v28, 2, s7
	v_mov_b32_e32 v28, 0
.LBB13_104:                             ;   in Loop: Header=BB13_4 Depth=1
	s_or_b32 exec_lo, exec_lo, s8
	s_delay_alu instid0(SALU_CYCLE_1) | instskip(NEXT) | instid1(VALU_DEP_2)
	s_mov_b32 s8, exec_lo
	v_cmpx_lt_i32_e32 0, v31
	s_xor_b32 s8, exec_lo, s8
	s_cbranch_execz .LBB13_112
; %bb.105:                              ;   in Loop: Header=BB13_4 Depth=1
	s_mov_b32 s41, exec_lo
	v_cmpx_lt_i32_e32 1, v31
	s_xor_b32 s41, exec_lo, s41
	s_cbranch_execz .LBB13_109
; %bb.106:                              ;   in Loop: Header=BB13_4 Depth=1
	s_mov_b32 s42, exec_lo
	v_cmpx_eq_u32_e32 2, v31
	s_cbranch_execz .LBB13_108
; %bb.107:                              ;   in Loop: Header=BB13_4 Depth=1
	v_fmaak_f32 v32, s30, v30, 0x3e6a7578
	s_delay_alu instid0(VALU_DEP_1) | instskip(NEXT) | instid1(VALU_DEP_1)
	v_fmaak_f32 v32, v30, v32, 0x3f7a4bb2
	v_fmaak_f32 v32, v30, v32, 0x3fba3ae7
	s_delay_alu instid0(VALU_DEP_1) | instskip(NEXT) | instid1(VALU_DEP_1)
	v_fmaak_f32 v32, v30, v32, 0x3f2200f4
	v_fmaak_f32 v32, v30, v32, 0xbd9e233f
	s_delay_alu instid0(VALU_DEP_1) | instskip(NEXT) | instid1(VALU_DEP_1)
	v_dual_fmaak_f32 v31, s31, v30, 0x3dd572af :: v_dual_mul_f32 v32, v30, v32
	v_fmaak_f32 v31, v30, v31, 0x3f44efdf
	s_delay_alu instid0(VALU_DEP_1) | instskip(NEXT) | instid1(VALU_DEP_1)
	v_fmaak_f32 v31, v30, v31, 0x4008392d
	v_fmaak_f32 v31, v30, v31, 0x401d2ebe
	s_delay_alu instid0(VALU_DEP_1) | instskip(NEXT) | instid1(VALU_DEP_1)
	v_fma_f32 v31, v30, v31, 1.0
	v_rcp_f32_e32 v31, v31
	v_nop
	s_delay_alu instid0(TRANS32_DEP_1) | instskip(NEXT) | instid1(VALU_DEP_1)
	v_mul_f32_e32 v31, v32, v31
	v_fmac_f32_e32 v31, -0.5, v30
	s_delay_alu instid0(VALU_DEP_1)
	v_add_f32_e32 v28, v28, v31
.LBB13_108:                             ;   in Loop: Header=BB13_4 Depth=1
	s_or_b32 exec_lo, exec_lo, s42
                                        ; implicit-def: $vgpr30
.LBB13_109:                             ;   in Loop: Header=BB13_4 Depth=1
	s_and_not1_saveexec_b32 s7, s41
	s_cbranch_execz .LBB13_111
; %bb.110:                              ;   in Loop: Header=BB13_4 Depth=1
	v_mul_f32_e32 v31, v30, v30
	s_delay_alu instid0(VALU_DEP_1) | instskip(NEXT) | instid1(VALU_DEP_1)
	v_mul_f32_e32 v32, v30, v31
	v_fmaak_f32 v33, s34, v32, 0x3a66f867
	v_fmaak_f32 v34, s35, v32, 0xba0d3085
	s_delay_alu instid0(VALU_DEP_2) | instskip(NEXT) | instid1(VALU_DEP_2)
	v_fmaak_f32 v33, v32, v33, 0xbb7177fe
	v_fmaak_f32 v34, v32, v34, 0x3b141699
	s_delay_alu instid0(VALU_DEP_2) | instskip(NEXT) | instid1(VALU_DEP_2)
	;; [unrolled: 3-line block ×3, first 2 shown]
	v_fmaak_f32 v33, v32, v33, 0xbe17213c
	v_fmaak_f32 v34, v32, v34, 0x3d845a15
	s_delay_alu instid0(VALU_DEP_1) | instskip(SKIP_1) | instid1(VALU_DEP_1)
	v_fmac_f32_e32 v33, v30, v34
	v_fmaak_f32 v35, s33, v32, 0xbab7f476
	v_fmaak_f32 v35, v32, v35, 0x3bc7e707
	s_delay_alu instid0(VALU_DEP_1) | instskip(NEXT) | instid1(VALU_DEP_1)
	v_fmaak_f32 v35, v32, v35, 0xbd064d47
	v_fmaak_f32 v30, v32, v35, 0x3ef7b95e
	v_fma_f32 v32, v32, -v33, 0xa2863e55
	s_delay_alu instid0(VALU_DEP_1) | instskip(NEXT) | instid1(VALU_DEP_1)
	v_fma_f32 v30, v31, v30, -v32
	v_add_f32_e32 v30, 0xbdf8cdce, v30
	s_delay_alu instid0(VALU_DEP_1)
	v_add_f32_e32 v28, v28, v30
.LBB13_111:                             ;   in Loop: Header=BB13_4 Depth=1
	s_or_b32 exec_lo, exec_lo, s7
                                        ; implicit-def: $vgpr31
                                        ; implicit-def: $vgpr30
.LBB13_112:                             ;   in Loop: Header=BB13_4 Depth=1
	s_and_not1_saveexec_b32 s8, s8
	s_cbranch_execz .LBB13_116
; %bb.113:                              ;   in Loop: Header=BB13_4 Depth=1
	s_mov_b32 s41, exec_lo
	v_cmpx_eq_u32_e32 0, v31
	s_cbranch_execz .LBB13_115
; %bb.114:                              ;   in Loop: Header=BB13_4 Depth=1
	v_mul_f32_e32 v31, v30, v30
	s_delay_alu instid0(VALU_DEP_1) | instskip(NEXT) | instid1(VALU_DEP_1)
	v_fmaak_f32 v33, s36, v31, 0x39679767
	v_fmaak_f32 v33, v31, v33, 0x3a9c54a1
	s_delay_alu instid0(VALU_DEP_1) | instskip(NEXT) | instid1(VALU_DEP_1)
	v_fmaak_f32 v33, v31, v33, 0x3bf2027e
	v_fmaak_f32 v33, v31, v33, 0x3d89f001
	s_delay_alu instid0(VALU_DEP_1) | instskip(SKIP_1) | instid1(VALU_DEP_1)
	v_fmaak_f32 v33, v31, v33, 0x3d9e233f
	v_fmaak_f32 v32, s37, v31, 0x38e28445
	;; [unrolled: 1-line block ×3, first 2 shown]
	s_delay_alu instid0(VALU_DEP_1) | instskip(NEXT) | instid1(VALU_DEP_1)
	v_fmaak_f32 v32, v31, v32, 0x3b3d6ec6
	v_fmaak_f32 v32, v31, v32, 0x3ca89915
	s_delay_alu instid0(VALU_DEP_1) | instskip(NEXT) | instid1(VALU_DEP_1)
	v_fmaak_f32 v32, v31, v32, 0x3ea51a66
	v_mul_f32_e32 v31, v31, v32
	s_delay_alu instid0(VALU_DEP_1) | instskip(NEXT) | instid1(VALU_DEP_1)
	v_fmac_f32_e32 v31, v30, v33
	v_fmac_f32_e32 v31, -0.5, v30
	s_delay_alu instid0(VALU_DEP_1)
	v_add_f32_e32 v28, v28, v31
.LBB13_115:                             ;   in Loop: Header=BB13_4 Depth=1
	s_or_b32 exec_lo, exec_lo, s41
.LBB13_116:                             ;   in Loop: Header=BB13_4 Depth=1
	s_delay_alu instid0(SALU_CYCLE_1)
	s_or_b32 exec_lo, exec_lo, s8
.LBB13_117:                             ;   in Loop: Header=BB13_4 Depth=1
	s_delay_alu instid0(SALU_CYCLE_1)
	s_or_b32 exec_lo, exec_lo, s10
.LBB13_118:                             ;   in Loop: Header=BB13_4 Depth=1
	s_and_not1_saveexec_b32 s8, s9
	s_cbranch_execz .LBB13_120
; %bb.119:                              ;   in Loop: Header=BB13_4 Depth=1
	v_cmp_gt_f32_e64 s9, 0x800000, |v22|
	v_fma_f32 v32, |v22|, s38, 0xbecd26ab
	s_delay_alu instid0(VALU_DEP_2) | instskip(NEXT) | instid1(VALU_DEP_1)
	v_cndmask_b32_e64 v28, 0, 32, s9
	v_ldexp_f32 v28, |v22|, v28
	s_delay_alu instid0(VALU_DEP_1) | instskip(SKIP_1) | instid1(TRANS32_DEP_1)
	v_log_f32_e32 v28, v28
	v_nop
	v_mul_f32_e32 v30, 0x3f317217, v28
	v_cmp_gt_f32_e64 s7, 0x7f800000, |v28|
	s_delay_alu instid0(VALU_DEP_2) | instskip(NEXT) | instid1(VALU_DEP_1)
	v_fma_f32 v31, 0x3f317217, v28, -v30
	v_fmac_f32_e32 v31, 0x3377d1cf, v28
	s_delay_alu instid0(VALU_DEP_1) | instskip(SKIP_1) | instid1(VALU_DEP_2)
	v_add_f32_e32 v30, v30, v31
	v_fma_f32 v31, |v22|, v32, 0x3f528d33
	v_cndmask_b32_e64 v28, v28, v30, s7
	v_cndmask_b32_e64 v30, 0, 0x41b17218, s9
	s_delay_alu instid0(VALU_DEP_3) | instskip(NEXT) | instid1(VALU_DEP_2)
	v_fma_f32 v31, |v22|, v31, 0xbf13c468
	v_sub_f32_e32 v28, v28, v30
	s_delay_alu instid0(VALU_DEP_1)
	v_fma_f32 v28, |v22|, v31, -v28
.LBB13_120:                             ;   in Loop: Header=BB13_4 Depth=1
	s_or_b32 exec_lo, exec_lo, s8
	v_cmp_le_f32_e64 s7, 0, v22
	s_mov_b32 s9, exec_lo
	v_cmpx_nle_f32_e32 0, v22
	s_xor_b32 s10, exec_lo, s9
	s_cbranch_execz .LBB13_124
; %bb.121:                              ;   in Loop: Header=BB13_4 Depth=1
	v_cmp_gt_f32_e64 s8, 0x4b000000, |v22|
	v_cmp_lt_f32_e64 s9, 0x35000000, |v22|
	s_and_b32 s8, s8, s9
	s_delay_alu instid0(SALU_CYCLE_1)
	s_and_saveexec_b32 s41, s8
	s_cbranch_execz .LBB13_123
; %bb.122:                              ;   in Loop: Header=BB13_4 Depth=1
	v_mul_f32_e64 v30, |v22|, 0.5
	v_xor_b32_e32 v29, v29, v22
	s_delay_alu instid0(VALU_DEP_2) | instskip(SKIP_1) | instid1(VALU_DEP_2)
	v_floor_f32_e32 v31, v30
	v_cmp_neq_f32_e64 s8, 0x7f800000, v30
	v_sub_f32_e32 v31, v30, v31
	s_delay_alu instid0(VALU_DEP_1) | instskip(NEXT) | instid1(VALU_DEP_1)
	v_min_num_f32_e32 v31, 0x3f7fffff, v31
	v_add_f32_e32 v31, v31, v31
	s_delay_alu instid0(VALU_DEP_1) | instskip(SKIP_1) | instid1(VALU_DEP_1)
	v_cndmask_b32_e64 v30, 0, v31, s8
	v_cmp_gt_f32_e64 s8, |v22|, 1.0
	v_cndmask_b32_e64 v30, |v22|, v30, s8
	s_delay_alu instid0(VALU_DEP_1) | instskip(NEXT) | instid1(VALU_DEP_1)
	v_add_f32_e32 v31, v30, v30
	v_rndne_f32_e32 v31, v31
	s_delay_alu instid0(VALU_DEP_1) | instskip(SKIP_1) | instid1(VALU_DEP_2)
	v_fmac_f32_e32 v30, -0.5, v31
	v_cvt_i32_f32_e32 v31, v31
	v_mul_f32_e32 v32, v30, v30
	s_delay_alu instid0(VALU_DEP_1) | instskip(SKIP_1) | instid1(VALU_DEP_2)
	v_fmaak_f32 v33, s39, v32, 0xbf1f24be
	v_dual_fmaak_f32 v34, s40, v32, 0x3e642e9d :: v_dual_mul_f32 v35, v30, v32
	v_fmaak_f32 v33, v32, v33, 0x40234736
	s_delay_alu instid0(VALU_DEP_2) | instskip(NEXT) | instid1(VALU_DEP_2)
	v_fmaak_f32 v34, v32, v34, 0xbfaad1da
	v_fmaak_f32 v33, v32, v33, 0xc0a55e0e
	s_delay_alu instid0(VALU_DEP_1) | instskip(NEXT) | instid1(VALU_DEP_1)
	v_mul_f32_e32 v33, v35, v33
	v_fmac_f32_e32 v33, 0x40490fdb, v30
	v_dual_lshlrev_b32 v31, 30, v31 :: v_dual_bitop2_b32 v35, 1, v31 bitop3:0x40
	v_fmaak_f32 v34, v32, v34, 0x4081e0d3
	s_delay_alu instid0(VALU_DEP_2) | instskip(NEXT) | instid1(VALU_DEP_3)
	v_cmp_eq_u32_e64 s8, 0, v35
	v_and_b32_e32 v31, 0x80000000, v31
	s_delay_alu instid0(VALU_DEP_3) | instskip(NEXT) | instid1(VALU_DEP_1)
	v_fmaak_f32 v34, v32, v34, 0xc09de9e6
	v_fma_f32 v30, v32, v34, 1.0
	s_delay_alu instid0(VALU_DEP_1) | instskip(NEXT) | instid1(VALU_DEP_1)
	v_cndmask_b32_e64 v30, v30, v33, s8
	v_xor3_b32 v29, v29, v31, v30
	s_delay_alu instid0(VALU_DEP_1) | instskip(NEXT) | instid1(VALU_DEP_1)
	v_mul_f32_e32 v29, v22, v29
	v_frexp_mant_f32_e64 v30, |v29|
	v_frexp_exp_i32_f32_e32 v29, v29
	s_delay_alu instid0(VALU_DEP_2) | instskip(SKIP_1) | instid1(TRANS32_DEP_1)
	v_rcp_f32_e32 v30, v30
	v_nop
	v_dual_mul_f32 v30, 0x3f490fdb, v30 :: v_dual_sub_nc_u32 v29, 2, v29
	s_delay_alu instid0(VALU_DEP_1) | instskip(NEXT) | instid1(VALU_DEP_1)
	v_ldexp_f32 v29, v30, v29
	v_cmp_gt_f32_e64 s8, 0x800000, v29
	s_delay_alu instid0(VALU_DEP_1) | instskip(NEXT) | instid1(VALU_DEP_1)
	v_cndmask_b32_e64 v30, 0, 32, s8
	v_ldexp_f32 v29, v29, v30
	s_delay_alu instid0(VALU_DEP_1) | instskip(SKIP_1) | instid1(TRANS32_DEP_1)
	v_log_f32_e32 v29, v29
	v_nop
	v_mul_f32_e32 v30, 0x3f317217, v29
	v_cmp_gt_f32_e64 s9, 0x7f800000, |v29|
	s_delay_alu instid0(VALU_DEP_2) | instskip(NEXT) | instid1(VALU_DEP_1)
	v_fma_f32 v31, 0x3f317217, v29, -v30
	v_fmac_f32_e32 v31, 0x3377d1cf, v29
	s_delay_alu instid0(VALU_DEP_1) | instskip(SKIP_1) | instid1(VALU_DEP_2)
	v_add_f32_e32 v30, v30, v31
	v_floor_f32_e32 v31, v22
	v_cndmask_b32_e64 v29, v29, v30, s9
	v_cndmask_b32_e64 v30, 0, 0x41b17218, s8
	s_delay_alu instid0(VALU_DEP_1) | instskip(NEXT) | instid1(VALU_DEP_1)
	v_dual_sub_f32 v31, v22, v31 :: v_dual_sub_f32 v29, v29, v30
	v_min_num_f32_e32 v30, 0x3f7fffff, v31
	s_delay_alu instid0(VALU_DEP_2) | instskip(NEXT) | instid1(VALU_DEP_2)
	v_sub_f32_e32 v28, v29, v28
	v_cmp_neq_f32_e64 s8, 0, v30
	s_delay_alu instid0(VALU_DEP_1)
	v_cndmask_b32_e64 v28, 0x7f800000, v28, s8
.LBB13_123:                             ;   in Loop: Header=BB13_4 Depth=1
	s_or_b32 exec_lo, exec_lo, s41
.LBB13_124:                             ;   in Loop: Header=BB13_4 Depth=1
	s_and_not1_saveexec_b32 s10, s10
; %bb.125:                              ;   in Loop: Header=BB13_4 Depth=1
	v_cmp_eq_f32_e64 s8, 1.0, v22
	v_cmp_eq_f32_e64 s9, 2.0, v22
	s_or_b32 s8, s8, s9
	s_delay_alu instid0(SALU_CYCLE_1)
	v_cndmask_b32_e64 v28, v28, 0, s8
; %bb.126:                              ;   in Loop: Header=BB13_4 Depth=1
	s_or_b32 exec_lo, exec_lo, s10
	v_and_b32_e32 v29, 0x7fffffff, v23
                                        ; implicit-def: $vgpr30
	s_mov_b32 s9, exec_lo
	v_cmpx_ngt_f32_e64 0x3c800000, |v23|
	s_xor_b32 s10, exec_lo, s9
	s_cbranch_execz .LBB13_156
; %bb.127:                              ;   in Loop: Header=BB13_4 Depth=1
                                        ; implicit-def: $vgpr30
	s_mov_b32 s9, exec_lo
	v_cmpx_nlt_f32_e64 |v23|, 2.0
	s_xor_b32 s41, exec_lo, s9
	s_cbranch_execz .LBB13_137
; %bb.128:                              ;   in Loop: Header=BB13_4 Depth=1
	s_mov_b32 s9, exec_lo
                                        ; implicit-def: $vgpr30
	v_cmpx_ngt_f32_e64 0x41000000, |v23|
	s_xor_b32 s9, exec_lo, s9
	s_cbranch_execz .LBB13_134
; %bb.129:                              ;   in Loop: Header=BB13_4 Depth=1
	s_mov_b32 s42, exec_lo
                                        ; implicit-def: $vgpr30
	v_cmpx_ngt_f32_e64 0x5c800000, |v23|
	s_xor_b32 s42, exec_lo, s42
	s_cbranch_execz .LBB13_131
; %bb.130:                              ;   in Loop: Header=BB13_4 Depth=1
	v_cmp_gt_f32_e64 s43, 0x800000, |v23|
	s_delay_alu instid0(VALU_DEP_1) | instskip(NEXT) | instid1(VALU_DEP_1)
	v_cndmask_b32_e64 v30, 0, 32, s43
	v_ldexp_f32 v30, |v23|, v30
	s_delay_alu instid0(VALU_DEP_1) | instskip(SKIP_1) | instid1(TRANS32_DEP_1)
	v_log_f32_e32 v30, v30
	v_nop
	v_mul_f32_e32 v31, 0x3f317217, v30
	v_cmp_gt_f32_e64 s8, 0x7f800000, |v30|
	s_delay_alu instid0(VALU_DEP_2) | instskip(NEXT) | instid1(VALU_DEP_1)
	v_fma_f32 v32, 0x3f317217, v30, -v31
	v_fmac_f32_e32 v32, 0x3377d1cf, v30
	s_delay_alu instid0(VALU_DEP_1) | instskip(NEXT) | instid1(VALU_DEP_1)
	v_add_f32_e32 v31, v31, v32
	v_cndmask_b32_e64 v30, v30, v31, s8
	v_cndmask_b32_e64 v31, 0, 0x41b17218, s43
	s_delay_alu instid0(VALU_DEP_1) | instskip(NEXT) | instid1(VALU_DEP_1)
	v_sub_f32_e32 v30, v30, v31
	v_fma_f32 v30, |v23|, v30, -|v23|
.LBB13_131:                             ;   in Loop: Header=BB13_4 Depth=1
	s_and_not1_saveexec_b32 s42, s42
	s_cbranch_execz .LBB13_133
; %bb.132:                              ;   in Loop: Header=BB13_4 Depth=1
	v_cmp_gt_f32_e64 s43, 0x800000, |v23|
	v_rcp_f32_e64 v31, |v23|
	s_delay_alu instid0(VALU_DEP_1) | instskip(NEXT) | instid1(VALU_DEP_1)
	v_cndmask_b32_e64 v30, 0, 32, s43
	v_ldexp_f32 v30, |v23|, v30
	s_delay_alu instid0(VALU_DEP_1) | instskip(SKIP_1) | instid1(TRANS32_DEP_1)
	v_log_f32_e32 v30, v30
	v_nop
	v_dual_mul_f32 v32, v31, v31 :: v_dual_mul_f32 v33, 0x3f317217, v30
	v_cmp_gt_f32_e64 s8, 0x7f800000, |v30|
	s_delay_alu instid0(VALU_DEP_2) | instskip(NEXT) | instid1(VALU_DEP_1)
	v_fma_f32 v35, 0x3f317217, v30, -v33
	v_fmac_f32_e32 v35, 0x3377d1cf, v30
	s_delay_alu instid0(VALU_DEP_1) | instskip(NEXT) | instid1(VALU_DEP_1)
	v_dual_fmaak_f32 v34, s11, v32, 0x3a5b3dd2 :: v_dual_add_f32 v33, v33, v35
	v_cndmask_b32_e64 v30, v30, v33, s8
	v_cndmask_b32_e64 v33, 0, 0x41b17218, s43
	s_delay_alu instid0(VALU_DEP_1) | instskip(NEXT) | instid1(VALU_DEP_1)
	v_dual_fmaak_f32 v34, v32, v34, 0xba1c065c :: v_dual_sub_f32 v33, v30, v33
	v_fmaak_f32 v34, v32, v34, 0x3a500cfd
	s_delay_alu instid0(VALU_DEP_1) | instskip(NEXT) | instid1(VALU_DEP_1)
	v_fmaak_f32 v34, v32, v34, 0xbb360b61
	v_fmaak_f32 v32, v32, v34, 0x3daaaaab
	s_delay_alu instid0(VALU_DEP_1) | instskip(SKIP_2) | instid1(VALU_DEP_1)
	v_fmaak_f32 v30, v31, v32, 0x3ed67f1d
	v_add_f32_e64 v31, |v23|, -0.5
	v_add_f32_e32 v32, -1.0, v33
	v_fmac_f32_e32 v30, v31, v32
.LBB13_133:                             ;   in Loop: Header=BB13_4 Depth=1
	s_or_b32 exec_lo, exec_lo, s42
.LBB13_134:                             ;   in Loop: Header=BB13_4 Depth=1
	s_and_not1_saveexec_b32 s42, s9
	s_cbranch_execz .LBB13_136
; %bb.135:                              ;   in Loop: Header=BB13_4 Depth=1
	v_cvt_i32_f32_e32 v31, v29
	s_delay_alu instid0(VALU_DEP_1) | instskip(SKIP_1) | instid1(VALU_DEP_2)
	v_cvt_f32_i32_e32 v30, v31
	v_cmp_lt_i32_e64 s8, 3, v31
	v_sub_f32_e64 v30, |v23|, v30
	s_delay_alu instid0(VALU_DEP_1) | instskip(NEXT) | instid1(VALU_DEP_1)
	v_pk_add_f32 v[32:33], v[30:31], v[16:17] op_sel_hi:[0,1]
	v_dual_add_f32 v34, 4.0, v30 :: v_dual_cndmask_b32 v33, 1.0, v33, s8
	v_cmp_lt_i32_e64 s8, 2, v31
	s_delay_alu instid0(VALU_DEP_1) | instskip(SKIP_1) | instid1(VALU_DEP_1)
	v_cndmask_b32_e64 v32, 1.0, v32, s8
	v_cmp_lt_i32_e64 s8, 4, v31
	v_cndmask_b32_e64 v34, 1.0, v34, s8
	s_delay_alu instid0(VALU_DEP_3) | instskip(SKIP_1) | instid1(VALU_DEP_2)
	v_dual_add_f32 v35, 0x40a00000, v30 :: v_dual_mul_f32 v32, v32, v33
	v_cmp_lt_i32_e64 s8, 5, v31
	v_dual_add_f32 v33, 0x40c00000, v30 :: v_dual_mul_f32 v32, v34, v32
	s_delay_alu instid0(VALU_DEP_2) | instskip(SKIP_2) | instid1(VALU_DEP_2)
	v_cndmask_b32_e64 v35, 1.0, v35, s8
	v_cmp_lt_i32_e64 s8, 6, v31
	v_fmaak_f32 v34, s28, v30, 0x3af135b4
	v_dual_cndmask_b32 v31, 1.0, v33, s8 :: v_dual_mul_f32 v32, v35, v32
	s_delay_alu instid0(VALU_DEP_1) | instskip(NEXT) | instid1(VALU_DEP_1)
	v_dual_mul_f32 v31, v31, v32 :: v_dual_fmaak_f32 v32, s29, v30, 0x3a4beed6
	v_cmp_gt_f32_e64 s8, 0x800000, v31
	s_delay_alu instid0(VALU_DEP_2) | instskip(NEXT) | instid1(VALU_DEP_2)
	v_fmaak_f32 v32, v30, v32, 0x3c98bf54
	v_cndmask_b32_e64 v33, 0, 32, s8
	s_delay_alu instid0(VALU_DEP_2) | instskip(NEXT) | instid1(VALU_DEP_2)
	v_fmaak_f32 v32, v30, v32, 0x3e300f6e
	v_ldexp_f32 v31, v31, v33
	v_fmaak_f32 v33, v30, v34, 0x3cda40e4
	s_delay_alu instid0(VALU_DEP_3) | instskip(NEXT) | instid1(VALU_DEP_3)
	v_fmaak_f32 v32, v30, v32, 0x3f38d0c5
	v_log_f32_e32 v31, v31
	s_delay_alu instid0(VALU_DEP_2) | instskip(NEXT) | instid1(VALU_DEP_2)
	v_fmaak_f32 v33, v30, v33, 0x3e15dce6
	v_fmaak_f32 v32, v30, v32, 0x3fb22d3b
	s_delay_alu instid0(VALU_DEP_2) | instskip(NEXT) | instid1(TRANS32_DEP_1)
	v_fmaak_f32 v33, v30, v33, 0x3ea6cc7a
	v_mul_f32_e32 v34, 0x3f317217, v31
	s_delay_alu instid0(VALU_DEP_3) | instskip(SKIP_1) | instid1(VALU_DEP_4)
	v_fma_f32 v32, v30, v32, 1.0
	v_cmp_gt_f32_e64 s9, 0x7f800000, |v31|
	v_fmaak_f32 v33, v30, v33, 0x3e5c245a
	s_delay_alu instid0(VALU_DEP_4) | instskip(NEXT) | instid1(VALU_DEP_4)
	v_fma_f32 v35, 0x3f317217, v31, -v34
	v_rcp_f32_e32 v32, v32
	s_delay_alu instid0(VALU_DEP_2) | instskip(NEXT) | instid1(VALU_DEP_1)
	v_fmaak_f32 v33, v30, v33, 0xbd9e233f
	v_mul_f32_e32 v33, v30, v33
	s_delay_alu instid0(TRANS32_DEP_1) | instid1(VALU_DEP_1)
	v_dual_fmac_f32 v35, 0x3377d1cf, v31 :: v_dual_mul_f32 v32, v33, v32
	v_cndmask_b32_e64 v33, 0, 0x41b17218, s8
	s_delay_alu instid0(VALU_DEP_2) | instskip(NEXT) | instid1(VALU_DEP_1)
	v_dual_add_f32 v34, v34, v35 :: v_dual_fmac_f32 v32, 0.5, v30
	v_cndmask_b32_e64 v31, v31, v34, s9
	s_delay_alu instid0(VALU_DEP_1) | instskip(NEXT) | instid1(VALU_DEP_1)
	v_sub_f32_e32 v30, v31, v33
	v_add_f32_e32 v30, v30, v32
.LBB13_136:                             ;   in Loop: Header=BB13_4 Depth=1
	s_or_b32 exec_lo, exec_lo, s42
.LBB13_137:                             ;   in Loop: Header=BB13_4 Depth=1
	s_and_not1_saveexec_b32 s41, s41
	s_cbranch_execz .LBB13_155
; %bb.138:                              ;   in Loop: Header=BB13_4 Depth=1
                                        ; implicit-def: $vgpr30
                                        ; implicit-def: $vgpr32
                                        ; implicit-def: $vgpr31
	s_mov_b32 s9, exec_lo
	v_cmpx_ge_f32_e64 0x3f666666, |v23|
	s_xor_b32 s42, exec_lo, s9
	s_cbranch_execz .LBB13_140
; %bb.139:                              ;   in Loop: Header=BB13_4 Depth=1
	v_cmp_gt_f32_e64 s9, 0x800000, |v23|
	v_sub_f32_e64 v33, 1.0, |v23|
	v_cmp_gt_f32_e64 s8, 0x3f3b4a23, |v23|
	s_delay_alu instid0(VALU_DEP_3) | instskip(SKIP_1) | instid1(VALU_DEP_2)
	v_cndmask_b32_e64 v30, 0, 32, s9
	v_cndmask_b32_e64 v34, 0, 0x41b17218, s9
	v_ldexp_f32 v30, |v23|, v30
	s_delay_alu instid0(VALU_DEP_1) | instskip(SKIP_1) | instid1(TRANS32_DEP_1)
	v_log_f32_e32 v30, v30
	v_nop
	v_mul_f32_e32 v31, 0x3f317217, v30
	v_cmp_gt_f32_e64 s9, 0x7f800000, |v30|
	s_delay_alu instid0(VALU_DEP_2) | instskip(NEXT) | instid1(VALU_DEP_1)
	v_fma_f32 v32, 0x3f317217, v30, -v31
	v_fmac_f32_e32 v32, 0x3377d1cf, v30
	s_delay_alu instid0(VALU_DEP_1) | instskip(SKIP_1) | instid1(VALU_DEP_1)
	v_add_f32_e32 v31, v31, v32
	v_add_f32_e64 v32, 0xbeec5b0c, |v23|
	v_dual_cndmask_b32 v30, v30, v31, s9 :: v_dual_cndmask_b32 v31, v33, v32, s8
	v_cndmask_b32_e64 v32, 0, 1, s8
	v_cmp_gt_f32_e64 s8, 0x3e6d3309, |v23|
	s_delay_alu instid0(VALU_DEP_3) | instskip(NEXT) | instid1(VALU_DEP_2)
	v_sub_f32_e32 v30, v30, v34
	v_cndmask_b32_e64 v31, v31, |v23|, s8
	s_delay_alu instid0(VALU_DEP_4) | instskip(NEXT) | instid1(VALU_DEP_3)
	v_cndmask_b32_e64 v32, v32, 2, s8
	v_xor_b32_e32 v30, 0x80000000, v30
.LBB13_140:                             ;   in Loop: Header=BB13_4 Depth=1
	s_and_not1_saveexec_b32 s9, s42
	s_cbranch_execz .LBB13_142
; %bb.141:                              ;   in Loop: Header=BB13_4 Depth=1
	v_sub_f32_e64 v30, 2.0, |v23|
	v_add_f32_e64 v31, 0xbfbb16c3, |v23|
	v_cmp_gt_f32_e64 s8, 0x3fdda512, |v23|
	v_add_f32_e64 v32, |v23|, -1.0
	s_delay_alu instid0(VALU_DEP_2) | instskip(SKIP_2) | instid1(VALU_DEP_2)
	v_cndmask_b32_e64 v31, v30, v31, s8
	v_cndmask_b32_e64 v30, v30, 1.0, s8
	v_cmp_gt_f32_e64 s8, 0x3f9d70a4, |v23|
	v_cvt_i32_f32_e32 v30, v30
	s_delay_alu instid0(VALU_DEP_2) | instskip(NEXT) | instid1(VALU_DEP_2)
	v_cndmask_b32_e64 v31, v31, v32, s8
	v_cndmask_b32_e64 v32, v30, 2, s8
	v_mov_b32_e32 v30, 0
.LBB13_142:                             ;   in Loop: Header=BB13_4 Depth=1
	s_or_b32 exec_lo, exec_lo, s9
	s_delay_alu instid0(SALU_CYCLE_1) | instskip(NEXT) | instid1(VALU_DEP_2)
	s_mov_b32 s9, exec_lo
	v_cmpx_lt_i32_e32 0, v32
	s_xor_b32 s9, exec_lo, s9
	s_cbranch_execz .LBB13_150
; %bb.143:                              ;   in Loop: Header=BB13_4 Depth=1
	s_mov_b32 s42, exec_lo
	v_cmpx_lt_i32_e32 1, v32
	s_xor_b32 s42, exec_lo, s42
	s_cbranch_execz .LBB13_147
; %bb.144:                              ;   in Loop: Header=BB13_4 Depth=1
	s_mov_b32 s43, exec_lo
	v_cmpx_eq_u32_e32 2, v32
	s_cbranch_execz .LBB13_146
; %bb.145:                              ;   in Loop: Header=BB13_4 Depth=1
	v_fmaak_f32 v33, s30, v31, 0x3e6a7578
	s_delay_alu instid0(VALU_DEP_1) | instskip(NEXT) | instid1(VALU_DEP_1)
	v_fmaak_f32 v33, v31, v33, 0x3f7a4bb2
	v_fmaak_f32 v33, v31, v33, 0x3fba3ae7
	s_delay_alu instid0(VALU_DEP_1) | instskip(NEXT) | instid1(VALU_DEP_1)
	v_fmaak_f32 v33, v31, v33, 0x3f2200f4
	v_fmaak_f32 v33, v31, v33, 0xbd9e233f
	s_delay_alu instid0(VALU_DEP_1) | instskip(NEXT) | instid1(VALU_DEP_1)
	v_dual_fmaak_f32 v32, s31, v31, 0x3dd572af :: v_dual_mul_f32 v33, v31, v33
	v_fmaak_f32 v32, v31, v32, 0x3f44efdf
	s_delay_alu instid0(VALU_DEP_1) | instskip(NEXT) | instid1(VALU_DEP_1)
	v_fmaak_f32 v32, v31, v32, 0x4008392d
	v_fmaak_f32 v32, v31, v32, 0x401d2ebe
	s_delay_alu instid0(VALU_DEP_1) | instskip(NEXT) | instid1(VALU_DEP_1)
	v_fma_f32 v32, v31, v32, 1.0
	v_rcp_f32_e32 v32, v32
	v_nop
	s_delay_alu instid0(TRANS32_DEP_1) | instskip(NEXT) | instid1(VALU_DEP_1)
	v_mul_f32_e32 v32, v33, v32
	v_fmac_f32_e32 v32, -0.5, v31
	s_delay_alu instid0(VALU_DEP_1)
	v_add_f32_e32 v30, v30, v32
.LBB13_146:                             ;   in Loop: Header=BB13_4 Depth=1
	s_or_b32 exec_lo, exec_lo, s43
                                        ; implicit-def: $vgpr31
.LBB13_147:                             ;   in Loop: Header=BB13_4 Depth=1
	s_and_not1_saveexec_b32 s8, s42
	s_cbranch_execz .LBB13_149
; %bb.148:                              ;   in Loop: Header=BB13_4 Depth=1
	v_mul_f32_e32 v32, v31, v31
	s_delay_alu instid0(VALU_DEP_1) | instskip(NEXT) | instid1(VALU_DEP_1)
	v_mul_f32_e32 v33, v31, v32
	v_fmaak_f32 v34, s34, v33, 0x3a66f867
	v_fmaak_f32 v35, s35, v33, 0xba0d3085
	s_delay_alu instid0(VALU_DEP_2) | instskip(NEXT) | instid1(VALU_DEP_2)
	v_fmaak_f32 v34, v33, v34, 0xbb7177fe
	v_fmaak_f32 v35, v33, v35, 0x3b141699
	s_delay_alu instid0(VALU_DEP_2) | instskip(NEXT) | instid1(VALU_DEP_2)
	;; [unrolled: 3-line block ×3, first 2 shown]
	v_fmaak_f32 v34, v33, v34, 0xbe17213c
	v_fmaak_f32 v35, v33, v35, 0x3d845a15
	s_delay_alu instid0(VALU_DEP_1) | instskip(SKIP_1) | instid1(VALU_DEP_1)
	v_fmac_f32_e32 v34, v31, v35
	v_fmaak_f32 v36, s33, v33, 0xbab7f476
	v_fmaak_f32 v36, v33, v36, 0x3bc7e707
	s_delay_alu instid0(VALU_DEP_1) | instskip(NEXT) | instid1(VALU_DEP_1)
	v_fmaak_f32 v36, v33, v36, 0xbd064d47
	v_fmaak_f32 v31, v33, v36, 0x3ef7b95e
	v_fma_f32 v33, v33, -v34, 0xa2863e55
	s_delay_alu instid0(VALU_DEP_1) | instskip(NEXT) | instid1(VALU_DEP_1)
	v_fma_f32 v31, v32, v31, -v33
	v_add_f32_e32 v31, 0xbdf8cdce, v31
	s_delay_alu instid0(VALU_DEP_1)
	v_add_f32_e32 v30, v30, v31
.LBB13_149:                             ;   in Loop: Header=BB13_4 Depth=1
	s_or_b32 exec_lo, exec_lo, s8
                                        ; implicit-def: $vgpr32
                                        ; implicit-def: $vgpr31
.LBB13_150:                             ;   in Loop: Header=BB13_4 Depth=1
	s_and_not1_saveexec_b32 s9, s9
	s_cbranch_execz .LBB13_154
; %bb.151:                              ;   in Loop: Header=BB13_4 Depth=1
	s_mov_b32 s42, exec_lo
	v_cmpx_eq_u32_e32 0, v32
	s_cbranch_execz .LBB13_153
; %bb.152:                              ;   in Loop: Header=BB13_4 Depth=1
	v_mul_f32_e32 v32, v31, v31
	s_delay_alu instid0(VALU_DEP_1) | instskip(NEXT) | instid1(VALU_DEP_1)
	v_fmaak_f32 v34, s36, v32, 0x39679767
	v_fmaak_f32 v34, v32, v34, 0x3a9c54a1
	s_delay_alu instid0(VALU_DEP_1) | instskip(NEXT) | instid1(VALU_DEP_1)
	v_fmaak_f32 v34, v32, v34, 0x3bf2027e
	v_fmaak_f32 v34, v32, v34, 0x3d89f001
	s_delay_alu instid0(VALU_DEP_1) | instskip(SKIP_1) | instid1(VALU_DEP_1)
	v_fmaak_f32 v34, v32, v34, 0x3d9e233f
	v_fmaak_f32 v33, s37, v32, 0x38e28445
	;; [unrolled: 1-line block ×3, first 2 shown]
	s_delay_alu instid0(VALU_DEP_1) | instskip(NEXT) | instid1(VALU_DEP_1)
	v_fmaak_f32 v33, v32, v33, 0x3b3d6ec6
	v_fmaak_f32 v33, v32, v33, 0x3ca89915
	s_delay_alu instid0(VALU_DEP_1) | instskip(NEXT) | instid1(VALU_DEP_1)
	v_fmaak_f32 v33, v32, v33, 0x3ea51a66
	v_mul_f32_e32 v32, v32, v33
	s_delay_alu instid0(VALU_DEP_1) | instskip(NEXT) | instid1(VALU_DEP_1)
	v_fmac_f32_e32 v32, v31, v34
	v_fmac_f32_e32 v32, -0.5, v31
	s_delay_alu instid0(VALU_DEP_1)
	v_add_f32_e32 v30, v30, v32
.LBB13_153:                             ;   in Loop: Header=BB13_4 Depth=1
	s_or_b32 exec_lo, exec_lo, s42
.LBB13_154:                             ;   in Loop: Header=BB13_4 Depth=1
	s_delay_alu instid0(SALU_CYCLE_1)
	s_or_b32 exec_lo, exec_lo, s9
.LBB13_155:                             ;   in Loop: Header=BB13_4 Depth=1
	s_delay_alu instid0(SALU_CYCLE_1)
	s_or_b32 exec_lo, exec_lo, s41
.LBB13_156:                             ;   in Loop: Header=BB13_4 Depth=1
	s_and_not1_saveexec_b32 s9, s10
	s_cbranch_execz .LBB13_158
; %bb.157:                              ;   in Loop: Header=BB13_4 Depth=1
	v_cmp_gt_f32_e64 s10, 0x800000, |v23|
	v_fma_f32 v33, |v23|, s38, 0xbecd26ab
	s_delay_alu instid0(VALU_DEP_2) | instskip(NEXT) | instid1(VALU_DEP_1)
	v_cndmask_b32_e64 v30, 0, 32, s10
	v_ldexp_f32 v30, |v23|, v30
	s_delay_alu instid0(VALU_DEP_1) | instskip(SKIP_1) | instid1(TRANS32_DEP_1)
	v_log_f32_e32 v30, v30
	v_nop
	v_mul_f32_e32 v31, 0x3f317217, v30
	v_cmp_gt_f32_e64 s8, 0x7f800000, |v30|
	s_delay_alu instid0(VALU_DEP_2) | instskip(NEXT) | instid1(VALU_DEP_1)
	v_fma_f32 v32, 0x3f317217, v30, -v31
	v_fmac_f32_e32 v32, 0x3377d1cf, v30
	s_delay_alu instid0(VALU_DEP_1) | instskip(SKIP_1) | instid1(VALU_DEP_2)
	v_add_f32_e32 v31, v31, v32
	v_fma_f32 v32, |v23|, v33, 0x3f528d33
	v_cndmask_b32_e64 v30, v30, v31, s8
	v_cndmask_b32_e64 v31, 0, 0x41b17218, s10
	s_delay_alu instid0(VALU_DEP_3) | instskip(NEXT) | instid1(VALU_DEP_2)
	v_fma_f32 v32, |v23|, v32, 0xbf13c468
	v_sub_f32_e32 v30, v30, v31
	s_delay_alu instid0(VALU_DEP_1)
	v_fma_f32 v30, |v23|, v32, -v30
.LBB13_158:                             ;   in Loop: Header=BB13_4 Depth=1
	s_or_b32 exec_lo, exec_lo, s9
	v_cmp_le_f32_e64 s8, 0, v23
	s_mov_b32 s10, exec_lo
	v_cmpx_nle_f32_e32 0, v23
	s_xor_b32 s41, exec_lo, s10
	s_cbranch_execnz .LBB13_164
; %bb.159:                              ;   in Loop: Header=BB13_4 Depth=1
	s_and_not1_saveexec_b32 s41, s41
	s_cbranch_execnz .LBB13_167
.LBB13_160:                             ;   in Loop: Header=BB13_4 Depth=1
	s_or_b32 exec_lo, exec_lo, s41
	s_and_saveexec_b32 s9, s4
	s_delay_alu instid0(SALU_CYCLE_1)
	s_xor_b32 s9, exec_lo, s9
	s_cbranch_execnz .LBB13_168
.LBB13_161:                             ;   in Loop: Header=BB13_4 Depth=1
	s_or_b32 exec_lo, exec_lo, s9
	s_and_saveexec_b32 s4, s3
	s_cbranch_execnz .LBB13_169
.LBB13_162:                             ;   in Loop: Header=BB13_4 Depth=1
	s_or_b32 exec_lo, exec_lo, s4
	s_and_saveexec_b32 s3, s2
	s_cbranch_execnz .LBB13_170
.LBB13_163:                             ;   in Loop: Header=BB13_4 Depth=1
	s_or_b32 exec_lo, exec_lo, s3
	s_and_saveexec_b32 s2, vcc_lo
	s_cbranch_execz .LBB13_3
	s_branch .LBB13_171
.LBB13_164:                             ;   in Loop: Header=BB13_4 Depth=1
	v_cmp_gt_f32_e64 s9, 0x4b000000, |v23|
	v_cmp_lt_f32_e64 s10, 0x35000000, |v23|
	s_and_b32 s9, s9, s10
	s_delay_alu instid0(SALU_CYCLE_1)
	s_and_saveexec_b32 s42, s9
	s_cbranch_execz .LBB13_166
; %bb.165:                              ;   in Loop: Header=BB13_4 Depth=1
	v_mul_f32_e64 v31, |v23|, 0.5
	v_xor_b32_e32 v29, v29, v23
	s_delay_alu instid0(VALU_DEP_2) | instskip(SKIP_1) | instid1(VALU_DEP_2)
	v_floor_f32_e32 v32, v31
	v_cmp_neq_f32_e64 s9, 0x7f800000, v31
	v_sub_f32_e32 v32, v31, v32
	s_delay_alu instid0(VALU_DEP_1) | instskip(NEXT) | instid1(VALU_DEP_1)
	v_min_num_f32_e32 v32, 0x3f7fffff, v32
	v_add_f32_e32 v32, v32, v32
	s_delay_alu instid0(VALU_DEP_1) | instskip(SKIP_1) | instid1(VALU_DEP_1)
	v_cndmask_b32_e64 v31, 0, v32, s9
	v_cmp_gt_f32_e64 s9, |v23|, 1.0
	v_cndmask_b32_e64 v31, |v23|, v31, s9
	s_delay_alu instid0(VALU_DEP_1) | instskip(NEXT) | instid1(VALU_DEP_1)
	v_add_f32_e32 v32, v31, v31
	v_rndne_f32_e32 v32, v32
	s_delay_alu instid0(VALU_DEP_1) | instskip(SKIP_1) | instid1(VALU_DEP_2)
	v_fmac_f32_e32 v31, -0.5, v32
	v_cvt_i32_f32_e32 v32, v32
	v_mul_f32_e32 v33, v31, v31
	s_delay_alu instid0(VALU_DEP_1) | instskip(SKIP_1) | instid1(VALU_DEP_2)
	v_fmaak_f32 v34, s39, v33, 0xbf1f24be
	v_dual_fmaak_f32 v35, s40, v33, 0x3e642e9d :: v_dual_mul_f32 v36, v31, v33
	v_fmaak_f32 v34, v33, v34, 0x40234736
	s_delay_alu instid0(VALU_DEP_2) | instskip(NEXT) | instid1(VALU_DEP_2)
	v_fmaak_f32 v35, v33, v35, 0xbfaad1da
	v_fmaak_f32 v34, v33, v34, 0xc0a55e0e
	s_delay_alu instid0(VALU_DEP_1) | instskip(NEXT) | instid1(VALU_DEP_1)
	v_mul_f32_e32 v34, v36, v34
	v_fmac_f32_e32 v34, 0x40490fdb, v31
	v_dual_lshlrev_b32 v32, 30, v32 :: v_dual_bitop2_b32 v36, 1, v32 bitop3:0x40
	v_fmaak_f32 v35, v33, v35, 0x4081e0d3
	s_delay_alu instid0(VALU_DEP_2) | instskip(NEXT) | instid1(VALU_DEP_3)
	v_cmp_eq_u32_e64 s9, 0, v36
	v_and_b32_e32 v32, 0x80000000, v32
	s_delay_alu instid0(VALU_DEP_3) | instskip(NEXT) | instid1(VALU_DEP_1)
	v_fmaak_f32 v35, v33, v35, 0xc09de9e6
	v_fma_f32 v31, v33, v35, 1.0
	s_delay_alu instid0(VALU_DEP_1) | instskip(NEXT) | instid1(VALU_DEP_1)
	v_cndmask_b32_e64 v31, v31, v34, s9
	v_xor3_b32 v29, v29, v32, v31
	s_delay_alu instid0(VALU_DEP_1) | instskip(NEXT) | instid1(VALU_DEP_1)
	v_mul_f32_e32 v29, v23, v29
	v_frexp_mant_f32_e64 v31, |v29|
	v_frexp_exp_i32_f32_e32 v29, v29
	s_delay_alu instid0(VALU_DEP_2) | instskip(NEXT) | instid1(VALU_DEP_1)
	v_rcp_f32_e32 v31, v31
	v_sub_nc_u32_e32 v29, 2, v29
	s_delay_alu instid0(TRANS32_DEP_1) | instskip(NEXT) | instid1(VALU_DEP_1)
	v_mul_f32_e32 v31, 0x3f490fdb, v31
	v_ldexp_f32 v29, v31, v29
	s_delay_alu instid0(VALU_DEP_1) | instskip(NEXT) | instid1(VALU_DEP_1)
	v_cmp_gt_f32_e64 s9, 0x800000, v29
	v_cndmask_b32_e64 v31, 0, 32, s9
	s_delay_alu instid0(VALU_DEP_1) | instskip(NEXT) | instid1(VALU_DEP_1)
	v_ldexp_f32 v29, v29, v31
	v_log_f32_e32 v29, v29
	v_nop
	s_delay_alu instid0(TRANS32_DEP_1) | instskip(SKIP_1) | instid1(VALU_DEP_2)
	v_mul_f32_e32 v31, 0x3f317217, v29
	v_cmp_gt_f32_e64 s10, 0x7f800000, |v29|
	v_fma_f32 v32, 0x3f317217, v29, -v31
	s_delay_alu instid0(VALU_DEP_1) | instskip(NEXT) | instid1(VALU_DEP_1)
	v_fmac_f32_e32 v32, 0x3377d1cf, v29
	v_add_f32_e32 v31, v31, v32
	v_floor_f32_e32 v32, v23
	s_delay_alu instid0(VALU_DEP_2) | instskip(SKIP_1) | instid1(VALU_DEP_1)
	v_cndmask_b32_e64 v29, v29, v31, s10
	v_cndmask_b32_e64 v31, 0, 0x41b17218, s9
	v_dual_sub_f32 v32, v23, v32 :: v_dual_sub_f32 v29, v29, v31
	s_delay_alu instid0(VALU_DEP_1) | instskip(NEXT) | instid1(VALU_DEP_2)
	v_min_num_f32_e32 v31, 0x3f7fffff, v32
	v_sub_f32_e32 v29, v29, v30
	s_delay_alu instid0(VALU_DEP_2) | instskip(NEXT) | instid1(VALU_DEP_1)
	v_cmp_neq_f32_e64 s9, 0, v31
	v_cndmask_b32_e64 v30, 0x7f800000, v29, s9
.LBB13_166:                             ;   in Loop: Header=BB13_4 Depth=1
	s_or_b32 exec_lo, exec_lo, s42
	s_and_not1_saveexec_b32 s41, s41
	s_cbranch_execz .LBB13_160
.LBB13_167:                             ;   in Loop: Header=BB13_4 Depth=1
	v_cmp_eq_f32_e64 s9, 1.0, v23
	v_cmp_eq_f32_e64 s10, 2.0, v23
	s_or_b32 s9, s9, s10
	s_delay_alu instid0(SALU_CYCLE_1) | instskip(SKIP_2) | instid1(SALU_CYCLE_1)
	v_cndmask_b32_e64 v30, v30, 0, s9
	s_or_b32 exec_lo, exec_lo, s41
	s_and_saveexec_b32 s9, s4
	s_xor_b32 s9, exec_lo, s9
	s_cbranch_execz .LBB13_161
.LBB13_168:                             ;   in Loop: Header=BB13_4 Depth=1
	v_cmp_gt_f32_e64 s4, 0x4b000000, |v25|
	s_or_b32 s4, s5, s4
	s_delay_alu instid0(SALU_CYCLE_1) | instskip(SKIP_1) | instid1(VALU_DEP_1)
	v_cndmask_b32_e64 v26, 0x7f800000, v26, s4
	v_cmp_class_f32_e64 s4, v25, 0x264
	v_cndmask_b32_e64 v26, v26, 0x7f800000, s4
	v_cmp_u_f32_e64 s4, v25, v25
	s_delay_alu instid0(VALU_DEP_1)
	v_cndmask_b32_e64 v25, v26, v25, s4
	global_store_b32 v[8:9], v25, off
	s_wait_xcnt 0x0
	s_or_b32 exec_lo, exec_lo, s9
	s_and_saveexec_b32 s4, s3
	s_cbranch_execz .LBB13_162
.LBB13_169:                             ;   in Loop: Header=BB13_4 Depth=1
	v_cmp_gt_f32_e64 s3, 0x4b000000, |v24|
	s_or_b32 s3, s6, s3
	s_delay_alu instid0(SALU_CYCLE_1) | instskip(SKIP_1) | instid1(VALU_DEP_1)
	v_cndmask_b32_e64 v25, 0x7f800000, v27, s3
	v_cmp_class_f32_e64 s3, v24, 0x264
	v_cndmask_b32_e64 v25, v25, 0x7f800000, s3
	v_cmp_u_f32_e64 s3, v24, v24
	s_delay_alu instid0(VALU_DEP_1)
	v_cndmask_b32_e64 v24, v25, v24, s3
	global_store_b32 v[14:15], v24, off
	s_wait_xcnt 0x0
	s_or_b32 exec_lo, exec_lo, s4
	s_and_saveexec_b32 s3, s2
	s_cbranch_execz .LBB13_163
.LBB13_170:                             ;   in Loop: Header=BB13_4 Depth=1
	v_cmp_gt_f32_e64 s2, 0x4b000000, |v22|
	s_or_b32 s2, s7, s2
	s_delay_alu instid0(SALU_CYCLE_1) | instskip(SKIP_1) | instid1(VALU_DEP_1)
	v_cndmask_b32_e64 v24, 0x7f800000, v28, s2
	v_cmp_class_f32_e64 s2, v22, 0x264
	v_cndmask_b32_e64 v24, v24, 0x7f800000, s2
	v_cmp_u_f32_e64 s2, v22, v22
	s_delay_alu instid0(VALU_DEP_1)
	v_cndmask_b32_e64 v22, v24, v22, s2
	global_store_b32 v[20:21], v22, off
	s_wait_xcnt 0x0
	s_or_b32 exec_lo, exec_lo, s3
	s_and_saveexec_b32 s2, vcc_lo
	s_cbranch_execz .LBB13_3
.LBB13_171:                             ;   in Loop: Header=BB13_4 Depth=1
	v_cmp_gt_f32_e64 s3, 0x4b000000, |v23|
	s_or_b32 vcc_lo, s8, s3
	v_cmp_class_f32_e64 s3, v23, 0x264
	v_cndmask_b32_e32 v20, 0x7f800000, v30, vcc_lo
	v_cmp_u_f32_e32 vcc_lo, v23, v23
	s_delay_alu instid0(VALU_DEP_2) | instskip(NEXT) | instid1(VALU_DEP_1)
	v_cndmask_b32_e64 v20, v20, 0x7f800000, s3
	v_cndmask_b32_e32 v20, v20, v23, vcc_lo
	global_store_b32 v[18:19], v20, off
	s_branch .LBB13_3
.LBB13_172:
	s_cbranch_execz .LBB13_174
	s_branch .LBB13_329
.LBB13_173:
.LBB13_174:
	v_min_i64 v[6:7], 0x10000, s[16:17]
	v_dual_mov_b32 v3, 0 :: v_dual_lshlrev_b32 v2, 2, v0
	s_mov_b32 s2, exec_lo
	s_delay_alu instid0(VALU_DEP_1)
	v_cmpx_lt_i64_e64 v[2:3], v[6:7]
	s_cbranch_execz .LBB13_329
; %bb.175:
	s_load_b32 s2, s[0:1], 0xd3c
	v_dual_mov_b32 v1, v3 :: v_dual_lshlrev_b32 v2, 4, v0
	s_wait_xcnt 0x0
	s_add_nc_u64 s[0:1], s[12:13], s[14:15]
	v_mov_b64_e32 v[8:9], 0x4040000040000000
	s_mov_b32 s7, 0
	s_mov_b32 s5, 0xbad5c4e8
	v_add_nc_u64_e32 v[2:3], s[0:1], v[2:3]
	s_mov_b32 s10, 0x3805ff67
	s_mov_b32 s11, 0x36f5d7bd
	;; [unrolled: 1-line block ×6, first 2 shown]
	v_add_nc_u64_e32 v[10:11], 8, v[2:3]
	s_mov_b32 s16, 0x39afe9f7
	s_mov_b32 s17, 0x37d383a2
	;; [unrolled: 1-line block ×5, first 2 shown]
	s_wait_kmcnt 0x0
	s_and_b32 s6, s2, 0xffff
	s_mov_b32 s9, s7
	s_lshl_b32 s8, s6, 4
	s_mov_b32 s21, 0x3d4be544
	s_mov_b32 s22, s7
	s_branch .LBB13_177
.LBB13_176:                             ;   in Loop: Header=BB13_177 Depth=1
	s_or_b32 exec_lo, exec_lo, s23
	v_cmp_gt_f32_e64 s3, 0x4b000000, |v4|
	v_cmp_gt_f32_e64 s4, 0x4b000000, |v3|
	;; [unrolled: 1-line block ×3, first 2 shown]
	v_add_nc_u64_e32 v[0:1], s[6:7], v[0:1]
	s_or_b32 s1, s1, s3
	s_or_b32 s0, s0, s4
	v_cndmask_b32_e64 v14, 0x7f800000, v14, s1
	v_cndmask_b32_e64 v13, 0x7f800000, v13, s0
	v_cmp_class_f32_e64 s0, v4, 0x264
	s_or_b32 vcc_lo, vcc_lo, s23
	v_cmp_gt_f32_e64 s1, 0x4b000000, |v5|
	v_cndmask_b32_e32 v12, 0x7f800000, v12, vcc_lo
	v_cmp_u_f32_e32 vcc_lo, v4, v4
	v_cndmask_b32_e64 v14, v14, 0x7f800000, s0
	v_cmp_class_f32_e64 s0, v3, 0x264
	s_delay_alu instid0(VALU_DEP_1) | instskip(NEXT) | instid1(VALU_DEP_3)
	v_cndmask_b32_e64 v13, v13, 0x7f800000, s0
	v_cndmask_b32_e32 v4, v14, v4, vcc_lo
	s_or_b32 vcc_lo, s2, s1
	v_cmp_class_f32_e64 s0, v2, 0x264
	v_cndmask_b32_e32 v14, 0x7f800000, v16, vcc_lo
	v_cmp_u_f32_e32 vcc_lo, v3, v3
	s_delay_alu instid0(VALU_DEP_3) | instskip(SKIP_4) | instid1(VALU_DEP_4)
	v_cndmask_b32_e64 v15, v12, 0x7f800000, s0
	v_cmp_class_f32_e64 s0, v5, 0x264
	v_cndmask_b32_e32 v3, v13, v3, vcc_lo
	v_cmp_u_f32_e32 vcc_lo, v2, v2
	v_lshlrev_b64_e32 v[12:13], 2, v[0:1]
	v_cndmask_b32_e64 v14, v14, 0x7f800000, s0
	v_cndmask_b32_e32 v2, v15, v2, vcc_lo
	v_cmp_u_f32_e32 vcc_lo, v5, v5
	s_delay_alu instid0(VALU_DEP_3)
	v_cndmask_b32_e32 v5, v14, v5, vcc_lo
	v_cmp_ge_i64_e32 vcc_lo, v[12:13], v[6:7]
	global_store_b128 v[10:11], v[2:5], off offset:-8
	s_wait_xcnt 0x0
	v_add_nc_u64_e32 v[10:11], s[8:9], v[10:11]
	s_or_b32 s22, vcc_lo, s22
	s_delay_alu instid0(SALU_CYCLE_1)
	s_and_not1_b32 exec_lo, exec_lo, s22
	s_cbranch_execz .LBB13_329
.LBB13_177:                             ; =>This Inner Loop Header: Depth=1
	global_load_b128 v[2:5], v[10:11], off offset:-8
	s_mov_b32 s1, exec_lo
                                        ; implicit-def: $vgpr12
	s_wait_loadcnt 0x0
	v_and_b32_e32 v13, 0x7fffffff, v2
	s_wait_xcnt 0x0
	v_cmpx_ngt_f32_e64 0x3c800000, |v2|
	s_xor_b32 s1, exec_lo, s1
	s_cbranch_execz .LBB13_207
; %bb.178:                              ;   in Loop: Header=BB13_177 Depth=1
	s_mov_b32 s2, exec_lo
                                        ; implicit-def: $vgpr12
	v_cmpx_nlt_f32_e64 |v2|, 2.0
	s_xor_b32 s2, exec_lo, s2
	s_cbranch_execz .LBB13_188
; %bb.179:                              ;   in Loop: Header=BB13_177 Depth=1
	v_cmp_ngt_f32_e64 s0, 0x41000000, |v2|
                                        ; implicit-def: $vgpr12
	s_and_saveexec_b32 s3, s0
	s_delay_alu instid0(SALU_CYCLE_1)
	s_xor_b32 s0, exec_lo, s3
	s_cbranch_execz .LBB13_185
; %bb.180:                              ;   in Loop: Header=BB13_177 Depth=1
	v_cmp_ngt_f32_e64 s3, 0x5c800000, |v2|
                                        ; implicit-def: $vgpr12
	s_and_saveexec_b32 s4, s3
	s_delay_alu instid0(SALU_CYCLE_1)
	s_xor_b32 s3, exec_lo, s4
	s_cbranch_execz .LBB13_182
; %bb.181:                              ;   in Loop: Header=BB13_177 Depth=1
	v_cmp_gt_f32_e64 s4, 0x800000, |v2|
	s_delay_alu instid0(VALU_DEP_1) | instskip(NEXT) | instid1(VALU_DEP_1)
	v_cndmask_b32_e64 v12, 0, 32, s4
	v_ldexp_f32 v12, |v2|, v12
	s_delay_alu instid0(VALU_DEP_1) | instskip(SKIP_1) | instid1(TRANS32_DEP_1)
	v_log_f32_e32 v12, v12
	v_nop
	v_mul_f32_e32 v14, 0x3f317217, v12
	v_cmp_gt_f32_e64 vcc_lo, 0x7f800000, |v12|
	s_delay_alu instid0(VALU_DEP_2) | instskip(NEXT) | instid1(VALU_DEP_1)
	v_fma_f32 v15, 0x3f317217, v12, -v14
	v_fmac_f32_e32 v15, 0x3377d1cf, v12
	s_delay_alu instid0(VALU_DEP_1) | instskip(NEXT) | instid1(VALU_DEP_1)
	v_add_f32_e32 v14, v14, v15
	v_cndmask_b32_e32 v12, v12, v14, vcc_lo
	v_cndmask_b32_e64 v14, 0, 0x41b17218, s4
	s_delay_alu instid0(VALU_DEP_1) | instskip(NEXT) | instid1(VALU_DEP_1)
	v_sub_f32_e32 v12, v12, v14
	v_fma_f32 v12, |v2|, v12, -|v2|
.LBB13_182:                             ;   in Loop: Header=BB13_177 Depth=1
	s_and_not1_saveexec_b32 s3, s3
	s_cbranch_execz .LBB13_184
; %bb.183:                              ;   in Loop: Header=BB13_177 Depth=1
	v_cmp_gt_f32_e64 s4, 0x800000, |v2|
	v_rcp_f32_e64 v14, |v2|
	s_delay_alu instid0(VALU_DEP_1) | instskip(NEXT) | instid1(VALU_DEP_1)
	v_cndmask_b32_e64 v12, 0, 32, s4
	v_ldexp_f32 v12, |v2|, v12
	s_delay_alu instid0(VALU_DEP_1) | instskip(SKIP_1) | instid1(TRANS32_DEP_1)
	v_log_f32_e32 v12, v12
	v_nop
	v_dual_mul_f32 v15, v14, v14 :: v_dual_mul_f32 v16, 0x3f317217, v12
	v_cmp_gt_f32_e64 vcc_lo, 0x7f800000, |v12|
	s_delay_alu instid0(VALU_DEP_2) | instskip(NEXT) | instid1(VALU_DEP_1)
	v_fma_f32 v18, 0x3f317217, v12, -v16
	v_fmac_f32_e32 v18, 0x3377d1cf, v12
	s_delay_alu instid0(VALU_DEP_1) | instskip(NEXT) | instid1(VALU_DEP_1)
	v_dual_fmaak_f32 v17, s5, v15, 0x3a5b3dd2 :: v_dual_add_f32 v16, v16, v18
	v_dual_fmaak_f32 v17, v15, v17, 0xba1c065c :: v_dual_cndmask_b32 v12, v12, v16
	v_cndmask_b32_e64 v16, 0, 0x41b17218, s4
	s_delay_alu instid0(VALU_DEP_1) | instskip(NEXT) | instid1(VALU_DEP_1)
	v_dual_fmaak_f32 v17, v15, v17, 0x3a500cfd :: v_dual_sub_f32 v16, v12, v16
	v_fmaak_f32 v17, v15, v17, 0xbb360b61
	s_delay_alu instid0(VALU_DEP_1) | instskip(NEXT) | instid1(VALU_DEP_1)
	v_fmaak_f32 v15, v15, v17, 0x3daaaaab
	v_dual_fmaak_f32 v12, v14, v15, 0x3ed67f1d :: v_dual_add_f32 v15, -1.0, v16
	v_add_f32_e64 v14, |v2|, -0.5
	s_delay_alu instid0(VALU_DEP_1)
	v_fmac_f32_e32 v12, v14, v15
.LBB13_184:                             ;   in Loop: Header=BB13_177 Depth=1
	s_or_b32 exec_lo, exec_lo, s3
.LBB13_185:                             ;   in Loop: Header=BB13_177 Depth=1
	s_and_not1_saveexec_b32 s3, s0
	s_cbranch_execz .LBB13_187
; %bb.186:                              ;   in Loop: Header=BB13_177 Depth=1
	v_cvt_i32_f32_e32 v16, v13
	s_delay_alu instid0(VALU_DEP_1) | instskip(SKIP_1) | instid1(VALU_DEP_2)
	v_cvt_f32_i32_e32 v12, v16
	v_cmp_lt_i32_e32 vcc_lo, 3, v16
	v_sub_f32_e64 v12, |v2|, v12
	s_delay_alu instid0(VALU_DEP_1) | instskip(NEXT) | instid1(VALU_DEP_1)
	v_pk_add_f32 v[14:15], v[12:13], v[8:9] op_sel_hi:[0,1]
	v_dual_add_f32 v17, 4.0, v12 :: v_dual_cndmask_b32 v15, 1.0, v15, vcc_lo
	v_cmp_lt_i32_e32 vcc_lo, 2, v16
	s_delay_alu instid0(VALU_DEP_3) | instskip(SKIP_1) | instid1(VALU_DEP_2)
	v_cndmask_b32_e32 v14, 1.0, v14, vcc_lo
	v_cmp_lt_i32_e32 vcc_lo, 4, v16
	v_dual_cndmask_b32 v17, 1.0, v17 :: v_dual_mul_f32 v14, v14, v15
	v_add_f32_e32 v15, 0x40c00000, v12
	v_add_f32_e32 v18, 0x40a00000, v12
	v_cmp_lt_i32_e32 vcc_lo, 5, v16
	s_delay_alu instid0(VALU_DEP_4) | instskip(NEXT) | instid1(VALU_DEP_3)
	v_dual_mul_f32 v14, v17, v14 :: v_dual_fmaak_f32 v17, s10, v12, 0x3af135b4
	v_cndmask_b32_e32 v18, 1.0, v18, vcc_lo
	v_cmp_lt_i32_e32 vcc_lo, 6, v16
	s_delay_alu instid0(VALU_DEP_2) | instskip(NEXT) | instid1(VALU_DEP_1)
	v_dual_mul_f32 v14, v18, v14 :: v_dual_cndmask_b32 v15, 1.0, v15
	v_dual_mul_f32 v14, v15, v14 :: v_dual_fmaak_f32 v15, s11, v12, 0x3a4beed6
	s_delay_alu instid0(VALU_DEP_1) | instskip(NEXT) | instid1(VALU_DEP_1)
	v_fmaak_f32 v15, v12, v15, 0x3c98bf54
	v_fmaak_f32 v15, v12, v15, 0x3e300f6e
	s_delay_alu instid0(VALU_DEP_3) | instskip(SKIP_1) | instid1(VALU_DEP_1)
	v_cmp_gt_f32_e32 vcc_lo, 0x800000, v14
	v_cndmask_b32_e64 v16, 0, 32, vcc_lo
	v_ldexp_f32 v14, v14, v16
	v_fmaak_f32 v16, v12, v17, 0x3cda40e4
	s_delay_alu instid0(VALU_DEP_2) | instskip(SKIP_1) | instid1(TRANS32_DEP_1)
	v_log_f32_e32 v14, v14
	v_nop
	v_mul_f32_e32 v17, 0x3f317217, v14
	v_cmp_gt_f32_e64 s0, 0x7f800000, |v14|
	s_delay_alu instid0(VALU_DEP_2) | instskip(NEXT) | instid1(VALU_DEP_1)
	v_fma_f32 v18, 0x3f317217, v14, -v17
	v_fmac_f32_e32 v18, 0x3377d1cf, v14
	s_delay_alu instid0(VALU_DEP_1) | instskip(NEXT) | instid1(VALU_DEP_1)
	v_dual_add_f32 v17, v17, v18 :: v_dual_fmaak_f32 v16, v12, v16, 0x3e15dce6
	v_fmaak_f32 v16, v12, v16, 0x3ea6cc7a
	s_delay_alu instid0(VALU_DEP_1) | instskip(NEXT) | instid1(VALU_DEP_1)
	v_fmaak_f32 v16, v12, v16, 0x3e5c245a
	v_fmaak_f32 v16, v12, v16, 0xbd9e233f
	s_delay_alu instid0(VALU_DEP_1) | instskip(NEXT) | instid1(VALU_DEP_1)
	v_dual_fmaak_f32 v15, v12, v15, 0x3f38d0c5 :: v_dual_mul_f32 v16, v12, v16
	v_fmaak_f32 v15, v12, v15, 0x3fb22d3b
	s_delay_alu instid0(VALU_DEP_1) | instskip(NEXT) | instid1(VALU_DEP_1)
	v_fma_f32 v15, v12, v15, 1.0
	v_rcp_f32_e32 v15, v15
	v_nop
	s_delay_alu instid0(TRANS32_DEP_1) | instskip(SKIP_1) | instid1(VALU_DEP_2)
	v_dual_mul_f32 v15, v16, v15 :: v_dual_cndmask_b32 v14, v14, v17, s0
	v_cndmask_b32_e64 v16, 0, 0x41b17218, vcc_lo
	v_fmac_f32_e32 v15, 0.5, v12
	s_delay_alu instid0(VALU_DEP_2) | instskip(NEXT) | instid1(VALU_DEP_1)
	v_sub_f32_e32 v12, v14, v16
	v_add_f32_e32 v12, v12, v15
.LBB13_187:                             ;   in Loop: Header=BB13_177 Depth=1
	s_or_b32 exec_lo, exec_lo, s3
.LBB13_188:                             ;   in Loop: Header=BB13_177 Depth=1
	s_and_not1_saveexec_b32 s2, s2
	s_cbranch_execz .LBB13_206
; %bb.189:                              ;   in Loop: Header=BB13_177 Depth=1
	s_mov_b32 s3, exec_lo
                                        ; implicit-def: $vgpr12
                                        ; implicit-def: $vgpr15
                                        ; implicit-def: $vgpr14
	v_cmpx_ge_f32_e64 0x3f666666, |v2|
	s_xor_b32 s3, exec_lo, s3
	s_cbranch_execz .LBB13_191
; %bb.190:                              ;   in Loop: Header=BB13_177 Depth=1
	v_cmp_gt_f32_e64 s0, 0x800000, |v2|
	v_sub_f32_e64 v16, 1.0, |v2|
	v_cmp_gt_f32_e64 vcc_lo, 0x3f3b4a23, |v2|
	s_delay_alu instid0(VALU_DEP_3) | instskip(SKIP_1) | instid1(VALU_DEP_2)
	v_cndmask_b32_e64 v12, 0, 32, s0
	v_cndmask_b32_e64 v17, 0, 0x41b17218, s0
	v_ldexp_f32 v12, |v2|, v12
	s_delay_alu instid0(VALU_DEP_1) | instskip(SKIP_1) | instid1(TRANS32_DEP_1)
	v_log_f32_e32 v12, v12
	v_nop
	v_mul_f32_e32 v14, 0x3f317217, v12
	v_cmp_gt_f32_e64 s0, 0x7f800000, |v12|
	s_delay_alu instid0(VALU_DEP_2) | instskip(NEXT) | instid1(VALU_DEP_1)
	v_fma_f32 v15, 0x3f317217, v12, -v14
	v_fmac_f32_e32 v15, 0x3377d1cf, v12
	s_delay_alu instid0(VALU_DEP_1) | instskip(SKIP_1) | instid1(VALU_DEP_2)
	v_add_f32_e32 v14, v14, v15
	v_add_f32_e64 v15, 0xbeec5b0c, |v2|
	v_cndmask_b32_e64 v12, v12, v14, s0
	s_delay_alu instid0(VALU_DEP_2) | instskip(SKIP_2) | instid1(VALU_DEP_4)
	v_cndmask_b32_e32 v14, v16, v15, vcc_lo
	v_cndmask_b32_e64 v15, 0, 1, vcc_lo
	v_cmp_gt_f32_e64 s0, 0x3e6d3309, |v2|
	v_sub_f32_e32 v12, v12, v17
	s_delay_alu instid0(VALU_DEP_2) | instskip(NEXT) | instid1(VALU_DEP_4)
	v_cndmask_b32_e64 v14, v14, |v2|, s0
	v_cndmask_b32_e64 v15, v15, 2, s0
	s_delay_alu instid0(VALU_DEP_3)
	v_xor_b32_e32 v12, 0x80000000, v12
.LBB13_191:                             ;   in Loop: Header=BB13_177 Depth=1
	s_and_not1_saveexec_b32 s0, s3
	s_cbranch_execz .LBB13_193
; %bb.192:                              ;   in Loop: Header=BB13_177 Depth=1
	v_sub_f32_e64 v12, 2.0, |v2|
	v_add_f32_e64 v14, 0xbfbb16c3, |v2|
	v_cmp_gt_f32_e64 vcc_lo, 0x3fdda512, |v2|
	v_add_f32_e64 v15, |v2|, -1.0
	s_delay_alu instid0(VALU_DEP_3) | instskip(NEXT) | instid1(VALU_DEP_3)
	v_cndmask_b32_e32 v14, v12, v14, vcc_lo
	v_cndmask_b32_e64 v12, v12, 1.0, vcc_lo
	v_cmp_gt_f32_e64 vcc_lo, 0x3f9d70a4, |v2|
	s_delay_alu instid0(VALU_DEP_2) | instskip(NEXT) | instid1(VALU_DEP_4)
	v_cvt_i32_f32_e32 v12, v12
	v_cndmask_b32_e32 v14, v14, v15, vcc_lo
	s_delay_alu instid0(VALU_DEP_2)
	v_cndmask_b32_e64 v15, v12, 2, vcc_lo
	v_mov_b32_e32 v12, 0
.LBB13_193:                             ;   in Loop: Header=BB13_177 Depth=1
	s_or_b32 exec_lo, exec_lo, s0
	s_delay_alu instid0(SALU_CYCLE_1) | instskip(NEXT) | instid1(VALU_DEP_2)
	s_mov_b32 s0, exec_lo
	v_cmpx_lt_i32_e32 0, v15
	s_xor_b32 s0, exec_lo, s0
	s_cbranch_execz .LBB13_201
; %bb.194:                              ;   in Loop: Header=BB13_177 Depth=1
	s_mov_b32 s3, exec_lo
	v_cmpx_lt_i32_e32 1, v15
	s_xor_b32 s3, exec_lo, s3
	s_cbranch_execz .LBB13_198
; %bb.195:                              ;   in Loop: Header=BB13_177 Depth=1
	s_mov_b32 s4, exec_lo
	v_cmpx_eq_u32_e32 2, v15
	s_cbranch_execz .LBB13_197
; %bb.196:                              ;   in Loop: Header=BB13_177 Depth=1
	v_fmaak_f32 v16, s12, v14, 0x3e6a7578
	s_delay_alu instid0(VALU_DEP_1) | instskip(NEXT) | instid1(VALU_DEP_1)
	v_fmaak_f32 v16, v14, v16, 0x3f7a4bb2
	v_fmaak_f32 v16, v14, v16, 0x3fba3ae7
	s_delay_alu instid0(VALU_DEP_1) | instskip(NEXT) | instid1(VALU_DEP_1)
	v_fmaak_f32 v16, v14, v16, 0x3f2200f4
	v_fmaak_f32 v16, v14, v16, 0xbd9e233f
	s_delay_alu instid0(VALU_DEP_1) | instskip(NEXT) | instid1(VALU_DEP_1)
	v_dual_fmaak_f32 v15, s13, v14, 0x3dd572af :: v_dual_mul_f32 v16, v14, v16
	v_fmaak_f32 v15, v14, v15, 0x3f44efdf
	s_delay_alu instid0(VALU_DEP_1) | instskip(NEXT) | instid1(VALU_DEP_1)
	v_fmaak_f32 v15, v14, v15, 0x4008392d
	v_fmaak_f32 v15, v14, v15, 0x401d2ebe
	s_delay_alu instid0(VALU_DEP_1) | instskip(NEXT) | instid1(VALU_DEP_1)
	v_fma_f32 v15, v14, v15, 1.0
	v_rcp_f32_e32 v15, v15
	v_nop
	s_delay_alu instid0(TRANS32_DEP_1) | instskip(NEXT) | instid1(VALU_DEP_1)
	v_mul_f32_e32 v15, v16, v15
	v_fmac_f32_e32 v15, -0.5, v14
	s_delay_alu instid0(VALU_DEP_1)
	v_add_f32_e32 v12, v12, v15
.LBB13_197:                             ;   in Loop: Header=BB13_177 Depth=1
	s_or_b32 exec_lo, exec_lo, s4
                                        ; implicit-def: $vgpr14
.LBB13_198:                             ;   in Loop: Header=BB13_177 Depth=1
	s_and_not1_saveexec_b32 s3, s3
	s_cbranch_execz .LBB13_200
; %bb.199:                              ;   in Loop: Header=BB13_177 Depth=1
	v_mul_f32_e32 v15, v14, v14
	s_delay_alu instid0(VALU_DEP_1) | instskip(NEXT) | instid1(VALU_DEP_1)
	v_mul_f32_e32 v16, v14, v15
	v_fmaak_f32 v17, s15, v16, 0x3a66f867
	v_fmaak_f32 v18, s16, v16, 0xba0d3085
	s_delay_alu instid0(VALU_DEP_2) | instskip(NEXT) | instid1(VALU_DEP_2)
	v_fmaak_f32 v17, v16, v17, 0xbb7177fe
	v_fmaak_f32 v18, v16, v18, 0x3b141699
	s_delay_alu instid0(VALU_DEP_2) | instskip(NEXT) | instid1(VALU_DEP_2)
	;; [unrolled: 3-line block ×3, first 2 shown]
	v_fmaak_f32 v17, v16, v17, 0xbe17213c
	v_fmaak_f32 v18, v16, v18, 0x3d845a15
	s_delay_alu instid0(VALU_DEP_1) | instskip(SKIP_1) | instid1(VALU_DEP_1)
	v_fmac_f32_e32 v17, v14, v18
	v_fmaak_f32 v19, s14, v16, 0xbab7f476
	v_fmaak_f32 v19, v16, v19, 0x3bc7e707
	s_delay_alu instid0(VALU_DEP_1) | instskip(NEXT) | instid1(VALU_DEP_1)
	v_fmaak_f32 v19, v16, v19, 0xbd064d47
	v_fmaak_f32 v14, v16, v19, 0x3ef7b95e
	v_fma_f32 v16, v16, -v17, 0xa2863e55
	s_delay_alu instid0(VALU_DEP_1) | instskip(NEXT) | instid1(VALU_DEP_1)
	v_fma_f32 v14, v15, v14, -v16
	v_add_f32_e32 v14, 0xbdf8cdce, v14
	s_delay_alu instid0(VALU_DEP_1)
	v_add_f32_e32 v12, v12, v14
.LBB13_200:                             ;   in Loop: Header=BB13_177 Depth=1
	s_or_b32 exec_lo, exec_lo, s3
                                        ; implicit-def: $vgpr15
                                        ; implicit-def: $vgpr14
.LBB13_201:                             ;   in Loop: Header=BB13_177 Depth=1
	s_and_not1_saveexec_b32 s0, s0
	s_cbranch_execz .LBB13_205
; %bb.202:                              ;   in Loop: Header=BB13_177 Depth=1
	s_mov_b32 s3, exec_lo
	v_cmpx_eq_u32_e32 0, v15
	s_cbranch_execz .LBB13_204
; %bb.203:                              ;   in Loop: Header=BB13_177 Depth=1
	v_mul_f32_e32 v15, v14, v14
	s_delay_alu instid0(VALU_DEP_1) | instskip(NEXT) | instid1(VALU_DEP_1)
	v_fmaak_f32 v17, s17, v15, 0x39679767
	v_fmaak_f32 v17, v15, v17, 0x3a9c54a1
	s_delay_alu instid0(VALU_DEP_1) | instskip(NEXT) | instid1(VALU_DEP_1)
	v_fmaak_f32 v17, v15, v17, 0x3bf2027e
	v_fmaak_f32 v17, v15, v17, 0x3d89f001
	s_delay_alu instid0(VALU_DEP_1) | instskip(SKIP_1) | instid1(VALU_DEP_1)
	v_fmaak_f32 v17, v15, v17, 0x3d9e233f
	v_fmaak_f32 v16, s18, v15, 0x38e28445
	;; [unrolled: 1-line block ×3, first 2 shown]
	s_delay_alu instid0(VALU_DEP_1) | instskip(NEXT) | instid1(VALU_DEP_1)
	v_fmaak_f32 v16, v15, v16, 0x3b3d6ec6
	v_fmaak_f32 v16, v15, v16, 0x3ca89915
	s_delay_alu instid0(VALU_DEP_1) | instskip(NEXT) | instid1(VALU_DEP_1)
	v_fmaak_f32 v16, v15, v16, 0x3ea51a66
	v_mul_f32_e32 v15, v15, v16
	s_delay_alu instid0(VALU_DEP_1) | instskip(NEXT) | instid1(VALU_DEP_1)
	v_fmac_f32_e32 v15, v14, v17
	v_fmac_f32_e32 v15, -0.5, v14
	s_delay_alu instid0(VALU_DEP_1)
	v_add_f32_e32 v12, v12, v15
.LBB13_204:                             ;   in Loop: Header=BB13_177 Depth=1
	s_or_b32 exec_lo, exec_lo, s3
.LBB13_205:                             ;   in Loop: Header=BB13_177 Depth=1
	s_delay_alu instid0(SALU_CYCLE_1)
	s_or_b32 exec_lo, exec_lo, s0
.LBB13_206:                             ;   in Loop: Header=BB13_177 Depth=1
	s_delay_alu instid0(SALU_CYCLE_1)
	s_or_b32 exec_lo, exec_lo, s2
.LBB13_207:                             ;   in Loop: Header=BB13_177 Depth=1
	s_and_not1_saveexec_b32 s0, s1
	s_cbranch_execz .LBB13_209
; %bb.208:                              ;   in Loop: Header=BB13_177 Depth=1
	v_cmp_gt_f32_e64 s1, 0x800000, |v2|
	v_fma_f32 v16, |v2|, s19, 0xbecd26ab
	s_delay_alu instid0(VALU_DEP_2) | instskip(NEXT) | instid1(VALU_DEP_1)
	v_cndmask_b32_e64 v12, 0, 32, s1
	v_ldexp_f32 v12, |v2|, v12
	s_delay_alu instid0(VALU_DEP_1) | instskip(SKIP_1) | instid1(TRANS32_DEP_1)
	v_log_f32_e32 v12, v12
	v_nop
	v_mul_f32_e32 v14, 0x3f317217, v12
	v_cmp_gt_f32_e64 vcc_lo, 0x7f800000, |v12|
	s_delay_alu instid0(VALU_DEP_2) | instskip(NEXT) | instid1(VALU_DEP_1)
	v_fma_f32 v15, 0x3f317217, v12, -v14
	v_fmac_f32_e32 v15, 0x3377d1cf, v12
	s_delay_alu instid0(VALU_DEP_1) | instskip(SKIP_1) | instid1(VALU_DEP_2)
	v_add_f32_e32 v14, v14, v15
	v_fma_f32 v15, |v2|, v16, 0x3f528d33
	v_cndmask_b32_e32 v12, v12, v14, vcc_lo
	v_cndmask_b32_e64 v14, 0, 0x41b17218, s1
	s_delay_alu instid0(VALU_DEP_3) | instskip(NEXT) | instid1(VALU_DEP_2)
	v_fma_f32 v15, |v2|, v15, 0xbf13c468
	v_sub_f32_e32 v12, v12, v14
	s_delay_alu instid0(VALU_DEP_1)
	v_fma_f32 v12, |v2|, v15, -v12
.LBB13_209:                             ;   in Loop: Header=BB13_177 Depth=1
	s_or_b32 exec_lo, exec_lo, s0
	v_cmp_le_f32_e32 vcc_lo, 0, v2
	s_mov_b32 s1, exec_lo
	v_cmpx_nle_f32_e32 0, v2
	s_xor_b32 s2, exec_lo, s1
	s_cbranch_execz .LBB13_213
; %bb.210:                              ;   in Loop: Header=BB13_177 Depth=1
	v_cmp_gt_f32_e64 s0, 0x4b000000, |v2|
	v_cmp_lt_f32_e64 s1, 0x35000000, |v2|
	s_and_b32 s0, s0, s1
	s_delay_alu instid0(SALU_CYCLE_1)
	s_and_saveexec_b32 s3, s0
	s_cbranch_execz .LBB13_212
; %bb.211:                              ;   in Loop: Header=BB13_177 Depth=1
	v_mul_f32_e64 v14, |v2|, 0.5
	v_xor_b32_e32 v13, v13, v2
	s_delay_alu instid0(VALU_DEP_2) | instskip(SKIP_1) | instid1(VALU_DEP_2)
	v_floor_f32_e32 v15, v14
	v_cmp_neq_f32_e64 s0, 0x7f800000, v14
	v_sub_f32_e32 v15, v14, v15
	s_delay_alu instid0(VALU_DEP_1) | instskip(NEXT) | instid1(VALU_DEP_1)
	v_min_num_f32_e32 v15, 0x3f7fffff, v15
	v_add_f32_e32 v15, v15, v15
	s_delay_alu instid0(VALU_DEP_1) | instskip(SKIP_1) | instid1(VALU_DEP_1)
	v_cndmask_b32_e64 v14, 0, v15, s0
	v_cmp_gt_f32_e64 s0, |v2|, 1.0
	v_cndmask_b32_e64 v14, |v2|, v14, s0
	s_delay_alu instid0(VALU_DEP_1) | instskip(NEXT) | instid1(VALU_DEP_1)
	v_add_f32_e32 v15, v14, v14
	v_rndne_f32_e32 v15, v15
	s_delay_alu instid0(VALU_DEP_1) | instskip(SKIP_1) | instid1(VALU_DEP_2)
	v_fmac_f32_e32 v14, -0.5, v15
	v_cvt_i32_f32_e32 v15, v15
	v_mul_f32_e32 v16, v14, v14
	s_delay_alu instid0(VALU_DEP_1) | instskip(SKIP_1) | instid1(VALU_DEP_2)
	v_fmaak_f32 v17, s20, v16, 0xbf1f24be
	v_dual_fmaak_f32 v18, s21, v16, 0x3e642e9d :: v_dual_mul_f32 v19, v14, v16
	v_fmaak_f32 v17, v16, v17, 0x40234736
	s_delay_alu instid0(VALU_DEP_2) | instskip(NEXT) | instid1(VALU_DEP_2)
	v_fmaak_f32 v18, v16, v18, 0xbfaad1da
	v_fmaak_f32 v17, v16, v17, 0xc0a55e0e
	s_delay_alu instid0(VALU_DEP_1) | instskip(NEXT) | instid1(VALU_DEP_1)
	v_mul_f32_e32 v17, v19, v17
	v_fmac_f32_e32 v17, 0x40490fdb, v14
	v_dual_lshlrev_b32 v15, 30, v15 :: v_dual_bitop2_b32 v19, 1, v15 bitop3:0x40
	v_fmaak_f32 v18, v16, v18, 0x4081e0d3
	s_delay_alu instid0(VALU_DEP_2) | instskip(NEXT) | instid1(VALU_DEP_3)
	v_cmp_eq_u32_e64 s0, 0, v19
	v_and_b32_e32 v15, 0x80000000, v15
	s_delay_alu instid0(VALU_DEP_3) | instskip(NEXT) | instid1(VALU_DEP_1)
	v_fmaak_f32 v18, v16, v18, 0xc09de9e6
	v_fma_f32 v14, v16, v18, 1.0
	s_delay_alu instid0(VALU_DEP_1) | instskip(NEXT) | instid1(VALU_DEP_1)
	v_cndmask_b32_e64 v14, v14, v17, s0
	v_xor3_b32 v13, v13, v15, v14
	s_delay_alu instid0(VALU_DEP_1) | instskip(NEXT) | instid1(VALU_DEP_1)
	v_mul_f32_e32 v13, v2, v13
	v_frexp_mant_f32_e64 v14, |v13|
	v_frexp_exp_i32_f32_e32 v13, v13
	s_delay_alu instid0(VALU_DEP_2) | instskip(SKIP_1) | instid1(TRANS32_DEP_1)
	v_rcp_f32_e32 v14, v14
	v_nop
	v_dual_mul_f32 v14, 0x3f490fdb, v14 :: v_dual_sub_nc_u32 v13, 2, v13
	s_delay_alu instid0(VALU_DEP_1) | instskip(NEXT) | instid1(VALU_DEP_1)
	v_ldexp_f32 v13, v14, v13
	v_cmp_gt_f32_e64 s0, 0x800000, v13
	s_delay_alu instid0(VALU_DEP_1) | instskip(NEXT) | instid1(VALU_DEP_1)
	v_cndmask_b32_e64 v14, 0, 32, s0
	v_ldexp_f32 v13, v13, v14
	s_delay_alu instid0(VALU_DEP_1) | instskip(SKIP_1) | instid1(TRANS32_DEP_1)
	v_log_f32_e32 v13, v13
	v_nop
	v_mul_f32_e32 v14, 0x3f317217, v13
	v_cmp_gt_f32_e64 s1, 0x7f800000, |v13|
	s_delay_alu instid0(VALU_DEP_2) | instskip(NEXT) | instid1(VALU_DEP_1)
	v_fma_f32 v15, 0x3f317217, v13, -v14
	v_fmac_f32_e32 v15, 0x3377d1cf, v13
	s_delay_alu instid0(VALU_DEP_1) | instskip(SKIP_1) | instid1(VALU_DEP_2)
	v_add_f32_e32 v14, v14, v15
	v_floor_f32_e32 v15, v2
	v_cndmask_b32_e64 v13, v13, v14, s1
	v_cndmask_b32_e64 v14, 0, 0x41b17218, s0
	s_delay_alu instid0(VALU_DEP_1) | instskip(NEXT) | instid1(VALU_DEP_1)
	v_dual_sub_f32 v15, v2, v15 :: v_dual_sub_f32 v13, v13, v14
	v_min_num_f32_e32 v14, 0x3f7fffff, v15
	s_delay_alu instid0(VALU_DEP_2) | instskip(NEXT) | instid1(VALU_DEP_2)
	v_sub_f32_e32 v12, v13, v12
	v_cmp_neq_f32_e64 s0, 0, v14
	s_delay_alu instid0(VALU_DEP_1)
	v_cndmask_b32_e64 v12, 0x7f800000, v12, s0
.LBB13_212:                             ;   in Loop: Header=BB13_177 Depth=1
	s_or_b32 exec_lo, exec_lo, s3
.LBB13_213:                             ;   in Loop: Header=BB13_177 Depth=1
	s_and_not1_saveexec_b32 s2, s2
; %bb.214:                              ;   in Loop: Header=BB13_177 Depth=1
	v_cmp_eq_f32_e64 s0, 1.0, v2
	v_cmp_eq_f32_e64 s1, 2.0, v2
	s_or_b32 s0, s0, s1
	s_delay_alu instid0(SALU_CYCLE_1)
	v_cndmask_b32_e64 v12, v12, 0, s0
; %bb.215:                              ;   in Loop: Header=BB13_177 Depth=1
	s_or_b32 exec_lo, exec_lo, s2
	v_and_b32_e32 v14, 0x7fffffff, v3
                                        ; implicit-def: $vgpr13
	s_mov_b32 s1, exec_lo
	v_cmpx_ngt_f32_e64 0x3c800000, |v3|
	s_xor_b32 s2, exec_lo, s1
	s_cbranch_execz .LBB13_245
; %bb.216:                              ;   in Loop: Header=BB13_177 Depth=1
                                        ; implicit-def: $vgpr13
	s_mov_b32 s1, exec_lo
	v_cmpx_nlt_f32_e64 |v3|, 2.0
	s_xor_b32 s3, exec_lo, s1
	s_cbranch_execz .LBB13_226
; %bb.217:                              ;   in Loop: Header=BB13_177 Depth=1
	s_mov_b32 s1, exec_lo
                                        ; implicit-def: $vgpr13
	v_cmpx_ngt_f32_e64 0x41000000, |v3|
	s_xor_b32 s1, exec_lo, s1
	s_cbranch_execz .LBB13_223
; %bb.218:                              ;   in Loop: Header=BB13_177 Depth=1
	s_mov_b32 s4, exec_lo
                                        ; implicit-def: $vgpr13
	v_cmpx_ngt_f32_e64 0x5c800000, |v3|
	s_xor_b32 s4, exec_lo, s4
	s_cbranch_execz .LBB13_220
; %bb.219:                              ;   in Loop: Header=BB13_177 Depth=1
	v_cmp_gt_f32_e64 s23, 0x800000, |v3|
	s_delay_alu instid0(VALU_DEP_1) | instskip(NEXT) | instid1(VALU_DEP_1)
	v_cndmask_b32_e64 v13, 0, 32, s23
	v_ldexp_f32 v13, |v3|, v13
	s_delay_alu instid0(VALU_DEP_1) | instskip(SKIP_1) | instid1(TRANS32_DEP_1)
	v_log_f32_e32 v13, v13
	v_nop
	v_mul_f32_e32 v15, 0x3f317217, v13
	v_cmp_gt_f32_e64 s0, 0x7f800000, |v13|
	s_delay_alu instid0(VALU_DEP_2) | instskip(NEXT) | instid1(VALU_DEP_1)
	v_fma_f32 v16, 0x3f317217, v13, -v15
	v_fmac_f32_e32 v16, 0x3377d1cf, v13
	s_delay_alu instid0(VALU_DEP_1) | instskip(NEXT) | instid1(VALU_DEP_1)
	v_add_f32_e32 v15, v15, v16
	v_cndmask_b32_e64 v13, v13, v15, s0
	v_cndmask_b32_e64 v15, 0, 0x41b17218, s23
	s_delay_alu instid0(VALU_DEP_1) | instskip(NEXT) | instid1(VALU_DEP_1)
	v_sub_f32_e32 v13, v13, v15
	v_fma_f32 v13, |v3|, v13, -|v3|
.LBB13_220:                             ;   in Loop: Header=BB13_177 Depth=1
	s_and_not1_saveexec_b32 s4, s4
	s_cbranch_execz .LBB13_222
; %bb.221:                              ;   in Loop: Header=BB13_177 Depth=1
	v_cmp_gt_f32_e64 s23, 0x800000, |v3|
	v_rcp_f32_e64 v15, |v3|
	s_delay_alu instid0(VALU_DEP_1) | instskip(NEXT) | instid1(VALU_DEP_1)
	v_cndmask_b32_e64 v13, 0, 32, s23
	v_ldexp_f32 v13, |v3|, v13
	s_delay_alu instid0(VALU_DEP_1) | instskip(SKIP_1) | instid1(TRANS32_DEP_1)
	v_log_f32_e32 v13, v13
	v_nop
	v_dual_mul_f32 v16, v15, v15 :: v_dual_mul_f32 v17, 0x3f317217, v13
	v_cmp_gt_f32_e64 s0, 0x7f800000, |v13|
	s_delay_alu instid0(VALU_DEP_2) | instskip(NEXT) | instid1(VALU_DEP_1)
	v_fma_f32 v19, 0x3f317217, v13, -v17
	v_fmac_f32_e32 v19, 0x3377d1cf, v13
	s_delay_alu instid0(VALU_DEP_1) | instskip(NEXT) | instid1(VALU_DEP_1)
	v_dual_fmaak_f32 v18, s5, v16, 0x3a5b3dd2 :: v_dual_add_f32 v17, v17, v19
	v_cndmask_b32_e64 v13, v13, v17, s0
	v_cndmask_b32_e64 v17, 0, 0x41b17218, s23
	s_delay_alu instid0(VALU_DEP_1) | instskip(NEXT) | instid1(VALU_DEP_1)
	v_dual_fmaak_f32 v18, v16, v18, 0xba1c065c :: v_dual_sub_f32 v17, v13, v17
	v_fmaak_f32 v18, v16, v18, 0x3a500cfd
	s_delay_alu instid0(VALU_DEP_1) | instskip(NEXT) | instid1(VALU_DEP_1)
	v_fmaak_f32 v18, v16, v18, 0xbb360b61
	v_fmaak_f32 v16, v16, v18, 0x3daaaaab
	s_delay_alu instid0(VALU_DEP_1) | instskip(SKIP_2) | instid1(VALU_DEP_1)
	v_fmaak_f32 v13, v15, v16, 0x3ed67f1d
	v_add_f32_e64 v15, |v3|, -0.5
	v_add_f32_e32 v16, -1.0, v17
	v_fmac_f32_e32 v13, v15, v16
.LBB13_222:                             ;   in Loop: Header=BB13_177 Depth=1
	s_or_b32 exec_lo, exec_lo, s4
.LBB13_223:                             ;   in Loop: Header=BB13_177 Depth=1
	s_and_not1_saveexec_b32 s4, s1
	s_cbranch_execz .LBB13_225
; %bb.224:                              ;   in Loop: Header=BB13_177 Depth=1
	v_cvt_i32_f32_e32 v13, v14
	s_delay_alu instid0(VALU_DEP_1) | instskip(SKIP_1) | instid1(VALU_DEP_2)
	v_cvt_f32_i32_e32 v15, v13
	v_cmp_lt_i32_e64 s0, 3, v13
	v_sub_f32_e64 v16, |v3|, v15
	s_delay_alu instid0(VALU_DEP_1) | instskip(NEXT) | instid1(VALU_DEP_1)
	v_pk_add_f32 v[18:19], v[16:17], v[8:9] op_sel_hi:[0,1]
	v_dual_add_f32 v15, 4.0, v16 :: v_dual_cndmask_b32 v17, 1.0, v19, s0
	v_cmp_lt_i32_e64 s0, 2, v13
	v_add_f32_e32 v19, 0x40a00000, v16
	s_delay_alu instid0(VALU_DEP_2) | instskip(SKIP_1) | instid1(VALU_DEP_1)
	v_cndmask_b32_e64 v18, 1.0, v18, s0
	v_cmp_lt_i32_e64 s0, 4, v13
	v_dual_cndmask_b32 v15, 1.0, v15, s0 :: v_dual_mul_f32 v17, v18, v17
	v_add_f32_e32 v18, 0x40c00000, v16
	v_cmp_lt_i32_e64 s0, 5, v13
	s_delay_alu instid0(VALU_DEP_1) | instskip(SKIP_1) | instid1(VALU_DEP_1)
	v_dual_mul_f32 v15, v15, v17 :: v_dual_cndmask_b32 v19, 1.0, v19, s0
	v_cmp_lt_i32_e64 s0, 6, v13
	v_dual_mul_f32 v15, v19, v15 :: v_dual_cndmask_b32 v13, 1.0, v18, s0
	s_delay_alu instid0(VALU_DEP_1) | instskip(NEXT) | instid1(VALU_DEP_1)
	v_dual_fmaak_f32 v18, s10, v16, 0x3af135b4 :: v_dual_mul_f32 v13, v13, v15
	v_cmp_gt_f32_e64 s0, 0x800000, v13
	s_delay_alu instid0(VALU_DEP_1) | instskip(NEXT) | instid1(VALU_DEP_1)
	v_cndmask_b32_e64 v17, 0, 32, s0
	v_ldexp_f32 v13, v13, v17
	s_delay_alu instid0(VALU_DEP_4) | instskip(NEXT) | instid1(VALU_DEP_2)
	v_fmaak_f32 v17, v16, v18, 0x3cda40e4
	v_log_f32_e32 v13, v13
	s_delay_alu instid0(VALU_DEP_1) | instskip(NEXT) | instid1(VALU_DEP_1)
	v_fmaak_f32 v17, v16, v17, 0x3e15dce6
	v_fmaak_f32 v17, v16, v17, 0x3ea6cc7a
	s_delay_alu instid0(TRANS32_DEP_1) | instskip(NEXT) | instid1(VALU_DEP_2)
	v_cmp_gt_f32_e64 s1, 0x7f800000, |v13|
	v_fmaak_f32 v17, v16, v17, 0x3e5c245a
	s_delay_alu instid0(VALU_DEP_1) | instskip(NEXT) | instid1(VALU_DEP_1)
	v_fmaak_f32 v17, v16, v17, 0xbd9e233f
	v_mul_f32_e32 v17, v16, v17
	v_mul_f32_e32 v18, 0x3f317217, v13
	s_delay_alu instid0(VALU_DEP_1) | instskip(NEXT) | instid1(VALU_DEP_1)
	v_fma_f32 v19, 0x3f317217, v13, -v18
	v_fmac_f32_e32 v19, 0x3377d1cf, v13
	s_delay_alu instid0(VALU_DEP_1) | instskip(NEXT) | instid1(VALU_DEP_1)
	v_dual_fmaak_f32 v15, s11, v16, 0x3a4beed6 :: v_dual_add_f32 v18, v18, v19
	v_fmaak_f32 v15, v16, v15, 0x3c98bf54
	s_delay_alu instid0(VALU_DEP_2) | instskip(NEXT) | instid1(VALU_DEP_2)
	v_cndmask_b32_e64 v13, v13, v18, s1
	v_fmaak_f32 v15, v16, v15, 0x3e300f6e
	s_delay_alu instid0(VALU_DEP_1) | instskip(NEXT) | instid1(VALU_DEP_1)
	v_fmaak_f32 v15, v16, v15, 0x3f38d0c5
	v_fmaak_f32 v15, v16, v15, 0x3fb22d3b
	s_delay_alu instid0(VALU_DEP_1) | instskip(NEXT) | instid1(VALU_DEP_1)
	v_fma_f32 v15, v16, v15, 1.0
	v_rcp_f32_e32 v15, v15
	v_nop
	s_delay_alu instid0(TRANS32_DEP_1) | instskip(SKIP_1) | instid1(VALU_DEP_1)
	v_mul_f32_e32 v15, v17, v15
	v_cndmask_b32_e64 v17, 0, 0x41b17218, s0
	v_dual_fmac_f32 v15, 0.5, v16 :: v_dual_sub_f32 v13, v13, v17
	s_delay_alu instid0(VALU_DEP_1)
	v_add_f32_e32 v13, v13, v15
.LBB13_225:                             ;   in Loop: Header=BB13_177 Depth=1
	s_or_b32 exec_lo, exec_lo, s4
.LBB13_226:                             ;   in Loop: Header=BB13_177 Depth=1
	s_and_not1_saveexec_b32 s3, s3
	s_cbranch_execz .LBB13_244
; %bb.227:                              ;   in Loop: Header=BB13_177 Depth=1
                                        ; implicit-def: $vgpr13
                                        ; implicit-def: $vgpr16
                                        ; implicit-def: $vgpr15
	s_mov_b32 s1, exec_lo
	v_cmpx_ge_f32_e64 0x3f666666, |v3|
	s_xor_b32 s4, exec_lo, s1
	s_cbranch_execz .LBB13_229
; %bb.228:                              ;   in Loop: Header=BB13_177 Depth=1
	v_cmp_gt_f32_e64 s1, 0x800000, |v3|
	v_sub_f32_e64 v17, 1.0, |v3|
	v_cmp_gt_f32_e64 s0, 0x3f3b4a23, |v3|
	s_delay_alu instid0(VALU_DEP_3) | instskip(SKIP_1) | instid1(VALU_DEP_2)
	v_cndmask_b32_e64 v13, 0, 32, s1
	v_cndmask_b32_e64 v18, 0, 0x41b17218, s1
	v_ldexp_f32 v13, |v3|, v13
	s_delay_alu instid0(VALU_DEP_1) | instskip(SKIP_1) | instid1(TRANS32_DEP_1)
	v_log_f32_e32 v13, v13
	v_nop
	v_mul_f32_e32 v15, 0x3f317217, v13
	v_cmp_gt_f32_e64 s1, 0x7f800000, |v13|
	s_delay_alu instid0(VALU_DEP_2) | instskip(NEXT) | instid1(VALU_DEP_1)
	v_fma_f32 v16, 0x3f317217, v13, -v15
	v_fmac_f32_e32 v16, 0x3377d1cf, v13
	s_delay_alu instid0(VALU_DEP_1) | instskip(SKIP_1) | instid1(VALU_DEP_2)
	v_add_f32_e32 v15, v15, v16
	v_add_f32_e64 v16, 0xbeec5b0c, |v3|
	v_cndmask_b32_e64 v13, v13, v15, s1
	s_delay_alu instid0(VALU_DEP_2) | instskip(SKIP_2) | instid1(VALU_DEP_4)
	v_cndmask_b32_e64 v15, v17, v16, s0
	v_cndmask_b32_e64 v16, 0, 1, s0
	v_cmp_gt_f32_e64 s0, 0x3e6d3309, |v3|
	v_sub_f32_e32 v13, v13, v18
	s_delay_alu instid0(VALU_DEP_2) | instskip(NEXT) | instid1(VALU_DEP_4)
	v_cndmask_b32_e64 v15, v15, |v3|, s0
	v_cndmask_b32_e64 v16, v16, 2, s0
	s_delay_alu instid0(VALU_DEP_3)
	v_xor_b32_e32 v13, 0x80000000, v13
.LBB13_229:                             ;   in Loop: Header=BB13_177 Depth=1
	s_and_not1_saveexec_b32 s1, s4
	s_cbranch_execz .LBB13_231
; %bb.230:                              ;   in Loop: Header=BB13_177 Depth=1
	v_sub_f32_e64 v13, 2.0, |v3|
	v_add_f32_e64 v15, 0xbfbb16c3, |v3|
	v_cmp_gt_f32_e64 s0, 0x3fdda512, |v3|
	v_add_f32_e64 v16, |v3|, -1.0
	s_delay_alu instid0(VALU_DEP_2) | instskip(SKIP_2) | instid1(VALU_DEP_2)
	v_cndmask_b32_e64 v15, v13, v15, s0
	v_cndmask_b32_e64 v13, v13, 1.0, s0
	v_cmp_gt_f32_e64 s0, 0x3f9d70a4, |v3|
	v_cvt_i32_f32_e32 v13, v13
	s_delay_alu instid0(VALU_DEP_2) | instskip(NEXT) | instid1(VALU_DEP_2)
	v_cndmask_b32_e64 v15, v15, v16, s0
	v_cndmask_b32_e64 v16, v13, 2, s0
	v_mov_b32_e32 v13, 0
.LBB13_231:                             ;   in Loop: Header=BB13_177 Depth=1
	s_or_b32 exec_lo, exec_lo, s1
	s_delay_alu instid0(SALU_CYCLE_1) | instskip(NEXT) | instid1(VALU_DEP_2)
	s_mov_b32 s1, exec_lo
	v_cmpx_lt_i32_e32 0, v16
	s_xor_b32 s1, exec_lo, s1
	s_cbranch_execz .LBB13_239
; %bb.232:                              ;   in Loop: Header=BB13_177 Depth=1
	s_mov_b32 s4, exec_lo
	v_cmpx_lt_i32_e32 1, v16
	s_xor_b32 s4, exec_lo, s4
	s_cbranch_execz .LBB13_236
; %bb.233:                              ;   in Loop: Header=BB13_177 Depth=1
	s_mov_b32 s23, exec_lo
	v_cmpx_eq_u32_e32 2, v16
	s_cbranch_execz .LBB13_235
; %bb.234:                              ;   in Loop: Header=BB13_177 Depth=1
	v_fmaak_f32 v17, s12, v15, 0x3e6a7578
	s_delay_alu instid0(VALU_DEP_1) | instskip(NEXT) | instid1(VALU_DEP_1)
	v_fmaak_f32 v17, v15, v17, 0x3f7a4bb2
	v_fmaak_f32 v17, v15, v17, 0x3fba3ae7
	s_delay_alu instid0(VALU_DEP_1) | instskip(NEXT) | instid1(VALU_DEP_1)
	v_fmaak_f32 v17, v15, v17, 0x3f2200f4
	v_fmaak_f32 v17, v15, v17, 0xbd9e233f
	s_delay_alu instid0(VALU_DEP_1) | instskip(NEXT) | instid1(VALU_DEP_1)
	v_dual_fmaak_f32 v16, s13, v15, 0x3dd572af :: v_dual_mul_f32 v17, v15, v17
	v_fmaak_f32 v16, v15, v16, 0x3f44efdf
	s_delay_alu instid0(VALU_DEP_1) | instskip(NEXT) | instid1(VALU_DEP_1)
	v_fmaak_f32 v16, v15, v16, 0x4008392d
	v_fmaak_f32 v16, v15, v16, 0x401d2ebe
	s_delay_alu instid0(VALU_DEP_1) | instskip(NEXT) | instid1(VALU_DEP_1)
	v_fma_f32 v16, v15, v16, 1.0
	v_rcp_f32_e32 v16, v16
	v_nop
	s_delay_alu instid0(TRANS32_DEP_1) | instskip(NEXT) | instid1(VALU_DEP_1)
	v_mul_f32_e32 v16, v17, v16
	v_fmac_f32_e32 v16, -0.5, v15
	s_delay_alu instid0(VALU_DEP_1)
	v_add_f32_e32 v13, v13, v16
.LBB13_235:                             ;   in Loop: Header=BB13_177 Depth=1
	s_or_b32 exec_lo, exec_lo, s23
                                        ; implicit-def: $vgpr15
.LBB13_236:                             ;   in Loop: Header=BB13_177 Depth=1
	s_and_not1_saveexec_b32 s0, s4
	s_cbranch_execz .LBB13_238
; %bb.237:                              ;   in Loop: Header=BB13_177 Depth=1
	v_mul_f32_e32 v16, v15, v15
	s_delay_alu instid0(VALU_DEP_1) | instskip(NEXT) | instid1(VALU_DEP_1)
	v_mul_f32_e32 v17, v15, v16
	v_fmaak_f32 v18, s15, v17, 0x3a66f867
	v_fmaak_f32 v19, s16, v17, 0xba0d3085
	s_delay_alu instid0(VALU_DEP_2) | instskip(NEXT) | instid1(VALU_DEP_2)
	v_fmaak_f32 v18, v17, v18, 0xbb7177fe
	v_fmaak_f32 v19, v17, v19, 0x3b141699
	s_delay_alu instid0(VALU_DEP_2) | instskip(NEXT) | instid1(VALU_DEP_2)
	;; [unrolled: 3-line block ×3, first 2 shown]
	v_fmaak_f32 v18, v17, v18, 0xbe17213c
	v_fmaak_f32 v19, v17, v19, 0x3d845a15
	s_delay_alu instid0(VALU_DEP_1) | instskip(SKIP_1) | instid1(VALU_DEP_1)
	v_fmac_f32_e32 v18, v15, v19
	v_fmaak_f32 v20, s14, v17, 0xbab7f476
	v_fmaak_f32 v20, v17, v20, 0x3bc7e707
	s_delay_alu instid0(VALU_DEP_1) | instskip(NEXT) | instid1(VALU_DEP_1)
	v_fmaak_f32 v20, v17, v20, 0xbd064d47
	v_fmaak_f32 v15, v17, v20, 0x3ef7b95e
	v_fma_f32 v17, v17, -v18, 0xa2863e55
	s_delay_alu instid0(VALU_DEP_1) | instskip(NEXT) | instid1(VALU_DEP_1)
	v_fma_f32 v15, v16, v15, -v17
	v_add_f32_e32 v15, 0xbdf8cdce, v15
	s_delay_alu instid0(VALU_DEP_1)
	v_add_f32_e32 v13, v13, v15
.LBB13_238:                             ;   in Loop: Header=BB13_177 Depth=1
	s_or_b32 exec_lo, exec_lo, s0
                                        ; implicit-def: $vgpr16
                                        ; implicit-def: $vgpr15
.LBB13_239:                             ;   in Loop: Header=BB13_177 Depth=1
	s_and_not1_saveexec_b32 s1, s1
	s_cbranch_execz .LBB13_243
; %bb.240:                              ;   in Loop: Header=BB13_177 Depth=1
	s_mov_b32 s4, exec_lo
	v_cmpx_eq_u32_e32 0, v16
	s_cbranch_execz .LBB13_242
; %bb.241:                              ;   in Loop: Header=BB13_177 Depth=1
	v_mul_f32_e32 v16, v15, v15
	s_delay_alu instid0(VALU_DEP_1) | instskip(NEXT) | instid1(VALU_DEP_1)
	v_fmaak_f32 v18, s17, v16, 0x39679767
	v_fmaak_f32 v18, v16, v18, 0x3a9c54a1
	s_delay_alu instid0(VALU_DEP_1) | instskip(NEXT) | instid1(VALU_DEP_1)
	v_fmaak_f32 v18, v16, v18, 0x3bf2027e
	v_fmaak_f32 v18, v16, v18, 0x3d89f001
	s_delay_alu instid0(VALU_DEP_1) | instskip(SKIP_1) | instid1(VALU_DEP_1)
	v_fmaak_f32 v18, v16, v18, 0x3d9e233f
	v_fmaak_f32 v17, s18, v16, 0x38e28445
	;; [unrolled: 1-line block ×3, first 2 shown]
	s_delay_alu instid0(VALU_DEP_1) | instskip(NEXT) | instid1(VALU_DEP_1)
	v_fmaak_f32 v17, v16, v17, 0x3b3d6ec6
	v_fmaak_f32 v17, v16, v17, 0x3ca89915
	s_delay_alu instid0(VALU_DEP_1) | instskip(NEXT) | instid1(VALU_DEP_1)
	v_fmaak_f32 v17, v16, v17, 0x3ea51a66
	v_mul_f32_e32 v16, v16, v17
	s_delay_alu instid0(VALU_DEP_1) | instskip(NEXT) | instid1(VALU_DEP_1)
	v_fmac_f32_e32 v16, v15, v18
	v_fmac_f32_e32 v16, -0.5, v15
	s_delay_alu instid0(VALU_DEP_1)
	v_add_f32_e32 v13, v13, v16
.LBB13_242:                             ;   in Loop: Header=BB13_177 Depth=1
	s_or_b32 exec_lo, exec_lo, s4
.LBB13_243:                             ;   in Loop: Header=BB13_177 Depth=1
	s_delay_alu instid0(SALU_CYCLE_1)
	s_or_b32 exec_lo, exec_lo, s1
.LBB13_244:                             ;   in Loop: Header=BB13_177 Depth=1
	s_delay_alu instid0(SALU_CYCLE_1)
	s_or_b32 exec_lo, exec_lo, s3
.LBB13_245:                             ;   in Loop: Header=BB13_177 Depth=1
	s_and_not1_saveexec_b32 s1, s2
	s_cbranch_execz .LBB13_247
; %bb.246:                              ;   in Loop: Header=BB13_177 Depth=1
	v_cmp_gt_f32_e64 s2, 0x800000, |v3|
	v_fma_f32 v17, |v3|, s19, 0xbecd26ab
	s_delay_alu instid0(VALU_DEP_2) | instskip(NEXT) | instid1(VALU_DEP_1)
	v_cndmask_b32_e64 v13, 0, 32, s2
	v_ldexp_f32 v13, |v3|, v13
	s_delay_alu instid0(VALU_DEP_1) | instskip(SKIP_1) | instid1(TRANS32_DEP_1)
	v_log_f32_e32 v13, v13
	v_nop
	v_mul_f32_e32 v15, 0x3f317217, v13
	v_cmp_gt_f32_e64 s0, 0x7f800000, |v13|
	s_delay_alu instid0(VALU_DEP_2) | instskip(NEXT) | instid1(VALU_DEP_1)
	v_fma_f32 v16, 0x3f317217, v13, -v15
	v_fmac_f32_e32 v16, 0x3377d1cf, v13
	s_delay_alu instid0(VALU_DEP_1) | instskip(SKIP_1) | instid1(VALU_DEP_2)
	v_add_f32_e32 v15, v15, v16
	v_fma_f32 v16, |v3|, v17, 0x3f528d33
	v_cndmask_b32_e64 v13, v13, v15, s0
	v_cndmask_b32_e64 v15, 0, 0x41b17218, s2
	s_delay_alu instid0(VALU_DEP_3) | instskip(NEXT) | instid1(VALU_DEP_2)
	v_fma_f32 v16, |v3|, v16, 0xbf13c468
	v_sub_f32_e32 v13, v13, v15
	s_delay_alu instid0(VALU_DEP_1)
	v_fma_f32 v13, |v3|, v16, -v13
.LBB13_247:                             ;   in Loop: Header=BB13_177 Depth=1
	s_or_b32 exec_lo, exec_lo, s1
	v_cmp_le_f32_e64 s0, 0, v3
	s_mov_b32 s2, exec_lo
	v_cmpx_nle_f32_e32 0, v3
	s_xor_b32 s3, exec_lo, s2
	s_cbranch_execz .LBB13_251
; %bb.248:                              ;   in Loop: Header=BB13_177 Depth=1
	v_cmp_gt_f32_e64 s1, 0x4b000000, |v3|
	v_cmp_lt_f32_e64 s2, 0x35000000, |v3|
	s_and_b32 s1, s1, s2
	s_delay_alu instid0(SALU_CYCLE_1)
	s_and_saveexec_b32 s4, s1
	s_cbranch_execz .LBB13_250
; %bb.249:                              ;   in Loop: Header=BB13_177 Depth=1
	v_mul_f32_e64 v15, |v3|, 0.5
	v_xor_b32_e32 v14, v14, v3
	s_delay_alu instid0(VALU_DEP_2) | instskip(SKIP_1) | instid1(VALU_DEP_2)
	v_floor_f32_e32 v16, v15
	v_cmp_neq_f32_e64 s1, 0x7f800000, v15
	v_sub_f32_e32 v16, v15, v16
	s_delay_alu instid0(VALU_DEP_1) | instskip(NEXT) | instid1(VALU_DEP_1)
	v_min_num_f32_e32 v16, 0x3f7fffff, v16
	v_add_f32_e32 v16, v16, v16
	s_delay_alu instid0(VALU_DEP_1) | instskip(SKIP_1) | instid1(VALU_DEP_1)
	v_cndmask_b32_e64 v15, 0, v16, s1
	v_cmp_gt_f32_e64 s1, |v3|, 1.0
	v_cndmask_b32_e64 v15, |v3|, v15, s1
	s_delay_alu instid0(VALU_DEP_1) | instskip(NEXT) | instid1(VALU_DEP_1)
	v_add_f32_e32 v16, v15, v15
	v_rndne_f32_e32 v16, v16
	s_delay_alu instid0(VALU_DEP_1) | instskip(SKIP_1) | instid1(VALU_DEP_2)
	v_fmac_f32_e32 v15, -0.5, v16
	v_cvt_i32_f32_e32 v16, v16
	v_mul_f32_e32 v17, v15, v15
	s_delay_alu instid0(VALU_DEP_1) | instskip(SKIP_1) | instid1(VALU_DEP_2)
	v_fmaak_f32 v18, s20, v17, 0xbf1f24be
	v_dual_fmaak_f32 v19, s21, v17, 0x3e642e9d :: v_dual_mul_f32 v20, v15, v17
	v_fmaak_f32 v18, v17, v18, 0x40234736
	s_delay_alu instid0(VALU_DEP_2) | instskip(NEXT) | instid1(VALU_DEP_2)
	v_fmaak_f32 v19, v17, v19, 0xbfaad1da
	v_fmaak_f32 v18, v17, v18, 0xc0a55e0e
	s_delay_alu instid0(VALU_DEP_1) | instskip(NEXT) | instid1(VALU_DEP_1)
	v_mul_f32_e32 v18, v20, v18
	v_fmac_f32_e32 v18, 0x40490fdb, v15
	v_dual_lshlrev_b32 v16, 30, v16 :: v_dual_bitop2_b32 v20, 1, v16 bitop3:0x40
	v_fmaak_f32 v19, v17, v19, 0x4081e0d3
	s_delay_alu instid0(VALU_DEP_2) | instskip(NEXT) | instid1(VALU_DEP_3)
	v_cmp_eq_u32_e64 s1, 0, v20
	v_and_b32_e32 v16, 0x80000000, v16
	s_delay_alu instid0(VALU_DEP_3) | instskip(NEXT) | instid1(VALU_DEP_1)
	v_fmaak_f32 v19, v17, v19, 0xc09de9e6
	v_fma_f32 v15, v17, v19, 1.0
	s_delay_alu instid0(VALU_DEP_1) | instskip(NEXT) | instid1(VALU_DEP_1)
	v_cndmask_b32_e64 v15, v15, v18, s1
	v_xor3_b32 v14, v14, v16, v15
	s_delay_alu instid0(VALU_DEP_1) | instskip(NEXT) | instid1(VALU_DEP_1)
	v_mul_f32_e32 v14, v3, v14
	v_frexp_mant_f32_e64 v15, |v14|
	v_frexp_exp_i32_f32_e32 v14, v14
	s_delay_alu instid0(VALU_DEP_2) | instskip(SKIP_1) | instid1(TRANS32_DEP_1)
	v_rcp_f32_e32 v15, v15
	v_nop
	v_dual_mul_f32 v15, 0x3f490fdb, v15 :: v_dual_sub_nc_u32 v14, 2, v14
	s_delay_alu instid0(VALU_DEP_1) | instskip(NEXT) | instid1(VALU_DEP_1)
	v_ldexp_f32 v14, v15, v14
	v_cmp_gt_f32_e64 s1, 0x800000, v14
	s_delay_alu instid0(VALU_DEP_1) | instskip(NEXT) | instid1(VALU_DEP_1)
	v_cndmask_b32_e64 v15, 0, 32, s1
	v_ldexp_f32 v14, v14, v15
	s_delay_alu instid0(VALU_DEP_1) | instskip(SKIP_1) | instid1(TRANS32_DEP_1)
	v_log_f32_e32 v14, v14
	v_nop
	v_mul_f32_e32 v15, 0x3f317217, v14
	v_cmp_gt_f32_e64 s2, 0x7f800000, |v14|
	s_delay_alu instid0(VALU_DEP_2) | instskip(NEXT) | instid1(VALU_DEP_1)
	v_fma_f32 v16, 0x3f317217, v14, -v15
	v_fmac_f32_e32 v16, 0x3377d1cf, v14
	s_delay_alu instid0(VALU_DEP_1) | instskip(SKIP_1) | instid1(VALU_DEP_2)
	v_add_f32_e32 v15, v15, v16
	v_floor_f32_e32 v16, v3
	v_cndmask_b32_e64 v14, v14, v15, s2
	v_cndmask_b32_e64 v15, 0, 0x41b17218, s1
	s_delay_alu instid0(VALU_DEP_1) | instskip(NEXT) | instid1(VALU_DEP_1)
	v_dual_sub_f32 v16, v3, v16 :: v_dual_sub_f32 v14, v14, v15
	v_min_num_f32_e32 v15, 0x3f7fffff, v16
	s_delay_alu instid0(VALU_DEP_2) | instskip(NEXT) | instid1(VALU_DEP_2)
	v_sub_f32_e32 v13, v14, v13
	v_cmp_neq_f32_e64 s1, 0, v15
	s_delay_alu instid0(VALU_DEP_1)
	v_cndmask_b32_e64 v13, 0x7f800000, v13, s1
.LBB13_250:                             ;   in Loop: Header=BB13_177 Depth=1
	s_or_b32 exec_lo, exec_lo, s4
.LBB13_251:                             ;   in Loop: Header=BB13_177 Depth=1
	s_and_not1_saveexec_b32 s3, s3
; %bb.252:                              ;   in Loop: Header=BB13_177 Depth=1
	v_cmp_eq_f32_e64 s1, 1.0, v3
	v_cmp_eq_f32_e64 s2, 2.0, v3
	s_or_b32 s1, s1, s2
	s_delay_alu instid0(SALU_CYCLE_1)
	v_cndmask_b32_e64 v13, v13, 0, s1
; %bb.253:                              ;   in Loop: Header=BB13_177 Depth=1
	s_or_b32 exec_lo, exec_lo, s3
	v_and_b32_e32 v15, 0x7fffffff, v4
                                        ; implicit-def: $vgpr14
	s_mov_b32 s2, exec_lo
	v_cmpx_ngt_f32_e64 0x3c800000, |v4|
	s_xor_b32 s3, exec_lo, s2
	s_cbranch_execz .LBB13_283
; %bb.254:                              ;   in Loop: Header=BB13_177 Depth=1
                                        ; implicit-def: $vgpr14
	s_mov_b32 s2, exec_lo
	v_cmpx_nlt_f32_e64 |v4|, 2.0
	s_xor_b32 s4, exec_lo, s2
	s_cbranch_execz .LBB13_264
; %bb.255:                              ;   in Loop: Header=BB13_177 Depth=1
	s_mov_b32 s2, exec_lo
                                        ; implicit-def: $vgpr14
	v_cmpx_ngt_f32_e64 0x41000000, |v4|
	s_xor_b32 s2, exec_lo, s2
	s_cbranch_execz .LBB13_261
; %bb.256:                              ;   in Loop: Header=BB13_177 Depth=1
	s_mov_b32 s23, exec_lo
                                        ; implicit-def: $vgpr14
	v_cmpx_ngt_f32_e64 0x5c800000, |v4|
	s_xor_b32 s23, exec_lo, s23
	s_cbranch_execz .LBB13_258
; %bb.257:                              ;   in Loop: Header=BB13_177 Depth=1
	v_cmp_gt_f32_e64 s24, 0x800000, |v4|
	s_delay_alu instid0(VALU_DEP_1) | instskip(NEXT) | instid1(VALU_DEP_1)
	v_cndmask_b32_e64 v14, 0, 32, s24
	v_ldexp_f32 v14, |v4|, v14
	s_delay_alu instid0(VALU_DEP_1) | instskip(SKIP_1) | instid1(TRANS32_DEP_1)
	v_log_f32_e32 v14, v14
	v_nop
	v_mul_f32_e32 v16, 0x3f317217, v14
	v_cmp_gt_f32_e64 s1, 0x7f800000, |v14|
	s_delay_alu instid0(VALU_DEP_2) | instskip(NEXT) | instid1(VALU_DEP_1)
	v_fma_f32 v17, 0x3f317217, v14, -v16
	v_fmac_f32_e32 v17, 0x3377d1cf, v14
	s_delay_alu instid0(VALU_DEP_1) | instskip(NEXT) | instid1(VALU_DEP_1)
	v_add_f32_e32 v16, v16, v17
	v_cndmask_b32_e64 v14, v14, v16, s1
	v_cndmask_b32_e64 v16, 0, 0x41b17218, s24
	s_delay_alu instid0(VALU_DEP_1) | instskip(NEXT) | instid1(VALU_DEP_1)
	v_sub_f32_e32 v14, v14, v16
	v_fma_f32 v14, |v4|, v14, -|v4|
.LBB13_258:                             ;   in Loop: Header=BB13_177 Depth=1
	s_and_not1_saveexec_b32 s23, s23
	s_cbranch_execz .LBB13_260
; %bb.259:                              ;   in Loop: Header=BB13_177 Depth=1
	v_cmp_gt_f32_e64 s24, 0x800000, |v4|
	v_rcp_f32_e64 v16, |v4|
	s_delay_alu instid0(VALU_DEP_1) | instskip(NEXT) | instid1(VALU_DEP_1)
	v_cndmask_b32_e64 v14, 0, 32, s24
	v_ldexp_f32 v14, |v4|, v14
	s_delay_alu instid0(VALU_DEP_1) | instskip(SKIP_1) | instid1(TRANS32_DEP_1)
	v_log_f32_e32 v14, v14
	v_nop
	v_dual_mul_f32 v17, v16, v16 :: v_dual_mul_f32 v18, 0x3f317217, v14
	v_cmp_gt_f32_e64 s1, 0x7f800000, |v14|
	s_delay_alu instid0(VALU_DEP_2) | instskip(NEXT) | instid1(VALU_DEP_1)
	v_fma_f32 v20, 0x3f317217, v14, -v18
	v_fmac_f32_e32 v20, 0x3377d1cf, v14
	s_delay_alu instid0(VALU_DEP_1) | instskip(NEXT) | instid1(VALU_DEP_1)
	v_dual_fmaak_f32 v19, s5, v17, 0x3a5b3dd2 :: v_dual_add_f32 v18, v18, v20
	v_cndmask_b32_e64 v14, v14, v18, s1
	v_cndmask_b32_e64 v18, 0, 0x41b17218, s24
	s_delay_alu instid0(VALU_DEP_1) | instskip(NEXT) | instid1(VALU_DEP_1)
	v_dual_fmaak_f32 v19, v17, v19, 0xba1c065c :: v_dual_sub_f32 v18, v14, v18
	v_fmaak_f32 v19, v17, v19, 0x3a500cfd
	s_delay_alu instid0(VALU_DEP_1) | instskip(NEXT) | instid1(VALU_DEP_1)
	v_fmaak_f32 v19, v17, v19, 0xbb360b61
	v_fmaak_f32 v17, v17, v19, 0x3daaaaab
	s_delay_alu instid0(VALU_DEP_1) | instskip(SKIP_2) | instid1(VALU_DEP_1)
	v_fmaak_f32 v14, v16, v17, 0x3ed67f1d
	v_add_f32_e64 v16, |v4|, -0.5
	v_add_f32_e32 v17, -1.0, v18
	v_fmac_f32_e32 v14, v16, v17
.LBB13_260:                             ;   in Loop: Header=BB13_177 Depth=1
	s_or_b32 exec_lo, exec_lo, s23
.LBB13_261:                             ;   in Loop: Header=BB13_177 Depth=1
	s_and_not1_saveexec_b32 s23, s2
	s_cbranch_execz .LBB13_263
; %bb.262:                              ;   in Loop: Header=BB13_177 Depth=1
	v_cvt_i32_f32_e32 v18, v15
	s_delay_alu instid0(VALU_DEP_1) | instskip(SKIP_1) | instid1(VALU_DEP_2)
	v_cvt_f32_i32_e32 v14, v18
	v_cmp_lt_i32_e64 s1, 3, v18
	v_sub_f32_e64 v14, |v4|, v14
	s_delay_alu instid0(VALU_DEP_1) | instskip(SKIP_1) | instid1(VALU_DEP_2)
	v_pk_add_f32 v[16:17], v[14:15], v[8:9] op_sel_hi:[0,1]
	v_dual_add_f32 v19, 4.0, v14 :: v_dual_add_f32 v20, 0x40a00000, v14
	v_cndmask_b32_e64 v17, 1.0, v17, s1
	v_cmp_lt_i32_e64 s1, 2, v18
	s_delay_alu instid0(VALU_DEP_1) | instskip(SKIP_1) | instid1(VALU_DEP_1)
	v_cndmask_b32_e64 v16, 1.0, v16, s1
	v_cmp_lt_i32_e64 s1, 4, v18
	v_dual_cndmask_b32 v19, 1.0, v19, s1 :: v_dual_mul_f32 v16, v16, v17
	v_add_f32_e32 v17, 0x40c00000, v14
	v_cmp_lt_i32_e64 s1, 5, v18
	s_delay_alu instid0(VALU_DEP_3) | instskip(NEXT) | instid1(VALU_DEP_2)
	v_dual_mul_f32 v16, v19, v16 :: v_dual_fmaak_f32 v19, s10, v14, 0x3af135b4
	v_cndmask_b32_e64 v20, 1.0, v20, s1
	v_cmp_lt_i32_e64 s1, 6, v18
	s_delay_alu instid0(VALU_DEP_1) | instskip(NEXT) | instid1(VALU_DEP_1)
	v_dual_cndmask_b32 v17, 1.0, v17, s1 :: v_dual_mul_f32 v16, v20, v16
	v_dual_mul_f32 v16, v17, v16 :: v_dual_fmaak_f32 v17, s11, v14, 0x3a4beed6
	s_delay_alu instid0(VALU_DEP_1) | instskip(NEXT) | instid1(VALU_DEP_2)
	v_fmaak_f32 v17, v14, v17, 0x3c98bf54
	v_cmp_gt_f32_e64 s1, 0x800000, v16
	s_delay_alu instid0(VALU_DEP_1) | instskip(NEXT) | instid1(VALU_DEP_1)
	v_cndmask_b32_e64 v18, 0, 32, s1
	v_ldexp_f32 v16, v16, v18
	v_fmaak_f32 v18, v14, v19, 0x3cda40e4
	s_delay_alu instid0(VALU_DEP_2) | instskip(SKIP_1) | instid1(TRANS32_DEP_1)
	v_log_f32_e32 v16, v16
	v_nop
	v_mul_f32_e32 v19, 0x3f317217, v16
	v_cmp_gt_f32_e64 s2, 0x7f800000, |v16|
	s_delay_alu instid0(VALU_DEP_2) | instskip(NEXT) | instid1(VALU_DEP_1)
	v_fma_f32 v20, 0x3f317217, v16, -v19
	v_fmac_f32_e32 v20, 0x3377d1cf, v16
	s_delay_alu instid0(VALU_DEP_1) | instskip(NEXT) | instid1(VALU_DEP_1)
	v_dual_add_f32 v19, v19, v20 :: v_dual_fmaak_f32 v18, v14, v18, 0x3e15dce6
	v_cndmask_b32_e64 v16, v16, v19, s2
	s_delay_alu instid0(VALU_DEP_2) | instskip(NEXT) | instid1(VALU_DEP_1)
	v_fmaak_f32 v18, v14, v18, 0x3ea6cc7a
	v_fmaak_f32 v18, v14, v18, 0x3e5c245a
	s_delay_alu instid0(VALU_DEP_1) | instskip(NEXT) | instid1(VALU_DEP_1)
	v_fmaak_f32 v18, v14, v18, 0xbd9e233f
	v_dual_fmaak_f32 v17, v14, v17, 0x3e300f6e :: v_dual_mul_f32 v18, v14, v18
	s_delay_alu instid0(VALU_DEP_1) | instskip(NEXT) | instid1(VALU_DEP_1)
	v_fmaak_f32 v17, v14, v17, 0x3f38d0c5
	v_fmaak_f32 v17, v14, v17, 0x3fb22d3b
	s_delay_alu instid0(VALU_DEP_1) | instskip(NEXT) | instid1(VALU_DEP_1)
	v_fma_f32 v17, v14, v17, 1.0
	v_rcp_f32_e32 v17, v17
	v_nop
	s_delay_alu instid0(TRANS32_DEP_1) | instskip(SKIP_1) | instid1(VALU_DEP_2)
	v_mul_f32_e32 v17, v18, v17
	v_cndmask_b32_e64 v18, 0, 0x41b17218, s1
	v_fmac_f32_e32 v17, 0.5, v14
	s_delay_alu instid0(VALU_DEP_2) | instskip(NEXT) | instid1(VALU_DEP_1)
	v_sub_f32_e32 v14, v16, v18
	v_add_f32_e32 v14, v14, v17
.LBB13_263:                             ;   in Loop: Header=BB13_177 Depth=1
	s_or_b32 exec_lo, exec_lo, s23
.LBB13_264:                             ;   in Loop: Header=BB13_177 Depth=1
	s_and_not1_saveexec_b32 s4, s4
	s_cbranch_execz .LBB13_282
; %bb.265:                              ;   in Loop: Header=BB13_177 Depth=1
                                        ; implicit-def: $vgpr14
                                        ; implicit-def: $vgpr17
                                        ; implicit-def: $vgpr16
	s_mov_b32 s2, exec_lo
	v_cmpx_ge_f32_e64 0x3f666666, |v4|
	s_xor_b32 s23, exec_lo, s2
	s_cbranch_execz .LBB13_267
; %bb.266:                              ;   in Loop: Header=BB13_177 Depth=1
	v_cmp_gt_f32_e64 s2, 0x800000, |v4|
	v_sub_f32_e64 v18, 1.0, |v4|
	v_cmp_gt_f32_e64 s1, 0x3f3b4a23, |v4|
	s_delay_alu instid0(VALU_DEP_3) | instskip(SKIP_1) | instid1(VALU_DEP_2)
	v_cndmask_b32_e64 v14, 0, 32, s2
	v_cndmask_b32_e64 v19, 0, 0x41b17218, s2
	v_ldexp_f32 v14, |v4|, v14
	s_delay_alu instid0(VALU_DEP_1) | instskip(SKIP_1) | instid1(TRANS32_DEP_1)
	v_log_f32_e32 v14, v14
	v_nop
	v_mul_f32_e32 v16, 0x3f317217, v14
	v_cmp_gt_f32_e64 s2, 0x7f800000, |v14|
	s_delay_alu instid0(VALU_DEP_2) | instskip(NEXT) | instid1(VALU_DEP_1)
	v_fma_f32 v17, 0x3f317217, v14, -v16
	v_fmac_f32_e32 v17, 0x3377d1cf, v14
	s_delay_alu instid0(VALU_DEP_1) | instskip(SKIP_1) | instid1(VALU_DEP_2)
	v_add_f32_e32 v16, v16, v17
	v_add_f32_e64 v17, 0xbeec5b0c, |v4|
	v_cndmask_b32_e64 v14, v14, v16, s2
	s_delay_alu instid0(VALU_DEP_2) | instskip(SKIP_2) | instid1(VALU_DEP_4)
	v_cndmask_b32_e64 v16, v18, v17, s1
	v_cndmask_b32_e64 v17, 0, 1, s1
	v_cmp_gt_f32_e64 s1, 0x3e6d3309, |v4|
	v_sub_f32_e32 v14, v14, v19
	s_delay_alu instid0(VALU_DEP_2) | instskip(NEXT) | instid1(VALU_DEP_4)
	v_cndmask_b32_e64 v16, v16, |v4|, s1
	v_cndmask_b32_e64 v17, v17, 2, s1
	s_delay_alu instid0(VALU_DEP_3)
	v_xor_b32_e32 v14, 0x80000000, v14
.LBB13_267:                             ;   in Loop: Header=BB13_177 Depth=1
	s_and_not1_saveexec_b32 s2, s23
	s_cbranch_execz .LBB13_269
; %bb.268:                              ;   in Loop: Header=BB13_177 Depth=1
	v_sub_f32_e64 v14, 2.0, |v4|
	v_add_f32_e64 v16, 0xbfbb16c3, |v4|
	v_cmp_gt_f32_e64 s1, 0x3fdda512, |v4|
	v_add_f32_e64 v17, |v4|, -1.0
	s_delay_alu instid0(VALU_DEP_2) | instskip(SKIP_2) | instid1(VALU_DEP_2)
	v_cndmask_b32_e64 v16, v14, v16, s1
	v_cndmask_b32_e64 v14, v14, 1.0, s1
	v_cmp_gt_f32_e64 s1, 0x3f9d70a4, |v4|
	v_cvt_i32_f32_e32 v14, v14
	s_delay_alu instid0(VALU_DEP_2) | instskip(NEXT) | instid1(VALU_DEP_2)
	v_cndmask_b32_e64 v16, v16, v17, s1
	v_cndmask_b32_e64 v17, v14, 2, s1
	v_mov_b32_e32 v14, 0
.LBB13_269:                             ;   in Loop: Header=BB13_177 Depth=1
	s_or_b32 exec_lo, exec_lo, s2
	s_delay_alu instid0(SALU_CYCLE_1) | instskip(NEXT) | instid1(VALU_DEP_2)
	s_mov_b32 s2, exec_lo
	v_cmpx_lt_i32_e32 0, v17
	s_xor_b32 s2, exec_lo, s2
	s_cbranch_execz .LBB13_277
; %bb.270:                              ;   in Loop: Header=BB13_177 Depth=1
	s_mov_b32 s23, exec_lo
	v_cmpx_lt_i32_e32 1, v17
	s_xor_b32 s23, exec_lo, s23
	s_cbranch_execz .LBB13_274
; %bb.271:                              ;   in Loop: Header=BB13_177 Depth=1
	s_mov_b32 s24, exec_lo
	v_cmpx_eq_u32_e32 2, v17
	s_cbranch_execz .LBB13_273
; %bb.272:                              ;   in Loop: Header=BB13_177 Depth=1
	v_fmaak_f32 v18, s12, v16, 0x3e6a7578
	s_delay_alu instid0(VALU_DEP_1) | instskip(NEXT) | instid1(VALU_DEP_1)
	v_fmaak_f32 v18, v16, v18, 0x3f7a4bb2
	v_fmaak_f32 v18, v16, v18, 0x3fba3ae7
	s_delay_alu instid0(VALU_DEP_1) | instskip(NEXT) | instid1(VALU_DEP_1)
	v_fmaak_f32 v18, v16, v18, 0x3f2200f4
	v_fmaak_f32 v18, v16, v18, 0xbd9e233f
	s_delay_alu instid0(VALU_DEP_1) | instskip(NEXT) | instid1(VALU_DEP_1)
	v_dual_fmaak_f32 v17, s13, v16, 0x3dd572af :: v_dual_mul_f32 v18, v16, v18
	v_fmaak_f32 v17, v16, v17, 0x3f44efdf
	s_delay_alu instid0(VALU_DEP_1) | instskip(NEXT) | instid1(VALU_DEP_1)
	v_fmaak_f32 v17, v16, v17, 0x4008392d
	v_fmaak_f32 v17, v16, v17, 0x401d2ebe
	s_delay_alu instid0(VALU_DEP_1) | instskip(NEXT) | instid1(VALU_DEP_1)
	v_fma_f32 v17, v16, v17, 1.0
	v_rcp_f32_e32 v17, v17
	v_nop
	s_delay_alu instid0(TRANS32_DEP_1) | instskip(NEXT) | instid1(VALU_DEP_1)
	v_mul_f32_e32 v17, v18, v17
	v_fmac_f32_e32 v17, -0.5, v16
	s_delay_alu instid0(VALU_DEP_1)
	v_add_f32_e32 v14, v14, v17
.LBB13_273:                             ;   in Loop: Header=BB13_177 Depth=1
	s_or_b32 exec_lo, exec_lo, s24
                                        ; implicit-def: $vgpr16
.LBB13_274:                             ;   in Loop: Header=BB13_177 Depth=1
	s_and_not1_saveexec_b32 s1, s23
	s_cbranch_execz .LBB13_276
; %bb.275:                              ;   in Loop: Header=BB13_177 Depth=1
	v_mul_f32_e32 v17, v16, v16
	s_delay_alu instid0(VALU_DEP_1) | instskip(NEXT) | instid1(VALU_DEP_1)
	v_mul_f32_e32 v18, v16, v17
	v_fmaak_f32 v19, s15, v18, 0x3a66f867
	v_fmaak_f32 v20, s16, v18, 0xba0d3085
	s_delay_alu instid0(VALU_DEP_2) | instskip(NEXT) | instid1(VALU_DEP_2)
	v_fmaak_f32 v19, v18, v19, 0xbb7177fe
	v_fmaak_f32 v20, v18, v20, 0x3b141699
	s_delay_alu instid0(VALU_DEP_2) | instskip(NEXT) | instid1(VALU_DEP_2)
	;; [unrolled: 3-line block ×3, first 2 shown]
	v_fmaak_f32 v19, v18, v19, 0xbe17213c
	v_fmaak_f32 v20, v18, v20, 0x3d845a15
	s_delay_alu instid0(VALU_DEP_1) | instskip(SKIP_1) | instid1(VALU_DEP_1)
	v_fmac_f32_e32 v19, v16, v20
	v_fmaak_f32 v21, s14, v18, 0xbab7f476
	v_fmaak_f32 v21, v18, v21, 0x3bc7e707
	s_delay_alu instid0(VALU_DEP_1) | instskip(NEXT) | instid1(VALU_DEP_1)
	v_fmaak_f32 v21, v18, v21, 0xbd064d47
	v_fmaak_f32 v16, v18, v21, 0x3ef7b95e
	v_fma_f32 v18, v18, -v19, 0xa2863e55
	s_delay_alu instid0(VALU_DEP_1) | instskip(NEXT) | instid1(VALU_DEP_1)
	v_fma_f32 v16, v17, v16, -v18
	v_add_f32_e32 v16, 0xbdf8cdce, v16
	s_delay_alu instid0(VALU_DEP_1)
	v_add_f32_e32 v14, v14, v16
.LBB13_276:                             ;   in Loop: Header=BB13_177 Depth=1
	s_or_b32 exec_lo, exec_lo, s1
                                        ; implicit-def: $vgpr17
                                        ; implicit-def: $vgpr16
.LBB13_277:                             ;   in Loop: Header=BB13_177 Depth=1
	s_and_not1_saveexec_b32 s2, s2
	s_cbranch_execz .LBB13_281
; %bb.278:                              ;   in Loop: Header=BB13_177 Depth=1
	s_mov_b32 s23, exec_lo
	v_cmpx_eq_u32_e32 0, v17
	s_cbranch_execz .LBB13_280
; %bb.279:                              ;   in Loop: Header=BB13_177 Depth=1
	v_mul_f32_e32 v17, v16, v16
	s_delay_alu instid0(VALU_DEP_1) | instskip(NEXT) | instid1(VALU_DEP_1)
	v_fmaak_f32 v19, s17, v17, 0x39679767
	v_fmaak_f32 v19, v17, v19, 0x3a9c54a1
	s_delay_alu instid0(VALU_DEP_1) | instskip(NEXT) | instid1(VALU_DEP_1)
	v_fmaak_f32 v19, v17, v19, 0x3bf2027e
	v_fmaak_f32 v19, v17, v19, 0x3d89f001
	s_delay_alu instid0(VALU_DEP_1) | instskip(SKIP_1) | instid1(VALU_DEP_1)
	v_fmaak_f32 v19, v17, v19, 0x3d9e233f
	v_fmaak_f32 v18, s18, v17, 0x38e28445
	;; [unrolled: 1-line block ×3, first 2 shown]
	s_delay_alu instid0(VALU_DEP_1) | instskip(NEXT) | instid1(VALU_DEP_1)
	v_fmaak_f32 v18, v17, v18, 0x3b3d6ec6
	v_fmaak_f32 v18, v17, v18, 0x3ca89915
	s_delay_alu instid0(VALU_DEP_1) | instskip(NEXT) | instid1(VALU_DEP_1)
	v_fmaak_f32 v18, v17, v18, 0x3ea51a66
	v_mul_f32_e32 v17, v17, v18
	s_delay_alu instid0(VALU_DEP_1) | instskip(NEXT) | instid1(VALU_DEP_1)
	v_fmac_f32_e32 v17, v16, v19
	v_fmac_f32_e32 v17, -0.5, v16
	s_delay_alu instid0(VALU_DEP_1)
	v_add_f32_e32 v14, v14, v17
.LBB13_280:                             ;   in Loop: Header=BB13_177 Depth=1
	s_or_b32 exec_lo, exec_lo, s23
.LBB13_281:                             ;   in Loop: Header=BB13_177 Depth=1
	s_delay_alu instid0(SALU_CYCLE_1)
	s_or_b32 exec_lo, exec_lo, s2
.LBB13_282:                             ;   in Loop: Header=BB13_177 Depth=1
	s_delay_alu instid0(SALU_CYCLE_1)
	s_or_b32 exec_lo, exec_lo, s4
.LBB13_283:                             ;   in Loop: Header=BB13_177 Depth=1
	s_and_not1_saveexec_b32 s2, s3
	s_cbranch_execz .LBB13_285
; %bb.284:                              ;   in Loop: Header=BB13_177 Depth=1
	v_cmp_gt_f32_e64 s3, 0x800000, |v4|
	v_fma_f32 v18, |v4|, s19, 0xbecd26ab
	s_delay_alu instid0(VALU_DEP_2) | instskip(NEXT) | instid1(VALU_DEP_1)
	v_cndmask_b32_e64 v14, 0, 32, s3
	v_ldexp_f32 v14, |v4|, v14
	s_delay_alu instid0(VALU_DEP_1) | instskip(SKIP_1) | instid1(TRANS32_DEP_1)
	v_log_f32_e32 v14, v14
	v_nop
	v_mul_f32_e32 v16, 0x3f317217, v14
	v_cmp_gt_f32_e64 s1, 0x7f800000, |v14|
	s_delay_alu instid0(VALU_DEP_2) | instskip(NEXT) | instid1(VALU_DEP_1)
	v_fma_f32 v17, 0x3f317217, v14, -v16
	v_fmac_f32_e32 v17, 0x3377d1cf, v14
	s_delay_alu instid0(VALU_DEP_1) | instskip(SKIP_1) | instid1(VALU_DEP_2)
	v_add_f32_e32 v16, v16, v17
	v_fma_f32 v17, |v4|, v18, 0x3f528d33
	v_cndmask_b32_e64 v14, v14, v16, s1
	v_cndmask_b32_e64 v16, 0, 0x41b17218, s3
	s_delay_alu instid0(VALU_DEP_3) | instskip(NEXT) | instid1(VALU_DEP_2)
	v_fma_f32 v17, |v4|, v17, 0xbf13c468
	v_sub_f32_e32 v14, v14, v16
	s_delay_alu instid0(VALU_DEP_1)
	v_fma_f32 v14, |v4|, v17, -v14
.LBB13_285:                             ;   in Loop: Header=BB13_177 Depth=1
	s_or_b32 exec_lo, exec_lo, s2
	v_cmp_le_f32_e64 s1, 0, v4
	s_mov_b32 s3, exec_lo
	v_cmpx_nle_f32_e32 0, v4
	s_xor_b32 s4, exec_lo, s3
	s_cbranch_execz .LBB13_289
; %bb.286:                              ;   in Loop: Header=BB13_177 Depth=1
	v_cmp_gt_f32_e64 s2, 0x4b000000, |v4|
	v_cmp_lt_f32_e64 s3, 0x35000000, |v4|
	s_and_b32 s2, s2, s3
	s_delay_alu instid0(SALU_CYCLE_1)
	s_and_saveexec_b32 s23, s2
	s_cbranch_execz .LBB13_288
; %bb.287:                              ;   in Loop: Header=BB13_177 Depth=1
	v_mul_f32_e64 v16, |v4|, 0.5
	v_xor_b32_e32 v15, v15, v4
	s_delay_alu instid0(VALU_DEP_2) | instskip(SKIP_1) | instid1(VALU_DEP_2)
	v_floor_f32_e32 v17, v16
	v_cmp_neq_f32_e64 s2, 0x7f800000, v16
	v_sub_f32_e32 v17, v16, v17
	s_delay_alu instid0(VALU_DEP_1) | instskip(NEXT) | instid1(VALU_DEP_1)
	v_min_num_f32_e32 v17, 0x3f7fffff, v17
	v_add_f32_e32 v17, v17, v17
	s_delay_alu instid0(VALU_DEP_1) | instskip(SKIP_1) | instid1(VALU_DEP_1)
	v_cndmask_b32_e64 v16, 0, v17, s2
	v_cmp_gt_f32_e64 s2, |v4|, 1.0
	v_cndmask_b32_e64 v16, |v4|, v16, s2
	s_delay_alu instid0(VALU_DEP_1) | instskip(NEXT) | instid1(VALU_DEP_1)
	v_add_f32_e32 v17, v16, v16
	v_rndne_f32_e32 v17, v17
	s_delay_alu instid0(VALU_DEP_1) | instskip(SKIP_1) | instid1(VALU_DEP_2)
	v_fmac_f32_e32 v16, -0.5, v17
	v_cvt_i32_f32_e32 v17, v17
	v_mul_f32_e32 v18, v16, v16
	s_delay_alu instid0(VALU_DEP_1) | instskip(SKIP_1) | instid1(VALU_DEP_2)
	v_fmaak_f32 v19, s20, v18, 0xbf1f24be
	v_dual_fmaak_f32 v20, s21, v18, 0x3e642e9d :: v_dual_mul_f32 v21, v16, v18
	v_fmaak_f32 v19, v18, v19, 0x40234736
	s_delay_alu instid0(VALU_DEP_2) | instskip(NEXT) | instid1(VALU_DEP_2)
	v_fmaak_f32 v20, v18, v20, 0xbfaad1da
	v_fmaak_f32 v19, v18, v19, 0xc0a55e0e
	s_delay_alu instid0(VALU_DEP_1) | instskip(NEXT) | instid1(VALU_DEP_1)
	v_mul_f32_e32 v19, v21, v19
	v_fmac_f32_e32 v19, 0x40490fdb, v16
	v_dual_lshlrev_b32 v17, 30, v17 :: v_dual_bitop2_b32 v21, 1, v17 bitop3:0x40
	v_fmaak_f32 v20, v18, v20, 0x4081e0d3
	s_delay_alu instid0(VALU_DEP_2) | instskip(NEXT) | instid1(VALU_DEP_3)
	v_cmp_eq_u32_e64 s2, 0, v21
	v_and_b32_e32 v17, 0x80000000, v17
	s_delay_alu instid0(VALU_DEP_3) | instskip(NEXT) | instid1(VALU_DEP_1)
	v_fmaak_f32 v20, v18, v20, 0xc09de9e6
	v_fma_f32 v16, v18, v20, 1.0
	s_delay_alu instid0(VALU_DEP_1) | instskip(NEXT) | instid1(VALU_DEP_1)
	v_cndmask_b32_e64 v16, v16, v19, s2
	v_xor3_b32 v15, v15, v17, v16
	s_delay_alu instid0(VALU_DEP_1) | instskip(NEXT) | instid1(VALU_DEP_1)
	v_mul_f32_e32 v15, v4, v15
	v_frexp_mant_f32_e64 v16, |v15|
	v_frexp_exp_i32_f32_e32 v15, v15
	s_delay_alu instid0(VALU_DEP_2) | instskip(SKIP_1) | instid1(TRANS32_DEP_1)
	v_rcp_f32_e32 v16, v16
	v_nop
	v_dual_mul_f32 v16, 0x3f490fdb, v16 :: v_dual_sub_nc_u32 v15, 2, v15
	s_delay_alu instid0(VALU_DEP_1) | instskip(NEXT) | instid1(VALU_DEP_1)
	v_ldexp_f32 v15, v16, v15
	v_cmp_gt_f32_e64 s2, 0x800000, v15
	s_delay_alu instid0(VALU_DEP_1) | instskip(NEXT) | instid1(VALU_DEP_1)
	v_cndmask_b32_e64 v16, 0, 32, s2
	v_ldexp_f32 v15, v15, v16
	s_delay_alu instid0(VALU_DEP_1) | instskip(SKIP_1) | instid1(TRANS32_DEP_1)
	v_log_f32_e32 v15, v15
	v_nop
	v_mul_f32_e32 v16, 0x3f317217, v15
	v_cmp_gt_f32_e64 s3, 0x7f800000, |v15|
	s_delay_alu instid0(VALU_DEP_2) | instskip(NEXT) | instid1(VALU_DEP_1)
	v_fma_f32 v17, 0x3f317217, v15, -v16
	v_fmac_f32_e32 v17, 0x3377d1cf, v15
	s_delay_alu instid0(VALU_DEP_1) | instskip(SKIP_1) | instid1(VALU_DEP_2)
	v_add_f32_e32 v16, v16, v17
	v_floor_f32_e32 v17, v4
	v_cndmask_b32_e64 v15, v15, v16, s3
	v_cndmask_b32_e64 v16, 0, 0x41b17218, s2
	s_delay_alu instid0(VALU_DEP_1) | instskip(NEXT) | instid1(VALU_DEP_1)
	v_dual_sub_f32 v17, v4, v17 :: v_dual_sub_f32 v15, v15, v16
	v_min_num_f32_e32 v16, 0x3f7fffff, v17
	s_delay_alu instid0(VALU_DEP_2) | instskip(NEXT) | instid1(VALU_DEP_2)
	v_sub_f32_e32 v14, v15, v14
	v_cmp_neq_f32_e64 s2, 0, v16
	s_delay_alu instid0(VALU_DEP_1)
	v_cndmask_b32_e64 v14, 0x7f800000, v14, s2
.LBB13_288:                             ;   in Loop: Header=BB13_177 Depth=1
	s_or_b32 exec_lo, exec_lo, s23
.LBB13_289:                             ;   in Loop: Header=BB13_177 Depth=1
	s_and_not1_saveexec_b32 s4, s4
; %bb.290:                              ;   in Loop: Header=BB13_177 Depth=1
	v_cmp_eq_f32_e64 s2, 1.0, v4
	v_cmp_eq_f32_e64 s3, 2.0, v4
	s_or_b32 s2, s2, s3
	s_delay_alu instid0(SALU_CYCLE_1)
	v_cndmask_b32_e64 v14, v14, 0, s2
; %bb.291:                              ;   in Loop: Header=BB13_177 Depth=1
	s_or_b32 exec_lo, exec_lo, s4
	v_and_b32_e32 v15, 0x7fffffff, v5
                                        ; implicit-def: $vgpr16
	s_mov_b32 s3, exec_lo
	v_cmpx_ngt_f32_e64 0x3c800000, |v5|
	s_xor_b32 s4, exec_lo, s3
	s_cbranch_execz .LBB13_321
; %bb.292:                              ;   in Loop: Header=BB13_177 Depth=1
                                        ; implicit-def: $vgpr16
	s_mov_b32 s3, exec_lo
	v_cmpx_nlt_f32_e64 |v5|, 2.0
	s_xor_b32 s23, exec_lo, s3
	s_cbranch_execz .LBB13_302
; %bb.293:                              ;   in Loop: Header=BB13_177 Depth=1
	s_mov_b32 s3, exec_lo
                                        ; implicit-def: $vgpr16
	v_cmpx_ngt_f32_e64 0x41000000, |v5|
	s_xor_b32 s3, exec_lo, s3
	s_cbranch_execz .LBB13_299
; %bb.294:                              ;   in Loop: Header=BB13_177 Depth=1
	s_mov_b32 s24, exec_lo
                                        ; implicit-def: $vgpr16
	v_cmpx_ngt_f32_e64 0x5c800000, |v5|
	s_xor_b32 s24, exec_lo, s24
	s_cbranch_execz .LBB13_296
; %bb.295:                              ;   in Loop: Header=BB13_177 Depth=1
	v_cmp_gt_f32_e64 s25, 0x800000, |v5|
	s_delay_alu instid0(VALU_DEP_1) | instskip(NEXT) | instid1(VALU_DEP_1)
	v_cndmask_b32_e64 v16, 0, 32, s25
	v_ldexp_f32 v16, |v5|, v16
	s_delay_alu instid0(VALU_DEP_1) | instskip(SKIP_1) | instid1(TRANS32_DEP_1)
	v_log_f32_e32 v16, v16
	v_nop
	v_mul_f32_e32 v17, 0x3f317217, v16
	v_cmp_gt_f32_e64 s2, 0x7f800000, |v16|
	s_delay_alu instid0(VALU_DEP_2) | instskip(NEXT) | instid1(VALU_DEP_1)
	v_fma_f32 v18, 0x3f317217, v16, -v17
	v_fmac_f32_e32 v18, 0x3377d1cf, v16
	s_delay_alu instid0(VALU_DEP_1) | instskip(NEXT) | instid1(VALU_DEP_1)
	v_add_f32_e32 v17, v17, v18
	v_cndmask_b32_e64 v16, v16, v17, s2
	v_cndmask_b32_e64 v17, 0, 0x41b17218, s25
	s_delay_alu instid0(VALU_DEP_1) | instskip(NEXT) | instid1(VALU_DEP_1)
	v_sub_f32_e32 v16, v16, v17
	v_fma_f32 v16, |v5|, v16, -|v5|
.LBB13_296:                             ;   in Loop: Header=BB13_177 Depth=1
	s_and_not1_saveexec_b32 s24, s24
	s_cbranch_execz .LBB13_298
; %bb.297:                              ;   in Loop: Header=BB13_177 Depth=1
	v_cmp_gt_f32_e64 s25, 0x800000, |v5|
	v_rcp_f32_e64 v17, |v5|
	s_delay_alu instid0(VALU_DEP_1) | instskip(NEXT) | instid1(VALU_DEP_1)
	v_cndmask_b32_e64 v16, 0, 32, s25
	v_ldexp_f32 v16, |v5|, v16
	s_delay_alu instid0(VALU_DEP_1) | instskip(SKIP_1) | instid1(TRANS32_DEP_1)
	v_log_f32_e32 v16, v16
	v_nop
	v_dual_mul_f32 v18, v17, v17 :: v_dual_mul_f32 v19, 0x3f317217, v16
	v_cmp_gt_f32_e64 s2, 0x7f800000, |v16|
	s_delay_alu instid0(VALU_DEP_2) | instskip(NEXT) | instid1(VALU_DEP_1)
	v_fma_f32 v21, 0x3f317217, v16, -v19
	v_fmac_f32_e32 v21, 0x3377d1cf, v16
	s_delay_alu instid0(VALU_DEP_1) | instskip(NEXT) | instid1(VALU_DEP_1)
	v_dual_fmaak_f32 v20, s5, v18, 0x3a5b3dd2 :: v_dual_add_f32 v19, v19, v21
	v_cndmask_b32_e64 v16, v16, v19, s2
	v_cndmask_b32_e64 v19, 0, 0x41b17218, s25
	s_delay_alu instid0(VALU_DEP_1) | instskip(NEXT) | instid1(VALU_DEP_1)
	v_dual_fmaak_f32 v20, v18, v20, 0xba1c065c :: v_dual_sub_f32 v19, v16, v19
	v_fmaak_f32 v20, v18, v20, 0x3a500cfd
	s_delay_alu instid0(VALU_DEP_1) | instskip(NEXT) | instid1(VALU_DEP_1)
	v_fmaak_f32 v20, v18, v20, 0xbb360b61
	v_fmaak_f32 v18, v18, v20, 0x3daaaaab
	s_delay_alu instid0(VALU_DEP_1) | instskip(SKIP_2) | instid1(VALU_DEP_1)
	v_fmaak_f32 v16, v17, v18, 0x3ed67f1d
	v_add_f32_e64 v17, |v5|, -0.5
	v_add_f32_e32 v18, -1.0, v19
	v_fmac_f32_e32 v16, v17, v18
.LBB13_298:                             ;   in Loop: Header=BB13_177 Depth=1
	s_or_b32 exec_lo, exec_lo, s24
.LBB13_299:                             ;   in Loop: Header=BB13_177 Depth=1
	s_and_not1_saveexec_b32 s24, s3
	s_cbranch_execz .LBB13_301
; %bb.300:                              ;   in Loop: Header=BB13_177 Depth=1
	v_cvt_i32_f32_e32 v17, v15
	s_delay_alu instid0(VALU_DEP_1) | instskip(SKIP_1) | instid1(VALU_DEP_2)
	v_cvt_f32_i32_e32 v16, v17
	v_cmp_lt_i32_e64 s2, 3, v17
	v_sub_f32_e64 v16, |v5|, v16
	s_delay_alu instid0(VALU_DEP_1) | instskip(NEXT) | instid1(VALU_DEP_1)
	v_pk_add_f32 v[18:19], v[16:17], v[8:9] op_sel_hi:[0,1]
	v_dual_add_f32 v20, 4.0, v16 :: v_dual_cndmask_b32 v19, 1.0, v19, s2
	v_cmp_lt_i32_e64 s2, 2, v17
	s_delay_alu instid0(VALU_DEP_1) | instskip(SKIP_1) | instid1(VALU_DEP_1)
	v_cndmask_b32_e64 v18, 1.0, v18, s2
	v_cmp_lt_i32_e64 s2, 4, v17
	v_cndmask_b32_e64 v20, 1.0, v20, s2
	s_delay_alu instid0(VALU_DEP_3) | instskip(SKIP_1) | instid1(VALU_DEP_2)
	v_dual_add_f32 v21, 0x40a00000, v16 :: v_dual_mul_f32 v18, v18, v19
	v_cmp_lt_i32_e64 s2, 5, v17
	v_dual_add_f32 v19, 0x40c00000, v16 :: v_dual_mul_f32 v18, v20, v18
	s_delay_alu instid0(VALU_DEP_2) | instskip(SKIP_2) | instid1(VALU_DEP_2)
	v_cndmask_b32_e64 v21, 1.0, v21, s2
	v_cmp_lt_i32_e64 s2, 6, v17
	v_fmaak_f32 v20, s10, v16, 0x3af135b4
	v_dual_cndmask_b32 v17, 1.0, v19, s2 :: v_dual_mul_f32 v18, v21, v18
	s_delay_alu instid0(VALU_DEP_1) | instskip(NEXT) | instid1(VALU_DEP_1)
	v_dual_mul_f32 v17, v17, v18 :: v_dual_fmaak_f32 v18, s11, v16, 0x3a4beed6
	v_cmp_gt_f32_e64 s2, 0x800000, v17
	s_delay_alu instid0(VALU_DEP_2) | instskip(NEXT) | instid1(VALU_DEP_2)
	v_fmaak_f32 v18, v16, v18, 0x3c98bf54
	v_cndmask_b32_e64 v19, 0, 32, s2
	s_delay_alu instid0(VALU_DEP_2) | instskip(NEXT) | instid1(VALU_DEP_2)
	v_fmaak_f32 v18, v16, v18, 0x3e300f6e
	v_ldexp_f32 v17, v17, v19
	v_fmaak_f32 v19, v16, v20, 0x3cda40e4
	s_delay_alu instid0(VALU_DEP_3) | instskip(NEXT) | instid1(VALU_DEP_3)
	v_fmaak_f32 v18, v16, v18, 0x3f38d0c5
	v_log_f32_e32 v17, v17
	s_delay_alu instid0(VALU_DEP_2) | instskip(NEXT) | instid1(VALU_DEP_2)
	v_fmaak_f32 v19, v16, v19, 0x3e15dce6
	v_fmaak_f32 v18, v16, v18, 0x3fb22d3b
	s_delay_alu instid0(VALU_DEP_2) | instskip(NEXT) | instid1(TRANS32_DEP_1)
	v_fmaak_f32 v19, v16, v19, 0x3ea6cc7a
	v_mul_f32_e32 v20, 0x3f317217, v17
	s_delay_alu instid0(VALU_DEP_3) | instskip(SKIP_1) | instid1(VALU_DEP_4)
	v_fma_f32 v18, v16, v18, 1.0
	v_cmp_gt_f32_e64 s3, 0x7f800000, |v17|
	v_fmaak_f32 v19, v16, v19, 0x3e5c245a
	s_delay_alu instid0(VALU_DEP_4) | instskip(NEXT) | instid1(VALU_DEP_4)
	v_fma_f32 v21, 0x3f317217, v17, -v20
	v_rcp_f32_e32 v18, v18
	s_delay_alu instid0(VALU_DEP_2) | instskip(NEXT) | instid1(VALU_DEP_1)
	v_fmaak_f32 v19, v16, v19, 0xbd9e233f
	v_mul_f32_e32 v19, v16, v19
	s_delay_alu instid0(TRANS32_DEP_1) | instid1(VALU_DEP_1)
	v_dual_fmac_f32 v21, 0x3377d1cf, v17 :: v_dual_mul_f32 v18, v19, v18
	v_cndmask_b32_e64 v19, 0, 0x41b17218, s2
	s_delay_alu instid0(VALU_DEP_2) | instskip(NEXT) | instid1(VALU_DEP_1)
	v_dual_add_f32 v20, v20, v21 :: v_dual_fmac_f32 v18, 0.5, v16
	v_cndmask_b32_e64 v17, v17, v20, s3
	s_delay_alu instid0(VALU_DEP_1) | instskip(NEXT) | instid1(VALU_DEP_1)
	v_sub_f32_e32 v16, v17, v19
	v_add_f32_e32 v16, v16, v18
.LBB13_301:                             ;   in Loop: Header=BB13_177 Depth=1
	s_or_b32 exec_lo, exec_lo, s24
.LBB13_302:                             ;   in Loop: Header=BB13_177 Depth=1
	s_and_not1_saveexec_b32 s23, s23
	s_cbranch_execz .LBB13_320
; %bb.303:                              ;   in Loop: Header=BB13_177 Depth=1
                                        ; implicit-def: $vgpr16
                                        ; implicit-def: $vgpr18
                                        ; implicit-def: $vgpr17
	s_mov_b32 s3, exec_lo
	v_cmpx_ge_f32_e64 0x3f666666, |v5|
	s_xor_b32 s24, exec_lo, s3
	s_cbranch_execz .LBB13_305
; %bb.304:                              ;   in Loop: Header=BB13_177 Depth=1
	v_cmp_gt_f32_e64 s3, 0x800000, |v5|
	v_sub_f32_e64 v19, 1.0, |v5|
	v_cmp_gt_f32_e64 s2, 0x3f3b4a23, |v5|
	s_delay_alu instid0(VALU_DEP_3) | instskip(SKIP_1) | instid1(VALU_DEP_2)
	v_cndmask_b32_e64 v16, 0, 32, s3
	v_cndmask_b32_e64 v20, 0, 0x41b17218, s3
	v_ldexp_f32 v16, |v5|, v16
	s_delay_alu instid0(VALU_DEP_1) | instskip(SKIP_1) | instid1(TRANS32_DEP_1)
	v_log_f32_e32 v16, v16
	v_nop
	v_mul_f32_e32 v17, 0x3f317217, v16
	v_cmp_gt_f32_e64 s3, 0x7f800000, |v16|
	s_delay_alu instid0(VALU_DEP_2) | instskip(NEXT) | instid1(VALU_DEP_1)
	v_fma_f32 v18, 0x3f317217, v16, -v17
	v_fmac_f32_e32 v18, 0x3377d1cf, v16
	s_delay_alu instid0(VALU_DEP_1) | instskip(SKIP_1) | instid1(VALU_DEP_1)
	v_add_f32_e32 v17, v17, v18
	v_add_f32_e64 v18, 0xbeec5b0c, |v5|
	v_dual_cndmask_b32 v16, v16, v17, s3 :: v_dual_cndmask_b32 v17, v19, v18, s2
	v_cndmask_b32_e64 v18, 0, 1, s2
	v_cmp_gt_f32_e64 s2, 0x3e6d3309, |v5|
	s_delay_alu instid0(VALU_DEP_3) | instskip(NEXT) | instid1(VALU_DEP_2)
	v_sub_f32_e32 v16, v16, v20
	v_cndmask_b32_e64 v17, v17, |v5|, s2
	s_delay_alu instid0(VALU_DEP_4) | instskip(NEXT) | instid1(VALU_DEP_3)
	v_cndmask_b32_e64 v18, v18, 2, s2
	v_xor_b32_e32 v16, 0x80000000, v16
.LBB13_305:                             ;   in Loop: Header=BB13_177 Depth=1
	s_and_not1_saveexec_b32 s3, s24
	s_cbranch_execz .LBB13_307
; %bb.306:                              ;   in Loop: Header=BB13_177 Depth=1
	v_sub_f32_e64 v16, 2.0, |v5|
	v_add_f32_e64 v17, 0xbfbb16c3, |v5|
	v_cmp_gt_f32_e64 s2, 0x3fdda512, |v5|
	v_add_f32_e64 v18, |v5|, -1.0
	s_delay_alu instid0(VALU_DEP_2) | instskip(SKIP_2) | instid1(VALU_DEP_2)
	v_cndmask_b32_e64 v17, v16, v17, s2
	v_cndmask_b32_e64 v16, v16, 1.0, s2
	v_cmp_gt_f32_e64 s2, 0x3f9d70a4, |v5|
	v_cvt_i32_f32_e32 v16, v16
	s_delay_alu instid0(VALU_DEP_2) | instskip(NEXT) | instid1(VALU_DEP_2)
	v_cndmask_b32_e64 v17, v17, v18, s2
	v_cndmask_b32_e64 v18, v16, 2, s2
	v_mov_b32_e32 v16, 0
.LBB13_307:                             ;   in Loop: Header=BB13_177 Depth=1
	s_or_b32 exec_lo, exec_lo, s3
	s_delay_alu instid0(SALU_CYCLE_1) | instskip(NEXT) | instid1(VALU_DEP_2)
	s_mov_b32 s3, exec_lo
	v_cmpx_lt_i32_e32 0, v18
	s_xor_b32 s3, exec_lo, s3
	s_cbranch_execz .LBB13_315
; %bb.308:                              ;   in Loop: Header=BB13_177 Depth=1
	s_mov_b32 s24, exec_lo
	v_cmpx_lt_i32_e32 1, v18
	s_xor_b32 s24, exec_lo, s24
	s_cbranch_execz .LBB13_312
; %bb.309:                              ;   in Loop: Header=BB13_177 Depth=1
	s_mov_b32 s25, exec_lo
	v_cmpx_eq_u32_e32 2, v18
	s_cbranch_execz .LBB13_311
; %bb.310:                              ;   in Loop: Header=BB13_177 Depth=1
	v_fmaak_f32 v19, s12, v17, 0x3e6a7578
	s_delay_alu instid0(VALU_DEP_1) | instskip(NEXT) | instid1(VALU_DEP_1)
	v_fmaak_f32 v19, v17, v19, 0x3f7a4bb2
	v_fmaak_f32 v19, v17, v19, 0x3fba3ae7
	s_delay_alu instid0(VALU_DEP_1) | instskip(NEXT) | instid1(VALU_DEP_1)
	v_fmaak_f32 v19, v17, v19, 0x3f2200f4
	v_fmaak_f32 v19, v17, v19, 0xbd9e233f
	s_delay_alu instid0(VALU_DEP_1) | instskip(NEXT) | instid1(VALU_DEP_1)
	v_dual_fmaak_f32 v18, s13, v17, 0x3dd572af :: v_dual_mul_f32 v19, v17, v19
	v_fmaak_f32 v18, v17, v18, 0x3f44efdf
	s_delay_alu instid0(VALU_DEP_1) | instskip(NEXT) | instid1(VALU_DEP_1)
	v_fmaak_f32 v18, v17, v18, 0x4008392d
	v_fmaak_f32 v18, v17, v18, 0x401d2ebe
	s_delay_alu instid0(VALU_DEP_1) | instskip(NEXT) | instid1(VALU_DEP_1)
	v_fma_f32 v18, v17, v18, 1.0
	v_rcp_f32_e32 v18, v18
	v_nop
	s_delay_alu instid0(TRANS32_DEP_1) | instskip(NEXT) | instid1(VALU_DEP_1)
	v_mul_f32_e32 v18, v19, v18
	v_fmac_f32_e32 v18, -0.5, v17
	s_delay_alu instid0(VALU_DEP_1)
	v_add_f32_e32 v16, v16, v18
.LBB13_311:                             ;   in Loop: Header=BB13_177 Depth=1
	s_or_b32 exec_lo, exec_lo, s25
                                        ; implicit-def: $vgpr17
.LBB13_312:                             ;   in Loop: Header=BB13_177 Depth=1
	s_and_not1_saveexec_b32 s2, s24
	s_cbranch_execz .LBB13_314
; %bb.313:                              ;   in Loop: Header=BB13_177 Depth=1
	v_mul_f32_e32 v18, v17, v17
	s_delay_alu instid0(VALU_DEP_1) | instskip(NEXT) | instid1(VALU_DEP_1)
	v_mul_f32_e32 v19, v17, v18
	v_fmaak_f32 v20, s15, v19, 0x3a66f867
	v_fmaak_f32 v21, s16, v19, 0xba0d3085
	s_delay_alu instid0(VALU_DEP_2) | instskip(NEXT) | instid1(VALU_DEP_2)
	v_fmaak_f32 v20, v19, v20, 0xbb7177fe
	v_fmaak_f32 v21, v19, v21, 0x3b141699
	s_delay_alu instid0(VALU_DEP_2) | instskip(NEXT) | instid1(VALU_DEP_2)
	;; [unrolled: 3-line block ×3, first 2 shown]
	v_fmaak_f32 v20, v19, v20, 0xbe17213c
	v_fmaak_f32 v21, v19, v21, 0x3d845a15
	s_delay_alu instid0(VALU_DEP_1) | instskip(SKIP_1) | instid1(VALU_DEP_1)
	v_fmac_f32_e32 v20, v17, v21
	v_fmaak_f32 v22, s14, v19, 0xbab7f476
	v_fmaak_f32 v22, v19, v22, 0x3bc7e707
	s_delay_alu instid0(VALU_DEP_1) | instskip(NEXT) | instid1(VALU_DEP_1)
	v_fmaak_f32 v22, v19, v22, 0xbd064d47
	v_fmaak_f32 v17, v19, v22, 0x3ef7b95e
	v_fma_f32 v19, v19, -v20, 0xa2863e55
	s_delay_alu instid0(VALU_DEP_1) | instskip(NEXT) | instid1(VALU_DEP_1)
	v_fma_f32 v17, v18, v17, -v19
	v_add_f32_e32 v17, 0xbdf8cdce, v17
	s_delay_alu instid0(VALU_DEP_1)
	v_add_f32_e32 v16, v16, v17
.LBB13_314:                             ;   in Loop: Header=BB13_177 Depth=1
	s_or_b32 exec_lo, exec_lo, s2
                                        ; implicit-def: $vgpr18
                                        ; implicit-def: $vgpr17
.LBB13_315:                             ;   in Loop: Header=BB13_177 Depth=1
	s_and_not1_saveexec_b32 s3, s3
	s_cbranch_execz .LBB13_319
; %bb.316:                              ;   in Loop: Header=BB13_177 Depth=1
	s_mov_b32 s24, exec_lo
	v_cmpx_eq_u32_e32 0, v18
	s_cbranch_execz .LBB13_318
; %bb.317:                              ;   in Loop: Header=BB13_177 Depth=1
	v_mul_f32_e32 v18, v17, v17
	s_delay_alu instid0(VALU_DEP_1) | instskip(NEXT) | instid1(VALU_DEP_1)
	v_fmaak_f32 v20, s17, v18, 0x39679767
	v_fmaak_f32 v20, v18, v20, 0x3a9c54a1
	s_delay_alu instid0(VALU_DEP_1) | instskip(NEXT) | instid1(VALU_DEP_1)
	v_fmaak_f32 v20, v18, v20, 0x3bf2027e
	v_fmaak_f32 v20, v18, v20, 0x3d89f001
	s_delay_alu instid0(VALU_DEP_1) | instskip(SKIP_1) | instid1(VALU_DEP_1)
	v_fmaak_f32 v20, v18, v20, 0x3d9e233f
	v_fmaak_f32 v19, s18, v18, 0x38e28445
	;; [unrolled: 1-line block ×3, first 2 shown]
	s_delay_alu instid0(VALU_DEP_1) | instskip(NEXT) | instid1(VALU_DEP_1)
	v_fmaak_f32 v19, v18, v19, 0x3b3d6ec6
	v_fmaak_f32 v19, v18, v19, 0x3ca89915
	s_delay_alu instid0(VALU_DEP_1) | instskip(NEXT) | instid1(VALU_DEP_1)
	v_fmaak_f32 v19, v18, v19, 0x3ea51a66
	v_mul_f32_e32 v18, v18, v19
	s_delay_alu instid0(VALU_DEP_1) | instskip(NEXT) | instid1(VALU_DEP_1)
	v_fmac_f32_e32 v18, v17, v20
	v_fmac_f32_e32 v18, -0.5, v17
	s_delay_alu instid0(VALU_DEP_1)
	v_add_f32_e32 v16, v16, v18
.LBB13_318:                             ;   in Loop: Header=BB13_177 Depth=1
	s_or_b32 exec_lo, exec_lo, s24
.LBB13_319:                             ;   in Loop: Header=BB13_177 Depth=1
	s_delay_alu instid0(SALU_CYCLE_1)
	s_or_b32 exec_lo, exec_lo, s3
.LBB13_320:                             ;   in Loop: Header=BB13_177 Depth=1
	s_delay_alu instid0(SALU_CYCLE_1)
	s_or_b32 exec_lo, exec_lo, s23
.LBB13_321:                             ;   in Loop: Header=BB13_177 Depth=1
	s_and_not1_saveexec_b32 s3, s4
	s_cbranch_execz .LBB13_323
; %bb.322:                              ;   in Loop: Header=BB13_177 Depth=1
	v_cmp_gt_f32_e64 s4, 0x800000, |v5|
	v_fma_f32 v19, |v5|, s19, 0xbecd26ab
	s_delay_alu instid0(VALU_DEP_2) | instskip(NEXT) | instid1(VALU_DEP_1)
	v_cndmask_b32_e64 v16, 0, 32, s4
	v_ldexp_f32 v16, |v5|, v16
	s_delay_alu instid0(VALU_DEP_1) | instskip(SKIP_1) | instid1(TRANS32_DEP_1)
	v_log_f32_e32 v16, v16
	v_nop
	v_mul_f32_e32 v17, 0x3f317217, v16
	v_cmp_gt_f32_e64 s2, 0x7f800000, |v16|
	s_delay_alu instid0(VALU_DEP_2) | instskip(NEXT) | instid1(VALU_DEP_1)
	v_fma_f32 v18, 0x3f317217, v16, -v17
	v_fmac_f32_e32 v18, 0x3377d1cf, v16
	s_delay_alu instid0(VALU_DEP_1) | instskip(SKIP_1) | instid1(VALU_DEP_2)
	v_add_f32_e32 v17, v17, v18
	v_fma_f32 v18, |v5|, v19, 0x3f528d33
	v_cndmask_b32_e64 v16, v16, v17, s2
	v_cndmask_b32_e64 v17, 0, 0x41b17218, s4
	s_delay_alu instid0(VALU_DEP_3) | instskip(NEXT) | instid1(VALU_DEP_2)
	v_fma_f32 v18, |v5|, v18, 0xbf13c468
	v_sub_f32_e32 v16, v16, v17
	s_delay_alu instid0(VALU_DEP_1)
	v_fma_f32 v16, |v5|, v18, -v16
.LBB13_323:                             ;   in Loop: Header=BB13_177 Depth=1
	s_or_b32 exec_lo, exec_lo, s3
	v_cmp_le_f32_e64 s2, 0, v5
	s_mov_b32 s4, exec_lo
	v_cmpx_nle_f32_e32 0, v5
	s_xor_b32 s23, exec_lo, s4
	s_cbranch_execz .LBB13_327
; %bb.324:                              ;   in Loop: Header=BB13_177 Depth=1
	v_cmp_gt_f32_e64 s3, 0x4b000000, |v5|
	v_cmp_lt_f32_e64 s4, 0x35000000, |v5|
	s_and_b32 s3, s3, s4
	s_delay_alu instid0(SALU_CYCLE_1)
	s_and_saveexec_b32 s24, s3
	s_cbranch_execz .LBB13_326
; %bb.325:                              ;   in Loop: Header=BB13_177 Depth=1
	v_mul_f32_e64 v17, |v5|, 0.5
	v_xor_b32_e32 v15, v15, v5
	s_delay_alu instid0(VALU_DEP_2) | instskip(SKIP_1) | instid1(VALU_DEP_2)
	v_floor_f32_e32 v18, v17
	v_cmp_neq_f32_e64 s3, 0x7f800000, v17
	v_sub_f32_e32 v18, v17, v18
	s_delay_alu instid0(VALU_DEP_1) | instskip(NEXT) | instid1(VALU_DEP_1)
	v_min_num_f32_e32 v18, 0x3f7fffff, v18
	v_add_f32_e32 v18, v18, v18
	s_delay_alu instid0(VALU_DEP_1) | instskip(SKIP_1) | instid1(VALU_DEP_1)
	v_cndmask_b32_e64 v17, 0, v18, s3
	v_cmp_gt_f32_e64 s3, |v5|, 1.0
	v_cndmask_b32_e64 v17, |v5|, v17, s3
	s_delay_alu instid0(VALU_DEP_1) | instskip(NEXT) | instid1(VALU_DEP_1)
	v_add_f32_e32 v18, v17, v17
	v_rndne_f32_e32 v18, v18
	s_delay_alu instid0(VALU_DEP_1) | instskip(SKIP_1) | instid1(VALU_DEP_2)
	v_fmac_f32_e32 v17, -0.5, v18
	v_cvt_i32_f32_e32 v18, v18
	v_mul_f32_e32 v19, v17, v17
	s_delay_alu instid0(VALU_DEP_1) | instskip(SKIP_1) | instid1(VALU_DEP_2)
	v_fmaak_f32 v20, s20, v19, 0xbf1f24be
	v_dual_fmaak_f32 v21, s21, v19, 0x3e642e9d :: v_dual_mul_f32 v22, v17, v19
	v_fmaak_f32 v20, v19, v20, 0x40234736
	s_delay_alu instid0(VALU_DEP_2) | instskip(NEXT) | instid1(VALU_DEP_2)
	v_fmaak_f32 v21, v19, v21, 0xbfaad1da
	v_fmaak_f32 v20, v19, v20, 0xc0a55e0e
	s_delay_alu instid0(VALU_DEP_1) | instskip(NEXT) | instid1(VALU_DEP_1)
	v_mul_f32_e32 v20, v22, v20
	v_fmac_f32_e32 v20, 0x40490fdb, v17
	v_dual_lshlrev_b32 v18, 30, v18 :: v_dual_bitop2_b32 v22, 1, v18 bitop3:0x40
	v_fmaak_f32 v21, v19, v21, 0x4081e0d3
	s_delay_alu instid0(VALU_DEP_2) | instskip(NEXT) | instid1(VALU_DEP_3)
	v_cmp_eq_u32_e64 s3, 0, v22
	v_and_b32_e32 v18, 0x80000000, v18
	s_delay_alu instid0(VALU_DEP_3) | instskip(NEXT) | instid1(VALU_DEP_1)
	v_fmaak_f32 v21, v19, v21, 0xc09de9e6
	v_fma_f32 v17, v19, v21, 1.0
	s_delay_alu instid0(VALU_DEP_1) | instskip(NEXT) | instid1(VALU_DEP_1)
	v_cndmask_b32_e64 v17, v17, v20, s3
	v_xor3_b32 v15, v15, v18, v17
	s_delay_alu instid0(VALU_DEP_1) | instskip(NEXT) | instid1(VALU_DEP_1)
	v_mul_f32_e32 v15, v5, v15
	v_frexp_mant_f32_e64 v17, |v15|
	v_frexp_exp_i32_f32_e32 v15, v15
	s_delay_alu instid0(VALU_DEP_2) | instskip(NEXT) | instid1(VALU_DEP_1)
	v_rcp_f32_e32 v17, v17
	v_sub_nc_u32_e32 v15, 2, v15
	s_delay_alu instid0(TRANS32_DEP_1) | instskip(NEXT) | instid1(VALU_DEP_1)
	v_mul_f32_e32 v17, 0x3f490fdb, v17
	v_ldexp_f32 v15, v17, v15
	s_delay_alu instid0(VALU_DEP_1) | instskip(NEXT) | instid1(VALU_DEP_1)
	v_cmp_gt_f32_e64 s3, 0x800000, v15
	v_cndmask_b32_e64 v17, 0, 32, s3
	s_delay_alu instid0(VALU_DEP_1) | instskip(NEXT) | instid1(VALU_DEP_1)
	v_ldexp_f32 v15, v15, v17
	v_log_f32_e32 v15, v15
	v_nop
	s_delay_alu instid0(TRANS32_DEP_1) | instskip(SKIP_1) | instid1(VALU_DEP_2)
	v_mul_f32_e32 v17, 0x3f317217, v15
	v_cmp_gt_f32_e64 s4, 0x7f800000, |v15|
	v_fma_f32 v18, 0x3f317217, v15, -v17
	s_delay_alu instid0(VALU_DEP_1) | instskip(NEXT) | instid1(VALU_DEP_1)
	v_fmac_f32_e32 v18, 0x3377d1cf, v15
	v_add_f32_e32 v17, v17, v18
	v_floor_f32_e32 v18, v5
	s_delay_alu instid0(VALU_DEP_2) | instskip(SKIP_1) | instid1(VALU_DEP_1)
	v_cndmask_b32_e64 v15, v15, v17, s4
	v_cndmask_b32_e64 v17, 0, 0x41b17218, s3
	v_dual_sub_f32 v18, v5, v18 :: v_dual_sub_f32 v15, v15, v17
	s_delay_alu instid0(VALU_DEP_1) | instskip(NEXT) | instid1(VALU_DEP_2)
	v_min_num_f32_e32 v17, 0x3f7fffff, v18
	v_sub_f32_e32 v15, v15, v16
	s_delay_alu instid0(VALU_DEP_2) | instskip(NEXT) | instid1(VALU_DEP_1)
	v_cmp_neq_f32_e64 s3, 0, v17
	v_cndmask_b32_e64 v16, 0x7f800000, v15, s3
.LBB13_326:                             ;   in Loop: Header=BB13_177 Depth=1
	s_or_b32 exec_lo, exec_lo, s24
.LBB13_327:                             ;   in Loop: Header=BB13_177 Depth=1
	s_and_not1_saveexec_b32 s23, s23
	s_cbranch_execz .LBB13_176
; %bb.328:                              ;   in Loop: Header=BB13_177 Depth=1
	v_cmp_eq_f32_e64 s3, 1.0, v5
	v_cmp_eq_f32_e64 s4, 2.0, v5
	s_or_b32 s3, s3, s4
	s_delay_alu instid0(SALU_CYCLE_1)
	v_cndmask_b32_e64 v16, v16, 0, s3
	s_branch .LBB13_176
.LBB13_329:
	s_endpgm
	.section	.rodata,"a",@progbits
	.p2align	6, 0x0
	.amdhsa_kernel _ZN2at6native12_GLOBAL__N_125multi_tensor_apply_kernelINS1_18TensorListMetadataILi1EEENS1_14UnaryOpFunctorIfLi1ELi1ELi0EEEJNS0_6LgammaIfEEEEEvT_T0_DpT1_
		.amdhsa_group_segment_fixed_size 0
		.amdhsa_private_segment_fixed_size 0
		.amdhsa_kernarg_size 3632
		.amdhsa_user_sgpr_count 2
		.amdhsa_user_sgpr_dispatch_ptr 0
		.amdhsa_user_sgpr_queue_ptr 0
		.amdhsa_user_sgpr_kernarg_segment_ptr 1
		.amdhsa_user_sgpr_dispatch_id 0
		.amdhsa_user_sgpr_kernarg_preload_length 0
		.amdhsa_user_sgpr_kernarg_preload_offset 0
		.amdhsa_user_sgpr_private_segment_size 0
		.amdhsa_wavefront_size32 1
		.amdhsa_uses_dynamic_stack 0
		.amdhsa_enable_private_segment 0
		.amdhsa_system_sgpr_workgroup_id_x 1
		.amdhsa_system_sgpr_workgroup_id_y 0
		.amdhsa_system_sgpr_workgroup_id_z 0
		.amdhsa_system_sgpr_workgroup_info 0
		.amdhsa_system_vgpr_workitem_id 0
		.amdhsa_next_free_vgpr 37
		.amdhsa_next_free_sgpr 44
		.amdhsa_named_barrier_count 0
		.amdhsa_reserve_vcc 1
		.amdhsa_float_round_mode_32 0
		.amdhsa_float_round_mode_16_64 0
		.amdhsa_float_denorm_mode_32 3
		.amdhsa_float_denorm_mode_16_64 3
		.amdhsa_fp16_overflow 0
		.amdhsa_memory_ordered 1
		.amdhsa_forward_progress 1
		.amdhsa_inst_pref_size 173
		.amdhsa_round_robin_scheduling 0
		.amdhsa_exception_fp_ieee_invalid_op 0
		.amdhsa_exception_fp_denorm_src 0
		.amdhsa_exception_fp_ieee_div_zero 0
		.amdhsa_exception_fp_ieee_overflow 0
		.amdhsa_exception_fp_ieee_underflow 0
		.amdhsa_exception_fp_ieee_inexact 0
		.amdhsa_exception_int_div_zero 0
	.end_amdhsa_kernel
	.section	.text._ZN2at6native12_GLOBAL__N_125multi_tensor_apply_kernelINS1_18TensorListMetadataILi1EEENS1_14UnaryOpFunctorIfLi1ELi1ELi0EEEJNS0_6LgammaIfEEEEEvT_T0_DpT1_,"axG",@progbits,_ZN2at6native12_GLOBAL__N_125multi_tensor_apply_kernelINS1_18TensorListMetadataILi1EEENS1_14UnaryOpFunctorIfLi1ELi1ELi0EEEJNS0_6LgammaIfEEEEEvT_T0_DpT1_,comdat
.Lfunc_end13:
	.size	_ZN2at6native12_GLOBAL__N_125multi_tensor_apply_kernelINS1_18TensorListMetadataILi1EEENS1_14UnaryOpFunctorIfLi1ELi1ELi0EEEJNS0_6LgammaIfEEEEEvT_T0_DpT1_, .Lfunc_end13-_ZN2at6native12_GLOBAL__N_125multi_tensor_apply_kernelINS1_18TensorListMetadataILi1EEENS1_14UnaryOpFunctorIfLi1ELi1ELi0EEEJNS0_6LgammaIfEEEEEvT_T0_DpT1_
                                        ; -- End function
	.set _ZN2at6native12_GLOBAL__N_125multi_tensor_apply_kernelINS1_18TensorListMetadataILi1EEENS1_14UnaryOpFunctorIfLi1ELi1ELi0EEEJNS0_6LgammaIfEEEEEvT_T0_DpT1_.num_vgpr, 37
	.set _ZN2at6native12_GLOBAL__N_125multi_tensor_apply_kernelINS1_18TensorListMetadataILi1EEENS1_14UnaryOpFunctorIfLi1ELi1ELi0EEEJNS0_6LgammaIfEEEEEvT_T0_DpT1_.num_agpr, 0
	.set _ZN2at6native12_GLOBAL__N_125multi_tensor_apply_kernelINS1_18TensorListMetadataILi1EEENS1_14UnaryOpFunctorIfLi1ELi1ELi0EEEJNS0_6LgammaIfEEEEEvT_T0_DpT1_.numbered_sgpr, 44
	.set _ZN2at6native12_GLOBAL__N_125multi_tensor_apply_kernelINS1_18TensorListMetadataILi1EEENS1_14UnaryOpFunctorIfLi1ELi1ELi0EEEJNS0_6LgammaIfEEEEEvT_T0_DpT1_.num_named_barrier, 0
	.set _ZN2at6native12_GLOBAL__N_125multi_tensor_apply_kernelINS1_18TensorListMetadataILi1EEENS1_14UnaryOpFunctorIfLi1ELi1ELi0EEEJNS0_6LgammaIfEEEEEvT_T0_DpT1_.private_seg_size, 0
	.set _ZN2at6native12_GLOBAL__N_125multi_tensor_apply_kernelINS1_18TensorListMetadataILi1EEENS1_14UnaryOpFunctorIfLi1ELi1ELi0EEEJNS0_6LgammaIfEEEEEvT_T0_DpT1_.uses_vcc, 1
	.set _ZN2at6native12_GLOBAL__N_125multi_tensor_apply_kernelINS1_18TensorListMetadataILi1EEENS1_14UnaryOpFunctorIfLi1ELi1ELi0EEEJNS0_6LgammaIfEEEEEvT_T0_DpT1_.uses_flat_scratch, 0
	.set _ZN2at6native12_GLOBAL__N_125multi_tensor_apply_kernelINS1_18TensorListMetadataILi1EEENS1_14UnaryOpFunctorIfLi1ELi1ELi0EEEJNS0_6LgammaIfEEEEEvT_T0_DpT1_.has_dyn_sized_stack, 0
	.set _ZN2at6native12_GLOBAL__N_125multi_tensor_apply_kernelINS1_18TensorListMetadataILi1EEENS1_14UnaryOpFunctorIfLi1ELi1ELi0EEEJNS0_6LgammaIfEEEEEvT_T0_DpT1_.has_recursion, 0
	.set _ZN2at6native12_GLOBAL__N_125multi_tensor_apply_kernelINS1_18TensorListMetadataILi1EEENS1_14UnaryOpFunctorIfLi1ELi1ELi0EEEJNS0_6LgammaIfEEEEEvT_T0_DpT1_.has_indirect_call, 0
	.section	.AMDGPU.csdata,"",@progbits
; Kernel info:
; codeLenInByte = 22136
; TotalNumSgprs: 46
; NumVgprs: 37
; ScratchSize: 0
; MemoryBound: 0
; FloatMode: 240
; IeeeMode: 1
; LDSByteSize: 0 bytes/workgroup (compile time only)
; SGPRBlocks: 0
; VGPRBlocks: 2
; NumSGPRsForWavesPerEU: 46
; NumVGPRsForWavesPerEU: 37
; NamedBarCnt: 0
; Occupancy: 16
; WaveLimiterHint : 0
; COMPUTE_PGM_RSRC2:SCRATCH_EN: 0
; COMPUTE_PGM_RSRC2:USER_SGPR: 2
; COMPUTE_PGM_RSRC2:TRAP_HANDLER: 0
; COMPUTE_PGM_RSRC2:TGID_X_EN: 1
; COMPUTE_PGM_RSRC2:TGID_Y_EN: 0
; COMPUTE_PGM_RSRC2:TGID_Z_EN: 0
; COMPUTE_PGM_RSRC2:TIDIG_COMP_CNT: 0
	.section	.text._ZN2at6native12_GLOBAL__N_125multi_tensor_apply_kernelINS1_18TensorListMetadataILi1EEENS1_14UnaryOpFunctorIN3c104HalfELi1ELi1ELi0EEEJNS0_6LgammaIfEEEEEvT_T0_DpT1_,"axG",@progbits,_ZN2at6native12_GLOBAL__N_125multi_tensor_apply_kernelINS1_18TensorListMetadataILi1EEENS1_14UnaryOpFunctorIN3c104HalfELi1ELi1ELi0EEEJNS0_6LgammaIfEEEEEvT_T0_DpT1_,comdat
	.globl	_ZN2at6native12_GLOBAL__N_125multi_tensor_apply_kernelINS1_18TensorListMetadataILi1EEENS1_14UnaryOpFunctorIN3c104HalfELi1ELi1ELi0EEEJNS0_6LgammaIfEEEEEvT_T0_DpT1_ ; -- Begin function _ZN2at6native12_GLOBAL__N_125multi_tensor_apply_kernelINS1_18TensorListMetadataILi1EEENS1_14UnaryOpFunctorIN3c104HalfELi1ELi1ELi0EEEJNS0_6LgammaIfEEEEEvT_T0_DpT1_
	.p2align	8
	.type	_ZN2at6native12_GLOBAL__N_125multi_tensor_apply_kernelINS1_18TensorListMetadataILi1EEENS1_14UnaryOpFunctorIN3c104HalfELi1ELi1ELi0EEEJNS0_6LgammaIfEEEEEvT_T0_DpT1_,@function
_ZN2at6native12_GLOBAL__N_125multi_tensor_apply_kernelINS1_18TensorListMetadataILi1EEENS1_14UnaryOpFunctorIN3c104HalfELi1ELi1ELi0EEEJNS0_6LgammaIfEEEEEvT_T0_DpT1_: ; @_ZN2at6native12_GLOBAL__N_125multi_tensor_apply_kernelINS1_18TensorListMetadataILi1EEENS1_14UnaryOpFunctorIN3c104HalfELi1ELi1ELi0EEEJNS0_6LgammaIfEEEEEvT_T0_DpT1_
; %bb.0:
	s_bfe_u32 s2, ttmp6, 0x4000c
	s_and_b32 s3, ttmp6, 15
	s_add_co_i32 s2, s2, 1
	s_getreg_b32 s4, hwreg(HW_REG_IB_STS2, 6, 4)
	s_mul_i32 s2, ttmp9, s2
	s_delay_alu instid0(SALU_CYCLE_1)
	s_add_co_i32 s3, s3, s2
	s_cmp_eq_u32 s4, 0
	s_cselect_b32 s2, ttmp9, s3
	s_mov_b32 s3, 0
	s_load_u8 s10, s[0:1], s2 offset:0x6e0
	s_add_nc_u64 s[4:5], s[0:1], s[2:3]
	s_mul_u64 s[6:7], s[2:3], 3
	s_delay_alu instid0(SALU_CYCLE_1)
	s_add_nc_u64 s[4:5], s[4:5], s[6:7]
	s_load_b32 s6, s[4:5], 0x820
	s_wait_kmcnt 0x0
	s_clause 0x1
	s_load_b64 s[12:13], s[0:1], s10 offset:0x0 scale_offset
	s_load_b64 s[8:9], s[0:1], s10 offset:0x370 scale_offset
	s_ashr_i32 s7, s6, 31
	s_wait_kmcnt 0x0
	s_and_b64 s[4:5], s[12:13], 7
	s_and_b32 s2, s8, 3
	s_lshl_b64 s[14:15], s[6:7], 17
	s_or_b64 s[2:3], s[4:5], s[2:3]
	s_lshl_b64 s[4:5], s[6:7], 16
	s_cmp_eq_u64 s[2:3], 0
	s_sub_nc_u64 s[16:17], s[8:9], s[4:5]
	s_cbranch_scc1 .LBB14_173
; %bb.1:
	v_cmp_lt_i64_e64 s2, s[16:17], 1
	s_and_b32 vcc_lo, exec_lo, s2
	s_cbranch_vccnz .LBB14_172
; %bb.2:
	s_load_b32 s2, s[0:1], 0xd3c
	v_min_i64 v[2:3], 0x10000, s[16:17]
	v_min_u64 v[4:5], 0x10000, s[16:17]
	v_dual_mov_b32 v1, 0 :: v_dual_lshlrev_b32 v8, 1, v0
	s_mov_b32 s3, 0
	s_add_nc_u64 s[4:5], s[12:13], s[14:15]
	s_mov_b32 s7, s3
	s_delay_alu instid0(VALU_DEP_1) | instskip(SKIP_3) | instid1(VALU_DEP_2)
	v_dual_mov_b32 v9, v1 :: v_dual_mov_b32 v15, v1
	s_mov_b32 s9, s3
	v_mov_b64_e32 v[16:17], 0x4040000040000000
	s_mov_b64 s[18:19], 0
	v_add_nc_u64_e32 v[8:9], s[4:5], v[8:9]
	s_mov_b32 s11, 0xbad5c4e8
	s_mov_b32 s26, 0x3805ff67
	s_mov_b32 s27, 0x36f5d7bd
	s_mov_b32 s28, 0x3c5b3c5e
	s_mov_b32 s29, 0x3b52d5db
	s_mov_b32 s30, 0x39a57b6b
	s_wait_kmcnt 0x0
	s_and_b32 s2, s2, 0xffff
	s_mov_b32 s31, 0xb9a3f927
	v_add_nc_u64_e32 v[6:7], s[2:3], v[0:1]
	s_lshl_b32 s6, s2, 1
	s_mul_i32 s8, s2, 3
	v_add_nc_u64_e32 v[12:13], s[6:7], v[0:1]
	v_add_nc_u64_e32 v[10:11], s[8:9], v[0:1]
	s_mov_b32 s33, 0x39afe9f7
	s_mov_b32 s21, s3
	v_lshlrev_b32_e32 v14, 1, v6
	s_mov_b32 s23, s3
	s_lshl_b32 s20, s2, 2
	s_lshl_b32 s22, s2, 3
	s_mul_u64 s[24:25], s[2:3], 6
	v_add_nc_u64_e32 v[14:15], s[4:5], v[14:15]
	s_mov_b32 s34, 0x37d383a2
	s_mov_b32 s35, 0x383c2c75
	;; [unrolled: 1-line block ×5, first 2 shown]
	s_branch .LBB14_4
.LBB14_3:                               ;   in Loop: Header=BB14_4 Depth=1
	s_wait_xcnt 0x0
	s_or_b32 exec_lo, exec_lo, s2
	s_add_nc_u64 s[18:19], s[18:19], s[20:21]
	v_add_nc_u64_e32 v[8:9], s[22:23], v[8:9]
	v_cmp_ge_i64_e32 vcc_lo, s[18:19], v[2:3]
	v_add_nc_u64_e32 v[14:15], s[22:23], v[14:15]
	s_cbranch_vccnz .LBB14_172
.LBB14_4:                               ; =>This Inner Loop Header: Depth=1
	v_add_nc_u64_e32 v[18:19], s[18:19], v[0:1]
	v_mov_b32_e32 v25, 0
	s_delay_alu instid0(VALU_DEP_2)
	v_cmp_lt_u64_e64 s4, v[18:19], v[4:5]
	s_and_saveexec_b32 s2, s4
	s_cbranch_execz .LBB14_6
; %bb.5:                                ;   in Loop: Header=BB14_4 Depth=1
	global_load_u16 v25, v[8:9], off
.LBB14_6:                               ;   in Loop: Header=BB14_4 Depth=1
	s_wait_xcnt 0x0
	s_or_b32 exec_lo, exec_lo, s2
	v_add_nc_u64_e32 v[18:19], s[18:19], v[6:7]
	v_dual_mov_b32 v22, 0 :: v_dual_mov_b32 v24, 0
	s_delay_alu instid0(VALU_DEP_2)
	v_cmp_lt_u64_e64 s3, v[18:19], v[4:5]
	s_and_saveexec_b32 s2, s3
	s_cbranch_execz .LBB14_8
; %bb.7:                                ;   in Loop: Header=BB14_4 Depth=1
	global_load_u16 v24, v[14:15], off
.LBB14_8:                               ;   in Loop: Header=BB14_4 Depth=1
	s_wait_xcnt 0x0
	s_or_b32 exec_lo, exec_lo, s2
	v_add_nc_u64_e32 v[18:19], s[18:19], v[12:13]
	v_add_nc_u64_e32 v[20:21], s[20:21], v[8:9]
	s_delay_alu instid0(VALU_DEP_2)
	v_cmp_lt_u64_e64 s2, v[18:19], v[4:5]
	s_and_saveexec_b32 s5, s2
	s_cbranch_execz .LBB14_10
; %bb.9:                                ;   in Loop: Header=BB14_4 Depth=1
	global_load_u16 v22, v[20:21], off
.LBB14_10:                              ;   in Loop: Header=BB14_4 Depth=1
	s_wait_xcnt 0x0
	s_or_b32 exec_lo, exec_lo, s5
	v_add_nc_u64_e32 v[18:19], s[18:19], v[10:11]
	v_mov_b32_e32 v23, 0
	s_delay_alu instid0(VALU_DEP_2)
	v_cmp_lt_u64_e32 vcc_lo, v[18:19], v[4:5]
	v_add_nc_u64_e32 v[18:19], s[24:25], v[8:9]
	s_and_saveexec_b32 s5, vcc_lo
	s_cbranch_execz .LBB14_12
; %bb.11:                               ;   in Loop: Header=BB14_4 Depth=1
	global_load_u16 v23, v[18:19], off
.LBB14_12:                              ;   in Loop: Header=BB14_4 Depth=1
	s_wait_xcnt 0x0
	s_or_b32 exec_lo, exec_lo, s5
	s_wait_loadcnt 0x0
	v_cvt_f32_f16_e32 v26, v25
                                        ; implicit-def: $vgpr27
	s_mov_b32 s6, exec_lo
	s_delay_alu instid0(VALU_DEP_1)
	v_and_b32_e32 v28, 0x7fffffff, v26
	v_cmpx_ngt_f32_e64 0x3c800000, |v26|
	s_xor_b32 s7, exec_lo, s6
	s_cbranch_execz .LBB14_42
; %bb.13:                               ;   in Loop: Header=BB14_4 Depth=1
                                        ; implicit-def: $vgpr27
	s_mov_b32 s6, exec_lo
	v_cmpx_nlt_f32_e64 |v26|, 2.0
	s_xor_b32 s8, exec_lo, s6
	s_cbranch_execz .LBB14_23
; %bb.14:                               ;   in Loop: Header=BB14_4 Depth=1
	s_mov_b32 s6, exec_lo
                                        ; implicit-def: $vgpr27
	v_cmpx_ngt_f32_e64 0x41000000, |v26|
	s_xor_b32 s6, exec_lo, s6
	s_cbranch_execz .LBB14_20
; %bb.15:                               ;   in Loop: Header=BB14_4 Depth=1
	s_mov_b32 s9, exec_lo
                                        ; implicit-def: $vgpr27
	v_cmpx_ngt_f32_e64 0x5c800000, |v26|
	s_xor_b32 s9, exec_lo, s9
	s_cbranch_execz .LBB14_17
; %bb.16:                               ;   in Loop: Header=BB14_4 Depth=1
	v_cmp_gt_f32_e64 s10, 0x800000, |v26|
	s_delay_alu instid0(VALU_DEP_1) | instskip(NEXT) | instid1(VALU_DEP_1)
	v_cndmask_b32_e64 v27, 0, 32, s10
	v_ldexp_f32 v27, |v26|, v27
	s_delay_alu instid0(VALU_DEP_1) | instskip(SKIP_1) | instid1(TRANS32_DEP_1)
	v_log_f32_e32 v27, v27
	v_nop
	v_mul_f32_e32 v29, 0x3f317217, v27
	v_cmp_gt_f32_e64 s5, 0x7f800000, |v27|
	s_delay_alu instid0(VALU_DEP_2) | instskip(NEXT) | instid1(VALU_DEP_1)
	v_fma_f32 v30, 0x3f317217, v27, -v29
	v_fmac_f32_e32 v30, 0x3377d1cf, v27
	s_delay_alu instid0(VALU_DEP_1) | instskip(NEXT) | instid1(VALU_DEP_1)
	v_add_f32_e32 v29, v29, v30
	v_cndmask_b32_e64 v27, v27, v29, s5
	v_cndmask_b32_e64 v29, 0, 0x41b17218, s10
	s_delay_alu instid0(VALU_DEP_1) | instskip(NEXT) | instid1(VALU_DEP_1)
	v_sub_f32_e32 v27, v27, v29
	v_fma_f32 v27, |v26|, v27, -|v26|
.LBB14_17:                              ;   in Loop: Header=BB14_4 Depth=1
	s_and_not1_saveexec_b32 s9, s9
	s_cbranch_execz .LBB14_19
; %bb.18:                               ;   in Loop: Header=BB14_4 Depth=1
	v_cmp_gt_f32_e64 s10, 0x800000, |v26|
	v_rcp_f32_e64 v29, |v26|
	s_delay_alu instid0(VALU_DEP_1) | instskip(NEXT) | instid1(VALU_DEP_1)
	v_cndmask_b32_e64 v27, 0, 32, s10
	v_ldexp_f32 v27, |v26|, v27
	s_delay_alu instid0(VALU_DEP_1) | instskip(SKIP_1) | instid1(TRANS32_DEP_1)
	v_log_f32_e32 v27, v27
	v_nop
	v_dual_mul_f32 v30, v29, v29 :: v_dual_mul_f32 v31, 0x3f317217, v27
	v_cmp_gt_f32_e64 s5, 0x7f800000, |v27|
	s_delay_alu instid0(VALU_DEP_2) | instskip(NEXT) | instid1(VALU_DEP_1)
	v_fma_f32 v33, 0x3f317217, v27, -v31
	v_fmac_f32_e32 v33, 0x3377d1cf, v27
	s_delay_alu instid0(VALU_DEP_1) | instskip(NEXT) | instid1(VALU_DEP_1)
	v_dual_fmaak_f32 v32, s11, v30, 0x3a5b3dd2 :: v_dual_add_f32 v31, v31, v33
	v_cndmask_b32_e64 v27, v27, v31, s5
	v_cndmask_b32_e64 v31, 0, 0x41b17218, s10
	s_delay_alu instid0(VALU_DEP_1) | instskip(NEXT) | instid1(VALU_DEP_1)
	v_dual_fmaak_f32 v32, v30, v32, 0xba1c065c :: v_dual_sub_f32 v31, v27, v31
	v_fmaak_f32 v32, v30, v32, 0x3a500cfd
	s_delay_alu instid0(VALU_DEP_1) | instskip(NEXT) | instid1(VALU_DEP_1)
	v_fmaak_f32 v32, v30, v32, 0xbb360b61
	v_fmaak_f32 v30, v30, v32, 0x3daaaaab
	s_delay_alu instid0(VALU_DEP_1) | instskip(SKIP_2) | instid1(VALU_DEP_1)
	v_fmaak_f32 v27, v29, v30, 0x3ed67f1d
	v_add_f32_e64 v29, |v26|, -0.5
	v_add_f32_e32 v30, -1.0, v31
	v_fmac_f32_e32 v27, v29, v30
.LBB14_19:                              ;   in Loop: Header=BB14_4 Depth=1
	s_or_b32 exec_lo, exec_lo, s9
.LBB14_20:                              ;   in Loop: Header=BB14_4 Depth=1
	s_and_not1_saveexec_b32 s9, s6
	s_cbranch_execz .LBB14_22
; %bb.21:                               ;   in Loop: Header=BB14_4 Depth=1
	v_cvt_i32_f32_e32 v27, v28
	s_delay_alu instid0(VALU_DEP_1) | instskip(SKIP_1) | instid1(VALU_DEP_2)
	v_cvt_f32_i32_e32 v29, v27
	v_cmp_lt_i32_e64 s5, 3, v27
	v_sub_f32_e64 v30, |v26|, v29
	s_delay_alu instid0(VALU_DEP_1) | instskip(NEXT) | instid1(VALU_DEP_1)
	v_pk_add_f32 v[32:33], v[30:31], v[16:17] op_sel_hi:[0,1]
	v_dual_add_f32 v29, 4.0, v30 :: v_dual_cndmask_b32 v31, 1.0, v33, s5
	v_cmp_lt_i32_e64 s5, 2, v27
	v_add_f32_e32 v33, 0x40a00000, v30
	s_delay_alu instid0(VALU_DEP_2) | instskip(SKIP_1) | instid1(VALU_DEP_1)
	v_cndmask_b32_e64 v32, 1.0, v32, s5
	v_cmp_lt_i32_e64 s5, 4, v27
	v_dual_cndmask_b32 v29, 1.0, v29, s5 :: v_dual_mul_f32 v31, v32, v31
	v_add_f32_e32 v32, 0x40c00000, v30
	v_cmp_lt_i32_e64 s5, 5, v27
	s_delay_alu instid0(VALU_DEP_1) | instskip(SKIP_1) | instid1(VALU_DEP_1)
	v_dual_mul_f32 v29, v29, v31 :: v_dual_cndmask_b32 v33, 1.0, v33, s5
	v_cmp_lt_i32_e64 s5, 6, v27
	v_dual_mul_f32 v29, v33, v29 :: v_dual_cndmask_b32 v27, 1.0, v32, s5
	s_delay_alu instid0(VALU_DEP_1) | instskip(NEXT) | instid1(VALU_DEP_1)
	v_dual_fmaak_f32 v32, s26, v30, 0x3af135b4 :: v_dual_mul_f32 v27, v27, v29
	v_cmp_gt_f32_e64 s5, 0x800000, v27
	s_delay_alu instid0(VALU_DEP_1) | instskip(NEXT) | instid1(VALU_DEP_1)
	v_cndmask_b32_e64 v31, 0, 32, s5
	v_ldexp_f32 v27, v27, v31
	s_delay_alu instid0(VALU_DEP_4) | instskip(NEXT) | instid1(VALU_DEP_2)
	v_fmaak_f32 v31, v30, v32, 0x3cda40e4
	v_log_f32_e32 v27, v27
	s_delay_alu instid0(VALU_DEP_1) | instskip(NEXT) | instid1(VALU_DEP_1)
	v_fmaak_f32 v31, v30, v31, 0x3e15dce6
	v_fmaak_f32 v31, v30, v31, 0x3ea6cc7a
	s_delay_alu instid0(TRANS32_DEP_1) | instskip(NEXT) | instid1(VALU_DEP_2)
	v_cmp_gt_f32_e64 s6, 0x7f800000, |v27|
	v_fmaak_f32 v31, v30, v31, 0x3e5c245a
	s_delay_alu instid0(VALU_DEP_1) | instskip(NEXT) | instid1(VALU_DEP_1)
	v_fmaak_f32 v31, v30, v31, 0xbd9e233f
	v_mul_f32_e32 v31, v30, v31
	v_mul_f32_e32 v32, 0x3f317217, v27
	s_delay_alu instid0(VALU_DEP_1) | instskip(NEXT) | instid1(VALU_DEP_1)
	v_fma_f32 v33, 0x3f317217, v27, -v32
	v_fmac_f32_e32 v33, 0x3377d1cf, v27
	s_delay_alu instid0(VALU_DEP_1) | instskip(NEXT) | instid1(VALU_DEP_1)
	v_dual_fmaak_f32 v29, s27, v30, 0x3a4beed6 :: v_dual_add_f32 v32, v32, v33
	v_fmaak_f32 v29, v30, v29, 0x3c98bf54
	s_delay_alu instid0(VALU_DEP_2) | instskip(NEXT) | instid1(VALU_DEP_2)
	v_cndmask_b32_e64 v27, v27, v32, s6
	v_fmaak_f32 v29, v30, v29, 0x3e300f6e
	s_delay_alu instid0(VALU_DEP_1) | instskip(NEXT) | instid1(VALU_DEP_1)
	v_fmaak_f32 v29, v30, v29, 0x3f38d0c5
	v_fmaak_f32 v29, v30, v29, 0x3fb22d3b
	s_delay_alu instid0(VALU_DEP_1) | instskip(NEXT) | instid1(VALU_DEP_1)
	v_fma_f32 v29, v30, v29, 1.0
	v_rcp_f32_e32 v29, v29
	v_nop
	s_delay_alu instid0(TRANS32_DEP_1) | instskip(SKIP_1) | instid1(VALU_DEP_1)
	v_mul_f32_e32 v29, v31, v29
	v_cndmask_b32_e64 v31, 0, 0x41b17218, s5
	v_dual_fmac_f32 v29, 0.5, v30 :: v_dual_sub_f32 v27, v27, v31
	s_delay_alu instid0(VALU_DEP_1)
	v_add_f32_e32 v27, v27, v29
.LBB14_22:                              ;   in Loop: Header=BB14_4 Depth=1
	s_or_b32 exec_lo, exec_lo, s9
.LBB14_23:                              ;   in Loop: Header=BB14_4 Depth=1
	s_and_not1_saveexec_b32 s8, s8
	s_cbranch_execz .LBB14_41
; %bb.24:                               ;   in Loop: Header=BB14_4 Depth=1
                                        ; implicit-def: $vgpr27
                                        ; implicit-def: $vgpr30
                                        ; implicit-def: $vgpr29
	s_mov_b32 s6, exec_lo
	v_cmpx_ge_f32_e64 0x3f666666, |v26|
	s_xor_b32 s9, exec_lo, s6
	s_cbranch_execz .LBB14_26
; %bb.25:                               ;   in Loop: Header=BB14_4 Depth=1
	v_cmp_gt_f32_e64 s6, 0x800000, |v26|
	v_sub_f32_e64 v31, 1.0, |v26|
	v_cmp_gt_f32_e64 s5, 0x3f3b4a23, |v26|
	s_delay_alu instid0(VALU_DEP_3) | instskip(SKIP_1) | instid1(VALU_DEP_2)
	v_cndmask_b32_e64 v27, 0, 32, s6
	v_cndmask_b32_e64 v32, 0, 0x41b17218, s6
	v_ldexp_f32 v27, |v26|, v27
	s_delay_alu instid0(VALU_DEP_1) | instskip(SKIP_1) | instid1(TRANS32_DEP_1)
	v_log_f32_e32 v27, v27
	v_nop
	v_mul_f32_e32 v29, 0x3f317217, v27
	v_cmp_gt_f32_e64 s6, 0x7f800000, |v27|
	s_delay_alu instid0(VALU_DEP_2) | instskip(NEXT) | instid1(VALU_DEP_1)
	v_fma_f32 v30, 0x3f317217, v27, -v29
	v_fmac_f32_e32 v30, 0x3377d1cf, v27
	s_delay_alu instid0(VALU_DEP_1) | instskip(SKIP_1) | instid1(VALU_DEP_2)
	v_add_f32_e32 v29, v29, v30
	v_add_f32_e64 v30, 0xbeec5b0c, |v26|
	v_cndmask_b32_e64 v27, v27, v29, s6
	s_delay_alu instid0(VALU_DEP_2) | instskip(SKIP_2) | instid1(VALU_DEP_4)
	v_cndmask_b32_e64 v29, v31, v30, s5
	v_cndmask_b32_e64 v30, 0, 1, s5
	v_cmp_gt_f32_e64 s5, 0x3e6d3309, |v26|
	v_sub_f32_e32 v27, v27, v32
	s_delay_alu instid0(VALU_DEP_2) | instskip(NEXT) | instid1(VALU_DEP_4)
	v_cndmask_b32_e64 v29, v29, |v26|, s5
	v_cndmask_b32_e64 v30, v30, 2, s5
	s_delay_alu instid0(VALU_DEP_3)
	v_xor_b32_e32 v27, 0x80000000, v27
.LBB14_26:                              ;   in Loop: Header=BB14_4 Depth=1
	s_and_not1_saveexec_b32 s6, s9
	s_cbranch_execz .LBB14_28
; %bb.27:                               ;   in Loop: Header=BB14_4 Depth=1
	v_sub_f32_e64 v27, 2.0, |v26|
	v_add_f32_e64 v29, 0xbfbb16c3, |v26|
	v_cmp_gt_f32_e64 s5, 0x3fdda512, |v26|
	v_add_f32_e64 v30, |v26|, -1.0
	s_delay_alu instid0(VALU_DEP_2) | instskip(SKIP_2) | instid1(VALU_DEP_2)
	v_cndmask_b32_e64 v29, v27, v29, s5
	v_cndmask_b32_e64 v27, v27, 1.0, s5
	v_cmp_gt_f32_e64 s5, 0x3f9d70a4, |v26|
	v_cvt_i32_f32_e32 v27, v27
	s_delay_alu instid0(VALU_DEP_2) | instskip(NEXT) | instid1(VALU_DEP_2)
	v_cndmask_b32_e64 v29, v29, v30, s5
	v_cndmask_b32_e64 v30, v27, 2, s5
	v_mov_b32_e32 v27, 0
.LBB14_28:                              ;   in Loop: Header=BB14_4 Depth=1
	s_or_b32 exec_lo, exec_lo, s6
	s_delay_alu instid0(SALU_CYCLE_1) | instskip(NEXT) | instid1(VALU_DEP_2)
	s_mov_b32 s6, exec_lo
	v_cmpx_lt_i32_e32 0, v30
	s_xor_b32 s6, exec_lo, s6
	s_cbranch_execz .LBB14_36
; %bb.29:                               ;   in Loop: Header=BB14_4 Depth=1
	s_mov_b32 s9, exec_lo
	v_cmpx_lt_i32_e32 1, v30
	s_xor_b32 s9, exec_lo, s9
	s_cbranch_execz .LBB14_33
; %bb.30:                               ;   in Loop: Header=BB14_4 Depth=1
	s_mov_b32 s10, exec_lo
	v_cmpx_eq_u32_e32 2, v30
	s_cbranch_execz .LBB14_32
; %bb.31:                               ;   in Loop: Header=BB14_4 Depth=1
	v_fmaak_f32 v31, s28, v29, 0x3e6a7578
	s_delay_alu instid0(VALU_DEP_1) | instskip(NEXT) | instid1(VALU_DEP_1)
	v_fmaak_f32 v31, v29, v31, 0x3f7a4bb2
	v_fmaak_f32 v31, v29, v31, 0x3fba3ae7
	s_delay_alu instid0(VALU_DEP_1) | instskip(NEXT) | instid1(VALU_DEP_1)
	v_fmaak_f32 v31, v29, v31, 0x3f2200f4
	v_fmaak_f32 v31, v29, v31, 0xbd9e233f
	s_delay_alu instid0(VALU_DEP_1) | instskip(NEXT) | instid1(VALU_DEP_1)
	v_dual_fmaak_f32 v30, s29, v29, 0x3dd572af :: v_dual_mul_f32 v31, v29, v31
	v_fmaak_f32 v30, v29, v30, 0x3f44efdf
	s_delay_alu instid0(VALU_DEP_1) | instskip(NEXT) | instid1(VALU_DEP_1)
	v_fmaak_f32 v30, v29, v30, 0x4008392d
	v_fmaak_f32 v30, v29, v30, 0x401d2ebe
	s_delay_alu instid0(VALU_DEP_1) | instskip(NEXT) | instid1(VALU_DEP_1)
	v_fma_f32 v30, v29, v30, 1.0
	v_rcp_f32_e32 v30, v30
	v_nop
	s_delay_alu instid0(TRANS32_DEP_1) | instskip(NEXT) | instid1(VALU_DEP_1)
	v_mul_f32_e32 v30, v31, v30
	v_fmac_f32_e32 v30, -0.5, v29
	s_delay_alu instid0(VALU_DEP_1)
	v_add_f32_e32 v27, v27, v30
.LBB14_32:                              ;   in Loop: Header=BB14_4 Depth=1
	s_or_b32 exec_lo, exec_lo, s10
                                        ; implicit-def: $vgpr29
.LBB14_33:                              ;   in Loop: Header=BB14_4 Depth=1
	s_and_not1_saveexec_b32 s5, s9
	s_cbranch_execz .LBB14_35
; %bb.34:                               ;   in Loop: Header=BB14_4 Depth=1
	v_mul_f32_e32 v30, v29, v29
	s_delay_alu instid0(VALU_DEP_1) | instskip(NEXT) | instid1(VALU_DEP_1)
	v_mul_f32_e32 v31, v29, v30
	v_fmaak_f32 v32, s31, v31, 0x3a66f867
	v_fmaak_f32 v33, s33, v31, 0xba0d3085
	s_delay_alu instid0(VALU_DEP_2) | instskip(NEXT) | instid1(VALU_DEP_2)
	v_fmaak_f32 v32, v31, v32, 0xbb7177fe
	v_fmaak_f32 v33, v31, v33, 0x3b141699
	s_delay_alu instid0(VALU_DEP_2) | instskip(NEXT) | instid1(VALU_DEP_2)
	;; [unrolled: 3-line block ×3, first 2 shown]
	v_fmaak_f32 v32, v31, v32, 0xbe17213c
	v_fmaak_f32 v33, v31, v33, 0x3d845a15
	s_delay_alu instid0(VALU_DEP_1) | instskip(SKIP_1) | instid1(VALU_DEP_1)
	v_fmac_f32_e32 v32, v29, v33
	v_fmaak_f32 v34, s30, v31, 0xbab7f476
	v_fmaak_f32 v34, v31, v34, 0x3bc7e707
	s_delay_alu instid0(VALU_DEP_1) | instskip(NEXT) | instid1(VALU_DEP_1)
	v_fmaak_f32 v34, v31, v34, 0xbd064d47
	v_fmaak_f32 v29, v31, v34, 0x3ef7b95e
	v_fma_f32 v31, v31, -v32, 0xa2863e55
	s_delay_alu instid0(VALU_DEP_1) | instskip(NEXT) | instid1(VALU_DEP_1)
	v_fma_f32 v29, v30, v29, -v31
	v_add_f32_e32 v29, 0xbdf8cdce, v29
	s_delay_alu instid0(VALU_DEP_1)
	v_add_f32_e32 v27, v27, v29
.LBB14_35:                              ;   in Loop: Header=BB14_4 Depth=1
	s_or_b32 exec_lo, exec_lo, s5
                                        ; implicit-def: $vgpr30
                                        ; implicit-def: $vgpr29
.LBB14_36:                              ;   in Loop: Header=BB14_4 Depth=1
	s_and_not1_saveexec_b32 s6, s6
	s_cbranch_execz .LBB14_40
; %bb.37:                               ;   in Loop: Header=BB14_4 Depth=1
	s_mov_b32 s9, exec_lo
	v_cmpx_eq_u32_e32 0, v30
	s_cbranch_execz .LBB14_39
; %bb.38:                               ;   in Loop: Header=BB14_4 Depth=1
	v_mul_f32_e32 v30, v29, v29
	s_delay_alu instid0(VALU_DEP_1) | instskip(NEXT) | instid1(VALU_DEP_1)
	v_fmaak_f32 v32, s34, v30, 0x39679767
	v_fmaak_f32 v32, v30, v32, 0x3a9c54a1
	s_delay_alu instid0(VALU_DEP_1) | instskip(NEXT) | instid1(VALU_DEP_1)
	v_fmaak_f32 v32, v30, v32, 0x3bf2027e
	v_fmaak_f32 v32, v30, v32, 0x3d89f001
	s_delay_alu instid0(VALU_DEP_1) | instskip(SKIP_1) | instid1(VALU_DEP_1)
	v_fmaak_f32 v32, v30, v32, 0x3d9e233f
	v_fmaak_f32 v31, s35, v30, 0x38e28445
	;; [unrolled: 1-line block ×3, first 2 shown]
	s_delay_alu instid0(VALU_DEP_1) | instskip(NEXT) | instid1(VALU_DEP_1)
	v_fmaak_f32 v31, v30, v31, 0x3b3d6ec6
	v_fmaak_f32 v31, v30, v31, 0x3ca89915
	s_delay_alu instid0(VALU_DEP_1) | instskip(NEXT) | instid1(VALU_DEP_1)
	v_fmaak_f32 v31, v30, v31, 0x3ea51a66
	v_mul_f32_e32 v30, v30, v31
	s_delay_alu instid0(VALU_DEP_1) | instskip(NEXT) | instid1(VALU_DEP_1)
	v_fmac_f32_e32 v30, v29, v32
	v_fmac_f32_e32 v30, -0.5, v29
	s_delay_alu instid0(VALU_DEP_1)
	v_add_f32_e32 v27, v27, v30
.LBB14_39:                              ;   in Loop: Header=BB14_4 Depth=1
	s_or_b32 exec_lo, exec_lo, s9
.LBB14_40:                              ;   in Loop: Header=BB14_4 Depth=1
	s_delay_alu instid0(SALU_CYCLE_1)
	s_or_b32 exec_lo, exec_lo, s6
.LBB14_41:                              ;   in Loop: Header=BB14_4 Depth=1
	s_delay_alu instid0(SALU_CYCLE_1)
	s_or_b32 exec_lo, exec_lo, s8
.LBB14_42:                              ;   in Loop: Header=BB14_4 Depth=1
	s_and_not1_saveexec_b32 s6, s7
	s_cbranch_execz .LBB14_44
; %bb.43:                               ;   in Loop: Header=BB14_4 Depth=1
	v_cmp_gt_f32_e64 s7, 0x800000, |v26|
	v_fma_f32 v31, |v26|, s36, 0xbecd26ab
	s_delay_alu instid0(VALU_DEP_2) | instskip(NEXT) | instid1(VALU_DEP_1)
	v_cndmask_b32_e64 v27, 0, 32, s7
	v_ldexp_f32 v27, |v26|, v27
	s_delay_alu instid0(VALU_DEP_1) | instskip(SKIP_1) | instid1(TRANS32_DEP_1)
	v_log_f32_e32 v27, v27
	v_nop
	v_mul_f32_e32 v29, 0x3f317217, v27
	v_cmp_gt_f32_e64 s5, 0x7f800000, |v27|
	s_delay_alu instid0(VALU_DEP_2) | instskip(NEXT) | instid1(VALU_DEP_1)
	v_fma_f32 v30, 0x3f317217, v27, -v29
	v_fmac_f32_e32 v30, 0x3377d1cf, v27
	s_delay_alu instid0(VALU_DEP_1) | instskip(SKIP_1) | instid1(VALU_DEP_2)
	v_add_f32_e32 v29, v29, v30
	v_fma_f32 v30, |v26|, v31, 0x3f528d33
	v_cndmask_b32_e64 v27, v27, v29, s5
	v_cndmask_b32_e64 v29, 0, 0x41b17218, s7
	s_delay_alu instid0(VALU_DEP_3) | instskip(NEXT) | instid1(VALU_DEP_2)
	v_fma_f32 v30, |v26|, v30, 0xbf13c468
	v_sub_f32_e32 v27, v27, v29
	s_delay_alu instid0(VALU_DEP_1)
	v_fma_f32 v27, |v26|, v30, -v27
.LBB14_44:                              ;   in Loop: Header=BB14_4 Depth=1
	s_or_b32 exec_lo, exec_lo, s6
	v_cmp_le_f16_e64 s5, 0, v25
	s_mov_b32 s7, exec_lo
	v_cmpx_nle_f16_e32 0, v25
	s_xor_b32 s8, exec_lo, s7
	s_cbranch_execz .LBB14_48
; %bb.45:                               ;   in Loop: Header=BB14_4 Depth=1
	v_cmp_gt_f32_e64 s6, 0x4b000000, |v26|
	v_cmp_lt_f32_e64 s7, 0x35000000, |v26|
	s_and_b32 s6, s6, s7
	s_delay_alu instid0(SALU_CYCLE_1)
	s_and_saveexec_b32 s9, s6
	s_cbranch_execz .LBB14_47
; %bb.46:                               ;   in Loop: Header=BB14_4 Depth=1
	v_mul_f32_e64 v29, |v26|, 0.5
	v_xor_b32_e32 v28, v28, v26
	s_delay_alu instid0(VALU_DEP_2) | instskip(SKIP_1) | instid1(VALU_DEP_2)
	v_floor_f32_e32 v30, v29
	v_cmp_neq_f32_e64 s6, 0x7f800000, v29
	v_sub_f32_e32 v30, v29, v30
	s_delay_alu instid0(VALU_DEP_1) | instskip(NEXT) | instid1(VALU_DEP_1)
	v_min_num_f32_e32 v30, 0x3f7fffff, v30
	v_add_f32_e32 v30, v30, v30
	s_delay_alu instid0(VALU_DEP_1) | instskip(SKIP_1) | instid1(VALU_DEP_1)
	v_cndmask_b32_e64 v29, 0, v30, s6
	v_cmp_gt_f32_e64 s6, |v26|, 1.0
	v_cndmask_b32_e64 v29, |v26|, v29, s6
	s_delay_alu instid0(VALU_DEP_1) | instskip(NEXT) | instid1(VALU_DEP_1)
	v_add_f32_e32 v30, v29, v29
	v_rndne_f32_e32 v30, v30
	s_delay_alu instid0(VALU_DEP_1) | instskip(SKIP_1) | instid1(VALU_DEP_2)
	v_fmac_f32_e32 v29, -0.5, v30
	v_cvt_i32_f32_e32 v30, v30
	v_mul_f32_e32 v31, v29, v29
	s_delay_alu instid0(VALU_DEP_1) | instskip(SKIP_1) | instid1(VALU_DEP_2)
	v_fmaak_f32 v32, s37, v31, 0xbf1f24be
	v_dual_fmaak_f32 v33, s38, v31, 0x3e642e9d :: v_dual_mul_f32 v34, v29, v31
	v_fmaak_f32 v32, v31, v32, 0x40234736
	s_delay_alu instid0(VALU_DEP_2) | instskip(NEXT) | instid1(VALU_DEP_2)
	v_fmaak_f32 v33, v31, v33, 0xbfaad1da
	v_fmaak_f32 v32, v31, v32, 0xc0a55e0e
	s_delay_alu instid0(VALU_DEP_1) | instskip(NEXT) | instid1(VALU_DEP_1)
	v_mul_f32_e32 v32, v34, v32
	v_fmac_f32_e32 v32, 0x40490fdb, v29
	v_dual_lshlrev_b32 v30, 30, v30 :: v_dual_bitop2_b32 v34, 1, v30 bitop3:0x40
	v_fmaak_f32 v33, v31, v33, 0x4081e0d3
	s_delay_alu instid0(VALU_DEP_2) | instskip(NEXT) | instid1(VALU_DEP_3)
	v_cmp_eq_u32_e64 s6, 0, v34
	v_and_b32_e32 v30, 0x80000000, v30
	s_delay_alu instid0(VALU_DEP_3) | instskip(NEXT) | instid1(VALU_DEP_1)
	v_fmaak_f32 v33, v31, v33, 0xc09de9e6
	v_fma_f32 v29, v31, v33, 1.0
	s_delay_alu instid0(VALU_DEP_1) | instskip(NEXT) | instid1(VALU_DEP_1)
	v_cndmask_b32_e64 v29, v29, v32, s6
	v_xor3_b32 v28, v28, v30, v29
	s_delay_alu instid0(VALU_DEP_1) | instskip(NEXT) | instid1(VALU_DEP_1)
	v_mul_f32_e32 v28, v26, v28
	v_frexp_mant_f32_e64 v29, |v28|
	v_frexp_exp_i32_f32_e32 v28, v28
	s_delay_alu instid0(VALU_DEP_2) | instskip(SKIP_1) | instid1(TRANS32_DEP_1)
	v_rcp_f32_e32 v29, v29
	v_nop
	v_dual_mul_f32 v29, 0x3f490fdb, v29 :: v_dual_sub_nc_u32 v28, 2, v28
	s_delay_alu instid0(VALU_DEP_1) | instskip(NEXT) | instid1(VALU_DEP_1)
	v_ldexp_f32 v28, v29, v28
	v_cmp_gt_f32_e64 s6, 0x800000, v28
	s_delay_alu instid0(VALU_DEP_1) | instskip(NEXT) | instid1(VALU_DEP_1)
	v_cndmask_b32_e64 v29, 0, 32, s6
	v_ldexp_f32 v28, v28, v29
	s_delay_alu instid0(VALU_DEP_1) | instskip(SKIP_1) | instid1(TRANS32_DEP_1)
	v_log_f32_e32 v28, v28
	v_nop
	v_mul_f32_e32 v29, 0x3f317217, v28
	v_cmp_gt_f32_e64 s7, 0x7f800000, |v28|
	s_delay_alu instid0(VALU_DEP_2) | instskip(NEXT) | instid1(VALU_DEP_1)
	v_fma_f32 v30, 0x3f317217, v28, -v29
	v_fmac_f32_e32 v30, 0x3377d1cf, v28
	s_delay_alu instid0(VALU_DEP_1) | instskip(SKIP_1) | instid1(VALU_DEP_2)
	v_add_f32_e32 v29, v29, v30
	v_floor_f32_e32 v30, v26
	v_cndmask_b32_e64 v28, v28, v29, s7
	v_cndmask_b32_e64 v29, 0, 0x41b17218, s6
	s_delay_alu instid0(VALU_DEP_1) | instskip(NEXT) | instid1(VALU_DEP_1)
	v_dual_sub_f32 v30, v26, v30 :: v_dual_sub_f32 v28, v28, v29
	v_min_num_f32_e32 v29, 0x3f7fffff, v30
	s_delay_alu instid0(VALU_DEP_2) | instskip(NEXT) | instid1(VALU_DEP_2)
	v_sub_f32_e32 v27, v28, v27
	v_cmp_neq_f32_e64 s6, 0, v29
	s_delay_alu instid0(VALU_DEP_1)
	v_cndmask_b32_e64 v27, 0x7f800000, v27, s6
.LBB14_47:                              ;   in Loop: Header=BB14_4 Depth=1
	s_or_b32 exec_lo, exec_lo, s9
.LBB14_48:                              ;   in Loop: Header=BB14_4 Depth=1
	s_and_not1_saveexec_b32 s8, s8
; %bb.49:                               ;   in Loop: Header=BB14_4 Depth=1
	v_cmp_eq_f16_e64 s6, 1.0, v25
	v_cmp_eq_f16_e64 s7, 2.0, v25
	s_or_b32 s6, s6, s7
	s_delay_alu instid0(SALU_CYCLE_1)
	v_cndmask_b32_e64 v27, v27, 0, s6
; %bb.50:                               ;   in Loop: Header=BB14_4 Depth=1
	s_or_b32 exec_lo, exec_lo, s8
	v_cvt_f32_f16_e32 v28, v24
                                        ; implicit-def: $vgpr29
	s_mov_b32 s7, exec_lo
	s_delay_alu instid0(VALU_DEP_1)
	v_and_b32_e32 v30, 0x7fffffff, v28
	v_cmpx_ngt_f32_e64 0x3c800000, |v28|
	s_xor_b32 s8, exec_lo, s7
	s_cbranch_execz .LBB14_80
; %bb.51:                               ;   in Loop: Header=BB14_4 Depth=1
                                        ; implicit-def: $vgpr29
	s_mov_b32 s7, exec_lo
	v_cmpx_nlt_f32_e64 |v28|, 2.0
	s_xor_b32 s9, exec_lo, s7
	s_cbranch_execz .LBB14_61
; %bb.52:                               ;   in Loop: Header=BB14_4 Depth=1
	s_mov_b32 s7, exec_lo
                                        ; implicit-def: $vgpr29
	v_cmpx_ngt_f32_e64 0x41000000, |v28|
	s_xor_b32 s7, exec_lo, s7
	s_cbranch_execz .LBB14_58
; %bb.53:                               ;   in Loop: Header=BB14_4 Depth=1
	s_mov_b32 s10, exec_lo
                                        ; implicit-def: $vgpr29
	v_cmpx_ngt_f32_e64 0x5c800000, |v28|
	s_xor_b32 s10, exec_lo, s10
	s_cbranch_execz .LBB14_55
; %bb.54:                               ;   in Loop: Header=BB14_4 Depth=1
	v_cmp_gt_f32_e64 s39, 0x800000, |v28|
	s_delay_alu instid0(VALU_DEP_1) | instskip(NEXT) | instid1(VALU_DEP_1)
	v_cndmask_b32_e64 v29, 0, 32, s39
	v_ldexp_f32 v29, |v28|, v29
	s_delay_alu instid0(VALU_DEP_1) | instskip(SKIP_1) | instid1(TRANS32_DEP_1)
	v_log_f32_e32 v29, v29
	v_nop
	v_mul_f32_e32 v31, 0x3f317217, v29
	v_cmp_gt_f32_e64 s6, 0x7f800000, |v29|
	s_delay_alu instid0(VALU_DEP_2) | instskip(NEXT) | instid1(VALU_DEP_1)
	v_fma_f32 v32, 0x3f317217, v29, -v31
	v_fmac_f32_e32 v32, 0x3377d1cf, v29
	s_delay_alu instid0(VALU_DEP_1) | instskip(NEXT) | instid1(VALU_DEP_1)
	v_add_f32_e32 v31, v31, v32
	v_cndmask_b32_e64 v29, v29, v31, s6
	v_cndmask_b32_e64 v31, 0, 0x41b17218, s39
	s_delay_alu instid0(VALU_DEP_1) | instskip(NEXT) | instid1(VALU_DEP_1)
	v_sub_f32_e32 v29, v29, v31
	v_fma_f32 v29, |v28|, v29, -|v28|
.LBB14_55:                              ;   in Loop: Header=BB14_4 Depth=1
	s_and_not1_saveexec_b32 s10, s10
	s_cbranch_execz .LBB14_57
; %bb.56:                               ;   in Loop: Header=BB14_4 Depth=1
	v_cmp_gt_f32_e64 s39, 0x800000, |v28|
	v_rcp_f32_e64 v31, |v28|
	s_delay_alu instid0(VALU_DEP_1) | instskip(NEXT) | instid1(VALU_DEP_1)
	v_cndmask_b32_e64 v29, 0, 32, s39
	v_ldexp_f32 v29, |v28|, v29
	s_delay_alu instid0(VALU_DEP_1) | instskip(SKIP_1) | instid1(TRANS32_DEP_1)
	v_log_f32_e32 v29, v29
	v_nop
	v_dual_mul_f32 v32, v31, v31 :: v_dual_mul_f32 v33, 0x3f317217, v29
	v_cmp_gt_f32_e64 s6, 0x7f800000, |v29|
	s_delay_alu instid0(VALU_DEP_2) | instskip(NEXT) | instid1(VALU_DEP_1)
	v_fma_f32 v35, 0x3f317217, v29, -v33
	v_fmac_f32_e32 v35, 0x3377d1cf, v29
	s_delay_alu instid0(VALU_DEP_1) | instskip(NEXT) | instid1(VALU_DEP_1)
	v_dual_fmaak_f32 v34, s11, v32, 0x3a5b3dd2 :: v_dual_add_f32 v33, v33, v35
	v_cndmask_b32_e64 v29, v29, v33, s6
	v_cndmask_b32_e64 v33, 0, 0x41b17218, s39
	s_delay_alu instid0(VALU_DEP_1) | instskip(NEXT) | instid1(VALU_DEP_1)
	v_dual_fmaak_f32 v34, v32, v34, 0xba1c065c :: v_dual_sub_f32 v33, v29, v33
	v_fmaak_f32 v34, v32, v34, 0x3a500cfd
	s_delay_alu instid0(VALU_DEP_1) | instskip(NEXT) | instid1(VALU_DEP_1)
	v_fmaak_f32 v34, v32, v34, 0xbb360b61
	v_fmaak_f32 v32, v32, v34, 0x3daaaaab
	s_delay_alu instid0(VALU_DEP_1) | instskip(SKIP_2) | instid1(VALU_DEP_1)
	v_fmaak_f32 v29, v31, v32, 0x3ed67f1d
	v_add_f32_e64 v31, |v28|, -0.5
	v_add_f32_e32 v32, -1.0, v33
	v_fmac_f32_e32 v29, v31, v32
.LBB14_57:                              ;   in Loop: Header=BB14_4 Depth=1
	s_or_b32 exec_lo, exec_lo, s10
.LBB14_58:                              ;   in Loop: Header=BB14_4 Depth=1
	s_and_not1_saveexec_b32 s10, s7
	s_cbranch_execz .LBB14_60
; %bb.59:                               ;   in Loop: Header=BB14_4 Depth=1
	v_cvt_i32_f32_e32 v29, v30
	s_delay_alu instid0(VALU_DEP_1) | instskip(SKIP_1) | instid1(VALU_DEP_2)
	v_cvt_f32_i32_e32 v31, v29
	v_cmp_lt_i32_e64 s6, 3, v29
	v_sub_f32_e64 v32, |v28|, v31
	s_delay_alu instid0(VALU_DEP_1) | instskip(NEXT) | instid1(VALU_DEP_1)
	v_pk_add_f32 v[34:35], v[32:33], v[16:17] op_sel_hi:[0,1]
	v_dual_add_f32 v31, 4.0, v32 :: v_dual_cndmask_b32 v33, 1.0, v35, s6
	v_cmp_lt_i32_e64 s6, 2, v29
	v_add_f32_e32 v35, 0x40a00000, v32
	s_delay_alu instid0(VALU_DEP_2) | instskip(SKIP_1) | instid1(VALU_DEP_1)
	v_cndmask_b32_e64 v34, 1.0, v34, s6
	v_cmp_lt_i32_e64 s6, 4, v29
	v_dual_cndmask_b32 v31, 1.0, v31, s6 :: v_dual_mul_f32 v33, v34, v33
	v_add_f32_e32 v34, 0x40c00000, v32
	v_cmp_lt_i32_e64 s6, 5, v29
	s_delay_alu instid0(VALU_DEP_1) | instskip(SKIP_1) | instid1(VALU_DEP_1)
	v_dual_mul_f32 v31, v31, v33 :: v_dual_cndmask_b32 v35, 1.0, v35, s6
	v_cmp_lt_i32_e64 s6, 6, v29
	v_dual_mul_f32 v31, v35, v31 :: v_dual_cndmask_b32 v29, 1.0, v34, s6
	s_delay_alu instid0(VALU_DEP_1) | instskip(NEXT) | instid1(VALU_DEP_1)
	v_dual_fmaak_f32 v34, s26, v32, 0x3af135b4 :: v_dual_mul_f32 v29, v29, v31
	v_cmp_gt_f32_e64 s6, 0x800000, v29
	s_delay_alu instid0(VALU_DEP_1) | instskip(NEXT) | instid1(VALU_DEP_1)
	v_cndmask_b32_e64 v33, 0, 32, s6
	v_ldexp_f32 v29, v29, v33
	s_delay_alu instid0(VALU_DEP_4) | instskip(NEXT) | instid1(VALU_DEP_2)
	v_fmaak_f32 v33, v32, v34, 0x3cda40e4
	v_log_f32_e32 v29, v29
	s_delay_alu instid0(VALU_DEP_1) | instskip(NEXT) | instid1(VALU_DEP_1)
	v_fmaak_f32 v33, v32, v33, 0x3e15dce6
	v_fmaak_f32 v33, v32, v33, 0x3ea6cc7a
	s_delay_alu instid0(TRANS32_DEP_1) | instskip(NEXT) | instid1(VALU_DEP_2)
	v_cmp_gt_f32_e64 s7, 0x7f800000, |v29|
	v_fmaak_f32 v33, v32, v33, 0x3e5c245a
	s_delay_alu instid0(VALU_DEP_1) | instskip(NEXT) | instid1(VALU_DEP_1)
	v_fmaak_f32 v33, v32, v33, 0xbd9e233f
	v_mul_f32_e32 v33, v32, v33
	v_mul_f32_e32 v34, 0x3f317217, v29
	s_delay_alu instid0(VALU_DEP_1) | instskip(NEXT) | instid1(VALU_DEP_1)
	v_fma_f32 v35, 0x3f317217, v29, -v34
	v_fmac_f32_e32 v35, 0x3377d1cf, v29
	s_delay_alu instid0(VALU_DEP_1) | instskip(NEXT) | instid1(VALU_DEP_1)
	v_dual_fmaak_f32 v31, s27, v32, 0x3a4beed6 :: v_dual_add_f32 v34, v34, v35
	v_fmaak_f32 v31, v32, v31, 0x3c98bf54
	s_delay_alu instid0(VALU_DEP_2) | instskip(NEXT) | instid1(VALU_DEP_2)
	v_cndmask_b32_e64 v29, v29, v34, s7
	v_fmaak_f32 v31, v32, v31, 0x3e300f6e
	s_delay_alu instid0(VALU_DEP_1) | instskip(NEXT) | instid1(VALU_DEP_1)
	v_fmaak_f32 v31, v32, v31, 0x3f38d0c5
	v_fmaak_f32 v31, v32, v31, 0x3fb22d3b
	s_delay_alu instid0(VALU_DEP_1) | instskip(NEXT) | instid1(VALU_DEP_1)
	v_fma_f32 v31, v32, v31, 1.0
	v_rcp_f32_e32 v31, v31
	v_nop
	s_delay_alu instid0(TRANS32_DEP_1) | instskip(SKIP_1) | instid1(VALU_DEP_1)
	v_mul_f32_e32 v31, v33, v31
	v_cndmask_b32_e64 v33, 0, 0x41b17218, s6
	v_dual_fmac_f32 v31, 0.5, v32 :: v_dual_sub_f32 v29, v29, v33
	s_delay_alu instid0(VALU_DEP_1)
	v_add_f32_e32 v29, v29, v31
.LBB14_60:                              ;   in Loop: Header=BB14_4 Depth=1
	s_or_b32 exec_lo, exec_lo, s10
.LBB14_61:                              ;   in Loop: Header=BB14_4 Depth=1
	s_and_not1_saveexec_b32 s9, s9
	s_cbranch_execz .LBB14_79
; %bb.62:                               ;   in Loop: Header=BB14_4 Depth=1
                                        ; implicit-def: $vgpr29
                                        ; implicit-def: $vgpr32
                                        ; implicit-def: $vgpr31
	s_mov_b32 s7, exec_lo
	v_cmpx_ge_f32_e64 0x3f666666, |v28|
	s_xor_b32 s10, exec_lo, s7
	s_cbranch_execz .LBB14_64
; %bb.63:                               ;   in Loop: Header=BB14_4 Depth=1
	v_cmp_gt_f32_e64 s7, 0x800000, |v28|
	v_sub_f32_e64 v33, 1.0, |v28|
	v_cmp_gt_f32_e64 s6, 0x3f3b4a23, |v28|
	s_delay_alu instid0(VALU_DEP_3) | instskip(SKIP_1) | instid1(VALU_DEP_2)
	v_cndmask_b32_e64 v29, 0, 32, s7
	v_cndmask_b32_e64 v34, 0, 0x41b17218, s7
	v_ldexp_f32 v29, |v28|, v29
	s_delay_alu instid0(VALU_DEP_1) | instskip(SKIP_1) | instid1(TRANS32_DEP_1)
	v_log_f32_e32 v29, v29
	v_nop
	v_mul_f32_e32 v31, 0x3f317217, v29
	v_cmp_gt_f32_e64 s7, 0x7f800000, |v29|
	s_delay_alu instid0(VALU_DEP_2) | instskip(NEXT) | instid1(VALU_DEP_1)
	v_fma_f32 v32, 0x3f317217, v29, -v31
	v_fmac_f32_e32 v32, 0x3377d1cf, v29
	s_delay_alu instid0(VALU_DEP_1) | instskip(SKIP_1) | instid1(VALU_DEP_2)
	v_add_f32_e32 v31, v31, v32
	v_add_f32_e64 v32, 0xbeec5b0c, |v28|
	v_cndmask_b32_e64 v29, v29, v31, s7
	s_delay_alu instid0(VALU_DEP_2) | instskip(SKIP_2) | instid1(VALU_DEP_4)
	v_cndmask_b32_e64 v31, v33, v32, s6
	v_cndmask_b32_e64 v32, 0, 1, s6
	v_cmp_gt_f32_e64 s6, 0x3e6d3309, |v28|
	v_sub_f32_e32 v29, v29, v34
	s_delay_alu instid0(VALU_DEP_2) | instskip(NEXT) | instid1(VALU_DEP_4)
	v_cndmask_b32_e64 v31, v31, |v28|, s6
	v_cndmask_b32_e64 v32, v32, 2, s6
	s_delay_alu instid0(VALU_DEP_3)
	v_xor_b32_e32 v29, 0x80000000, v29
.LBB14_64:                              ;   in Loop: Header=BB14_4 Depth=1
	s_and_not1_saveexec_b32 s7, s10
	s_cbranch_execz .LBB14_66
; %bb.65:                               ;   in Loop: Header=BB14_4 Depth=1
	v_sub_f32_e64 v29, 2.0, |v28|
	v_add_f32_e64 v31, 0xbfbb16c3, |v28|
	v_cmp_gt_f32_e64 s6, 0x3fdda512, |v28|
	v_add_f32_e64 v32, |v28|, -1.0
	s_delay_alu instid0(VALU_DEP_2) | instskip(SKIP_2) | instid1(VALU_DEP_2)
	v_cndmask_b32_e64 v31, v29, v31, s6
	v_cndmask_b32_e64 v29, v29, 1.0, s6
	v_cmp_gt_f32_e64 s6, 0x3f9d70a4, |v28|
	v_cvt_i32_f32_e32 v29, v29
	s_delay_alu instid0(VALU_DEP_2) | instskip(NEXT) | instid1(VALU_DEP_2)
	v_cndmask_b32_e64 v31, v31, v32, s6
	v_cndmask_b32_e64 v32, v29, 2, s6
	v_mov_b32_e32 v29, 0
.LBB14_66:                              ;   in Loop: Header=BB14_4 Depth=1
	s_or_b32 exec_lo, exec_lo, s7
	s_delay_alu instid0(SALU_CYCLE_1) | instskip(NEXT) | instid1(VALU_DEP_2)
	s_mov_b32 s7, exec_lo
	v_cmpx_lt_i32_e32 0, v32
	s_xor_b32 s7, exec_lo, s7
	s_cbranch_execz .LBB14_74
; %bb.67:                               ;   in Loop: Header=BB14_4 Depth=1
	s_mov_b32 s10, exec_lo
	v_cmpx_lt_i32_e32 1, v32
	s_xor_b32 s10, exec_lo, s10
	s_cbranch_execz .LBB14_71
; %bb.68:                               ;   in Loop: Header=BB14_4 Depth=1
	s_mov_b32 s39, exec_lo
	v_cmpx_eq_u32_e32 2, v32
	s_cbranch_execz .LBB14_70
; %bb.69:                               ;   in Loop: Header=BB14_4 Depth=1
	v_fmaak_f32 v33, s28, v31, 0x3e6a7578
	s_delay_alu instid0(VALU_DEP_1) | instskip(NEXT) | instid1(VALU_DEP_1)
	v_fmaak_f32 v33, v31, v33, 0x3f7a4bb2
	v_fmaak_f32 v33, v31, v33, 0x3fba3ae7
	s_delay_alu instid0(VALU_DEP_1) | instskip(NEXT) | instid1(VALU_DEP_1)
	v_fmaak_f32 v33, v31, v33, 0x3f2200f4
	v_fmaak_f32 v33, v31, v33, 0xbd9e233f
	s_delay_alu instid0(VALU_DEP_1) | instskip(NEXT) | instid1(VALU_DEP_1)
	v_dual_fmaak_f32 v32, s29, v31, 0x3dd572af :: v_dual_mul_f32 v33, v31, v33
	v_fmaak_f32 v32, v31, v32, 0x3f44efdf
	s_delay_alu instid0(VALU_DEP_1) | instskip(NEXT) | instid1(VALU_DEP_1)
	v_fmaak_f32 v32, v31, v32, 0x4008392d
	v_fmaak_f32 v32, v31, v32, 0x401d2ebe
	s_delay_alu instid0(VALU_DEP_1) | instskip(NEXT) | instid1(VALU_DEP_1)
	v_fma_f32 v32, v31, v32, 1.0
	v_rcp_f32_e32 v32, v32
	v_nop
	s_delay_alu instid0(TRANS32_DEP_1) | instskip(NEXT) | instid1(VALU_DEP_1)
	v_mul_f32_e32 v32, v33, v32
	v_fmac_f32_e32 v32, -0.5, v31
	s_delay_alu instid0(VALU_DEP_1)
	v_add_f32_e32 v29, v29, v32
.LBB14_70:                              ;   in Loop: Header=BB14_4 Depth=1
	s_or_b32 exec_lo, exec_lo, s39
                                        ; implicit-def: $vgpr31
.LBB14_71:                              ;   in Loop: Header=BB14_4 Depth=1
	s_and_not1_saveexec_b32 s6, s10
	s_cbranch_execz .LBB14_73
; %bb.72:                               ;   in Loop: Header=BB14_4 Depth=1
	v_mul_f32_e32 v32, v31, v31
	s_delay_alu instid0(VALU_DEP_1) | instskip(NEXT) | instid1(VALU_DEP_1)
	v_mul_f32_e32 v33, v31, v32
	v_fmaak_f32 v34, s31, v33, 0x3a66f867
	v_fmaak_f32 v35, s33, v33, 0xba0d3085
	s_delay_alu instid0(VALU_DEP_2) | instskip(NEXT) | instid1(VALU_DEP_2)
	v_fmaak_f32 v34, v33, v34, 0xbb7177fe
	v_fmaak_f32 v35, v33, v35, 0x3b141699
	s_delay_alu instid0(VALU_DEP_2) | instskip(NEXT) | instid1(VALU_DEP_2)
	;; [unrolled: 3-line block ×3, first 2 shown]
	v_fmaak_f32 v34, v33, v34, 0xbe17213c
	v_fmaak_f32 v35, v33, v35, 0x3d845a15
	s_delay_alu instid0(VALU_DEP_1) | instskip(SKIP_1) | instid1(VALU_DEP_1)
	v_fmac_f32_e32 v34, v31, v35
	v_fmaak_f32 v36, s30, v33, 0xbab7f476
	v_fmaak_f32 v36, v33, v36, 0x3bc7e707
	s_delay_alu instid0(VALU_DEP_1) | instskip(NEXT) | instid1(VALU_DEP_1)
	v_fmaak_f32 v36, v33, v36, 0xbd064d47
	v_fmaak_f32 v31, v33, v36, 0x3ef7b95e
	v_fma_f32 v33, v33, -v34, 0xa2863e55
	s_delay_alu instid0(VALU_DEP_1) | instskip(NEXT) | instid1(VALU_DEP_1)
	v_fma_f32 v31, v32, v31, -v33
	v_add_f32_e32 v31, 0xbdf8cdce, v31
	s_delay_alu instid0(VALU_DEP_1)
	v_add_f32_e32 v29, v29, v31
.LBB14_73:                              ;   in Loop: Header=BB14_4 Depth=1
	s_or_b32 exec_lo, exec_lo, s6
                                        ; implicit-def: $vgpr32
                                        ; implicit-def: $vgpr31
.LBB14_74:                              ;   in Loop: Header=BB14_4 Depth=1
	s_and_not1_saveexec_b32 s7, s7
	s_cbranch_execz .LBB14_78
; %bb.75:                               ;   in Loop: Header=BB14_4 Depth=1
	s_mov_b32 s10, exec_lo
	v_cmpx_eq_u32_e32 0, v32
	s_cbranch_execz .LBB14_77
; %bb.76:                               ;   in Loop: Header=BB14_4 Depth=1
	v_mul_f32_e32 v32, v31, v31
	s_delay_alu instid0(VALU_DEP_1) | instskip(NEXT) | instid1(VALU_DEP_1)
	v_fmaak_f32 v34, s34, v32, 0x39679767
	v_fmaak_f32 v34, v32, v34, 0x3a9c54a1
	s_delay_alu instid0(VALU_DEP_1) | instskip(NEXT) | instid1(VALU_DEP_1)
	v_fmaak_f32 v34, v32, v34, 0x3bf2027e
	v_fmaak_f32 v34, v32, v34, 0x3d89f001
	s_delay_alu instid0(VALU_DEP_1) | instskip(SKIP_1) | instid1(VALU_DEP_1)
	v_fmaak_f32 v34, v32, v34, 0x3d9e233f
	v_fmaak_f32 v33, s35, v32, 0x38e28445
	;; [unrolled: 1-line block ×3, first 2 shown]
	s_delay_alu instid0(VALU_DEP_1) | instskip(NEXT) | instid1(VALU_DEP_1)
	v_fmaak_f32 v33, v32, v33, 0x3b3d6ec6
	v_fmaak_f32 v33, v32, v33, 0x3ca89915
	s_delay_alu instid0(VALU_DEP_1) | instskip(NEXT) | instid1(VALU_DEP_1)
	v_fmaak_f32 v33, v32, v33, 0x3ea51a66
	v_mul_f32_e32 v32, v32, v33
	s_delay_alu instid0(VALU_DEP_1) | instskip(NEXT) | instid1(VALU_DEP_1)
	v_fmac_f32_e32 v32, v31, v34
	v_fmac_f32_e32 v32, -0.5, v31
	s_delay_alu instid0(VALU_DEP_1)
	v_add_f32_e32 v29, v29, v32
.LBB14_77:                              ;   in Loop: Header=BB14_4 Depth=1
	s_or_b32 exec_lo, exec_lo, s10
.LBB14_78:                              ;   in Loop: Header=BB14_4 Depth=1
	s_delay_alu instid0(SALU_CYCLE_1)
	s_or_b32 exec_lo, exec_lo, s7
.LBB14_79:                              ;   in Loop: Header=BB14_4 Depth=1
	s_delay_alu instid0(SALU_CYCLE_1)
	s_or_b32 exec_lo, exec_lo, s9
.LBB14_80:                              ;   in Loop: Header=BB14_4 Depth=1
	s_and_not1_saveexec_b32 s7, s8
	s_cbranch_execz .LBB14_82
; %bb.81:                               ;   in Loop: Header=BB14_4 Depth=1
	v_cmp_gt_f32_e64 s8, 0x800000, |v28|
	v_fma_f32 v33, |v28|, s36, 0xbecd26ab
	s_delay_alu instid0(VALU_DEP_2) | instskip(NEXT) | instid1(VALU_DEP_1)
	v_cndmask_b32_e64 v29, 0, 32, s8
	v_ldexp_f32 v29, |v28|, v29
	s_delay_alu instid0(VALU_DEP_1) | instskip(SKIP_1) | instid1(TRANS32_DEP_1)
	v_log_f32_e32 v29, v29
	v_nop
	v_mul_f32_e32 v31, 0x3f317217, v29
	v_cmp_gt_f32_e64 s6, 0x7f800000, |v29|
	s_delay_alu instid0(VALU_DEP_2) | instskip(NEXT) | instid1(VALU_DEP_1)
	v_fma_f32 v32, 0x3f317217, v29, -v31
	v_fmac_f32_e32 v32, 0x3377d1cf, v29
	s_delay_alu instid0(VALU_DEP_1) | instskip(SKIP_1) | instid1(VALU_DEP_2)
	v_add_f32_e32 v31, v31, v32
	v_fma_f32 v32, |v28|, v33, 0x3f528d33
	v_cndmask_b32_e64 v29, v29, v31, s6
	v_cndmask_b32_e64 v31, 0, 0x41b17218, s8
	s_delay_alu instid0(VALU_DEP_3) | instskip(NEXT) | instid1(VALU_DEP_2)
	v_fma_f32 v32, |v28|, v32, 0xbf13c468
	v_sub_f32_e32 v29, v29, v31
	s_delay_alu instid0(VALU_DEP_1)
	v_fma_f32 v29, |v28|, v32, -v29
.LBB14_82:                              ;   in Loop: Header=BB14_4 Depth=1
	s_or_b32 exec_lo, exec_lo, s7
	v_cmp_le_f16_e64 s6, 0, v24
	s_mov_b32 s8, exec_lo
	v_cmpx_nle_f16_e32 0, v24
	s_xor_b32 s9, exec_lo, s8
	s_cbranch_execz .LBB14_86
; %bb.83:                               ;   in Loop: Header=BB14_4 Depth=1
	v_cmp_gt_f32_e64 s7, 0x4b000000, |v28|
	v_cmp_lt_f32_e64 s8, 0x35000000, |v28|
	s_and_b32 s7, s7, s8
	s_delay_alu instid0(SALU_CYCLE_1)
	s_and_saveexec_b32 s10, s7
	s_cbranch_execz .LBB14_85
; %bb.84:                               ;   in Loop: Header=BB14_4 Depth=1
	v_mul_f32_e64 v31, |v28|, 0.5
	v_xor_b32_e32 v30, v30, v28
	s_delay_alu instid0(VALU_DEP_2) | instskip(SKIP_1) | instid1(VALU_DEP_2)
	v_floor_f32_e32 v32, v31
	v_cmp_neq_f32_e64 s7, 0x7f800000, v31
	v_sub_f32_e32 v32, v31, v32
	s_delay_alu instid0(VALU_DEP_1) | instskip(NEXT) | instid1(VALU_DEP_1)
	v_min_num_f32_e32 v32, 0x3f7fffff, v32
	v_add_f32_e32 v32, v32, v32
	s_delay_alu instid0(VALU_DEP_1) | instskip(SKIP_1) | instid1(VALU_DEP_1)
	v_cndmask_b32_e64 v31, 0, v32, s7
	v_cmp_gt_f32_e64 s7, |v28|, 1.0
	v_cndmask_b32_e64 v31, |v28|, v31, s7
	s_delay_alu instid0(VALU_DEP_1) | instskip(NEXT) | instid1(VALU_DEP_1)
	v_add_f32_e32 v32, v31, v31
	v_rndne_f32_e32 v32, v32
	s_delay_alu instid0(VALU_DEP_1) | instskip(SKIP_1) | instid1(VALU_DEP_2)
	v_fmac_f32_e32 v31, -0.5, v32
	v_cvt_i32_f32_e32 v32, v32
	v_mul_f32_e32 v33, v31, v31
	s_delay_alu instid0(VALU_DEP_1) | instskip(SKIP_1) | instid1(VALU_DEP_2)
	v_fmaak_f32 v34, s37, v33, 0xbf1f24be
	v_dual_fmaak_f32 v35, s38, v33, 0x3e642e9d :: v_dual_mul_f32 v36, v31, v33
	v_fmaak_f32 v34, v33, v34, 0x40234736
	s_delay_alu instid0(VALU_DEP_2) | instskip(NEXT) | instid1(VALU_DEP_2)
	v_fmaak_f32 v35, v33, v35, 0xbfaad1da
	v_fmaak_f32 v34, v33, v34, 0xc0a55e0e
	s_delay_alu instid0(VALU_DEP_1) | instskip(NEXT) | instid1(VALU_DEP_1)
	v_mul_f32_e32 v34, v36, v34
	v_fmac_f32_e32 v34, 0x40490fdb, v31
	v_dual_lshlrev_b32 v32, 30, v32 :: v_dual_bitop2_b32 v36, 1, v32 bitop3:0x40
	v_fmaak_f32 v35, v33, v35, 0x4081e0d3
	s_delay_alu instid0(VALU_DEP_2) | instskip(NEXT) | instid1(VALU_DEP_3)
	v_cmp_eq_u32_e64 s7, 0, v36
	v_and_b32_e32 v32, 0x80000000, v32
	s_delay_alu instid0(VALU_DEP_3) | instskip(NEXT) | instid1(VALU_DEP_1)
	v_fmaak_f32 v35, v33, v35, 0xc09de9e6
	v_fma_f32 v31, v33, v35, 1.0
	s_delay_alu instid0(VALU_DEP_1) | instskip(NEXT) | instid1(VALU_DEP_1)
	v_cndmask_b32_e64 v31, v31, v34, s7
	v_xor3_b32 v30, v30, v32, v31
	s_delay_alu instid0(VALU_DEP_1) | instskip(NEXT) | instid1(VALU_DEP_1)
	v_mul_f32_e32 v30, v28, v30
	v_frexp_mant_f32_e64 v31, |v30|
	v_frexp_exp_i32_f32_e32 v30, v30
	s_delay_alu instid0(VALU_DEP_2) | instskip(SKIP_1) | instid1(TRANS32_DEP_1)
	v_rcp_f32_e32 v31, v31
	v_nop
	v_dual_mul_f32 v31, 0x3f490fdb, v31 :: v_dual_sub_nc_u32 v30, 2, v30
	s_delay_alu instid0(VALU_DEP_1) | instskip(NEXT) | instid1(VALU_DEP_1)
	v_ldexp_f32 v30, v31, v30
	v_cmp_gt_f32_e64 s7, 0x800000, v30
	s_delay_alu instid0(VALU_DEP_1) | instskip(NEXT) | instid1(VALU_DEP_1)
	v_cndmask_b32_e64 v31, 0, 32, s7
	v_ldexp_f32 v30, v30, v31
	s_delay_alu instid0(VALU_DEP_1) | instskip(SKIP_1) | instid1(TRANS32_DEP_1)
	v_log_f32_e32 v30, v30
	v_nop
	v_mul_f32_e32 v31, 0x3f317217, v30
	v_cmp_gt_f32_e64 s8, 0x7f800000, |v30|
	s_delay_alu instid0(VALU_DEP_2) | instskip(NEXT) | instid1(VALU_DEP_1)
	v_fma_f32 v32, 0x3f317217, v30, -v31
	v_fmac_f32_e32 v32, 0x3377d1cf, v30
	s_delay_alu instid0(VALU_DEP_1) | instskip(SKIP_1) | instid1(VALU_DEP_2)
	v_add_f32_e32 v31, v31, v32
	v_floor_f32_e32 v32, v28
	v_cndmask_b32_e64 v30, v30, v31, s8
	v_cndmask_b32_e64 v31, 0, 0x41b17218, s7
	s_delay_alu instid0(VALU_DEP_1) | instskip(NEXT) | instid1(VALU_DEP_1)
	v_dual_sub_f32 v32, v28, v32 :: v_dual_sub_f32 v30, v30, v31
	v_min_num_f32_e32 v31, 0x3f7fffff, v32
	s_delay_alu instid0(VALU_DEP_2) | instskip(NEXT) | instid1(VALU_DEP_2)
	v_sub_f32_e32 v29, v30, v29
	v_cmp_neq_f32_e64 s7, 0, v31
	s_delay_alu instid0(VALU_DEP_1)
	v_cndmask_b32_e64 v29, 0x7f800000, v29, s7
.LBB14_85:                              ;   in Loop: Header=BB14_4 Depth=1
	s_or_b32 exec_lo, exec_lo, s10
.LBB14_86:                              ;   in Loop: Header=BB14_4 Depth=1
	s_and_not1_saveexec_b32 s9, s9
; %bb.87:                               ;   in Loop: Header=BB14_4 Depth=1
	v_cmp_eq_f16_e64 s7, 1.0, v24
	v_cmp_eq_f16_e64 s8, 2.0, v24
	s_or_b32 s7, s7, s8
	s_delay_alu instid0(SALU_CYCLE_1)
	v_cndmask_b32_e64 v29, v29, 0, s7
; %bb.88:                               ;   in Loop: Header=BB14_4 Depth=1
	s_or_b32 exec_lo, exec_lo, s9
	v_cvt_f32_f16_e32 v30, v22
                                        ; implicit-def: $vgpr31
	s_mov_b32 s8, exec_lo
	s_delay_alu instid0(VALU_DEP_1)
	v_and_b32_e32 v32, 0x7fffffff, v30
	v_cmpx_ngt_f32_e64 0x3c800000, |v30|
	s_xor_b32 s9, exec_lo, s8
	s_cbranch_execz .LBB14_118
; %bb.89:                               ;   in Loop: Header=BB14_4 Depth=1
                                        ; implicit-def: $vgpr31
	s_mov_b32 s8, exec_lo
	v_cmpx_nlt_f32_e64 |v30|, 2.0
	s_xor_b32 s10, exec_lo, s8
	s_cbranch_execz .LBB14_99
; %bb.90:                               ;   in Loop: Header=BB14_4 Depth=1
	s_mov_b32 s8, exec_lo
                                        ; implicit-def: $vgpr31
	v_cmpx_ngt_f32_e64 0x41000000, |v30|
	s_xor_b32 s8, exec_lo, s8
	s_cbranch_execz .LBB14_96
; %bb.91:                               ;   in Loop: Header=BB14_4 Depth=1
	s_mov_b32 s39, exec_lo
                                        ; implicit-def: $vgpr31
	v_cmpx_ngt_f32_e64 0x5c800000, |v30|
	s_xor_b32 s39, exec_lo, s39
	s_cbranch_execz .LBB14_93
; %bb.92:                               ;   in Loop: Header=BB14_4 Depth=1
	v_cmp_gt_f32_e64 s40, 0x800000, |v30|
	s_delay_alu instid0(VALU_DEP_1) | instskip(NEXT) | instid1(VALU_DEP_1)
	v_cndmask_b32_e64 v31, 0, 32, s40
	v_ldexp_f32 v31, |v30|, v31
	s_delay_alu instid0(VALU_DEP_1) | instskip(SKIP_1) | instid1(TRANS32_DEP_1)
	v_log_f32_e32 v31, v31
	v_nop
	v_mul_f32_e32 v33, 0x3f317217, v31
	v_cmp_gt_f32_e64 s7, 0x7f800000, |v31|
	s_delay_alu instid0(VALU_DEP_2) | instskip(NEXT) | instid1(VALU_DEP_1)
	v_fma_f32 v34, 0x3f317217, v31, -v33
	v_fmac_f32_e32 v34, 0x3377d1cf, v31
	s_delay_alu instid0(VALU_DEP_1) | instskip(NEXT) | instid1(VALU_DEP_1)
	v_add_f32_e32 v33, v33, v34
	v_cndmask_b32_e64 v31, v31, v33, s7
	v_cndmask_b32_e64 v33, 0, 0x41b17218, s40
	s_delay_alu instid0(VALU_DEP_1) | instskip(NEXT) | instid1(VALU_DEP_1)
	v_sub_f32_e32 v31, v31, v33
	v_fma_f32 v31, |v30|, v31, -|v30|
.LBB14_93:                              ;   in Loop: Header=BB14_4 Depth=1
	s_and_not1_saveexec_b32 s39, s39
	s_cbranch_execz .LBB14_95
; %bb.94:                               ;   in Loop: Header=BB14_4 Depth=1
	v_cmp_gt_f32_e64 s40, 0x800000, |v30|
	v_rcp_f32_e64 v33, |v30|
	s_delay_alu instid0(VALU_DEP_1) | instskip(NEXT) | instid1(VALU_DEP_1)
	v_cndmask_b32_e64 v31, 0, 32, s40
	v_ldexp_f32 v31, |v30|, v31
	s_delay_alu instid0(VALU_DEP_1) | instskip(SKIP_1) | instid1(TRANS32_DEP_1)
	v_log_f32_e32 v31, v31
	v_nop
	v_dual_mul_f32 v34, v33, v33 :: v_dual_mul_f32 v35, 0x3f317217, v31
	v_cmp_gt_f32_e64 s7, 0x7f800000, |v31|
	s_delay_alu instid0(VALU_DEP_2) | instskip(NEXT) | instid1(VALU_DEP_1)
	v_fma_f32 v37, 0x3f317217, v31, -v35
	v_fmac_f32_e32 v37, 0x3377d1cf, v31
	s_delay_alu instid0(VALU_DEP_1) | instskip(NEXT) | instid1(VALU_DEP_1)
	v_dual_fmaak_f32 v36, s11, v34, 0x3a5b3dd2 :: v_dual_add_f32 v35, v35, v37
	v_cndmask_b32_e64 v31, v31, v35, s7
	v_cndmask_b32_e64 v35, 0, 0x41b17218, s40
	s_delay_alu instid0(VALU_DEP_1) | instskip(NEXT) | instid1(VALU_DEP_1)
	v_dual_fmaak_f32 v36, v34, v36, 0xba1c065c :: v_dual_sub_f32 v35, v31, v35
	v_fmaak_f32 v36, v34, v36, 0x3a500cfd
	s_delay_alu instid0(VALU_DEP_1) | instskip(NEXT) | instid1(VALU_DEP_1)
	v_fmaak_f32 v36, v34, v36, 0xbb360b61
	v_fmaak_f32 v34, v34, v36, 0x3daaaaab
	s_delay_alu instid0(VALU_DEP_1) | instskip(SKIP_2) | instid1(VALU_DEP_1)
	v_fmaak_f32 v31, v33, v34, 0x3ed67f1d
	v_add_f32_e64 v33, |v30|, -0.5
	v_add_f32_e32 v34, -1.0, v35
	v_fmac_f32_e32 v31, v33, v34
.LBB14_95:                              ;   in Loop: Header=BB14_4 Depth=1
	s_or_b32 exec_lo, exec_lo, s39
.LBB14_96:                              ;   in Loop: Header=BB14_4 Depth=1
	s_and_not1_saveexec_b32 s39, s8
	s_cbranch_execz .LBB14_98
; %bb.97:                               ;   in Loop: Header=BB14_4 Depth=1
	v_cvt_i32_f32_e32 v31, v32
	s_delay_alu instid0(VALU_DEP_1) | instskip(SKIP_1) | instid1(VALU_DEP_2)
	v_cvt_f32_i32_e32 v33, v31
	v_cmp_lt_i32_e64 s7, 3, v31
	v_sub_f32_e64 v34, |v30|, v33
	s_delay_alu instid0(VALU_DEP_1) | instskip(NEXT) | instid1(VALU_DEP_1)
	v_pk_add_f32 v[36:37], v[34:35], v[16:17] op_sel_hi:[0,1]
	v_dual_add_f32 v33, 4.0, v34 :: v_dual_cndmask_b32 v35, 1.0, v37, s7
	v_cmp_lt_i32_e64 s7, 2, v31
	v_add_f32_e32 v37, 0x40a00000, v34
	s_delay_alu instid0(VALU_DEP_2) | instskip(SKIP_1) | instid1(VALU_DEP_1)
	v_cndmask_b32_e64 v36, 1.0, v36, s7
	v_cmp_lt_i32_e64 s7, 4, v31
	v_dual_cndmask_b32 v33, 1.0, v33, s7 :: v_dual_mul_f32 v35, v36, v35
	v_add_f32_e32 v36, 0x40c00000, v34
	v_cmp_lt_i32_e64 s7, 5, v31
	s_delay_alu instid0(VALU_DEP_1) | instskip(SKIP_1) | instid1(VALU_DEP_1)
	v_dual_mul_f32 v33, v33, v35 :: v_dual_cndmask_b32 v37, 1.0, v37, s7
	v_cmp_lt_i32_e64 s7, 6, v31
	v_dual_mul_f32 v33, v37, v33 :: v_dual_cndmask_b32 v31, 1.0, v36, s7
	s_delay_alu instid0(VALU_DEP_1) | instskip(NEXT) | instid1(VALU_DEP_1)
	v_dual_fmaak_f32 v36, s26, v34, 0x3af135b4 :: v_dual_mul_f32 v31, v31, v33
	v_cmp_gt_f32_e64 s7, 0x800000, v31
	s_delay_alu instid0(VALU_DEP_1) | instskip(NEXT) | instid1(VALU_DEP_1)
	v_cndmask_b32_e64 v35, 0, 32, s7
	v_ldexp_f32 v31, v31, v35
	s_delay_alu instid0(VALU_DEP_4) | instskip(NEXT) | instid1(VALU_DEP_2)
	v_fmaak_f32 v35, v34, v36, 0x3cda40e4
	v_log_f32_e32 v31, v31
	s_delay_alu instid0(VALU_DEP_1) | instskip(NEXT) | instid1(VALU_DEP_1)
	v_fmaak_f32 v35, v34, v35, 0x3e15dce6
	v_fmaak_f32 v35, v34, v35, 0x3ea6cc7a
	s_delay_alu instid0(TRANS32_DEP_1) | instskip(NEXT) | instid1(VALU_DEP_2)
	v_cmp_gt_f32_e64 s8, 0x7f800000, |v31|
	v_fmaak_f32 v35, v34, v35, 0x3e5c245a
	s_delay_alu instid0(VALU_DEP_1) | instskip(NEXT) | instid1(VALU_DEP_1)
	v_fmaak_f32 v35, v34, v35, 0xbd9e233f
	v_mul_f32_e32 v35, v34, v35
	v_mul_f32_e32 v36, 0x3f317217, v31
	s_delay_alu instid0(VALU_DEP_1) | instskip(NEXT) | instid1(VALU_DEP_1)
	v_fma_f32 v37, 0x3f317217, v31, -v36
	v_fmac_f32_e32 v37, 0x3377d1cf, v31
	s_delay_alu instid0(VALU_DEP_1) | instskip(NEXT) | instid1(VALU_DEP_1)
	v_dual_fmaak_f32 v33, s27, v34, 0x3a4beed6 :: v_dual_add_f32 v36, v36, v37
	v_fmaak_f32 v33, v34, v33, 0x3c98bf54
	s_delay_alu instid0(VALU_DEP_2) | instskip(NEXT) | instid1(VALU_DEP_2)
	v_cndmask_b32_e64 v31, v31, v36, s8
	v_fmaak_f32 v33, v34, v33, 0x3e300f6e
	s_delay_alu instid0(VALU_DEP_1) | instskip(NEXT) | instid1(VALU_DEP_1)
	v_fmaak_f32 v33, v34, v33, 0x3f38d0c5
	v_fmaak_f32 v33, v34, v33, 0x3fb22d3b
	s_delay_alu instid0(VALU_DEP_1) | instskip(NEXT) | instid1(VALU_DEP_1)
	v_fma_f32 v33, v34, v33, 1.0
	v_rcp_f32_e32 v33, v33
	v_nop
	s_delay_alu instid0(TRANS32_DEP_1) | instskip(SKIP_1) | instid1(VALU_DEP_1)
	v_mul_f32_e32 v33, v35, v33
	v_cndmask_b32_e64 v35, 0, 0x41b17218, s7
	v_dual_fmac_f32 v33, 0.5, v34 :: v_dual_sub_f32 v31, v31, v35
	s_delay_alu instid0(VALU_DEP_1)
	v_add_f32_e32 v31, v31, v33
.LBB14_98:                              ;   in Loop: Header=BB14_4 Depth=1
	s_or_b32 exec_lo, exec_lo, s39
.LBB14_99:                              ;   in Loop: Header=BB14_4 Depth=1
	s_and_not1_saveexec_b32 s10, s10
	s_cbranch_execz .LBB14_117
; %bb.100:                              ;   in Loop: Header=BB14_4 Depth=1
                                        ; implicit-def: $vgpr31
                                        ; implicit-def: $vgpr34
                                        ; implicit-def: $vgpr33
	s_mov_b32 s8, exec_lo
	v_cmpx_ge_f32_e64 0x3f666666, |v30|
	s_xor_b32 s39, exec_lo, s8
	s_cbranch_execz .LBB14_102
; %bb.101:                              ;   in Loop: Header=BB14_4 Depth=1
	v_cmp_gt_f32_e64 s8, 0x800000, |v30|
	v_sub_f32_e64 v35, 1.0, |v30|
	v_cmp_gt_f32_e64 s7, 0x3f3b4a23, |v30|
	s_delay_alu instid0(VALU_DEP_3) | instskip(SKIP_1) | instid1(VALU_DEP_2)
	v_cndmask_b32_e64 v31, 0, 32, s8
	v_cndmask_b32_e64 v36, 0, 0x41b17218, s8
	v_ldexp_f32 v31, |v30|, v31
	s_delay_alu instid0(VALU_DEP_1) | instskip(SKIP_1) | instid1(TRANS32_DEP_1)
	v_log_f32_e32 v31, v31
	v_nop
	v_mul_f32_e32 v33, 0x3f317217, v31
	v_cmp_gt_f32_e64 s8, 0x7f800000, |v31|
	s_delay_alu instid0(VALU_DEP_2) | instskip(NEXT) | instid1(VALU_DEP_1)
	v_fma_f32 v34, 0x3f317217, v31, -v33
	v_fmac_f32_e32 v34, 0x3377d1cf, v31
	s_delay_alu instid0(VALU_DEP_1) | instskip(SKIP_1) | instid1(VALU_DEP_2)
	v_add_f32_e32 v33, v33, v34
	v_add_f32_e64 v34, 0xbeec5b0c, |v30|
	v_cndmask_b32_e64 v31, v31, v33, s8
	s_delay_alu instid0(VALU_DEP_2) | instskip(SKIP_2) | instid1(VALU_DEP_4)
	v_cndmask_b32_e64 v33, v35, v34, s7
	v_cndmask_b32_e64 v34, 0, 1, s7
	v_cmp_gt_f32_e64 s7, 0x3e6d3309, |v30|
	v_sub_f32_e32 v31, v31, v36
	s_delay_alu instid0(VALU_DEP_2) | instskip(NEXT) | instid1(VALU_DEP_4)
	v_cndmask_b32_e64 v33, v33, |v30|, s7
	v_cndmask_b32_e64 v34, v34, 2, s7
	s_delay_alu instid0(VALU_DEP_3)
	v_xor_b32_e32 v31, 0x80000000, v31
.LBB14_102:                             ;   in Loop: Header=BB14_4 Depth=1
	s_and_not1_saveexec_b32 s8, s39
	s_cbranch_execz .LBB14_104
; %bb.103:                              ;   in Loop: Header=BB14_4 Depth=1
	v_sub_f32_e64 v31, 2.0, |v30|
	v_add_f32_e64 v33, 0xbfbb16c3, |v30|
	v_cmp_gt_f32_e64 s7, 0x3fdda512, |v30|
	v_add_f32_e64 v34, |v30|, -1.0
	s_delay_alu instid0(VALU_DEP_2) | instskip(SKIP_2) | instid1(VALU_DEP_2)
	v_cndmask_b32_e64 v33, v31, v33, s7
	v_cndmask_b32_e64 v31, v31, 1.0, s7
	v_cmp_gt_f32_e64 s7, 0x3f9d70a4, |v30|
	v_cvt_i32_f32_e32 v31, v31
	s_delay_alu instid0(VALU_DEP_2) | instskip(NEXT) | instid1(VALU_DEP_2)
	v_cndmask_b32_e64 v33, v33, v34, s7
	v_cndmask_b32_e64 v34, v31, 2, s7
	v_mov_b32_e32 v31, 0
.LBB14_104:                             ;   in Loop: Header=BB14_4 Depth=1
	s_or_b32 exec_lo, exec_lo, s8
	s_delay_alu instid0(SALU_CYCLE_1) | instskip(NEXT) | instid1(VALU_DEP_2)
	s_mov_b32 s8, exec_lo
	v_cmpx_lt_i32_e32 0, v34
	s_xor_b32 s8, exec_lo, s8
	s_cbranch_execz .LBB14_112
; %bb.105:                              ;   in Loop: Header=BB14_4 Depth=1
	s_mov_b32 s39, exec_lo
	v_cmpx_lt_i32_e32 1, v34
	s_xor_b32 s39, exec_lo, s39
	s_cbranch_execz .LBB14_109
; %bb.106:                              ;   in Loop: Header=BB14_4 Depth=1
	s_mov_b32 s40, exec_lo
	v_cmpx_eq_u32_e32 2, v34
	s_cbranch_execz .LBB14_108
; %bb.107:                              ;   in Loop: Header=BB14_4 Depth=1
	v_fmaak_f32 v35, s28, v33, 0x3e6a7578
	s_delay_alu instid0(VALU_DEP_1) | instskip(NEXT) | instid1(VALU_DEP_1)
	v_fmaak_f32 v35, v33, v35, 0x3f7a4bb2
	v_fmaak_f32 v35, v33, v35, 0x3fba3ae7
	s_delay_alu instid0(VALU_DEP_1) | instskip(NEXT) | instid1(VALU_DEP_1)
	v_fmaak_f32 v35, v33, v35, 0x3f2200f4
	v_fmaak_f32 v35, v33, v35, 0xbd9e233f
	s_delay_alu instid0(VALU_DEP_1) | instskip(NEXT) | instid1(VALU_DEP_1)
	v_dual_fmaak_f32 v34, s29, v33, 0x3dd572af :: v_dual_mul_f32 v35, v33, v35
	v_fmaak_f32 v34, v33, v34, 0x3f44efdf
	s_delay_alu instid0(VALU_DEP_1) | instskip(NEXT) | instid1(VALU_DEP_1)
	v_fmaak_f32 v34, v33, v34, 0x4008392d
	v_fmaak_f32 v34, v33, v34, 0x401d2ebe
	s_delay_alu instid0(VALU_DEP_1) | instskip(NEXT) | instid1(VALU_DEP_1)
	v_fma_f32 v34, v33, v34, 1.0
	v_rcp_f32_e32 v34, v34
	v_nop
	s_delay_alu instid0(TRANS32_DEP_1) | instskip(NEXT) | instid1(VALU_DEP_1)
	v_mul_f32_e32 v34, v35, v34
	v_fmac_f32_e32 v34, -0.5, v33
	s_delay_alu instid0(VALU_DEP_1)
	v_add_f32_e32 v31, v31, v34
.LBB14_108:                             ;   in Loop: Header=BB14_4 Depth=1
	s_or_b32 exec_lo, exec_lo, s40
                                        ; implicit-def: $vgpr33
.LBB14_109:                             ;   in Loop: Header=BB14_4 Depth=1
	s_and_not1_saveexec_b32 s7, s39
	s_cbranch_execz .LBB14_111
; %bb.110:                              ;   in Loop: Header=BB14_4 Depth=1
	v_mul_f32_e32 v34, v33, v33
	s_delay_alu instid0(VALU_DEP_1) | instskip(NEXT) | instid1(VALU_DEP_1)
	v_mul_f32_e32 v35, v33, v34
	v_fmaak_f32 v36, s31, v35, 0x3a66f867
	v_fmaak_f32 v37, s33, v35, 0xba0d3085
	s_delay_alu instid0(VALU_DEP_2) | instskip(NEXT) | instid1(VALU_DEP_2)
	v_fmaak_f32 v36, v35, v36, 0xbb7177fe
	v_fmaak_f32 v37, v35, v37, 0x3b141699
	s_delay_alu instid0(VALU_DEP_2) | instskip(NEXT) | instid1(VALU_DEP_2)
	;; [unrolled: 3-line block ×3, first 2 shown]
	v_fmaak_f32 v36, v35, v36, 0xbe17213c
	v_fmaak_f32 v37, v35, v37, 0x3d845a15
	s_delay_alu instid0(VALU_DEP_1) | instskip(SKIP_1) | instid1(VALU_DEP_1)
	v_fmac_f32_e32 v36, v33, v37
	v_fmaak_f32 v38, s30, v35, 0xbab7f476
	v_fmaak_f32 v38, v35, v38, 0x3bc7e707
	s_delay_alu instid0(VALU_DEP_1) | instskip(NEXT) | instid1(VALU_DEP_1)
	v_fmaak_f32 v38, v35, v38, 0xbd064d47
	v_fmaak_f32 v33, v35, v38, 0x3ef7b95e
	v_fma_f32 v35, v35, -v36, 0xa2863e55
	s_delay_alu instid0(VALU_DEP_1) | instskip(NEXT) | instid1(VALU_DEP_1)
	v_fma_f32 v33, v34, v33, -v35
	v_add_f32_e32 v33, 0xbdf8cdce, v33
	s_delay_alu instid0(VALU_DEP_1)
	v_add_f32_e32 v31, v31, v33
.LBB14_111:                             ;   in Loop: Header=BB14_4 Depth=1
	s_or_b32 exec_lo, exec_lo, s7
                                        ; implicit-def: $vgpr34
                                        ; implicit-def: $vgpr33
.LBB14_112:                             ;   in Loop: Header=BB14_4 Depth=1
	s_and_not1_saveexec_b32 s8, s8
	s_cbranch_execz .LBB14_116
; %bb.113:                              ;   in Loop: Header=BB14_4 Depth=1
	s_mov_b32 s39, exec_lo
	v_cmpx_eq_u32_e32 0, v34
	s_cbranch_execz .LBB14_115
; %bb.114:                              ;   in Loop: Header=BB14_4 Depth=1
	v_mul_f32_e32 v34, v33, v33
	s_delay_alu instid0(VALU_DEP_1) | instskip(NEXT) | instid1(VALU_DEP_1)
	v_fmaak_f32 v36, s34, v34, 0x39679767
	v_fmaak_f32 v36, v34, v36, 0x3a9c54a1
	s_delay_alu instid0(VALU_DEP_1) | instskip(NEXT) | instid1(VALU_DEP_1)
	v_fmaak_f32 v36, v34, v36, 0x3bf2027e
	v_fmaak_f32 v36, v34, v36, 0x3d89f001
	s_delay_alu instid0(VALU_DEP_1) | instskip(SKIP_1) | instid1(VALU_DEP_1)
	v_fmaak_f32 v36, v34, v36, 0x3d9e233f
	v_fmaak_f32 v35, s35, v34, 0x38e28445
	v_fmaak_f32 v35, v34, v35, 0x3a05b634
	s_delay_alu instid0(VALU_DEP_1) | instskip(NEXT) | instid1(VALU_DEP_1)
	v_fmaak_f32 v35, v34, v35, 0x3b3d6ec6
	v_fmaak_f32 v35, v34, v35, 0x3ca89915
	s_delay_alu instid0(VALU_DEP_1) | instskip(NEXT) | instid1(VALU_DEP_1)
	v_fmaak_f32 v35, v34, v35, 0x3ea51a66
	v_mul_f32_e32 v34, v34, v35
	s_delay_alu instid0(VALU_DEP_1) | instskip(NEXT) | instid1(VALU_DEP_1)
	v_fmac_f32_e32 v34, v33, v36
	v_fmac_f32_e32 v34, -0.5, v33
	s_delay_alu instid0(VALU_DEP_1)
	v_add_f32_e32 v31, v31, v34
.LBB14_115:                             ;   in Loop: Header=BB14_4 Depth=1
	s_or_b32 exec_lo, exec_lo, s39
.LBB14_116:                             ;   in Loop: Header=BB14_4 Depth=1
	s_delay_alu instid0(SALU_CYCLE_1)
	s_or_b32 exec_lo, exec_lo, s8
.LBB14_117:                             ;   in Loop: Header=BB14_4 Depth=1
	s_delay_alu instid0(SALU_CYCLE_1)
	s_or_b32 exec_lo, exec_lo, s10
.LBB14_118:                             ;   in Loop: Header=BB14_4 Depth=1
	s_and_not1_saveexec_b32 s8, s9
	s_cbranch_execz .LBB14_120
; %bb.119:                              ;   in Loop: Header=BB14_4 Depth=1
	v_cmp_gt_f32_e64 s9, 0x800000, |v30|
	v_fma_f32 v35, |v30|, s36, 0xbecd26ab
	s_delay_alu instid0(VALU_DEP_2) | instskip(NEXT) | instid1(VALU_DEP_1)
	v_cndmask_b32_e64 v31, 0, 32, s9
	v_ldexp_f32 v31, |v30|, v31
	s_delay_alu instid0(VALU_DEP_1) | instskip(SKIP_1) | instid1(TRANS32_DEP_1)
	v_log_f32_e32 v31, v31
	v_nop
	v_mul_f32_e32 v33, 0x3f317217, v31
	v_cmp_gt_f32_e64 s7, 0x7f800000, |v31|
	s_delay_alu instid0(VALU_DEP_2) | instskip(NEXT) | instid1(VALU_DEP_1)
	v_fma_f32 v34, 0x3f317217, v31, -v33
	v_fmac_f32_e32 v34, 0x3377d1cf, v31
	s_delay_alu instid0(VALU_DEP_1) | instskip(SKIP_1) | instid1(VALU_DEP_2)
	v_add_f32_e32 v33, v33, v34
	v_fma_f32 v34, |v30|, v35, 0x3f528d33
	v_cndmask_b32_e64 v31, v31, v33, s7
	v_cndmask_b32_e64 v33, 0, 0x41b17218, s9
	s_delay_alu instid0(VALU_DEP_3) | instskip(NEXT) | instid1(VALU_DEP_2)
	v_fma_f32 v34, |v30|, v34, 0xbf13c468
	v_sub_f32_e32 v31, v31, v33
	s_delay_alu instid0(VALU_DEP_1)
	v_fma_f32 v31, |v30|, v34, -v31
.LBB14_120:                             ;   in Loop: Header=BB14_4 Depth=1
	s_or_b32 exec_lo, exec_lo, s8
	v_cmp_le_f16_e64 s7, 0, v22
	s_mov_b32 s9, exec_lo
	v_cmpx_nle_f16_e32 0, v22
	s_xor_b32 s10, exec_lo, s9
	s_cbranch_execz .LBB14_124
; %bb.121:                              ;   in Loop: Header=BB14_4 Depth=1
	v_cmp_gt_f32_e64 s8, 0x4b000000, |v30|
	v_cmp_lt_f32_e64 s9, 0x35000000, |v30|
	s_and_b32 s8, s8, s9
	s_delay_alu instid0(SALU_CYCLE_1)
	s_and_saveexec_b32 s39, s8
	s_cbranch_execz .LBB14_123
; %bb.122:                              ;   in Loop: Header=BB14_4 Depth=1
	v_mul_f32_e64 v33, |v30|, 0.5
	v_xor_b32_e32 v32, v32, v30
	s_delay_alu instid0(VALU_DEP_2) | instskip(SKIP_1) | instid1(VALU_DEP_2)
	v_floor_f32_e32 v34, v33
	v_cmp_neq_f32_e64 s8, 0x7f800000, v33
	v_sub_f32_e32 v34, v33, v34
	s_delay_alu instid0(VALU_DEP_1) | instskip(NEXT) | instid1(VALU_DEP_1)
	v_min_num_f32_e32 v34, 0x3f7fffff, v34
	v_add_f32_e32 v34, v34, v34
	s_delay_alu instid0(VALU_DEP_1) | instskip(SKIP_1) | instid1(VALU_DEP_1)
	v_cndmask_b32_e64 v33, 0, v34, s8
	v_cmp_gt_f32_e64 s8, |v30|, 1.0
	v_cndmask_b32_e64 v33, |v30|, v33, s8
	s_delay_alu instid0(VALU_DEP_1) | instskip(NEXT) | instid1(VALU_DEP_1)
	v_add_f32_e32 v34, v33, v33
	v_rndne_f32_e32 v34, v34
	s_delay_alu instid0(VALU_DEP_1) | instskip(SKIP_1) | instid1(VALU_DEP_2)
	v_fmac_f32_e32 v33, -0.5, v34
	v_cvt_i32_f32_e32 v34, v34
	v_mul_f32_e32 v35, v33, v33
	s_delay_alu instid0(VALU_DEP_1) | instskip(SKIP_1) | instid1(VALU_DEP_2)
	v_fmaak_f32 v36, s37, v35, 0xbf1f24be
	v_dual_fmaak_f32 v37, s38, v35, 0x3e642e9d :: v_dual_mul_f32 v38, v33, v35
	v_fmaak_f32 v36, v35, v36, 0x40234736
	s_delay_alu instid0(VALU_DEP_2) | instskip(NEXT) | instid1(VALU_DEP_2)
	v_fmaak_f32 v37, v35, v37, 0xbfaad1da
	v_fmaak_f32 v36, v35, v36, 0xc0a55e0e
	s_delay_alu instid0(VALU_DEP_1) | instskip(NEXT) | instid1(VALU_DEP_1)
	v_mul_f32_e32 v36, v38, v36
	v_fmac_f32_e32 v36, 0x40490fdb, v33
	v_dual_lshlrev_b32 v34, 30, v34 :: v_dual_bitop2_b32 v38, 1, v34 bitop3:0x40
	v_fmaak_f32 v37, v35, v37, 0x4081e0d3
	s_delay_alu instid0(VALU_DEP_2) | instskip(NEXT) | instid1(VALU_DEP_3)
	v_cmp_eq_u32_e64 s8, 0, v38
	v_and_b32_e32 v34, 0x80000000, v34
	s_delay_alu instid0(VALU_DEP_3) | instskip(NEXT) | instid1(VALU_DEP_1)
	v_fmaak_f32 v37, v35, v37, 0xc09de9e6
	v_fma_f32 v33, v35, v37, 1.0
	s_delay_alu instid0(VALU_DEP_1) | instskip(NEXT) | instid1(VALU_DEP_1)
	v_cndmask_b32_e64 v33, v33, v36, s8
	v_xor3_b32 v32, v32, v34, v33
	s_delay_alu instid0(VALU_DEP_1) | instskip(NEXT) | instid1(VALU_DEP_1)
	v_mul_f32_e32 v32, v30, v32
	v_frexp_mant_f32_e64 v33, |v32|
	v_frexp_exp_i32_f32_e32 v32, v32
	s_delay_alu instid0(VALU_DEP_2) | instskip(SKIP_1) | instid1(TRANS32_DEP_1)
	v_rcp_f32_e32 v33, v33
	v_nop
	v_dual_mul_f32 v33, 0x3f490fdb, v33 :: v_dual_sub_nc_u32 v32, 2, v32
	s_delay_alu instid0(VALU_DEP_1) | instskip(NEXT) | instid1(VALU_DEP_1)
	v_ldexp_f32 v32, v33, v32
	v_cmp_gt_f32_e64 s8, 0x800000, v32
	s_delay_alu instid0(VALU_DEP_1) | instskip(NEXT) | instid1(VALU_DEP_1)
	v_cndmask_b32_e64 v33, 0, 32, s8
	v_ldexp_f32 v32, v32, v33
	s_delay_alu instid0(VALU_DEP_1) | instskip(SKIP_1) | instid1(TRANS32_DEP_1)
	v_log_f32_e32 v32, v32
	v_nop
	v_mul_f32_e32 v33, 0x3f317217, v32
	v_cmp_gt_f32_e64 s9, 0x7f800000, |v32|
	s_delay_alu instid0(VALU_DEP_2) | instskip(NEXT) | instid1(VALU_DEP_1)
	v_fma_f32 v34, 0x3f317217, v32, -v33
	v_fmac_f32_e32 v34, 0x3377d1cf, v32
	s_delay_alu instid0(VALU_DEP_1) | instskip(SKIP_1) | instid1(VALU_DEP_2)
	v_add_f32_e32 v33, v33, v34
	v_floor_f32_e32 v34, v30
	v_cndmask_b32_e64 v32, v32, v33, s9
	v_cndmask_b32_e64 v33, 0, 0x41b17218, s8
	s_delay_alu instid0(VALU_DEP_1) | instskip(NEXT) | instid1(VALU_DEP_1)
	v_dual_sub_f32 v34, v30, v34 :: v_dual_sub_f32 v32, v32, v33
	v_min_num_f32_e32 v33, 0x3f7fffff, v34
	s_delay_alu instid0(VALU_DEP_2) | instskip(NEXT) | instid1(VALU_DEP_2)
	v_sub_f32_e32 v31, v32, v31
	v_cmp_neq_f32_e64 s8, 0, v33
	s_delay_alu instid0(VALU_DEP_1)
	v_cndmask_b32_e64 v31, 0x7f800000, v31, s8
.LBB14_123:                             ;   in Loop: Header=BB14_4 Depth=1
	s_or_b32 exec_lo, exec_lo, s39
.LBB14_124:                             ;   in Loop: Header=BB14_4 Depth=1
	s_and_not1_saveexec_b32 s10, s10
; %bb.125:                              ;   in Loop: Header=BB14_4 Depth=1
	v_cmp_eq_f16_e64 s8, 1.0, v22
	v_cmp_eq_f16_e64 s9, 2.0, v22
	s_or_b32 s8, s8, s9
	s_delay_alu instid0(SALU_CYCLE_1)
	v_cndmask_b32_e64 v31, v31, 0, s8
; %bb.126:                              ;   in Loop: Header=BB14_4 Depth=1
	s_or_b32 exec_lo, exec_lo, s10
	v_cvt_f32_f16_e32 v32, v23
                                        ; implicit-def: $vgpr34
	s_mov_b32 s9, exec_lo
	s_delay_alu instid0(VALU_DEP_1)
	v_and_b32_e32 v33, 0x7fffffff, v32
	v_cmpx_ngt_f32_e64 0x3c800000, |v32|
	s_xor_b32 s10, exec_lo, s9
	s_cbranch_execz .LBB14_156
; %bb.127:                              ;   in Loop: Header=BB14_4 Depth=1
                                        ; implicit-def: $vgpr34
	s_mov_b32 s9, exec_lo
	v_cmpx_nlt_f32_e64 |v32|, 2.0
	s_xor_b32 s39, exec_lo, s9
	s_cbranch_execz .LBB14_137
; %bb.128:                              ;   in Loop: Header=BB14_4 Depth=1
	s_mov_b32 s9, exec_lo
                                        ; implicit-def: $vgpr34
	v_cmpx_ngt_f32_e64 0x41000000, |v32|
	s_xor_b32 s9, exec_lo, s9
	s_cbranch_execz .LBB14_134
; %bb.129:                              ;   in Loop: Header=BB14_4 Depth=1
	s_mov_b32 s40, exec_lo
                                        ; implicit-def: $vgpr34
	v_cmpx_ngt_f32_e64 0x5c800000, |v32|
	s_xor_b32 s40, exec_lo, s40
	s_cbranch_execz .LBB14_131
; %bb.130:                              ;   in Loop: Header=BB14_4 Depth=1
	v_cmp_gt_f32_e64 s41, 0x800000, |v32|
	s_delay_alu instid0(VALU_DEP_1) | instskip(NEXT) | instid1(VALU_DEP_1)
	v_cndmask_b32_e64 v34, 0, 32, s41
	v_ldexp_f32 v34, |v32|, v34
	s_delay_alu instid0(VALU_DEP_1) | instskip(SKIP_1) | instid1(TRANS32_DEP_1)
	v_log_f32_e32 v34, v34
	v_nop
	v_mul_f32_e32 v35, 0x3f317217, v34
	v_cmp_gt_f32_e64 s8, 0x7f800000, |v34|
	s_delay_alu instid0(VALU_DEP_2) | instskip(NEXT) | instid1(VALU_DEP_1)
	v_fma_f32 v36, 0x3f317217, v34, -v35
	v_fmac_f32_e32 v36, 0x3377d1cf, v34
	s_delay_alu instid0(VALU_DEP_1) | instskip(NEXT) | instid1(VALU_DEP_1)
	v_add_f32_e32 v35, v35, v36
	v_cndmask_b32_e64 v34, v34, v35, s8
	v_cndmask_b32_e64 v35, 0, 0x41b17218, s41
	s_delay_alu instid0(VALU_DEP_1) | instskip(NEXT) | instid1(VALU_DEP_1)
	v_sub_f32_e32 v34, v34, v35
	v_fma_f32 v34, |v32|, v34, -|v32|
.LBB14_131:                             ;   in Loop: Header=BB14_4 Depth=1
	s_and_not1_saveexec_b32 s40, s40
	s_cbranch_execz .LBB14_133
; %bb.132:                              ;   in Loop: Header=BB14_4 Depth=1
	v_cmp_gt_f32_e64 s41, 0x800000, |v32|
	v_rcp_f32_e64 v35, |v32|
	s_delay_alu instid0(VALU_DEP_1) | instskip(NEXT) | instid1(VALU_DEP_1)
	v_cndmask_b32_e64 v34, 0, 32, s41
	v_ldexp_f32 v34, |v32|, v34
	s_delay_alu instid0(VALU_DEP_1) | instskip(SKIP_1) | instid1(TRANS32_DEP_1)
	v_log_f32_e32 v34, v34
	v_nop
	v_dual_mul_f32 v36, v35, v35 :: v_dual_mul_f32 v37, 0x3f317217, v34
	v_cmp_gt_f32_e64 s8, 0x7f800000, |v34|
	s_delay_alu instid0(VALU_DEP_2) | instskip(NEXT) | instid1(VALU_DEP_1)
	v_fma_f32 v39, 0x3f317217, v34, -v37
	v_fmac_f32_e32 v39, 0x3377d1cf, v34
	s_delay_alu instid0(VALU_DEP_1) | instskip(NEXT) | instid1(VALU_DEP_1)
	v_dual_fmaak_f32 v38, s11, v36, 0x3a5b3dd2 :: v_dual_add_f32 v37, v37, v39
	v_cndmask_b32_e64 v34, v34, v37, s8
	v_cndmask_b32_e64 v37, 0, 0x41b17218, s41
	s_delay_alu instid0(VALU_DEP_1) | instskip(NEXT) | instid1(VALU_DEP_1)
	v_dual_fmaak_f32 v38, v36, v38, 0xba1c065c :: v_dual_sub_f32 v37, v34, v37
	v_fmaak_f32 v38, v36, v38, 0x3a500cfd
	s_delay_alu instid0(VALU_DEP_1) | instskip(NEXT) | instid1(VALU_DEP_1)
	v_fmaak_f32 v38, v36, v38, 0xbb360b61
	v_fmaak_f32 v36, v36, v38, 0x3daaaaab
	s_delay_alu instid0(VALU_DEP_1) | instskip(SKIP_2) | instid1(VALU_DEP_1)
	v_fmaak_f32 v34, v35, v36, 0x3ed67f1d
	v_add_f32_e64 v35, |v32|, -0.5
	v_add_f32_e32 v36, -1.0, v37
	v_fmac_f32_e32 v34, v35, v36
.LBB14_133:                             ;   in Loop: Header=BB14_4 Depth=1
	s_or_b32 exec_lo, exec_lo, s40
.LBB14_134:                             ;   in Loop: Header=BB14_4 Depth=1
	s_and_not1_saveexec_b32 s40, s9
	s_cbranch_execz .LBB14_136
; %bb.135:                              ;   in Loop: Header=BB14_4 Depth=1
	v_cvt_i32_f32_e32 v35, v33
	s_delay_alu instid0(VALU_DEP_1) | instskip(SKIP_1) | instid1(VALU_DEP_2)
	v_cvt_f32_i32_e32 v34, v35
	v_cmp_lt_i32_e64 s8, 3, v35
	v_sub_f32_e64 v34, |v32|, v34
	s_delay_alu instid0(VALU_DEP_1) | instskip(NEXT) | instid1(VALU_DEP_1)
	v_pk_add_f32 v[36:37], v[34:35], v[16:17] op_sel_hi:[0,1]
	v_dual_add_f32 v38, 4.0, v34 :: v_dual_cndmask_b32 v37, 1.0, v37, s8
	v_cmp_lt_i32_e64 s8, 2, v35
	s_delay_alu instid0(VALU_DEP_1) | instskip(SKIP_1) | instid1(VALU_DEP_1)
	v_cndmask_b32_e64 v36, 1.0, v36, s8
	v_cmp_lt_i32_e64 s8, 4, v35
	v_cndmask_b32_e64 v38, 1.0, v38, s8
	s_delay_alu instid0(VALU_DEP_3) | instskip(SKIP_1) | instid1(VALU_DEP_2)
	v_dual_add_f32 v39, 0x40a00000, v34 :: v_dual_mul_f32 v36, v36, v37
	v_cmp_lt_i32_e64 s8, 5, v35
	v_dual_add_f32 v37, 0x40c00000, v34 :: v_dual_mul_f32 v36, v38, v36
	s_delay_alu instid0(VALU_DEP_2) | instskip(SKIP_2) | instid1(VALU_DEP_2)
	v_cndmask_b32_e64 v39, 1.0, v39, s8
	v_cmp_lt_i32_e64 s8, 6, v35
	v_fmaak_f32 v38, s26, v34, 0x3af135b4
	v_dual_cndmask_b32 v35, 1.0, v37, s8 :: v_dual_mul_f32 v36, v39, v36
	s_delay_alu instid0(VALU_DEP_1) | instskip(NEXT) | instid1(VALU_DEP_1)
	v_dual_mul_f32 v35, v35, v36 :: v_dual_fmaak_f32 v36, s27, v34, 0x3a4beed6
	v_cmp_gt_f32_e64 s8, 0x800000, v35
	s_delay_alu instid0(VALU_DEP_2) | instskip(NEXT) | instid1(VALU_DEP_2)
	v_fmaak_f32 v36, v34, v36, 0x3c98bf54
	v_cndmask_b32_e64 v37, 0, 32, s8
	s_delay_alu instid0(VALU_DEP_2) | instskip(NEXT) | instid1(VALU_DEP_2)
	v_fmaak_f32 v36, v34, v36, 0x3e300f6e
	v_ldexp_f32 v35, v35, v37
	v_fmaak_f32 v37, v34, v38, 0x3cda40e4
	s_delay_alu instid0(VALU_DEP_3) | instskip(NEXT) | instid1(VALU_DEP_3)
	v_fmaak_f32 v36, v34, v36, 0x3f38d0c5
	v_log_f32_e32 v35, v35
	s_delay_alu instid0(VALU_DEP_2) | instskip(NEXT) | instid1(VALU_DEP_2)
	v_fmaak_f32 v37, v34, v37, 0x3e15dce6
	v_fmaak_f32 v36, v34, v36, 0x3fb22d3b
	s_delay_alu instid0(VALU_DEP_2) | instskip(NEXT) | instid1(TRANS32_DEP_1)
	v_fmaak_f32 v37, v34, v37, 0x3ea6cc7a
	v_mul_f32_e32 v38, 0x3f317217, v35
	s_delay_alu instid0(VALU_DEP_3) | instskip(SKIP_1) | instid1(VALU_DEP_4)
	v_fma_f32 v36, v34, v36, 1.0
	v_cmp_gt_f32_e64 s9, 0x7f800000, |v35|
	v_fmaak_f32 v37, v34, v37, 0x3e5c245a
	s_delay_alu instid0(VALU_DEP_4) | instskip(NEXT) | instid1(VALU_DEP_4)
	v_fma_f32 v39, 0x3f317217, v35, -v38
	v_rcp_f32_e32 v36, v36
	s_delay_alu instid0(VALU_DEP_2) | instskip(NEXT) | instid1(VALU_DEP_1)
	v_fmaak_f32 v37, v34, v37, 0xbd9e233f
	v_mul_f32_e32 v37, v34, v37
	s_delay_alu instid0(TRANS32_DEP_1) | instid1(VALU_DEP_1)
	v_dual_fmac_f32 v39, 0x3377d1cf, v35 :: v_dual_mul_f32 v36, v37, v36
	v_cndmask_b32_e64 v37, 0, 0x41b17218, s8
	s_delay_alu instid0(VALU_DEP_2) | instskip(NEXT) | instid1(VALU_DEP_1)
	v_dual_add_f32 v38, v38, v39 :: v_dual_fmac_f32 v36, 0.5, v34
	v_cndmask_b32_e64 v35, v35, v38, s9
	s_delay_alu instid0(VALU_DEP_1) | instskip(NEXT) | instid1(VALU_DEP_1)
	v_sub_f32_e32 v34, v35, v37
	v_add_f32_e32 v34, v34, v36
.LBB14_136:                             ;   in Loop: Header=BB14_4 Depth=1
	s_or_b32 exec_lo, exec_lo, s40
.LBB14_137:                             ;   in Loop: Header=BB14_4 Depth=1
	s_and_not1_saveexec_b32 s39, s39
	s_cbranch_execz .LBB14_155
; %bb.138:                              ;   in Loop: Header=BB14_4 Depth=1
                                        ; implicit-def: $vgpr34
                                        ; implicit-def: $vgpr36
                                        ; implicit-def: $vgpr35
	s_mov_b32 s9, exec_lo
	v_cmpx_ge_f32_e64 0x3f666666, |v32|
	s_xor_b32 s40, exec_lo, s9
	s_cbranch_execz .LBB14_140
; %bb.139:                              ;   in Loop: Header=BB14_4 Depth=1
	v_cmp_gt_f32_e64 s9, 0x800000, |v32|
	v_sub_f32_e64 v37, 1.0, |v32|
	v_cmp_gt_f32_e64 s8, 0x3f3b4a23, |v32|
	s_delay_alu instid0(VALU_DEP_3) | instskip(SKIP_1) | instid1(VALU_DEP_2)
	v_cndmask_b32_e64 v34, 0, 32, s9
	v_cndmask_b32_e64 v38, 0, 0x41b17218, s9
	v_ldexp_f32 v34, |v32|, v34
	s_delay_alu instid0(VALU_DEP_1) | instskip(SKIP_1) | instid1(TRANS32_DEP_1)
	v_log_f32_e32 v34, v34
	v_nop
	v_mul_f32_e32 v35, 0x3f317217, v34
	v_cmp_gt_f32_e64 s9, 0x7f800000, |v34|
	s_delay_alu instid0(VALU_DEP_2) | instskip(NEXT) | instid1(VALU_DEP_1)
	v_fma_f32 v36, 0x3f317217, v34, -v35
	v_fmac_f32_e32 v36, 0x3377d1cf, v34
	s_delay_alu instid0(VALU_DEP_1) | instskip(SKIP_1) | instid1(VALU_DEP_1)
	v_add_f32_e32 v35, v35, v36
	v_add_f32_e64 v36, 0xbeec5b0c, |v32|
	v_dual_cndmask_b32 v34, v34, v35, s9 :: v_dual_cndmask_b32 v35, v37, v36, s8
	v_cndmask_b32_e64 v36, 0, 1, s8
	v_cmp_gt_f32_e64 s8, 0x3e6d3309, |v32|
	s_delay_alu instid0(VALU_DEP_3) | instskip(NEXT) | instid1(VALU_DEP_2)
	v_sub_f32_e32 v34, v34, v38
	v_cndmask_b32_e64 v35, v35, |v32|, s8
	s_delay_alu instid0(VALU_DEP_4) | instskip(NEXT) | instid1(VALU_DEP_3)
	v_cndmask_b32_e64 v36, v36, 2, s8
	v_xor_b32_e32 v34, 0x80000000, v34
.LBB14_140:                             ;   in Loop: Header=BB14_4 Depth=1
	s_and_not1_saveexec_b32 s9, s40
	s_cbranch_execz .LBB14_142
; %bb.141:                              ;   in Loop: Header=BB14_4 Depth=1
	v_sub_f32_e64 v34, 2.0, |v32|
	v_add_f32_e64 v35, 0xbfbb16c3, |v32|
	v_cmp_gt_f32_e64 s8, 0x3fdda512, |v32|
	v_add_f32_e64 v36, |v32|, -1.0
	s_delay_alu instid0(VALU_DEP_2) | instskip(SKIP_2) | instid1(VALU_DEP_2)
	v_cndmask_b32_e64 v35, v34, v35, s8
	v_cndmask_b32_e64 v34, v34, 1.0, s8
	v_cmp_gt_f32_e64 s8, 0x3f9d70a4, |v32|
	v_cvt_i32_f32_e32 v34, v34
	s_delay_alu instid0(VALU_DEP_2) | instskip(NEXT) | instid1(VALU_DEP_2)
	v_cndmask_b32_e64 v35, v35, v36, s8
	v_cndmask_b32_e64 v36, v34, 2, s8
	v_mov_b32_e32 v34, 0
.LBB14_142:                             ;   in Loop: Header=BB14_4 Depth=1
	s_or_b32 exec_lo, exec_lo, s9
	s_delay_alu instid0(SALU_CYCLE_1) | instskip(NEXT) | instid1(VALU_DEP_2)
	s_mov_b32 s9, exec_lo
	v_cmpx_lt_i32_e32 0, v36
	s_xor_b32 s9, exec_lo, s9
	s_cbranch_execz .LBB14_150
; %bb.143:                              ;   in Loop: Header=BB14_4 Depth=1
	s_mov_b32 s40, exec_lo
	v_cmpx_lt_i32_e32 1, v36
	s_xor_b32 s40, exec_lo, s40
	s_cbranch_execz .LBB14_147
; %bb.144:                              ;   in Loop: Header=BB14_4 Depth=1
	s_mov_b32 s41, exec_lo
	v_cmpx_eq_u32_e32 2, v36
	s_cbranch_execz .LBB14_146
; %bb.145:                              ;   in Loop: Header=BB14_4 Depth=1
	v_fmaak_f32 v37, s28, v35, 0x3e6a7578
	s_delay_alu instid0(VALU_DEP_1) | instskip(NEXT) | instid1(VALU_DEP_1)
	v_fmaak_f32 v37, v35, v37, 0x3f7a4bb2
	v_fmaak_f32 v37, v35, v37, 0x3fba3ae7
	s_delay_alu instid0(VALU_DEP_1) | instskip(NEXT) | instid1(VALU_DEP_1)
	v_fmaak_f32 v37, v35, v37, 0x3f2200f4
	v_fmaak_f32 v37, v35, v37, 0xbd9e233f
	s_delay_alu instid0(VALU_DEP_1) | instskip(NEXT) | instid1(VALU_DEP_1)
	v_dual_fmaak_f32 v36, s29, v35, 0x3dd572af :: v_dual_mul_f32 v37, v35, v37
	v_fmaak_f32 v36, v35, v36, 0x3f44efdf
	s_delay_alu instid0(VALU_DEP_1) | instskip(NEXT) | instid1(VALU_DEP_1)
	v_fmaak_f32 v36, v35, v36, 0x4008392d
	v_fmaak_f32 v36, v35, v36, 0x401d2ebe
	s_delay_alu instid0(VALU_DEP_1) | instskip(NEXT) | instid1(VALU_DEP_1)
	v_fma_f32 v36, v35, v36, 1.0
	v_rcp_f32_e32 v36, v36
	v_nop
	s_delay_alu instid0(TRANS32_DEP_1) | instskip(NEXT) | instid1(VALU_DEP_1)
	v_mul_f32_e32 v36, v37, v36
	v_fmac_f32_e32 v36, -0.5, v35
	s_delay_alu instid0(VALU_DEP_1)
	v_add_f32_e32 v34, v34, v36
.LBB14_146:                             ;   in Loop: Header=BB14_4 Depth=1
	s_or_b32 exec_lo, exec_lo, s41
                                        ; implicit-def: $vgpr35
.LBB14_147:                             ;   in Loop: Header=BB14_4 Depth=1
	s_and_not1_saveexec_b32 s8, s40
	s_cbranch_execz .LBB14_149
; %bb.148:                              ;   in Loop: Header=BB14_4 Depth=1
	v_mul_f32_e32 v36, v35, v35
	s_delay_alu instid0(VALU_DEP_1) | instskip(NEXT) | instid1(VALU_DEP_1)
	v_mul_f32_e32 v37, v35, v36
	v_fmaak_f32 v38, s31, v37, 0x3a66f867
	v_fmaak_f32 v39, s33, v37, 0xba0d3085
	s_delay_alu instid0(VALU_DEP_2) | instskip(NEXT) | instid1(VALU_DEP_2)
	v_fmaak_f32 v38, v37, v38, 0xbb7177fe
	v_fmaak_f32 v39, v37, v39, 0x3b141699
	s_delay_alu instid0(VALU_DEP_2) | instskip(NEXT) | instid1(VALU_DEP_2)
	;; [unrolled: 3-line block ×3, first 2 shown]
	v_fmaak_f32 v38, v37, v38, 0xbe17213c
	v_fmaak_f32 v39, v37, v39, 0x3d845a15
	s_delay_alu instid0(VALU_DEP_1) | instskip(SKIP_1) | instid1(VALU_DEP_1)
	v_fmac_f32_e32 v38, v35, v39
	v_fmaak_f32 v40, s30, v37, 0xbab7f476
	v_fmaak_f32 v40, v37, v40, 0x3bc7e707
	s_delay_alu instid0(VALU_DEP_1) | instskip(NEXT) | instid1(VALU_DEP_1)
	v_fmaak_f32 v40, v37, v40, 0xbd064d47
	v_fmaak_f32 v35, v37, v40, 0x3ef7b95e
	v_fma_f32 v37, v37, -v38, 0xa2863e55
	s_delay_alu instid0(VALU_DEP_1) | instskip(NEXT) | instid1(VALU_DEP_1)
	v_fma_f32 v35, v36, v35, -v37
	v_add_f32_e32 v35, 0xbdf8cdce, v35
	s_delay_alu instid0(VALU_DEP_1)
	v_add_f32_e32 v34, v34, v35
.LBB14_149:                             ;   in Loop: Header=BB14_4 Depth=1
	s_or_b32 exec_lo, exec_lo, s8
                                        ; implicit-def: $vgpr36
                                        ; implicit-def: $vgpr35
.LBB14_150:                             ;   in Loop: Header=BB14_4 Depth=1
	s_and_not1_saveexec_b32 s9, s9
	s_cbranch_execz .LBB14_154
; %bb.151:                              ;   in Loop: Header=BB14_4 Depth=1
	s_mov_b32 s40, exec_lo
	v_cmpx_eq_u32_e32 0, v36
	s_cbranch_execz .LBB14_153
; %bb.152:                              ;   in Loop: Header=BB14_4 Depth=1
	v_mul_f32_e32 v36, v35, v35
	s_delay_alu instid0(VALU_DEP_1) | instskip(NEXT) | instid1(VALU_DEP_1)
	v_fmaak_f32 v38, s34, v36, 0x39679767
	v_fmaak_f32 v38, v36, v38, 0x3a9c54a1
	s_delay_alu instid0(VALU_DEP_1) | instskip(NEXT) | instid1(VALU_DEP_1)
	v_fmaak_f32 v38, v36, v38, 0x3bf2027e
	v_fmaak_f32 v38, v36, v38, 0x3d89f001
	s_delay_alu instid0(VALU_DEP_1) | instskip(SKIP_1) | instid1(VALU_DEP_1)
	v_fmaak_f32 v38, v36, v38, 0x3d9e233f
	v_fmaak_f32 v37, s35, v36, 0x38e28445
	;; [unrolled: 1-line block ×3, first 2 shown]
	s_delay_alu instid0(VALU_DEP_1) | instskip(NEXT) | instid1(VALU_DEP_1)
	v_fmaak_f32 v37, v36, v37, 0x3b3d6ec6
	v_fmaak_f32 v37, v36, v37, 0x3ca89915
	s_delay_alu instid0(VALU_DEP_1) | instskip(NEXT) | instid1(VALU_DEP_1)
	v_fmaak_f32 v37, v36, v37, 0x3ea51a66
	v_mul_f32_e32 v36, v36, v37
	s_delay_alu instid0(VALU_DEP_1) | instskip(NEXT) | instid1(VALU_DEP_1)
	v_fmac_f32_e32 v36, v35, v38
	v_fmac_f32_e32 v36, -0.5, v35
	s_delay_alu instid0(VALU_DEP_1)
	v_add_f32_e32 v34, v34, v36
.LBB14_153:                             ;   in Loop: Header=BB14_4 Depth=1
	s_or_b32 exec_lo, exec_lo, s40
.LBB14_154:                             ;   in Loop: Header=BB14_4 Depth=1
	s_delay_alu instid0(SALU_CYCLE_1)
	s_or_b32 exec_lo, exec_lo, s9
.LBB14_155:                             ;   in Loop: Header=BB14_4 Depth=1
	s_delay_alu instid0(SALU_CYCLE_1)
	s_or_b32 exec_lo, exec_lo, s39
.LBB14_156:                             ;   in Loop: Header=BB14_4 Depth=1
	s_and_not1_saveexec_b32 s9, s10
	s_cbranch_execz .LBB14_158
; %bb.157:                              ;   in Loop: Header=BB14_4 Depth=1
	v_cmp_gt_f32_e64 s10, 0x800000, |v32|
	v_fma_f32 v37, |v32|, s36, 0xbecd26ab
	s_delay_alu instid0(VALU_DEP_2) | instskip(NEXT) | instid1(VALU_DEP_1)
	v_cndmask_b32_e64 v34, 0, 32, s10
	v_ldexp_f32 v34, |v32|, v34
	s_delay_alu instid0(VALU_DEP_1) | instskip(SKIP_1) | instid1(TRANS32_DEP_1)
	v_log_f32_e32 v34, v34
	v_nop
	v_mul_f32_e32 v35, 0x3f317217, v34
	v_cmp_gt_f32_e64 s8, 0x7f800000, |v34|
	s_delay_alu instid0(VALU_DEP_2) | instskip(NEXT) | instid1(VALU_DEP_1)
	v_fma_f32 v36, 0x3f317217, v34, -v35
	v_fmac_f32_e32 v36, 0x3377d1cf, v34
	s_delay_alu instid0(VALU_DEP_1) | instskip(SKIP_1) | instid1(VALU_DEP_2)
	v_add_f32_e32 v35, v35, v36
	v_fma_f32 v36, |v32|, v37, 0x3f528d33
	v_cndmask_b32_e64 v34, v34, v35, s8
	v_cndmask_b32_e64 v35, 0, 0x41b17218, s10
	s_delay_alu instid0(VALU_DEP_3) | instskip(NEXT) | instid1(VALU_DEP_2)
	v_fma_f32 v36, |v32|, v36, 0xbf13c468
	v_sub_f32_e32 v34, v34, v35
	s_delay_alu instid0(VALU_DEP_1)
	v_fma_f32 v34, |v32|, v36, -v34
.LBB14_158:                             ;   in Loop: Header=BB14_4 Depth=1
	s_or_b32 exec_lo, exec_lo, s9
	v_cmp_le_f16_e64 s8, 0, v23
	s_mov_b32 s10, exec_lo
	v_cmpx_nle_f16_e32 0, v23
	s_xor_b32 s39, exec_lo, s10
	s_cbranch_execnz .LBB14_164
; %bb.159:                              ;   in Loop: Header=BB14_4 Depth=1
	s_and_not1_saveexec_b32 s39, s39
	s_cbranch_execnz .LBB14_167
.LBB14_160:                             ;   in Loop: Header=BB14_4 Depth=1
	s_or_b32 exec_lo, exec_lo, s39
	s_and_saveexec_b32 s9, s4
	s_delay_alu instid0(SALU_CYCLE_1)
	s_xor_b32 s9, exec_lo, s9
	s_cbranch_execnz .LBB14_168
.LBB14_161:                             ;   in Loop: Header=BB14_4 Depth=1
	s_or_b32 exec_lo, exec_lo, s9
	s_and_saveexec_b32 s4, s3
	s_cbranch_execnz .LBB14_169
.LBB14_162:                             ;   in Loop: Header=BB14_4 Depth=1
	s_or_b32 exec_lo, exec_lo, s4
	s_and_saveexec_b32 s3, s2
	s_cbranch_execnz .LBB14_170
.LBB14_163:                             ;   in Loop: Header=BB14_4 Depth=1
	s_or_b32 exec_lo, exec_lo, s3
	s_and_saveexec_b32 s2, vcc_lo
	s_cbranch_execz .LBB14_3
	s_branch .LBB14_171
.LBB14_164:                             ;   in Loop: Header=BB14_4 Depth=1
	v_cmp_gt_f32_e64 s9, 0x4b000000, |v32|
	v_cmp_lt_f32_e64 s10, 0x35000000, |v32|
	s_and_b32 s9, s9, s10
	s_delay_alu instid0(SALU_CYCLE_1)
	s_and_saveexec_b32 s40, s9
	s_cbranch_execz .LBB14_166
; %bb.165:                              ;   in Loop: Header=BB14_4 Depth=1
	v_mul_f32_e64 v35, |v32|, 0.5
	v_xor_b32_e32 v33, v33, v32
	s_delay_alu instid0(VALU_DEP_2) | instskip(SKIP_1) | instid1(VALU_DEP_2)
	v_floor_f32_e32 v36, v35
	v_cmp_neq_f32_e64 s9, 0x7f800000, v35
	v_sub_f32_e32 v36, v35, v36
	s_delay_alu instid0(VALU_DEP_1) | instskip(NEXT) | instid1(VALU_DEP_1)
	v_min_num_f32_e32 v36, 0x3f7fffff, v36
	v_add_f32_e32 v36, v36, v36
	s_delay_alu instid0(VALU_DEP_1) | instskip(SKIP_1) | instid1(VALU_DEP_1)
	v_cndmask_b32_e64 v35, 0, v36, s9
	v_cmp_gt_f32_e64 s9, |v32|, 1.0
	v_cndmask_b32_e64 v35, |v32|, v35, s9
	s_delay_alu instid0(VALU_DEP_1) | instskip(NEXT) | instid1(VALU_DEP_1)
	v_add_f32_e32 v36, v35, v35
	v_rndne_f32_e32 v36, v36
	s_delay_alu instid0(VALU_DEP_1) | instskip(SKIP_1) | instid1(VALU_DEP_2)
	v_fmac_f32_e32 v35, -0.5, v36
	v_cvt_i32_f32_e32 v36, v36
	v_mul_f32_e32 v37, v35, v35
	s_delay_alu instid0(VALU_DEP_1) | instskip(SKIP_1) | instid1(VALU_DEP_2)
	v_fmaak_f32 v38, s37, v37, 0xbf1f24be
	v_dual_fmaak_f32 v39, s38, v37, 0x3e642e9d :: v_dual_mul_f32 v40, v35, v37
	v_fmaak_f32 v38, v37, v38, 0x40234736
	s_delay_alu instid0(VALU_DEP_2) | instskip(NEXT) | instid1(VALU_DEP_2)
	v_fmaak_f32 v39, v37, v39, 0xbfaad1da
	v_fmaak_f32 v38, v37, v38, 0xc0a55e0e
	s_delay_alu instid0(VALU_DEP_1) | instskip(NEXT) | instid1(VALU_DEP_1)
	v_mul_f32_e32 v38, v40, v38
	v_fmac_f32_e32 v38, 0x40490fdb, v35
	v_dual_lshlrev_b32 v36, 30, v36 :: v_dual_bitop2_b32 v40, 1, v36 bitop3:0x40
	v_fmaak_f32 v39, v37, v39, 0x4081e0d3
	s_delay_alu instid0(VALU_DEP_2) | instskip(NEXT) | instid1(VALU_DEP_3)
	v_cmp_eq_u32_e64 s9, 0, v40
	v_and_b32_e32 v36, 0x80000000, v36
	s_delay_alu instid0(VALU_DEP_3) | instskip(NEXT) | instid1(VALU_DEP_1)
	v_fmaak_f32 v39, v37, v39, 0xc09de9e6
	v_fma_f32 v35, v37, v39, 1.0
	s_delay_alu instid0(VALU_DEP_1) | instskip(NEXT) | instid1(VALU_DEP_1)
	v_cndmask_b32_e64 v35, v35, v38, s9
	v_xor3_b32 v33, v33, v36, v35
	s_delay_alu instid0(VALU_DEP_1) | instskip(NEXT) | instid1(VALU_DEP_1)
	v_mul_f32_e32 v33, v32, v33
	v_frexp_mant_f32_e64 v35, |v33|
	v_frexp_exp_i32_f32_e32 v33, v33
	s_delay_alu instid0(VALU_DEP_2) | instskip(NEXT) | instid1(VALU_DEP_1)
	v_rcp_f32_e32 v35, v35
	v_sub_nc_u32_e32 v33, 2, v33
	s_delay_alu instid0(TRANS32_DEP_1) | instskip(NEXT) | instid1(VALU_DEP_1)
	v_mul_f32_e32 v35, 0x3f490fdb, v35
	v_ldexp_f32 v33, v35, v33
	s_delay_alu instid0(VALU_DEP_1) | instskip(NEXT) | instid1(VALU_DEP_1)
	v_cmp_gt_f32_e64 s9, 0x800000, v33
	v_cndmask_b32_e64 v35, 0, 32, s9
	s_delay_alu instid0(VALU_DEP_1) | instskip(NEXT) | instid1(VALU_DEP_1)
	v_ldexp_f32 v33, v33, v35
	v_log_f32_e32 v33, v33
	v_nop
	s_delay_alu instid0(TRANS32_DEP_1) | instskip(SKIP_1) | instid1(VALU_DEP_2)
	v_mul_f32_e32 v35, 0x3f317217, v33
	v_cmp_gt_f32_e64 s10, 0x7f800000, |v33|
	v_fma_f32 v36, 0x3f317217, v33, -v35
	s_delay_alu instid0(VALU_DEP_1) | instskip(NEXT) | instid1(VALU_DEP_1)
	v_fmac_f32_e32 v36, 0x3377d1cf, v33
	v_add_f32_e32 v35, v35, v36
	v_floor_f32_e32 v36, v32
	s_delay_alu instid0(VALU_DEP_2) | instskip(SKIP_1) | instid1(VALU_DEP_1)
	v_cndmask_b32_e64 v33, v33, v35, s10
	v_cndmask_b32_e64 v35, 0, 0x41b17218, s9
	v_dual_sub_f32 v36, v32, v36 :: v_dual_sub_f32 v33, v33, v35
	s_delay_alu instid0(VALU_DEP_1) | instskip(NEXT) | instid1(VALU_DEP_2)
	v_min_num_f32_e32 v35, 0x3f7fffff, v36
	v_sub_f32_e32 v33, v33, v34
	s_delay_alu instid0(VALU_DEP_2) | instskip(NEXT) | instid1(VALU_DEP_1)
	v_cmp_neq_f32_e64 s9, 0, v35
	v_cndmask_b32_e64 v34, 0x7f800000, v33, s9
.LBB14_166:                             ;   in Loop: Header=BB14_4 Depth=1
	s_or_b32 exec_lo, exec_lo, s40
	s_and_not1_saveexec_b32 s39, s39
	s_cbranch_execz .LBB14_160
.LBB14_167:                             ;   in Loop: Header=BB14_4 Depth=1
	v_cmp_eq_f16_e64 s9, 1.0, v23
	v_cmp_eq_f16_e64 s10, 2.0, v23
	s_or_b32 s9, s9, s10
	s_delay_alu instid0(SALU_CYCLE_1) | instskip(SKIP_2) | instid1(SALU_CYCLE_1)
	v_cndmask_b32_e64 v34, v34, 0, s9
	s_or_b32 exec_lo, exec_lo, s39
	s_and_saveexec_b32 s9, s4
	s_xor_b32 s9, exec_lo, s9
	s_cbranch_execz .LBB14_161
.LBB14_168:                             ;   in Loop: Header=BB14_4 Depth=1
	v_cmp_gt_f32_e64 s4, 0x4b000000, |v26|
	v_cvt_f16_f32_e32 v27, v27
	s_or_b32 s4, s5, s4
	s_delay_alu instid0(VALU_DEP_1) | instid1(SALU_CYCLE_1)
	v_cndmask_b32_e64 v27, 0x7c00, v27, s4
	v_cmp_class_f32_e64 s4, v26, 0x264
	s_delay_alu instid0(VALU_DEP_1) | instskip(SKIP_1) | instid1(VALU_DEP_1)
	v_cndmask_b32_e64 v26, v27, 0x7c00, s4
	v_cmp_u_f16_e64 s4, v25, v25
	v_cndmask_b32_e64 v25, v26, v25, s4
	global_store_b16 v[8:9], v25, off
	s_wait_xcnt 0x0
	s_or_b32 exec_lo, exec_lo, s9
	s_and_saveexec_b32 s4, s3
	s_cbranch_execz .LBB14_162
.LBB14_169:                             ;   in Loop: Header=BB14_4 Depth=1
	v_cmp_gt_f32_e64 s3, 0x4b000000, |v28|
	v_cvt_f16_f32_e32 v25, v29
	s_or_b32 s3, s6, s3
	s_delay_alu instid0(VALU_DEP_1) | instid1(SALU_CYCLE_1)
	v_cndmask_b32_e64 v25, 0x7c00, v25, s3
	v_cmp_class_f32_e64 s3, v28, 0x264
	s_delay_alu instid0(VALU_DEP_1) | instskip(SKIP_1) | instid1(VALU_DEP_1)
	v_cndmask_b32_e64 v25, v25, 0x7c00, s3
	v_cmp_u_f16_e64 s3, v24, v24
	v_cndmask_b32_e64 v24, v25, v24, s3
	global_store_b16 v[14:15], v24, off
	s_wait_xcnt 0x0
	s_or_b32 exec_lo, exec_lo, s4
	s_and_saveexec_b32 s3, s2
	s_cbranch_execz .LBB14_163
.LBB14_170:                             ;   in Loop: Header=BB14_4 Depth=1
	v_cmp_gt_f32_e64 s2, 0x4b000000, |v30|
	v_cvt_f16_f32_e32 v24, v31
	s_or_b32 s2, s7, s2
	s_delay_alu instid0(VALU_DEP_1) | instid1(SALU_CYCLE_1)
	v_cndmask_b32_e64 v24, 0x7c00, v24, s2
	v_cmp_class_f32_e64 s2, v30, 0x264
	s_delay_alu instid0(VALU_DEP_1) | instskip(SKIP_1) | instid1(VALU_DEP_1)
	v_cndmask_b32_e64 v24, v24, 0x7c00, s2
	v_cmp_u_f16_e64 s2, v22, v22
	v_cndmask_b32_e64 v22, v24, v22, s2
	global_store_b16 v[20:21], v22, off
	s_wait_xcnt 0x0
	s_or_b32 exec_lo, exec_lo, s3
	s_and_saveexec_b32 s2, vcc_lo
	s_cbranch_execz .LBB14_3
.LBB14_171:                             ;   in Loop: Header=BB14_4 Depth=1
	v_cmp_gt_f32_e64 s3, 0x4b000000, |v32|
	v_cvt_f16_f32_e32 v20, v34
	s_or_b32 vcc_lo, s8, s3
	v_cmp_class_f32_e64 s3, v32, 0x264
	s_delay_alu instid0(VALU_DEP_2) | instskip(SKIP_1) | instid1(VALU_DEP_2)
	v_cndmask_b32_e32 v20, 0x7c00, v20, vcc_lo
	v_cmp_u_f16_e32 vcc_lo, v23, v23
	v_cndmask_b32_e64 v20, v20, 0x7c00, s3
	s_delay_alu instid0(VALU_DEP_1)
	v_cndmask_b32_e32 v20, v20, v23, vcc_lo
	global_store_b16 v[18:19], v20, off
	s_branch .LBB14_3
.LBB14_172:
	s_cbranch_execz .LBB14_174
	s_branch .LBB14_329
.LBB14_173:
.LBB14_174:
	v_min_i64 v[2:3], 0x10000, s[16:17]
	v_dual_mov_b32 v5, 0 :: v_dual_lshlrev_b32 v4, 2, v0
	s_mov_b32 s2, exec_lo
	s_delay_alu instid0(VALU_DEP_1)
	v_cmpx_lt_i64_e64 v[4:5], v[2:3]
	s_cbranch_execz .LBB14_329
; %bb.175:
	s_load_b32 s2, s[0:1], 0xd3c
	v_dual_mov_b32 v1, v5 :: v_dual_lshlrev_b32 v4, 3, v0
	s_wait_xcnt 0x0
	s_add_nc_u64 s[0:1], s[12:13], s[14:15]
	s_mov_b32 s7, 0
	s_mov_b32 s5, 0xbad5c4e8
	;; [unrolled: 1-line block ×3, first 2 shown]
	v_add_nc_u64_e32 v[6:7], s[0:1], v[4:5]
	v_mov_b64_e32 v[4:5], 0x4040000040000000
	s_mov_b32 s11, 0x36f5d7bd
	s_mov_b32 s12, 0x3c5b3c5e
	;; [unrolled: 1-line block ×5, first 2 shown]
	v_add_nc_u64_e32 v[6:7], 4, v[6:7]
	s_mov_b32 s16, 0x39afe9f7
	s_mov_b32 s17, 0x37d383a2
	;; [unrolled: 1-line block ×5, first 2 shown]
	s_wait_kmcnt 0x0
	s_and_b32 s6, s2, 0xffff
	s_mov_b32 s9, s7
	s_lshl_b32 s8, s6, 3
	s_mov_b32 s21, 0x3d4be544
	s_mov_b32 s22, s7
	s_branch .LBB14_177
.LBB14_176:                             ;   in Loop: Header=BB14_177 Depth=1
	s_or_b32 exec_lo, exec_lo, s23
	v_cmp_gt_f32_e64 s3, 0x4b000000, |v15|
	v_cvt_f16_f32_e32 v16, v16
	v_cmp_gt_f32_e64 s4, 0x4b000000, |v13|
	v_cvt_f16_f32_e32 v14, v14
	v_cmp_class_f32_e64 s23, v15, 0x264
	s_or_b32 s1, s1, s3
	v_cvt_f16_f32_e32 v11, v11
	v_cndmask_b32_e64 v16, 0x7c00, v16, s1
	s_or_b32 s0, s0, s4
	v_cmp_gt_f32_e64 s1, 0x4b000000, |v10|
	v_cndmask_b32_e64 v14, 0x7c00, v14, s0
	v_cmp_u_f16_e64 s0, v9, v9
	v_cndmask_b32_e64 v15, v16, 0x7c00, s23
	v_cmp_gt_f32_e64 s3, 0x4b000000, |v18|
	s_or_b32 vcc_lo, vcc_lo, s1
	v_cvt_f16_f32_e32 v16, v20
	v_add_nc_u64_e32 v[0:1], s[6:7], v[0:1]
	v_cndmask_b32_e64 v15, v15, v9, s0
	v_cmp_class_f32_e64 s0, v13, 0x264
	v_cndmask_b32_e32 v9, 0x7c00, v11, vcc_lo
	s_or_b32 vcc_lo, s2, s3
	v_cndmask_b32_e32 v11, 0x7c00, v16, vcc_lo
	v_cndmask_b32_e64 v13, v14, 0x7c00, s0
	v_cmp_class_f32_e64 s0, v10, 0x264
	v_cmp_u_f16_e32 vcc_lo, v12, v12
	s_delay_alu instid0(VALU_DEP_2) | instskip(SKIP_3) | instid1(VALU_DEP_3)
	v_cndmask_b32_e64 v9, v9, 0x7c00, s0
	v_cmp_class_f32_e64 s0, v18, 0x264
	v_cndmask_b32_e32 v12, v13, v12, vcc_lo
	v_cmp_u_f16_e32 vcc_lo, v17, v17
	v_cndmask_b32_e64 v10, v11, 0x7c00, s0
	s_delay_alu instid0(VALU_DEP_1) | instskip(SKIP_3) | instid1(VALU_DEP_4)
	v_cndmask_b32_e32 v10, v10, v17, vcc_lo
	v_cmp_u_f16_e32 vcc_lo, v8, v8
	v_cndmask_b32_e32 v13, v9, v8, vcc_lo
	v_lshlrev_b64_e32 v[8:9], 2, v[0:1]
	v_perm_b32 v11, v10, v15, 0x5040100
	s_delay_alu instid0(VALU_DEP_3) | instskip(NEXT) | instid1(VALU_DEP_3)
	v_perm_b32 v10, v12, v13, 0x5040100
	v_cmp_ge_i64_e32 vcc_lo, v[8:9], v[2:3]
	global_store_b64 v[6:7], v[10:11], off offset:-4
	s_wait_xcnt 0x0
	v_add_nc_u64_e32 v[6:7], s[8:9], v[6:7]
	s_or_b32 s22, vcc_lo, s22
	s_delay_alu instid0(SALU_CYCLE_1)
	s_and_not1_b32 exec_lo, exec_lo, s22
	s_cbranch_execz .LBB14_329
.LBB14_177:                             ; =>This Inner Loop Header: Depth=1
	global_load_b64 v[8:9], v[6:7], off offset:-4
	s_mov_b32 s1, exec_lo
                                        ; implicit-def: $vgpr11
	s_wait_loadcnt 0x0
	v_cvt_f32_f16_e32 v10, v8
	s_delay_alu instid0(VALU_DEP_1)
	v_and_b32_e32 v12, 0x7fffffff, v10
	s_wait_xcnt 0x0
	v_cmpx_ngt_f32_e64 0x3c800000, |v10|
	s_xor_b32 s1, exec_lo, s1
	s_cbranch_execz .LBB14_207
; %bb.178:                              ;   in Loop: Header=BB14_177 Depth=1
	s_mov_b32 s2, exec_lo
                                        ; implicit-def: $vgpr11
	v_cmpx_nlt_f32_e64 |v10|, 2.0
	s_xor_b32 s2, exec_lo, s2
	s_cbranch_execz .LBB14_188
; %bb.179:                              ;   in Loop: Header=BB14_177 Depth=1
	v_cmp_ngt_f32_e64 s0, 0x41000000, |v10|
                                        ; implicit-def: $vgpr11
	s_and_saveexec_b32 s3, s0
	s_delay_alu instid0(SALU_CYCLE_1)
	s_xor_b32 s0, exec_lo, s3
	s_cbranch_execz .LBB14_185
; %bb.180:                              ;   in Loop: Header=BB14_177 Depth=1
	v_cmp_ngt_f32_e64 s3, 0x5c800000, |v10|
                                        ; implicit-def: $vgpr11
	s_and_saveexec_b32 s4, s3
	s_delay_alu instid0(SALU_CYCLE_1)
	s_xor_b32 s3, exec_lo, s4
	s_cbranch_execz .LBB14_182
; %bb.181:                              ;   in Loop: Header=BB14_177 Depth=1
	v_cmp_gt_f32_e64 s4, 0x800000, |v10|
	s_delay_alu instid0(VALU_DEP_1) | instskip(NEXT) | instid1(VALU_DEP_1)
	v_cndmask_b32_e64 v11, 0, 32, s4
	v_ldexp_f32 v11, |v10|, v11
	s_delay_alu instid0(VALU_DEP_1) | instskip(SKIP_1) | instid1(TRANS32_DEP_1)
	v_log_f32_e32 v11, v11
	v_nop
	v_mul_f32_e32 v13, 0x3f317217, v11
	v_cmp_gt_f32_e64 vcc_lo, 0x7f800000, |v11|
	s_delay_alu instid0(VALU_DEP_2) | instskip(NEXT) | instid1(VALU_DEP_1)
	v_fma_f32 v14, 0x3f317217, v11, -v13
	v_fmac_f32_e32 v14, 0x3377d1cf, v11
	s_delay_alu instid0(VALU_DEP_1) | instskip(NEXT) | instid1(VALU_DEP_1)
	v_add_f32_e32 v13, v13, v14
	v_cndmask_b32_e32 v11, v11, v13, vcc_lo
	v_cndmask_b32_e64 v13, 0, 0x41b17218, s4
	s_delay_alu instid0(VALU_DEP_1) | instskip(NEXT) | instid1(VALU_DEP_1)
	v_sub_f32_e32 v11, v11, v13
	v_fma_f32 v11, |v10|, v11, -|v10|
.LBB14_182:                             ;   in Loop: Header=BB14_177 Depth=1
	s_and_not1_saveexec_b32 s3, s3
	s_cbranch_execz .LBB14_184
; %bb.183:                              ;   in Loop: Header=BB14_177 Depth=1
	v_cmp_gt_f32_e64 s4, 0x800000, |v10|
	v_rcp_f32_e64 v13, |v10|
	s_delay_alu instid0(VALU_DEP_1) | instskip(NEXT) | instid1(VALU_DEP_1)
	v_cndmask_b32_e64 v11, 0, 32, s4
	v_ldexp_f32 v11, |v10|, v11
	s_delay_alu instid0(VALU_DEP_1) | instskip(SKIP_1) | instid1(TRANS32_DEP_1)
	v_log_f32_e32 v11, v11
	v_nop
	v_dual_mul_f32 v14, v13, v13 :: v_dual_mul_f32 v15, 0x3f317217, v11
	v_cmp_gt_f32_e64 vcc_lo, 0x7f800000, |v11|
	s_delay_alu instid0(VALU_DEP_2) | instskip(NEXT) | instid1(VALU_DEP_1)
	v_fma_f32 v17, 0x3f317217, v11, -v15
	v_fmac_f32_e32 v17, 0x3377d1cf, v11
	s_delay_alu instid0(VALU_DEP_1) | instskip(NEXT) | instid1(VALU_DEP_1)
	v_dual_fmaak_f32 v16, s5, v14, 0x3a5b3dd2 :: v_dual_add_f32 v15, v15, v17
	v_dual_fmaak_f32 v16, v14, v16, 0xba1c065c :: v_dual_cndmask_b32 v11, v11, v15
	v_cndmask_b32_e64 v15, 0, 0x41b17218, s4
	s_delay_alu instid0(VALU_DEP_1) | instskip(NEXT) | instid1(VALU_DEP_1)
	v_dual_fmaak_f32 v16, v14, v16, 0x3a500cfd :: v_dual_sub_f32 v15, v11, v15
	v_fmaak_f32 v16, v14, v16, 0xbb360b61
	s_delay_alu instid0(VALU_DEP_1) | instskip(NEXT) | instid1(VALU_DEP_1)
	v_fmaak_f32 v14, v14, v16, 0x3daaaaab
	v_dual_fmaak_f32 v11, v13, v14, 0x3ed67f1d :: v_dual_add_f32 v14, -1.0, v15
	v_add_f32_e64 v13, |v10|, -0.5
	s_delay_alu instid0(VALU_DEP_1)
	v_fmac_f32_e32 v11, v13, v14
.LBB14_184:                             ;   in Loop: Header=BB14_177 Depth=1
	s_or_b32 exec_lo, exec_lo, s3
.LBB14_185:                             ;   in Loop: Header=BB14_177 Depth=1
	s_and_not1_saveexec_b32 s3, s0
	s_cbranch_execz .LBB14_187
; %bb.186:                              ;   in Loop: Header=BB14_177 Depth=1
	v_cvt_i32_f32_e32 v11, v12
	s_delay_alu instid0(VALU_DEP_1) | instskip(SKIP_1) | instid1(VALU_DEP_2)
	v_cvt_f32_i32_e32 v13, v11
	v_cmp_lt_i32_e32 vcc_lo, 3, v11
	v_sub_f32_e64 v14, |v10|, v13
	s_delay_alu instid0(VALU_DEP_1) | instskip(NEXT) | instid1(VALU_DEP_1)
	v_pk_add_f32 v[16:17], v[14:15], v[4:5] op_sel_hi:[0,1]
	v_dual_add_f32 v13, 4.0, v14 :: v_dual_cndmask_b32 v15, 1.0, v17, vcc_lo
	v_cmp_lt_i32_e32 vcc_lo, 2, v11
	s_delay_alu instid0(VALU_DEP_3) | instskip(SKIP_1) | instid1(VALU_DEP_2)
	v_dual_add_f32 v17, 0x40a00000, v14 :: v_dual_cndmask_b32 v16, 1.0, v16
	v_cmp_lt_i32_e32 vcc_lo, 4, v11
	v_dual_mul_f32 v15, v16, v15 :: v_dual_cndmask_b32 v13, 1.0, v13, vcc_lo
	v_cmp_lt_i32_e32 vcc_lo, 5, v11
	s_delay_alu instid0(VALU_DEP_4) | instskip(SKIP_1) | instid1(VALU_DEP_2)
	v_dual_add_f32 v16, 0x40c00000, v14 :: v_dual_cndmask_b32 v17, 1.0, v17
	v_cmp_lt_i32_e32 vcc_lo, 6, v11
	v_dual_mul_f32 v13, v13, v15 :: v_dual_cndmask_b32 v11, 1.0, v16, vcc_lo
	s_delay_alu instid0(VALU_DEP_1) | instskip(NEXT) | instid1(VALU_DEP_1)
	v_dual_mul_f32 v13, v17, v13 :: v_dual_fmaak_f32 v16, s10, v14, 0x3af135b4
	v_mul_f32_e32 v11, v11, v13
	s_delay_alu instid0(VALU_DEP_1) | instskip(SKIP_1) | instid1(VALU_DEP_1)
	v_cmp_gt_f32_e32 vcc_lo, 0x800000, v11
	v_cndmask_b32_e64 v15, 0, 32, vcc_lo
	v_ldexp_f32 v11, v11, v15
	v_fmaak_f32 v15, v14, v16, 0x3cda40e4
	s_delay_alu instid0(VALU_DEP_2) | instskip(NEXT) | instid1(VALU_DEP_1)
	v_log_f32_e32 v11, v11
	v_fmaak_f32 v15, v14, v15, 0x3e15dce6
	s_delay_alu instid0(VALU_DEP_1) | instskip(NEXT) | instid1(TRANS32_DEP_1)
	v_fmaak_f32 v15, v14, v15, 0x3ea6cc7a
	v_cmp_gt_f32_e64 s0, 0x7f800000, |v11|
	s_delay_alu instid0(VALU_DEP_2) | instskip(NEXT) | instid1(VALU_DEP_1)
	v_fmaak_f32 v15, v14, v15, 0x3e5c245a
	v_fmaak_f32 v15, v14, v15, 0xbd9e233f
	s_delay_alu instid0(VALU_DEP_1) | instskip(SKIP_1) | instid1(VALU_DEP_1)
	v_mul_f32_e32 v15, v14, v15
	v_mul_f32_e32 v16, 0x3f317217, v11
	v_fma_f32 v17, 0x3f317217, v11, -v16
	s_delay_alu instid0(VALU_DEP_1) | instskip(NEXT) | instid1(VALU_DEP_1)
	v_fmac_f32_e32 v17, 0x3377d1cf, v11
	v_dual_fmaak_f32 v13, s11, v14, 0x3a4beed6 :: v_dual_add_f32 v16, v16, v17
	s_delay_alu instid0(VALU_DEP_1) | instskip(NEXT) | instid1(VALU_DEP_1)
	v_fmaak_f32 v13, v14, v13, 0x3c98bf54
	v_fmaak_f32 v13, v14, v13, 0x3e300f6e
	s_delay_alu instid0(VALU_DEP_1) | instskip(NEXT) | instid1(VALU_DEP_1)
	v_fmaak_f32 v13, v14, v13, 0x3f38d0c5
	v_fmaak_f32 v13, v14, v13, 0x3fb22d3b
	s_delay_alu instid0(VALU_DEP_1) | instskip(NEXT) | instid1(VALU_DEP_1)
	v_fma_f32 v13, v14, v13, 1.0
	v_rcp_f32_e32 v13, v13
	v_nop
	s_delay_alu instid0(TRANS32_DEP_1) | instskip(SKIP_2) | instid1(VALU_DEP_1)
	v_mul_f32_e32 v13, v15, v13
	v_cndmask_b32_e64 v11, v11, v16, s0
	v_cndmask_b32_e64 v15, 0, 0x41b17218, vcc_lo
	v_dual_fmac_f32 v13, 0.5, v14 :: v_dual_sub_f32 v11, v11, v15
	s_delay_alu instid0(VALU_DEP_1)
	v_add_f32_e32 v11, v11, v13
.LBB14_187:                             ;   in Loop: Header=BB14_177 Depth=1
	s_or_b32 exec_lo, exec_lo, s3
.LBB14_188:                             ;   in Loop: Header=BB14_177 Depth=1
	s_and_not1_saveexec_b32 s2, s2
	s_cbranch_execz .LBB14_206
; %bb.189:                              ;   in Loop: Header=BB14_177 Depth=1
	s_mov_b32 s3, exec_lo
                                        ; implicit-def: $vgpr11
                                        ; implicit-def: $vgpr14
                                        ; implicit-def: $vgpr13
	v_cmpx_ge_f32_e64 0x3f666666, |v10|
	s_xor_b32 s3, exec_lo, s3
	s_cbranch_execz .LBB14_191
; %bb.190:                              ;   in Loop: Header=BB14_177 Depth=1
	v_cmp_gt_f32_e64 s0, 0x800000, |v10|
	v_sub_f32_e64 v15, 1.0, |v10|
	v_cmp_gt_f32_e64 vcc_lo, 0x3f3b4a23, |v10|
	s_delay_alu instid0(VALU_DEP_3) | instskip(SKIP_1) | instid1(VALU_DEP_2)
	v_cndmask_b32_e64 v11, 0, 32, s0
	v_cndmask_b32_e64 v16, 0, 0x41b17218, s0
	v_ldexp_f32 v11, |v10|, v11
	s_delay_alu instid0(VALU_DEP_1) | instskip(SKIP_1) | instid1(TRANS32_DEP_1)
	v_log_f32_e32 v11, v11
	v_nop
	v_mul_f32_e32 v13, 0x3f317217, v11
	v_cmp_gt_f32_e64 s0, 0x7f800000, |v11|
	s_delay_alu instid0(VALU_DEP_2) | instskip(NEXT) | instid1(VALU_DEP_1)
	v_fma_f32 v14, 0x3f317217, v11, -v13
	v_fmac_f32_e32 v14, 0x3377d1cf, v11
	s_delay_alu instid0(VALU_DEP_1) | instskip(SKIP_1) | instid1(VALU_DEP_2)
	v_add_f32_e32 v13, v13, v14
	v_add_f32_e64 v14, 0xbeec5b0c, |v10|
	v_cndmask_b32_e64 v11, v11, v13, s0
	s_delay_alu instid0(VALU_DEP_2) | instskip(SKIP_2) | instid1(VALU_DEP_4)
	v_cndmask_b32_e32 v13, v15, v14, vcc_lo
	v_cndmask_b32_e64 v14, 0, 1, vcc_lo
	v_cmp_gt_f32_e64 s0, 0x3e6d3309, |v10|
	v_sub_f32_e32 v11, v11, v16
	s_delay_alu instid0(VALU_DEP_2) | instskip(NEXT) | instid1(VALU_DEP_4)
	v_cndmask_b32_e64 v13, v13, |v10|, s0
	v_cndmask_b32_e64 v14, v14, 2, s0
	s_delay_alu instid0(VALU_DEP_3)
	v_xor_b32_e32 v11, 0x80000000, v11
.LBB14_191:                             ;   in Loop: Header=BB14_177 Depth=1
	s_and_not1_saveexec_b32 s0, s3
	s_cbranch_execz .LBB14_193
; %bb.192:                              ;   in Loop: Header=BB14_177 Depth=1
	v_sub_f32_e64 v11, 2.0, |v10|
	v_add_f32_e64 v13, 0xbfbb16c3, |v10|
	v_cmp_gt_f32_e64 vcc_lo, 0x3fdda512, |v10|
	v_add_f32_e64 v14, |v10|, -1.0
	s_delay_alu instid0(VALU_DEP_3) | instskip(NEXT) | instid1(VALU_DEP_3)
	v_cndmask_b32_e32 v13, v11, v13, vcc_lo
	v_cndmask_b32_e64 v11, v11, 1.0, vcc_lo
	v_cmp_gt_f32_e64 vcc_lo, 0x3f9d70a4, |v10|
	s_delay_alu instid0(VALU_DEP_2) | instskip(NEXT) | instid1(VALU_DEP_4)
	v_cvt_i32_f32_e32 v11, v11
	v_cndmask_b32_e32 v13, v13, v14, vcc_lo
	s_delay_alu instid0(VALU_DEP_2)
	v_cndmask_b32_e64 v14, v11, 2, vcc_lo
	v_mov_b32_e32 v11, 0
.LBB14_193:                             ;   in Loop: Header=BB14_177 Depth=1
	s_or_b32 exec_lo, exec_lo, s0
	s_delay_alu instid0(SALU_CYCLE_1) | instskip(NEXT) | instid1(VALU_DEP_2)
	s_mov_b32 s0, exec_lo
	v_cmpx_lt_i32_e32 0, v14
	s_xor_b32 s0, exec_lo, s0
	s_cbranch_execz .LBB14_201
; %bb.194:                              ;   in Loop: Header=BB14_177 Depth=1
	s_mov_b32 s3, exec_lo
	v_cmpx_lt_i32_e32 1, v14
	s_xor_b32 s3, exec_lo, s3
	s_cbranch_execz .LBB14_198
; %bb.195:                              ;   in Loop: Header=BB14_177 Depth=1
	s_mov_b32 s4, exec_lo
	v_cmpx_eq_u32_e32 2, v14
	s_cbranch_execz .LBB14_197
; %bb.196:                              ;   in Loop: Header=BB14_177 Depth=1
	v_fmaak_f32 v15, s12, v13, 0x3e6a7578
	s_delay_alu instid0(VALU_DEP_1) | instskip(NEXT) | instid1(VALU_DEP_1)
	v_fmaak_f32 v15, v13, v15, 0x3f7a4bb2
	v_fmaak_f32 v15, v13, v15, 0x3fba3ae7
	s_delay_alu instid0(VALU_DEP_1) | instskip(NEXT) | instid1(VALU_DEP_1)
	v_fmaak_f32 v15, v13, v15, 0x3f2200f4
	v_fmaak_f32 v15, v13, v15, 0xbd9e233f
	s_delay_alu instid0(VALU_DEP_1) | instskip(NEXT) | instid1(VALU_DEP_1)
	v_dual_fmaak_f32 v14, s13, v13, 0x3dd572af :: v_dual_mul_f32 v15, v13, v15
	v_fmaak_f32 v14, v13, v14, 0x3f44efdf
	s_delay_alu instid0(VALU_DEP_1) | instskip(NEXT) | instid1(VALU_DEP_1)
	v_fmaak_f32 v14, v13, v14, 0x4008392d
	v_fmaak_f32 v14, v13, v14, 0x401d2ebe
	s_delay_alu instid0(VALU_DEP_1) | instskip(NEXT) | instid1(VALU_DEP_1)
	v_fma_f32 v14, v13, v14, 1.0
	v_rcp_f32_e32 v14, v14
	v_nop
	s_delay_alu instid0(TRANS32_DEP_1) | instskip(NEXT) | instid1(VALU_DEP_1)
	v_mul_f32_e32 v14, v15, v14
	v_fmac_f32_e32 v14, -0.5, v13
	s_delay_alu instid0(VALU_DEP_1)
	v_add_f32_e32 v11, v11, v14
.LBB14_197:                             ;   in Loop: Header=BB14_177 Depth=1
	s_or_b32 exec_lo, exec_lo, s4
                                        ; implicit-def: $vgpr13
.LBB14_198:                             ;   in Loop: Header=BB14_177 Depth=1
	s_and_not1_saveexec_b32 s3, s3
	s_cbranch_execz .LBB14_200
; %bb.199:                              ;   in Loop: Header=BB14_177 Depth=1
	v_mul_f32_e32 v14, v13, v13
	s_delay_alu instid0(VALU_DEP_1) | instskip(NEXT) | instid1(VALU_DEP_1)
	v_mul_f32_e32 v15, v13, v14
	v_fmaak_f32 v16, s15, v15, 0x3a66f867
	v_fmaak_f32 v17, s16, v15, 0xba0d3085
	s_delay_alu instid0(VALU_DEP_2) | instskip(NEXT) | instid1(VALU_DEP_2)
	v_fmaak_f32 v16, v15, v16, 0xbb7177fe
	v_fmaak_f32 v17, v15, v17, 0x3b141699
	s_delay_alu instid0(VALU_DEP_2) | instskip(NEXT) | instid1(VALU_DEP_2)
	;; [unrolled: 3-line block ×3, first 2 shown]
	v_fmaak_f32 v16, v15, v16, 0xbe17213c
	v_fmaak_f32 v17, v15, v17, 0x3d845a15
	s_delay_alu instid0(VALU_DEP_1) | instskip(SKIP_1) | instid1(VALU_DEP_1)
	v_fmac_f32_e32 v16, v13, v17
	v_fmaak_f32 v18, s14, v15, 0xbab7f476
	v_fmaak_f32 v18, v15, v18, 0x3bc7e707
	s_delay_alu instid0(VALU_DEP_1) | instskip(NEXT) | instid1(VALU_DEP_1)
	v_fmaak_f32 v18, v15, v18, 0xbd064d47
	v_fmaak_f32 v13, v15, v18, 0x3ef7b95e
	v_fma_f32 v15, v15, -v16, 0xa2863e55
	s_delay_alu instid0(VALU_DEP_1) | instskip(NEXT) | instid1(VALU_DEP_1)
	v_fma_f32 v13, v14, v13, -v15
	v_add_f32_e32 v13, 0xbdf8cdce, v13
	s_delay_alu instid0(VALU_DEP_1)
	v_add_f32_e32 v11, v11, v13
.LBB14_200:                             ;   in Loop: Header=BB14_177 Depth=1
	s_or_b32 exec_lo, exec_lo, s3
                                        ; implicit-def: $vgpr14
                                        ; implicit-def: $vgpr13
.LBB14_201:                             ;   in Loop: Header=BB14_177 Depth=1
	s_and_not1_saveexec_b32 s0, s0
	s_cbranch_execz .LBB14_205
; %bb.202:                              ;   in Loop: Header=BB14_177 Depth=1
	s_mov_b32 s3, exec_lo
	v_cmpx_eq_u32_e32 0, v14
	s_cbranch_execz .LBB14_204
; %bb.203:                              ;   in Loop: Header=BB14_177 Depth=1
	v_mul_f32_e32 v14, v13, v13
	s_delay_alu instid0(VALU_DEP_1) | instskip(NEXT) | instid1(VALU_DEP_1)
	v_fmaak_f32 v16, s17, v14, 0x39679767
	v_fmaak_f32 v16, v14, v16, 0x3a9c54a1
	s_delay_alu instid0(VALU_DEP_1) | instskip(NEXT) | instid1(VALU_DEP_1)
	v_fmaak_f32 v16, v14, v16, 0x3bf2027e
	v_fmaak_f32 v16, v14, v16, 0x3d89f001
	s_delay_alu instid0(VALU_DEP_1) | instskip(SKIP_1) | instid1(VALU_DEP_1)
	v_fmaak_f32 v16, v14, v16, 0x3d9e233f
	v_fmaak_f32 v15, s18, v14, 0x38e28445
	;; [unrolled: 1-line block ×3, first 2 shown]
	s_delay_alu instid0(VALU_DEP_1) | instskip(NEXT) | instid1(VALU_DEP_1)
	v_fmaak_f32 v15, v14, v15, 0x3b3d6ec6
	v_fmaak_f32 v15, v14, v15, 0x3ca89915
	s_delay_alu instid0(VALU_DEP_1) | instskip(NEXT) | instid1(VALU_DEP_1)
	v_fmaak_f32 v15, v14, v15, 0x3ea51a66
	v_mul_f32_e32 v14, v14, v15
	s_delay_alu instid0(VALU_DEP_1) | instskip(NEXT) | instid1(VALU_DEP_1)
	v_fmac_f32_e32 v14, v13, v16
	v_fmac_f32_e32 v14, -0.5, v13
	s_delay_alu instid0(VALU_DEP_1)
	v_add_f32_e32 v11, v11, v14
.LBB14_204:                             ;   in Loop: Header=BB14_177 Depth=1
	s_or_b32 exec_lo, exec_lo, s3
.LBB14_205:                             ;   in Loop: Header=BB14_177 Depth=1
	s_delay_alu instid0(SALU_CYCLE_1)
	s_or_b32 exec_lo, exec_lo, s0
.LBB14_206:                             ;   in Loop: Header=BB14_177 Depth=1
	s_delay_alu instid0(SALU_CYCLE_1)
	s_or_b32 exec_lo, exec_lo, s2
.LBB14_207:                             ;   in Loop: Header=BB14_177 Depth=1
	s_and_not1_saveexec_b32 s0, s1
	s_cbranch_execz .LBB14_209
; %bb.208:                              ;   in Loop: Header=BB14_177 Depth=1
	v_cmp_gt_f32_e64 s1, 0x800000, |v10|
	v_fma_f32 v15, |v10|, s19, 0xbecd26ab
	s_delay_alu instid0(VALU_DEP_2) | instskip(NEXT) | instid1(VALU_DEP_1)
	v_cndmask_b32_e64 v11, 0, 32, s1
	v_ldexp_f32 v11, |v10|, v11
	s_delay_alu instid0(VALU_DEP_1) | instskip(SKIP_1) | instid1(TRANS32_DEP_1)
	v_log_f32_e32 v11, v11
	v_nop
	v_mul_f32_e32 v13, 0x3f317217, v11
	v_cmp_gt_f32_e64 vcc_lo, 0x7f800000, |v11|
	s_delay_alu instid0(VALU_DEP_2) | instskip(NEXT) | instid1(VALU_DEP_1)
	v_fma_f32 v14, 0x3f317217, v11, -v13
	v_fmac_f32_e32 v14, 0x3377d1cf, v11
	s_delay_alu instid0(VALU_DEP_1) | instskip(SKIP_1) | instid1(VALU_DEP_2)
	v_add_f32_e32 v13, v13, v14
	v_fma_f32 v14, |v10|, v15, 0x3f528d33
	v_cndmask_b32_e32 v11, v11, v13, vcc_lo
	v_cndmask_b32_e64 v13, 0, 0x41b17218, s1
	s_delay_alu instid0(VALU_DEP_3) | instskip(NEXT) | instid1(VALU_DEP_2)
	v_fma_f32 v14, |v10|, v14, 0xbf13c468
	v_sub_f32_e32 v11, v11, v13
	s_delay_alu instid0(VALU_DEP_1)
	v_fma_f32 v11, |v10|, v14, -v11
.LBB14_209:                             ;   in Loop: Header=BB14_177 Depth=1
	s_or_b32 exec_lo, exec_lo, s0
	v_cmp_le_f16_e32 vcc_lo, 0, v8
	s_mov_b32 s1, exec_lo
	v_cmpx_nle_f16_e32 0, v8
	s_xor_b32 s2, exec_lo, s1
	s_cbranch_execz .LBB14_213
; %bb.210:                              ;   in Loop: Header=BB14_177 Depth=1
	v_cmp_gt_f32_e64 s0, 0x4b000000, |v10|
	v_cmp_lt_f32_e64 s1, 0x35000000, |v10|
	s_and_b32 s0, s0, s1
	s_delay_alu instid0(SALU_CYCLE_1)
	s_and_saveexec_b32 s3, s0
	s_cbranch_execz .LBB14_212
; %bb.211:                              ;   in Loop: Header=BB14_177 Depth=1
	v_mul_f32_e64 v13, |v10|, 0.5
	v_xor_b32_e32 v12, v12, v10
	s_delay_alu instid0(VALU_DEP_2) | instskip(SKIP_1) | instid1(VALU_DEP_2)
	v_floor_f32_e32 v14, v13
	v_cmp_neq_f32_e64 s0, 0x7f800000, v13
	v_sub_f32_e32 v14, v13, v14
	s_delay_alu instid0(VALU_DEP_1) | instskip(NEXT) | instid1(VALU_DEP_1)
	v_min_num_f32_e32 v14, 0x3f7fffff, v14
	v_add_f32_e32 v14, v14, v14
	s_delay_alu instid0(VALU_DEP_1) | instskip(SKIP_1) | instid1(VALU_DEP_1)
	v_cndmask_b32_e64 v13, 0, v14, s0
	v_cmp_gt_f32_e64 s0, |v10|, 1.0
	v_cndmask_b32_e64 v13, |v10|, v13, s0
	s_delay_alu instid0(VALU_DEP_1) | instskip(NEXT) | instid1(VALU_DEP_1)
	v_add_f32_e32 v14, v13, v13
	v_rndne_f32_e32 v14, v14
	s_delay_alu instid0(VALU_DEP_1) | instskip(SKIP_1) | instid1(VALU_DEP_2)
	v_fmac_f32_e32 v13, -0.5, v14
	v_cvt_i32_f32_e32 v14, v14
	v_mul_f32_e32 v15, v13, v13
	s_delay_alu instid0(VALU_DEP_1) | instskip(SKIP_1) | instid1(VALU_DEP_2)
	v_fmaak_f32 v16, s20, v15, 0xbf1f24be
	v_dual_fmaak_f32 v17, s21, v15, 0x3e642e9d :: v_dual_mul_f32 v18, v13, v15
	v_fmaak_f32 v16, v15, v16, 0x40234736
	s_delay_alu instid0(VALU_DEP_2) | instskip(NEXT) | instid1(VALU_DEP_2)
	v_fmaak_f32 v17, v15, v17, 0xbfaad1da
	v_fmaak_f32 v16, v15, v16, 0xc0a55e0e
	s_delay_alu instid0(VALU_DEP_1) | instskip(NEXT) | instid1(VALU_DEP_1)
	v_mul_f32_e32 v16, v18, v16
	v_fmac_f32_e32 v16, 0x40490fdb, v13
	v_dual_lshlrev_b32 v14, 30, v14 :: v_dual_bitop2_b32 v18, 1, v14 bitop3:0x40
	v_fmaak_f32 v17, v15, v17, 0x4081e0d3
	s_delay_alu instid0(VALU_DEP_2) | instskip(NEXT) | instid1(VALU_DEP_3)
	v_cmp_eq_u32_e64 s0, 0, v18
	v_and_b32_e32 v14, 0x80000000, v14
	s_delay_alu instid0(VALU_DEP_3) | instskip(NEXT) | instid1(VALU_DEP_1)
	v_fmaak_f32 v17, v15, v17, 0xc09de9e6
	v_fma_f32 v13, v15, v17, 1.0
	s_delay_alu instid0(VALU_DEP_1) | instskip(NEXT) | instid1(VALU_DEP_1)
	v_cndmask_b32_e64 v13, v13, v16, s0
	v_xor3_b32 v12, v12, v14, v13
	s_delay_alu instid0(VALU_DEP_1) | instskip(NEXT) | instid1(VALU_DEP_1)
	v_mul_f32_e32 v12, v10, v12
	v_frexp_mant_f32_e64 v13, |v12|
	v_frexp_exp_i32_f32_e32 v12, v12
	s_delay_alu instid0(VALU_DEP_2) | instskip(SKIP_1) | instid1(TRANS32_DEP_1)
	v_rcp_f32_e32 v13, v13
	v_nop
	v_dual_mul_f32 v13, 0x3f490fdb, v13 :: v_dual_sub_nc_u32 v12, 2, v12
	s_delay_alu instid0(VALU_DEP_1) | instskip(NEXT) | instid1(VALU_DEP_1)
	v_ldexp_f32 v12, v13, v12
	v_cmp_gt_f32_e64 s0, 0x800000, v12
	s_delay_alu instid0(VALU_DEP_1) | instskip(NEXT) | instid1(VALU_DEP_1)
	v_cndmask_b32_e64 v13, 0, 32, s0
	v_ldexp_f32 v12, v12, v13
	s_delay_alu instid0(VALU_DEP_1) | instskip(SKIP_1) | instid1(TRANS32_DEP_1)
	v_log_f32_e32 v12, v12
	v_nop
	v_mul_f32_e32 v13, 0x3f317217, v12
	v_cmp_gt_f32_e64 s1, 0x7f800000, |v12|
	s_delay_alu instid0(VALU_DEP_2) | instskip(NEXT) | instid1(VALU_DEP_1)
	v_fma_f32 v14, 0x3f317217, v12, -v13
	v_fmac_f32_e32 v14, 0x3377d1cf, v12
	s_delay_alu instid0(VALU_DEP_1) | instskip(SKIP_1) | instid1(VALU_DEP_2)
	v_add_f32_e32 v13, v13, v14
	v_floor_f32_e32 v14, v10
	v_cndmask_b32_e64 v12, v12, v13, s1
	v_cndmask_b32_e64 v13, 0, 0x41b17218, s0
	s_delay_alu instid0(VALU_DEP_1) | instskip(NEXT) | instid1(VALU_DEP_1)
	v_dual_sub_f32 v14, v10, v14 :: v_dual_sub_f32 v12, v12, v13
	v_min_num_f32_e32 v13, 0x3f7fffff, v14
	s_delay_alu instid0(VALU_DEP_2) | instskip(NEXT) | instid1(VALU_DEP_2)
	v_sub_f32_e32 v11, v12, v11
	v_cmp_neq_f32_e64 s0, 0, v13
	s_delay_alu instid0(VALU_DEP_1)
	v_cndmask_b32_e64 v11, 0x7f800000, v11, s0
.LBB14_212:                             ;   in Loop: Header=BB14_177 Depth=1
	s_or_b32 exec_lo, exec_lo, s3
.LBB14_213:                             ;   in Loop: Header=BB14_177 Depth=1
	s_and_not1_saveexec_b32 s2, s2
; %bb.214:                              ;   in Loop: Header=BB14_177 Depth=1
	v_cmp_eq_f16_e64 s0, 1.0, v8
	v_cmp_eq_f16_e64 s1, 2.0, v8
	s_or_b32 s0, s0, s1
	s_delay_alu instid0(SALU_CYCLE_1)
	v_cndmask_b32_e64 v11, v11, 0, s0
; %bb.215:                              ;   in Loop: Header=BB14_177 Depth=1
	s_or_b32 exec_lo, exec_lo, s2
	v_lshrrev_b32_e32 v12, 16, v8
                                        ; implicit-def: $vgpr14
	s_mov_b32 s1, exec_lo
	s_delay_alu instid0(VALU_DEP_1) | instskip(NEXT) | instid1(VALU_DEP_1)
	v_cvt_f32_f16_e32 v13, v12
	v_and_b32_e32 v15, 0x7fffffff, v13
	v_cmpx_ngt_f32_e64 0x3c800000, |v13|
	s_xor_b32 s2, exec_lo, s1
	s_cbranch_execz .LBB14_245
; %bb.216:                              ;   in Loop: Header=BB14_177 Depth=1
                                        ; implicit-def: $vgpr14
	s_mov_b32 s1, exec_lo
	v_cmpx_nlt_f32_e64 |v13|, 2.0
	s_xor_b32 s3, exec_lo, s1
	s_cbranch_execz .LBB14_226
; %bb.217:                              ;   in Loop: Header=BB14_177 Depth=1
	s_mov_b32 s1, exec_lo
                                        ; implicit-def: $vgpr14
	v_cmpx_ngt_f32_e64 0x41000000, |v13|
	s_xor_b32 s1, exec_lo, s1
	s_cbranch_execz .LBB14_223
; %bb.218:                              ;   in Loop: Header=BB14_177 Depth=1
	s_mov_b32 s4, exec_lo
                                        ; implicit-def: $vgpr14
	v_cmpx_ngt_f32_e64 0x5c800000, |v13|
	s_xor_b32 s4, exec_lo, s4
	s_cbranch_execz .LBB14_220
; %bb.219:                              ;   in Loop: Header=BB14_177 Depth=1
	v_cmp_gt_f32_e64 s23, 0x800000, |v13|
	s_delay_alu instid0(VALU_DEP_1) | instskip(NEXT) | instid1(VALU_DEP_1)
	v_cndmask_b32_e64 v14, 0, 32, s23
	v_ldexp_f32 v14, |v13|, v14
	s_delay_alu instid0(VALU_DEP_1) | instskip(SKIP_1) | instid1(TRANS32_DEP_1)
	v_log_f32_e32 v14, v14
	v_nop
	v_mul_f32_e32 v16, 0x3f317217, v14
	v_cmp_gt_f32_e64 s0, 0x7f800000, |v14|
	s_delay_alu instid0(VALU_DEP_2) | instskip(NEXT) | instid1(VALU_DEP_1)
	v_fma_f32 v17, 0x3f317217, v14, -v16
	v_fmac_f32_e32 v17, 0x3377d1cf, v14
	s_delay_alu instid0(VALU_DEP_1) | instskip(NEXT) | instid1(VALU_DEP_1)
	v_add_f32_e32 v16, v16, v17
	v_cndmask_b32_e64 v14, v14, v16, s0
	v_cndmask_b32_e64 v16, 0, 0x41b17218, s23
	s_delay_alu instid0(VALU_DEP_1) | instskip(NEXT) | instid1(VALU_DEP_1)
	v_sub_f32_e32 v14, v14, v16
	v_fma_f32 v14, |v13|, v14, -|v13|
.LBB14_220:                             ;   in Loop: Header=BB14_177 Depth=1
	s_and_not1_saveexec_b32 s4, s4
	s_cbranch_execz .LBB14_222
; %bb.221:                              ;   in Loop: Header=BB14_177 Depth=1
	v_cmp_gt_f32_e64 s23, 0x800000, |v13|
	v_rcp_f32_e64 v16, |v13|
	s_delay_alu instid0(VALU_DEP_1) | instskip(NEXT) | instid1(VALU_DEP_1)
	v_cndmask_b32_e64 v14, 0, 32, s23
	v_ldexp_f32 v14, |v13|, v14
	s_delay_alu instid0(VALU_DEP_1) | instskip(SKIP_1) | instid1(TRANS32_DEP_1)
	v_log_f32_e32 v14, v14
	v_nop
	v_dual_mul_f32 v17, v16, v16 :: v_dual_mul_f32 v18, 0x3f317217, v14
	v_cmp_gt_f32_e64 s0, 0x7f800000, |v14|
	s_delay_alu instid0(VALU_DEP_2) | instskip(NEXT) | instid1(VALU_DEP_1)
	v_fma_f32 v20, 0x3f317217, v14, -v18
	v_fmac_f32_e32 v20, 0x3377d1cf, v14
	s_delay_alu instid0(VALU_DEP_1) | instskip(NEXT) | instid1(VALU_DEP_1)
	v_dual_fmaak_f32 v19, s5, v17, 0x3a5b3dd2 :: v_dual_add_f32 v18, v18, v20
	v_cndmask_b32_e64 v14, v14, v18, s0
	v_cndmask_b32_e64 v18, 0, 0x41b17218, s23
	s_delay_alu instid0(VALU_DEP_1) | instskip(NEXT) | instid1(VALU_DEP_1)
	v_dual_fmaak_f32 v19, v17, v19, 0xba1c065c :: v_dual_sub_f32 v18, v14, v18
	v_fmaak_f32 v19, v17, v19, 0x3a500cfd
	s_delay_alu instid0(VALU_DEP_1) | instskip(NEXT) | instid1(VALU_DEP_1)
	v_fmaak_f32 v19, v17, v19, 0xbb360b61
	v_fmaak_f32 v17, v17, v19, 0x3daaaaab
	s_delay_alu instid0(VALU_DEP_1) | instskip(SKIP_2) | instid1(VALU_DEP_1)
	v_fmaak_f32 v14, v16, v17, 0x3ed67f1d
	v_add_f32_e64 v16, |v13|, -0.5
	v_add_f32_e32 v17, -1.0, v18
	v_fmac_f32_e32 v14, v16, v17
.LBB14_222:                             ;   in Loop: Header=BB14_177 Depth=1
	s_or_b32 exec_lo, exec_lo, s4
.LBB14_223:                             ;   in Loop: Header=BB14_177 Depth=1
	s_and_not1_saveexec_b32 s4, s1
	s_cbranch_execz .LBB14_225
; %bb.224:                              ;   in Loop: Header=BB14_177 Depth=1
	v_cvt_i32_f32_e32 v18, v15
	s_delay_alu instid0(VALU_DEP_1) | instskip(SKIP_1) | instid1(VALU_DEP_2)
	v_cvt_f32_i32_e32 v14, v18
	v_cmp_lt_i32_e64 s0, 3, v18
	v_sub_f32_e64 v14, |v13|, v14
	s_delay_alu instid0(VALU_DEP_1) | instskip(SKIP_1) | instid1(VALU_DEP_2)
	v_pk_add_f32 v[16:17], v[14:15], v[4:5] op_sel_hi:[0,1]
	v_dual_add_f32 v19, 4.0, v14 :: v_dual_add_f32 v20, 0x40a00000, v14
	v_cndmask_b32_e64 v17, 1.0, v17, s0
	v_cmp_lt_i32_e64 s0, 2, v18
	s_delay_alu instid0(VALU_DEP_1) | instskip(SKIP_1) | instid1(VALU_DEP_1)
	v_cndmask_b32_e64 v16, 1.0, v16, s0
	v_cmp_lt_i32_e64 s0, 4, v18
	v_dual_cndmask_b32 v19, 1.0, v19, s0 :: v_dual_mul_f32 v16, v16, v17
	v_add_f32_e32 v17, 0x40c00000, v14
	v_cmp_lt_i32_e64 s0, 5, v18
	s_delay_alu instid0(VALU_DEP_3) | instskip(NEXT) | instid1(VALU_DEP_2)
	v_dual_mul_f32 v16, v19, v16 :: v_dual_fmaak_f32 v19, s10, v14, 0x3af135b4
	v_cndmask_b32_e64 v20, 1.0, v20, s0
	v_cmp_lt_i32_e64 s0, 6, v18
	s_delay_alu instid0(VALU_DEP_1) | instskip(NEXT) | instid1(VALU_DEP_1)
	v_dual_cndmask_b32 v17, 1.0, v17, s0 :: v_dual_mul_f32 v16, v20, v16
	v_dual_mul_f32 v16, v17, v16 :: v_dual_fmaak_f32 v17, s11, v14, 0x3a4beed6
	s_delay_alu instid0(VALU_DEP_1) | instskip(NEXT) | instid1(VALU_DEP_2)
	v_fmaak_f32 v17, v14, v17, 0x3c98bf54
	v_cmp_gt_f32_e64 s0, 0x800000, v16
	s_delay_alu instid0(VALU_DEP_1) | instskip(NEXT) | instid1(VALU_DEP_1)
	v_cndmask_b32_e64 v18, 0, 32, s0
	v_ldexp_f32 v16, v16, v18
	v_fmaak_f32 v18, v14, v19, 0x3cda40e4
	s_delay_alu instid0(VALU_DEP_2) | instskip(SKIP_1) | instid1(TRANS32_DEP_1)
	v_log_f32_e32 v16, v16
	v_nop
	v_mul_f32_e32 v19, 0x3f317217, v16
	v_cmp_gt_f32_e64 s1, 0x7f800000, |v16|
	s_delay_alu instid0(VALU_DEP_2) | instskip(NEXT) | instid1(VALU_DEP_1)
	v_fma_f32 v20, 0x3f317217, v16, -v19
	v_fmac_f32_e32 v20, 0x3377d1cf, v16
	s_delay_alu instid0(VALU_DEP_1) | instskip(NEXT) | instid1(VALU_DEP_1)
	v_dual_add_f32 v19, v19, v20 :: v_dual_fmaak_f32 v18, v14, v18, 0x3e15dce6
	v_cndmask_b32_e64 v16, v16, v19, s1
	s_delay_alu instid0(VALU_DEP_2) | instskip(NEXT) | instid1(VALU_DEP_1)
	v_fmaak_f32 v18, v14, v18, 0x3ea6cc7a
	v_fmaak_f32 v18, v14, v18, 0x3e5c245a
	s_delay_alu instid0(VALU_DEP_1) | instskip(NEXT) | instid1(VALU_DEP_1)
	v_fmaak_f32 v18, v14, v18, 0xbd9e233f
	v_dual_fmaak_f32 v17, v14, v17, 0x3e300f6e :: v_dual_mul_f32 v18, v14, v18
	s_delay_alu instid0(VALU_DEP_1) | instskip(NEXT) | instid1(VALU_DEP_1)
	v_fmaak_f32 v17, v14, v17, 0x3f38d0c5
	v_fmaak_f32 v17, v14, v17, 0x3fb22d3b
	s_delay_alu instid0(VALU_DEP_1) | instskip(NEXT) | instid1(VALU_DEP_1)
	v_fma_f32 v17, v14, v17, 1.0
	v_rcp_f32_e32 v17, v17
	v_nop
	s_delay_alu instid0(TRANS32_DEP_1) | instskip(SKIP_1) | instid1(VALU_DEP_2)
	v_mul_f32_e32 v17, v18, v17
	v_cndmask_b32_e64 v18, 0, 0x41b17218, s0
	v_fmac_f32_e32 v17, 0.5, v14
	s_delay_alu instid0(VALU_DEP_2) | instskip(NEXT) | instid1(VALU_DEP_1)
	v_sub_f32_e32 v14, v16, v18
	v_add_f32_e32 v14, v14, v17
.LBB14_225:                             ;   in Loop: Header=BB14_177 Depth=1
	s_or_b32 exec_lo, exec_lo, s4
.LBB14_226:                             ;   in Loop: Header=BB14_177 Depth=1
	s_and_not1_saveexec_b32 s3, s3
	s_cbranch_execz .LBB14_244
; %bb.227:                              ;   in Loop: Header=BB14_177 Depth=1
                                        ; implicit-def: $vgpr14
                                        ; implicit-def: $vgpr17
                                        ; implicit-def: $vgpr16
	s_mov_b32 s1, exec_lo
	v_cmpx_ge_f32_e64 0x3f666666, |v13|
	s_xor_b32 s4, exec_lo, s1
	s_cbranch_execz .LBB14_229
; %bb.228:                              ;   in Loop: Header=BB14_177 Depth=1
	v_cmp_gt_f32_e64 s1, 0x800000, |v13|
	v_sub_f32_e64 v18, 1.0, |v13|
	v_cmp_gt_f32_e64 s0, 0x3f3b4a23, |v13|
	s_delay_alu instid0(VALU_DEP_3) | instskip(SKIP_1) | instid1(VALU_DEP_2)
	v_cndmask_b32_e64 v14, 0, 32, s1
	v_cndmask_b32_e64 v19, 0, 0x41b17218, s1
	v_ldexp_f32 v14, |v13|, v14
	s_delay_alu instid0(VALU_DEP_1) | instskip(SKIP_1) | instid1(TRANS32_DEP_1)
	v_log_f32_e32 v14, v14
	v_nop
	v_mul_f32_e32 v16, 0x3f317217, v14
	v_cmp_gt_f32_e64 s1, 0x7f800000, |v14|
	s_delay_alu instid0(VALU_DEP_2) | instskip(NEXT) | instid1(VALU_DEP_1)
	v_fma_f32 v17, 0x3f317217, v14, -v16
	v_fmac_f32_e32 v17, 0x3377d1cf, v14
	s_delay_alu instid0(VALU_DEP_1) | instskip(SKIP_1) | instid1(VALU_DEP_2)
	v_add_f32_e32 v16, v16, v17
	v_add_f32_e64 v17, 0xbeec5b0c, |v13|
	v_cndmask_b32_e64 v14, v14, v16, s1
	s_delay_alu instid0(VALU_DEP_2) | instskip(SKIP_2) | instid1(VALU_DEP_4)
	v_cndmask_b32_e64 v16, v18, v17, s0
	v_cndmask_b32_e64 v17, 0, 1, s0
	v_cmp_gt_f32_e64 s0, 0x3e6d3309, |v13|
	v_sub_f32_e32 v14, v14, v19
	s_delay_alu instid0(VALU_DEP_2) | instskip(NEXT) | instid1(VALU_DEP_4)
	v_cndmask_b32_e64 v16, v16, |v13|, s0
	v_cndmask_b32_e64 v17, v17, 2, s0
	s_delay_alu instid0(VALU_DEP_3)
	v_xor_b32_e32 v14, 0x80000000, v14
.LBB14_229:                             ;   in Loop: Header=BB14_177 Depth=1
	s_and_not1_saveexec_b32 s1, s4
	s_cbranch_execz .LBB14_231
; %bb.230:                              ;   in Loop: Header=BB14_177 Depth=1
	v_sub_f32_e64 v14, 2.0, |v13|
	v_add_f32_e64 v16, 0xbfbb16c3, |v13|
	v_cmp_gt_f32_e64 s0, 0x3fdda512, |v13|
	v_add_f32_e64 v17, |v13|, -1.0
	s_delay_alu instid0(VALU_DEP_2) | instskip(SKIP_2) | instid1(VALU_DEP_2)
	v_cndmask_b32_e64 v16, v14, v16, s0
	v_cndmask_b32_e64 v14, v14, 1.0, s0
	v_cmp_gt_f32_e64 s0, 0x3f9d70a4, |v13|
	v_cvt_i32_f32_e32 v14, v14
	s_delay_alu instid0(VALU_DEP_2) | instskip(NEXT) | instid1(VALU_DEP_2)
	v_cndmask_b32_e64 v16, v16, v17, s0
	v_cndmask_b32_e64 v17, v14, 2, s0
	v_mov_b32_e32 v14, 0
.LBB14_231:                             ;   in Loop: Header=BB14_177 Depth=1
	s_or_b32 exec_lo, exec_lo, s1
	s_delay_alu instid0(SALU_CYCLE_1) | instskip(NEXT) | instid1(VALU_DEP_2)
	s_mov_b32 s1, exec_lo
	v_cmpx_lt_i32_e32 0, v17
	s_xor_b32 s1, exec_lo, s1
	s_cbranch_execz .LBB14_239
; %bb.232:                              ;   in Loop: Header=BB14_177 Depth=1
	s_mov_b32 s4, exec_lo
	v_cmpx_lt_i32_e32 1, v17
	s_xor_b32 s4, exec_lo, s4
	s_cbranch_execz .LBB14_236
; %bb.233:                              ;   in Loop: Header=BB14_177 Depth=1
	s_mov_b32 s23, exec_lo
	v_cmpx_eq_u32_e32 2, v17
	s_cbranch_execz .LBB14_235
; %bb.234:                              ;   in Loop: Header=BB14_177 Depth=1
	v_fmaak_f32 v18, s12, v16, 0x3e6a7578
	s_delay_alu instid0(VALU_DEP_1) | instskip(NEXT) | instid1(VALU_DEP_1)
	v_fmaak_f32 v18, v16, v18, 0x3f7a4bb2
	v_fmaak_f32 v18, v16, v18, 0x3fba3ae7
	s_delay_alu instid0(VALU_DEP_1) | instskip(NEXT) | instid1(VALU_DEP_1)
	v_fmaak_f32 v18, v16, v18, 0x3f2200f4
	v_fmaak_f32 v18, v16, v18, 0xbd9e233f
	s_delay_alu instid0(VALU_DEP_1) | instskip(NEXT) | instid1(VALU_DEP_1)
	v_dual_fmaak_f32 v17, s13, v16, 0x3dd572af :: v_dual_mul_f32 v18, v16, v18
	v_fmaak_f32 v17, v16, v17, 0x3f44efdf
	s_delay_alu instid0(VALU_DEP_1) | instskip(NEXT) | instid1(VALU_DEP_1)
	v_fmaak_f32 v17, v16, v17, 0x4008392d
	v_fmaak_f32 v17, v16, v17, 0x401d2ebe
	s_delay_alu instid0(VALU_DEP_1) | instskip(NEXT) | instid1(VALU_DEP_1)
	v_fma_f32 v17, v16, v17, 1.0
	v_rcp_f32_e32 v17, v17
	v_nop
	s_delay_alu instid0(TRANS32_DEP_1) | instskip(NEXT) | instid1(VALU_DEP_1)
	v_mul_f32_e32 v17, v18, v17
	v_fmac_f32_e32 v17, -0.5, v16
	s_delay_alu instid0(VALU_DEP_1)
	v_add_f32_e32 v14, v14, v17
.LBB14_235:                             ;   in Loop: Header=BB14_177 Depth=1
	s_or_b32 exec_lo, exec_lo, s23
                                        ; implicit-def: $vgpr16
.LBB14_236:                             ;   in Loop: Header=BB14_177 Depth=1
	s_and_not1_saveexec_b32 s0, s4
	s_cbranch_execz .LBB14_238
; %bb.237:                              ;   in Loop: Header=BB14_177 Depth=1
	v_mul_f32_e32 v17, v16, v16
	s_delay_alu instid0(VALU_DEP_1) | instskip(NEXT) | instid1(VALU_DEP_1)
	v_mul_f32_e32 v18, v16, v17
	v_fmaak_f32 v19, s15, v18, 0x3a66f867
	v_fmaak_f32 v20, s16, v18, 0xba0d3085
	s_delay_alu instid0(VALU_DEP_2) | instskip(NEXT) | instid1(VALU_DEP_2)
	v_fmaak_f32 v19, v18, v19, 0xbb7177fe
	v_fmaak_f32 v20, v18, v20, 0x3b141699
	s_delay_alu instid0(VALU_DEP_2) | instskip(NEXT) | instid1(VALU_DEP_2)
	;; [unrolled: 3-line block ×3, first 2 shown]
	v_fmaak_f32 v19, v18, v19, 0xbe17213c
	v_fmaak_f32 v20, v18, v20, 0x3d845a15
	s_delay_alu instid0(VALU_DEP_1) | instskip(SKIP_1) | instid1(VALU_DEP_1)
	v_fmac_f32_e32 v19, v16, v20
	v_fmaak_f32 v21, s14, v18, 0xbab7f476
	v_fmaak_f32 v21, v18, v21, 0x3bc7e707
	s_delay_alu instid0(VALU_DEP_1) | instskip(NEXT) | instid1(VALU_DEP_1)
	v_fmaak_f32 v21, v18, v21, 0xbd064d47
	v_fmaak_f32 v16, v18, v21, 0x3ef7b95e
	v_fma_f32 v18, v18, -v19, 0xa2863e55
	s_delay_alu instid0(VALU_DEP_1) | instskip(NEXT) | instid1(VALU_DEP_1)
	v_fma_f32 v16, v17, v16, -v18
	v_add_f32_e32 v16, 0xbdf8cdce, v16
	s_delay_alu instid0(VALU_DEP_1)
	v_add_f32_e32 v14, v14, v16
.LBB14_238:                             ;   in Loop: Header=BB14_177 Depth=1
	s_or_b32 exec_lo, exec_lo, s0
                                        ; implicit-def: $vgpr17
                                        ; implicit-def: $vgpr16
.LBB14_239:                             ;   in Loop: Header=BB14_177 Depth=1
	s_and_not1_saveexec_b32 s1, s1
	s_cbranch_execz .LBB14_243
; %bb.240:                              ;   in Loop: Header=BB14_177 Depth=1
	s_mov_b32 s4, exec_lo
	v_cmpx_eq_u32_e32 0, v17
	s_cbranch_execz .LBB14_242
; %bb.241:                              ;   in Loop: Header=BB14_177 Depth=1
	v_mul_f32_e32 v17, v16, v16
	s_delay_alu instid0(VALU_DEP_1) | instskip(NEXT) | instid1(VALU_DEP_1)
	v_fmaak_f32 v19, s17, v17, 0x39679767
	v_fmaak_f32 v19, v17, v19, 0x3a9c54a1
	s_delay_alu instid0(VALU_DEP_1) | instskip(NEXT) | instid1(VALU_DEP_1)
	v_fmaak_f32 v19, v17, v19, 0x3bf2027e
	v_fmaak_f32 v19, v17, v19, 0x3d89f001
	s_delay_alu instid0(VALU_DEP_1) | instskip(SKIP_1) | instid1(VALU_DEP_1)
	v_fmaak_f32 v19, v17, v19, 0x3d9e233f
	v_fmaak_f32 v18, s18, v17, 0x38e28445
	;; [unrolled: 1-line block ×3, first 2 shown]
	s_delay_alu instid0(VALU_DEP_1) | instskip(NEXT) | instid1(VALU_DEP_1)
	v_fmaak_f32 v18, v17, v18, 0x3b3d6ec6
	v_fmaak_f32 v18, v17, v18, 0x3ca89915
	s_delay_alu instid0(VALU_DEP_1) | instskip(NEXT) | instid1(VALU_DEP_1)
	v_fmaak_f32 v18, v17, v18, 0x3ea51a66
	v_mul_f32_e32 v17, v17, v18
	s_delay_alu instid0(VALU_DEP_1) | instskip(NEXT) | instid1(VALU_DEP_1)
	v_fmac_f32_e32 v17, v16, v19
	v_fmac_f32_e32 v17, -0.5, v16
	s_delay_alu instid0(VALU_DEP_1)
	v_add_f32_e32 v14, v14, v17
.LBB14_242:                             ;   in Loop: Header=BB14_177 Depth=1
	s_or_b32 exec_lo, exec_lo, s4
.LBB14_243:                             ;   in Loop: Header=BB14_177 Depth=1
	s_delay_alu instid0(SALU_CYCLE_1)
	s_or_b32 exec_lo, exec_lo, s1
.LBB14_244:                             ;   in Loop: Header=BB14_177 Depth=1
	s_delay_alu instid0(SALU_CYCLE_1)
	s_or_b32 exec_lo, exec_lo, s3
.LBB14_245:                             ;   in Loop: Header=BB14_177 Depth=1
	s_and_not1_saveexec_b32 s1, s2
	s_cbranch_execz .LBB14_247
; %bb.246:                              ;   in Loop: Header=BB14_177 Depth=1
	v_cmp_gt_f32_e64 s2, 0x800000, |v13|
	v_fma_f32 v18, |v13|, s19, 0xbecd26ab
	s_delay_alu instid0(VALU_DEP_2) | instskip(NEXT) | instid1(VALU_DEP_1)
	v_cndmask_b32_e64 v14, 0, 32, s2
	v_ldexp_f32 v14, |v13|, v14
	s_delay_alu instid0(VALU_DEP_1) | instskip(SKIP_1) | instid1(TRANS32_DEP_1)
	v_log_f32_e32 v14, v14
	v_nop
	v_mul_f32_e32 v16, 0x3f317217, v14
	v_cmp_gt_f32_e64 s0, 0x7f800000, |v14|
	s_delay_alu instid0(VALU_DEP_2) | instskip(NEXT) | instid1(VALU_DEP_1)
	v_fma_f32 v17, 0x3f317217, v14, -v16
	v_fmac_f32_e32 v17, 0x3377d1cf, v14
	s_delay_alu instid0(VALU_DEP_1) | instskip(SKIP_1) | instid1(VALU_DEP_2)
	v_add_f32_e32 v16, v16, v17
	v_fma_f32 v17, |v13|, v18, 0x3f528d33
	v_cndmask_b32_e64 v14, v14, v16, s0
	v_cndmask_b32_e64 v16, 0, 0x41b17218, s2
	s_delay_alu instid0(VALU_DEP_3) | instskip(NEXT) | instid1(VALU_DEP_2)
	v_fma_f32 v17, |v13|, v17, 0xbf13c468
	v_sub_f32_e32 v14, v14, v16
	s_delay_alu instid0(VALU_DEP_1)
	v_fma_f32 v14, |v13|, v17, -v14
.LBB14_247:                             ;   in Loop: Header=BB14_177 Depth=1
	s_or_b32 exec_lo, exec_lo, s1
	v_cmp_le_f16_e64 s0, 0, v12
	s_mov_b32 s2, exec_lo
	v_cmpx_nle_f16_e32 0, v12
	s_xor_b32 s3, exec_lo, s2
	s_cbranch_execz .LBB14_251
; %bb.248:                              ;   in Loop: Header=BB14_177 Depth=1
	v_cmp_gt_f32_e64 s1, 0x4b000000, |v13|
	v_cmp_lt_f32_e64 s2, 0x35000000, |v13|
	s_and_b32 s1, s1, s2
	s_delay_alu instid0(SALU_CYCLE_1)
	s_and_saveexec_b32 s4, s1
	s_cbranch_execz .LBB14_250
; %bb.249:                              ;   in Loop: Header=BB14_177 Depth=1
	v_mul_f32_e64 v16, |v13|, 0.5
	v_xor_b32_e32 v15, v15, v13
	s_delay_alu instid0(VALU_DEP_2) | instskip(SKIP_1) | instid1(VALU_DEP_2)
	v_floor_f32_e32 v17, v16
	v_cmp_neq_f32_e64 s1, 0x7f800000, v16
	v_sub_f32_e32 v17, v16, v17
	s_delay_alu instid0(VALU_DEP_1) | instskip(NEXT) | instid1(VALU_DEP_1)
	v_min_num_f32_e32 v17, 0x3f7fffff, v17
	v_add_f32_e32 v17, v17, v17
	s_delay_alu instid0(VALU_DEP_1) | instskip(SKIP_1) | instid1(VALU_DEP_1)
	v_cndmask_b32_e64 v16, 0, v17, s1
	v_cmp_gt_f32_e64 s1, |v13|, 1.0
	v_cndmask_b32_e64 v16, |v13|, v16, s1
	s_delay_alu instid0(VALU_DEP_1) | instskip(NEXT) | instid1(VALU_DEP_1)
	v_add_f32_e32 v17, v16, v16
	v_rndne_f32_e32 v17, v17
	s_delay_alu instid0(VALU_DEP_1) | instskip(SKIP_1) | instid1(VALU_DEP_2)
	v_fmac_f32_e32 v16, -0.5, v17
	v_cvt_i32_f32_e32 v17, v17
	v_mul_f32_e32 v18, v16, v16
	s_delay_alu instid0(VALU_DEP_1) | instskip(SKIP_1) | instid1(VALU_DEP_2)
	v_fmaak_f32 v19, s20, v18, 0xbf1f24be
	v_dual_fmaak_f32 v20, s21, v18, 0x3e642e9d :: v_dual_mul_f32 v21, v16, v18
	v_fmaak_f32 v19, v18, v19, 0x40234736
	s_delay_alu instid0(VALU_DEP_2) | instskip(NEXT) | instid1(VALU_DEP_2)
	v_fmaak_f32 v20, v18, v20, 0xbfaad1da
	v_fmaak_f32 v19, v18, v19, 0xc0a55e0e
	s_delay_alu instid0(VALU_DEP_1) | instskip(NEXT) | instid1(VALU_DEP_1)
	v_mul_f32_e32 v19, v21, v19
	v_fmac_f32_e32 v19, 0x40490fdb, v16
	v_dual_lshlrev_b32 v17, 30, v17 :: v_dual_bitop2_b32 v21, 1, v17 bitop3:0x40
	v_fmaak_f32 v20, v18, v20, 0x4081e0d3
	s_delay_alu instid0(VALU_DEP_2) | instskip(NEXT) | instid1(VALU_DEP_3)
	v_cmp_eq_u32_e64 s1, 0, v21
	v_and_b32_e32 v17, 0x80000000, v17
	s_delay_alu instid0(VALU_DEP_3) | instskip(NEXT) | instid1(VALU_DEP_1)
	v_fmaak_f32 v20, v18, v20, 0xc09de9e6
	v_fma_f32 v16, v18, v20, 1.0
	s_delay_alu instid0(VALU_DEP_1) | instskip(NEXT) | instid1(VALU_DEP_1)
	v_cndmask_b32_e64 v16, v16, v19, s1
	v_xor3_b32 v15, v15, v17, v16
	s_delay_alu instid0(VALU_DEP_1) | instskip(NEXT) | instid1(VALU_DEP_1)
	v_mul_f32_e32 v15, v13, v15
	v_frexp_mant_f32_e64 v16, |v15|
	v_frexp_exp_i32_f32_e32 v15, v15
	s_delay_alu instid0(VALU_DEP_2) | instskip(SKIP_1) | instid1(TRANS32_DEP_1)
	v_rcp_f32_e32 v16, v16
	v_nop
	v_dual_mul_f32 v16, 0x3f490fdb, v16 :: v_dual_sub_nc_u32 v15, 2, v15
	s_delay_alu instid0(VALU_DEP_1) | instskip(NEXT) | instid1(VALU_DEP_1)
	v_ldexp_f32 v15, v16, v15
	v_cmp_gt_f32_e64 s1, 0x800000, v15
	s_delay_alu instid0(VALU_DEP_1) | instskip(NEXT) | instid1(VALU_DEP_1)
	v_cndmask_b32_e64 v16, 0, 32, s1
	v_ldexp_f32 v15, v15, v16
	s_delay_alu instid0(VALU_DEP_1) | instskip(SKIP_1) | instid1(TRANS32_DEP_1)
	v_log_f32_e32 v15, v15
	v_nop
	v_mul_f32_e32 v16, 0x3f317217, v15
	v_cmp_gt_f32_e64 s2, 0x7f800000, |v15|
	s_delay_alu instid0(VALU_DEP_2) | instskip(NEXT) | instid1(VALU_DEP_1)
	v_fma_f32 v17, 0x3f317217, v15, -v16
	v_fmac_f32_e32 v17, 0x3377d1cf, v15
	s_delay_alu instid0(VALU_DEP_1) | instskip(SKIP_1) | instid1(VALU_DEP_2)
	v_add_f32_e32 v16, v16, v17
	v_floor_f32_e32 v17, v13
	v_cndmask_b32_e64 v15, v15, v16, s2
	v_cndmask_b32_e64 v16, 0, 0x41b17218, s1
	s_delay_alu instid0(VALU_DEP_1) | instskip(NEXT) | instid1(VALU_DEP_1)
	v_dual_sub_f32 v17, v13, v17 :: v_dual_sub_f32 v15, v15, v16
	v_min_num_f32_e32 v16, 0x3f7fffff, v17
	s_delay_alu instid0(VALU_DEP_2) | instskip(NEXT) | instid1(VALU_DEP_2)
	v_sub_f32_e32 v14, v15, v14
	v_cmp_neq_f32_e64 s1, 0, v16
	s_delay_alu instid0(VALU_DEP_1)
	v_cndmask_b32_e64 v14, 0x7f800000, v14, s1
.LBB14_250:                             ;   in Loop: Header=BB14_177 Depth=1
	s_or_b32 exec_lo, exec_lo, s4
.LBB14_251:                             ;   in Loop: Header=BB14_177 Depth=1
	s_and_not1_saveexec_b32 s3, s3
; %bb.252:                              ;   in Loop: Header=BB14_177 Depth=1
	v_cmp_eq_f16_e64 s1, 1.0, v12
	v_cmp_eq_f16_e64 s2, 2.0, v12
	s_or_b32 s1, s1, s2
	s_delay_alu instid0(SALU_CYCLE_1)
	v_cndmask_b32_e64 v14, v14, 0, s1
; %bb.253:                              ;   in Loop: Header=BB14_177 Depth=1
	s_or_b32 exec_lo, exec_lo, s3
	v_cvt_f32_f16_e32 v15, v9
                                        ; implicit-def: $vgpr16
	s_mov_b32 s2, exec_lo
	s_delay_alu instid0(VALU_DEP_1)
	v_and_b32_e32 v17, 0x7fffffff, v15
	v_cmpx_ngt_f32_e64 0x3c800000, |v15|
	s_xor_b32 s3, exec_lo, s2
	s_cbranch_execz .LBB14_283
; %bb.254:                              ;   in Loop: Header=BB14_177 Depth=1
                                        ; implicit-def: $vgpr16
	s_mov_b32 s2, exec_lo
	v_cmpx_nlt_f32_e64 |v15|, 2.0
	s_xor_b32 s4, exec_lo, s2
	s_cbranch_execz .LBB14_264
; %bb.255:                              ;   in Loop: Header=BB14_177 Depth=1
	s_mov_b32 s2, exec_lo
                                        ; implicit-def: $vgpr16
	v_cmpx_ngt_f32_e64 0x41000000, |v15|
	s_xor_b32 s2, exec_lo, s2
	s_cbranch_execz .LBB14_261
; %bb.256:                              ;   in Loop: Header=BB14_177 Depth=1
	s_mov_b32 s23, exec_lo
                                        ; implicit-def: $vgpr16
	v_cmpx_ngt_f32_e64 0x5c800000, |v15|
	s_xor_b32 s23, exec_lo, s23
	s_cbranch_execz .LBB14_258
; %bb.257:                              ;   in Loop: Header=BB14_177 Depth=1
	v_cmp_gt_f32_e64 s24, 0x800000, |v15|
	s_delay_alu instid0(VALU_DEP_1) | instskip(NEXT) | instid1(VALU_DEP_1)
	v_cndmask_b32_e64 v16, 0, 32, s24
	v_ldexp_f32 v16, |v15|, v16
	s_delay_alu instid0(VALU_DEP_1) | instskip(SKIP_1) | instid1(TRANS32_DEP_1)
	v_log_f32_e32 v16, v16
	v_nop
	v_mul_f32_e32 v18, 0x3f317217, v16
	v_cmp_gt_f32_e64 s1, 0x7f800000, |v16|
	s_delay_alu instid0(VALU_DEP_2) | instskip(NEXT) | instid1(VALU_DEP_1)
	v_fma_f32 v19, 0x3f317217, v16, -v18
	v_fmac_f32_e32 v19, 0x3377d1cf, v16
	s_delay_alu instid0(VALU_DEP_1) | instskip(NEXT) | instid1(VALU_DEP_1)
	v_add_f32_e32 v18, v18, v19
	v_cndmask_b32_e64 v16, v16, v18, s1
	v_cndmask_b32_e64 v18, 0, 0x41b17218, s24
	s_delay_alu instid0(VALU_DEP_1) | instskip(NEXT) | instid1(VALU_DEP_1)
	v_sub_f32_e32 v16, v16, v18
	v_fma_f32 v16, |v15|, v16, -|v15|
.LBB14_258:                             ;   in Loop: Header=BB14_177 Depth=1
	s_and_not1_saveexec_b32 s23, s23
	s_cbranch_execz .LBB14_260
; %bb.259:                              ;   in Loop: Header=BB14_177 Depth=1
	v_cmp_gt_f32_e64 s24, 0x800000, |v15|
	v_rcp_f32_e64 v18, |v15|
	s_delay_alu instid0(VALU_DEP_1) | instskip(NEXT) | instid1(VALU_DEP_1)
	v_cndmask_b32_e64 v16, 0, 32, s24
	v_ldexp_f32 v16, |v15|, v16
	s_delay_alu instid0(VALU_DEP_1) | instskip(SKIP_1) | instid1(TRANS32_DEP_1)
	v_log_f32_e32 v16, v16
	v_nop
	v_dual_mul_f32 v19, v18, v18 :: v_dual_mul_f32 v20, 0x3f317217, v16
	v_cmp_gt_f32_e64 s1, 0x7f800000, |v16|
	s_delay_alu instid0(VALU_DEP_2) | instskip(NEXT) | instid1(VALU_DEP_1)
	v_fma_f32 v22, 0x3f317217, v16, -v20
	v_fmac_f32_e32 v22, 0x3377d1cf, v16
	s_delay_alu instid0(VALU_DEP_1) | instskip(NEXT) | instid1(VALU_DEP_1)
	v_dual_fmaak_f32 v21, s5, v19, 0x3a5b3dd2 :: v_dual_add_f32 v20, v20, v22
	v_cndmask_b32_e64 v16, v16, v20, s1
	v_cndmask_b32_e64 v20, 0, 0x41b17218, s24
	s_delay_alu instid0(VALU_DEP_1) | instskip(NEXT) | instid1(VALU_DEP_1)
	v_dual_fmaak_f32 v21, v19, v21, 0xba1c065c :: v_dual_sub_f32 v20, v16, v20
	v_fmaak_f32 v21, v19, v21, 0x3a500cfd
	s_delay_alu instid0(VALU_DEP_1) | instskip(NEXT) | instid1(VALU_DEP_1)
	v_fmaak_f32 v21, v19, v21, 0xbb360b61
	v_fmaak_f32 v19, v19, v21, 0x3daaaaab
	s_delay_alu instid0(VALU_DEP_1) | instskip(SKIP_2) | instid1(VALU_DEP_1)
	v_fmaak_f32 v16, v18, v19, 0x3ed67f1d
	v_add_f32_e64 v18, |v15|, -0.5
	v_add_f32_e32 v19, -1.0, v20
	v_fmac_f32_e32 v16, v18, v19
.LBB14_260:                             ;   in Loop: Header=BB14_177 Depth=1
	s_or_b32 exec_lo, exec_lo, s23
.LBB14_261:                             ;   in Loop: Header=BB14_177 Depth=1
	s_and_not1_saveexec_b32 s23, s2
	s_cbranch_execz .LBB14_263
; %bb.262:                              ;   in Loop: Header=BB14_177 Depth=1
	v_cvt_i32_f32_e32 v20, v17
	s_delay_alu instid0(VALU_DEP_1) | instskip(SKIP_1) | instid1(VALU_DEP_2)
	v_cvt_f32_i32_e32 v16, v20
	v_cmp_lt_i32_e64 s1, 3, v20
	v_sub_f32_e64 v16, |v15|, v16
	s_delay_alu instid0(VALU_DEP_1) | instskip(SKIP_1) | instid1(VALU_DEP_2)
	v_pk_add_f32 v[18:19], v[16:17], v[4:5] op_sel_hi:[0,1]
	v_dual_add_f32 v21, 4.0, v16 :: v_dual_add_f32 v22, 0x40a00000, v16
	v_cndmask_b32_e64 v19, 1.0, v19, s1
	v_cmp_lt_i32_e64 s1, 2, v20
	s_delay_alu instid0(VALU_DEP_1) | instskip(SKIP_1) | instid1(VALU_DEP_1)
	v_cndmask_b32_e64 v18, 1.0, v18, s1
	v_cmp_lt_i32_e64 s1, 4, v20
	v_dual_cndmask_b32 v21, 1.0, v21, s1 :: v_dual_mul_f32 v18, v18, v19
	v_add_f32_e32 v19, 0x40c00000, v16
	v_cmp_lt_i32_e64 s1, 5, v20
	s_delay_alu instid0(VALU_DEP_3) | instskip(NEXT) | instid1(VALU_DEP_2)
	v_dual_mul_f32 v18, v21, v18 :: v_dual_fmaak_f32 v21, s10, v16, 0x3af135b4
	v_cndmask_b32_e64 v22, 1.0, v22, s1
	v_cmp_lt_i32_e64 s1, 6, v20
	s_delay_alu instid0(VALU_DEP_1) | instskip(NEXT) | instid1(VALU_DEP_1)
	v_dual_cndmask_b32 v19, 1.0, v19, s1 :: v_dual_mul_f32 v18, v22, v18
	v_dual_mul_f32 v18, v19, v18 :: v_dual_fmaak_f32 v19, s11, v16, 0x3a4beed6
	s_delay_alu instid0(VALU_DEP_1) | instskip(NEXT) | instid1(VALU_DEP_2)
	v_fmaak_f32 v19, v16, v19, 0x3c98bf54
	v_cmp_gt_f32_e64 s1, 0x800000, v18
	s_delay_alu instid0(VALU_DEP_1) | instskip(NEXT) | instid1(VALU_DEP_1)
	v_cndmask_b32_e64 v20, 0, 32, s1
	v_ldexp_f32 v18, v18, v20
	v_fmaak_f32 v20, v16, v21, 0x3cda40e4
	s_delay_alu instid0(VALU_DEP_2) | instskip(SKIP_1) | instid1(TRANS32_DEP_1)
	v_log_f32_e32 v18, v18
	v_nop
	v_mul_f32_e32 v21, 0x3f317217, v18
	v_cmp_gt_f32_e64 s2, 0x7f800000, |v18|
	s_delay_alu instid0(VALU_DEP_2) | instskip(NEXT) | instid1(VALU_DEP_1)
	v_fma_f32 v22, 0x3f317217, v18, -v21
	v_fmac_f32_e32 v22, 0x3377d1cf, v18
	s_delay_alu instid0(VALU_DEP_1) | instskip(NEXT) | instid1(VALU_DEP_1)
	v_dual_add_f32 v21, v21, v22 :: v_dual_fmaak_f32 v20, v16, v20, 0x3e15dce6
	v_cndmask_b32_e64 v18, v18, v21, s2
	s_delay_alu instid0(VALU_DEP_2) | instskip(NEXT) | instid1(VALU_DEP_1)
	v_fmaak_f32 v20, v16, v20, 0x3ea6cc7a
	v_fmaak_f32 v20, v16, v20, 0x3e5c245a
	s_delay_alu instid0(VALU_DEP_1) | instskip(NEXT) | instid1(VALU_DEP_1)
	v_fmaak_f32 v20, v16, v20, 0xbd9e233f
	v_dual_fmaak_f32 v19, v16, v19, 0x3e300f6e :: v_dual_mul_f32 v20, v16, v20
	s_delay_alu instid0(VALU_DEP_1) | instskip(NEXT) | instid1(VALU_DEP_1)
	v_fmaak_f32 v19, v16, v19, 0x3f38d0c5
	v_fmaak_f32 v19, v16, v19, 0x3fb22d3b
	s_delay_alu instid0(VALU_DEP_1) | instskip(NEXT) | instid1(VALU_DEP_1)
	v_fma_f32 v19, v16, v19, 1.0
	v_rcp_f32_e32 v19, v19
	v_nop
	s_delay_alu instid0(TRANS32_DEP_1) | instskip(SKIP_1) | instid1(VALU_DEP_2)
	v_mul_f32_e32 v19, v20, v19
	v_cndmask_b32_e64 v20, 0, 0x41b17218, s1
	v_fmac_f32_e32 v19, 0.5, v16
	s_delay_alu instid0(VALU_DEP_2) | instskip(NEXT) | instid1(VALU_DEP_1)
	v_sub_f32_e32 v16, v18, v20
	v_add_f32_e32 v16, v16, v19
.LBB14_263:                             ;   in Loop: Header=BB14_177 Depth=1
	s_or_b32 exec_lo, exec_lo, s23
.LBB14_264:                             ;   in Loop: Header=BB14_177 Depth=1
	s_and_not1_saveexec_b32 s4, s4
	s_cbranch_execz .LBB14_282
; %bb.265:                              ;   in Loop: Header=BB14_177 Depth=1
                                        ; implicit-def: $vgpr16
                                        ; implicit-def: $vgpr19
                                        ; implicit-def: $vgpr18
	s_mov_b32 s2, exec_lo
	v_cmpx_ge_f32_e64 0x3f666666, |v15|
	s_xor_b32 s23, exec_lo, s2
	s_cbranch_execz .LBB14_267
; %bb.266:                              ;   in Loop: Header=BB14_177 Depth=1
	v_cmp_gt_f32_e64 s2, 0x800000, |v15|
	v_sub_f32_e64 v20, 1.0, |v15|
	v_cmp_gt_f32_e64 s1, 0x3f3b4a23, |v15|
	s_delay_alu instid0(VALU_DEP_3) | instskip(SKIP_1) | instid1(VALU_DEP_2)
	v_cndmask_b32_e64 v16, 0, 32, s2
	v_cndmask_b32_e64 v21, 0, 0x41b17218, s2
	v_ldexp_f32 v16, |v15|, v16
	s_delay_alu instid0(VALU_DEP_1) | instskip(SKIP_1) | instid1(TRANS32_DEP_1)
	v_log_f32_e32 v16, v16
	v_nop
	v_mul_f32_e32 v18, 0x3f317217, v16
	v_cmp_gt_f32_e64 s2, 0x7f800000, |v16|
	s_delay_alu instid0(VALU_DEP_2) | instskip(NEXT) | instid1(VALU_DEP_1)
	v_fma_f32 v19, 0x3f317217, v16, -v18
	v_fmac_f32_e32 v19, 0x3377d1cf, v16
	s_delay_alu instid0(VALU_DEP_1) | instskip(SKIP_1) | instid1(VALU_DEP_2)
	v_add_f32_e32 v18, v18, v19
	v_add_f32_e64 v19, 0xbeec5b0c, |v15|
	v_cndmask_b32_e64 v16, v16, v18, s2
	s_delay_alu instid0(VALU_DEP_2) | instskip(SKIP_2) | instid1(VALU_DEP_4)
	v_cndmask_b32_e64 v18, v20, v19, s1
	v_cndmask_b32_e64 v19, 0, 1, s1
	v_cmp_gt_f32_e64 s1, 0x3e6d3309, |v15|
	v_sub_f32_e32 v16, v16, v21
	s_delay_alu instid0(VALU_DEP_2) | instskip(NEXT) | instid1(VALU_DEP_4)
	v_cndmask_b32_e64 v18, v18, |v15|, s1
	v_cndmask_b32_e64 v19, v19, 2, s1
	s_delay_alu instid0(VALU_DEP_3)
	v_xor_b32_e32 v16, 0x80000000, v16
.LBB14_267:                             ;   in Loop: Header=BB14_177 Depth=1
	s_and_not1_saveexec_b32 s2, s23
	s_cbranch_execz .LBB14_269
; %bb.268:                              ;   in Loop: Header=BB14_177 Depth=1
	v_sub_f32_e64 v16, 2.0, |v15|
	v_add_f32_e64 v18, 0xbfbb16c3, |v15|
	v_cmp_gt_f32_e64 s1, 0x3fdda512, |v15|
	v_add_f32_e64 v19, |v15|, -1.0
	s_delay_alu instid0(VALU_DEP_2) | instskip(SKIP_2) | instid1(VALU_DEP_2)
	v_cndmask_b32_e64 v18, v16, v18, s1
	v_cndmask_b32_e64 v16, v16, 1.0, s1
	v_cmp_gt_f32_e64 s1, 0x3f9d70a4, |v15|
	v_cvt_i32_f32_e32 v16, v16
	s_delay_alu instid0(VALU_DEP_2) | instskip(NEXT) | instid1(VALU_DEP_2)
	v_cndmask_b32_e64 v18, v18, v19, s1
	v_cndmask_b32_e64 v19, v16, 2, s1
	v_mov_b32_e32 v16, 0
.LBB14_269:                             ;   in Loop: Header=BB14_177 Depth=1
	s_or_b32 exec_lo, exec_lo, s2
	s_delay_alu instid0(SALU_CYCLE_1) | instskip(NEXT) | instid1(VALU_DEP_2)
	s_mov_b32 s2, exec_lo
	v_cmpx_lt_i32_e32 0, v19
	s_xor_b32 s2, exec_lo, s2
	s_cbranch_execz .LBB14_277
; %bb.270:                              ;   in Loop: Header=BB14_177 Depth=1
	s_mov_b32 s23, exec_lo
	v_cmpx_lt_i32_e32 1, v19
	s_xor_b32 s23, exec_lo, s23
	s_cbranch_execz .LBB14_274
; %bb.271:                              ;   in Loop: Header=BB14_177 Depth=1
	s_mov_b32 s24, exec_lo
	v_cmpx_eq_u32_e32 2, v19
	s_cbranch_execz .LBB14_273
; %bb.272:                              ;   in Loop: Header=BB14_177 Depth=1
	v_fmaak_f32 v20, s12, v18, 0x3e6a7578
	s_delay_alu instid0(VALU_DEP_1) | instskip(NEXT) | instid1(VALU_DEP_1)
	v_fmaak_f32 v20, v18, v20, 0x3f7a4bb2
	v_fmaak_f32 v20, v18, v20, 0x3fba3ae7
	s_delay_alu instid0(VALU_DEP_1) | instskip(NEXT) | instid1(VALU_DEP_1)
	v_fmaak_f32 v20, v18, v20, 0x3f2200f4
	v_fmaak_f32 v20, v18, v20, 0xbd9e233f
	s_delay_alu instid0(VALU_DEP_1) | instskip(NEXT) | instid1(VALU_DEP_1)
	v_dual_fmaak_f32 v19, s13, v18, 0x3dd572af :: v_dual_mul_f32 v20, v18, v20
	v_fmaak_f32 v19, v18, v19, 0x3f44efdf
	s_delay_alu instid0(VALU_DEP_1) | instskip(NEXT) | instid1(VALU_DEP_1)
	v_fmaak_f32 v19, v18, v19, 0x4008392d
	v_fmaak_f32 v19, v18, v19, 0x401d2ebe
	s_delay_alu instid0(VALU_DEP_1) | instskip(NEXT) | instid1(VALU_DEP_1)
	v_fma_f32 v19, v18, v19, 1.0
	v_rcp_f32_e32 v19, v19
	v_nop
	s_delay_alu instid0(TRANS32_DEP_1) | instskip(NEXT) | instid1(VALU_DEP_1)
	v_mul_f32_e32 v19, v20, v19
	v_fmac_f32_e32 v19, -0.5, v18
	s_delay_alu instid0(VALU_DEP_1)
	v_add_f32_e32 v16, v16, v19
.LBB14_273:                             ;   in Loop: Header=BB14_177 Depth=1
	s_or_b32 exec_lo, exec_lo, s24
                                        ; implicit-def: $vgpr18
.LBB14_274:                             ;   in Loop: Header=BB14_177 Depth=1
	s_and_not1_saveexec_b32 s1, s23
	s_cbranch_execz .LBB14_276
; %bb.275:                              ;   in Loop: Header=BB14_177 Depth=1
	v_mul_f32_e32 v19, v18, v18
	s_delay_alu instid0(VALU_DEP_1) | instskip(NEXT) | instid1(VALU_DEP_1)
	v_mul_f32_e32 v20, v18, v19
	v_fmaak_f32 v21, s15, v20, 0x3a66f867
	v_fmaak_f32 v22, s16, v20, 0xba0d3085
	s_delay_alu instid0(VALU_DEP_2) | instskip(NEXT) | instid1(VALU_DEP_2)
	v_fmaak_f32 v21, v20, v21, 0xbb7177fe
	v_fmaak_f32 v22, v20, v22, 0x3b141699
	s_delay_alu instid0(VALU_DEP_2) | instskip(NEXT) | instid1(VALU_DEP_2)
	;; [unrolled: 3-line block ×3, first 2 shown]
	v_fmaak_f32 v21, v20, v21, 0xbe17213c
	v_fmaak_f32 v22, v20, v22, 0x3d845a15
	s_delay_alu instid0(VALU_DEP_1) | instskip(SKIP_1) | instid1(VALU_DEP_1)
	v_fmac_f32_e32 v21, v18, v22
	v_fmaak_f32 v23, s14, v20, 0xbab7f476
	v_fmaak_f32 v23, v20, v23, 0x3bc7e707
	s_delay_alu instid0(VALU_DEP_1) | instskip(NEXT) | instid1(VALU_DEP_1)
	v_fmaak_f32 v23, v20, v23, 0xbd064d47
	v_fmaak_f32 v18, v20, v23, 0x3ef7b95e
	v_fma_f32 v20, v20, -v21, 0xa2863e55
	s_delay_alu instid0(VALU_DEP_1) | instskip(NEXT) | instid1(VALU_DEP_1)
	v_fma_f32 v18, v19, v18, -v20
	v_add_f32_e32 v18, 0xbdf8cdce, v18
	s_delay_alu instid0(VALU_DEP_1)
	v_add_f32_e32 v16, v16, v18
.LBB14_276:                             ;   in Loop: Header=BB14_177 Depth=1
	s_or_b32 exec_lo, exec_lo, s1
                                        ; implicit-def: $vgpr19
                                        ; implicit-def: $vgpr18
.LBB14_277:                             ;   in Loop: Header=BB14_177 Depth=1
	s_and_not1_saveexec_b32 s2, s2
	s_cbranch_execz .LBB14_281
; %bb.278:                              ;   in Loop: Header=BB14_177 Depth=1
	s_mov_b32 s23, exec_lo
	v_cmpx_eq_u32_e32 0, v19
	s_cbranch_execz .LBB14_280
; %bb.279:                              ;   in Loop: Header=BB14_177 Depth=1
	v_mul_f32_e32 v19, v18, v18
	s_delay_alu instid0(VALU_DEP_1) | instskip(NEXT) | instid1(VALU_DEP_1)
	v_fmaak_f32 v21, s17, v19, 0x39679767
	v_fmaak_f32 v21, v19, v21, 0x3a9c54a1
	s_delay_alu instid0(VALU_DEP_1) | instskip(NEXT) | instid1(VALU_DEP_1)
	v_fmaak_f32 v21, v19, v21, 0x3bf2027e
	v_fmaak_f32 v21, v19, v21, 0x3d89f001
	s_delay_alu instid0(VALU_DEP_1) | instskip(SKIP_1) | instid1(VALU_DEP_1)
	v_fmaak_f32 v21, v19, v21, 0x3d9e233f
	v_fmaak_f32 v20, s18, v19, 0x38e28445
	;; [unrolled: 1-line block ×3, first 2 shown]
	s_delay_alu instid0(VALU_DEP_1) | instskip(NEXT) | instid1(VALU_DEP_1)
	v_fmaak_f32 v20, v19, v20, 0x3b3d6ec6
	v_fmaak_f32 v20, v19, v20, 0x3ca89915
	s_delay_alu instid0(VALU_DEP_1) | instskip(NEXT) | instid1(VALU_DEP_1)
	v_fmaak_f32 v20, v19, v20, 0x3ea51a66
	v_mul_f32_e32 v19, v19, v20
	s_delay_alu instid0(VALU_DEP_1) | instskip(NEXT) | instid1(VALU_DEP_1)
	v_fmac_f32_e32 v19, v18, v21
	v_fmac_f32_e32 v19, -0.5, v18
	s_delay_alu instid0(VALU_DEP_1)
	v_add_f32_e32 v16, v16, v19
.LBB14_280:                             ;   in Loop: Header=BB14_177 Depth=1
	s_or_b32 exec_lo, exec_lo, s23
.LBB14_281:                             ;   in Loop: Header=BB14_177 Depth=1
	s_delay_alu instid0(SALU_CYCLE_1)
	s_or_b32 exec_lo, exec_lo, s2
.LBB14_282:                             ;   in Loop: Header=BB14_177 Depth=1
	s_delay_alu instid0(SALU_CYCLE_1)
	s_or_b32 exec_lo, exec_lo, s4
.LBB14_283:                             ;   in Loop: Header=BB14_177 Depth=1
	s_and_not1_saveexec_b32 s2, s3
	s_cbranch_execz .LBB14_285
; %bb.284:                              ;   in Loop: Header=BB14_177 Depth=1
	v_cmp_gt_f32_e64 s3, 0x800000, |v15|
	v_fma_f32 v20, |v15|, s19, 0xbecd26ab
	s_delay_alu instid0(VALU_DEP_2) | instskip(NEXT) | instid1(VALU_DEP_1)
	v_cndmask_b32_e64 v16, 0, 32, s3
	v_ldexp_f32 v16, |v15|, v16
	s_delay_alu instid0(VALU_DEP_1) | instskip(SKIP_1) | instid1(TRANS32_DEP_1)
	v_log_f32_e32 v16, v16
	v_nop
	v_mul_f32_e32 v18, 0x3f317217, v16
	v_cmp_gt_f32_e64 s1, 0x7f800000, |v16|
	s_delay_alu instid0(VALU_DEP_2) | instskip(NEXT) | instid1(VALU_DEP_1)
	v_fma_f32 v19, 0x3f317217, v16, -v18
	v_fmac_f32_e32 v19, 0x3377d1cf, v16
	s_delay_alu instid0(VALU_DEP_1) | instskip(SKIP_1) | instid1(VALU_DEP_2)
	v_add_f32_e32 v18, v18, v19
	v_fma_f32 v19, |v15|, v20, 0x3f528d33
	v_cndmask_b32_e64 v16, v16, v18, s1
	v_cndmask_b32_e64 v18, 0, 0x41b17218, s3
	s_delay_alu instid0(VALU_DEP_3) | instskip(NEXT) | instid1(VALU_DEP_2)
	v_fma_f32 v19, |v15|, v19, 0xbf13c468
	v_sub_f32_e32 v16, v16, v18
	s_delay_alu instid0(VALU_DEP_1)
	v_fma_f32 v16, |v15|, v19, -v16
.LBB14_285:                             ;   in Loop: Header=BB14_177 Depth=1
	s_or_b32 exec_lo, exec_lo, s2
	v_cmp_le_f16_e64 s1, 0, v9
	s_mov_b32 s3, exec_lo
	v_cmpx_nle_f16_e32 0, v9
	s_xor_b32 s4, exec_lo, s3
	s_cbranch_execz .LBB14_289
; %bb.286:                              ;   in Loop: Header=BB14_177 Depth=1
	v_cmp_gt_f32_e64 s2, 0x4b000000, |v15|
	v_cmp_lt_f32_e64 s3, 0x35000000, |v15|
	s_and_b32 s2, s2, s3
	s_delay_alu instid0(SALU_CYCLE_1)
	s_and_saveexec_b32 s23, s2
	s_cbranch_execz .LBB14_288
; %bb.287:                              ;   in Loop: Header=BB14_177 Depth=1
	v_mul_f32_e64 v18, |v15|, 0.5
	v_xor_b32_e32 v17, v17, v15
	s_delay_alu instid0(VALU_DEP_2) | instskip(SKIP_1) | instid1(VALU_DEP_2)
	v_floor_f32_e32 v19, v18
	v_cmp_neq_f32_e64 s2, 0x7f800000, v18
	v_sub_f32_e32 v19, v18, v19
	s_delay_alu instid0(VALU_DEP_1) | instskip(NEXT) | instid1(VALU_DEP_1)
	v_min_num_f32_e32 v19, 0x3f7fffff, v19
	v_add_f32_e32 v19, v19, v19
	s_delay_alu instid0(VALU_DEP_1) | instskip(SKIP_1) | instid1(VALU_DEP_1)
	v_cndmask_b32_e64 v18, 0, v19, s2
	v_cmp_gt_f32_e64 s2, |v15|, 1.0
	v_cndmask_b32_e64 v18, |v15|, v18, s2
	s_delay_alu instid0(VALU_DEP_1) | instskip(NEXT) | instid1(VALU_DEP_1)
	v_add_f32_e32 v19, v18, v18
	v_rndne_f32_e32 v19, v19
	s_delay_alu instid0(VALU_DEP_1) | instskip(SKIP_1) | instid1(VALU_DEP_2)
	v_fmac_f32_e32 v18, -0.5, v19
	v_cvt_i32_f32_e32 v19, v19
	v_mul_f32_e32 v20, v18, v18
	s_delay_alu instid0(VALU_DEP_1) | instskip(SKIP_1) | instid1(VALU_DEP_2)
	v_fmaak_f32 v21, s20, v20, 0xbf1f24be
	v_dual_fmaak_f32 v22, s21, v20, 0x3e642e9d :: v_dual_mul_f32 v23, v18, v20
	v_fmaak_f32 v21, v20, v21, 0x40234736
	s_delay_alu instid0(VALU_DEP_2) | instskip(NEXT) | instid1(VALU_DEP_2)
	v_fmaak_f32 v22, v20, v22, 0xbfaad1da
	v_fmaak_f32 v21, v20, v21, 0xc0a55e0e
	s_delay_alu instid0(VALU_DEP_1) | instskip(NEXT) | instid1(VALU_DEP_1)
	v_mul_f32_e32 v21, v23, v21
	v_fmac_f32_e32 v21, 0x40490fdb, v18
	v_dual_lshlrev_b32 v19, 30, v19 :: v_dual_bitop2_b32 v23, 1, v19 bitop3:0x40
	v_fmaak_f32 v22, v20, v22, 0x4081e0d3
	s_delay_alu instid0(VALU_DEP_2) | instskip(NEXT) | instid1(VALU_DEP_3)
	v_cmp_eq_u32_e64 s2, 0, v23
	v_and_b32_e32 v19, 0x80000000, v19
	s_delay_alu instid0(VALU_DEP_3) | instskip(NEXT) | instid1(VALU_DEP_1)
	v_fmaak_f32 v22, v20, v22, 0xc09de9e6
	v_fma_f32 v18, v20, v22, 1.0
	s_delay_alu instid0(VALU_DEP_1) | instskip(NEXT) | instid1(VALU_DEP_1)
	v_cndmask_b32_e64 v18, v18, v21, s2
	v_xor3_b32 v17, v17, v19, v18
	s_delay_alu instid0(VALU_DEP_1) | instskip(NEXT) | instid1(VALU_DEP_1)
	v_mul_f32_e32 v17, v15, v17
	v_frexp_mant_f32_e64 v18, |v17|
	v_frexp_exp_i32_f32_e32 v17, v17
	s_delay_alu instid0(VALU_DEP_2) | instskip(SKIP_1) | instid1(TRANS32_DEP_1)
	v_rcp_f32_e32 v18, v18
	v_nop
	v_dual_mul_f32 v18, 0x3f490fdb, v18 :: v_dual_sub_nc_u32 v17, 2, v17
	s_delay_alu instid0(VALU_DEP_1) | instskip(NEXT) | instid1(VALU_DEP_1)
	v_ldexp_f32 v17, v18, v17
	v_cmp_gt_f32_e64 s2, 0x800000, v17
	s_delay_alu instid0(VALU_DEP_1) | instskip(NEXT) | instid1(VALU_DEP_1)
	v_cndmask_b32_e64 v18, 0, 32, s2
	v_ldexp_f32 v17, v17, v18
	s_delay_alu instid0(VALU_DEP_1) | instskip(SKIP_1) | instid1(TRANS32_DEP_1)
	v_log_f32_e32 v17, v17
	v_nop
	v_mul_f32_e32 v18, 0x3f317217, v17
	v_cmp_gt_f32_e64 s3, 0x7f800000, |v17|
	s_delay_alu instid0(VALU_DEP_2) | instskip(NEXT) | instid1(VALU_DEP_1)
	v_fma_f32 v19, 0x3f317217, v17, -v18
	v_fmac_f32_e32 v19, 0x3377d1cf, v17
	s_delay_alu instid0(VALU_DEP_1) | instskip(SKIP_1) | instid1(VALU_DEP_2)
	v_add_f32_e32 v18, v18, v19
	v_floor_f32_e32 v19, v15
	v_cndmask_b32_e64 v17, v17, v18, s3
	v_cndmask_b32_e64 v18, 0, 0x41b17218, s2
	s_delay_alu instid0(VALU_DEP_1) | instskip(NEXT) | instid1(VALU_DEP_1)
	v_dual_sub_f32 v19, v15, v19 :: v_dual_sub_f32 v17, v17, v18
	v_min_num_f32_e32 v18, 0x3f7fffff, v19
	s_delay_alu instid0(VALU_DEP_2) | instskip(NEXT) | instid1(VALU_DEP_2)
	v_sub_f32_e32 v16, v17, v16
	v_cmp_neq_f32_e64 s2, 0, v18
	s_delay_alu instid0(VALU_DEP_1)
	v_cndmask_b32_e64 v16, 0x7f800000, v16, s2
.LBB14_288:                             ;   in Loop: Header=BB14_177 Depth=1
	s_or_b32 exec_lo, exec_lo, s23
.LBB14_289:                             ;   in Loop: Header=BB14_177 Depth=1
	s_and_not1_saveexec_b32 s4, s4
; %bb.290:                              ;   in Loop: Header=BB14_177 Depth=1
	v_cmp_eq_f16_e64 s2, 1.0, v9
	v_cmp_eq_f16_e64 s3, 2.0, v9
	s_or_b32 s2, s2, s3
	s_delay_alu instid0(SALU_CYCLE_1)
	v_cndmask_b32_e64 v16, v16, 0, s2
; %bb.291:                              ;   in Loop: Header=BB14_177 Depth=1
	s_or_b32 exec_lo, exec_lo, s4
	v_lshrrev_b32_e32 v17, 16, v9
                                        ; implicit-def: $vgpr20
	s_mov_b32 s3, exec_lo
	s_delay_alu instid0(VALU_DEP_1) | instskip(NEXT) | instid1(VALU_DEP_1)
	v_cvt_f32_f16_e32 v18, v17
	v_and_b32_e32 v19, 0x7fffffff, v18
	v_cmpx_ngt_f32_e64 0x3c800000, |v18|
	s_xor_b32 s4, exec_lo, s3
	s_cbranch_execz .LBB14_321
; %bb.292:                              ;   in Loop: Header=BB14_177 Depth=1
                                        ; implicit-def: $vgpr20
	s_mov_b32 s3, exec_lo
	v_cmpx_nlt_f32_e64 |v18|, 2.0
	s_xor_b32 s23, exec_lo, s3
	s_cbranch_execz .LBB14_302
; %bb.293:                              ;   in Loop: Header=BB14_177 Depth=1
	s_mov_b32 s3, exec_lo
                                        ; implicit-def: $vgpr20
	v_cmpx_ngt_f32_e64 0x41000000, |v18|
	s_xor_b32 s3, exec_lo, s3
	s_cbranch_execz .LBB14_299
; %bb.294:                              ;   in Loop: Header=BB14_177 Depth=1
	s_mov_b32 s24, exec_lo
                                        ; implicit-def: $vgpr20
	v_cmpx_ngt_f32_e64 0x5c800000, |v18|
	s_xor_b32 s24, exec_lo, s24
	s_cbranch_execz .LBB14_296
; %bb.295:                              ;   in Loop: Header=BB14_177 Depth=1
	v_cmp_gt_f32_e64 s25, 0x800000, |v18|
	s_delay_alu instid0(VALU_DEP_1) | instskip(NEXT) | instid1(VALU_DEP_1)
	v_cndmask_b32_e64 v20, 0, 32, s25
	v_ldexp_f32 v20, |v18|, v20
	s_delay_alu instid0(VALU_DEP_1) | instskip(SKIP_1) | instid1(TRANS32_DEP_1)
	v_log_f32_e32 v20, v20
	v_nop
	v_mul_f32_e32 v21, 0x3f317217, v20
	v_cmp_gt_f32_e64 s2, 0x7f800000, |v20|
	s_delay_alu instid0(VALU_DEP_2) | instskip(NEXT) | instid1(VALU_DEP_1)
	v_fma_f32 v22, 0x3f317217, v20, -v21
	v_fmac_f32_e32 v22, 0x3377d1cf, v20
	s_delay_alu instid0(VALU_DEP_1) | instskip(NEXT) | instid1(VALU_DEP_1)
	v_add_f32_e32 v21, v21, v22
	v_cndmask_b32_e64 v20, v20, v21, s2
	v_cndmask_b32_e64 v21, 0, 0x41b17218, s25
	s_delay_alu instid0(VALU_DEP_1) | instskip(NEXT) | instid1(VALU_DEP_1)
	v_sub_f32_e32 v20, v20, v21
	v_fma_f32 v20, |v18|, v20, -|v18|
.LBB14_296:                             ;   in Loop: Header=BB14_177 Depth=1
	s_and_not1_saveexec_b32 s24, s24
	s_cbranch_execz .LBB14_298
; %bb.297:                              ;   in Loop: Header=BB14_177 Depth=1
	v_cmp_gt_f32_e64 s25, 0x800000, |v18|
	v_rcp_f32_e64 v21, |v18|
	s_delay_alu instid0(VALU_DEP_1) | instskip(NEXT) | instid1(VALU_DEP_1)
	v_cndmask_b32_e64 v20, 0, 32, s25
	v_ldexp_f32 v20, |v18|, v20
	s_delay_alu instid0(VALU_DEP_1) | instskip(SKIP_1) | instid1(TRANS32_DEP_1)
	v_log_f32_e32 v20, v20
	v_nop
	v_dual_mul_f32 v22, v21, v21 :: v_dual_mul_f32 v23, 0x3f317217, v20
	v_cmp_gt_f32_e64 s2, 0x7f800000, |v20|
	s_delay_alu instid0(VALU_DEP_2) | instskip(NEXT) | instid1(VALU_DEP_1)
	v_fma_f32 v25, 0x3f317217, v20, -v23
	v_fmac_f32_e32 v25, 0x3377d1cf, v20
	s_delay_alu instid0(VALU_DEP_1) | instskip(NEXT) | instid1(VALU_DEP_1)
	v_dual_fmaak_f32 v24, s5, v22, 0x3a5b3dd2 :: v_dual_add_f32 v23, v23, v25
	v_cndmask_b32_e64 v20, v20, v23, s2
	v_cndmask_b32_e64 v23, 0, 0x41b17218, s25
	s_delay_alu instid0(VALU_DEP_1) | instskip(NEXT) | instid1(VALU_DEP_1)
	v_dual_fmaak_f32 v24, v22, v24, 0xba1c065c :: v_dual_sub_f32 v23, v20, v23
	v_fmaak_f32 v24, v22, v24, 0x3a500cfd
	s_delay_alu instid0(VALU_DEP_1) | instskip(NEXT) | instid1(VALU_DEP_1)
	v_fmaak_f32 v24, v22, v24, 0xbb360b61
	v_fmaak_f32 v22, v22, v24, 0x3daaaaab
	s_delay_alu instid0(VALU_DEP_1) | instskip(SKIP_2) | instid1(VALU_DEP_1)
	v_fmaak_f32 v20, v21, v22, 0x3ed67f1d
	v_add_f32_e64 v21, |v18|, -0.5
	v_add_f32_e32 v22, -1.0, v23
	v_fmac_f32_e32 v20, v21, v22
.LBB14_298:                             ;   in Loop: Header=BB14_177 Depth=1
	s_or_b32 exec_lo, exec_lo, s24
.LBB14_299:                             ;   in Loop: Header=BB14_177 Depth=1
	s_and_not1_saveexec_b32 s24, s3
	s_cbranch_execz .LBB14_301
; %bb.300:                              ;   in Loop: Header=BB14_177 Depth=1
	v_cvt_i32_f32_e32 v21, v19
	s_delay_alu instid0(VALU_DEP_1) | instskip(SKIP_1) | instid1(VALU_DEP_2)
	v_cvt_f32_i32_e32 v20, v21
	v_cmp_lt_i32_e64 s2, 3, v21
	v_sub_f32_e64 v20, |v18|, v20
	s_delay_alu instid0(VALU_DEP_1) | instskip(NEXT) | instid1(VALU_DEP_1)
	v_pk_add_f32 v[22:23], v[20:21], v[4:5] op_sel_hi:[0,1]
	v_dual_add_f32 v24, 4.0, v20 :: v_dual_cndmask_b32 v23, 1.0, v23, s2
	v_cmp_lt_i32_e64 s2, 2, v21
	s_delay_alu instid0(VALU_DEP_1) | instskip(SKIP_1) | instid1(VALU_DEP_1)
	v_cndmask_b32_e64 v22, 1.0, v22, s2
	v_cmp_lt_i32_e64 s2, 4, v21
	v_cndmask_b32_e64 v24, 1.0, v24, s2
	s_delay_alu instid0(VALU_DEP_3) | instskip(SKIP_1) | instid1(VALU_DEP_2)
	v_dual_add_f32 v25, 0x40a00000, v20 :: v_dual_mul_f32 v22, v22, v23
	v_cmp_lt_i32_e64 s2, 5, v21
	v_dual_add_f32 v23, 0x40c00000, v20 :: v_dual_mul_f32 v22, v24, v22
	s_delay_alu instid0(VALU_DEP_2) | instskip(SKIP_2) | instid1(VALU_DEP_2)
	v_cndmask_b32_e64 v25, 1.0, v25, s2
	v_cmp_lt_i32_e64 s2, 6, v21
	v_fmaak_f32 v24, s10, v20, 0x3af135b4
	v_dual_cndmask_b32 v21, 1.0, v23, s2 :: v_dual_mul_f32 v22, v25, v22
	s_delay_alu instid0(VALU_DEP_1) | instskip(NEXT) | instid1(VALU_DEP_1)
	v_dual_mul_f32 v21, v21, v22 :: v_dual_fmaak_f32 v22, s11, v20, 0x3a4beed6
	v_cmp_gt_f32_e64 s2, 0x800000, v21
	s_delay_alu instid0(VALU_DEP_2) | instskip(NEXT) | instid1(VALU_DEP_2)
	v_fmaak_f32 v22, v20, v22, 0x3c98bf54
	v_cndmask_b32_e64 v23, 0, 32, s2
	s_delay_alu instid0(VALU_DEP_2) | instskip(NEXT) | instid1(VALU_DEP_2)
	v_fmaak_f32 v22, v20, v22, 0x3e300f6e
	v_ldexp_f32 v21, v21, v23
	v_fmaak_f32 v23, v20, v24, 0x3cda40e4
	s_delay_alu instid0(VALU_DEP_3) | instskip(NEXT) | instid1(VALU_DEP_3)
	v_fmaak_f32 v22, v20, v22, 0x3f38d0c5
	v_log_f32_e32 v21, v21
	s_delay_alu instid0(VALU_DEP_2) | instskip(NEXT) | instid1(VALU_DEP_2)
	v_fmaak_f32 v23, v20, v23, 0x3e15dce6
	v_fmaak_f32 v22, v20, v22, 0x3fb22d3b
	s_delay_alu instid0(VALU_DEP_2) | instskip(NEXT) | instid1(TRANS32_DEP_1)
	v_fmaak_f32 v23, v20, v23, 0x3ea6cc7a
	v_mul_f32_e32 v24, 0x3f317217, v21
	s_delay_alu instid0(VALU_DEP_3) | instskip(SKIP_1) | instid1(VALU_DEP_4)
	v_fma_f32 v22, v20, v22, 1.0
	v_cmp_gt_f32_e64 s3, 0x7f800000, |v21|
	v_fmaak_f32 v23, v20, v23, 0x3e5c245a
	s_delay_alu instid0(VALU_DEP_4) | instskip(NEXT) | instid1(VALU_DEP_4)
	v_fma_f32 v25, 0x3f317217, v21, -v24
	v_rcp_f32_e32 v22, v22
	s_delay_alu instid0(VALU_DEP_2) | instskip(NEXT) | instid1(VALU_DEP_1)
	v_fmaak_f32 v23, v20, v23, 0xbd9e233f
	v_mul_f32_e32 v23, v20, v23
	s_delay_alu instid0(TRANS32_DEP_1) | instid1(VALU_DEP_1)
	v_dual_fmac_f32 v25, 0x3377d1cf, v21 :: v_dual_mul_f32 v22, v23, v22
	v_cndmask_b32_e64 v23, 0, 0x41b17218, s2
	s_delay_alu instid0(VALU_DEP_2) | instskip(NEXT) | instid1(VALU_DEP_1)
	v_dual_add_f32 v24, v24, v25 :: v_dual_fmac_f32 v22, 0.5, v20
	v_cndmask_b32_e64 v21, v21, v24, s3
	s_delay_alu instid0(VALU_DEP_1) | instskip(NEXT) | instid1(VALU_DEP_1)
	v_sub_f32_e32 v20, v21, v23
	v_add_f32_e32 v20, v20, v22
.LBB14_301:                             ;   in Loop: Header=BB14_177 Depth=1
	s_or_b32 exec_lo, exec_lo, s24
.LBB14_302:                             ;   in Loop: Header=BB14_177 Depth=1
	s_and_not1_saveexec_b32 s23, s23
	s_cbranch_execz .LBB14_320
; %bb.303:                              ;   in Loop: Header=BB14_177 Depth=1
                                        ; implicit-def: $vgpr20
                                        ; implicit-def: $vgpr22
                                        ; implicit-def: $vgpr21
	s_mov_b32 s3, exec_lo
	v_cmpx_ge_f32_e64 0x3f666666, |v18|
	s_xor_b32 s24, exec_lo, s3
	s_cbranch_execz .LBB14_305
; %bb.304:                              ;   in Loop: Header=BB14_177 Depth=1
	v_cmp_gt_f32_e64 s3, 0x800000, |v18|
	v_sub_f32_e64 v23, 1.0, |v18|
	v_cmp_gt_f32_e64 s2, 0x3f3b4a23, |v18|
	s_delay_alu instid0(VALU_DEP_3) | instskip(SKIP_1) | instid1(VALU_DEP_2)
	v_cndmask_b32_e64 v20, 0, 32, s3
	v_cndmask_b32_e64 v24, 0, 0x41b17218, s3
	v_ldexp_f32 v20, |v18|, v20
	s_delay_alu instid0(VALU_DEP_1) | instskip(SKIP_1) | instid1(TRANS32_DEP_1)
	v_log_f32_e32 v20, v20
	v_nop
	v_mul_f32_e32 v21, 0x3f317217, v20
	v_cmp_gt_f32_e64 s3, 0x7f800000, |v20|
	s_delay_alu instid0(VALU_DEP_2) | instskip(NEXT) | instid1(VALU_DEP_1)
	v_fma_f32 v22, 0x3f317217, v20, -v21
	v_fmac_f32_e32 v22, 0x3377d1cf, v20
	s_delay_alu instid0(VALU_DEP_1) | instskip(SKIP_1) | instid1(VALU_DEP_1)
	v_add_f32_e32 v21, v21, v22
	v_add_f32_e64 v22, 0xbeec5b0c, |v18|
	v_dual_cndmask_b32 v20, v20, v21, s3 :: v_dual_cndmask_b32 v21, v23, v22, s2
	v_cndmask_b32_e64 v22, 0, 1, s2
	v_cmp_gt_f32_e64 s2, 0x3e6d3309, |v18|
	s_delay_alu instid0(VALU_DEP_3) | instskip(NEXT) | instid1(VALU_DEP_2)
	v_sub_f32_e32 v20, v20, v24
	v_cndmask_b32_e64 v21, v21, |v18|, s2
	s_delay_alu instid0(VALU_DEP_4) | instskip(NEXT) | instid1(VALU_DEP_3)
	v_cndmask_b32_e64 v22, v22, 2, s2
	v_xor_b32_e32 v20, 0x80000000, v20
.LBB14_305:                             ;   in Loop: Header=BB14_177 Depth=1
	s_and_not1_saveexec_b32 s3, s24
	s_cbranch_execz .LBB14_307
; %bb.306:                              ;   in Loop: Header=BB14_177 Depth=1
	v_sub_f32_e64 v20, 2.0, |v18|
	v_add_f32_e64 v21, 0xbfbb16c3, |v18|
	v_cmp_gt_f32_e64 s2, 0x3fdda512, |v18|
	v_add_f32_e64 v22, |v18|, -1.0
	s_delay_alu instid0(VALU_DEP_2) | instskip(SKIP_2) | instid1(VALU_DEP_2)
	v_cndmask_b32_e64 v21, v20, v21, s2
	v_cndmask_b32_e64 v20, v20, 1.0, s2
	v_cmp_gt_f32_e64 s2, 0x3f9d70a4, |v18|
	v_cvt_i32_f32_e32 v20, v20
	s_delay_alu instid0(VALU_DEP_2) | instskip(NEXT) | instid1(VALU_DEP_2)
	v_cndmask_b32_e64 v21, v21, v22, s2
	v_cndmask_b32_e64 v22, v20, 2, s2
	v_mov_b32_e32 v20, 0
.LBB14_307:                             ;   in Loop: Header=BB14_177 Depth=1
	s_or_b32 exec_lo, exec_lo, s3
	s_delay_alu instid0(SALU_CYCLE_1) | instskip(NEXT) | instid1(VALU_DEP_2)
	s_mov_b32 s3, exec_lo
	v_cmpx_lt_i32_e32 0, v22
	s_xor_b32 s3, exec_lo, s3
	s_cbranch_execz .LBB14_315
; %bb.308:                              ;   in Loop: Header=BB14_177 Depth=1
	s_mov_b32 s24, exec_lo
	v_cmpx_lt_i32_e32 1, v22
	s_xor_b32 s24, exec_lo, s24
	s_cbranch_execz .LBB14_312
; %bb.309:                              ;   in Loop: Header=BB14_177 Depth=1
	s_mov_b32 s25, exec_lo
	v_cmpx_eq_u32_e32 2, v22
	s_cbranch_execz .LBB14_311
; %bb.310:                              ;   in Loop: Header=BB14_177 Depth=1
	v_fmaak_f32 v23, s12, v21, 0x3e6a7578
	s_delay_alu instid0(VALU_DEP_1) | instskip(NEXT) | instid1(VALU_DEP_1)
	v_fmaak_f32 v23, v21, v23, 0x3f7a4bb2
	v_fmaak_f32 v23, v21, v23, 0x3fba3ae7
	s_delay_alu instid0(VALU_DEP_1) | instskip(NEXT) | instid1(VALU_DEP_1)
	v_fmaak_f32 v23, v21, v23, 0x3f2200f4
	v_fmaak_f32 v23, v21, v23, 0xbd9e233f
	s_delay_alu instid0(VALU_DEP_1) | instskip(NEXT) | instid1(VALU_DEP_1)
	v_dual_fmaak_f32 v22, s13, v21, 0x3dd572af :: v_dual_mul_f32 v23, v21, v23
	v_fmaak_f32 v22, v21, v22, 0x3f44efdf
	s_delay_alu instid0(VALU_DEP_1) | instskip(NEXT) | instid1(VALU_DEP_1)
	v_fmaak_f32 v22, v21, v22, 0x4008392d
	v_fmaak_f32 v22, v21, v22, 0x401d2ebe
	s_delay_alu instid0(VALU_DEP_1) | instskip(NEXT) | instid1(VALU_DEP_1)
	v_fma_f32 v22, v21, v22, 1.0
	v_rcp_f32_e32 v22, v22
	v_nop
	s_delay_alu instid0(TRANS32_DEP_1) | instskip(NEXT) | instid1(VALU_DEP_1)
	v_mul_f32_e32 v22, v23, v22
	v_fmac_f32_e32 v22, -0.5, v21
	s_delay_alu instid0(VALU_DEP_1)
	v_add_f32_e32 v20, v20, v22
.LBB14_311:                             ;   in Loop: Header=BB14_177 Depth=1
	s_or_b32 exec_lo, exec_lo, s25
                                        ; implicit-def: $vgpr21
.LBB14_312:                             ;   in Loop: Header=BB14_177 Depth=1
	s_and_not1_saveexec_b32 s2, s24
	s_cbranch_execz .LBB14_314
; %bb.313:                              ;   in Loop: Header=BB14_177 Depth=1
	v_mul_f32_e32 v22, v21, v21
	s_delay_alu instid0(VALU_DEP_1) | instskip(NEXT) | instid1(VALU_DEP_1)
	v_mul_f32_e32 v23, v21, v22
	v_fmaak_f32 v24, s15, v23, 0x3a66f867
	v_fmaak_f32 v25, s16, v23, 0xba0d3085
	s_delay_alu instid0(VALU_DEP_2) | instskip(NEXT) | instid1(VALU_DEP_2)
	v_fmaak_f32 v24, v23, v24, 0xbb7177fe
	v_fmaak_f32 v25, v23, v25, 0x3b141699
	s_delay_alu instid0(VALU_DEP_2) | instskip(NEXT) | instid1(VALU_DEP_2)
	;; [unrolled: 3-line block ×3, first 2 shown]
	v_fmaak_f32 v24, v23, v24, 0xbe17213c
	v_fmaak_f32 v25, v23, v25, 0x3d845a15
	s_delay_alu instid0(VALU_DEP_1) | instskip(SKIP_1) | instid1(VALU_DEP_1)
	v_fmac_f32_e32 v24, v21, v25
	v_fmaak_f32 v26, s14, v23, 0xbab7f476
	v_fmaak_f32 v26, v23, v26, 0x3bc7e707
	s_delay_alu instid0(VALU_DEP_1) | instskip(NEXT) | instid1(VALU_DEP_1)
	v_fmaak_f32 v26, v23, v26, 0xbd064d47
	v_fmaak_f32 v21, v23, v26, 0x3ef7b95e
	v_fma_f32 v23, v23, -v24, 0xa2863e55
	s_delay_alu instid0(VALU_DEP_1) | instskip(NEXT) | instid1(VALU_DEP_1)
	v_fma_f32 v21, v22, v21, -v23
	v_add_f32_e32 v21, 0xbdf8cdce, v21
	s_delay_alu instid0(VALU_DEP_1)
	v_add_f32_e32 v20, v20, v21
.LBB14_314:                             ;   in Loop: Header=BB14_177 Depth=1
	s_or_b32 exec_lo, exec_lo, s2
                                        ; implicit-def: $vgpr22
                                        ; implicit-def: $vgpr21
.LBB14_315:                             ;   in Loop: Header=BB14_177 Depth=1
	s_and_not1_saveexec_b32 s3, s3
	s_cbranch_execz .LBB14_319
; %bb.316:                              ;   in Loop: Header=BB14_177 Depth=1
	s_mov_b32 s24, exec_lo
	v_cmpx_eq_u32_e32 0, v22
	s_cbranch_execz .LBB14_318
; %bb.317:                              ;   in Loop: Header=BB14_177 Depth=1
	v_mul_f32_e32 v22, v21, v21
	s_delay_alu instid0(VALU_DEP_1) | instskip(NEXT) | instid1(VALU_DEP_1)
	v_fmaak_f32 v24, s17, v22, 0x39679767
	v_fmaak_f32 v24, v22, v24, 0x3a9c54a1
	s_delay_alu instid0(VALU_DEP_1) | instskip(NEXT) | instid1(VALU_DEP_1)
	v_fmaak_f32 v24, v22, v24, 0x3bf2027e
	v_fmaak_f32 v24, v22, v24, 0x3d89f001
	s_delay_alu instid0(VALU_DEP_1) | instskip(SKIP_1) | instid1(VALU_DEP_1)
	v_fmaak_f32 v24, v22, v24, 0x3d9e233f
	v_fmaak_f32 v23, s18, v22, 0x38e28445
	;; [unrolled: 1-line block ×3, first 2 shown]
	s_delay_alu instid0(VALU_DEP_1) | instskip(NEXT) | instid1(VALU_DEP_1)
	v_fmaak_f32 v23, v22, v23, 0x3b3d6ec6
	v_fmaak_f32 v23, v22, v23, 0x3ca89915
	s_delay_alu instid0(VALU_DEP_1) | instskip(NEXT) | instid1(VALU_DEP_1)
	v_fmaak_f32 v23, v22, v23, 0x3ea51a66
	v_mul_f32_e32 v22, v22, v23
	s_delay_alu instid0(VALU_DEP_1) | instskip(NEXT) | instid1(VALU_DEP_1)
	v_fmac_f32_e32 v22, v21, v24
	v_fmac_f32_e32 v22, -0.5, v21
	s_delay_alu instid0(VALU_DEP_1)
	v_add_f32_e32 v20, v20, v22
.LBB14_318:                             ;   in Loop: Header=BB14_177 Depth=1
	s_or_b32 exec_lo, exec_lo, s24
.LBB14_319:                             ;   in Loop: Header=BB14_177 Depth=1
	s_delay_alu instid0(SALU_CYCLE_1)
	s_or_b32 exec_lo, exec_lo, s3
.LBB14_320:                             ;   in Loop: Header=BB14_177 Depth=1
	s_delay_alu instid0(SALU_CYCLE_1)
	s_or_b32 exec_lo, exec_lo, s23
.LBB14_321:                             ;   in Loop: Header=BB14_177 Depth=1
	s_and_not1_saveexec_b32 s3, s4
	s_cbranch_execz .LBB14_323
; %bb.322:                              ;   in Loop: Header=BB14_177 Depth=1
	v_cmp_gt_f32_e64 s4, 0x800000, |v18|
	v_fma_f32 v23, |v18|, s19, 0xbecd26ab
	s_delay_alu instid0(VALU_DEP_2) | instskip(NEXT) | instid1(VALU_DEP_1)
	v_cndmask_b32_e64 v20, 0, 32, s4
	v_ldexp_f32 v20, |v18|, v20
	s_delay_alu instid0(VALU_DEP_1) | instskip(SKIP_1) | instid1(TRANS32_DEP_1)
	v_log_f32_e32 v20, v20
	v_nop
	v_mul_f32_e32 v21, 0x3f317217, v20
	v_cmp_gt_f32_e64 s2, 0x7f800000, |v20|
	s_delay_alu instid0(VALU_DEP_2) | instskip(NEXT) | instid1(VALU_DEP_1)
	v_fma_f32 v22, 0x3f317217, v20, -v21
	v_fmac_f32_e32 v22, 0x3377d1cf, v20
	s_delay_alu instid0(VALU_DEP_1) | instskip(SKIP_1) | instid1(VALU_DEP_2)
	v_add_f32_e32 v21, v21, v22
	v_fma_f32 v22, |v18|, v23, 0x3f528d33
	v_cndmask_b32_e64 v20, v20, v21, s2
	v_cndmask_b32_e64 v21, 0, 0x41b17218, s4
	s_delay_alu instid0(VALU_DEP_3) | instskip(NEXT) | instid1(VALU_DEP_2)
	v_fma_f32 v22, |v18|, v22, 0xbf13c468
	v_sub_f32_e32 v20, v20, v21
	s_delay_alu instid0(VALU_DEP_1)
	v_fma_f32 v20, |v18|, v22, -v20
.LBB14_323:                             ;   in Loop: Header=BB14_177 Depth=1
	s_or_b32 exec_lo, exec_lo, s3
	v_cmp_le_f16_e64 s2, 0, v17
	s_mov_b32 s4, exec_lo
	v_cmpx_nle_f16_e32 0, v17
	s_xor_b32 s23, exec_lo, s4
	s_cbranch_execz .LBB14_327
; %bb.324:                              ;   in Loop: Header=BB14_177 Depth=1
	v_cmp_gt_f32_e64 s3, 0x4b000000, |v18|
	v_cmp_lt_f32_e64 s4, 0x35000000, |v18|
	s_and_b32 s3, s3, s4
	s_delay_alu instid0(SALU_CYCLE_1)
	s_and_saveexec_b32 s24, s3
	s_cbranch_execz .LBB14_326
; %bb.325:                              ;   in Loop: Header=BB14_177 Depth=1
	v_mul_f32_e64 v21, |v18|, 0.5
	v_xor_b32_e32 v19, v19, v18
	s_delay_alu instid0(VALU_DEP_2) | instskip(SKIP_1) | instid1(VALU_DEP_2)
	v_floor_f32_e32 v22, v21
	v_cmp_neq_f32_e64 s3, 0x7f800000, v21
	v_sub_f32_e32 v22, v21, v22
	s_delay_alu instid0(VALU_DEP_1) | instskip(NEXT) | instid1(VALU_DEP_1)
	v_min_num_f32_e32 v22, 0x3f7fffff, v22
	v_add_f32_e32 v22, v22, v22
	s_delay_alu instid0(VALU_DEP_1) | instskip(SKIP_1) | instid1(VALU_DEP_1)
	v_cndmask_b32_e64 v21, 0, v22, s3
	v_cmp_gt_f32_e64 s3, |v18|, 1.0
	v_cndmask_b32_e64 v21, |v18|, v21, s3
	s_delay_alu instid0(VALU_DEP_1) | instskip(NEXT) | instid1(VALU_DEP_1)
	v_add_f32_e32 v22, v21, v21
	v_rndne_f32_e32 v22, v22
	s_delay_alu instid0(VALU_DEP_1) | instskip(SKIP_1) | instid1(VALU_DEP_2)
	v_fmac_f32_e32 v21, -0.5, v22
	v_cvt_i32_f32_e32 v22, v22
	v_mul_f32_e32 v23, v21, v21
	s_delay_alu instid0(VALU_DEP_1) | instskip(SKIP_1) | instid1(VALU_DEP_2)
	v_fmaak_f32 v24, s20, v23, 0xbf1f24be
	v_dual_fmaak_f32 v25, s21, v23, 0x3e642e9d :: v_dual_mul_f32 v26, v21, v23
	v_fmaak_f32 v24, v23, v24, 0x40234736
	s_delay_alu instid0(VALU_DEP_2) | instskip(NEXT) | instid1(VALU_DEP_2)
	v_fmaak_f32 v25, v23, v25, 0xbfaad1da
	v_fmaak_f32 v24, v23, v24, 0xc0a55e0e
	s_delay_alu instid0(VALU_DEP_1) | instskip(NEXT) | instid1(VALU_DEP_1)
	v_mul_f32_e32 v24, v26, v24
	v_fmac_f32_e32 v24, 0x40490fdb, v21
	v_dual_lshlrev_b32 v22, 30, v22 :: v_dual_bitop2_b32 v26, 1, v22 bitop3:0x40
	v_fmaak_f32 v25, v23, v25, 0x4081e0d3
	s_delay_alu instid0(VALU_DEP_2) | instskip(NEXT) | instid1(VALU_DEP_3)
	v_cmp_eq_u32_e64 s3, 0, v26
	v_and_b32_e32 v22, 0x80000000, v22
	s_delay_alu instid0(VALU_DEP_3) | instskip(NEXT) | instid1(VALU_DEP_1)
	v_fmaak_f32 v25, v23, v25, 0xc09de9e6
	v_fma_f32 v21, v23, v25, 1.0
	s_delay_alu instid0(VALU_DEP_1) | instskip(NEXT) | instid1(VALU_DEP_1)
	v_cndmask_b32_e64 v21, v21, v24, s3
	v_xor3_b32 v19, v19, v22, v21
	s_delay_alu instid0(VALU_DEP_1) | instskip(NEXT) | instid1(VALU_DEP_1)
	v_mul_f32_e32 v19, v18, v19
	v_frexp_mant_f32_e64 v21, |v19|
	v_frexp_exp_i32_f32_e32 v19, v19
	s_delay_alu instid0(VALU_DEP_2) | instskip(NEXT) | instid1(VALU_DEP_1)
	v_rcp_f32_e32 v21, v21
	v_sub_nc_u32_e32 v19, 2, v19
	s_delay_alu instid0(TRANS32_DEP_1) | instskip(NEXT) | instid1(VALU_DEP_1)
	v_mul_f32_e32 v21, 0x3f490fdb, v21
	v_ldexp_f32 v19, v21, v19
	s_delay_alu instid0(VALU_DEP_1) | instskip(NEXT) | instid1(VALU_DEP_1)
	v_cmp_gt_f32_e64 s3, 0x800000, v19
	v_cndmask_b32_e64 v21, 0, 32, s3
	s_delay_alu instid0(VALU_DEP_1) | instskip(NEXT) | instid1(VALU_DEP_1)
	v_ldexp_f32 v19, v19, v21
	v_log_f32_e32 v19, v19
	v_nop
	s_delay_alu instid0(TRANS32_DEP_1) | instskip(SKIP_1) | instid1(VALU_DEP_2)
	v_mul_f32_e32 v21, 0x3f317217, v19
	v_cmp_gt_f32_e64 s4, 0x7f800000, |v19|
	v_fma_f32 v22, 0x3f317217, v19, -v21
	s_delay_alu instid0(VALU_DEP_1) | instskip(NEXT) | instid1(VALU_DEP_1)
	v_fmac_f32_e32 v22, 0x3377d1cf, v19
	v_add_f32_e32 v21, v21, v22
	v_floor_f32_e32 v22, v18
	s_delay_alu instid0(VALU_DEP_2) | instskip(SKIP_1) | instid1(VALU_DEP_1)
	v_cndmask_b32_e64 v19, v19, v21, s4
	v_cndmask_b32_e64 v21, 0, 0x41b17218, s3
	v_dual_sub_f32 v22, v18, v22 :: v_dual_sub_f32 v19, v19, v21
	s_delay_alu instid0(VALU_DEP_1) | instskip(NEXT) | instid1(VALU_DEP_2)
	v_min_num_f32_e32 v21, 0x3f7fffff, v22
	v_sub_f32_e32 v19, v19, v20
	s_delay_alu instid0(VALU_DEP_2) | instskip(NEXT) | instid1(VALU_DEP_1)
	v_cmp_neq_f32_e64 s3, 0, v21
	v_cndmask_b32_e64 v20, 0x7f800000, v19, s3
.LBB14_326:                             ;   in Loop: Header=BB14_177 Depth=1
	s_or_b32 exec_lo, exec_lo, s24
.LBB14_327:                             ;   in Loop: Header=BB14_177 Depth=1
	s_and_not1_saveexec_b32 s23, s23
	s_cbranch_execz .LBB14_176
; %bb.328:                              ;   in Loop: Header=BB14_177 Depth=1
	v_cmp_eq_f16_e64 s3, 1.0, v17
	v_cmp_eq_f16_e64 s4, 2.0, v17
	s_or_b32 s3, s3, s4
	s_delay_alu instid0(SALU_CYCLE_1)
	v_cndmask_b32_e64 v20, v20, 0, s3
	s_branch .LBB14_176
.LBB14_329:
	s_endpgm
	.section	.rodata,"a",@progbits
	.p2align	6, 0x0
	.amdhsa_kernel _ZN2at6native12_GLOBAL__N_125multi_tensor_apply_kernelINS1_18TensorListMetadataILi1EEENS1_14UnaryOpFunctorIN3c104HalfELi1ELi1ELi0EEEJNS0_6LgammaIfEEEEEvT_T0_DpT1_
		.amdhsa_group_segment_fixed_size 0
		.amdhsa_private_segment_fixed_size 0
		.amdhsa_kernarg_size 3632
		.amdhsa_user_sgpr_count 2
		.amdhsa_user_sgpr_dispatch_ptr 0
		.amdhsa_user_sgpr_queue_ptr 0
		.amdhsa_user_sgpr_kernarg_segment_ptr 1
		.amdhsa_user_sgpr_dispatch_id 0
		.amdhsa_user_sgpr_kernarg_preload_length 0
		.amdhsa_user_sgpr_kernarg_preload_offset 0
		.amdhsa_user_sgpr_private_segment_size 0
		.amdhsa_wavefront_size32 1
		.amdhsa_uses_dynamic_stack 0
		.amdhsa_enable_private_segment 0
		.amdhsa_system_sgpr_workgroup_id_x 1
		.amdhsa_system_sgpr_workgroup_id_y 0
		.amdhsa_system_sgpr_workgroup_id_z 0
		.amdhsa_system_sgpr_workgroup_info 0
		.amdhsa_system_vgpr_workitem_id 0
		.amdhsa_next_free_vgpr 41
		.amdhsa_next_free_sgpr 42
		.amdhsa_named_barrier_count 0
		.amdhsa_reserve_vcc 1
		.amdhsa_float_round_mode_32 0
		.amdhsa_float_round_mode_16_64 0
		.amdhsa_float_denorm_mode_32 3
		.amdhsa_float_denorm_mode_16_64 3
		.amdhsa_fp16_overflow 0
		.amdhsa_memory_ordered 1
		.amdhsa_forward_progress 1
		.amdhsa_inst_pref_size 175
		.amdhsa_round_robin_scheduling 0
		.amdhsa_exception_fp_ieee_invalid_op 0
		.amdhsa_exception_fp_denorm_src 0
		.amdhsa_exception_fp_ieee_div_zero 0
		.amdhsa_exception_fp_ieee_overflow 0
		.amdhsa_exception_fp_ieee_underflow 0
		.amdhsa_exception_fp_ieee_inexact 0
		.amdhsa_exception_int_div_zero 0
	.end_amdhsa_kernel
	.section	.text._ZN2at6native12_GLOBAL__N_125multi_tensor_apply_kernelINS1_18TensorListMetadataILi1EEENS1_14UnaryOpFunctorIN3c104HalfELi1ELi1ELi0EEEJNS0_6LgammaIfEEEEEvT_T0_DpT1_,"axG",@progbits,_ZN2at6native12_GLOBAL__N_125multi_tensor_apply_kernelINS1_18TensorListMetadataILi1EEENS1_14UnaryOpFunctorIN3c104HalfELi1ELi1ELi0EEEJNS0_6LgammaIfEEEEEvT_T0_DpT1_,comdat
.Lfunc_end14:
	.size	_ZN2at6native12_GLOBAL__N_125multi_tensor_apply_kernelINS1_18TensorListMetadataILi1EEENS1_14UnaryOpFunctorIN3c104HalfELi1ELi1ELi0EEEJNS0_6LgammaIfEEEEEvT_T0_DpT1_, .Lfunc_end14-_ZN2at6native12_GLOBAL__N_125multi_tensor_apply_kernelINS1_18TensorListMetadataILi1EEENS1_14UnaryOpFunctorIN3c104HalfELi1ELi1ELi0EEEJNS0_6LgammaIfEEEEEvT_T0_DpT1_
                                        ; -- End function
	.set _ZN2at6native12_GLOBAL__N_125multi_tensor_apply_kernelINS1_18TensorListMetadataILi1EEENS1_14UnaryOpFunctorIN3c104HalfELi1ELi1ELi0EEEJNS0_6LgammaIfEEEEEvT_T0_DpT1_.num_vgpr, 41
	.set _ZN2at6native12_GLOBAL__N_125multi_tensor_apply_kernelINS1_18TensorListMetadataILi1EEENS1_14UnaryOpFunctorIN3c104HalfELi1ELi1ELi0EEEJNS0_6LgammaIfEEEEEvT_T0_DpT1_.num_agpr, 0
	.set _ZN2at6native12_GLOBAL__N_125multi_tensor_apply_kernelINS1_18TensorListMetadataILi1EEENS1_14UnaryOpFunctorIN3c104HalfELi1ELi1ELi0EEEJNS0_6LgammaIfEEEEEvT_T0_DpT1_.numbered_sgpr, 42
	.set _ZN2at6native12_GLOBAL__N_125multi_tensor_apply_kernelINS1_18TensorListMetadataILi1EEENS1_14UnaryOpFunctorIN3c104HalfELi1ELi1ELi0EEEJNS0_6LgammaIfEEEEEvT_T0_DpT1_.num_named_barrier, 0
	.set _ZN2at6native12_GLOBAL__N_125multi_tensor_apply_kernelINS1_18TensorListMetadataILi1EEENS1_14UnaryOpFunctorIN3c104HalfELi1ELi1ELi0EEEJNS0_6LgammaIfEEEEEvT_T0_DpT1_.private_seg_size, 0
	.set _ZN2at6native12_GLOBAL__N_125multi_tensor_apply_kernelINS1_18TensorListMetadataILi1EEENS1_14UnaryOpFunctorIN3c104HalfELi1ELi1ELi0EEEJNS0_6LgammaIfEEEEEvT_T0_DpT1_.uses_vcc, 1
	.set _ZN2at6native12_GLOBAL__N_125multi_tensor_apply_kernelINS1_18TensorListMetadataILi1EEENS1_14UnaryOpFunctorIN3c104HalfELi1ELi1ELi0EEEJNS0_6LgammaIfEEEEEvT_T0_DpT1_.uses_flat_scratch, 0
	.set _ZN2at6native12_GLOBAL__N_125multi_tensor_apply_kernelINS1_18TensorListMetadataILi1EEENS1_14UnaryOpFunctorIN3c104HalfELi1ELi1ELi0EEEJNS0_6LgammaIfEEEEEvT_T0_DpT1_.has_dyn_sized_stack, 0
	.set _ZN2at6native12_GLOBAL__N_125multi_tensor_apply_kernelINS1_18TensorListMetadataILi1EEENS1_14UnaryOpFunctorIN3c104HalfELi1ELi1ELi0EEEJNS0_6LgammaIfEEEEEvT_T0_DpT1_.has_recursion, 0
	.set _ZN2at6native12_GLOBAL__N_125multi_tensor_apply_kernelINS1_18TensorListMetadataILi1EEENS1_14UnaryOpFunctorIN3c104HalfELi1ELi1ELi0EEEJNS0_6LgammaIfEEEEEvT_T0_DpT1_.has_indirect_call, 0
	.section	.AMDGPU.csdata,"",@progbits
; Kernel info:
; codeLenInByte = 22288
; TotalNumSgprs: 44
; NumVgprs: 41
; ScratchSize: 0
; MemoryBound: 0
; FloatMode: 240
; IeeeMode: 1
; LDSByteSize: 0 bytes/workgroup (compile time only)
; SGPRBlocks: 0
; VGPRBlocks: 2
; NumSGPRsForWavesPerEU: 44
; NumVGPRsForWavesPerEU: 41
; NamedBarCnt: 0
; Occupancy: 16
; WaveLimiterHint : 0
; COMPUTE_PGM_RSRC2:SCRATCH_EN: 0
; COMPUTE_PGM_RSRC2:USER_SGPR: 2
; COMPUTE_PGM_RSRC2:TRAP_HANDLER: 0
; COMPUTE_PGM_RSRC2:TGID_X_EN: 1
; COMPUTE_PGM_RSRC2:TGID_Y_EN: 0
; COMPUTE_PGM_RSRC2:TGID_Z_EN: 0
; COMPUTE_PGM_RSRC2:TIDIG_COMP_CNT: 0
	.section	.text._ZN2at6native12_GLOBAL__N_125multi_tensor_apply_kernelINS1_18TensorListMetadataILi1EEENS1_14UnaryOpFunctorIN3c108BFloat16ELi1ELi1ELi0EEEJNS0_6LgammaIfEEEEEvT_T0_DpT1_,"axG",@progbits,_ZN2at6native12_GLOBAL__N_125multi_tensor_apply_kernelINS1_18TensorListMetadataILi1EEENS1_14UnaryOpFunctorIN3c108BFloat16ELi1ELi1ELi0EEEJNS0_6LgammaIfEEEEEvT_T0_DpT1_,comdat
	.globl	_ZN2at6native12_GLOBAL__N_125multi_tensor_apply_kernelINS1_18TensorListMetadataILi1EEENS1_14UnaryOpFunctorIN3c108BFloat16ELi1ELi1ELi0EEEJNS0_6LgammaIfEEEEEvT_T0_DpT1_ ; -- Begin function _ZN2at6native12_GLOBAL__N_125multi_tensor_apply_kernelINS1_18TensorListMetadataILi1EEENS1_14UnaryOpFunctorIN3c108BFloat16ELi1ELi1ELi0EEEJNS0_6LgammaIfEEEEEvT_T0_DpT1_
	.p2align	8
	.type	_ZN2at6native12_GLOBAL__N_125multi_tensor_apply_kernelINS1_18TensorListMetadataILi1EEENS1_14UnaryOpFunctorIN3c108BFloat16ELi1ELi1ELi0EEEJNS0_6LgammaIfEEEEEvT_T0_DpT1_,@function
_ZN2at6native12_GLOBAL__N_125multi_tensor_apply_kernelINS1_18TensorListMetadataILi1EEENS1_14UnaryOpFunctorIN3c108BFloat16ELi1ELi1ELi0EEEJNS0_6LgammaIfEEEEEvT_T0_DpT1_: ; @_ZN2at6native12_GLOBAL__N_125multi_tensor_apply_kernelINS1_18TensorListMetadataILi1EEENS1_14UnaryOpFunctorIN3c108BFloat16ELi1ELi1ELi0EEEJNS0_6LgammaIfEEEEEvT_T0_DpT1_
; %bb.0:
	s_bfe_u32 s2, ttmp6, 0x4000c
	s_and_b32 s3, ttmp6, 15
	s_add_co_i32 s2, s2, 1
	s_getreg_b32 s4, hwreg(HW_REG_IB_STS2, 6, 4)
	s_mul_i32 s2, ttmp9, s2
	s_delay_alu instid0(SALU_CYCLE_1)
	s_add_co_i32 s3, s3, s2
	s_cmp_eq_u32 s4, 0
	s_cselect_b32 s2, ttmp9, s3
	s_mov_b32 s3, 0
	s_load_u8 s10, s[0:1], s2 offset:0x6e0
	s_add_nc_u64 s[4:5], s[0:1], s[2:3]
	s_mul_u64 s[6:7], s[2:3], 3
	s_delay_alu instid0(SALU_CYCLE_1)
	s_add_nc_u64 s[4:5], s[4:5], s[6:7]
	s_load_b32 s6, s[4:5], 0x820
	s_wait_kmcnt 0x0
	s_clause 0x1
	s_load_b64 s[12:13], s[0:1], s10 offset:0x0 scale_offset
	s_load_b64 s[8:9], s[0:1], s10 offset:0x370 scale_offset
	s_ashr_i32 s7, s6, 31
	s_wait_kmcnt 0x0
	s_and_b64 s[4:5], s[12:13], 7
	s_and_b32 s2, s8, 3
	s_lshl_b64 s[14:15], s[6:7], 17
	s_or_b64 s[2:3], s[4:5], s[2:3]
	s_lshl_b64 s[4:5], s[6:7], 16
	s_cmp_eq_u64 s[2:3], 0
	s_sub_nc_u64 s[16:17], s[8:9], s[4:5]
	s_cbranch_scc1 .LBB15_173
; %bb.1:
	v_cmp_lt_i64_e64 s2, s[16:17], 1
	s_and_b32 vcc_lo, exec_lo, s2
	s_cbranch_vccnz .LBB15_172
; %bb.2:
	s_load_b32 s2, s[0:1], 0xd3c
	v_min_i64 v[2:3], 0x10000, s[16:17]
	v_min_u64 v[4:5], 0x10000, s[16:17]
	v_dual_mov_b32 v1, 0 :: v_dual_lshlrev_b32 v8, 1, v0
	s_mov_b32 s3, 0
	s_add_nc_u64 s[4:5], s[12:13], s[14:15]
	s_mov_b32 s7, s3
	s_delay_alu instid0(VALU_DEP_1) | instskip(SKIP_3) | instid1(VALU_DEP_2)
	v_dual_mov_b32 v9, v1 :: v_dual_mov_b32 v15, v1
	s_mov_b32 s9, s3
	v_mov_b64_e32 v[16:17], 0x4040000040000000
	s_mov_b64 s[18:19], 0
	v_add_nc_u64_e32 v[8:9], s[4:5], v[8:9]
	s_mov_b32 s11, 0xbad5c4e8
	s_mov_b32 s26, 0x3805ff67
	;; [unrolled: 1-line block ×6, first 2 shown]
	s_wait_kmcnt 0x0
	s_and_b32 s2, s2, 0xffff
	s_mov_b32 s31, 0xb9a3f927
	v_add_nc_u64_e32 v[6:7], s[2:3], v[0:1]
	s_lshl_b32 s6, s2, 1
	s_mul_i32 s8, s2, 3
	v_add_nc_u64_e32 v[12:13], s[6:7], v[0:1]
	v_add_nc_u64_e32 v[10:11], s[8:9], v[0:1]
	s_mov_b32 s33, 0x39afe9f7
	s_mov_b32 s21, s3
	v_lshlrev_b32_e32 v14, 1, v6
	s_mov_b32 s23, s3
	s_lshl_b32 s20, s2, 2
	s_lshl_b32 s22, s2, 3
	s_mul_u64 s[24:25], s[2:3], 6
	v_add_nc_u64_e32 v[14:15], s[4:5], v[14:15]
	s_mov_b32 s34, 0x37d383a2
	s_mov_b32 s35, 0x383c2c75
	;; [unrolled: 1-line block ×5, first 2 shown]
	s_branch .LBB15_4
.LBB15_3:                               ;   in Loop: Header=BB15_4 Depth=1
	s_wait_xcnt 0x0
	s_or_b32 exec_lo, exec_lo, s2
	s_add_nc_u64 s[18:19], s[18:19], s[20:21]
	v_add_nc_u64_e32 v[8:9], s[22:23], v[8:9]
	v_cmp_ge_i64_e32 vcc_lo, s[18:19], v[2:3]
	v_add_nc_u64_e32 v[14:15], s[22:23], v[14:15]
	s_cbranch_vccnz .LBB15_172
.LBB15_4:                               ; =>This Inner Loop Header: Depth=1
	v_add_nc_u64_e32 v[18:19], s[18:19], v[0:1]
	v_mov_b32_e32 v25, 0
	s_delay_alu instid0(VALU_DEP_2)
	v_cmp_lt_u64_e64 s4, v[18:19], v[4:5]
	s_and_saveexec_b32 s2, s4
	s_cbranch_execz .LBB15_6
; %bb.5:                                ;   in Loop: Header=BB15_4 Depth=1
	global_load_u16 v18, v[8:9], off
	s_wait_loadcnt 0x0
	v_lshlrev_b32_e32 v25, 16, v18
.LBB15_6:                               ;   in Loop: Header=BB15_4 Depth=1
	s_wait_xcnt 0x0
	s_or_b32 exec_lo, exec_lo, s2
	v_add_nc_u64_e32 v[18:19], s[18:19], v[6:7]
	v_dual_mov_b32 v22, 0 :: v_dual_mov_b32 v24, 0
	s_delay_alu instid0(VALU_DEP_2)
	v_cmp_lt_u64_e64 s3, v[18:19], v[4:5]
	s_and_saveexec_b32 s2, s3
	s_cbranch_execz .LBB15_8
; %bb.7:                                ;   in Loop: Header=BB15_4 Depth=1
	global_load_u16 v18, v[14:15], off
	s_wait_loadcnt 0x0
	v_lshlrev_b32_e32 v24, 16, v18
.LBB15_8:                               ;   in Loop: Header=BB15_4 Depth=1
	s_wait_xcnt 0x0
	s_or_b32 exec_lo, exec_lo, s2
	v_add_nc_u64_e32 v[18:19], s[18:19], v[12:13]
	v_add_nc_u64_e32 v[20:21], s[20:21], v[8:9]
	s_delay_alu instid0(VALU_DEP_2)
	v_cmp_lt_u64_e64 s2, v[18:19], v[4:5]
	s_and_saveexec_b32 s5, s2
	s_cbranch_execz .LBB15_10
; %bb.9:                                ;   in Loop: Header=BB15_4 Depth=1
	global_load_u16 v18, v[20:21], off
	s_wait_loadcnt 0x0
	v_lshlrev_b32_e32 v22, 16, v18
.LBB15_10:                              ;   in Loop: Header=BB15_4 Depth=1
	s_wait_xcnt 0x0
	s_or_b32 exec_lo, exec_lo, s5
	v_add_nc_u64_e32 v[18:19], s[18:19], v[10:11]
	v_mov_b32_e32 v23, 0
	s_delay_alu instid0(VALU_DEP_2)
	v_cmp_lt_u64_e32 vcc_lo, v[18:19], v[4:5]
	v_add_nc_u64_e32 v[18:19], s[24:25], v[8:9]
	s_and_saveexec_b32 s5, vcc_lo
	s_cbranch_execz .LBB15_12
; %bb.11:                               ;   in Loop: Header=BB15_4 Depth=1
	global_load_u16 v23, v[18:19], off
	s_wait_loadcnt 0x0
	v_lshlrev_b32_e32 v23, 16, v23
.LBB15_12:                              ;   in Loop: Header=BB15_4 Depth=1
	s_wait_xcnt 0x0
	s_or_b32 exec_lo, exec_lo, s5
	v_and_b32_e32 v27, 0x7fffffff, v25
                                        ; implicit-def: $vgpr26
	s_mov_b32 s6, exec_lo
	v_cmpx_ngt_f32_e64 0x3c800000, |v25|
	s_xor_b32 s7, exec_lo, s6
	s_cbranch_execz .LBB15_42
; %bb.13:                               ;   in Loop: Header=BB15_4 Depth=1
                                        ; implicit-def: $vgpr26
	s_mov_b32 s6, exec_lo
	v_cmpx_nlt_f32_e64 |v25|, 2.0
	s_xor_b32 s8, exec_lo, s6
	s_cbranch_execz .LBB15_23
; %bb.14:                               ;   in Loop: Header=BB15_4 Depth=1
	s_mov_b32 s6, exec_lo
                                        ; implicit-def: $vgpr26
	v_cmpx_ngt_f32_e64 0x41000000, |v25|
	s_xor_b32 s6, exec_lo, s6
	s_cbranch_execz .LBB15_20
; %bb.15:                               ;   in Loop: Header=BB15_4 Depth=1
	s_mov_b32 s9, exec_lo
                                        ; implicit-def: $vgpr26
	v_cmpx_ngt_f32_e64 0x5c800000, |v25|
	s_xor_b32 s9, exec_lo, s9
	s_cbranch_execz .LBB15_17
; %bb.16:                               ;   in Loop: Header=BB15_4 Depth=1
	v_cmp_gt_f32_e64 s10, 0x800000, |v25|
	s_delay_alu instid0(VALU_DEP_1) | instskip(NEXT) | instid1(VALU_DEP_1)
	v_cndmask_b32_e64 v26, 0, 32, s10
	v_ldexp_f32 v26, |v25|, v26
	s_delay_alu instid0(VALU_DEP_1) | instskip(SKIP_1) | instid1(TRANS32_DEP_1)
	v_log_f32_e32 v26, v26
	v_nop
	v_mul_f32_e32 v28, 0x3f317217, v26
	v_cmp_gt_f32_e64 s5, 0x7f800000, |v26|
	s_delay_alu instid0(VALU_DEP_2) | instskip(NEXT) | instid1(VALU_DEP_1)
	v_fma_f32 v29, 0x3f317217, v26, -v28
	v_fmac_f32_e32 v29, 0x3377d1cf, v26
	s_delay_alu instid0(VALU_DEP_1) | instskip(NEXT) | instid1(VALU_DEP_1)
	v_add_f32_e32 v28, v28, v29
	v_cndmask_b32_e64 v26, v26, v28, s5
	v_cndmask_b32_e64 v28, 0, 0x41b17218, s10
	s_delay_alu instid0(VALU_DEP_1) | instskip(NEXT) | instid1(VALU_DEP_1)
	v_sub_f32_e32 v26, v26, v28
	v_fma_f32 v26, |v25|, v26, -|v25|
.LBB15_17:                              ;   in Loop: Header=BB15_4 Depth=1
	s_and_not1_saveexec_b32 s9, s9
	s_cbranch_execz .LBB15_19
; %bb.18:                               ;   in Loop: Header=BB15_4 Depth=1
	v_cmp_gt_f32_e64 s10, 0x800000, |v25|
	v_rcp_f32_e64 v28, |v25|
	s_delay_alu instid0(VALU_DEP_1) | instskip(NEXT) | instid1(VALU_DEP_1)
	v_cndmask_b32_e64 v26, 0, 32, s10
	v_ldexp_f32 v26, |v25|, v26
	s_delay_alu instid0(VALU_DEP_1) | instskip(SKIP_1) | instid1(TRANS32_DEP_1)
	v_log_f32_e32 v26, v26
	v_nop
	v_dual_mul_f32 v29, v28, v28 :: v_dual_mul_f32 v30, 0x3f317217, v26
	v_cmp_gt_f32_e64 s5, 0x7f800000, |v26|
	s_delay_alu instid0(VALU_DEP_2) | instskip(NEXT) | instid1(VALU_DEP_1)
	v_fma_f32 v32, 0x3f317217, v26, -v30
	v_fmac_f32_e32 v32, 0x3377d1cf, v26
	s_delay_alu instid0(VALU_DEP_1) | instskip(NEXT) | instid1(VALU_DEP_1)
	v_dual_fmaak_f32 v31, s11, v29, 0x3a5b3dd2 :: v_dual_add_f32 v30, v30, v32
	v_cndmask_b32_e64 v26, v26, v30, s5
	v_cndmask_b32_e64 v30, 0, 0x41b17218, s10
	s_delay_alu instid0(VALU_DEP_1) | instskip(NEXT) | instid1(VALU_DEP_1)
	v_dual_fmaak_f32 v31, v29, v31, 0xba1c065c :: v_dual_sub_f32 v30, v26, v30
	v_fmaak_f32 v31, v29, v31, 0x3a500cfd
	s_delay_alu instid0(VALU_DEP_1) | instskip(NEXT) | instid1(VALU_DEP_1)
	v_fmaak_f32 v31, v29, v31, 0xbb360b61
	v_fmaak_f32 v29, v29, v31, 0x3daaaaab
	s_delay_alu instid0(VALU_DEP_1) | instskip(SKIP_2) | instid1(VALU_DEP_1)
	v_fmaak_f32 v26, v28, v29, 0x3ed67f1d
	v_add_f32_e64 v28, |v25|, -0.5
	v_add_f32_e32 v29, -1.0, v30
	v_fmac_f32_e32 v26, v28, v29
.LBB15_19:                              ;   in Loop: Header=BB15_4 Depth=1
	s_or_b32 exec_lo, exec_lo, s9
.LBB15_20:                              ;   in Loop: Header=BB15_4 Depth=1
	s_and_not1_saveexec_b32 s9, s6
	s_cbranch_execz .LBB15_22
; %bb.21:                               ;   in Loop: Header=BB15_4 Depth=1
	v_cvt_i32_f32_e32 v30, v27
	s_delay_alu instid0(VALU_DEP_1) | instskip(SKIP_1) | instid1(VALU_DEP_2)
	v_cvt_f32_i32_e32 v26, v30
	v_cmp_lt_i32_e64 s5, 3, v30
	v_sub_f32_e64 v26, |v25|, v26
	s_delay_alu instid0(VALU_DEP_1) | instskip(SKIP_1) | instid1(VALU_DEP_2)
	v_pk_add_f32 v[28:29], v[26:27], v[16:17] op_sel_hi:[0,1]
	v_dual_add_f32 v31, 4.0, v26 :: v_dual_add_f32 v32, 0x40a00000, v26
	v_cndmask_b32_e64 v29, 1.0, v29, s5
	v_cmp_lt_i32_e64 s5, 2, v30
	s_delay_alu instid0(VALU_DEP_1) | instskip(SKIP_1) | instid1(VALU_DEP_1)
	v_cndmask_b32_e64 v28, 1.0, v28, s5
	v_cmp_lt_i32_e64 s5, 4, v30
	v_dual_cndmask_b32 v31, 1.0, v31, s5 :: v_dual_mul_f32 v28, v28, v29
	v_add_f32_e32 v29, 0x40c00000, v26
	v_cmp_lt_i32_e64 s5, 5, v30
	s_delay_alu instid0(VALU_DEP_3) | instskip(NEXT) | instid1(VALU_DEP_2)
	v_dual_mul_f32 v28, v31, v28 :: v_dual_fmaak_f32 v31, s26, v26, 0x3af135b4
	v_cndmask_b32_e64 v32, 1.0, v32, s5
	v_cmp_lt_i32_e64 s5, 6, v30
	s_delay_alu instid0(VALU_DEP_1) | instskip(NEXT) | instid1(VALU_DEP_1)
	v_dual_cndmask_b32 v29, 1.0, v29, s5 :: v_dual_mul_f32 v28, v32, v28
	v_dual_mul_f32 v28, v29, v28 :: v_dual_fmaak_f32 v29, s27, v26, 0x3a4beed6
	s_delay_alu instid0(VALU_DEP_1) | instskip(NEXT) | instid1(VALU_DEP_2)
	v_fmaak_f32 v29, v26, v29, 0x3c98bf54
	v_cmp_gt_f32_e64 s5, 0x800000, v28
	s_delay_alu instid0(VALU_DEP_1) | instskip(NEXT) | instid1(VALU_DEP_1)
	v_cndmask_b32_e64 v30, 0, 32, s5
	v_ldexp_f32 v28, v28, v30
	v_fmaak_f32 v30, v26, v31, 0x3cda40e4
	s_delay_alu instid0(VALU_DEP_2) | instskip(SKIP_1) | instid1(TRANS32_DEP_1)
	v_log_f32_e32 v28, v28
	v_nop
	v_mul_f32_e32 v31, 0x3f317217, v28
	v_cmp_gt_f32_e64 s6, 0x7f800000, |v28|
	s_delay_alu instid0(VALU_DEP_2) | instskip(NEXT) | instid1(VALU_DEP_1)
	v_fma_f32 v32, 0x3f317217, v28, -v31
	v_fmac_f32_e32 v32, 0x3377d1cf, v28
	s_delay_alu instid0(VALU_DEP_1) | instskip(NEXT) | instid1(VALU_DEP_1)
	v_dual_add_f32 v31, v31, v32 :: v_dual_fmaak_f32 v30, v26, v30, 0x3e15dce6
	v_cndmask_b32_e64 v28, v28, v31, s6
	s_delay_alu instid0(VALU_DEP_2) | instskip(NEXT) | instid1(VALU_DEP_1)
	v_fmaak_f32 v30, v26, v30, 0x3ea6cc7a
	v_fmaak_f32 v30, v26, v30, 0x3e5c245a
	s_delay_alu instid0(VALU_DEP_1) | instskip(NEXT) | instid1(VALU_DEP_1)
	v_fmaak_f32 v30, v26, v30, 0xbd9e233f
	v_dual_fmaak_f32 v29, v26, v29, 0x3e300f6e :: v_dual_mul_f32 v30, v26, v30
	s_delay_alu instid0(VALU_DEP_1) | instskip(NEXT) | instid1(VALU_DEP_1)
	v_fmaak_f32 v29, v26, v29, 0x3f38d0c5
	v_fmaak_f32 v29, v26, v29, 0x3fb22d3b
	s_delay_alu instid0(VALU_DEP_1) | instskip(NEXT) | instid1(VALU_DEP_1)
	v_fma_f32 v29, v26, v29, 1.0
	v_rcp_f32_e32 v29, v29
	v_nop
	s_delay_alu instid0(TRANS32_DEP_1) | instskip(SKIP_1) | instid1(VALU_DEP_2)
	v_mul_f32_e32 v29, v30, v29
	v_cndmask_b32_e64 v30, 0, 0x41b17218, s5
	v_fmac_f32_e32 v29, 0.5, v26
	s_delay_alu instid0(VALU_DEP_2) | instskip(NEXT) | instid1(VALU_DEP_1)
	v_sub_f32_e32 v26, v28, v30
	v_add_f32_e32 v26, v26, v29
.LBB15_22:                              ;   in Loop: Header=BB15_4 Depth=1
	s_or_b32 exec_lo, exec_lo, s9
.LBB15_23:                              ;   in Loop: Header=BB15_4 Depth=1
	s_and_not1_saveexec_b32 s8, s8
	s_cbranch_execz .LBB15_41
; %bb.24:                               ;   in Loop: Header=BB15_4 Depth=1
                                        ; implicit-def: $vgpr26
                                        ; implicit-def: $vgpr29
                                        ; implicit-def: $vgpr28
	s_mov_b32 s6, exec_lo
	v_cmpx_ge_f32_e64 0x3f666666, |v25|
	s_xor_b32 s9, exec_lo, s6
	s_cbranch_execz .LBB15_26
; %bb.25:                               ;   in Loop: Header=BB15_4 Depth=1
	v_cmp_gt_f32_e64 s6, 0x800000, |v25|
	v_sub_f32_e64 v30, 1.0, |v25|
	v_cmp_gt_f32_e64 s5, 0x3f3b4a23, |v25|
	s_delay_alu instid0(VALU_DEP_3) | instskip(SKIP_1) | instid1(VALU_DEP_2)
	v_cndmask_b32_e64 v26, 0, 32, s6
	v_cndmask_b32_e64 v31, 0, 0x41b17218, s6
	v_ldexp_f32 v26, |v25|, v26
	s_delay_alu instid0(VALU_DEP_1) | instskip(SKIP_1) | instid1(TRANS32_DEP_1)
	v_log_f32_e32 v26, v26
	v_nop
	v_mul_f32_e32 v28, 0x3f317217, v26
	v_cmp_gt_f32_e64 s6, 0x7f800000, |v26|
	s_delay_alu instid0(VALU_DEP_2) | instskip(NEXT) | instid1(VALU_DEP_1)
	v_fma_f32 v29, 0x3f317217, v26, -v28
	v_fmac_f32_e32 v29, 0x3377d1cf, v26
	s_delay_alu instid0(VALU_DEP_1) | instskip(SKIP_1) | instid1(VALU_DEP_2)
	v_add_f32_e32 v28, v28, v29
	v_add_f32_e64 v29, 0xbeec5b0c, |v25|
	v_cndmask_b32_e64 v26, v26, v28, s6
	s_delay_alu instid0(VALU_DEP_2) | instskip(SKIP_2) | instid1(VALU_DEP_4)
	v_cndmask_b32_e64 v28, v30, v29, s5
	v_cndmask_b32_e64 v29, 0, 1, s5
	v_cmp_gt_f32_e64 s5, 0x3e6d3309, |v25|
	v_sub_f32_e32 v26, v26, v31
	s_delay_alu instid0(VALU_DEP_2) | instskip(NEXT) | instid1(VALU_DEP_4)
	v_cndmask_b32_e64 v28, v28, |v25|, s5
	v_cndmask_b32_e64 v29, v29, 2, s5
	s_delay_alu instid0(VALU_DEP_3)
	v_xor_b32_e32 v26, 0x80000000, v26
.LBB15_26:                              ;   in Loop: Header=BB15_4 Depth=1
	s_and_not1_saveexec_b32 s6, s9
	s_cbranch_execz .LBB15_28
; %bb.27:                               ;   in Loop: Header=BB15_4 Depth=1
	v_sub_f32_e64 v26, 2.0, |v25|
	v_add_f32_e64 v28, 0xbfbb16c3, |v25|
	v_cmp_gt_f32_e64 s5, 0x3fdda512, |v25|
	v_add_f32_e64 v29, |v25|, -1.0
	s_delay_alu instid0(VALU_DEP_2) | instskip(SKIP_2) | instid1(VALU_DEP_2)
	v_cndmask_b32_e64 v28, v26, v28, s5
	v_cndmask_b32_e64 v26, v26, 1.0, s5
	v_cmp_gt_f32_e64 s5, 0x3f9d70a4, |v25|
	v_cvt_i32_f32_e32 v26, v26
	s_delay_alu instid0(VALU_DEP_2) | instskip(NEXT) | instid1(VALU_DEP_2)
	v_cndmask_b32_e64 v28, v28, v29, s5
	v_cndmask_b32_e64 v29, v26, 2, s5
	v_mov_b32_e32 v26, 0
.LBB15_28:                              ;   in Loop: Header=BB15_4 Depth=1
	s_or_b32 exec_lo, exec_lo, s6
	s_delay_alu instid0(SALU_CYCLE_1) | instskip(NEXT) | instid1(VALU_DEP_2)
	s_mov_b32 s6, exec_lo
	v_cmpx_lt_i32_e32 0, v29
	s_xor_b32 s6, exec_lo, s6
	s_cbranch_execz .LBB15_36
; %bb.29:                               ;   in Loop: Header=BB15_4 Depth=1
	s_mov_b32 s9, exec_lo
	v_cmpx_lt_i32_e32 1, v29
	s_xor_b32 s9, exec_lo, s9
	s_cbranch_execz .LBB15_33
; %bb.30:                               ;   in Loop: Header=BB15_4 Depth=1
	s_mov_b32 s10, exec_lo
	v_cmpx_eq_u32_e32 2, v29
	s_cbranch_execz .LBB15_32
; %bb.31:                               ;   in Loop: Header=BB15_4 Depth=1
	v_fmaak_f32 v30, s28, v28, 0x3e6a7578
	s_delay_alu instid0(VALU_DEP_1) | instskip(NEXT) | instid1(VALU_DEP_1)
	v_fmaak_f32 v30, v28, v30, 0x3f7a4bb2
	v_fmaak_f32 v30, v28, v30, 0x3fba3ae7
	s_delay_alu instid0(VALU_DEP_1) | instskip(NEXT) | instid1(VALU_DEP_1)
	v_fmaak_f32 v30, v28, v30, 0x3f2200f4
	v_fmaak_f32 v30, v28, v30, 0xbd9e233f
	s_delay_alu instid0(VALU_DEP_1) | instskip(NEXT) | instid1(VALU_DEP_1)
	v_dual_fmaak_f32 v29, s29, v28, 0x3dd572af :: v_dual_mul_f32 v30, v28, v30
	v_fmaak_f32 v29, v28, v29, 0x3f44efdf
	s_delay_alu instid0(VALU_DEP_1) | instskip(NEXT) | instid1(VALU_DEP_1)
	v_fmaak_f32 v29, v28, v29, 0x4008392d
	v_fmaak_f32 v29, v28, v29, 0x401d2ebe
	s_delay_alu instid0(VALU_DEP_1) | instskip(NEXT) | instid1(VALU_DEP_1)
	v_fma_f32 v29, v28, v29, 1.0
	v_rcp_f32_e32 v29, v29
	v_nop
	s_delay_alu instid0(TRANS32_DEP_1) | instskip(NEXT) | instid1(VALU_DEP_1)
	v_mul_f32_e32 v29, v30, v29
	v_fmac_f32_e32 v29, -0.5, v28
	s_delay_alu instid0(VALU_DEP_1)
	v_add_f32_e32 v26, v26, v29
.LBB15_32:                              ;   in Loop: Header=BB15_4 Depth=1
	s_or_b32 exec_lo, exec_lo, s10
                                        ; implicit-def: $vgpr28
.LBB15_33:                              ;   in Loop: Header=BB15_4 Depth=1
	s_and_not1_saveexec_b32 s5, s9
	s_cbranch_execz .LBB15_35
; %bb.34:                               ;   in Loop: Header=BB15_4 Depth=1
	v_mul_f32_e32 v29, v28, v28
	s_delay_alu instid0(VALU_DEP_1) | instskip(NEXT) | instid1(VALU_DEP_1)
	v_mul_f32_e32 v30, v28, v29
	v_fmaak_f32 v31, s31, v30, 0x3a66f867
	v_fmaak_f32 v32, s33, v30, 0xba0d3085
	s_delay_alu instid0(VALU_DEP_2) | instskip(NEXT) | instid1(VALU_DEP_2)
	v_fmaak_f32 v31, v30, v31, 0xbb7177fe
	v_fmaak_f32 v32, v30, v32, 0x3b141699
	s_delay_alu instid0(VALU_DEP_2) | instskip(NEXT) | instid1(VALU_DEP_2)
	;; [unrolled: 3-line block ×3, first 2 shown]
	v_fmaak_f32 v31, v30, v31, 0xbe17213c
	v_fmaak_f32 v32, v30, v32, 0x3d845a15
	s_delay_alu instid0(VALU_DEP_1) | instskip(SKIP_1) | instid1(VALU_DEP_1)
	v_fmac_f32_e32 v31, v28, v32
	v_fmaak_f32 v33, s30, v30, 0xbab7f476
	v_fmaak_f32 v33, v30, v33, 0x3bc7e707
	s_delay_alu instid0(VALU_DEP_1) | instskip(NEXT) | instid1(VALU_DEP_1)
	v_fmaak_f32 v33, v30, v33, 0xbd064d47
	v_fmaak_f32 v28, v30, v33, 0x3ef7b95e
	v_fma_f32 v30, v30, -v31, 0xa2863e55
	s_delay_alu instid0(VALU_DEP_1) | instskip(NEXT) | instid1(VALU_DEP_1)
	v_fma_f32 v28, v29, v28, -v30
	v_add_f32_e32 v28, 0xbdf8cdce, v28
	s_delay_alu instid0(VALU_DEP_1)
	v_add_f32_e32 v26, v26, v28
.LBB15_35:                              ;   in Loop: Header=BB15_4 Depth=1
	s_or_b32 exec_lo, exec_lo, s5
                                        ; implicit-def: $vgpr29
                                        ; implicit-def: $vgpr28
.LBB15_36:                              ;   in Loop: Header=BB15_4 Depth=1
	s_and_not1_saveexec_b32 s6, s6
	s_cbranch_execz .LBB15_40
; %bb.37:                               ;   in Loop: Header=BB15_4 Depth=1
	s_mov_b32 s9, exec_lo
	v_cmpx_eq_u32_e32 0, v29
	s_cbranch_execz .LBB15_39
; %bb.38:                               ;   in Loop: Header=BB15_4 Depth=1
	v_mul_f32_e32 v29, v28, v28
	s_delay_alu instid0(VALU_DEP_1) | instskip(NEXT) | instid1(VALU_DEP_1)
	v_fmaak_f32 v31, s34, v29, 0x39679767
	v_fmaak_f32 v31, v29, v31, 0x3a9c54a1
	s_delay_alu instid0(VALU_DEP_1) | instskip(NEXT) | instid1(VALU_DEP_1)
	v_fmaak_f32 v31, v29, v31, 0x3bf2027e
	v_fmaak_f32 v31, v29, v31, 0x3d89f001
	s_delay_alu instid0(VALU_DEP_1) | instskip(SKIP_1) | instid1(VALU_DEP_1)
	v_fmaak_f32 v31, v29, v31, 0x3d9e233f
	v_fmaak_f32 v30, s35, v29, 0x38e28445
	;; [unrolled: 1-line block ×3, first 2 shown]
	s_delay_alu instid0(VALU_DEP_1) | instskip(NEXT) | instid1(VALU_DEP_1)
	v_fmaak_f32 v30, v29, v30, 0x3b3d6ec6
	v_fmaak_f32 v30, v29, v30, 0x3ca89915
	s_delay_alu instid0(VALU_DEP_1) | instskip(NEXT) | instid1(VALU_DEP_1)
	v_fmaak_f32 v30, v29, v30, 0x3ea51a66
	v_mul_f32_e32 v29, v29, v30
	s_delay_alu instid0(VALU_DEP_1) | instskip(NEXT) | instid1(VALU_DEP_1)
	v_fmac_f32_e32 v29, v28, v31
	v_fmac_f32_e32 v29, -0.5, v28
	s_delay_alu instid0(VALU_DEP_1)
	v_add_f32_e32 v26, v26, v29
.LBB15_39:                              ;   in Loop: Header=BB15_4 Depth=1
	s_or_b32 exec_lo, exec_lo, s9
.LBB15_40:                              ;   in Loop: Header=BB15_4 Depth=1
	s_delay_alu instid0(SALU_CYCLE_1)
	s_or_b32 exec_lo, exec_lo, s6
.LBB15_41:                              ;   in Loop: Header=BB15_4 Depth=1
	s_delay_alu instid0(SALU_CYCLE_1)
	s_or_b32 exec_lo, exec_lo, s8
.LBB15_42:                              ;   in Loop: Header=BB15_4 Depth=1
	s_and_not1_saveexec_b32 s6, s7
	s_cbranch_execz .LBB15_44
; %bb.43:                               ;   in Loop: Header=BB15_4 Depth=1
	v_cmp_gt_f32_e64 s7, 0x800000, |v25|
	v_fma_f32 v30, |v25|, s36, 0xbecd26ab
	s_delay_alu instid0(VALU_DEP_2) | instskip(NEXT) | instid1(VALU_DEP_1)
	v_cndmask_b32_e64 v26, 0, 32, s7
	v_ldexp_f32 v26, |v25|, v26
	s_delay_alu instid0(VALU_DEP_1) | instskip(SKIP_1) | instid1(TRANS32_DEP_1)
	v_log_f32_e32 v26, v26
	v_nop
	v_mul_f32_e32 v28, 0x3f317217, v26
	v_cmp_gt_f32_e64 s5, 0x7f800000, |v26|
	s_delay_alu instid0(VALU_DEP_2) | instskip(NEXT) | instid1(VALU_DEP_1)
	v_fma_f32 v29, 0x3f317217, v26, -v28
	v_fmac_f32_e32 v29, 0x3377d1cf, v26
	s_delay_alu instid0(VALU_DEP_1) | instskip(SKIP_1) | instid1(VALU_DEP_2)
	v_add_f32_e32 v28, v28, v29
	v_fma_f32 v29, |v25|, v30, 0x3f528d33
	v_cndmask_b32_e64 v26, v26, v28, s5
	v_cndmask_b32_e64 v28, 0, 0x41b17218, s7
	s_delay_alu instid0(VALU_DEP_3) | instskip(NEXT) | instid1(VALU_DEP_2)
	v_fma_f32 v29, |v25|, v29, 0xbf13c468
	v_sub_f32_e32 v26, v26, v28
	s_delay_alu instid0(VALU_DEP_1)
	v_fma_f32 v26, |v25|, v29, -v26
.LBB15_44:                              ;   in Loop: Header=BB15_4 Depth=1
	s_or_b32 exec_lo, exec_lo, s6
	v_cmp_le_f32_e64 s5, 0, v25
	s_mov_b32 s7, exec_lo
	v_cmpx_nle_f32_e32 0, v25
	s_xor_b32 s8, exec_lo, s7
	s_cbranch_execz .LBB15_48
; %bb.45:                               ;   in Loop: Header=BB15_4 Depth=1
	v_cmp_gt_f32_e64 s6, 0x4b000000, |v25|
	v_cmp_lt_f32_e64 s7, 0x35000000, |v25|
	s_and_b32 s6, s6, s7
	s_delay_alu instid0(SALU_CYCLE_1)
	s_and_saveexec_b32 s9, s6
	s_cbranch_execz .LBB15_47
; %bb.46:                               ;   in Loop: Header=BB15_4 Depth=1
	v_mul_f32_e64 v28, |v25|, 0.5
	s_delay_alu instid0(VALU_DEP_1) | instskip(SKIP_1) | instid1(VALU_DEP_2)
	v_floor_f32_e32 v29, v28
	v_cmp_neq_f32_e64 s6, 0x7f800000, v28
	v_sub_f32_e32 v29, v28, v29
	s_delay_alu instid0(VALU_DEP_1) | instskip(NEXT) | instid1(VALU_DEP_1)
	v_min_num_f32_e32 v29, 0x3f7fffff, v29
	v_add_f32_e32 v29, v29, v29
	s_delay_alu instid0(VALU_DEP_1) | instskip(SKIP_1) | instid1(VALU_DEP_1)
	v_cndmask_b32_e64 v28, 0, v29, s6
	v_cmp_gt_f32_e64 s6, |v25|, 1.0
	v_cndmask_b32_e64 v28, |v25|, v28, s6
	s_delay_alu instid0(VALU_DEP_1) | instskip(NEXT) | instid1(VALU_DEP_1)
	v_add_f32_e32 v29, v28, v28
	v_rndne_f32_e32 v29, v29
	s_delay_alu instid0(VALU_DEP_1) | instskip(SKIP_1) | instid1(VALU_DEP_2)
	v_fmac_f32_e32 v28, -0.5, v29
	v_cvt_i32_f32_e32 v29, v29
	v_mul_f32_e32 v30, v28, v28
	s_delay_alu instid0(VALU_DEP_1) | instskip(SKIP_1) | instid1(VALU_DEP_2)
	v_fmaak_f32 v31, s37, v30, 0xbf1f24be
	v_dual_fmaak_f32 v32, s38, v30, 0x3e642e9d :: v_dual_mul_f32 v33, v28, v30
	v_fmaak_f32 v31, v30, v31, 0x40234736
	s_delay_alu instid0(VALU_DEP_2) | instskip(NEXT) | instid1(VALU_DEP_2)
	v_fmaak_f32 v32, v30, v32, 0xbfaad1da
	v_fmaak_f32 v31, v30, v31, 0xc0a55e0e
	s_delay_alu instid0(VALU_DEP_1) | instskip(NEXT) | instid1(VALU_DEP_1)
	v_mul_f32_e32 v31, v33, v31
	v_fmac_f32_e32 v31, 0x40490fdb, v28
	v_dual_lshlrev_b32 v29, 30, v29 :: v_dual_bitop2_b32 v33, 1, v29 bitop3:0x40
	v_fmaak_f32 v32, v30, v32, 0x4081e0d3
	s_delay_alu instid0(VALU_DEP_2) | instskip(NEXT) | instid1(VALU_DEP_3)
	v_cmp_eq_u32_e64 s6, 0, v33
	v_and_or_b32 v27, 0x80000000, v29, v27
	s_delay_alu instid0(VALU_DEP_3) | instskip(NEXT) | instid1(VALU_DEP_1)
	v_fmaak_f32 v32, v30, v32, 0xc09de9e6
	v_fma_f32 v28, v30, v32, 1.0
	s_delay_alu instid0(VALU_DEP_1) | instskip(NEXT) | instid1(VALU_DEP_1)
	v_cndmask_b32_e64 v28, v28, v31, s6
	v_xor3_b32 v27, v27, v28, v25
	s_delay_alu instid0(VALU_DEP_1) | instskip(NEXT) | instid1(VALU_DEP_1)
	v_mul_f32_e32 v27, v25, v27
	v_frexp_mant_f32_e64 v28, |v27|
	v_frexp_exp_i32_f32_e32 v27, v27
	s_delay_alu instid0(VALU_DEP_2) | instskip(SKIP_1) | instid1(TRANS32_DEP_1)
	v_rcp_f32_e32 v28, v28
	v_nop
	v_dual_mul_f32 v28, 0x3f490fdb, v28 :: v_dual_sub_nc_u32 v27, 2, v27
	s_delay_alu instid0(VALU_DEP_1) | instskip(NEXT) | instid1(VALU_DEP_1)
	v_ldexp_f32 v27, v28, v27
	v_cmp_gt_f32_e64 s6, 0x800000, v27
	s_delay_alu instid0(VALU_DEP_1) | instskip(NEXT) | instid1(VALU_DEP_1)
	v_cndmask_b32_e64 v28, 0, 32, s6
	v_ldexp_f32 v27, v27, v28
	s_delay_alu instid0(VALU_DEP_1) | instskip(SKIP_1) | instid1(TRANS32_DEP_1)
	v_log_f32_e32 v27, v27
	v_nop
	v_mul_f32_e32 v28, 0x3f317217, v27
	v_cmp_gt_f32_e64 s7, 0x7f800000, |v27|
	s_delay_alu instid0(VALU_DEP_2) | instskip(NEXT) | instid1(VALU_DEP_1)
	v_fma_f32 v29, 0x3f317217, v27, -v28
	v_fmac_f32_e32 v29, 0x3377d1cf, v27
	s_delay_alu instid0(VALU_DEP_1) | instskip(SKIP_1) | instid1(VALU_DEP_2)
	v_add_f32_e32 v28, v28, v29
	v_floor_f32_e32 v29, v25
	v_cndmask_b32_e64 v27, v27, v28, s7
	v_cndmask_b32_e64 v28, 0, 0x41b17218, s6
	s_delay_alu instid0(VALU_DEP_1) | instskip(NEXT) | instid1(VALU_DEP_1)
	v_dual_sub_f32 v29, v25, v29 :: v_dual_sub_f32 v27, v27, v28
	v_min_num_f32_e32 v28, 0x3f7fffff, v29
	s_delay_alu instid0(VALU_DEP_2) | instskip(NEXT) | instid1(VALU_DEP_2)
	v_sub_f32_e32 v26, v27, v26
	v_cmp_neq_f32_e64 s6, 0, v28
	s_delay_alu instid0(VALU_DEP_1)
	v_cndmask_b32_e64 v26, 0x7f800000, v26, s6
.LBB15_47:                              ;   in Loop: Header=BB15_4 Depth=1
	s_or_b32 exec_lo, exec_lo, s9
.LBB15_48:                              ;   in Loop: Header=BB15_4 Depth=1
	s_and_not1_saveexec_b32 s8, s8
; %bb.49:                               ;   in Loop: Header=BB15_4 Depth=1
	v_cmp_eq_f32_e64 s6, 1.0, v25
	v_cmp_eq_f32_e64 s7, 2.0, v25
	s_or_b32 s6, s6, s7
	s_delay_alu instid0(SALU_CYCLE_1)
	v_cndmask_b32_e64 v26, v26, 0, s6
; %bb.50:                               ;   in Loop: Header=BB15_4 Depth=1
	s_or_b32 exec_lo, exec_lo, s8
	v_and_b32_e32 v28, 0x7fffffff, v24
                                        ; implicit-def: $vgpr27
	s_mov_b32 s7, exec_lo
	v_cmpx_ngt_f32_e64 0x3c800000, |v24|
	s_xor_b32 s8, exec_lo, s7
	s_cbranch_execz .LBB15_80
; %bb.51:                               ;   in Loop: Header=BB15_4 Depth=1
                                        ; implicit-def: $vgpr27
	s_mov_b32 s7, exec_lo
	v_cmpx_nlt_f32_e64 |v24|, 2.0
	s_xor_b32 s9, exec_lo, s7
	s_cbranch_execz .LBB15_61
; %bb.52:                               ;   in Loop: Header=BB15_4 Depth=1
	s_mov_b32 s7, exec_lo
                                        ; implicit-def: $vgpr27
	v_cmpx_ngt_f32_e64 0x41000000, |v24|
	s_xor_b32 s7, exec_lo, s7
	s_cbranch_execz .LBB15_58
; %bb.53:                               ;   in Loop: Header=BB15_4 Depth=1
	s_mov_b32 s10, exec_lo
                                        ; implicit-def: $vgpr27
	v_cmpx_ngt_f32_e64 0x5c800000, |v24|
	s_xor_b32 s10, exec_lo, s10
	s_cbranch_execz .LBB15_55
; %bb.54:                               ;   in Loop: Header=BB15_4 Depth=1
	v_cmp_gt_f32_e64 s39, 0x800000, |v24|
	s_delay_alu instid0(VALU_DEP_1) | instskip(NEXT) | instid1(VALU_DEP_1)
	v_cndmask_b32_e64 v27, 0, 32, s39
	v_ldexp_f32 v27, |v24|, v27
	s_delay_alu instid0(VALU_DEP_1) | instskip(SKIP_1) | instid1(TRANS32_DEP_1)
	v_log_f32_e32 v27, v27
	v_nop
	v_mul_f32_e32 v29, 0x3f317217, v27
	v_cmp_gt_f32_e64 s6, 0x7f800000, |v27|
	s_delay_alu instid0(VALU_DEP_2) | instskip(NEXT) | instid1(VALU_DEP_1)
	v_fma_f32 v30, 0x3f317217, v27, -v29
	v_fmac_f32_e32 v30, 0x3377d1cf, v27
	s_delay_alu instid0(VALU_DEP_1) | instskip(NEXT) | instid1(VALU_DEP_1)
	v_add_f32_e32 v29, v29, v30
	v_cndmask_b32_e64 v27, v27, v29, s6
	v_cndmask_b32_e64 v29, 0, 0x41b17218, s39
	s_delay_alu instid0(VALU_DEP_1) | instskip(NEXT) | instid1(VALU_DEP_1)
	v_sub_f32_e32 v27, v27, v29
	v_fma_f32 v27, |v24|, v27, -|v24|
.LBB15_55:                              ;   in Loop: Header=BB15_4 Depth=1
	s_and_not1_saveexec_b32 s10, s10
	s_cbranch_execz .LBB15_57
; %bb.56:                               ;   in Loop: Header=BB15_4 Depth=1
	v_cmp_gt_f32_e64 s39, 0x800000, |v24|
	v_rcp_f32_e64 v29, |v24|
	s_delay_alu instid0(VALU_DEP_1) | instskip(NEXT) | instid1(VALU_DEP_1)
	v_cndmask_b32_e64 v27, 0, 32, s39
	v_ldexp_f32 v27, |v24|, v27
	s_delay_alu instid0(VALU_DEP_1) | instskip(SKIP_1) | instid1(TRANS32_DEP_1)
	v_log_f32_e32 v27, v27
	v_nop
	v_dual_mul_f32 v30, v29, v29 :: v_dual_mul_f32 v31, 0x3f317217, v27
	v_cmp_gt_f32_e64 s6, 0x7f800000, |v27|
	s_delay_alu instid0(VALU_DEP_2) | instskip(NEXT) | instid1(VALU_DEP_1)
	v_fma_f32 v33, 0x3f317217, v27, -v31
	v_fmac_f32_e32 v33, 0x3377d1cf, v27
	s_delay_alu instid0(VALU_DEP_1) | instskip(NEXT) | instid1(VALU_DEP_1)
	v_dual_fmaak_f32 v32, s11, v30, 0x3a5b3dd2 :: v_dual_add_f32 v31, v31, v33
	v_cndmask_b32_e64 v27, v27, v31, s6
	v_cndmask_b32_e64 v31, 0, 0x41b17218, s39
	s_delay_alu instid0(VALU_DEP_1) | instskip(NEXT) | instid1(VALU_DEP_1)
	v_dual_fmaak_f32 v32, v30, v32, 0xba1c065c :: v_dual_sub_f32 v31, v27, v31
	v_fmaak_f32 v32, v30, v32, 0x3a500cfd
	s_delay_alu instid0(VALU_DEP_1) | instskip(NEXT) | instid1(VALU_DEP_1)
	v_fmaak_f32 v32, v30, v32, 0xbb360b61
	v_fmaak_f32 v30, v30, v32, 0x3daaaaab
	s_delay_alu instid0(VALU_DEP_1) | instskip(SKIP_2) | instid1(VALU_DEP_1)
	v_fmaak_f32 v27, v29, v30, 0x3ed67f1d
	v_add_f32_e64 v29, |v24|, -0.5
	v_add_f32_e32 v30, -1.0, v31
	v_fmac_f32_e32 v27, v29, v30
.LBB15_57:                              ;   in Loop: Header=BB15_4 Depth=1
	s_or_b32 exec_lo, exec_lo, s10
.LBB15_58:                              ;   in Loop: Header=BB15_4 Depth=1
	s_and_not1_saveexec_b32 s10, s7
	s_cbranch_execz .LBB15_60
; %bb.59:                               ;   in Loop: Header=BB15_4 Depth=1
	v_cvt_i32_f32_e32 v27, v28
	s_delay_alu instid0(VALU_DEP_1) | instskip(SKIP_1) | instid1(VALU_DEP_2)
	v_cvt_f32_i32_e32 v29, v27
	v_cmp_lt_i32_e64 s6, 3, v27
	v_sub_f32_e64 v30, |v24|, v29
	s_delay_alu instid0(VALU_DEP_1) | instskip(NEXT) | instid1(VALU_DEP_1)
	v_pk_add_f32 v[32:33], v[30:31], v[16:17] op_sel_hi:[0,1]
	v_dual_add_f32 v29, 4.0, v30 :: v_dual_cndmask_b32 v31, 1.0, v33, s6
	v_cmp_lt_i32_e64 s6, 2, v27
	v_add_f32_e32 v33, 0x40a00000, v30
	s_delay_alu instid0(VALU_DEP_2) | instskip(SKIP_1) | instid1(VALU_DEP_1)
	v_cndmask_b32_e64 v32, 1.0, v32, s6
	v_cmp_lt_i32_e64 s6, 4, v27
	v_dual_cndmask_b32 v29, 1.0, v29, s6 :: v_dual_mul_f32 v31, v32, v31
	v_add_f32_e32 v32, 0x40c00000, v30
	v_cmp_lt_i32_e64 s6, 5, v27
	s_delay_alu instid0(VALU_DEP_1) | instskip(SKIP_1) | instid1(VALU_DEP_1)
	v_dual_mul_f32 v29, v29, v31 :: v_dual_cndmask_b32 v33, 1.0, v33, s6
	v_cmp_lt_i32_e64 s6, 6, v27
	v_dual_mul_f32 v29, v33, v29 :: v_dual_cndmask_b32 v27, 1.0, v32, s6
	s_delay_alu instid0(VALU_DEP_1) | instskip(NEXT) | instid1(VALU_DEP_1)
	v_dual_fmaak_f32 v32, s26, v30, 0x3af135b4 :: v_dual_mul_f32 v27, v27, v29
	v_cmp_gt_f32_e64 s6, 0x800000, v27
	s_delay_alu instid0(VALU_DEP_1) | instskip(NEXT) | instid1(VALU_DEP_1)
	v_cndmask_b32_e64 v31, 0, 32, s6
	v_ldexp_f32 v27, v27, v31
	s_delay_alu instid0(VALU_DEP_4) | instskip(NEXT) | instid1(VALU_DEP_2)
	v_fmaak_f32 v31, v30, v32, 0x3cda40e4
	v_log_f32_e32 v27, v27
	s_delay_alu instid0(VALU_DEP_1) | instskip(NEXT) | instid1(VALU_DEP_1)
	v_fmaak_f32 v31, v30, v31, 0x3e15dce6
	v_fmaak_f32 v31, v30, v31, 0x3ea6cc7a
	s_delay_alu instid0(TRANS32_DEP_1) | instskip(NEXT) | instid1(VALU_DEP_2)
	v_cmp_gt_f32_e64 s7, 0x7f800000, |v27|
	v_fmaak_f32 v31, v30, v31, 0x3e5c245a
	s_delay_alu instid0(VALU_DEP_1) | instskip(NEXT) | instid1(VALU_DEP_1)
	v_fmaak_f32 v31, v30, v31, 0xbd9e233f
	v_mul_f32_e32 v31, v30, v31
	v_mul_f32_e32 v32, 0x3f317217, v27
	s_delay_alu instid0(VALU_DEP_1) | instskip(NEXT) | instid1(VALU_DEP_1)
	v_fma_f32 v33, 0x3f317217, v27, -v32
	v_fmac_f32_e32 v33, 0x3377d1cf, v27
	s_delay_alu instid0(VALU_DEP_1) | instskip(NEXT) | instid1(VALU_DEP_1)
	v_dual_fmaak_f32 v29, s27, v30, 0x3a4beed6 :: v_dual_add_f32 v32, v32, v33
	v_fmaak_f32 v29, v30, v29, 0x3c98bf54
	s_delay_alu instid0(VALU_DEP_2) | instskip(NEXT) | instid1(VALU_DEP_2)
	v_cndmask_b32_e64 v27, v27, v32, s7
	v_fmaak_f32 v29, v30, v29, 0x3e300f6e
	s_delay_alu instid0(VALU_DEP_1) | instskip(NEXT) | instid1(VALU_DEP_1)
	v_fmaak_f32 v29, v30, v29, 0x3f38d0c5
	v_fmaak_f32 v29, v30, v29, 0x3fb22d3b
	s_delay_alu instid0(VALU_DEP_1) | instskip(NEXT) | instid1(VALU_DEP_1)
	v_fma_f32 v29, v30, v29, 1.0
	v_rcp_f32_e32 v29, v29
	v_nop
	s_delay_alu instid0(TRANS32_DEP_1) | instskip(SKIP_1) | instid1(VALU_DEP_1)
	v_mul_f32_e32 v29, v31, v29
	v_cndmask_b32_e64 v31, 0, 0x41b17218, s6
	v_dual_fmac_f32 v29, 0.5, v30 :: v_dual_sub_f32 v27, v27, v31
	s_delay_alu instid0(VALU_DEP_1)
	v_add_f32_e32 v27, v27, v29
.LBB15_60:                              ;   in Loop: Header=BB15_4 Depth=1
	s_or_b32 exec_lo, exec_lo, s10
.LBB15_61:                              ;   in Loop: Header=BB15_4 Depth=1
	s_and_not1_saveexec_b32 s9, s9
	s_cbranch_execz .LBB15_79
; %bb.62:                               ;   in Loop: Header=BB15_4 Depth=1
                                        ; implicit-def: $vgpr27
                                        ; implicit-def: $vgpr30
                                        ; implicit-def: $vgpr29
	s_mov_b32 s7, exec_lo
	v_cmpx_ge_f32_e64 0x3f666666, |v24|
	s_xor_b32 s10, exec_lo, s7
	s_cbranch_execz .LBB15_64
; %bb.63:                               ;   in Loop: Header=BB15_4 Depth=1
	v_cmp_gt_f32_e64 s7, 0x800000, |v24|
	v_sub_f32_e64 v31, 1.0, |v24|
	v_cmp_gt_f32_e64 s6, 0x3f3b4a23, |v24|
	s_delay_alu instid0(VALU_DEP_3) | instskip(SKIP_1) | instid1(VALU_DEP_2)
	v_cndmask_b32_e64 v27, 0, 32, s7
	v_cndmask_b32_e64 v32, 0, 0x41b17218, s7
	v_ldexp_f32 v27, |v24|, v27
	s_delay_alu instid0(VALU_DEP_1) | instskip(SKIP_1) | instid1(TRANS32_DEP_1)
	v_log_f32_e32 v27, v27
	v_nop
	v_mul_f32_e32 v29, 0x3f317217, v27
	v_cmp_gt_f32_e64 s7, 0x7f800000, |v27|
	s_delay_alu instid0(VALU_DEP_2) | instskip(NEXT) | instid1(VALU_DEP_1)
	v_fma_f32 v30, 0x3f317217, v27, -v29
	v_fmac_f32_e32 v30, 0x3377d1cf, v27
	s_delay_alu instid0(VALU_DEP_1) | instskip(SKIP_1) | instid1(VALU_DEP_2)
	v_add_f32_e32 v29, v29, v30
	v_add_f32_e64 v30, 0xbeec5b0c, |v24|
	v_cndmask_b32_e64 v27, v27, v29, s7
	s_delay_alu instid0(VALU_DEP_2) | instskip(SKIP_2) | instid1(VALU_DEP_4)
	v_cndmask_b32_e64 v29, v31, v30, s6
	v_cndmask_b32_e64 v30, 0, 1, s6
	v_cmp_gt_f32_e64 s6, 0x3e6d3309, |v24|
	v_sub_f32_e32 v27, v27, v32
	s_delay_alu instid0(VALU_DEP_2) | instskip(NEXT) | instid1(VALU_DEP_4)
	v_cndmask_b32_e64 v29, v29, |v24|, s6
	v_cndmask_b32_e64 v30, v30, 2, s6
	s_delay_alu instid0(VALU_DEP_3)
	v_xor_b32_e32 v27, 0x80000000, v27
.LBB15_64:                              ;   in Loop: Header=BB15_4 Depth=1
	s_and_not1_saveexec_b32 s7, s10
	s_cbranch_execz .LBB15_66
; %bb.65:                               ;   in Loop: Header=BB15_4 Depth=1
	v_sub_f32_e64 v27, 2.0, |v24|
	v_add_f32_e64 v29, 0xbfbb16c3, |v24|
	v_cmp_gt_f32_e64 s6, 0x3fdda512, |v24|
	v_add_f32_e64 v30, |v24|, -1.0
	s_delay_alu instid0(VALU_DEP_2) | instskip(SKIP_2) | instid1(VALU_DEP_2)
	v_cndmask_b32_e64 v29, v27, v29, s6
	v_cndmask_b32_e64 v27, v27, 1.0, s6
	v_cmp_gt_f32_e64 s6, 0x3f9d70a4, |v24|
	v_cvt_i32_f32_e32 v27, v27
	s_delay_alu instid0(VALU_DEP_2) | instskip(NEXT) | instid1(VALU_DEP_2)
	v_cndmask_b32_e64 v29, v29, v30, s6
	v_cndmask_b32_e64 v30, v27, 2, s6
	v_mov_b32_e32 v27, 0
.LBB15_66:                              ;   in Loop: Header=BB15_4 Depth=1
	s_or_b32 exec_lo, exec_lo, s7
	s_delay_alu instid0(SALU_CYCLE_1) | instskip(NEXT) | instid1(VALU_DEP_2)
	s_mov_b32 s7, exec_lo
	v_cmpx_lt_i32_e32 0, v30
	s_xor_b32 s7, exec_lo, s7
	s_cbranch_execz .LBB15_74
; %bb.67:                               ;   in Loop: Header=BB15_4 Depth=1
	s_mov_b32 s10, exec_lo
	v_cmpx_lt_i32_e32 1, v30
	s_xor_b32 s10, exec_lo, s10
	s_cbranch_execz .LBB15_71
; %bb.68:                               ;   in Loop: Header=BB15_4 Depth=1
	s_mov_b32 s39, exec_lo
	v_cmpx_eq_u32_e32 2, v30
	s_cbranch_execz .LBB15_70
; %bb.69:                               ;   in Loop: Header=BB15_4 Depth=1
	v_fmaak_f32 v31, s28, v29, 0x3e6a7578
	s_delay_alu instid0(VALU_DEP_1) | instskip(NEXT) | instid1(VALU_DEP_1)
	v_fmaak_f32 v31, v29, v31, 0x3f7a4bb2
	v_fmaak_f32 v31, v29, v31, 0x3fba3ae7
	s_delay_alu instid0(VALU_DEP_1) | instskip(NEXT) | instid1(VALU_DEP_1)
	v_fmaak_f32 v31, v29, v31, 0x3f2200f4
	v_fmaak_f32 v31, v29, v31, 0xbd9e233f
	s_delay_alu instid0(VALU_DEP_1) | instskip(NEXT) | instid1(VALU_DEP_1)
	v_dual_fmaak_f32 v30, s29, v29, 0x3dd572af :: v_dual_mul_f32 v31, v29, v31
	v_fmaak_f32 v30, v29, v30, 0x3f44efdf
	s_delay_alu instid0(VALU_DEP_1) | instskip(NEXT) | instid1(VALU_DEP_1)
	v_fmaak_f32 v30, v29, v30, 0x4008392d
	v_fmaak_f32 v30, v29, v30, 0x401d2ebe
	s_delay_alu instid0(VALU_DEP_1) | instskip(NEXT) | instid1(VALU_DEP_1)
	v_fma_f32 v30, v29, v30, 1.0
	v_rcp_f32_e32 v30, v30
	v_nop
	s_delay_alu instid0(TRANS32_DEP_1) | instskip(NEXT) | instid1(VALU_DEP_1)
	v_mul_f32_e32 v30, v31, v30
	v_fmac_f32_e32 v30, -0.5, v29
	s_delay_alu instid0(VALU_DEP_1)
	v_add_f32_e32 v27, v27, v30
.LBB15_70:                              ;   in Loop: Header=BB15_4 Depth=1
	s_or_b32 exec_lo, exec_lo, s39
                                        ; implicit-def: $vgpr29
.LBB15_71:                              ;   in Loop: Header=BB15_4 Depth=1
	s_and_not1_saveexec_b32 s6, s10
	s_cbranch_execz .LBB15_73
; %bb.72:                               ;   in Loop: Header=BB15_4 Depth=1
	v_mul_f32_e32 v30, v29, v29
	s_delay_alu instid0(VALU_DEP_1) | instskip(NEXT) | instid1(VALU_DEP_1)
	v_mul_f32_e32 v31, v29, v30
	v_fmaak_f32 v32, s31, v31, 0x3a66f867
	v_fmaak_f32 v33, s33, v31, 0xba0d3085
	s_delay_alu instid0(VALU_DEP_2) | instskip(NEXT) | instid1(VALU_DEP_2)
	v_fmaak_f32 v32, v31, v32, 0xbb7177fe
	v_fmaak_f32 v33, v31, v33, 0x3b141699
	s_delay_alu instid0(VALU_DEP_2) | instskip(NEXT) | instid1(VALU_DEP_2)
	v_fmaak_f32 v32, v31, v32, 0x3c93373d
	v_fmaak_f32 v33, v31, v33, 0xbc28fcfe
	s_delay_alu instid0(VALU_DEP_2) | instskip(NEXT) | instid1(VALU_DEP_2)
	v_fmaak_f32 v32, v31, v32, 0xbe17213c
	v_fmaak_f32 v33, v31, v33, 0x3d845a15
	s_delay_alu instid0(VALU_DEP_1) | instskip(SKIP_1) | instid1(VALU_DEP_1)
	v_fmac_f32_e32 v32, v29, v33
	v_fmaak_f32 v34, s30, v31, 0xbab7f476
	v_fmaak_f32 v34, v31, v34, 0x3bc7e707
	s_delay_alu instid0(VALU_DEP_1) | instskip(NEXT) | instid1(VALU_DEP_1)
	v_fmaak_f32 v34, v31, v34, 0xbd064d47
	v_fmaak_f32 v29, v31, v34, 0x3ef7b95e
	v_fma_f32 v31, v31, -v32, 0xa2863e55
	s_delay_alu instid0(VALU_DEP_1) | instskip(NEXT) | instid1(VALU_DEP_1)
	v_fma_f32 v29, v30, v29, -v31
	v_add_f32_e32 v29, 0xbdf8cdce, v29
	s_delay_alu instid0(VALU_DEP_1)
	v_add_f32_e32 v27, v27, v29
.LBB15_73:                              ;   in Loop: Header=BB15_4 Depth=1
	s_or_b32 exec_lo, exec_lo, s6
                                        ; implicit-def: $vgpr30
                                        ; implicit-def: $vgpr29
.LBB15_74:                              ;   in Loop: Header=BB15_4 Depth=1
	s_and_not1_saveexec_b32 s7, s7
	s_cbranch_execz .LBB15_78
; %bb.75:                               ;   in Loop: Header=BB15_4 Depth=1
	s_mov_b32 s10, exec_lo
	v_cmpx_eq_u32_e32 0, v30
	s_cbranch_execz .LBB15_77
; %bb.76:                               ;   in Loop: Header=BB15_4 Depth=1
	v_mul_f32_e32 v30, v29, v29
	s_delay_alu instid0(VALU_DEP_1) | instskip(NEXT) | instid1(VALU_DEP_1)
	v_fmaak_f32 v32, s34, v30, 0x39679767
	v_fmaak_f32 v32, v30, v32, 0x3a9c54a1
	s_delay_alu instid0(VALU_DEP_1) | instskip(NEXT) | instid1(VALU_DEP_1)
	v_fmaak_f32 v32, v30, v32, 0x3bf2027e
	v_fmaak_f32 v32, v30, v32, 0x3d89f001
	s_delay_alu instid0(VALU_DEP_1) | instskip(SKIP_1) | instid1(VALU_DEP_1)
	v_fmaak_f32 v32, v30, v32, 0x3d9e233f
	v_fmaak_f32 v31, s35, v30, 0x38e28445
	;; [unrolled: 1-line block ×3, first 2 shown]
	s_delay_alu instid0(VALU_DEP_1) | instskip(NEXT) | instid1(VALU_DEP_1)
	v_fmaak_f32 v31, v30, v31, 0x3b3d6ec6
	v_fmaak_f32 v31, v30, v31, 0x3ca89915
	s_delay_alu instid0(VALU_DEP_1) | instskip(NEXT) | instid1(VALU_DEP_1)
	v_fmaak_f32 v31, v30, v31, 0x3ea51a66
	v_mul_f32_e32 v30, v30, v31
	s_delay_alu instid0(VALU_DEP_1) | instskip(NEXT) | instid1(VALU_DEP_1)
	v_fmac_f32_e32 v30, v29, v32
	v_fmac_f32_e32 v30, -0.5, v29
	s_delay_alu instid0(VALU_DEP_1)
	v_add_f32_e32 v27, v27, v30
.LBB15_77:                              ;   in Loop: Header=BB15_4 Depth=1
	s_or_b32 exec_lo, exec_lo, s10
.LBB15_78:                              ;   in Loop: Header=BB15_4 Depth=1
	s_delay_alu instid0(SALU_CYCLE_1)
	s_or_b32 exec_lo, exec_lo, s7
.LBB15_79:                              ;   in Loop: Header=BB15_4 Depth=1
	s_delay_alu instid0(SALU_CYCLE_1)
	s_or_b32 exec_lo, exec_lo, s9
.LBB15_80:                              ;   in Loop: Header=BB15_4 Depth=1
	s_and_not1_saveexec_b32 s7, s8
	s_cbranch_execz .LBB15_82
; %bb.81:                               ;   in Loop: Header=BB15_4 Depth=1
	v_cmp_gt_f32_e64 s8, 0x800000, |v24|
	v_fma_f32 v31, |v24|, s36, 0xbecd26ab
	s_delay_alu instid0(VALU_DEP_2) | instskip(NEXT) | instid1(VALU_DEP_1)
	v_cndmask_b32_e64 v27, 0, 32, s8
	v_ldexp_f32 v27, |v24|, v27
	s_delay_alu instid0(VALU_DEP_1) | instskip(SKIP_1) | instid1(TRANS32_DEP_1)
	v_log_f32_e32 v27, v27
	v_nop
	v_mul_f32_e32 v29, 0x3f317217, v27
	v_cmp_gt_f32_e64 s6, 0x7f800000, |v27|
	s_delay_alu instid0(VALU_DEP_2) | instskip(NEXT) | instid1(VALU_DEP_1)
	v_fma_f32 v30, 0x3f317217, v27, -v29
	v_fmac_f32_e32 v30, 0x3377d1cf, v27
	s_delay_alu instid0(VALU_DEP_1) | instskip(SKIP_1) | instid1(VALU_DEP_2)
	v_add_f32_e32 v29, v29, v30
	v_fma_f32 v30, |v24|, v31, 0x3f528d33
	v_cndmask_b32_e64 v27, v27, v29, s6
	v_cndmask_b32_e64 v29, 0, 0x41b17218, s8
	s_delay_alu instid0(VALU_DEP_3) | instskip(NEXT) | instid1(VALU_DEP_2)
	v_fma_f32 v30, |v24|, v30, 0xbf13c468
	v_sub_f32_e32 v27, v27, v29
	s_delay_alu instid0(VALU_DEP_1)
	v_fma_f32 v27, |v24|, v30, -v27
.LBB15_82:                              ;   in Loop: Header=BB15_4 Depth=1
	s_or_b32 exec_lo, exec_lo, s7
	v_cmp_le_f32_e64 s6, 0, v24
	s_mov_b32 s8, exec_lo
	v_cmpx_nle_f32_e32 0, v24
	s_xor_b32 s9, exec_lo, s8
	s_cbranch_execz .LBB15_86
; %bb.83:                               ;   in Loop: Header=BB15_4 Depth=1
	v_cmp_gt_f32_e64 s7, 0x4b000000, |v24|
	v_cmp_lt_f32_e64 s8, 0x35000000, |v24|
	s_and_b32 s7, s7, s8
	s_delay_alu instid0(SALU_CYCLE_1)
	s_and_saveexec_b32 s10, s7
	s_cbranch_execz .LBB15_85
; %bb.84:                               ;   in Loop: Header=BB15_4 Depth=1
	v_mul_f32_e64 v29, |v24|, 0.5
	s_delay_alu instid0(VALU_DEP_1) | instskip(SKIP_1) | instid1(VALU_DEP_2)
	v_floor_f32_e32 v30, v29
	v_cmp_neq_f32_e64 s7, 0x7f800000, v29
	v_sub_f32_e32 v30, v29, v30
	s_delay_alu instid0(VALU_DEP_1) | instskip(NEXT) | instid1(VALU_DEP_1)
	v_min_num_f32_e32 v30, 0x3f7fffff, v30
	v_add_f32_e32 v30, v30, v30
	s_delay_alu instid0(VALU_DEP_1) | instskip(SKIP_1) | instid1(VALU_DEP_1)
	v_cndmask_b32_e64 v29, 0, v30, s7
	v_cmp_gt_f32_e64 s7, |v24|, 1.0
	v_cndmask_b32_e64 v29, |v24|, v29, s7
	s_delay_alu instid0(VALU_DEP_1) | instskip(NEXT) | instid1(VALU_DEP_1)
	v_add_f32_e32 v30, v29, v29
	v_rndne_f32_e32 v30, v30
	s_delay_alu instid0(VALU_DEP_1) | instskip(SKIP_1) | instid1(VALU_DEP_2)
	v_fmac_f32_e32 v29, -0.5, v30
	v_cvt_i32_f32_e32 v30, v30
	v_mul_f32_e32 v31, v29, v29
	s_delay_alu instid0(VALU_DEP_1) | instskip(SKIP_1) | instid1(VALU_DEP_2)
	v_fmaak_f32 v32, s37, v31, 0xbf1f24be
	v_dual_fmaak_f32 v33, s38, v31, 0x3e642e9d :: v_dual_mul_f32 v34, v29, v31
	v_fmaak_f32 v32, v31, v32, 0x40234736
	s_delay_alu instid0(VALU_DEP_2) | instskip(NEXT) | instid1(VALU_DEP_2)
	v_fmaak_f32 v33, v31, v33, 0xbfaad1da
	v_fmaak_f32 v32, v31, v32, 0xc0a55e0e
	s_delay_alu instid0(VALU_DEP_1) | instskip(NEXT) | instid1(VALU_DEP_1)
	v_mul_f32_e32 v32, v34, v32
	v_fmac_f32_e32 v32, 0x40490fdb, v29
	v_dual_lshlrev_b32 v30, 30, v30 :: v_dual_bitop2_b32 v34, 1, v30 bitop3:0x40
	v_fmaak_f32 v33, v31, v33, 0x4081e0d3
	s_delay_alu instid0(VALU_DEP_2) | instskip(NEXT) | instid1(VALU_DEP_3)
	v_cmp_eq_u32_e64 s7, 0, v34
	v_and_or_b32 v28, 0x80000000, v30, v28
	s_delay_alu instid0(VALU_DEP_3) | instskip(NEXT) | instid1(VALU_DEP_1)
	v_fmaak_f32 v33, v31, v33, 0xc09de9e6
	v_fma_f32 v29, v31, v33, 1.0
	s_delay_alu instid0(VALU_DEP_1) | instskip(NEXT) | instid1(VALU_DEP_1)
	v_cndmask_b32_e64 v29, v29, v32, s7
	v_xor3_b32 v28, v28, v29, v24
	s_delay_alu instid0(VALU_DEP_1) | instskip(NEXT) | instid1(VALU_DEP_1)
	v_mul_f32_e32 v28, v24, v28
	v_frexp_mant_f32_e64 v29, |v28|
	v_frexp_exp_i32_f32_e32 v28, v28
	s_delay_alu instid0(VALU_DEP_2) | instskip(SKIP_1) | instid1(TRANS32_DEP_1)
	v_rcp_f32_e32 v29, v29
	v_nop
	v_dual_mul_f32 v29, 0x3f490fdb, v29 :: v_dual_sub_nc_u32 v28, 2, v28
	s_delay_alu instid0(VALU_DEP_1) | instskip(NEXT) | instid1(VALU_DEP_1)
	v_ldexp_f32 v28, v29, v28
	v_cmp_gt_f32_e64 s7, 0x800000, v28
	s_delay_alu instid0(VALU_DEP_1) | instskip(NEXT) | instid1(VALU_DEP_1)
	v_cndmask_b32_e64 v29, 0, 32, s7
	v_ldexp_f32 v28, v28, v29
	s_delay_alu instid0(VALU_DEP_1) | instskip(SKIP_1) | instid1(TRANS32_DEP_1)
	v_log_f32_e32 v28, v28
	v_nop
	v_mul_f32_e32 v29, 0x3f317217, v28
	v_cmp_gt_f32_e64 s8, 0x7f800000, |v28|
	s_delay_alu instid0(VALU_DEP_2) | instskip(NEXT) | instid1(VALU_DEP_1)
	v_fma_f32 v30, 0x3f317217, v28, -v29
	v_fmac_f32_e32 v30, 0x3377d1cf, v28
	s_delay_alu instid0(VALU_DEP_1) | instskip(SKIP_1) | instid1(VALU_DEP_2)
	v_add_f32_e32 v29, v29, v30
	v_floor_f32_e32 v30, v24
	v_cndmask_b32_e64 v28, v28, v29, s8
	v_cndmask_b32_e64 v29, 0, 0x41b17218, s7
	s_delay_alu instid0(VALU_DEP_3) | instskip(NEXT) | instid1(VALU_DEP_1)
	v_sub_f32_e32 v30, v24, v30
	v_dual_sub_f32 v28, v28, v29 :: v_dual_min_num_f32 v29, 0x3f7fffff, v30
	s_delay_alu instid0(VALU_DEP_1) | instskip(NEXT) | instid1(VALU_DEP_2)
	v_sub_f32_e32 v27, v28, v27
	v_cmp_neq_f32_e64 s7, 0, v29
	s_delay_alu instid0(VALU_DEP_1)
	v_cndmask_b32_e64 v27, 0x7f800000, v27, s7
.LBB15_85:                              ;   in Loop: Header=BB15_4 Depth=1
	s_or_b32 exec_lo, exec_lo, s10
.LBB15_86:                              ;   in Loop: Header=BB15_4 Depth=1
	s_and_not1_saveexec_b32 s9, s9
; %bb.87:                               ;   in Loop: Header=BB15_4 Depth=1
	v_cmp_eq_f32_e64 s7, 1.0, v24
	v_cmp_eq_f32_e64 s8, 2.0, v24
	s_or_b32 s7, s7, s8
	s_delay_alu instid0(SALU_CYCLE_1)
	v_cndmask_b32_e64 v27, v27, 0, s7
; %bb.88:                               ;   in Loop: Header=BB15_4 Depth=1
	s_or_b32 exec_lo, exec_lo, s9
	v_and_b32_e32 v29, 0x7fffffff, v22
                                        ; implicit-def: $vgpr28
	s_mov_b32 s8, exec_lo
	v_cmpx_ngt_f32_e64 0x3c800000, |v22|
	s_xor_b32 s9, exec_lo, s8
	s_cbranch_execz .LBB15_118
; %bb.89:                               ;   in Loop: Header=BB15_4 Depth=1
                                        ; implicit-def: $vgpr28
	s_mov_b32 s8, exec_lo
	v_cmpx_nlt_f32_e64 |v22|, 2.0
	s_xor_b32 s10, exec_lo, s8
	s_cbranch_execz .LBB15_99
; %bb.90:                               ;   in Loop: Header=BB15_4 Depth=1
	s_mov_b32 s8, exec_lo
                                        ; implicit-def: $vgpr28
	v_cmpx_ngt_f32_e64 0x41000000, |v22|
	s_xor_b32 s8, exec_lo, s8
	s_cbranch_execz .LBB15_96
; %bb.91:                               ;   in Loop: Header=BB15_4 Depth=1
	s_mov_b32 s39, exec_lo
                                        ; implicit-def: $vgpr28
	v_cmpx_ngt_f32_e64 0x5c800000, |v22|
	s_xor_b32 s39, exec_lo, s39
	s_cbranch_execz .LBB15_93
; %bb.92:                               ;   in Loop: Header=BB15_4 Depth=1
	v_cmp_gt_f32_e64 s40, 0x800000, |v22|
	s_delay_alu instid0(VALU_DEP_1) | instskip(NEXT) | instid1(VALU_DEP_1)
	v_cndmask_b32_e64 v28, 0, 32, s40
	v_ldexp_f32 v28, |v22|, v28
	s_delay_alu instid0(VALU_DEP_1) | instskip(SKIP_1) | instid1(TRANS32_DEP_1)
	v_log_f32_e32 v28, v28
	v_nop
	v_mul_f32_e32 v30, 0x3f317217, v28
	v_cmp_gt_f32_e64 s7, 0x7f800000, |v28|
	s_delay_alu instid0(VALU_DEP_2) | instskip(NEXT) | instid1(VALU_DEP_1)
	v_fma_f32 v31, 0x3f317217, v28, -v30
	v_fmac_f32_e32 v31, 0x3377d1cf, v28
	s_delay_alu instid0(VALU_DEP_1) | instskip(NEXT) | instid1(VALU_DEP_1)
	v_add_f32_e32 v30, v30, v31
	v_cndmask_b32_e64 v28, v28, v30, s7
	v_cndmask_b32_e64 v30, 0, 0x41b17218, s40
	s_delay_alu instid0(VALU_DEP_1) | instskip(NEXT) | instid1(VALU_DEP_1)
	v_sub_f32_e32 v28, v28, v30
	v_fma_f32 v28, |v22|, v28, -|v22|
.LBB15_93:                              ;   in Loop: Header=BB15_4 Depth=1
	s_and_not1_saveexec_b32 s39, s39
	s_cbranch_execz .LBB15_95
; %bb.94:                               ;   in Loop: Header=BB15_4 Depth=1
	v_cmp_gt_f32_e64 s40, 0x800000, |v22|
	v_rcp_f32_e64 v30, |v22|
	s_delay_alu instid0(VALU_DEP_1) | instskip(NEXT) | instid1(VALU_DEP_1)
	v_cndmask_b32_e64 v28, 0, 32, s40
	v_ldexp_f32 v28, |v22|, v28
	s_delay_alu instid0(VALU_DEP_1) | instskip(SKIP_1) | instid1(TRANS32_DEP_1)
	v_log_f32_e32 v28, v28
	v_nop
	v_dual_mul_f32 v31, v30, v30 :: v_dual_mul_f32 v32, 0x3f317217, v28
	v_cmp_gt_f32_e64 s7, 0x7f800000, |v28|
	s_delay_alu instid0(VALU_DEP_2) | instskip(NEXT) | instid1(VALU_DEP_1)
	v_fma_f32 v34, 0x3f317217, v28, -v32
	v_fmac_f32_e32 v34, 0x3377d1cf, v28
	s_delay_alu instid0(VALU_DEP_1) | instskip(NEXT) | instid1(VALU_DEP_1)
	v_dual_fmaak_f32 v33, s11, v31, 0x3a5b3dd2 :: v_dual_add_f32 v32, v32, v34
	v_cndmask_b32_e64 v28, v28, v32, s7
	v_cndmask_b32_e64 v32, 0, 0x41b17218, s40
	s_delay_alu instid0(VALU_DEP_1) | instskip(NEXT) | instid1(VALU_DEP_1)
	v_dual_fmaak_f32 v33, v31, v33, 0xba1c065c :: v_dual_sub_f32 v32, v28, v32
	v_fmaak_f32 v33, v31, v33, 0x3a500cfd
	s_delay_alu instid0(VALU_DEP_1) | instskip(NEXT) | instid1(VALU_DEP_1)
	v_fmaak_f32 v33, v31, v33, 0xbb360b61
	v_fmaak_f32 v31, v31, v33, 0x3daaaaab
	s_delay_alu instid0(VALU_DEP_1) | instskip(SKIP_2) | instid1(VALU_DEP_1)
	v_fmaak_f32 v28, v30, v31, 0x3ed67f1d
	v_add_f32_e64 v30, |v22|, -0.5
	v_add_f32_e32 v31, -1.0, v32
	v_fmac_f32_e32 v28, v30, v31
.LBB15_95:                              ;   in Loop: Header=BB15_4 Depth=1
	s_or_b32 exec_lo, exec_lo, s39
.LBB15_96:                              ;   in Loop: Header=BB15_4 Depth=1
	s_and_not1_saveexec_b32 s39, s8
	s_cbranch_execz .LBB15_98
; %bb.97:                               ;   in Loop: Header=BB15_4 Depth=1
	v_cvt_i32_f32_e32 v32, v29
	s_delay_alu instid0(VALU_DEP_1) | instskip(SKIP_1) | instid1(VALU_DEP_2)
	v_cvt_f32_i32_e32 v28, v32
	v_cmp_lt_i32_e64 s7, 3, v32
	v_sub_f32_e64 v28, |v22|, v28
	s_delay_alu instid0(VALU_DEP_1) | instskip(SKIP_1) | instid1(VALU_DEP_2)
	v_pk_add_f32 v[30:31], v[28:29], v[16:17] op_sel_hi:[0,1]
	v_dual_add_f32 v33, 4.0, v28 :: v_dual_add_f32 v34, 0x40a00000, v28
	v_cndmask_b32_e64 v31, 1.0, v31, s7
	v_cmp_lt_i32_e64 s7, 2, v32
	s_delay_alu instid0(VALU_DEP_1) | instskip(SKIP_1) | instid1(VALU_DEP_1)
	v_cndmask_b32_e64 v30, 1.0, v30, s7
	v_cmp_lt_i32_e64 s7, 4, v32
	v_dual_cndmask_b32 v33, 1.0, v33, s7 :: v_dual_mul_f32 v30, v30, v31
	v_add_f32_e32 v31, 0x40c00000, v28
	v_cmp_lt_i32_e64 s7, 5, v32
	s_delay_alu instid0(VALU_DEP_3) | instskip(NEXT) | instid1(VALU_DEP_2)
	v_dual_mul_f32 v30, v33, v30 :: v_dual_fmaak_f32 v33, s26, v28, 0x3af135b4
	v_cndmask_b32_e64 v34, 1.0, v34, s7
	v_cmp_lt_i32_e64 s7, 6, v32
	s_delay_alu instid0(VALU_DEP_1) | instskip(NEXT) | instid1(VALU_DEP_1)
	v_dual_cndmask_b32 v31, 1.0, v31, s7 :: v_dual_mul_f32 v30, v34, v30
	v_dual_mul_f32 v30, v31, v30 :: v_dual_fmaak_f32 v31, s27, v28, 0x3a4beed6
	s_delay_alu instid0(VALU_DEP_1) | instskip(NEXT) | instid1(VALU_DEP_2)
	v_fmaak_f32 v31, v28, v31, 0x3c98bf54
	v_cmp_gt_f32_e64 s7, 0x800000, v30
	s_delay_alu instid0(VALU_DEP_1) | instskip(NEXT) | instid1(VALU_DEP_1)
	v_cndmask_b32_e64 v32, 0, 32, s7
	v_ldexp_f32 v30, v30, v32
	v_fmaak_f32 v32, v28, v33, 0x3cda40e4
	s_delay_alu instid0(VALU_DEP_2) | instskip(SKIP_1) | instid1(TRANS32_DEP_1)
	v_log_f32_e32 v30, v30
	v_nop
	v_mul_f32_e32 v33, 0x3f317217, v30
	v_cmp_gt_f32_e64 s8, 0x7f800000, |v30|
	s_delay_alu instid0(VALU_DEP_2) | instskip(NEXT) | instid1(VALU_DEP_1)
	v_fma_f32 v34, 0x3f317217, v30, -v33
	v_fmac_f32_e32 v34, 0x3377d1cf, v30
	s_delay_alu instid0(VALU_DEP_1) | instskip(NEXT) | instid1(VALU_DEP_1)
	v_dual_add_f32 v33, v33, v34 :: v_dual_fmaak_f32 v32, v28, v32, 0x3e15dce6
	v_cndmask_b32_e64 v30, v30, v33, s8
	s_delay_alu instid0(VALU_DEP_2) | instskip(NEXT) | instid1(VALU_DEP_1)
	v_fmaak_f32 v32, v28, v32, 0x3ea6cc7a
	v_fmaak_f32 v32, v28, v32, 0x3e5c245a
	s_delay_alu instid0(VALU_DEP_1) | instskip(NEXT) | instid1(VALU_DEP_1)
	v_fmaak_f32 v32, v28, v32, 0xbd9e233f
	v_dual_fmaak_f32 v31, v28, v31, 0x3e300f6e :: v_dual_mul_f32 v32, v28, v32
	s_delay_alu instid0(VALU_DEP_1) | instskip(NEXT) | instid1(VALU_DEP_1)
	v_fmaak_f32 v31, v28, v31, 0x3f38d0c5
	v_fmaak_f32 v31, v28, v31, 0x3fb22d3b
	s_delay_alu instid0(VALU_DEP_1) | instskip(NEXT) | instid1(VALU_DEP_1)
	v_fma_f32 v31, v28, v31, 1.0
	v_rcp_f32_e32 v31, v31
	v_nop
	s_delay_alu instid0(TRANS32_DEP_1) | instskip(SKIP_1) | instid1(VALU_DEP_2)
	v_mul_f32_e32 v31, v32, v31
	v_cndmask_b32_e64 v32, 0, 0x41b17218, s7
	v_fmac_f32_e32 v31, 0.5, v28
	s_delay_alu instid0(VALU_DEP_2) | instskip(NEXT) | instid1(VALU_DEP_1)
	v_sub_f32_e32 v28, v30, v32
	v_add_f32_e32 v28, v28, v31
.LBB15_98:                              ;   in Loop: Header=BB15_4 Depth=1
	s_or_b32 exec_lo, exec_lo, s39
.LBB15_99:                              ;   in Loop: Header=BB15_4 Depth=1
	s_and_not1_saveexec_b32 s10, s10
	s_cbranch_execz .LBB15_117
; %bb.100:                              ;   in Loop: Header=BB15_4 Depth=1
                                        ; implicit-def: $vgpr28
                                        ; implicit-def: $vgpr31
                                        ; implicit-def: $vgpr30
	s_mov_b32 s8, exec_lo
	v_cmpx_ge_f32_e64 0x3f666666, |v22|
	s_xor_b32 s39, exec_lo, s8
	s_cbranch_execz .LBB15_102
; %bb.101:                              ;   in Loop: Header=BB15_4 Depth=1
	v_cmp_gt_f32_e64 s8, 0x800000, |v22|
	v_sub_f32_e64 v32, 1.0, |v22|
	v_cmp_gt_f32_e64 s7, 0x3f3b4a23, |v22|
	s_delay_alu instid0(VALU_DEP_3) | instskip(SKIP_1) | instid1(VALU_DEP_2)
	v_cndmask_b32_e64 v28, 0, 32, s8
	v_cndmask_b32_e64 v33, 0, 0x41b17218, s8
	v_ldexp_f32 v28, |v22|, v28
	s_delay_alu instid0(VALU_DEP_1) | instskip(SKIP_1) | instid1(TRANS32_DEP_1)
	v_log_f32_e32 v28, v28
	v_nop
	v_mul_f32_e32 v30, 0x3f317217, v28
	v_cmp_gt_f32_e64 s8, 0x7f800000, |v28|
	s_delay_alu instid0(VALU_DEP_2) | instskip(NEXT) | instid1(VALU_DEP_1)
	v_fma_f32 v31, 0x3f317217, v28, -v30
	v_fmac_f32_e32 v31, 0x3377d1cf, v28
	s_delay_alu instid0(VALU_DEP_1) | instskip(SKIP_1) | instid1(VALU_DEP_2)
	v_add_f32_e32 v30, v30, v31
	v_add_f32_e64 v31, 0xbeec5b0c, |v22|
	v_cndmask_b32_e64 v28, v28, v30, s8
	s_delay_alu instid0(VALU_DEP_2) | instskip(SKIP_2) | instid1(VALU_DEP_4)
	v_cndmask_b32_e64 v30, v32, v31, s7
	v_cndmask_b32_e64 v31, 0, 1, s7
	v_cmp_gt_f32_e64 s7, 0x3e6d3309, |v22|
	v_sub_f32_e32 v28, v28, v33
	s_delay_alu instid0(VALU_DEP_2) | instskip(NEXT) | instid1(VALU_DEP_4)
	v_cndmask_b32_e64 v30, v30, |v22|, s7
	v_cndmask_b32_e64 v31, v31, 2, s7
	s_delay_alu instid0(VALU_DEP_3)
	v_xor_b32_e32 v28, 0x80000000, v28
.LBB15_102:                             ;   in Loop: Header=BB15_4 Depth=1
	s_and_not1_saveexec_b32 s8, s39
	s_cbranch_execz .LBB15_104
; %bb.103:                              ;   in Loop: Header=BB15_4 Depth=1
	v_sub_f32_e64 v28, 2.0, |v22|
	v_add_f32_e64 v30, 0xbfbb16c3, |v22|
	v_cmp_gt_f32_e64 s7, 0x3fdda512, |v22|
	v_add_f32_e64 v31, |v22|, -1.0
	s_delay_alu instid0(VALU_DEP_2) | instskip(SKIP_2) | instid1(VALU_DEP_2)
	v_cndmask_b32_e64 v30, v28, v30, s7
	v_cndmask_b32_e64 v28, v28, 1.0, s7
	v_cmp_gt_f32_e64 s7, 0x3f9d70a4, |v22|
	v_cvt_i32_f32_e32 v28, v28
	s_delay_alu instid0(VALU_DEP_2) | instskip(NEXT) | instid1(VALU_DEP_2)
	v_cndmask_b32_e64 v30, v30, v31, s7
	v_cndmask_b32_e64 v31, v28, 2, s7
	v_mov_b32_e32 v28, 0
.LBB15_104:                             ;   in Loop: Header=BB15_4 Depth=1
	s_or_b32 exec_lo, exec_lo, s8
	s_delay_alu instid0(SALU_CYCLE_1) | instskip(NEXT) | instid1(VALU_DEP_2)
	s_mov_b32 s8, exec_lo
	v_cmpx_lt_i32_e32 0, v31
	s_xor_b32 s8, exec_lo, s8
	s_cbranch_execz .LBB15_112
; %bb.105:                              ;   in Loop: Header=BB15_4 Depth=1
	s_mov_b32 s39, exec_lo
	v_cmpx_lt_i32_e32 1, v31
	s_xor_b32 s39, exec_lo, s39
	s_cbranch_execz .LBB15_109
; %bb.106:                              ;   in Loop: Header=BB15_4 Depth=1
	s_mov_b32 s40, exec_lo
	v_cmpx_eq_u32_e32 2, v31
	s_cbranch_execz .LBB15_108
; %bb.107:                              ;   in Loop: Header=BB15_4 Depth=1
	v_fmaak_f32 v32, s28, v30, 0x3e6a7578
	s_delay_alu instid0(VALU_DEP_1) | instskip(NEXT) | instid1(VALU_DEP_1)
	v_fmaak_f32 v32, v30, v32, 0x3f7a4bb2
	v_fmaak_f32 v32, v30, v32, 0x3fba3ae7
	s_delay_alu instid0(VALU_DEP_1) | instskip(NEXT) | instid1(VALU_DEP_1)
	v_fmaak_f32 v32, v30, v32, 0x3f2200f4
	v_fmaak_f32 v32, v30, v32, 0xbd9e233f
	s_delay_alu instid0(VALU_DEP_1) | instskip(NEXT) | instid1(VALU_DEP_1)
	v_dual_fmaak_f32 v31, s29, v30, 0x3dd572af :: v_dual_mul_f32 v32, v30, v32
	v_fmaak_f32 v31, v30, v31, 0x3f44efdf
	s_delay_alu instid0(VALU_DEP_1) | instskip(NEXT) | instid1(VALU_DEP_1)
	v_fmaak_f32 v31, v30, v31, 0x4008392d
	v_fmaak_f32 v31, v30, v31, 0x401d2ebe
	s_delay_alu instid0(VALU_DEP_1) | instskip(NEXT) | instid1(VALU_DEP_1)
	v_fma_f32 v31, v30, v31, 1.0
	v_rcp_f32_e32 v31, v31
	v_nop
	s_delay_alu instid0(TRANS32_DEP_1) | instskip(NEXT) | instid1(VALU_DEP_1)
	v_mul_f32_e32 v31, v32, v31
	v_fmac_f32_e32 v31, -0.5, v30
	s_delay_alu instid0(VALU_DEP_1)
	v_add_f32_e32 v28, v28, v31
.LBB15_108:                             ;   in Loop: Header=BB15_4 Depth=1
	s_or_b32 exec_lo, exec_lo, s40
                                        ; implicit-def: $vgpr30
.LBB15_109:                             ;   in Loop: Header=BB15_4 Depth=1
	s_and_not1_saveexec_b32 s7, s39
	s_cbranch_execz .LBB15_111
; %bb.110:                              ;   in Loop: Header=BB15_4 Depth=1
	v_mul_f32_e32 v31, v30, v30
	s_delay_alu instid0(VALU_DEP_1) | instskip(NEXT) | instid1(VALU_DEP_1)
	v_mul_f32_e32 v32, v30, v31
	v_fmaak_f32 v33, s31, v32, 0x3a66f867
	v_fmaak_f32 v34, s33, v32, 0xba0d3085
	s_delay_alu instid0(VALU_DEP_2) | instskip(NEXT) | instid1(VALU_DEP_2)
	v_fmaak_f32 v33, v32, v33, 0xbb7177fe
	v_fmaak_f32 v34, v32, v34, 0x3b141699
	s_delay_alu instid0(VALU_DEP_2) | instskip(NEXT) | instid1(VALU_DEP_2)
	;; [unrolled: 3-line block ×3, first 2 shown]
	v_fmaak_f32 v33, v32, v33, 0xbe17213c
	v_fmaak_f32 v34, v32, v34, 0x3d845a15
	s_delay_alu instid0(VALU_DEP_1) | instskip(SKIP_1) | instid1(VALU_DEP_1)
	v_fmac_f32_e32 v33, v30, v34
	v_fmaak_f32 v35, s30, v32, 0xbab7f476
	v_fmaak_f32 v35, v32, v35, 0x3bc7e707
	s_delay_alu instid0(VALU_DEP_1) | instskip(NEXT) | instid1(VALU_DEP_1)
	v_fmaak_f32 v35, v32, v35, 0xbd064d47
	v_fmaak_f32 v30, v32, v35, 0x3ef7b95e
	v_fma_f32 v32, v32, -v33, 0xa2863e55
	s_delay_alu instid0(VALU_DEP_1) | instskip(NEXT) | instid1(VALU_DEP_1)
	v_fma_f32 v30, v31, v30, -v32
	v_add_f32_e32 v30, 0xbdf8cdce, v30
	s_delay_alu instid0(VALU_DEP_1)
	v_add_f32_e32 v28, v28, v30
.LBB15_111:                             ;   in Loop: Header=BB15_4 Depth=1
	s_or_b32 exec_lo, exec_lo, s7
                                        ; implicit-def: $vgpr31
                                        ; implicit-def: $vgpr30
.LBB15_112:                             ;   in Loop: Header=BB15_4 Depth=1
	s_and_not1_saveexec_b32 s8, s8
	s_cbranch_execz .LBB15_116
; %bb.113:                              ;   in Loop: Header=BB15_4 Depth=1
	s_mov_b32 s39, exec_lo
	v_cmpx_eq_u32_e32 0, v31
	s_cbranch_execz .LBB15_115
; %bb.114:                              ;   in Loop: Header=BB15_4 Depth=1
	v_mul_f32_e32 v31, v30, v30
	s_delay_alu instid0(VALU_DEP_1) | instskip(NEXT) | instid1(VALU_DEP_1)
	v_fmaak_f32 v33, s34, v31, 0x39679767
	v_fmaak_f32 v33, v31, v33, 0x3a9c54a1
	s_delay_alu instid0(VALU_DEP_1) | instskip(NEXT) | instid1(VALU_DEP_1)
	v_fmaak_f32 v33, v31, v33, 0x3bf2027e
	v_fmaak_f32 v33, v31, v33, 0x3d89f001
	s_delay_alu instid0(VALU_DEP_1) | instskip(SKIP_1) | instid1(VALU_DEP_1)
	v_fmaak_f32 v33, v31, v33, 0x3d9e233f
	v_fmaak_f32 v32, s35, v31, 0x38e28445
	;; [unrolled: 1-line block ×3, first 2 shown]
	s_delay_alu instid0(VALU_DEP_1) | instskip(NEXT) | instid1(VALU_DEP_1)
	v_fmaak_f32 v32, v31, v32, 0x3b3d6ec6
	v_fmaak_f32 v32, v31, v32, 0x3ca89915
	s_delay_alu instid0(VALU_DEP_1) | instskip(NEXT) | instid1(VALU_DEP_1)
	v_fmaak_f32 v32, v31, v32, 0x3ea51a66
	v_mul_f32_e32 v31, v31, v32
	s_delay_alu instid0(VALU_DEP_1) | instskip(NEXT) | instid1(VALU_DEP_1)
	v_fmac_f32_e32 v31, v30, v33
	v_fmac_f32_e32 v31, -0.5, v30
	s_delay_alu instid0(VALU_DEP_1)
	v_add_f32_e32 v28, v28, v31
.LBB15_115:                             ;   in Loop: Header=BB15_4 Depth=1
	s_or_b32 exec_lo, exec_lo, s39
.LBB15_116:                             ;   in Loop: Header=BB15_4 Depth=1
	s_delay_alu instid0(SALU_CYCLE_1)
	s_or_b32 exec_lo, exec_lo, s8
.LBB15_117:                             ;   in Loop: Header=BB15_4 Depth=1
	s_delay_alu instid0(SALU_CYCLE_1)
	s_or_b32 exec_lo, exec_lo, s10
.LBB15_118:                             ;   in Loop: Header=BB15_4 Depth=1
	s_and_not1_saveexec_b32 s8, s9
	s_cbranch_execz .LBB15_120
; %bb.119:                              ;   in Loop: Header=BB15_4 Depth=1
	v_cmp_gt_f32_e64 s9, 0x800000, |v22|
	v_fma_f32 v32, |v22|, s36, 0xbecd26ab
	s_delay_alu instid0(VALU_DEP_2) | instskip(NEXT) | instid1(VALU_DEP_1)
	v_cndmask_b32_e64 v28, 0, 32, s9
	v_ldexp_f32 v28, |v22|, v28
	s_delay_alu instid0(VALU_DEP_1) | instskip(SKIP_1) | instid1(TRANS32_DEP_1)
	v_log_f32_e32 v28, v28
	v_nop
	v_mul_f32_e32 v30, 0x3f317217, v28
	v_cmp_gt_f32_e64 s7, 0x7f800000, |v28|
	s_delay_alu instid0(VALU_DEP_2) | instskip(NEXT) | instid1(VALU_DEP_1)
	v_fma_f32 v31, 0x3f317217, v28, -v30
	v_fmac_f32_e32 v31, 0x3377d1cf, v28
	s_delay_alu instid0(VALU_DEP_1) | instskip(SKIP_1) | instid1(VALU_DEP_2)
	v_add_f32_e32 v30, v30, v31
	v_fma_f32 v31, |v22|, v32, 0x3f528d33
	v_cndmask_b32_e64 v28, v28, v30, s7
	v_cndmask_b32_e64 v30, 0, 0x41b17218, s9
	s_delay_alu instid0(VALU_DEP_3) | instskip(NEXT) | instid1(VALU_DEP_2)
	v_fma_f32 v31, |v22|, v31, 0xbf13c468
	v_sub_f32_e32 v28, v28, v30
	s_delay_alu instid0(VALU_DEP_1)
	v_fma_f32 v28, |v22|, v31, -v28
.LBB15_120:                             ;   in Loop: Header=BB15_4 Depth=1
	s_or_b32 exec_lo, exec_lo, s8
	v_cmp_le_f32_e64 s7, 0, v22
	s_mov_b32 s9, exec_lo
	v_cmpx_nle_f32_e32 0, v22
	s_xor_b32 s10, exec_lo, s9
	s_cbranch_execz .LBB15_124
; %bb.121:                              ;   in Loop: Header=BB15_4 Depth=1
	v_cmp_gt_f32_e64 s8, 0x4b000000, |v22|
	v_cmp_lt_f32_e64 s9, 0x35000000, |v22|
	s_and_b32 s8, s8, s9
	s_delay_alu instid0(SALU_CYCLE_1)
	s_and_saveexec_b32 s39, s8
	s_cbranch_execz .LBB15_123
; %bb.122:                              ;   in Loop: Header=BB15_4 Depth=1
	v_mul_f32_e64 v30, |v22|, 0.5
	s_delay_alu instid0(VALU_DEP_1) | instskip(SKIP_1) | instid1(VALU_DEP_2)
	v_floor_f32_e32 v31, v30
	v_cmp_neq_f32_e64 s8, 0x7f800000, v30
	v_sub_f32_e32 v31, v30, v31
	s_delay_alu instid0(VALU_DEP_1) | instskip(NEXT) | instid1(VALU_DEP_1)
	v_min_num_f32_e32 v31, 0x3f7fffff, v31
	v_add_f32_e32 v31, v31, v31
	s_delay_alu instid0(VALU_DEP_1) | instskip(SKIP_1) | instid1(VALU_DEP_1)
	v_cndmask_b32_e64 v30, 0, v31, s8
	v_cmp_gt_f32_e64 s8, |v22|, 1.0
	v_cndmask_b32_e64 v30, |v22|, v30, s8
	s_delay_alu instid0(VALU_DEP_1) | instskip(NEXT) | instid1(VALU_DEP_1)
	v_add_f32_e32 v31, v30, v30
	v_rndne_f32_e32 v31, v31
	s_delay_alu instid0(VALU_DEP_1) | instskip(SKIP_1) | instid1(VALU_DEP_2)
	v_fmac_f32_e32 v30, -0.5, v31
	v_cvt_i32_f32_e32 v31, v31
	v_mul_f32_e32 v32, v30, v30
	s_delay_alu instid0(VALU_DEP_1) | instskip(SKIP_1) | instid1(VALU_DEP_2)
	v_fmaak_f32 v33, s37, v32, 0xbf1f24be
	v_dual_fmaak_f32 v34, s38, v32, 0x3e642e9d :: v_dual_mul_f32 v35, v30, v32
	v_fmaak_f32 v33, v32, v33, 0x40234736
	s_delay_alu instid0(VALU_DEP_2) | instskip(NEXT) | instid1(VALU_DEP_2)
	v_fmaak_f32 v34, v32, v34, 0xbfaad1da
	v_fmaak_f32 v33, v32, v33, 0xc0a55e0e
	s_delay_alu instid0(VALU_DEP_1) | instskip(NEXT) | instid1(VALU_DEP_1)
	v_mul_f32_e32 v33, v35, v33
	v_fmac_f32_e32 v33, 0x40490fdb, v30
	v_dual_lshlrev_b32 v31, 30, v31 :: v_dual_bitop2_b32 v35, 1, v31 bitop3:0x40
	v_fmaak_f32 v34, v32, v34, 0x4081e0d3
	s_delay_alu instid0(VALU_DEP_2) | instskip(NEXT) | instid1(VALU_DEP_3)
	v_cmp_eq_u32_e64 s8, 0, v35
	v_and_or_b32 v29, 0x80000000, v31, v29
	s_delay_alu instid0(VALU_DEP_3) | instskip(NEXT) | instid1(VALU_DEP_1)
	v_fmaak_f32 v34, v32, v34, 0xc09de9e6
	v_fma_f32 v30, v32, v34, 1.0
	s_delay_alu instid0(VALU_DEP_1) | instskip(NEXT) | instid1(VALU_DEP_1)
	v_cndmask_b32_e64 v30, v30, v33, s8
	v_xor3_b32 v29, v29, v30, v22
	s_delay_alu instid0(VALU_DEP_1) | instskip(NEXT) | instid1(VALU_DEP_1)
	v_mul_f32_e32 v29, v22, v29
	v_frexp_mant_f32_e64 v30, |v29|
	v_frexp_exp_i32_f32_e32 v29, v29
	s_delay_alu instid0(VALU_DEP_2) | instskip(SKIP_1) | instid1(TRANS32_DEP_1)
	v_rcp_f32_e32 v30, v30
	v_nop
	v_dual_mul_f32 v30, 0x3f490fdb, v30 :: v_dual_sub_nc_u32 v29, 2, v29
	s_delay_alu instid0(VALU_DEP_1) | instskip(NEXT) | instid1(VALU_DEP_1)
	v_ldexp_f32 v29, v30, v29
	v_cmp_gt_f32_e64 s8, 0x800000, v29
	s_delay_alu instid0(VALU_DEP_1) | instskip(NEXT) | instid1(VALU_DEP_1)
	v_cndmask_b32_e64 v30, 0, 32, s8
	v_ldexp_f32 v29, v29, v30
	s_delay_alu instid0(VALU_DEP_1) | instskip(SKIP_1) | instid1(TRANS32_DEP_1)
	v_log_f32_e32 v29, v29
	v_nop
	v_mul_f32_e32 v30, 0x3f317217, v29
	v_cmp_gt_f32_e64 s9, 0x7f800000, |v29|
	s_delay_alu instid0(VALU_DEP_2) | instskip(NEXT) | instid1(VALU_DEP_1)
	v_fma_f32 v31, 0x3f317217, v29, -v30
	v_fmac_f32_e32 v31, 0x3377d1cf, v29
	s_delay_alu instid0(VALU_DEP_1) | instskip(SKIP_1) | instid1(VALU_DEP_2)
	v_add_f32_e32 v30, v30, v31
	v_floor_f32_e32 v31, v22
	v_cndmask_b32_e64 v29, v29, v30, s9
	v_cndmask_b32_e64 v30, 0, 0x41b17218, s8
	s_delay_alu instid0(VALU_DEP_1) | instskip(NEXT) | instid1(VALU_DEP_1)
	v_dual_sub_f32 v31, v22, v31 :: v_dual_sub_f32 v29, v29, v30
	v_min_num_f32_e32 v30, 0x3f7fffff, v31
	s_delay_alu instid0(VALU_DEP_2) | instskip(NEXT) | instid1(VALU_DEP_2)
	v_sub_f32_e32 v28, v29, v28
	v_cmp_neq_f32_e64 s8, 0, v30
	s_delay_alu instid0(VALU_DEP_1)
	v_cndmask_b32_e64 v28, 0x7f800000, v28, s8
.LBB15_123:                             ;   in Loop: Header=BB15_4 Depth=1
	s_or_b32 exec_lo, exec_lo, s39
.LBB15_124:                             ;   in Loop: Header=BB15_4 Depth=1
	s_and_not1_saveexec_b32 s10, s10
; %bb.125:                              ;   in Loop: Header=BB15_4 Depth=1
	v_cmp_eq_f32_e64 s8, 1.0, v22
	v_cmp_eq_f32_e64 s9, 2.0, v22
	s_or_b32 s8, s8, s9
	s_delay_alu instid0(SALU_CYCLE_1)
	v_cndmask_b32_e64 v28, v28, 0, s8
; %bb.126:                              ;   in Loop: Header=BB15_4 Depth=1
	s_or_b32 exec_lo, exec_lo, s10
	v_and_b32_e32 v29, 0x7fffffff, v23
                                        ; implicit-def: $vgpr30
	s_mov_b32 s9, exec_lo
	v_cmpx_ngt_f32_e64 0x3c800000, |v23|
	s_xor_b32 s10, exec_lo, s9
	s_cbranch_execz .LBB15_156
; %bb.127:                              ;   in Loop: Header=BB15_4 Depth=1
                                        ; implicit-def: $vgpr30
	s_mov_b32 s9, exec_lo
	v_cmpx_nlt_f32_e64 |v23|, 2.0
	s_xor_b32 s39, exec_lo, s9
	s_cbranch_execz .LBB15_137
; %bb.128:                              ;   in Loop: Header=BB15_4 Depth=1
	s_mov_b32 s9, exec_lo
                                        ; implicit-def: $vgpr30
	v_cmpx_ngt_f32_e64 0x41000000, |v23|
	s_xor_b32 s9, exec_lo, s9
	s_cbranch_execz .LBB15_134
; %bb.129:                              ;   in Loop: Header=BB15_4 Depth=1
	s_mov_b32 s40, exec_lo
                                        ; implicit-def: $vgpr30
	v_cmpx_ngt_f32_e64 0x5c800000, |v23|
	s_xor_b32 s40, exec_lo, s40
	s_cbranch_execz .LBB15_131
; %bb.130:                              ;   in Loop: Header=BB15_4 Depth=1
	v_cmp_gt_f32_e64 s41, 0x800000, |v23|
	s_delay_alu instid0(VALU_DEP_1) | instskip(NEXT) | instid1(VALU_DEP_1)
	v_cndmask_b32_e64 v30, 0, 32, s41
	v_ldexp_f32 v30, |v23|, v30
	s_delay_alu instid0(VALU_DEP_1) | instskip(SKIP_1) | instid1(TRANS32_DEP_1)
	v_log_f32_e32 v30, v30
	v_nop
	v_mul_f32_e32 v31, 0x3f317217, v30
	v_cmp_gt_f32_e64 s8, 0x7f800000, |v30|
	s_delay_alu instid0(VALU_DEP_2) | instskip(NEXT) | instid1(VALU_DEP_1)
	v_fma_f32 v32, 0x3f317217, v30, -v31
	v_fmac_f32_e32 v32, 0x3377d1cf, v30
	s_delay_alu instid0(VALU_DEP_1) | instskip(NEXT) | instid1(VALU_DEP_1)
	v_add_f32_e32 v31, v31, v32
	v_cndmask_b32_e64 v30, v30, v31, s8
	v_cndmask_b32_e64 v31, 0, 0x41b17218, s41
	s_delay_alu instid0(VALU_DEP_1) | instskip(NEXT) | instid1(VALU_DEP_1)
	v_sub_f32_e32 v30, v30, v31
	v_fma_f32 v30, |v23|, v30, -|v23|
.LBB15_131:                             ;   in Loop: Header=BB15_4 Depth=1
	s_and_not1_saveexec_b32 s40, s40
	s_cbranch_execz .LBB15_133
; %bb.132:                              ;   in Loop: Header=BB15_4 Depth=1
	v_cmp_gt_f32_e64 s41, 0x800000, |v23|
	v_rcp_f32_e64 v31, |v23|
	s_delay_alu instid0(VALU_DEP_1) | instskip(NEXT) | instid1(VALU_DEP_1)
	v_cndmask_b32_e64 v30, 0, 32, s41
	v_ldexp_f32 v30, |v23|, v30
	s_delay_alu instid0(VALU_DEP_1) | instskip(SKIP_1) | instid1(TRANS32_DEP_1)
	v_log_f32_e32 v30, v30
	v_nop
	v_dual_mul_f32 v32, v31, v31 :: v_dual_mul_f32 v33, 0x3f317217, v30
	v_cmp_gt_f32_e64 s8, 0x7f800000, |v30|
	s_delay_alu instid0(VALU_DEP_2) | instskip(NEXT) | instid1(VALU_DEP_1)
	v_fma_f32 v35, 0x3f317217, v30, -v33
	v_fmac_f32_e32 v35, 0x3377d1cf, v30
	s_delay_alu instid0(VALU_DEP_1) | instskip(NEXT) | instid1(VALU_DEP_1)
	v_dual_fmaak_f32 v34, s11, v32, 0x3a5b3dd2 :: v_dual_add_f32 v33, v33, v35
	v_cndmask_b32_e64 v30, v30, v33, s8
	v_cndmask_b32_e64 v33, 0, 0x41b17218, s41
	s_delay_alu instid0(VALU_DEP_1) | instskip(NEXT) | instid1(VALU_DEP_1)
	v_dual_fmaak_f32 v34, v32, v34, 0xba1c065c :: v_dual_sub_f32 v33, v30, v33
	v_fmaak_f32 v34, v32, v34, 0x3a500cfd
	s_delay_alu instid0(VALU_DEP_1) | instskip(NEXT) | instid1(VALU_DEP_1)
	v_fmaak_f32 v34, v32, v34, 0xbb360b61
	v_fmaak_f32 v32, v32, v34, 0x3daaaaab
	s_delay_alu instid0(VALU_DEP_1) | instskip(SKIP_2) | instid1(VALU_DEP_1)
	v_fmaak_f32 v30, v31, v32, 0x3ed67f1d
	v_add_f32_e64 v31, |v23|, -0.5
	v_add_f32_e32 v32, -1.0, v33
	v_fmac_f32_e32 v30, v31, v32
.LBB15_133:                             ;   in Loop: Header=BB15_4 Depth=1
	s_or_b32 exec_lo, exec_lo, s40
.LBB15_134:                             ;   in Loop: Header=BB15_4 Depth=1
	s_and_not1_saveexec_b32 s40, s9
	s_cbranch_execz .LBB15_136
; %bb.135:                              ;   in Loop: Header=BB15_4 Depth=1
	v_cvt_i32_f32_e32 v31, v29
	s_delay_alu instid0(VALU_DEP_1) | instskip(SKIP_1) | instid1(VALU_DEP_2)
	v_cvt_f32_i32_e32 v30, v31
	v_cmp_lt_i32_e64 s8, 3, v31
	v_sub_f32_e64 v30, |v23|, v30
	s_delay_alu instid0(VALU_DEP_1) | instskip(NEXT) | instid1(VALU_DEP_1)
	v_pk_add_f32 v[32:33], v[30:31], v[16:17] op_sel_hi:[0,1]
	v_dual_add_f32 v34, 4.0, v30 :: v_dual_cndmask_b32 v33, 1.0, v33, s8
	v_cmp_lt_i32_e64 s8, 2, v31
	s_delay_alu instid0(VALU_DEP_1) | instskip(SKIP_1) | instid1(VALU_DEP_1)
	v_cndmask_b32_e64 v32, 1.0, v32, s8
	v_cmp_lt_i32_e64 s8, 4, v31
	v_cndmask_b32_e64 v34, 1.0, v34, s8
	s_delay_alu instid0(VALU_DEP_3) | instskip(SKIP_1) | instid1(VALU_DEP_2)
	v_dual_add_f32 v35, 0x40a00000, v30 :: v_dual_mul_f32 v32, v32, v33
	v_cmp_lt_i32_e64 s8, 5, v31
	v_dual_add_f32 v33, 0x40c00000, v30 :: v_dual_mul_f32 v32, v34, v32
	s_delay_alu instid0(VALU_DEP_2) | instskip(SKIP_2) | instid1(VALU_DEP_2)
	v_cndmask_b32_e64 v35, 1.0, v35, s8
	v_cmp_lt_i32_e64 s8, 6, v31
	v_fmaak_f32 v34, s26, v30, 0x3af135b4
	v_dual_cndmask_b32 v31, 1.0, v33, s8 :: v_dual_mul_f32 v32, v35, v32
	s_delay_alu instid0(VALU_DEP_1) | instskip(NEXT) | instid1(VALU_DEP_1)
	v_dual_mul_f32 v31, v31, v32 :: v_dual_fmaak_f32 v32, s27, v30, 0x3a4beed6
	v_cmp_gt_f32_e64 s8, 0x800000, v31
	s_delay_alu instid0(VALU_DEP_2) | instskip(NEXT) | instid1(VALU_DEP_2)
	v_fmaak_f32 v32, v30, v32, 0x3c98bf54
	v_cndmask_b32_e64 v33, 0, 32, s8
	s_delay_alu instid0(VALU_DEP_2) | instskip(NEXT) | instid1(VALU_DEP_2)
	v_fmaak_f32 v32, v30, v32, 0x3e300f6e
	v_ldexp_f32 v31, v31, v33
	v_fmaak_f32 v33, v30, v34, 0x3cda40e4
	s_delay_alu instid0(VALU_DEP_3) | instskip(NEXT) | instid1(VALU_DEP_3)
	v_fmaak_f32 v32, v30, v32, 0x3f38d0c5
	v_log_f32_e32 v31, v31
	s_delay_alu instid0(VALU_DEP_2) | instskip(NEXT) | instid1(VALU_DEP_2)
	v_fmaak_f32 v33, v30, v33, 0x3e15dce6
	v_fmaak_f32 v32, v30, v32, 0x3fb22d3b
	s_delay_alu instid0(VALU_DEP_2) | instskip(NEXT) | instid1(TRANS32_DEP_1)
	v_fmaak_f32 v33, v30, v33, 0x3ea6cc7a
	v_mul_f32_e32 v34, 0x3f317217, v31
	s_delay_alu instid0(VALU_DEP_3) | instskip(SKIP_1) | instid1(VALU_DEP_4)
	v_fma_f32 v32, v30, v32, 1.0
	v_cmp_gt_f32_e64 s9, 0x7f800000, |v31|
	v_fmaak_f32 v33, v30, v33, 0x3e5c245a
	s_delay_alu instid0(VALU_DEP_4) | instskip(NEXT) | instid1(VALU_DEP_4)
	v_fma_f32 v35, 0x3f317217, v31, -v34
	v_rcp_f32_e32 v32, v32
	s_delay_alu instid0(VALU_DEP_2) | instskip(NEXT) | instid1(VALU_DEP_1)
	v_fmaak_f32 v33, v30, v33, 0xbd9e233f
	v_mul_f32_e32 v33, v30, v33
	s_delay_alu instid0(TRANS32_DEP_1) | instid1(VALU_DEP_1)
	v_dual_fmac_f32 v35, 0x3377d1cf, v31 :: v_dual_mul_f32 v32, v33, v32
	v_cndmask_b32_e64 v33, 0, 0x41b17218, s8
	s_delay_alu instid0(VALU_DEP_2) | instskip(NEXT) | instid1(VALU_DEP_1)
	v_dual_add_f32 v34, v34, v35 :: v_dual_fmac_f32 v32, 0.5, v30
	v_cndmask_b32_e64 v31, v31, v34, s9
	s_delay_alu instid0(VALU_DEP_1) | instskip(NEXT) | instid1(VALU_DEP_1)
	v_sub_f32_e32 v30, v31, v33
	v_add_f32_e32 v30, v30, v32
.LBB15_136:                             ;   in Loop: Header=BB15_4 Depth=1
	s_or_b32 exec_lo, exec_lo, s40
.LBB15_137:                             ;   in Loop: Header=BB15_4 Depth=1
	s_and_not1_saveexec_b32 s39, s39
	s_cbranch_execz .LBB15_155
; %bb.138:                              ;   in Loop: Header=BB15_4 Depth=1
                                        ; implicit-def: $vgpr30
                                        ; implicit-def: $vgpr32
                                        ; implicit-def: $vgpr31
	s_mov_b32 s9, exec_lo
	v_cmpx_ge_f32_e64 0x3f666666, |v23|
	s_xor_b32 s40, exec_lo, s9
	s_cbranch_execz .LBB15_140
; %bb.139:                              ;   in Loop: Header=BB15_4 Depth=1
	v_cmp_gt_f32_e64 s9, 0x800000, |v23|
	v_sub_f32_e64 v33, 1.0, |v23|
	v_cmp_gt_f32_e64 s8, 0x3f3b4a23, |v23|
	s_delay_alu instid0(VALU_DEP_3) | instskip(SKIP_1) | instid1(VALU_DEP_2)
	v_cndmask_b32_e64 v30, 0, 32, s9
	v_cndmask_b32_e64 v34, 0, 0x41b17218, s9
	v_ldexp_f32 v30, |v23|, v30
	s_delay_alu instid0(VALU_DEP_1) | instskip(SKIP_1) | instid1(TRANS32_DEP_1)
	v_log_f32_e32 v30, v30
	v_nop
	v_mul_f32_e32 v31, 0x3f317217, v30
	v_cmp_gt_f32_e64 s9, 0x7f800000, |v30|
	s_delay_alu instid0(VALU_DEP_2) | instskip(NEXT) | instid1(VALU_DEP_1)
	v_fma_f32 v32, 0x3f317217, v30, -v31
	v_fmac_f32_e32 v32, 0x3377d1cf, v30
	s_delay_alu instid0(VALU_DEP_1) | instskip(SKIP_1) | instid1(VALU_DEP_1)
	v_add_f32_e32 v31, v31, v32
	v_add_f32_e64 v32, 0xbeec5b0c, |v23|
	v_dual_cndmask_b32 v30, v30, v31, s9 :: v_dual_cndmask_b32 v31, v33, v32, s8
	v_cndmask_b32_e64 v32, 0, 1, s8
	v_cmp_gt_f32_e64 s8, 0x3e6d3309, |v23|
	s_delay_alu instid0(VALU_DEP_3) | instskip(NEXT) | instid1(VALU_DEP_2)
	v_sub_f32_e32 v30, v30, v34
	v_cndmask_b32_e64 v31, v31, |v23|, s8
	s_delay_alu instid0(VALU_DEP_4) | instskip(NEXT) | instid1(VALU_DEP_3)
	v_cndmask_b32_e64 v32, v32, 2, s8
	v_xor_b32_e32 v30, 0x80000000, v30
.LBB15_140:                             ;   in Loop: Header=BB15_4 Depth=1
	s_and_not1_saveexec_b32 s9, s40
	s_cbranch_execz .LBB15_142
; %bb.141:                              ;   in Loop: Header=BB15_4 Depth=1
	v_sub_f32_e64 v30, 2.0, |v23|
	v_add_f32_e64 v31, 0xbfbb16c3, |v23|
	v_cmp_gt_f32_e64 s8, 0x3fdda512, |v23|
	v_add_f32_e64 v32, |v23|, -1.0
	s_delay_alu instid0(VALU_DEP_2) | instskip(SKIP_2) | instid1(VALU_DEP_2)
	v_cndmask_b32_e64 v31, v30, v31, s8
	v_cndmask_b32_e64 v30, v30, 1.0, s8
	v_cmp_gt_f32_e64 s8, 0x3f9d70a4, |v23|
	v_cvt_i32_f32_e32 v30, v30
	s_delay_alu instid0(VALU_DEP_2) | instskip(NEXT) | instid1(VALU_DEP_2)
	v_cndmask_b32_e64 v31, v31, v32, s8
	v_cndmask_b32_e64 v32, v30, 2, s8
	v_mov_b32_e32 v30, 0
.LBB15_142:                             ;   in Loop: Header=BB15_4 Depth=1
	s_or_b32 exec_lo, exec_lo, s9
	s_delay_alu instid0(SALU_CYCLE_1) | instskip(NEXT) | instid1(VALU_DEP_2)
	s_mov_b32 s9, exec_lo
	v_cmpx_lt_i32_e32 0, v32
	s_xor_b32 s9, exec_lo, s9
	s_cbranch_execz .LBB15_150
; %bb.143:                              ;   in Loop: Header=BB15_4 Depth=1
	s_mov_b32 s40, exec_lo
	v_cmpx_lt_i32_e32 1, v32
	s_xor_b32 s40, exec_lo, s40
	s_cbranch_execz .LBB15_147
; %bb.144:                              ;   in Loop: Header=BB15_4 Depth=1
	s_mov_b32 s41, exec_lo
	v_cmpx_eq_u32_e32 2, v32
	s_cbranch_execz .LBB15_146
; %bb.145:                              ;   in Loop: Header=BB15_4 Depth=1
	v_fmaak_f32 v33, s28, v31, 0x3e6a7578
	s_delay_alu instid0(VALU_DEP_1) | instskip(NEXT) | instid1(VALU_DEP_1)
	v_fmaak_f32 v33, v31, v33, 0x3f7a4bb2
	v_fmaak_f32 v33, v31, v33, 0x3fba3ae7
	s_delay_alu instid0(VALU_DEP_1) | instskip(NEXT) | instid1(VALU_DEP_1)
	v_fmaak_f32 v33, v31, v33, 0x3f2200f4
	v_fmaak_f32 v33, v31, v33, 0xbd9e233f
	s_delay_alu instid0(VALU_DEP_1) | instskip(NEXT) | instid1(VALU_DEP_1)
	v_dual_fmaak_f32 v32, s29, v31, 0x3dd572af :: v_dual_mul_f32 v33, v31, v33
	v_fmaak_f32 v32, v31, v32, 0x3f44efdf
	s_delay_alu instid0(VALU_DEP_1) | instskip(NEXT) | instid1(VALU_DEP_1)
	v_fmaak_f32 v32, v31, v32, 0x4008392d
	v_fmaak_f32 v32, v31, v32, 0x401d2ebe
	s_delay_alu instid0(VALU_DEP_1) | instskip(NEXT) | instid1(VALU_DEP_1)
	v_fma_f32 v32, v31, v32, 1.0
	v_rcp_f32_e32 v32, v32
	v_nop
	s_delay_alu instid0(TRANS32_DEP_1) | instskip(NEXT) | instid1(VALU_DEP_1)
	v_mul_f32_e32 v32, v33, v32
	v_fmac_f32_e32 v32, -0.5, v31
	s_delay_alu instid0(VALU_DEP_1)
	v_add_f32_e32 v30, v30, v32
.LBB15_146:                             ;   in Loop: Header=BB15_4 Depth=1
	s_or_b32 exec_lo, exec_lo, s41
                                        ; implicit-def: $vgpr31
.LBB15_147:                             ;   in Loop: Header=BB15_4 Depth=1
	s_and_not1_saveexec_b32 s8, s40
	s_cbranch_execz .LBB15_149
; %bb.148:                              ;   in Loop: Header=BB15_4 Depth=1
	v_mul_f32_e32 v32, v31, v31
	s_delay_alu instid0(VALU_DEP_1) | instskip(NEXT) | instid1(VALU_DEP_1)
	v_mul_f32_e32 v33, v31, v32
	v_fmaak_f32 v34, s31, v33, 0x3a66f867
	v_fmaak_f32 v35, s33, v33, 0xba0d3085
	s_delay_alu instid0(VALU_DEP_2) | instskip(NEXT) | instid1(VALU_DEP_2)
	v_fmaak_f32 v34, v33, v34, 0xbb7177fe
	v_fmaak_f32 v35, v33, v35, 0x3b141699
	s_delay_alu instid0(VALU_DEP_2) | instskip(NEXT) | instid1(VALU_DEP_2)
	;; [unrolled: 3-line block ×3, first 2 shown]
	v_fmaak_f32 v34, v33, v34, 0xbe17213c
	v_fmaak_f32 v35, v33, v35, 0x3d845a15
	s_delay_alu instid0(VALU_DEP_1) | instskip(SKIP_1) | instid1(VALU_DEP_1)
	v_fmac_f32_e32 v34, v31, v35
	v_fmaak_f32 v36, s30, v33, 0xbab7f476
	v_fmaak_f32 v36, v33, v36, 0x3bc7e707
	s_delay_alu instid0(VALU_DEP_1) | instskip(NEXT) | instid1(VALU_DEP_1)
	v_fmaak_f32 v36, v33, v36, 0xbd064d47
	v_fmaak_f32 v31, v33, v36, 0x3ef7b95e
	v_fma_f32 v33, v33, -v34, 0xa2863e55
	s_delay_alu instid0(VALU_DEP_1) | instskip(NEXT) | instid1(VALU_DEP_1)
	v_fma_f32 v31, v32, v31, -v33
	v_add_f32_e32 v31, 0xbdf8cdce, v31
	s_delay_alu instid0(VALU_DEP_1)
	v_add_f32_e32 v30, v30, v31
.LBB15_149:                             ;   in Loop: Header=BB15_4 Depth=1
	s_or_b32 exec_lo, exec_lo, s8
                                        ; implicit-def: $vgpr32
                                        ; implicit-def: $vgpr31
.LBB15_150:                             ;   in Loop: Header=BB15_4 Depth=1
	s_and_not1_saveexec_b32 s9, s9
	s_cbranch_execz .LBB15_154
; %bb.151:                              ;   in Loop: Header=BB15_4 Depth=1
	s_mov_b32 s40, exec_lo
	v_cmpx_eq_u32_e32 0, v32
	s_cbranch_execz .LBB15_153
; %bb.152:                              ;   in Loop: Header=BB15_4 Depth=1
	v_mul_f32_e32 v32, v31, v31
	s_delay_alu instid0(VALU_DEP_1) | instskip(NEXT) | instid1(VALU_DEP_1)
	v_fmaak_f32 v34, s34, v32, 0x39679767
	v_fmaak_f32 v34, v32, v34, 0x3a9c54a1
	s_delay_alu instid0(VALU_DEP_1) | instskip(NEXT) | instid1(VALU_DEP_1)
	v_fmaak_f32 v34, v32, v34, 0x3bf2027e
	v_fmaak_f32 v34, v32, v34, 0x3d89f001
	s_delay_alu instid0(VALU_DEP_1) | instskip(SKIP_1) | instid1(VALU_DEP_1)
	v_fmaak_f32 v34, v32, v34, 0x3d9e233f
	v_fmaak_f32 v33, s35, v32, 0x38e28445
	;; [unrolled: 1-line block ×3, first 2 shown]
	s_delay_alu instid0(VALU_DEP_1) | instskip(NEXT) | instid1(VALU_DEP_1)
	v_fmaak_f32 v33, v32, v33, 0x3b3d6ec6
	v_fmaak_f32 v33, v32, v33, 0x3ca89915
	s_delay_alu instid0(VALU_DEP_1) | instskip(NEXT) | instid1(VALU_DEP_1)
	v_fmaak_f32 v33, v32, v33, 0x3ea51a66
	v_mul_f32_e32 v32, v32, v33
	s_delay_alu instid0(VALU_DEP_1) | instskip(NEXT) | instid1(VALU_DEP_1)
	v_fmac_f32_e32 v32, v31, v34
	v_fmac_f32_e32 v32, -0.5, v31
	s_delay_alu instid0(VALU_DEP_1)
	v_add_f32_e32 v30, v30, v32
.LBB15_153:                             ;   in Loop: Header=BB15_4 Depth=1
	s_or_b32 exec_lo, exec_lo, s40
.LBB15_154:                             ;   in Loop: Header=BB15_4 Depth=1
	s_delay_alu instid0(SALU_CYCLE_1)
	s_or_b32 exec_lo, exec_lo, s9
.LBB15_155:                             ;   in Loop: Header=BB15_4 Depth=1
	s_delay_alu instid0(SALU_CYCLE_1)
	s_or_b32 exec_lo, exec_lo, s39
.LBB15_156:                             ;   in Loop: Header=BB15_4 Depth=1
	s_and_not1_saveexec_b32 s9, s10
	s_cbranch_execz .LBB15_158
; %bb.157:                              ;   in Loop: Header=BB15_4 Depth=1
	v_cmp_gt_f32_e64 s10, 0x800000, |v23|
	v_fma_f32 v33, |v23|, s36, 0xbecd26ab
	s_delay_alu instid0(VALU_DEP_2) | instskip(NEXT) | instid1(VALU_DEP_1)
	v_cndmask_b32_e64 v30, 0, 32, s10
	v_ldexp_f32 v30, |v23|, v30
	s_delay_alu instid0(VALU_DEP_1) | instskip(SKIP_1) | instid1(TRANS32_DEP_1)
	v_log_f32_e32 v30, v30
	v_nop
	v_mul_f32_e32 v31, 0x3f317217, v30
	v_cmp_gt_f32_e64 s8, 0x7f800000, |v30|
	s_delay_alu instid0(VALU_DEP_2) | instskip(NEXT) | instid1(VALU_DEP_1)
	v_fma_f32 v32, 0x3f317217, v30, -v31
	v_fmac_f32_e32 v32, 0x3377d1cf, v30
	s_delay_alu instid0(VALU_DEP_1) | instskip(SKIP_1) | instid1(VALU_DEP_2)
	v_add_f32_e32 v31, v31, v32
	v_fma_f32 v32, |v23|, v33, 0x3f528d33
	v_cndmask_b32_e64 v30, v30, v31, s8
	v_cndmask_b32_e64 v31, 0, 0x41b17218, s10
	s_delay_alu instid0(VALU_DEP_3) | instskip(NEXT) | instid1(VALU_DEP_2)
	v_fma_f32 v32, |v23|, v32, 0xbf13c468
	v_sub_f32_e32 v30, v30, v31
	s_delay_alu instid0(VALU_DEP_1)
	v_fma_f32 v30, |v23|, v32, -v30
.LBB15_158:                             ;   in Loop: Header=BB15_4 Depth=1
	s_or_b32 exec_lo, exec_lo, s9
	v_cmp_le_f32_e64 s8, 0, v23
	s_mov_b32 s10, exec_lo
	v_cmpx_nle_f32_e32 0, v23
	s_xor_b32 s39, exec_lo, s10
	s_cbranch_execnz .LBB15_164
; %bb.159:                              ;   in Loop: Header=BB15_4 Depth=1
	s_and_not1_saveexec_b32 s39, s39
	s_cbranch_execnz .LBB15_167
.LBB15_160:                             ;   in Loop: Header=BB15_4 Depth=1
	s_or_b32 exec_lo, exec_lo, s39
	s_and_saveexec_b32 s9, s4
	s_delay_alu instid0(SALU_CYCLE_1)
	s_xor_b32 s9, exec_lo, s9
	s_cbranch_execnz .LBB15_168
.LBB15_161:                             ;   in Loop: Header=BB15_4 Depth=1
	s_or_b32 exec_lo, exec_lo, s9
	s_and_saveexec_b32 s4, s3
	s_cbranch_execnz .LBB15_169
.LBB15_162:                             ;   in Loop: Header=BB15_4 Depth=1
	s_or_b32 exec_lo, exec_lo, s4
	s_and_saveexec_b32 s3, s2
	s_cbranch_execnz .LBB15_170
.LBB15_163:                             ;   in Loop: Header=BB15_4 Depth=1
	s_or_b32 exec_lo, exec_lo, s3
	s_and_saveexec_b32 s2, vcc_lo
	s_cbranch_execz .LBB15_3
	s_branch .LBB15_171
.LBB15_164:                             ;   in Loop: Header=BB15_4 Depth=1
	v_cmp_gt_f32_e64 s9, 0x4b000000, |v23|
	v_cmp_lt_f32_e64 s10, 0x35000000, |v23|
	s_and_b32 s9, s9, s10
	s_delay_alu instid0(SALU_CYCLE_1)
	s_and_saveexec_b32 s40, s9
	s_cbranch_execz .LBB15_166
; %bb.165:                              ;   in Loop: Header=BB15_4 Depth=1
	v_mul_f32_e64 v31, |v23|, 0.5
	s_delay_alu instid0(VALU_DEP_1) | instskip(SKIP_1) | instid1(VALU_DEP_2)
	v_floor_f32_e32 v32, v31
	v_cmp_neq_f32_e64 s9, 0x7f800000, v31
	v_sub_f32_e32 v32, v31, v32
	s_delay_alu instid0(VALU_DEP_1) | instskip(NEXT) | instid1(VALU_DEP_1)
	v_min_num_f32_e32 v32, 0x3f7fffff, v32
	v_add_f32_e32 v32, v32, v32
	s_delay_alu instid0(VALU_DEP_1) | instskip(SKIP_1) | instid1(VALU_DEP_1)
	v_cndmask_b32_e64 v31, 0, v32, s9
	v_cmp_gt_f32_e64 s9, |v23|, 1.0
	v_cndmask_b32_e64 v31, |v23|, v31, s9
	s_delay_alu instid0(VALU_DEP_1) | instskip(NEXT) | instid1(VALU_DEP_1)
	v_add_f32_e32 v32, v31, v31
	v_rndne_f32_e32 v32, v32
	s_delay_alu instid0(VALU_DEP_1) | instskip(SKIP_1) | instid1(VALU_DEP_2)
	v_fmac_f32_e32 v31, -0.5, v32
	v_cvt_i32_f32_e32 v32, v32
	v_mul_f32_e32 v33, v31, v31
	s_delay_alu instid0(VALU_DEP_1) | instskip(SKIP_1) | instid1(VALU_DEP_2)
	v_fmaak_f32 v34, s37, v33, 0xbf1f24be
	v_dual_fmaak_f32 v35, s38, v33, 0x3e642e9d :: v_dual_mul_f32 v36, v31, v33
	v_fmaak_f32 v34, v33, v34, 0x40234736
	s_delay_alu instid0(VALU_DEP_2) | instskip(NEXT) | instid1(VALU_DEP_2)
	v_fmaak_f32 v35, v33, v35, 0xbfaad1da
	v_fmaak_f32 v34, v33, v34, 0xc0a55e0e
	s_delay_alu instid0(VALU_DEP_1) | instskip(NEXT) | instid1(VALU_DEP_1)
	v_mul_f32_e32 v34, v36, v34
	v_fmac_f32_e32 v34, 0x40490fdb, v31
	v_dual_lshlrev_b32 v32, 30, v32 :: v_dual_bitop2_b32 v36, 1, v32 bitop3:0x40
	v_fmaak_f32 v35, v33, v35, 0x4081e0d3
	s_delay_alu instid0(VALU_DEP_2) | instskip(NEXT) | instid1(VALU_DEP_3)
	v_cmp_eq_u32_e64 s9, 0, v36
	v_and_or_b32 v29, 0x80000000, v32, v29
	s_delay_alu instid0(VALU_DEP_3) | instskip(NEXT) | instid1(VALU_DEP_1)
	v_fmaak_f32 v35, v33, v35, 0xc09de9e6
	v_fma_f32 v31, v33, v35, 1.0
	s_delay_alu instid0(VALU_DEP_1) | instskip(NEXT) | instid1(VALU_DEP_1)
	v_cndmask_b32_e64 v31, v31, v34, s9
	v_xor3_b32 v29, v29, v31, v23
	s_delay_alu instid0(VALU_DEP_1) | instskip(NEXT) | instid1(VALU_DEP_1)
	v_mul_f32_e32 v29, v23, v29
	v_frexp_mant_f32_e64 v31, |v29|
	v_frexp_exp_i32_f32_e32 v29, v29
	s_delay_alu instid0(VALU_DEP_2) | instskip(NEXT) | instid1(VALU_DEP_1)
	v_rcp_f32_e32 v31, v31
	v_sub_nc_u32_e32 v29, 2, v29
	s_delay_alu instid0(TRANS32_DEP_1) | instskip(NEXT) | instid1(VALU_DEP_1)
	v_mul_f32_e32 v31, 0x3f490fdb, v31
	v_ldexp_f32 v29, v31, v29
	s_delay_alu instid0(VALU_DEP_1) | instskip(NEXT) | instid1(VALU_DEP_1)
	v_cmp_gt_f32_e64 s9, 0x800000, v29
	v_cndmask_b32_e64 v31, 0, 32, s9
	s_delay_alu instid0(VALU_DEP_1) | instskip(NEXT) | instid1(VALU_DEP_1)
	v_ldexp_f32 v29, v29, v31
	v_log_f32_e32 v29, v29
	v_nop
	s_delay_alu instid0(TRANS32_DEP_1) | instskip(SKIP_1) | instid1(VALU_DEP_2)
	v_mul_f32_e32 v31, 0x3f317217, v29
	v_cmp_gt_f32_e64 s10, 0x7f800000, |v29|
	v_fma_f32 v32, 0x3f317217, v29, -v31
	s_delay_alu instid0(VALU_DEP_1) | instskip(NEXT) | instid1(VALU_DEP_1)
	v_fmac_f32_e32 v32, 0x3377d1cf, v29
	v_add_f32_e32 v31, v31, v32
	v_floor_f32_e32 v32, v23
	s_delay_alu instid0(VALU_DEP_2) | instskip(SKIP_1) | instid1(VALU_DEP_1)
	v_cndmask_b32_e64 v29, v29, v31, s10
	v_cndmask_b32_e64 v31, 0, 0x41b17218, s9
	v_dual_sub_f32 v32, v23, v32 :: v_dual_sub_f32 v29, v29, v31
	s_delay_alu instid0(VALU_DEP_1) | instskip(NEXT) | instid1(VALU_DEP_2)
	v_min_num_f32_e32 v31, 0x3f7fffff, v32
	v_sub_f32_e32 v29, v29, v30
	s_delay_alu instid0(VALU_DEP_2) | instskip(NEXT) | instid1(VALU_DEP_1)
	v_cmp_neq_f32_e64 s9, 0, v31
	v_cndmask_b32_e64 v30, 0x7f800000, v29, s9
.LBB15_166:                             ;   in Loop: Header=BB15_4 Depth=1
	s_or_b32 exec_lo, exec_lo, s40
	s_and_not1_saveexec_b32 s39, s39
	s_cbranch_execz .LBB15_160
.LBB15_167:                             ;   in Loop: Header=BB15_4 Depth=1
	v_cmp_eq_f32_e64 s9, 1.0, v23
	v_cmp_eq_f32_e64 s10, 2.0, v23
	s_or_b32 s9, s9, s10
	s_delay_alu instid0(SALU_CYCLE_1) | instskip(SKIP_2) | instid1(SALU_CYCLE_1)
	v_cndmask_b32_e64 v30, v30, 0, s9
	s_or_b32 exec_lo, exec_lo, s39
	s_and_saveexec_b32 s9, s4
	s_xor_b32 s9, exec_lo, s9
	s_cbranch_execz .LBB15_161
.LBB15_168:                             ;   in Loop: Header=BB15_4 Depth=1
	v_cmp_gt_f32_e64 s4, 0x4b000000, |v25|
	s_or_b32 s4, s5, s4
	s_delay_alu instid0(SALU_CYCLE_1) | instskip(SKIP_1) | instid1(VALU_DEP_1)
	v_cndmask_b32_e64 v26, 0x7f800000, v26, s4
	v_cmp_class_f32_e64 s4, v25, 0x264
	v_cndmask_b32_e64 v26, v26, 0x7f800000, s4
	v_cmp_u_f32_e64 s4, v25, v25
	s_delay_alu instid0(VALU_DEP_1) | instskip(NEXT) | instid1(VALU_DEP_1)
	v_cndmask_b32_e64 v25, v26, v25, s4
	v_bfe_u32 v26, v25, 16, 1
	s_delay_alu instid0(VALU_DEP_1) | instskip(NEXT) | instid1(VALU_DEP_1)
	v_add3_u32 v26, v25, v26, 0x7fff
	v_lshrrev_b32_e32 v26, 16, v26
	v_cmp_o_f32_e64 s4, v25, v25
	s_delay_alu instid0(VALU_DEP_1)
	v_cndmask_b32_e64 v25, 0x7fc0, v26, s4
	global_store_b16 v[8:9], v25, off
	s_wait_xcnt 0x0
	s_or_b32 exec_lo, exec_lo, s9
	s_and_saveexec_b32 s4, s3
	s_cbranch_execz .LBB15_162
.LBB15_169:                             ;   in Loop: Header=BB15_4 Depth=1
	v_cmp_gt_f32_e64 s3, 0x4b000000, |v24|
	s_or_b32 s3, s6, s3
	s_delay_alu instid0(SALU_CYCLE_1) | instskip(SKIP_1) | instid1(VALU_DEP_1)
	v_cndmask_b32_e64 v25, 0x7f800000, v27, s3
	v_cmp_class_f32_e64 s3, v24, 0x264
	v_cndmask_b32_e64 v25, v25, 0x7f800000, s3
	v_cmp_u_f32_e64 s3, v24, v24
	s_delay_alu instid0(VALU_DEP_1) | instskip(NEXT) | instid1(VALU_DEP_1)
	v_cndmask_b32_e64 v24, v25, v24, s3
	v_bfe_u32 v25, v24, 16, 1
	s_delay_alu instid0(VALU_DEP_1) | instskip(NEXT) | instid1(VALU_DEP_1)
	v_add3_u32 v25, v24, v25, 0x7fff
	v_lshrrev_b32_e32 v25, 16, v25
	v_cmp_o_f32_e64 s3, v24, v24
	s_delay_alu instid0(VALU_DEP_1)
	v_cndmask_b32_e64 v24, 0x7fc0, v25, s3
	global_store_b16 v[14:15], v24, off
	s_wait_xcnt 0x0
	s_or_b32 exec_lo, exec_lo, s4
	s_and_saveexec_b32 s3, s2
	s_cbranch_execz .LBB15_163
.LBB15_170:                             ;   in Loop: Header=BB15_4 Depth=1
	v_cmp_gt_f32_e64 s2, 0x4b000000, |v22|
	s_or_b32 s2, s7, s2
	s_delay_alu instid0(SALU_CYCLE_1) | instskip(SKIP_1) | instid1(VALU_DEP_1)
	v_cndmask_b32_e64 v24, 0x7f800000, v28, s2
	v_cmp_class_f32_e64 s2, v22, 0x264
	v_cndmask_b32_e64 v24, v24, 0x7f800000, s2
	v_cmp_u_f32_e64 s2, v22, v22
	s_delay_alu instid0(VALU_DEP_1) | instskip(NEXT) | instid1(VALU_DEP_1)
	v_cndmask_b32_e64 v22, v24, v22, s2
	v_bfe_u32 v24, v22, 16, 1
	s_delay_alu instid0(VALU_DEP_1) | instskip(NEXT) | instid1(VALU_DEP_1)
	v_add3_u32 v24, v22, v24, 0x7fff
	v_lshrrev_b32_e32 v24, 16, v24
	v_cmp_o_f32_e64 s2, v22, v22
	s_delay_alu instid0(VALU_DEP_1)
	v_cndmask_b32_e64 v22, 0x7fc0, v24, s2
	global_store_b16 v[20:21], v22, off
	s_wait_xcnt 0x0
	s_or_b32 exec_lo, exec_lo, s3
	s_and_saveexec_b32 s2, vcc_lo
	s_cbranch_execz .LBB15_3
.LBB15_171:                             ;   in Loop: Header=BB15_4 Depth=1
	v_cmp_gt_f32_e64 s3, 0x4b000000, |v23|
	s_or_b32 vcc_lo, s8, s3
	v_cmp_class_f32_e64 s3, v23, 0x264
	v_cndmask_b32_e32 v20, 0x7f800000, v30, vcc_lo
	v_cmp_u_f32_e32 vcc_lo, v23, v23
	s_delay_alu instid0(VALU_DEP_2) | instskip(NEXT) | instid1(VALU_DEP_1)
	v_cndmask_b32_e64 v20, v20, 0x7f800000, s3
	v_cndmask_b32_e32 v20, v20, v23, vcc_lo
	s_delay_alu instid0(VALU_DEP_1) | instskip(SKIP_1) | instid1(VALU_DEP_2)
	v_bfe_u32 v21, v20, 16, 1
	v_cmp_o_f32_e32 vcc_lo, v20, v20
	v_add3_u32 v21, v20, v21, 0x7fff
	s_delay_alu instid0(VALU_DEP_1) | instskip(NEXT) | instid1(VALU_DEP_1)
	v_lshrrev_b32_e32 v21, 16, v21
	v_cndmask_b32_e32 v20, 0x7fc0, v21, vcc_lo
	global_store_b16 v[18:19], v20, off
	s_branch .LBB15_3
.LBB15_172:
	s_cbranch_execz .LBB15_174
	s_branch .LBB15_329
.LBB15_173:
.LBB15_174:
	v_min_i64 v[2:3], 0x10000, s[16:17]
	v_dual_mov_b32 v7, 0 :: v_dual_lshlrev_b32 v6, 2, v0
	s_mov_b32 s2, exec_lo
	s_delay_alu instid0(VALU_DEP_1)
	v_cmpx_lt_i64_e64 v[6:7], v[2:3]
	s_cbranch_execz .LBB15_329
; %bb.175:
	s_load_b32 s2, s[0:1], 0xd3c
	v_dual_mov_b32 v1, v7 :: v_dual_lshlrev_b32 v6, 3, v0
	s_wait_xcnt 0x0
	s_add_nc_u64 s[0:1], s[12:13], s[14:15]
	v_mov_b64_e32 v[4:5], 0x4040000040000000
	s_mov_b32 s7, 0
	s_mov_b32 s5, 0xbad5c4e8
	v_add_nc_u64_e32 v[6:7], s[0:1], v[6:7]
	s_mov_b32 s10, 0x3805ff67
	s_mov_b32 s11, 0x36f5d7bd
	;; [unrolled: 1-line block ×12, first 2 shown]
	s_wait_kmcnt 0x0
	s_and_b32 s6, s2, 0xffff
	s_mov_b32 s9, s7
	s_lshl_b32 s8, s6, 3
	s_mov_b32 s22, s7
	s_branch .LBB15_177
.LBB15_176:                             ;   in Loop: Header=BB15_177 Depth=1
	s_or_b32 exec_lo, exec_lo, s23
	v_cmp_gt_f32_e64 s3, 0x4b000000, |v8|
	v_cmp_gt_f32_e64 s4, 0x4b000000, |v12|
	;; [unrolled: 1-line block ×3, first 2 shown]
	v_add_nc_u64_e32 v[0:1], s[6:7], v[0:1]
	s_or_b32 s1, s1, s3
	s_or_b32 s0, s0, s4
	v_cndmask_b32_e64 v14, 0x7f800000, v14, s1
	v_cndmask_b32_e64 v13, 0x7f800000, v13, s0
	v_cmp_class_f32_e64 s0, v8, 0x264
	v_cmp_gt_f32_e64 s1, 0x4b000000, |v9|
	s_or_b32 vcc_lo, vcc_lo, s23
	v_cndmask_b32_e32 v11, 0x7f800000, v11, vcc_lo
	v_cndmask_b32_e64 v14, v14, 0x7f800000, s0
	v_cmp_class_f32_e64 s0, v12, 0x264
	s_or_b32 vcc_lo, s2, s1
	v_cndmask_b32_e32 v15, 0x7f800000, v16, vcc_lo
	v_cmp_u_f32_e32 vcc_lo, v8, v8
	v_cndmask_b32_e64 v13, v13, 0x7f800000, s0
	v_cmp_class_f32_e64 s0, v10, 0x264
	s_delay_alu instid0(VALU_DEP_1) | instskip(SKIP_3) | instid1(VALU_DEP_2)
	v_cndmask_b32_e64 v11, v11, 0x7f800000, s0
	v_cndmask_b32_e32 v8, v14, v8, vcc_lo
	v_cmp_class_f32_e64 s0, v9, 0x264
	v_cmp_u_f32_e32 vcc_lo, v12, v12
	v_cndmask_b32_e64 v14, v15, 0x7f800000, s0
	v_cndmask_b32_e32 v12, v13, v12, vcc_lo
	v_cmp_u_f32_e32 vcc_lo, v10, v10
	v_cndmask_b32_e32 v10, v11, v10, vcc_lo
	v_cmp_u_f32_e32 vcc_lo, v9, v9
	v_bfe_u32 v13, v8, 16, 1
	v_cndmask_b32_e32 v9, v14, v9, vcc_lo
	v_bfe_u32 v11, v12, 16, 1
	v_bfe_u32 v14, v10, 16, 1
	v_cmp_o_f32_e32 vcc_lo, v12, v12
	v_add3_u32 v13, v8, v13, 0x7fff
	v_bfe_u32 v15, v9, 16, 1
	v_add3_u32 v11, v12, v11, 0x7fff
	v_add3_u32 v14, v10, v14, 0x7fff
	s_delay_alu instid0(VALU_DEP_3) | instskip(NEXT) | instid1(VALU_DEP_3)
	v_add3_u32 v15, v9, v15, 0x7fff
	v_and_b32_e32 v11, 0xffff0000, v11
	s_delay_alu instid0(VALU_DEP_3) | instskip(NEXT) | instid1(VALU_DEP_3)
	v_lshrrev_b32_e32 v14, 16, v14
	v_and_b32_e32 v15, 0xffff0000, v15
	s_delay_alu instid0(VALU_DEP_3) | instskip(SKIP_1) | instid1(VALU_DEP_4)
	v_cndmask_b32_e32 v11, 0x7fc00000, v11, vcc_lo
	v_cmp_o_f32_e32 vcc_lo, v10, v10
	v_dual_cndmask_b32 v10, 0x7fc0, v14 :: v_dual_lshrrev_b32 v13, 16, v13
	v_cmp_o_f32_e32 vcc_lo, v9, v9
	s_delay_alu instid0(VALU_DEP_2) | instskip(SKIP_3) | instid1(VALU_DEP_4)
	v_or_b32_e32 v10, v11, v10
	v_cndmask_b32_e32 v12, 0x7fc00000, v15, vcc_lo
	v_cmp_o_f32_e32 vcc_lo, v8, v8
	v_lshlrev_b64_e32 v[8:9], 2, v[0:1]
	v_or3_b32 v10, v10, 0, 0
	v_cndmask_b32_e32 v13, 0x7fc0, v13, vcc_lo
	s_delay_alu instid0(VALU_DEP_3) | instskip(NEXT) | instid1(VALU_DEP_2)
	v_cmp_ge_i64_e32 vcc_lo, v[8:9], v[2:3]
	v_or3_b32 v11, 0, v13, v12
	global_store_b64 v[6:7], v[10:11], off
	s_wait_xcnt 0x0
	v_add_nc_u64_e32 v[6:7], s[8:9], v[6:7]
	s_or_b32 s22, vcc_lo, s22
	s_delay_alu instid0(SALU_CYCLE_1)
	s_and_not1_b32 exec_lo, exec_lo, s22
	s_cbranch_execz .LBB15_329
.LBB15_177:                             ; =>This Inner Loop Header: Depth=1
	global_load_b64 v[8:9], v[6:7], off
	s_mov_b32 s1, exec_lo
                                        ; implicit-def: $vgpr11
	s_wait_loadcnt 0x0
	v_lshlrev_b32_e32 v10, 16, v8
	s_delay_alu instid0(VALU_DEP_1)
	v_and_b32_e32 v12, 0x7fffffff, v10
	s_wait_xcnt 0x0
	v_cmpx_ngt_f32_e64 0x3c800000, |v10|
	s_xor_b32 s1, exec_lo, s1
	s_cbranch_execz .LBB15_207
; %bb.178:                              ;   in Loop: Header=BB15_177 Depth=1
	s_mov_b32 s2, exec_lo
                                        ; implicit-def: $vgpr11
	v_cmpx_nlt_f32_e64 |v10|, 2.0
	s_xor_b32 s2, exec_lo, s2
	s_cbranch_execz .LBB15_188
; %bb.179:                              ;   in Loop: Header=BB15_177 Depth=1
	v_cmp_ngt_f32_e64 s0, 0x41000000, |v10|
                                        ; implicit-def: $vgpr11
	s_and_saveexec_b32 s3, s0
	s_delay_alu instid0(SALU_CYCLE_1)
	s_xor_b32 s0, exec_lo, s3
	s_cbranch_execz .LBB15_185
; %bb.180:                              ;   in Loop: Header=BB15_177 Depth=1
	v_cmp_ngt_f32_e64 s3, 0x5c800000, |v10|
                                        ; implicit-def: $vgpr11
	s_and_saveexec_b32 s4, s3
	s_delay_alu instid0(SALU_CYCLE_1)
	s_xor_b32 s3, exec_lo, s4
	s_cbranch_execz .LBB15_182
; %bb.181:                              ;   in Loop: Header=BB15_177 Depth=1
	v_cmp_gt_f32_e64 s4, 0x800000, |v10|
	s_delay_alu instid0(VALU_DEP_1) | instskip(NEXT) | instid1(VALU_DEP_1)
	v_cndmask_b32_e64 v11, 0, 32, s4
	v_ldexp_f32 v11, |v10|, v11
	s_delay_alu instid0(VALU_DEP_1) | instskip(SKIP_1) | instid1(TRANS32_DEP_1)
	v_log_f32_e32 v11, v11
	v_nop
	v_mul_f32_e32 v13, 0x3f317217, v11
	v_cmp_gt_f32_e64 vcc_lo, 0x7f800000, |v11|
	s_delay_alu instid0(VALU_DEP_2) | instskip(NEXT) | instid1(VALU_DEP_1)
	v_fma_f32 v14, 0x3f317217, v11, -v13
	v_fmac_f32_e32 v14, 0x3377d1cf, v11
	s_delay_alu instid0(VALU_DEP_1) | instskip(NEXT) | instid1(VALU_DEP_1)
	v_add_f32_e32 v13, v13, v14
	v_cndmask_b32_e32 v11, v11, v13, vcc_lo
	v_cndmask_b32_e64 v13, 0, 0x41b17218, s4
	s_delay_alu instid0(VALU_DEP_1) | instskip(NEXT) | instid1(VALU_DEP_1)
	v_sub_f32_e32 v11, v11, v13
	v_fma_f32 v11, |v10|, v11, -|v10|
.LBB15_182:                             ;   in Loop: Header=BB15_177 Depth=1
	s_and_not1_saveexec_b32 s3, s3
	s_cbranch_execz .LBB15_184
; %bb.183:                              ;   in Loop: Header=BB15_177 Depth=1
	v_cmp_gt_f32_e64 s4, 0x800000, |v10|
	v_rcp_f32_e64 v13, |v10|
	s_delay_alu instid0(VALU_DEP_1) | instskip(NEXT) | instid1(VALU_DEP_1)
	v_cndmask_b32_e64 v11, 0, 32, s4
	v_ldexp_f32 v11, |v10|, v11
	s_delay_alu instid0(VALU_DEP_1) | instskip(SKIP_1) | instid1(TRANS32_DEP_1)
	v_log_f32_e32 v11, v11
	v_nop
	v_dual_mul_f32 v14, v13, v13 :: v_dual_mul_f32 v15, 0x3f317217, v11
	v_cmp_gt_f32_e64 vcc_lo, 0x7f800000, |v11|
	s_delay_alu instid0(VALU_DEP_2) | instskip(NEXT) | instid1(VALU_DEP_1)
	v_fma_f32 v17, 0x3f317217, v11, -v15
	v_fmac_f32_e32 v17, 0x3377d1cf, v11
	s_delay_alu instid0(VALU_DEP_1) | instskip(NEXT) | instid1(VALU_DEP_1)
	v_dual_fmaak_f32 v16, s5, v14, 0x3a5b3dd2 :: v_dual_add_f32 v15, v15, v17
	v_dual_fmaak_f32 v16, v14, v16, 0xba1c065c :: v_dual_cndmask_b32 v11, v11, v15
	v_cndmask_b32_e64 v15, 0, 0x41b17218, s4
	s_delay_alu instid0(VALU_DEP_1) | instskip(NEXT) | instid1(VALU_DEP_1)
	v_dual_fmaak_f32 v16, v14, v16, 0x3a500cfd :: v_dual_sub_f32 v15, v11, v15
	v_fmaak_f32 v16, v14, v16, 0xbb360b61
	s_delay_alu instid0(VALU_DEP_1) | instskip(NEXT) | instid1(VALU_DEP_1)
	v_fmaak_f32 v14, v14, v16, 0x3daaaaab
	v_dual_fmaak_f32 v11, v13, v14, 0x3ed67f1d :: v_dual_add_f32 v14, -1.0, v15
	v_add_f32_e64 v13, |v10|, -0.5
	s_delay_alu instid0(VALU_DEP_1)
	v_fmac_f32_e32 v11, v13, v14
.LBB15_184:                             ;   in Loop: Header=BB15_177 Depth=1
	s_or_b32 exec_lo, exec_lo, s3
.LBB15_185:                             ;   in Loop: Header=BB15_177 Depth=1
	s_and_not1_saveexec_b32 s3, s0
	s_cbranch_execz .LBB15_187
; %bb.186:                              ;   in Loop: Header=BB15_177 Depth=1
	v_cvt_i32_f32_e32 v11, v12
	s_delay_alu instid0(VALU_DEP_1) | instskip(SKIP_1) | instid1(VALU_DEP_2)
	v_cvt_f32_i32_e32 v13, v11
	v_cmp_lt_i32_e32 vcc_lo, 3, v11
	v_sub_f32_e64 v14, |v10|, v13
	s_delay_alu instid0(VALU_DEP_1) | instskip(NEXT) | instid1(VALU_DEP_1)
	v_pk_add_f32 v[16:17], v[14:15], v[4:5] op_sel_hi:[0,1]
	v_dual_add_f32 v13, 4.0, v14 :: v_dual_cndmask_b32 v15, 1.0, v17, vcc_lo
	v_cmp_lt_i32_e32 vcc_lo, 2, v11
	s_delay_alu instid0(VALU_DEP_3) | instskip(SKIP_1) | instid1(VALU_DEP_2)
	v_dual_add_f32 v17, 0x40a00000, v14 :: v_dual_cndmask_b32 v16, 1.0, v16
	v_cmp_lt_i32_e32 vcc_lo, 4, v11
	v_dual_mul_f32 v15, v16, v15 :: v_dual_cndmask_b32 v13, 1.0, v13, vcc_lo
	v_cmp_lt_i32_e32 vcc_lo, 5, v11
	s_delay_alu instid0(VALU_DEP_4) | instskip(SKIP_1) | instid1(VALU_DEP_2)
	v_dual_add_f32 v16, 0x40c00000, v14 :: v_dual_cndmask_b32 v17, 1.0, v17
	v_cmp_lt_i32_e32 vcc_lo, 6, v11
	v_dual_mul_f32 v13, v13, v15 :: v_dual_cndmask_b32 v11, 1.0, v16, vcc_lo
	s_delay_alu instid0(VALU_DEP_1) | instskip(NEXT) | instid1(VALU_DEP_1)
	v_dual_mul_f32 v13, v17, v13 :: v_dual_fmaak_f32 v16, s10, v14, 0x3af135b4
	v_mul_f32_e32 v11, v11, v13
	s_delay_alu instid0(VALU_DEP_1) | instskip(SKIP_1) | instid1(VALU_DEP_1)
	v_cmp_gt_f32_e32 vcc_lo, 0x800000, v11
	v_cndmask_b32_e64 v15, 0, 32, vcc_lo
	v_ldexp_f32 v11, v11, v15
	v_fmaak_f32 v15, v14, v16, 0x3cda40e4
	s_delay_alu instid0(VALU_DEP_2) | instskip(NEXT) | instid1(VALU_DEP_1)
	v_log_f32_e32 v11, v11
	v_fmaak_f32 v15, v14, v15, 0x3e15dce6
	s_delay_alu instid0(VALU_DEP_1) | instskip(NEXT) | instid1(TRANS32_DEP_1)
	v_fmaak_f32 v15, v14, v15, 0x3ea6cc7a
	v_cmp_gt_f32_e64 s0, 0x7f800000, |v11|
	s_delay_alu instid0(VALU_DEP_2) | instskip(NEXT) | instid1(VALU_DEP_1)
	v_fmaak_f32 v15, v14, v15, 0x3e5c245a
	v_fmaak_f32 v15, v14, v15, 0xbd9e233f
	s_delay_alu instid0(VALU_DEP_1) | instskip(SKIP_1) | instid1(VALU_DEP_1)
	v_mul_f32_e32 v15, v14, v15
	v_mul_f32_e32 v16, 0x3f317217, v11
	v_fma_f32 v17, 0x3f317217, v11, -v16
	s_delay_alu instid0(VALU_DEP_1) | instskip(NEXT) | instid1(VALU_DEP_1)
	v_fmac_f32_e32 v17, 0x3377d1cf, v11
	v_dual_fmaak_f32 v13, s11, v14, 0x3a4beed6 :: v_dual_add_f32 v16, v16, v17
	s_delay_alu instid0(VALU_DEP_1) | instskip(NEXT) | instid1(VALU_DEP_1)
	v_fmaak_f32 v13, v14, v13, 0x3c98bf54
	v_fmaak_f32 v13, v14, v13, 0x3e300f6e
	s_delay_alu instid0(VALU_DEP_1) | instskip(NEXT) | instid1(VALU_DEP_1)
	v_fmaak_f32 v13, v14, v13, 0x3f38d0c5
	v_fmaak_f32 v13, v14, v13, 0x3fb22d3b
	s_delay_alu instid0(VALU_DEP_1) | instskip(NEXT) | instid1(VALU_DEP_1)
	v_fma_f32 v13, v14, v13, 1.0
	v_rcp_f32_e32 v13, v13
	v_nop
	s_delay_alu instid0(TRANS32_DEP_1) | instskip(SKIP_2) | instid1(VALU_DEP_1)
	v_mul_f32_e32 v13, v15, v13
	v_cndmask_b32_e64 v11, v11, v16, s0
	v_cndmask_b32_e64 v15, 0, 0x41b17218, vcc_lo
	v_dual_fmac_f32 v13, 0.5, v14 :: v_dual_sub_f32 v11, v11, v15
	s_delay_alu instid0(VALU_DEP_1)
	v_add_f32_e32 v11, v11, v13
.LBB15_187:                             ;   in Loop: Header=BB15_177 Depth=1
	s_or_b32 exec_lo, exec_lo, s3
.LBB15_188:                             ;   in Loop: Header=BB15_177 Depth=1
	s_and_not1_saveexec_b32 s2, s2
	s_cbranch_execz .LBB15_206
; %bb.189:                              ;   in Loop: Header=BB15_177 Depth=1
	s_mov_b32 s3, exec_lo
                                        ; implicit-def: $vgpr11
                                        ; implicit-def: $vgpr14
                                        ; implicit-def: $vgpr13
	v_cmpx_ge_f32_e64 0x3f666666, |v10|
	s_xor_b32 s3, exec_lo, s3
	s_cbranch_execz .LBB15_191
; %bb.190:                              ;   in Loop: Header=BB15_177 Depth=1
	v_cmp_gt_f32_e64 s0, 0x800000, |v10|
	v_sub_f32_e64 v15, 1.0, |v10|
	v_cmp_gt_f32_e64 vcc_lo, 0x3f3b4a23, |v10|
	s_delay_alu instid0(VALU_DEP_3) | instskip(SKIP_1) | instid1(VALU_DEP_2)
	v_cndmask_b32_e64 v11, 0, 32, s0
	v_cndmask_b32_e64 v16, 0, 0x41b17218, s0
	v_ldexp_f32 v11, |v10|, v11
	s_delay_alu instid0(VALU_DEP_1) | instskip(SKIP_1) | instid1(TRANS32_DEP_1)
	v_log_f32_e32 v11, v11
	v_nop
	v_mul_f32_e32 v13, 0x3f317217, v11
	v_cmp_gt_f32_e64 s0, 0x7f800000, |v11|
	s_delay_alu instid0(VALU_DEP_2) | instskip(NEXT) | instid1(VALU_DEP_1)
	v_fma_f32 v14, 0x3f317217, v11, -v13
	v_fmac_f32_e32 v14, 0x3377d1cf, v11
	s_delay_alu instid0(VALU_DEP_1) | instskip(SKIP_1) | instid1(VALU_DEP_2)
	v_add_f32_e32 v13, v13, v14
	v_add_f32_e64 v14, 0xbeec5b0c, |v10|
	v_cndmask_b32_e64 v11, v11, v13, s0
	s_delay_alu instid0(VALU_DEP_2) | instskip(SKIP_2) | instid1(VALU_DEP_4)
	v_cndmask_b32_e32 v13, v15, v14, vcc_lo
	v_cndmask_b32_e64 v14, 0, 1, vcc_lo
	v_cmp_gt_f32_e64 s0, 0x3e6d3309, |v10|
	v_sub_f32_e32 v11, v11, v16
	s_delay_alu instid0(VALU_DEP_2) | instskip(NEXT) | instid1(VALU_DEP_4)
	v_cndmask_b32_e64 v13, v13, |v10|, s0
	v_cndmask_b32_e64 v14, v14, 2, s0
	s_delay_alu instid0(VALU_DEP_3)
	v_xor_b32_e32 v11, 0x80000000, v11
.LBB15_191:                             ;   in Loop: Header=BB15_177 Depth=1
	s_and_not1_saveexec_b32 s0, s3
	s_cbranch_execz .LBB15_193
; %bb.192:                              ;   in Loop: Header=BB15_177 Depth=1
	v_sub_f32_e64 v11, 2.0, |v10|
	v_add_f32_e64 v13, 0xbfbb16c3, |v10|
	v_cmp_gt_f32_e64 vcc_lo, 0x3fdda512, |v10|
	v_add_f32_e64 v14, |v10|, -1.0
	s_delay_alu instid0(VALU_DEP_3) | instskip(NEXT) | instid1(VALU_DEP_3)
	v_cndmask_b32_e32 v13, v11, v13, vcc_lo
	v_cndmask_b32_e64 v11, v11, 1.0, vcc_lo
	v_cmp_gt_f32_e64 vcc_lo, 0x3f9d70a4, |v10|
	s_delay_alu instid0(VALU_DEP_2) | instskip(NEXT) | instid1(VALU_DEP_4)
	v_cvt_i32_f32_e32 v11, v11
	v_cndmask_b32_e32 v13, v13, v14, vcc_lo
	s_delay_alu instid0(VALU_DEP_2)
	v_cndmask_b32_e64 v14, v11, 2, vcc_lo
	v_mov_b32_e32 v11, 0
.LBB15_193:                             ;   in Loop: Header=BB15_177 Depth=1
	s_or_b32 exec_lo, exec_lo, s0
	s_delay_alu instid0(SALU_CYCLE_1) | instskip(NEXT) | instid1(VALU_DEP_2)
	s_mov_b32 s0, exec_lo
	v_cmpx_lt_i32_e32 0, v14
	s_xor_b32 s0, exec_lo, s0
	s_cbranch_execz .LBB15_201
; %bb.194:                              ;   in Loop: Header=BB15_177 Depth=1
	s_mov_b32 s3, exec_lo
	v_cmpx_lt_i32_e32 1, v14
	s_xor_b32 s3, exec_lo, s3
	s_cbranch_execz .LBB15_198
; %bb.195:                              ;   in Loop: Header=BB15_177 Depth=1
	s_mov_b32 s4, exec_lo
	v_cmpx_eq_u32_e32 2, v14
	s_cbranch_execz .LBB15_197
; %bb.196:                              ;   in Loop: Header=BB15_177 Depth=1
	v_fmaak_f32 v15, s12, v13, 0x3e6a7578
	s_delay_alu instid0(VALU_DEP_1) | instskip(NEXT) | instid1(VALU_DEP_1)
	v_fmaak_f32 v15, v13, v15, 0x3f7a4bb2
	v_fmaak_f32 v15, v13, v15, 0x3fba3ae7
	s_delay_alu instid0(VALU_DEP_1) | instskip(NEXT) | instid1(VALU_DEP_1)
	v_fmaak_f32 v15, v13, v15, 0x3f2200f4
	v_fmaak_f32 v15, v13, v15, 0xbd9e233f
	s_delay_alu instid0(VALU_DEP_1) | instskip(NEXT) | instid1(VALU_DEP_1)
	v_dual_fmaak_f32 v14, s13, v13, 0x3dd572af :: v_dual_mul_f32 v15, v13, v15
	v_fmaak_f32 v14, v13, v14, 0x3f44efdf
	s_delay_alu instid0(VALU_DEP_1) | instskip(NEXT) | instid1(VALU_DEP_1)
	v_fmaak_f32 v14, v13, v14, 0x4008392d
	v_fmaak_f32 v14, v13, v14, 0x401d2ebe
	s_delay_alu instid0(VALU_DEP_1) | instskip(NEXT) | instid1(VALU_DEP_1)
	v_fma_f32 v14, v13, v14, 1.0
	v_rcp_f32_e32 v14, v14
	v_nop
	s_delay_alu instid0(TRANS32_DEP_1) | instskip(NEXT) | instid1(VALU_DEP_1)
	v_mul_f32_e32 v14, v15, v14
	v_fmac_f32_e32 v14, -0.5, v13
	s_delay_alu instid0(VALU_DEP_1)
	v_add_f32_e32 v11, v11, v14
.LBB15_197:                             ;   in Loop: Header=BB15_177 Depth=1
	s_or_b32 exec_lo, exec_lo, s4
                                        ; implicit-def: $vgpr13
.LBB15_198:                             ;   in Loop: Header=BB15_177 Depth=1
	s_and_not1_saveexec_b32 s3, s3
	s_cbranch_execz .LBB15_200
; %bb.199:                              ;   in Loop: Header=BB15_177 Depth=1
	v_mul_f32_e32 v14, v13, v13
	s_delay_alu instid0(VALU_DEP_1) | instskip(NEXT) | instid1(VALU_DEP_1)
	v_mul_f32_e32 v15, v13, v14
	v_fmaak_f32 v16, s15, v15, 0x3a66f867
	v_fmaak_f32 v17, s16, v15, 0xba0d3085
	s_delay_alu instid0(VALU_DEP_2) | instskip(NEXT) | instid1(VALU_DEP_2)
	v_fmaak_f32 v16, v15, v16, 0xbb7177fe
	v_fmaak_f32 v17, v15, v17, 0x3b141699
	s_delay_alu instid0(VALU_DEP_2) | instskip(NEXT) | instid1(VALU_DEP_2)
	;; [unrolled: 3-line block ×3, first 2 shown]
	v_fmaak_f32 v16, v15, v16, 0xbe17213c
	v_fmaak_f32 v17, v15, v17, 0x3d845a15
	s_delay_alu instid0(VALU_DEP_1) | instskip(SKIP_1) | instid1(VALU_DEP_1)
	v_fmac_f32_e32 v16, v13, v17
	v_fmaak_f32 v18, s14, v15, 0xbab7f476
	v_fmaak_f32 v18, v15, v18, 0x3bc7e707
	s_delay_alu instid0(VALU_DEP_1) | instskip(NEXT) | instid1(VALU_DEP_1)
	v_fmaak_f32 v18, v15, v18, 0xbd064d47
	v_fmaak_f32 v13, v15, v18, 0x3ef7b95e
	v_fma_f32 v15, v15, -v16, 0xa2863e55
	s_delay_alu instid0(VALU_DEP_1) | instskip(NEXT) | instid1(VALU_DEP_1)
	v_fma_f32 v13, v14, v13, -v15
	v_add_f32_e32 v13, 0xbdf8cdce, v13
	s_delay_alu instid0(VALU_DEP_1)
	v_add_f32_e32 v11, v11, v13
.LBB15_200:                             ;   in Loop: Header=BB15_177 Depth=1
	s_or_b32 exec_lo, exec_lo, s3
                                        ; implicit-def: $vgpr14
                                        ; implicit-def: $vgpr13
.LBB15_201:                             ;   in Loop: Header=BB15_177 Depth=1
	s_and_not1_saveexec_b32 s0, s0
	s_cbranch_execz .LBB15_205
; %bb.202:                              ;   in Loop: Header=BB15_177 Depth=1
	s_mov_b32 s3, exec_lo
	v_cmpx_eq_u32_e32 0, v14
	s_cbranch_execz .LBB15_204
; %bb.203:                              ;   in Loop: Header=BB15_177 Depth=1
	v_mul_f32_e32 v14, v13, v13
	s_delay_alu instid0(VALU_DEP_1) | instskip(NEXT) | instid1(VALU_DEP_1)
	v_fmaak_f32 v16, s17, v14, 0x39679767
	v_fmaak_f32 v16, v14, v16, 0x3a9c54a1
	s_delay_alu instid0(VALU_DEP_1) | instskip(NEXT) | instid1(VALU_DEP_1)
	v_fmaak_f32 v16, v14, v16, 0x3bf2027e
	v_fmaak_f32 v16, v14, v16, 0x3d89f001
	s_delay_alu instid0(VALU_DEP_1) | instskip(SKIP_1) | instid1(VALU_DEP_1)
	v_fmaak_f32 v16, v14, v16, 0x3d9e233f
	v_fmaak_f32 v15, s18, v14, 0x38e28445
	;; [unrolled: 1-line block ×3, first 2 shown]
	s_delay_alu instid0(VALU_DEP_1) | instskip(NEXT) | instid1(VALU_DEP_1)
	v_fmaak_f32 v15, v14, v15, 0x3b3d6ec6
	v_fmaak_f32 v15, v14, v15, 0x3ca89915
	s_delay_alu instid0(VALU_DEP_1) | instskip(NEXT) | instid1(VALU_DEP_1)
	v_fmaak_f32 v15, v14, v15, 0x3ea51a66
	v_mul_f32_e32 v14, v14, v15
	s_delay_alu instid0(VALU_DEP_1) | instskip(NEXT) | instid1(VALU_DEP_1)
	v_fmac_f32_e32 v14, v13, v16
	v_fmac_f32_e32 v14, -0.5, v13
	s_delay_alu instid0(VALU_DEP_1)
	v_add_f32_e32 v11, v11, v14
.LBB15_204:                             ;   in Loop: Header=BB15_177 Depth=1
	s_or_b32 exec_lo, exec_lo, s3
.LBB15_205:                             ;   in Loop: Header=BB15_177 Depth=1
	s_delay_alu instid0(SALU_CYCLE_1)
	s_or_b32 exec_lo, exec_lo, s0
.LBB15_206:                             ;   in Loop: Header=BB15_177 Depth=1
	s_delay_alu instid0(SALU_CYCLE_1)
	s_or_b32 exec_lo, exec_lo, s2
.LBB15_207:                             ;   in Loop: Header=BB15_177 Depth=1
	s_and_not1_saveexec_b32 s0, s1
	s_cbranch_execz .LBB15_209
; %bb.208:                              ;   in Loop: Header=BB15_177 Depth=1
	v_cmp_gt_f32_e64 s1, 0x800000, |v10|
	v_fma_f32 v15, |v10|, s19, 0xbecd26ab
	s_delay_alu instid0(VALU_DEP_2) | instskip(NEXT) | instid1(VALU_DEP_1)
	v_cndmask_b32_e64 v11, 0, 32, s1
	v_ldexp_f32 v11, |v10|, v11
	s_delay_alu instid0(VALU_DEP_1) | instskip(SKIP_1) | instid1(TRANS32_DEP_1)
	v_log_f32_e32 v11, v11
	v_nop
	v_mul_f32_e32 v13, 0x3f317217, v11
	v_cmp_gt_f32_e64 vcc_lo, 0x7f800000, |v11|
	s_delay_alu instid0(VALU_DEP_2) | instskip(NEXT) | instid1(VALU_DEP_1)
	v_fma_f32 v14, 0x3f317217, v11, -v13
	v_fmac_f32_e32 v14, 0x3377d1cf, v11
	s_delay_alu instid0(VALU_DEP_1) | instskip(SKIP_1) | instid1(VALU_DEP_2)
	v_add_f32_e32 v13, v13, v14
	v_fma_f32 v14, |v10|, v15, 0x3f528d33
	v_cndmask_b32_e32 v11, v11, v13, vcc_lo
	v_cndmask_b32_e64 v13, 0, 0x41b17218, s1
	s_delay_alu instid0(VALU_DEP_3) | instskip(NEXT) | instid1(VALU_DEP_2)
	v_fma_f32 v14, |v10|, v14, 0xbf13c468
	v_sub_f32_e32 v11, v11, v13
	s_delay_alu instid0(VALU_DEP_1)
	v_fma_f32 v11, |v10|, v14, -v11
.LBB15_209:                             ;   in Loop: Header=BB15_177 Depth=1
	s_or_b32 exec_lo, exec_lo, s0
	v_cmp_le_f32_e32 vcc_lo, 0, v10
	s_mov_b32 s1, exec_lo
	v_cmpx_nle_f32_e32 0, v10
	s_xor_b32 s2, exec_lo, s1
	s_cbranch_execz .LBB15_213
; %bb.210:                              ;   in Loop: Header=BB15_177 Depth=1
	v_cmp_gt_f32_e64 s0, 0x4b000000, |v10|
	v_cmp_lt_f32_e64 s1, 0x35000000, |v10|
	s_and_b32 s0, s0, s1
	s_delay_alu instid0(SALU_CYCLE_1)
	s_and_saveexec_b32 s3, s0
	s_cbranch_execz .LBB15_212
; %bb.211:                              ;   in Loop: Header=BB15_177 Depth=1
	v_mul_f32_e64 v13, |v10|, 0.5
	s_delay_alu instid0(VALU_DEP_1) | instskip(SKIP_1) | instid1(VALU_DEP_2)
	v_floor_f32_e32 v14, v13
	v_cmp_neq_f32_e64 s0, 0x7f800000, v13
	v_sub_f32_e32 v14, v13, v14
	s_delay_alu instid0(VALU_DEP_1) | instskip(NEXT) | instid1(VALU_DEP_1)
	v_min_num_f32_e32 v14, 0x3f7fffff, v14
	v_add_f32_e32 v14, v14, v14
	s_delay_alu instid0(VALU_DEP_1) | instskip(SKIP_1) | instid1(VALU_DEP_1)
	v_cndmask_b32_e64 v13, 0, v14, s0
	v_cmp_gt_f32_e64 s0, |v10|, 1.0
	v_cndmask_b32_e64 v13, |v10|, v13, s0
	s_delay_alu instid0(VALU_DEP_1) | instskip(NEXT) | instid1(VALU_DEP_1)
	v_add_f32_e32 v14, v13, v13
	v_rndne_f32_e32 v14, v14
	s_delay_alu instid0(VALU_DEP_1) | instskip(SKIP_1) | instid1(VALU_DEP_2)
	v_fmac_f32_e32 v13, -0.5, v14
	v_cvt_i32_f32_e32 v14, v14
	v_mul_f32_e32 v15, v13, v13
	s_delay_alu instid0(VALU_DEP_1) | instskip(SKIP_1) | instid1(VALU_DEP_2)
	v_fmaak_f32 v16, s20, v15, 0xbf1f24be
	v_dual_fmaak_f32 v17, s21, v15, 0x3e642e9d :: v_dual_mul_f32 v18, v13, v15
	v_fmaak_f32 v16, v15, v16, 0x40234736
	s_delay_alu instid0(VALU_DEP_2) | instskip(NEXT) | instid1(VALU_DEP_2)
	v_fmaak_f32 v17, v15, v17, 0xbfaad1da
	v_fmaak_f32 v16, v15, v16, 0xc0a55e0e
	s_delay_alu instid0(VALU_DEP_1) | instskip(NEXT) | instid1(VALU_DEP_1)
	v_mul_f32_e32 v16, v18, v16
	v_fmac_f32_e32 v16, 0x40490fdb, v13
	v_dual_lshlrev_b32 v14, 30, v14 :: v_dual_bitop2_b32 v18, 1, v14 bitop3:0x40
	v_fmaak_f32 v17, v15, v17, 0x4081e0d3
	s_delay_alu instid0(VALU_DEP_2) | instskip(NEXT) | instid1(VALU_DEP_3)
	v_cmp_eq_u32_e64 s0, 0, v18
	v_and_or_b32 v12, 0x80000000, v14, v12
	s_delay_alu instid0(VALU_DEP_3) | instskip(NEXT) | instid1(VALU_DEP_1)
	v_fmaak_f32 v17, v15, v17, 0xc09de9e6
	v_fma_f32 v13, v15, v17, 1.0
	s_delay_alu instid0(VALU_DEP_1) | instskip(NEXT) | instid1(VALU_DEP_1)
	v_cndmask_b32_e64 v13, v13, v16, s0
	v_xor3_b32 v12, v12, v13, v10
	s_delay_alu instid0(VALU_DEP_1) | instskip(NEXT) | instid1(VALU_DEP_1)
	v_mul_f32_e32 v12, v10, v12
	v_frexp_mant_f32_e64 v13, |v12|
	v_frexp_exp_i32_f32_e32 v12, v12
	s_delay_alu instid0(VALU_DEP_2) | instskip(SKIP_1) | instid1(TRANS32_DEP_1)
	v_rcp_f32_e32 v13, v13
	v_nop
	v_dual_mul_f32 v13, 0x3f490fdb, v13 :: v_dual_sub_nc_u32 v12, 2, v12
	s_delay_alu instid0(VALU_DEP_1) | instskip(NEXT) | instid1(VALU_DEP_1)
	v_ldexp_f32 v12, v13, v12
	v_cmp_gt_f32_e64 s0, 0x800000, v12
	s_delay_alu instid0(VALU_DEP_1) | instskip(NEXT) | instid1(VALU_DEP_1)
	v_cndmask_b32_e64 v13, 0, 32, s0
	v_ldexp_f32 v12, v12, v13
	s_delay_alu instid0(VALU_DEP_1) | instskip(SKIP_1) | instid1(TRANS32_DEP_1)
	v_log_f32_e32 v12, v12
	v_nop
	v_mul_f32_e32 v13, 0x3f317217, v12
	v_cmp_gt_f32_e64 s1, 0x7f800000, |v12|
	s_delay_alu instid0(VALU_DEP_2) | instskip(NEXT) | instid1(VALU_DEP_1)
	v_fma_f32 v14, 0x3f317217, v12, -v13
	v_fmac_f32_e32 v14, 0x3377d1cf, v12
	s_delay_alu instid0(VALU_DEP_1) | instskip(SKIP_1) | instid1(VALU_DEP_2)
	v_add_f32_e32 v13, v13, v14
	v_floor_f32_e32 v14, v10
	v_cndmask_b32_e64 v12, v12, v13, s1
	v_cndmask_b32_e64 v13, 0, 0x41b17218, s0
	s_delay_alu instid0(VALU_DEP_1) | instskip(NEXT) | instid1(VALU_DEP_1)
	v_dual_sub_f32 v14, v10, v14 :: v_dual_sub_f32 v12, v12, v13
	v_min_num_f32_e32 v13, 0x3f7fffff, v14
	s_delay_alu instid0(VALU_DEP_2) | instskip(NEXT) | instid1(VALU_DEP_2)
	v_sub_f32_e32 v11, v12, v11
	v_cmp_neq_f32_e64 s0, 0, v13
	s_delay_alu instid0(VALU_DEP_1)
	v_cndmask_b32_e64 v11, 0x7f800000, v11, s0
.LBB15_212:                             ;   in Loop: Header=BB15_177 Depth=1
	s_or_b32 exec_lo, exec_lo, s3
.LBB15_213:                             ;   in Loop: Header=BB15_177 Depth=1
	s_and_not1_saveexec_b32 s2, s2
; %bb.214:                              ;   in Loop: Header=BB15_177 Depth=1
	v_cmp_eq_f32_e64 s0, 1.0, v10
	v_cmp_eq_f32_e64 s1, 2.0, v10
	s_or_b32 s0, s0, s1
	s_delay_alu instid0(SALU_CYCLE_1)
	v_cndmask_b32_e64 v11, v11, 0, s0
; %bb.215:                              ;   in Loop: Header=BB15_177 Depth=1
	s_or_b32 exec_lo, exec_lo, s2
	v_and_b32_e32 v12, 0xffff0000, v8
                                        ; implicit-def: $vgpr13
	s_mov_b32 s1, exec_lo
	s_delay_alu instid0(VALU_DEP_1)
	v_and_b32_e32 v14, 0x7fffffff, v12
	v_cmpx_ngt_f32_e64 0x3c800000, |v12|
	s_xor_b32 s2, exec_lo, s1
	s_cbranch_execz .LBB15_245
; %bb.216:                              ;   in Loop: Header=BB15_177 Depth=1
                                        ; implicit-def: $vgpr13
	s_mov_b32 s1, exec_lo
	v_cmpx_nlt_f32_e64 |v12|, 2.0
	s_xor_b32 s3, exec_lo, s1
	s_cbranch_execz .LBB15_226
; %bb.217:                              ;   in Loop: Header=BB15_177 Depth=1
	s_mov_b32 s1, exec_lo
                                        ; implicit-def: $vgpr13
	v_cmpx_ngt_f32_e64 0x41000000, |v12|
	s_xor_b32 s1, exec_lo, s1
	s_cbranch_execz .LBB15_223
; %bb.218:                              ;   in Loop: Header=BB15_177 Depth=1
	s_mov_b32 s4, exec_lo
                                        ; implicit-def: $vgpr13
	v_cmpx_ngt_f32_e64 0x5c800000, |v12|
	s_xor_b32 s4, exec_lo, s4
	s_cbranch_execz .LBB15_220
; %bb.219:                              ;   in Loop: Header=BB15_177 Depth=1
	v_cmp_gt_f32_e64 s23, 0x800000, |v12|
	s_delay_alu instid0(VALU_DEP_1) | instskip(NEXT) | instid1(VALU_DEP_1)
	v_cndmask_b32_e64 v13, 0, 32, s23
	v_ldexp_f32 v13, |v12|, v13
	s_delay_alu instid0(VALU_DEP_1) | instskip(SKIP_1) | instid1(TRANS32_DEP_1)
	v_log_f32_e32 v13, v13
	v_nop
	v_mul_f32_e32 v15, 0x3f317217, v13
	v_cmp_gt_f32_e64 s0, 0x7f800000, |v13|
	s_delay_alu instid0(VALU_DEP_2) | instskip(NEXT) | instid1(VALU_DEP_1)
	v_fma_f32 v16, 0x3f317217, v13, -v15
	v_fmac_f32_e32 v16, 0x3377d1cf, v13
	s_delay_alu instid0(VALU_DEP_1) | instskip(NEXT) | instid1(VALU_DEP_1)
	v_add_f32_e32 v15, v15, v16
	v_cndmask_b32_e64 v13, v13, v15, s0
	v_cndmask_b32_e64 v15, 0, 0x41b17218, s23
	s_delay_alu instid0(VALU_DEP_1) | instskip(NEXT) | instid1(VALU_DEP_1)
	v_sub_f32_e32 v13, v13, v15
	v_fma_f32 v13, |v12|, v13, -|v12|
.LBB15_220:                             ;   in Loop: Header=BB15_177 Depth=1
	s_and_not1_saveexec_b32 s4, s4
	s_cbranch_execz .LBB15_222
; %bb.221:                              ;   in Loop: Header=BB15_177 Depth=1
	v_cmp_gt_f32_e64 s23, 0x800000, |v12|
	v_rcp_f32_e64 v15, |v12|
	s_delay_alu instid0(VALU_DEP_1) | instskip(NEXT) | instid1(VALU_DEP_1)
	v_cndmask_b32_e64 v13, 0, 32, s23
	v_ldexp_f32 v13, |v12|, v13
	s_delay_alu instid0(VALU_DEP_1) | instskip(SKIP_1) | instid1(TRANS32_DEP_1)
	v_log_f32_e32 v13, v13
	v_nop
	v_dual_mul_f32 v16, v15, v15 :: v_dual_mul_f32 v17, 0x3f317217, v13
	v_cmp_gt_f32_e64 s0, 0x7f800000, |v13|
	s_delay_alu instid0(VALU_DEP_2) | instskip(NEXT) | instid1(VALU_DEP_1)
	v_fma_f32 v19, 0x3f317217, v13, -v17
	v_fmac_f32_e32 v19, 0x3377d1cf, v13
	s_delay_alu instid0(VALU_DEP_1) | instskip(NEXT) | instid1(VALU_DEP_1)
	v_dual_fmaak_f32 v18, s5, v16, 0x3a5b3dd2 :: v_dual_add_f32 v17, v17, v19
	v_cndmask_b32_e64 v13, v13, v17, s0
	v_cndmask_b32_e64 v17, 0, 0x41b17218, s23
	s_delay_alu instid0(VALU_DEP_1) | instskip(NEXT) | instid1(VALU_DEP_1)
	v_dual_fmaak_f32 v18, v16, v18, 0xba1c065c :: v_dual_sub_f32 v17, v13, v17
	v_fmaak_f32 v18, v16, v18, 0x3a500cfd
	s_delay_alu instid0(VALU_DEP_1) | instskip(NEXT) | instid1(VALU_DEP_1)
	v_fmaak_f32 v18, v16, v18, 0xbb360b61
	v_fmaak_f32 v16, v16, v18, 0x3daaaaab
	s_delay_alu instid0(VALU_DEP_1) | instskip(SKIP_2) | instid1(VALU_DEP_1)
	v_fmaak_f32 v13, v15, v16, 0x3ed67f1d
	v_add_f32_e64 v15, |v12|, -0.5
	v_add_f32_e32 v16, -1.0, v17
	v_fmac_f32_e32 v13, v15, v16
.LBB15_222:                             ;   in Loop: Header=BB15_177 Depth=1
	s_or_b32 exec_lo, exec_lo, s4
.LBB15_223:                             ;   in Loop: Header=BB15_177 Depth=1
	s_and_not1_saveexec_b32 s4, s1
	s_cbranch_execz .LBB15_225
; %bb.224:                              ;   in Loop: Header=BB15_177 Depth=1
	v_cvt_i32_f32_e32 v13, v14
	s_delay_alu instid0(VALU_DEP_1) | instskip(SKIP_1) | instid1(VALU_DEP_2)
	v_cvt_f32_i32_e32 v15, v13
	v_cmp_lt_i32_e64 s0, 3, v13
	v_sub_f32_e64 v16, |v12|, v15
	s_delay_alu instid0(VALU_DEP_1) | instskip(NEXT) | instid1(VALU_DEP_1)
	v_pk_add_f32 v[18:19], v[16:17], v[4:5] op_sel_hi:[0,1]
	v_dual_add_f32 v15, 4.0, v16 :: v_dual_cndmask_b32 v17, 1.0, v19, s0
	v_cmp_lt_i32_e64 s0, 2, v13
	v_add_f32_e32 v19, 0x40a00000, v16
	s_delay_alu instid0(VALU_DEP_2) | instskip(SKIP_1) | instid1(VALU_DEP_1)
	v_cndmask_b32_e64 v18, 1.0, v18, s0
	v_cmp_lt_i32_e64 s0, 4, v13
	v_dual_cndmask_b32 v15, 1.0, v15, s0 :: v_dual_mul_f32 v17, v18, v17
	v_add_f32_e32 v18, 0x40c00000, v16
	v_cmp_lt_i32_e64 s0, 5, v13
	s_delay_alu instid0(VALU_DEP_1) | instskip(SKIP_1) | instid1(VALU_DEP_1)
	v_dual_mul_f32 v15, v15, v17 :: v_dual_cndmask_b32 v19, 1.0, v19, s0
	v_cmp_lt_i32_e64 s0, 6, v13
	v_dual_mul_f32 v15, v19, v15 :: v_dual_cndmask_b32 v13, 1.0, v18, s0
	s_delay_alu instid0(VALU_DEP_1) | instskip(NEXT) | instid1(VALU_DEP_1)
	v_dual_fmaak_f32 v18, s10, v16, 0x3af135b4 :: v_dual_mul_f32 v13, v13, v15
	v_cmp_gt_f32_e64 s0, 0x800000, v13
	s_delay_alu instid0(VALU_DEP_1) | instskip(NEXT) | instid1(VALU_DEP_1)
	v_cndmask_b32_e64 v17, 0, 32, s0
	v_ldexp_f32 v13, v13, v17
	s_delay_alu instid0(VALU_DEP_4) | instskip(NEXT) | instid1(VALU_DEP_2)
	v_fmaak_f32 v17, v16, v18, 0x3cda40e4
	v_log_f32_e32 v13, v13
	s_delay_alu instid0(VALU_DEP_1) | instskip(NEXT) | instid1(VALU_DEP_1)
	v_fmaak_f32 v17, v16, v17, 0x3e15dce6
	v_fmaak_f32 v17, v16, v17, 0x3ea6cc7a
	s_delay_alu instid0(TRANS32_DEP_1) | instskip(NEXT) | instid1(VALU_DEP_2)
	v_cmp_gt_f32_e64 s1, 0x7f800000, |v13|
	v_fmaak_f32 v17, v16, v17, 0x3e5c245a
	s_delay_alu instid0(VALU_DEP_1) | instskip(NEXT) | instid1(VALU_DEP_1)
	v_fmaak_f32 v17, v16, v17, 0xbd9e233f
	v_mul_f32_e32 v17, v16, v17
	v_mul_f32_e32 v18, 0x3f317217, v13
	s_delay_alu instid0(VALU_DEP_1) | instskip(NEXT) | instid1(VALU_DEP_1)
	v_fma_f32 v19, 0x3f317217, v13, -v18
	v_fmac_f32_e32 v19, 0x3377d1cf, v13
	s_delay_alu instid0(VALU_DEP_1) | instskip(NEXT) | instid1(VALU_DEP_1)
	v_dual_fmaak_f32 v15, s11, v16, 0x3a4beed6 :: v_dual_add_f32 v18, v18, v19
	v_fmaak_f32 v15, v16, v15, 0x3c98bf54
	s_delay_alu instid0(VALU_DEP_2) | instskip(NEXT) | instid1(VALU_DEP_2)
	v_cndmask_b32_e64 v13, v13, v18, s1
	v_fmaak_f32 v15, v16, v15, 0x3e300f6e
	s_delay_alu instid0(VALU_DEP_1) | instskip(NEXT) | instid1(VALU_DEP_1)
	v_fmaak_f32 v15, v16, v15, 0x3f38d0c5
	v_fmaak_f32 v15, v16, v15, 0x3fb22d3b
	s_delay_alu instid0(VALU_DEP_1) | instskip(NEXT) | instid1(VALU_DEP_1)
	v_fma_f32 v15, v16, v15, 1.0
	v_rcp_f32_e32 v15, v15
	v_nop
	s_delay_alu instid0(TRANS32_DEP_1) | instskip(SKIP_1) | instid1(VALU_DEP_1)
	v_mul_f32_e32 v15, v17, v15
	v_cndmask_b32_e64 v17, 0, 0x41b17218, s0
	v_dual_fmac_f32 v15, 0.5, v16 :: v_dual_sub_f32 v13, v13, v17
	s_delay_alu instid0(VALU_DEP_1)
	v_add_f32_e32 v13, v13, v15
.LBB15_225:                             ;   in Loop: Header=BB15_177 Depth=1
	s_or_b32 exec_lo, exec_lo, s4
.LBB15_226:                             ;   in Loop: Header=BB15_177 Depth=1
	s_and_not1_saveexec_b32 s3, s3
	s_cbranch_execz .LBB15_244
; %bb.227:                              ;   in Loop: Header=BB15_177 Depth=1
                                        ; implicit-def: $vgpr13
                                        ; implicit-def: $vgpr16
                                        ; implicit-def: $vgpr15
	s_mov_b32 s1, exec_lo
	v_cmpx_ge_f32_e64 0x3f666666, |v12|
	s_xor_b32 s4, exec_lo, s1
	s_cbranch_execz .LBB15_229
; %bb.228:                              ;   in Loop: Header=BB15_177 Depth=1
	v_cmp_gt_f32_e64 s1, 0x800000, |v12|
	v_sub_f32_e64 v17, 1.0, |v12|
	v_cmp_gt_f32_e64 s0, 0x3f3b4a23, |v12|
	s_delay_alu instid0(VALU_DEP_3) | instskip(SKIP_1) | instid1(VALU_DEP_2)
	v_cndmask_b32_e64 v13, 0, 32, s1
	v_cndmask_b32_e64 v18, 0, 0x41b17218, s1
	v_ldexp_f32 v13, |v12|, v13
	s_delay_alu instid0(VALU_DEP_1) | instskip(SKIP_1) | instid1(TRANS32_DEP_1)
	v_log_f32_e32 v13, v13
	v_nop
	v_mul_f32_e32 v15, 0x3f317217, v13
	v_cmp_gt_f32_e64 s1, 0x7f800000, |v13|
	s_delay_alu instid0(VALU_DEP_2) | instskip(NEXT) | instid1(VALU_DEP_1)
	v_fma_f32 v16, 0x3f317217, v13, -v15
	v_fmac_f32_e32 v16, 0x3377d1cf, v13
	s_delay_alu instid0(VALU_DEP_1) | instskip(SKIP_1) | instid1(VALU_DEP_2)
	v_add_f32_e32 v15, v15, v16
	v_add_f32_e64 v16, 0xbeec5b0c, |v12|
	v_cndmask_b32_e64 v13, v13, v15, s1
	s_delay_alu instid0(VALU_DEP_2) | instskip(SKIP_2) | instid1(VALU_DEP_4)
	v_cndmask_b32_e64 v15, v17, v16, s0
	v_cndmask_b32_e64 v16, 0, 1, s0
	v_cmp_gt_f32_e64 s0, 0x3e6d3309, |v12|
	v_sub_f32_e32 v13, v13, v18
	s_delay_alu instid0(VALU_DEP_2) | instskip(NEXT) | instid1(VALU_DEP_4)
	v_cndmask_b32_e64 v15, v15, |v12|, s0
	v_cndmask_b32_e64 v16, v16, 2, s0
	s_delay_alu instid0(VALU_DEP_3)
	v_xor_b32_e32 v13, 0x80000000, v13
.LBB15_229:                             ;   in Loop: Header=BB15_177 Depth=1
	s_and_not1_saveexec_b32 s1, s4
	s_cbranch_execz .LBB15_231
; %bb.230:                              ;   in Loop: Header=BB15_177 Depth=1
	v_sub_f32_e64 v13, 2.0, |v12|
	v_add_f32_e64 v15, 0xbfbb16c3, |v12|
	v_cmp_gt_f32_e64 s0, 0x3fdda512, |v12|
	v_add_f32_e64 v16, |v12|, -1.0
	s_delay_alu instid0(VALU_DEP_2) | instskip(SKIP_2) | instid1(VALU_DEP_2)
	v_cndmask_b32_e64 v15, v13, v15, s0
	v_cndmask_b32_e64 v13, v13, 1.0, s0
	v_cmp_gt_f32_e64 s0, 0x3f9d70a4, |v12|
	v_cvt_i32_f32_e32 v13, v13
	s_delay_alu instid0(VALU_DEP_2) | instskip(NEXT) | instid1(VALU_DEP_2)
	v_cndmask_b32_e64 v15, v15, v16, s0
	v_cndmask_b32_e64 v16, v13, 2, s0
	v_mov_b32_e32 v13, 0
.LBB15_231:                             ;   in Loop: Header=BB15_177 Depth=1
	s_or_b32 exec_lo, exec_lo, s1
	s_delay_alu instid0(SALU_CYCLE_1) | instskip(NEXT) | instid1(VALU_DEP_2)
	s_mov_b32 s1, exec_lo
	v_cmpx_lt_i32_e32 0, v16
	s_xor_b32 s1, exec_lo, s1
	s_cbranch_execz .LBB15_239
; %bb.232:                              ;   in Loop: Header=BB15_177 Depth=1
	s_mov_b32 s4, exec_lo
	v_cmpx_lt_i32_e32 1, v16
	s_xor_b32 s4, exec_lo, s4
	s_cbranch_execz .LBB15_236
; %bb.233:                              ;   in Loop: Header=BB15_177 Depth=1
	s_mov_b32 s23, exec_lo
	v_cmpx_eq_u32_e32 2, v16
	s_cbranch_execz .LBB15_235
; %bb.234:                              ;   in Loop: Header=BB15_177 Depth=1
	v_fmaak_f32 v17, s12, v15, 0x3e6a7578
	s_delay_alu instid0(VALU_DEP_1) | instskip(NEXT) | instid1(VALU_DEP_1)
	v_fmaak_f32 v17, v15, v17, 0x3f7a4bb2
	v_fmaak_f32 v17, v15, v17, 0x3fba3ae7
	s_delay_alu instid0(VALU_DEP_1) | instskip(NEXT) | instid1(VALU_DEP_1)
	v_fmaak_f32 v17, v15, v17, 0x3f2200f4
	v_fmaak_f32 v17, v15, v17, 0xbd9e233f
	s_delay_alu instid0(VALU_DEP_1) | instskip(NEXT) | instid1(VALU_DEP_1)
	v_dual_fmaak_f32 v16, s13, v15, 0x3dd572af :: v_dual_mul_f32 v17, v15, v17
	v_fmaak_f32 v16, v15, v16, 0x3f44efdf
	s_delay_alu instid0(VALU_DEP_1) | instskip(NEXT) | instid1(VALU_DEP_1)
	v_fmaak_f32 v16, v15, v16, 0x4008392d
	v_fmaak_f32 v16, v15, v16, 0x401d2ebe
	s_delay_alu instid0(VALU_DEP_1) | instskip(NEXT) | instid1(VALU_DEP_1)
	v_fma_f32 v16, v15, v16, 1.0
	v_rcp_f32_e32 v16, v16
	v_nop
	s_delay_alu instid0(TRANS32_DEP_1) | instskip(NEXT) | instid1(VALU_DEP_1)
	v_mul_f32_e32 v16, v17, v16
	v_fmac_f32_e32 v16, -0.5, v15
	s_delay_alu instid0(VALU_DEP_1)
	v_add_f32_e32 v13, v13, v16
.LBB15_235:                             ;   in Loop: Header=BB15_177 Depth=1
	s_or_b32 exec_lo, exec_lo, s23
                                        ; implicit-def: $vgpr15
.LBB15_236:                             ;   in Loop: Header=BB15_177 Depth=1
	s_and_not1_saveexec_b32 s0, s4
	s_cbranch_execz .LBB15_238
; %bb.237:                              ;   in Loop: Header=BB15_177 Depth=1
	v_mul_f32_e32 v16, v15, v15
	s_delay_alu instid0(VALU_DEP_1) | instskip(NEXT) | instid1(VALU_DEP_1)
	v_mul_f32_e32 v17, v15, v16
	v_fmaak_f32 v18, s15, v17, 0x3a66f867
	v_fmaak_f32 v19, s16, v17, 0xba0d3085
	s_delay_alu instid0(VALU_DEP_2) | instskip(NEXT) | instid1(VALU_DEP_2)
	v_fmaak_f32 v18, v17, v18, 0xbb7177fe
	v_fmaak_f32 v19, v17, v19, 0x3b141699
	s_delay_alu instid0(VALU_DEP_2) | instskip(NEXT) | instid1(VALU_DEP_2)
	;; [unrolled: 3-line block ×3, first 2 shown]
	v_fmaak_f32 v18, v17, v18, 0xbe17213c
	v_fmaak_f32 v19, v17, v19, 0x3d845a15
	s_delay_alu instid0(VALU_DEP_1) | instskip(SKIP_1) | instid1(VALU_DEP_1)
	v_fmac_f32_e32 v18, v15, v19
	v_fmaak_f32 v20, s14, v17, 0xbab7f476
	v_fmaak_f32 v20, v17, v20, 0x3bc7e707
	s_delay_alu instid0(VALU_DEP_1) | instskip(NEXT) | instid1(VALU_DEP_1)
	v_fmaak_f32 v20, v17, v20, 0xbd064d47
	v_fmaak_f32 v15, v17, v20, 0x3ef7b95e
	v_fma_f32 v17, v17, -v18, 0xa2863e55
	s_delay_alu instid0(VALU_DEP_1) | instskip(NEXT) | instid1(VALU_DEP_1)
	v_fma_f32 v15, v16, v15, -v17
	v_add_f32_e32 v15, 0xbdf8cdce, v15
	s_delay_alu instid0(VALU_DEP_1)
	v_add_f32_e32 v13, v13, v15
.LBB15_238:                             ;   in Loop: Header=BB15_177 Depth=1
	s_or_b32 exec_lo, exec_lo, s0
                                        ; implicit-def: $vgpr16
                                        ; implicit-def: $vgpr15
.LBB15_239:                             ;   in Loop: Header=BB15_177 Depth=1
	s_and_not1_saveexec_b32 s1, s1
	s_cbranch_execz .LBB15_243
; %bb.240:                              ;   in Loop: Header=BB15_177 Depth=1
	s_mov_b32 s4, exec_lo
	v_cmpx_eq_u32_e32 0, v16
	s_cbranch_execz .LBB15_242
; %bb.241:                              ;   in Loop: Header=BB15_177 Depth=1
	v_mul_f32_e32 v16, v15, v15
	s_delay_alu instid0(VALU_DEP_1) | instskip(NEXT) | instid1(VALU_DEP_1)
	v_fmaak_f32 v18, s17, v16, 0x39679767
	v_fmaak_f32 v18, v16, v18, 0x3a9c54a1
	s_delay_alu instid0(VALU_DEP_1) | instskip(NEXT) | instid1(VALU_DEP_1)
	v_fmaak_f32 v18, v16, v18, 0x3bf2027e
	v_fmaak_f32 v18, v16, v18, 0x3d89f001
	s_delay_alu instid0(VALU_DEP_1) | instskip(SKIP_1) | instid1(VALU_DEP_1)
	v_fmaak_f32 v18, v16, v18, 0x3d9e233f
	v_fmaak_f32 v17, s18, v16, 0x38e28445
	;; [unrolled: 1-line block ×3, first 2 shown]
	s_delay_alu instid0(VALU_DEP_1) | instskip(NEXT) | instid1(VALU_DEP_1)
	v_fmaak_f32 v17, v16, v17, 0x3b3d6ec6
	v_fmaak_f32 v17, v16, v17, 0x3ca89915
	s_delay_alu instid0(VALU_DEP_1) | instskip(NEXT) | instid1(VALU_DEP_1)
	v_fmaak_f32 v17, v16, v17, 0x3ea51a66
	v_mul_f32_e32 v16, v16, v17
	s_delay_alu instid0(VALU_DEP_1) | instskip(NEXT) | instid1(VALU_DEP_1)
	v_fmac_f32_e32 v16, v15, v18
	v_fmac_f32_e32 v16, -0.5, v15
	s_delay_alu instid0(VALU_DEP_1)
	v_add_f32_e32 v13, v13, v16
.LBB15_242:                             ;   in Loop: Header=BB15_177 Depth=1
	s_or_b32 exec_lo, exec_lo, s4
.LBB15_243:                             ;   in Loop: Header=BB15_177 Depth=1
	s_delay_alu instid0(SALU_CYCLE_1)
	s_or_b32 exec_lo, exec_lo, s1
.LBB15_244:                             ;   in Loop: Header=BB15_177 Depth=1
	s_delay_alu instid0(SALU_CYCLE_1)
	s_or_b32 exec_lo, exec_lo, s3
.LBB15_245:                             ;   in Loop: Header=BB15_177 Depth=1
	s_and_not1_saveexec_b32 s1, s2
	s_cbranch_execz .LBB15_247
; %bb.246:                              ;   in Loop: Header=BB15_177 Depth=1
	v_cmp_gt_f32_e64 s2, 0x800000, |v12|
	v_fma_f32 v17, |v12|, s19, 0xbecd26ab
	s_delay_alu instid0(VALU_DEP_2) | instskip(NEXT) | instid1(VALU_DEP_1)
	v_cndmask_b32_e64 v13, 0, 32, s2
	v_ldexp_f32 v13, |v12|, v13
	s_delay_alu instid0(VALU_DEP_1) | instskip(SKIP_1) | instid1(TRANS32_DEP_1)
	v_log_f32_e32 v13, v13
	v_nop
	v_mul_f32_e32 v15, 0x3f317217, v13
	v_cmp_gt_f32_e64 s0, 0x7f800000, |v13|
	s_delay_alu instid0(VALU_DEP_2) | instskip(NEXT) | instid1(VALU_DEP_1)
	v_fma_f32 v16, 0x3f317217, v13, -v15
	v_fmac_f32_e32 v16, 0x3377d1cf, v13
	s_delay_alu instid0(VALU_DEP_1) | instskip(SKIP_1) | instid1(VALU_DEP_2)
	v_add_f32_e32 v15, v15, v16
	v_fma_f32 v16, |v12|, v17, 0x3f528d33
	v_cndmask_b32_e64 v13, v13, v15, s0
	v_cndmask_b32_e64 v15, 0, 0x41b17218, s2
	s_delay_alu instid0(VALU_DEP_3) | instskip(NEXT) | instid1(VALU_DEP_2)
	v_fma_f32 v16, |v12|, v16, 0xbf13c468
	v_sub_f32_e32 v13, v13, v15
	s_delay_alu instid0(VALU_DEP_1)
	v_fma_f32 v13, |v12|, v16, -v13
.LBB15_247:                             ;   in Loop: Header=BB15_177 Depth=1
	s_or_b32 exec_lo, exec_lo, s1
	v_cmp_le_f32_e64 s0, 0, v12
	s_mov_b32 s2, exec_lo
	v_cmpx_nle_f32_e32 0, v12
	s_xor_b32 s3, exec_lo, s2
	s_cbranch_execz .LBB15_251
; %bb.248:                              ;   in Loop: Header=BB15_177 Depth=1
	v_cmp_gt_f32_e64 s1, 0x4b000000, |v12|
	v_cmp_lt_f32_e64 s2, 0x35000000, |v12|
	s_and_b32 s1, s1, s2
	s_delay_alu instid0(SALU_CYCLE_1)
	s_and_saveexec_b32 s4, s1
	s_cbranch_execz .LBB15_250
; %bb.249:                              ;   in Loop: Header=BB15_177 Depth=1
	v_mul_f32_e64 v15, |v12|, 0.5
	s_delay_alu instid0(VALU_DEP_1) | instskip(SKIP_1) | instid1(VALU_DEP_2)
	v_floor_f32_e32 v16, v15
	v_cmp_neq_f32_e64 s1, 0x7f800000, v15
	v_sub_f32_e32 v16, v15, v16
	s_delay_alu instid0(VALU_DEP_1) | instskip(NEXT) | instid1(VALU_DEP_1)
	v_min_num_f32_e32 v16, 0x3f7fffff, v16
	v_add_f32_e32 v16, v16, v16
	s_delay_alu instid0(VALU_DEP_1) | instskip(SKIP_1) | instid1(VALU_DEP_1)
	v_cndmask_b32_e64 v15, 0, v16, s1
	v_cmp_gt_f32_e64 s1, |v12|, 1.0
	v_cndmask_b32_e64 v15, |v12|, v15, s1
	s_delay_alu instid0(VALU_DEP_1) | instskip(NEXT) | instid1(VALU_DEP_1)
	v_add_f32_e32 v16, v15, v15
	v_rndne_f32_e32 v16, v16
	s_delay_alu instid0(VALU_DEP_1) | instskip(SKIP_1) | instid1(VALU_DEP_2)
	v_fmac_f32_e32 v15, -0.5, v16
	v_cvt_i32_f32_e32 v16, v16
	v_mul_f32_e32 v17, v15, v15
	s_delay_alu instid0(VALU_DEP_1) | instskip(SKIP_1) | instid1(VALU_DEP_2)
	v_fmaak_f32 v18, s20, v17, 0xbf1f24be
	v_dual_fmaak_f32 v19, s21, v17, 0x3e642e9d :: v_dual_mul_f32 v20, v15, v17
	v_fmaak_f32 v18, v17, v18, 0x40234736
	s_delay_alu instid0(VALU_DEP_2) | instskip(NEXT) | instid1(VALU_DEP_2)
	v_fmaak_f32 v19, v17, v19, 0xbfaad1da
	v_fmaak_f32 v18, v17, v18, 0xc0a55e0e
	s_delay_alu instid0(VALU_DEP_1) | instskip(NEXT) | instid1(VALU_DEP_1)
	v_mul_f32_e32 v18, v20, v18
	v_fmac_f32_e32 v18, 0x40490fdb, v15
	v_dual_lshlrev_b32 v16, 30, v16 :: v_dual_bitop2_b32 v20, 1, v16 bitop3:0x40
	v_fmaak_f32 v19, v17, v19, 0x4081e0d3
	s_delay_alu instid0(VALU_DEP_2) | instskip(NEXT) | instid1(VALU_DEP_3)
	v_cmp_eq_u32_e64 s1, 0, v20
	v_and_or_b32 v14, 0x80000000, v16, v14
	s_delay_alu instid0(VALU_DEP_3) | instskip(NEXT) | instid1(VALU_DEP_1)
	v_fmaak_f32 v19, v17, v19, 0xc09de9e6
	v_fma_f32 v15, v17, v19, 1.0
	s_delay_alu instid0(VALU_DEP_1) | instskip(NEXT) | instid1(VALU_DEP_1)
	v_cndmask_b32_e64 v15, v15, v18, s1
	v_xor3_b32 v14, v14, v15, v12
	s_delay_alu instid0(VALU_DEP_1) | instskip(NEXT) | instid1(VALU_DEP_1)
	v_mul_f32_e32 v14, v12, v14
	v_frexp_mant_f32_e64 v15, |v14|
	v_frexp_exp_i32_f32_e32 v14, v14
	s_delay_alu instid0(VALU_DEP_2) | instskip(SKIP_1) | instid1(TRANS32_DEP_1)
	v_rcp_f32_e32 v15, v15
	v_nop
	v_dual_mul_f32 v15, 0x3f490fdb, v15 :: v_dual_sub_nc_u32 v14, 2, v14
	s_delay_alu instid0(VALU_DEP_1) | instskip(NEXT) | instid1(VALU_DEP_1)
	v_ldexp_f32 v14, v15, v14
	v_cmp_gt_f32_e64 s1, 0x800000, v14
	s_delay_alu instid0(VALU_DEP_1) | instskip(NEXT) | instid1(VALU_DEP_1)
	v_cndmask_b32_e64 v15, 0, 32, s1
	v_ldexp_f32 v14, v14, v15
	s_delay_alu instid0(VALU_DEP_1) | instskip(SKIP_1) | instid1(TRANS32_DEP_1)
	v_log_f32_e32 v14, v14
	v_nop
	v_mul_f32_e32 v15, 0x3f317217, v14
	v_cmp_gt_f32_e64 s2, 0x7f800000, |v14|
	s_delay_alu instid0(VALU_DEP_2) | instskip(NEXT) | instid1(VALU_DEP_1)
	v_fma_f32 v16, 0x3f317217, v14, -v15
	v_fmac_f32_e32 v16, 0x3377d1cf, v14
	s_delay_alu instid0(VALU_DEP_1) | instskip(SKIP_1) | instid1(VALU_DEP_2)
	v_add_f32_e32 v15, v15, v16
	v_floor_f32_e32 v16, v12
	v_cndmask_b32_e64 v14, v14, v15, s2
	v_cndmask_b32_e64 v15, 0, 0x41b17218, s1
	s_delay_alu instid0(VALU_DEP_1) | instskip(NEXT) | instid1(VALU_DEP_1)
	v_dual_sub_f32 v16, v12, v16 :: v_dual_sub_f32 v14, v14, v15
	v_min_num_f32_e32 v15, 0x3f7fffff, v16
	s_delay_alu instid0(VALU_DEP_2) | instskip(NEXT) | instid1(VALU_DEP_2)
	v_sub_f32_e32 v13, v14, v13
	v_cmp_neq_f32_e64 s1, 0, v15
	s_delay_alu instid0(VALU_DEP_1)
	v_cndmask_b32_e64 v13, 0x7f800000, v13, s1
.LBB15_250:                             ;   in Loop: Header=BB15_177 Depth=1
	s_or_b32 exec_lo, exec_lo, s4
.LBB15_251:                             ;   in Loop: Header=BB15_177 Depth=1
	s_and_not1_saveexec_b32 s3, s3
; %bb.252:                              ;   in Loop: Header=BB15_177 Depth=1
	v_cmp_eq_f32_e64 s1, 1.0, v12
	v_cmp_eq_f32_e64 s2, 2.0, v12
	s_or_b32 s1, s1, s2
	s_delay_alu instid0(SALU_CYCLE_1)
	v_cndmask_b32_e64 v13, v13, 0, s1
; %bb.253:                              ;   in Loop: Header=BB15_177 Depth=1
	s_or_b32 exec_lo, exec_lo, s3
	v_alignbit_b32 v8, v9, v8, 16
                                        ; implicit-def: $vgpr14
	s_mov_b32 s2, exec_lo
	s_delay_alu instid0(VALU_DEP_1) | instskip(NEXT) | instid1(VALU_DEP_1)
	v_and_b32_e32 v8, 0xffff0000, v8
	v_and_b32_e32 v15, 0x7fffffff, v8
	v_cmpx_ngt_f32_e64 0x3c800000, |v8|
	s_xor_b32 s3, exec_lo, s2
	s_cbranch_execz .LBB15_283
; %bb.254:                              ;   in Loop: Header=BB15_177 Depth=1
                                        ; implicit-def: $vgpr14
	s_mov_b32 s2, exec_lo
	v_cmpx_nlt_f32_e64 |v8|, 2.0
	s_xor_b32 s4, exec_lo, s2
	s_cbranch_execz .LBB15_264
; %bb.255:                              ;   in Loop: Header=BB15_177 Depth=1
	s_mov_b32 s2, exec_lo
                                        ; implicit-def: $vgpr14
	v_cmpx_ngt_f32_e64 0x41000000, |v8|
	s_xor_b32 s2, exec_lo, s2
	s_cbranch_execz .LBB15_261
; %bb.256:                              ;   in Loop: Header=BB15_177 Depth=1
	s_mov_b32 s23, exec_lo
                                        ; implicit-def: $vgpr14
	v_cmpx_ngt_f32_e64 0x5c800000, |v8|
	s_xor_b32 s23, exec_lo, s23
	s_cbranch_execz .LBB15_258
; %bb.257:                              ;   in Loop: Header=BB15_177 Depth=1
	v_cmp_gt_f32_e64 s24, 0x800000, |v8|
	s_delay_alu instid0(VALU_DEP_1) | instskip(NEXT) | instid1(VALU_DEP_1)
	v_cndmask_b32_e64 v14, 0, 32, s24
	v_ldexp_f32 v14, |v8|, v14
	s_delay_alu instid0(VALU_DEP_1) | instskip(SKIP_1) | instid1(TRANS32_DEP_1)
	v_log_f32_e32 v14, v14
	v_nop
	v_mul_f32_e32 v16, 0x3f317217, v14
	v_cmp_gt_f32_e64 s1, 0x7f800000, |v14|
	s_delay_alu instid0(VALU_DEP_2) | instskip(NEXT) | instid1(VALU_DEP_1)
	v_fma_f32 v17, 0x3f317217, v14, -v16
	v_fmac_f32_e32 v17, 0x3377d1cf, v14
	s_delay_alu instid0(VALU_DEP_1) | instskip(NEXT) | instid1(VALU_DEP_1)
	v_add_f32_e32 v16, v16, v17
	v_cndmask_b32_e64 v14, v14, v16, s1
	v_cndmask_b32_e64 v16, 0, 0x41b17218, s24
	s_delay_alu instid0(VALU_DEP_1) | instskip(NEXT) | instid1(VALU_DEP_1)
	v_sub_f32_e32 v14, v14, v16
	v_fma_f32 v14, |v8|, v14, -|v8|
.LBB15_258:                             ;   in Loop: Header=BB15_177 Depth=1
	s_and_not1_saveexec_b32 s23, s23
	s_cbranch_execz .LBB15_260
; %bb.259:                              ;   in Loop: Header=BB15_177 Depth=1
	v_cmp_gt_f32_e64 s24, 0x800000, |v8|
	v_rcp_f32_e64 v16, |v8|
	s_delay_alu instid0(VALU_DEP_1) | instskip(NEXT) | instid1(VALU_DEP_1)
	v_cndmask_b32_e64 v14, 0, 32, s24
	v_ldexp_f32 v14, |v8|, v14
	s_delay_alu instid0(VALU_DEP_1) | instskip(SKIP_1) | instid1(TRANS32_DEP_1)
	v_log_f32_e32 v14, v14
	v_nop
	v_dual_mul_f32 v17, v16, v16 :: v_dual_mul_f32 v18, 0x3f317217, v14
	v_cmp_gt_f32_e64 s1, 0x7f800000, |v14|
	s_delay_alu instid0(VALU_DEP_2) | instskip(NEXT) | instid1(VALU_DEP_1)
	v_fma_f32 v20, 0x3f317217, v14, -v18
	v_fmac_f32_e32 v20, 0x3377d1cf, v14
	s_delay_alu instid0(VALU_DEP_1) | instskip(NEXT) | instid1(VALU_DEP_1)
	v_dual_fmaak_f32 v19, s5, v17, 0x3a5b3dd2 :: v_dual_add_f32 v18, v18, v20
	v_cndmask_b32_e64 v14, v14, v18, s1
	v_cndmask_b32_e64 v18, 0, 0x41b17218, s24
	s_delay_alu instid0(VALU_DEP_1) | instskip(NEXT) | instid1(VALU_DEP_1)
	v_dual_fmaak_f32 v19, v17, v19, 0xba1c065c :: v_dual_sub_f32 v18, v14, v18
	v_fmaak_f32 v19, v17, v19, 0x3a500cfd
	s_delay_alu instid0(VALU_DEP_1) | instskip(NEXT) | instid1(VALU_DEP_1)
	v_fmaak_f32 v19, v17, v19, 0xbb360b61
	v_fmaak_f32 v17, v17, v19, 0x3daaaaab
	s_delay_alu instid0(VALU_DEP_1) | instskip(SKIP_2) | instid1(VALU_DEP_1)
	v_fmaak_f32 v14, v16, v17, 0x3ed67f1d
	v_add_f32_e64 v16, |v8|, -0.5
	v_add_f32_e32 v17, -1.0, v18
	v_fmac_f32_e32 v14, v16, v17
.LBB15_260:                             ;   in Loop: Header=BB15_177 Depth=1
	s_or_b32 exec_lo, exec_lo, s23
.LBB15_261:                             ;   in Loop: Header=BB15_177 Depth=1
	s_and_not1_saveexec_b32 s23, s2
	s_cbranch_execz .LBB15_263
; %bb.262:                              ;   in Loop: Header=BB15_177 Depth=1
	v_cvt_i32_f32_e32 v18, v15
	s_delay_alu instid0(VALU_DEP_1) | instskip(SKIP_1) | instid1(VALU_DEP_2)
	v_cvt_f32_i32_e32 v14, v18
	v_cmp_lt_i32_e64 s1, 3, v18
	v_sub_f32_e64 v14, |v8|, v14
	s_delay_alu instid0(VALU_DEP_1) | instskip(SKIP_1) | instid1(VALU_DEP_2)
	v_pk_add_f32 v[16:17], v[14:15], v[4:5] op_sel_hi:[0,1]
	v_dual_add_f32 v19, 4.0, v14 :: v_dual_add_f32 v20, 0x40a00000, v14
	v_cndmask_b32_e64 v17, 1.0, v17, s1
	v_cmp_lt_i32_e64 s1, 2, v18
	s_delay_alu instid0(VALU_DEP_1) | instskip(SKIP_1) | instid1(VALU_DEP_1)
	v_cndmask_b32_e64 v16, 1.0, v16, s1
	v_cmp_lt_i32_e64 s1, 4, v18
	v_dual_cndmask_b32 v19, 1.0, v19, s1 :: v_dual_mul_f32 v16, v16, v17
	v_add_f32_e32 v17, 0x40c00000, v14
	v_cmp_lt_i32_e64 s1, 5, v18
	s_delay_alu instid0(VALU_DEP_3) | instskip(NEXT) | instid1(VALU_DEP_2)
	v_dual_mul_f32 v16, v19, v16 :: v_dual_fmaak_f32 v19, s10, v14, 0x3af135b4
	v_cndmask_b32_e64 v20, 1.0, v20, s1
	v_cmp_lt_i32_e64 s1, 6, v18
	s_delay_alu instid0(VALU_DEP_1) | instskip(NEXT) | instid1(VALU_DEP_1)
	v_dual_cndmask_b32 v17, 1.0, v17, s1 :: v_dual_mul_f32 v16, v20, v16
	v_dual_mul_f32 v16, v17, v16 :: v_dual_fmaak_f32 v17, s11, v14, 0x3a4beed6
	s_delay_alu instid0(VALU_DEP_1) | instskip(NEXT) | instid1(VALU_DEP_2)
	v_fmaak_f32 v17, v14, v17, 0x3c98bf54
	v_cmp_gt_f32_e64 s1, 0x800000, v16
	s_delay_alu instid0(VALU_DEP_1) | instskip(NEXT) | instid1(VALU_DEP_1)
	v_cndmask_b32_e64 v18, 0, 32, s1
	v_ldexp_f32 v16, v16, v18
	v_fmaak_f32 v18, v14, v19, 0x3cda40e4
	s_delay_alu instid0(VALU_DEP_2) | instskip(SKIP_1) | instid1(TRANS32_DEP_1)
	v_log_f32_e32 v16, v16
	v_nop
	v_mul_f32_e32 v19, 0x3f317217, v16
	v_cmp_gt_f32_e64 s2, 0x7f800000, |v16|
	s_delay_alu instid0(VALU_DEP_2) | instskip(NEXT) | instid1(VALU_DEP_1)
	v_fma_f32 v20, 0x3f317217, v16, -v19
	v_fmac_f32_e32 v20, 0x3377d1cf, v16
	s_delay_alu instid0(VALU_DEP_1) | instskip(NEXT) | instid1(VALU_DEP_1)
	v_dual_add_f32 v19, v19, v20 :: v_dual_fmaak_f32 v18, v14, v18, 0x3e15dce6
	v_cndmask_b32_e64 v16, v16, v19, s2
	s_delay_alu instid0(VALU_DEP_2) | instskip(NEXT) | instid1(VALU_DEP_1)
	v_fmaak_f32 v18, v14, v18, 0x3ea6cc7a
	v_fmaak_f32 v18, v14, v18, 0x3e5c245a
	s_delay_alu instid0(VALU_DEP_1) | instskip(NEXT) | instid1(VALU_DEP_1)
	v_fmaak_f32 v18, v14, v18, 0xbd9e233f
	v_dual_fmaak_f32 v17, v14, v17, 0x3e300f6e :: v_dual_mul_f32 v18, v14, v18
	s_delay_alu instid0(VALU_DEP_1) | instskip(NEXT) | instid1(VALU_DEP_1)
	v_fmaak_f32 v17, v14, v17, 0x3f38d0c5
	v_fmaak_f32 v17, v14, v17, 0x3fb22d3b
	s_delay_alu instid0(VALU_DEP_1) | instskip(NEXT) | instid1(VALU_DEP_1)
	v_fma_f32 v17, v14, v17, 1.0
	v_rcp_f32_e32 v17, v17
	v_nop
	s_delay_alu instid0(TRANS32_DEP_1) | instskip(SKIP_1) | instid1(VALU_DEP_2)
	v_mul_f32_e32 v17, v18, v17
	v_cndmask_b32_e64 v18, 0, 0x41b17218, s1
	v_fmac_f32_e32 v17, 0.5, v14
	s_delay_alu instid0(VALU_DEP_2) | instskip(NEXT) | instid1(VALU_DEP_1)
	v_sub_f32_e32 v14, v16, v18
	v_add_f32_e32 v14, v14, v17
.LBB15_263:                             ;   in Loop: Header=BB15_177 Depth=1
	s_or_b32 exec_lo, exec_lo, s23
.LBB15_264:                             ;   in Loop: Header=BB15_177 Depth=1
	s_and_not1_saveexec_b32 s4, s4
	s_cbranch_execz .LBB15_282
; %bb.265:                              ;   in Loop: Header=BB15_177 Depth=1
                                        ; implicit-def: $vgpr14
                                        ; implicit-def: $vgpr17
                                        ; implicit-def: $vgpr16
	s_mov_b32 s2, exec_lo
	v_cmpx_ge_f32_e64 0x3f666666, |v8|
	s_xor_b32 s23, exec_lo, s2
	s_cbranch_execz .LBB15_267
; %bb.266:                              ;   in Loop: Header=BB15_177 Depth=1
	v_cmp_gt_f32_e64 s2, 0x800000, |v8|
	v_sub_f32_e64 v18, 1.0, |v8|
	v_cmp_gt_f32_e64 s1, 0x3f3b4a23, |v8|
	s_delay_alu instid0(VALU_DEP_3) | instskip(SKIP_1) | instid1(VALU_DEP_2)
	v_cndmask_b32_e64 v14, 0, 32, s2
	v_cndmask_b32_e64 v19, 0, 0x41b17218, s2
	v_ldexp_f32 v14, |v8|, v14
	s_delay_alu instid0(VALU_DEP_1) | instskip(SKIP_1) | instid1(TRANS32_DEP_1)
	v_log_f32_e32 v14, v14
	v_nop
	v_mul_f32_e32 v16, 0x3f317217, v14
	v_cmp_gt_f32_e64 s2, 0x7f800000, |v14|
	s_delay_alu instid0(VALU_DEP_2) | instskip(NEXT) | instid1(VALU_DEP_1)
	v_fma_f32 v17, 0x3f317217, v14, -v16
	v_fmac_f32_e32 v17, 0x3377d1cf, v14
	s_delay_alu instid0(VALU_DEP_1) | instskip(SKIP_1) | instid1(VALU_DEP_2)
	v_add_f32_e32 v16, v16, v17
	v_add_f32_e64 v17, 0xbeec5b0c, |v8|
	v_cndmask_b32_e64 v14, v14, v16, s2
	s_delay_alu instid0(VALU_DEP_2) | instskip(SKIP_2) | instid1(VALU_DEP_4)
	v_cndmask_b32_e64 v16, v18, v17, s1
	v_cndmask_b32_e64 v17, 0, 1, s1
	v_cmp_gt_f32_e64 s1, 0x3e6d3309, |v8|
	v_sub_f32_e32 v14, v14, v19
	s_delay_alu instid0(VALU_DEP_2) | instskip(NEXT) | instid1(VALU_DEP_4)
	v_cndmask_b32_e64 v16, v16, |v8|, s1
	v_cndmask_b32_e64 v17, v17, 2, s1
	s_delay_alu instid0(VALU_DEP_3)
	v_xor_b32_e32 v14, 0x80000000, v14
.LBB15_267:                             ;   in Loop: Header=BB15_177 Depth=1
	s_and_not1_saveexec_b32 s2, s23
	s_cbranch_execz .LBB15_269
; %bb.268:                              ;   in Loop: Header=BB15_177 Depth=1
	v_sub_f32_e64 v14, 2.0, |v8|
	v_add_f32_e64 v16, 0xbfbb16c3, |v8|
	v_cmp_gt_f32_e64 s1, 0x3fdda512, |v8|
	v_add_f32_e64 v17, |v8|, -1.0
	s_delay_alu instid0(VALU_DEP_2) | instskip(SKIP_2) | instid1(VALU_DEP_2)
	v_cndmask_b32_e64 v16, v14, v16, s1
	v_cndmask_b32_e64 v14, v14, 1.0, s1
	v_cmp_gt_f32_e64 s1, 0x3f9d70a4, |v8|
	v_cvt_i32_f32_e32 v14, v14
	s_delay_alu instid0(VALU_DEP_2) | instskip(NEXT) | instid1(VALU_DEP_2)
	v_cndmask_b32_e64 v16, v16, v17, s1
	v_cndmask_b32_e64 v17, v14, 2, s1
	v_mov_b32_e32 v14, 0
.LBB15_269:                             ;   in Loop: Header=BB15_177 Depth=1
	s_or_b32 exec_lo, exec_lo, s2
	s_delay_alu instid0(SALU_CYCLE_1) | instskip(NEXT) | instid1(VALU_DEP_2)
	s_mov_b32 s2, exec_lo
	v_cmpx_lt_i32_e32 0, v17
	s_xor_b32 s2, exec_lo, s2
	s_cbranch_execz .LBB15_277
; %bb.270:                              ;   in Loop: Header=BB15_177 Depth=1
	s_mov_b32 s23, exec_lo
	v_cmpx_lt_i32_e32 1, v17
	s_xor_b32 s23, exec_lo, s23
	s_cbranch_execz .LBB15_274
; %bb.271:                              ;   in Loop: Header=BB15_177 Depth=1
	s_mov_b32 s24, exec_lo
	v_cmpx_eq_u32_e32 2, v17
	s_cbranch_execz .LBB15_273
; %bb.272:                              ;   in Loop: Header=BB15_177 Depth=1
	v_fmaak_f32 v18, s12, v16, 0x3e6a7578
	s_delay_alu instid0(VALU_DEP_1) | instskip(NEXT) | instid1(VALU_DEP_1)
	v_fmaak_f32 v18, v16, v18, 0x3f7a4bb2
	v_fmaak_f32 v18, v16, v18, 0x3fba3ae7
	s_delay_alu instid0(VALU_DEP_1) | instskip(NEXT) | instid1(VALU_DEP_1)
	v_fmaak_f32 v18, v16, v18, 0x3f2200f4
	v_fmaak_f32 v18, v16, v18, 0xbd9e233f
	s_delay_alu instid0(VALU_DEP_1) | instskip(NEXT) | instid1(VALU_DEP_1)
	v_dual_fmaak_f32 v17, s13, v16, 0x3dd572af :: v_dual_mul_f32 v18, v16, v18
	v_fmaak_f32 v17, v16, v17, 0x3f44efdf
	s_delay_alu instid0(VALU_DEP_1) | instskip(NEXT) | instid1(VALU_DEP_1)
	v_fmaak_f32 v17, v16, v17, 0x4008392d
	v_fmaak_f32 v17, v16, v17, 0x401d2ebe
	s_delay_alu instid0(VALU_DEP_1) | instskip(NEXT) | instid1(VALU_DEP_1)
	v_fma_f32 v17, v16, v17, 1.0
	v_rcp_f32_e32 v17, v17
	v_nop
	s_delay_alu instid0(TRANS32_DEP_1) | instskip(NEXT) | instid1(VALU_DEP_1)
	v_mul_f32_e32 v17, v18, v17
	v_fmac_f32_e32 v17, -0.5, v16
	s_delay_alu instid0(VALU_DEP_1)
	v_add_f32_e32 v14, v14, v17
.LBB15_273:                             ;   in Loop: Header=BB15_177 Depth=1
	s_or_b32 exec_lo, exec_lo, s24
                                        ; implicit-def: $vgpr16
.LBB15_274:                             ;   in Loop: Header=BB15_177 Depth=1
	s_and_not1_saveexec_b32 s1, s23
	s_cbranch_execz .LBB15_276
; %bb.275:                              ;   in Loop: Header=BB15_177 Depth=1
	v_mul_f32_e32 v17, v16, v16
	s_delay_alu instid0(VALU_DEP_1) | instskip(NEXT) | instid1(VALU_DEP_1)
	v_mul_f32_e32 v18, v16, v17
	v_fmaak_f32 v19, s15, v18, 0x3a66f867
	v_fmaak_f32 v20, s16, v18, 0xba0d3085
	s_delay_alu instid0(VALU_DEP_2) | instskip(NEXT) | instid1(VALU_DEP_2)
	v_fmaak_f32 v19, v18, v19, 0xbb7177fe
	v_fmaak_f32 v20, v18, v20, 0x3b141699
	s_delay_alu instid0(VALU_DEP_2) | instskip(NEXT) | instid1(VALU_DEP_2)
	v_fmaak_f32 v19, v18, v19, 0x3c93373d
	v_fmaak_f32 v20, v18, v20, 0xbc28fcfe
	s_delay_alu instid0(VALU_DEP_2) | instskip(NEXT) | instid1(VALU_DEP_2)
	v_fmaak_f32 v19, v18, v19, 0xbe17213c
	v_fmaak_f32 v20, v18, v20, 0x3d845a15
	s_delay_alu instid0(VALU_DEP_1) | instskip(SKIP_1) | instid1(VALU_DEP_1)
	v_fmac_f32_e32 v19, v16, v20
	v_fmaak_f32 v21, s14, v18, 0xbab7f476
	v_fmaak_f32 v21, v18, v21, 0x3bc7e707
	s_delay_alu instid0(VALU_DEP_1) | instskip(NEXT) | instid1(VALU_DEP_1)
	v_fmaak_f32 v21, v18, v21, 0xbd064d47
	v_fmaak_f32 v16, v18, v21, 0x3ef7b95e
	v_fma_f32 v18, v18, -v19, 0xa2863e55
	s_delay_alu instid0(VALU_DEP_1) | instskip(NEXT) | instid1(VALU_DEP_1)
	v_fma_f32 v16, v17, v16, -v18
	v_add_f32_e32 v16, 0xbdf8cdce, v16
	s_delay_alu instid0(VALU_DEP_1)
	v_add_f32_e32 v14, v14, v16
.LBB15_276:                             ;   in Loop: Header=BB15_177 Depth=1
	s_or_b32 exec_lo, exec_lo, s1
                                        ; implicit-def: $vgpr17
                                        ; implicit-def: $vgpr16
.LBB15_277:                             ;   in Loop: Header=BB15_177 Depth=1
	s_and_not1_saveexec_b32 s2, s2
	s_cbranch_execz .LBB15_281
; %bb.278:                              ;   in Loop: Header=BB15_177 Depth=1
	s_mov_b32 s23, exec_lo
	v_cmpx_eq_u32_e32 0, v17
	s_cbranch_execz .LBB15_280
; %bb.279:                              ;   in Loop: Header=BB15_177 Depth=1
	v_mul_f32_e32 v17, v16, v16
	s_delay_alu instid0(VALU_DEP_1) | instskip(NEXT) | instid1(VALU_DEP_1)
	v_fmaak_f32 v19, s17, v17, 0x39679767
	v_fmaak_f32 v19, v17, v19, 0x3a9c54a1
	s_delay_alu instid0(VALU_DEP_1) | instskip(NEXT) | instid1(VALU_DEP_1)
	v_fmaak_f32 v19, v17, v19, 0x3bf2027e
	v_fmaak_f32 v19, v17, v19, 0x3d89f001
	s_delay_alu instid0(VALU_DEP_1) | instskip(SKIP_1) | instid1(VALU_DEP_1)
	v_fmaak_f32 v19, v17, v19, 0x3d9e233f
	v_fmaak_f32 v18, s18, v17, 0x38e28445
	;; [unrolled: 1-line block ×3, first 2 shown]
	s_delay_alu instid0(VALU_DEP_1) | instskip(NEXT) | instid1(VALU_DEP_1)
	v_fmaak_f32 v18, v17, v18, 0x3b3d6ec6
	v_fmaak_f32 v18, v17, v18, 0x3ca89915
	s_delay_alu instid0(VALU_DEP_1) | instskip(NEXT) | instid1(VALU_DEP_1)
	v_fmaak_f32 v18, v17, v18, 0x3ea51a66
	v_mul_f32_e32 v17, v17, v18
	s_delay_alu instid0(VALU_DEP_1) | instskip(NEXT) | instid1(VALU_DEP_1)
	v_fmac_f32_e32 v17, v16, v19
	v_fmac_f32_e32 v17, -0.5, v16
	s_delay_alu instid0(VALU_DEP_1)
	v_add_f32_e32 v14, v14, v17
.LBB15_280:                             ;   in Loop: Header=BB15_177 Depth=1
	s_or_b32 exec_lo, exec_lo, s23
.LBB15_281:                             ;   in Loop: Header=BB15_177 Depth=1
	s_delay_alu instid0(SALU_CYCLE_1)
	s_or_b32 exec_lo, exec_lo, s2
.LBB15_282:                             ;   in Loop: Header=BB15_177 Depth=1
	s_delay_alu instid0(SALU_CYCLE_1)
	s_or_b32 exec_lo, exec_lo, s4
.LBB15_283:                             ;   in Loop: Header=BB15_177 Depth=1
	s_and_not1_saveexec_b32 s2, s3
	s_cbranch_execz .LBB15_285
; %bb.284:                              ;   in Loop: Header=BB15_177 Depth=1
	v_cmp_gt_f32_e64 s3, 0x800000, |v8|
	v_fma_f32 v18, |v8|, s19, 0xbecd26ab
	s_delay_alu instid0(VALU_DEP_2) | instskip(NEXT) | instid1(VALU_DEP_1)
	v_cndmask_b32_e64 v14, 0, 32, s3
	v_ldexp_f32 v14, |v8|, v14
	s_delay_alu instid0(VALU_DEP_1) | instskip(SKIP_1) | instid1(TRANS32_DEP_1)
	v_log_f32_e32 v14, v14
	v_nop
	v_mul_f32_e32 v16, 0x3f317217, v14
	v_cmp_gt_f32_e64 s1, 0x7f800000, |v14|
	s_delay_alu instid0(VALU_DEP_2) | instskip(NEXT) | instid1(VALU_DEP_1)
	v_fma_f32 v17, 0x3f317217, v14, -v16
	v_fmac_f32_e32 v17, 0x3377d1cf, v14
	s_delay_alu instid0(VALU_DEP_1) | instskip(SKIP_1) | instid1(VALU_DEP_2)
	v_add_f32_e32 v16, v16, v17
	v_fma_f32 v17, |v8|, v18, 0x3f528d33
	v_cndmask_b32_e64 v14, v14, v16, s1
	v_cndmask_b32_e64 v16, 0, 0x41b17218, s3
	s_delay_alu instid0(VALU_DEP_3) | instskip(NEXT) | instid1(VALU_DEP_2)
	v_fma_f32 v17, |v8|, v17, 0xbf13c468
	v_sub_f32_e32 v14, v14, v16
	s_delay_alu instid0(VALU_DEP_1)
	v_fma_f32 v14, |v8|, v17, -v14
.LBB15_285:                             ;   in Loop: Header=BB15_177 Depth=1
	s_or_b32 exec_lo, exec_lo, s2
	v_cmp_le_f32_e64 s1, 0, v8
	s_mov_b32 s3, exec_lo
	v_cmpx_nle_f32_e32 0, v8
	s_xor_b32 s4, exec_lo, s3
	s_cbranch_execz .LBB15_289
; %bb.286:                              ;   in Loop: Header=BB15_177 Depth=1
	v_cmp_gt_f32_e64 s2, 0x4b000000, |v8|
	v_cmp_lt_f32_e64 s3, 0x35000000, |v8|
	s_and_b32 s2, s2, s3
	s_delay_alu instid0(SALU_CYCLE_1)
	s_and_saveexec_b32 s23, s2
	s_cbranch_execz .LBB15_288
; %bb.287:                              ;   in Loop: Header=BB15_177 Depth=1
	v_mul_f32_e64 v16, |v8|, 0.5
	s_delay_alu instid0(VALU_DEP_1) | instskip(SKIP_1) | instid1(VALU_DEP_2)
	v_floor_f32_e32 v17, v16
	v_cmp_neq_f32_e64 s2, 0x7f800000, v16
	v_sub_f32_e32 v17, v16, v17
	s_delay_alu instid0(VALU_DEP_1) | instskip(NEXT) | instid1(VALU_DEP_1)
	v_min_num_f32_e32 v17, 0x3f7fffff, v17
	v_add_f32_e32 v17, v17, v17
	s_delay_alu instid0(VALU_DEP_1) | instskip(SKIP_1) | instid1(VALU_DEP_1)
	v_cndmask_b32_e64 v16, 0, v17, s2
	v_cmp_gt_f32_e64 s2, |v8|, 1.0
	v_cndmask_b32_e64 v16, |v8|, v16, s2
	s_delay_alu instid0(VALU_DEP_1) | instskip(NEXT) | instid1(VALU_DEP_1)
	v_add_f32_e32 v17, v16, v16
	v_rndne_f32_e32 v17, v17
	s_delay_alu instid0(VALU_DEP_1) | instskip(SKIP_1) | instid1(VALU_DEP_2)
	v_fmac_f32_e32 v16, -0.5, v17
	v_cvt_i32_f32_e32 v17, v17
	v_mul_f32_e32 v18, v16, v16
	s_delay_alu instid0(VALU_DEP_1) | instskip(SKIP_1) | instid1(VALU_DEP_2)
	v_fmaak_f32 v19, s20, v18, 0xbf1f24be
	v_dual_fmaak_f32 v20, s21, v18, 0x3e642e9d :: v_dual_mul_f32 v21, v16, v18
	v_fmaak_f32 v19, v18, v19, 0x40234736
	s_delay_alu instid0(VALU_DEP_2) | instskip(NEXT) | instid1(VALU_DEP_2)
	v_fmaak_f32 v20, v18, v20, 0xbfaad1da
	v_fmaak_f32 v19, v18, v19, 0xc0a55e0e
	s_delay_alu instid0(VALU_DEP_1) | instskip(NEXT) | instid1(VALU_DEP_1)
	v_mul_f32_e32 v19, v21, v19
	v_fmac_f32_e32 v19, 0x40490fdb, v16
	v_dual_lshlrev_b32 v17, 30, v17 :: v_dual_bitop2_b32 v21, 1, v17 bitop3:0x40
	v_fmaak_f32 v20, v18, v20, 0x4081e0d3
	s_delay_alu instid0(VALU_DEP_2) | instskip(NEXT) | instid1(VALU_DEP_3)
	v_cmp_eq_u32_e64 s2, 0, v21
	v_and_or_b32 v15, 0x80000000, v17, v15
	s_delay_alu instid0(VALU_DEP_3) | instskip(NEXT) | instid1(VALU_DEP_1)
	v_fmaak_f32 v20, v18, v20, 0xc09de9e6
	v_fma_f32 v16, v18, v20, 1.0
	s_delay_alu instid0(VALU_DEP_1) | instskip(NEXT) | instid1(VALU_DEP_1)
	v_cndmask_b32_e64 v16, v16, v19, s2
	v_xor3_b32 v15, v15, v16, v8
	s_delay_alu instid0(VALU_DEP_1) | instskip(NEXT) | instid1(VALU_DEP_1)
	v_mul_f32_e32 v15, v8, v15
	v_frexp_mant_f32_e64 v16, |v15|
	v_frexp_exp_i32_f32_e32 v15, v15
	s_delay_alu instid0(VALU_DEP_2) | instskip(SKIP_1) | instid1(TRANS32_DEP_1)
	v_rcp_f32_e32 v16, v16
	v_nop
	v_dual_mul_f32 v16, 0x3f490fdb, v16 :: v_dual_sub_nc_u32 v15, 2, v15
	s_delay_alu instid0(VALU_DEP_1) | instskip(NEXT) | instid1(VALU_DEP_1)
	v_ldexp_f32 v15, v16, v15
	v_cmp_gt_f32_e64 s2, 0x800000, v15
	s_delay_alu instid0(VALU_DEP_1) | instskip(NEXT) | instid1(VALU_DEP_1)
	v_cndmask_b32_e64 v16, 0, 32, s2
	v_ldexp_f32 v15, v15, v16
	s_delay_alu instid0(VALU_DEP_1) | instskip(SKIP_1) | instid1(TRANS32_DEP_1)
	v_log_f32_e32 v15, v15
	v_nop
	v_mul_f32_e32 v16, 0x3f317217, v15
	v_cmp_gt_f32_e64 s3, 0x7f800000, |v15|
	s_delay_alu instid0(VALU_DEP_2) | instskip(NEXT) | instid1(VALU_DEP_1)
	v_fma_f32 v17, 0x3f317217, v15, -v16
	v_fmac_f32_e32 v17, 0x3377d1cf, v15
	s_delay_alu instid0(VALU_DEP_1) | instskip(SKIP_1) | instid1(VALU_DEP_2)
	v_add_f32_e32 v16, v16, v17
	v_floor_f32_e32 v17, v8
	v_cndmask_b32_e64 v15, v15, v16, s3
	v_cndmask_b32_e64 v16, 0, 0x41b17218, s2
	s_delay_alu instid0(VALU_DEP_1) | instskip(NEXT) | instid1(VALU_DEP_1)
	v_dual_sub_f32 v17, v8, v17 :: v_dual_sub_f32 v15, v15, v16
	v_min_num_f32_e32 v16, 0x3f7fffff, v17
	s_delay_alu instid0(VALU_DEP_2) | instskip(NEXT) | instid1(VALU_DEP_2)
	v_sub_f32_e32 v14, v15, v14
	v_cmp_neq_f32_e64 s2, 0, v16
	s_delay_alu instid0(VALU_DEP_1)
	v_cndmask_b32_e64 v14, 0x7f800000, v14, s2
.LBB15_288:                             ;   in Loop: Header=BB15_177 Depth=1
	s_or_b32 exec_lo, exec_lo, s23
.LBB15_289:                             ;   in Loop: Header=BB15_177 Depth=1
	s_and_not1_saveexec_b32 s4, s4
; %bb.290:                              ;   in Loop: Header=BB15_177 Depth=1
	v_cmp_eq_f32_e64 s2, 1.0, v8
	v_cmp_eq_f32_e64 s3, 2.0, v8
	s_or_b32 s2, s2, s3
	s_delay_alu instid0(SALU_CYCLE_1)
	v_cndmask_b32_e64 v14, v14, 0, s2
; %bb.291:                              ;   in Loop: Header=BB15_177 Depth=1
	s_or_b32 exec_lo, exec_lo, s4
	v_and_b32_e32 v9, 0xffff0000, v9
                                        ; implicit-def: $vgpr16
	s_mov_b32 s3, exec_lo
	s_delay_alu instid0(VALU_DEP_1)
	v_and_b32_e32 v15, 0x7fffffff, v9
	v_cmpx_ngt_f32_e64 0x3c800000, |v9|
	s_xor_b32 s4, exec_lo, s3
	s_cbranch_execz .LBB15_321
; %bb.292:                              ;   in Loop: Header=BB15_177 Depth=1
                                        ; implicit-def: $vgpr16
	s_mov_b32 s3, exec_lo
	v_cmpx_nlt_f32_e64 |v9|, 2.0
	s_xor_b32 s23, exec_lo, s3
	s_cbranch_execz .LBB15_302
; %bb.293:                              ;   in Loop: Header=BB15_177 Depth=1
	s_mov_b32 s3, exec_lo
                                        ; implicit-def: $vgpr16
	v_cmpx_ngt_f32_e64 0x41000000, |v9|
	s_xor_b32 s3, exec_lo, s3
	s_cbranch_execz .LBB15_299
; %bb.294:                              ;   in Loop: Header=BB15_177 Depth=1
	s_mov_b32 s24, exec_lo
                                        ; implicit-def: $vgpr16
	v_cmpx_ngt_f32_e64 0x5c800000, |v9|
	s_xor_b32 s24, exec_lo, s24
	s_cbranch_execz .LBB15_296
; %bb.295:                              ;   in Loop: Header=BB15_177 Depth=1
	v_cmp_gt_f32_e64 s25, 0x800000, |v9|
	s_delay_alu instid0(VALU_DEP_1) | instskip(NEXT) | instid1(VALU_DEP_1)
	v_cndmask_b32_e64 v16, 0, 32, s25
	v_ldexp_f32 v16, |v9|, v16
	s_delay_alu instid0(VALU_DEP_1) | instskip(SKIP_1) | instid1(TRANS32_DEP_1)
	v_log_f32_e32 v16, v16
	v_nop
	v_mul_f32_e32 v17, 0x3f317217, v16
	v_cmp_gt_f32_e64 s2, 0x7f800000, |v16|
	s_delay_alu instid0(VALU_DEP_2) | instskip(NEXT) | instid1(VALU_DEP_1)
	v_fma_f32 v18, 0x3f317217, v16, -v17
	v_fmac_f32_e32 v18, 0x3377d1cf, v16
	s_delay_alu instid0(VALU_DEP_1) | instskip(NEXT) | instid1(VALU_DEP_1)
	v_add_f32_e32 v17, v17, v18
	v_cndmask_b32_e64 v16, v16, v17, s2
	v_cndmask_b32_e64 v17, 0, 0x41b17218, s25
	s_delay_alu instid0(VALU_DEP_1) | instskip(NEXT) | instid1(VALU_DEP_1)
	v_sub_f32_e32 v16, v16, v17
	v_fma_f32 v16, |v9|, v16, -|v9|
.LBB15_296:                             ;   in Loop: Header=BB15_177 Depth=1
	s_and_not1_saveexec_b32 s24, s24
	s_cbranch_execz .LBB15_298
; %bb.297:                              ;   in Loop: Header=BB15_177 Depth=1
	v_cmp_gt_f32_e64 s25, 0x800000, |v9|
	v_rcp_f32_e64 v17, |v9|
	s_delay_alu instid0(VALU_DEP_1) | instskip(NEXT) | instid1(VALU_DEP_1)
	v_cndmask_b32_e64 v16, 0, 32, s25
	v_ldexp_f32 v16, |v9|, v16
	s_delay_alu instid0(VALU_DEP_1) | instskip(SKIP_1) | instid1(TRANS32_DEP_1)
	v_log_f32_e32 v16, v16
	v_nop
	v_dual_mul_f32 v18, v17, v17 :: v_dual_mul_f32 v19, 0x3f317217, v16
	v_cmp_gt_f32_e64 s2, 0x7f800000, |v16|
	s_delay_alu instid0(VALU_DEP_2) | instskip(NEXT) | instid1(VALU_DEP_1)
	v_fma_f32 v21, 0x3f317217, v16, -v19
	v_fmac_f32_e32 v21, 0x3377d1cf, v16
	s_delay_alu instid0(VALU_DEP_1) | instskip(NEXT) | instid1(VALU_DEP_1)
	v_dual_fmaak_f32 v20, s5, v18, 0x3a5b3dd2 :: v_dual_add_f32 v19, v19, v21
	v_cndmask_b32_e64 v16, v16, v19, s2
	v_cndmask_b32_e64 v19, 0, 0x41b17218, s25
	s_delay_alu instid0(VALU_DEP_1) | instskip(NEXT) | instid1(VALU_DEP_1)
	v_dual_fmaak_f32 v20, v18, v20, 0xba1c065c :: v_dual_sub_f32 v19, v16, v19
	v_fmaak_f32 v20, v18, v20, 0x3a500cfd
	s_delay_alu instid0(VALU_DEP_1) | instskip(NEXT) | instid1(VALU_DEP_1)
	v_fmaak_f32 v20, v18, v20, 0xbb360b61
	v_fmaak_f32 v18, v18, v20, 0x3daaaaab
	s_delay_alu instid0(VALU_DEP_1) | instskip(SKIP_2) | instid1(VALU_DEP_1)
	v_fmaak_f32 v16, v17, v18, 0x3ed67f1d
	v_add_f32_e64 v17, |v9|, -0.5
	v_add_f32_e32 v18, -1.0, v19
	v_fmac_f32_e32 v16, v17, v18
.LBB15_298:                             ;   in Loop: Header=BB15_177 Depth=1
	s_or_b32 exec_lo, exec_lo, s24
.LBB15_299:                             ;   in Loop: Header=BB15_177 Depth=1
	s_and_not1_saveexec_b32 s24, s3
	s_cbranch_execz .LBB15_301
; %bb.300:                              ;   in Loop: Header=BB15_177 Depth=1
	v_cvt_i32_f32_e32 v17, v15
	s_delay_alu instid0(VALU_DEP_1) | instskip(SKIP_1) | instid1(VALU_DEP_2)
	v_cvt_f32_i32_e32 v16, v17
	v_cmp_lt_i32_e64 s2, 3, v17
	v_sub_f32_e64 v16, |v9|, v16
	s_delay_alu instid0(VALU_DEP_1) | instskip(NEXT) | instid1(VALU_DEP_1)
	v_pk_add_f32 v[18:19], v[16:17], v[4:5] op_sel_hi:[0,1]
	v_dual_add_f32 v20, 4.0, v16 :: v_dual_cndmask_b32 v19, 1.0, v19, s2
	v_cmp_lt_i32_e64 s2, 2, v17
	s_delay_alu instid0(VALU_DEP_1) | instskip(SKIP_1) | instid1(VALU_DEP_1)
	v_cndmask_b32_e64 v18, 1.0, v18, s2
	v_cmp_lt_i32_e64 s2, 4, v17
	v_cndmask_b32_e64 v20, 1.0, v20, s2
	s_delay_alu instid0(VALU_DEP_3) | instskip(SKIP_1) | instid1(VALU_DEP_2)
	v_dual_add_f32 v21, 0x40a00000, v16 :: v_dual_mul_f32 v18, v18, v19
	v_cmp_lt_i32_e64 s2, 5, v17
	v_dual_add_f32 v19, 0x40c00000, v16 :: v_dual_mul_f32 v18, v20, v18
	s_delay_alu instid0(VALU_DEP_2) | instskip(SKIP_2) | instid1(VALU_DEP_2)
	v_cndmask_b32_e64 v21, 1.0, v21, s2
	v_cmp_lt_i32_e64 s2, 6, v17
	v_fmaak_f32 v20, s10, v16, 0x3af135b4
	v_dual_cndmask_b32 v17, 1.0, v19, s2 :: v_dual_mul_f32 v18, v21, v18
	s_delay_alu instid0(VALU_DEP_1) | instskip(NEXT) | instid1(VALU_DEP_1)
	v_dual_mul_f32 v17, v17, v18 :: v_dual_fmaak_f32 v18, s11, v16, 0x3a4beed6
	v_cmp_gt_f32_e64 s2, 0x800000, v17
	s_delay_alu instid0(VALU_DEP_2) | instskip(NEXT) | instid1(VALU_DEP_2)
	v_fmaak_f32 v18, v16, v18, 0x3c98bf54
	v_cndmask_b32_e64 v19, 0, 32, s2
	s_delay_alu instid0(VALU_DEP_2) | instskip(NEXT) | instid1(VALU_DEP_2)
	v_fmaak_f32 v18, v16, v18, 0x3e300f6e
	v_ldexp_f32 v17, v17, v19
	v_fmaak_f32 v19, v16, v20, 0x3cda40e4
	s_delay_alu instid0(VALU_DEP_3) | instskip(NEXT) | instid1(VALU_DEP_3)
	v_fmaak_f32 v18, v16, v18, 0x3f38d0c5
	v_log_f32_e32 v17, v17
	s_delay_alu instid0(VALU_DEP_2) | instskip(NEXT) | instid1(VALU_DEP_2)
	v_fmaak_f32 v19, v16, v19, 0x3e15dce6
	v_fmaak_f32 v18, v16, v18, 0x3fb22d3b
	s_delay_alu instid0(VALU_DEP_2) | instskip(NEXT) | instid1(TRANS32_DEP_1)
	v_fmaak_f32 v19, v16, v19, 0x3ea6cc7a
	v_mul_f32_e32 v20, 0x3f317217, v17
	s_delay_alu instid0(VALU_DEP_3) | instskip(SKIP_1) | instid1(VALU_DEP_4)
	v_fma_f32 v18, v16, v18, 1.0
	v_cmp_gt_f32_e64 s3, 0x7f800000, |v17|
	v_fmaak_f32 v19, v16, v19, 0x3e5c245a
	s_delay_alu instid0(VALU_DEP_4) | instskip(NEXT) | instid1(VALU_DEP_4)
	v_fma_f32 v21, 0x3f317217, v17, -v20
	v_rcp_f32_e32 v18, v18
	s_delay_alu instid0(VALU_DEP_2) | instskip(NEXT) | instid1(VALU_DEP_1)
	v_fmaak_f32 v19, v16, v19, 0xbd9e233f
	v_mul_f32_e32 v19, v16, v19
	s_delay_alu instid0(TRANS32_DEP_1) | instid1(VALU_DEP_1)
	v_dual_fmac_f32 v21, 0x3377d1cf, v17 :: v_dual_mul_f32 v18, v19, v18
	v_cndmask_b32_e64 v19, 0, 0x41b17218, s2
	s_delay_alu instid0(VALU_DEP_2) | instskip(NEXT) | instid1(VALU_DEP_1)
	v_dual_add_f32 v20, v20, v21 :: v_dual_fmac_f32 v18, 0.5, v16
	v_cndmask_b32_e64 v17, v17, v20, s3
	s_delay_alu instid0(VALU_DEP_1) | instskip(NEXT) | instid1(VALU_DEP_1)
	v_sub_f32_e32 v16, v17, v19
	v_add_f32_e32 v16, v16, v18
.LBB15_301:                             ;   in Loop: Header=BB15_177 Depth=1
	s_or_b32 exec_lo, exec_lo, s24
.LBB15_302:                             ;   in Loop: Header=BB15_177 Depth=1
	s_and_not1_saveexec_b32 s23, s23
	s_cbranch_execz .LBB15_320
; %bb.303:                              ;   in Loop: Header=BB15_177 Depth=1
                                        ; implicit-def: $vgpr16
                                        ; implicit-def: $vgpr18
                                        ; implicit-def: $vgpr17
	s_mov_b32 s3, exec_lo
	v_cmpx_ge_f32_e64 0x3f666666, |v9|
	s_xor_b32 s24, exec_lo, s3
	s_cbranch_execz .LBB15_305
; %bb.304:                              ;   in Loop: Header=BB15_177 Depth=1
	v_cmp_gt_f32_e64 s3, 0x800000, |v9|
	v_sub_f32_e64 v19, 1.0, |v9|
	v_cmp_gt_f32_e64 s2, 0x3f3b4a23, |v9|
	s_delay_alu instid0(VALU_DEP_3) | instskip(SKIP_1) | instid1(VALU_DEP_2)
	v_cndmask_b32_e64 v16, 0, 32, s3
	v_cndmask_b32_e64 v20, 0, 0x41b17218, s3
	v_ldexp_f32 v16, |v9|, v16
	s_delay_alu instid0(VALU_DEP_1) | instskip(SKIP_1) | instid1(TRANS32_DEP_1)
	v_log_f32_e32 v16, v16
	v_nop
	v_mul_f32_e32 v17, 0x3f317217, v16
	v_cmp_gt_f32_e64 s3, 0x7f800000, |v16|
	s_delay_alu instid0(VALU_DEP_2) | instskip(NEXT) | instid1(VALU_DEP_1)
	v_fma_f32 v18, 0x3f317217, v16, -v17
	v_fmac_f32_e32 v18, 0x3377d1cf, v16
	s_delay_alu instid0(VALU_DEP_1) | instskip(SKIP_1) | instid1(VALU_DEP_1)
	v_add_f32_e32 v17, v17, v18
	v_add_f32_e64 v18, 0xbeec5b0c, |v9|
	v_dual_cndmask_b32 v16, v16, v17, s3 :: v_dual_cndmask_b32 v17, v19, v18, s2
	v_cndmask_b32_e64 v18, 0, 1, s2
	v_cmp_gt_f32_e64 s2, 0x3e6d3309, |v9|
	s_delay_alu instid0(VALU_DEP_3) | instskip(NEXT) | instid1(VALU_DEP_2)
	v_sub_f32_e32 v16, v16, v20
	v_cndmask_b32_e64 v17, v17, |v9|, s2
	s_delay_alu instid0(VALU_DEP_4) | instskip(NEXT) | instid1(VALU_DEP_3)
	v_cndmask_b32_e64 v18, v18, 2, s2
	v_xor_b32_e32 v16, 0x80000000, v16
.LBB15_305:                             ;   in Loop: Header=BB15_177 Depth=1
	s_and_not1_saveexec_b32 s3, s24
	s_cbranch_execz .LBB15_307
; %bb.306:                              ;   in Loop: Header=BB15_177 Depth=1
	v_sub_f32_e64 v16, 2.0, |v9|
	v_add_f32_e64 v17, 0xbfbb16c3, |v9|
	v_cmp_gt_f32_e64 s2, 0x3fdda512, |v9|
	v_add_f32_e64 v18, |v9|, -1.0
	s_delay_alu instid0(VALU_DEP_2) | instskip(SKIP_2) | instid1(VALU_DEP_2)
	v_cndmask_b32_e64 v17, v16, v17, s2
	v_cndmask_b32_e64 v16, v16, 1.0, s2
	v_cmp_gt_f32_e64 s2, 0x3f9d70a4, |v9|
	v_cvt_i32_f32_e32 v16, v16
	s_delay_alu instid0(VALU_DEP_2) | instskip(NEXT) | instid1(VALU_DEP_2)
	v_cndmask_b32_e64 v17, v17, v18, s2
	v_cndmask_b32_e64 v18, v16, 2, s2
	v_mov_b32_e32 v16, 0
.LBB15_307:                             ;   in Loop: Header=BB15_177 Depth=1
	s_or_b32 exec_lo, exec_lo, s3
	s_delay_alu instid0(SALU_CYCLE_1) | instskip(NEXT) | instid1(VALU_DEP_2)
	s_mov_b32 s3, exec_lo
	v_cmpx_lt_i32_e32 0, v18
	s_xor_b32 s3, exec_lo, s3
	s_cbranch_execz .LBB15_315
; %bb.308:                              ;   in Loop: Header=BB15_177 Depth=1
	s_mov_b32 s24, exec_lo
	v_cmpx_lt_i32_e32 1, v18
	s_xor_b32 s24, exec_lo, s24
	s_cbranch_execz .LBB15_312
; %bb.309:                              ;   in Loop: Header=BB15_177 Depth=1
	s_mov_b32 s25, exec_lo
	v_cmpx_eq_u32_e32 2, v18
	s_cbranch_execz .LBB15_311
; %bb.310:                              ;   in Loop: Header=BB15_177 Depth=1
	v_fmaak_f32 v19, s12, v17, 0x3e6a7578
	s_delay_alu instid0(VALU_DEP_1) | instskip(NEXT) | instid1(VALU_DEP_1)
	v_fmaak_f32 v19, v17, v19, 0x3f7a4bb2
	v_fmaak_f32 v19, v17, v19, 0x3fba3ae7
	s_delay_alu instid0(VALU_DEP_1) | instskip(NEXT) | instid1(VALU_DEP_1)
	v_fmaak_f32 v19, v17, v19, 0x3f2200f4
	v_fmaak_f32 v19, v17, v19, 0xbd9e233f
	s_delay_alu instid0(VALU_DEP_1) | instskip(NEXT) | instid1(VALU_DEP_1)
	v_dual_fmaak_f32 v18, s13, v17, 0x3dd572af :: v_dual_mul_f32 v19, v17, v19
	v_fmaak_f32 v18, v17, v18, 0x3f44efdf
	s_delay_alu instid0(VALU_DEP_1) | instskip(NEXT) | instid1(VALU_DEP_1)
	v_fmaak_f32 v18, v17, v18, 0x4008392d
	v_fmaak_f32 v18, v17, v18, 0x401d2ebe
	s_delay_alu instid0(VALU_DEP_1) | instskip(NEXT) | instid1(VALU_DEP_1)
	v_fma_f32 v18, v17, v18, 1.0
	v_rcp_f32_e32 v18, v18
	v_nop
	s_delay_alu instid0(TRANS32_DEP_1) | instskip(NEXT) | instid1(VALU_DEP_1)
	v_mul_f32_e32 v18, v19, v18
	v_fmac_f32_e32 v18, -0.5, v17
	s_delay_alu instid0(VALU_DEP_1)
	v_add_f32_e32 v16, v16, v18
.LBB15_311:                             ;   in Loop: Header=BB15_177 Depth=1
	s_or_b32 exec_lo, exec_lo, s25
                                        ; implicit-def: $vgpr17
.LBB15_312:                             ;   in Loop: Header=BB15_177 Depth=1
	s_and_not1_saveexec_b32 s2, s24
	s_cbranch_execz .LBB15_314
; %bb.313:                              ;   in Loop: Header=BB15_177 Depth=1
	v_mul_f32_e32 v18, v17, v17
	s_delay_alu instid0(VALU_DEP_1) | instskip(NEXT) | instid1(VALU_DEP_1)
	v_mul_f32_e32 v19, v17, v18
	v_fmaak_f32 v20, s15, v19, 0x3a66f867
	v_fmaak_f32 v21, s16, v19, 0xba0d3085
	s_delay_alu instid0(VALU_DEP_2) | instskip(NEXT) | instid1(VALU_DEP_2)
	v_fmaak_f32 v20, v19, v20, 0xbb7177fe
	v_fmaak_f32 v21, v19, v21, 0x3b141699
	s_delay_alu instid0(VALU_DEP_2) | instskip(NEXT) | instid1(VALU_DEP_2)
	;; [unrolled: 3-line block ×3, first 2 shown]
	v_fmaak_f32 v20, v19, v20, 0xbe17213c
	v_fmaak_f32 v21, v19, v21, 0x3d845a15
	s_delay_alu instid0(VALU_DEP_1) | instskip(SKIP_1) | instid1(VALU_DEP_1)
	v_fmac_f32_e32 v20, v17, v21
	v_fmaak_f32 v22, s14, v19, 0xbab7f476
	v_fmaak_f32 v22, v19, v22, 0x3bc7e707
	s_delay_alu instid0(VALU_DEP_1) | instskip(NEXT) | instid1(VALU_DEP_1)
	v_fmaak_f32 v22, v19, v22, 0xbd064d47
	v_fmaak_f32 v17, v19, v22, 0x3ef7b95e
	v_fma_f32 v19, v19, -v20, 0xa2863e55
	s_delay_alu instid0(VALU_DEP_1) | instskip(NEXT) | instid1(VALU_DEP_1)
	v_fma_f32 v17, v18, v17, -v19
	v_add_f32_e32 v17, 0xbdf8cdce, v17
	s_delay_alu instid0(VALU_DEP_1)
	v_add_f32_e32 v16, v16, v17
.LBB15_314:                             ;   in Loop: Header=BB15_177 Depth=1
	s_or_b32 exec_lo, exec_lo, s2
                                        ; implicit-def: $vgpr18
                                        ; implicit-def: $vgpr17
.LBB15_315:                             ;   in Loop: Header=BB15_177 Depth=1
	s_and_not1_saveexec_b32 s3, s3
	s_cbranch_execz .LBB15_319
; %bb.316:                              ;   in Loop: Header=BB15_177 Depth=1
	s_mov_b32 s24, exec_lo
	v_cmpx_eq_u32_e32 0, v18
	s_cbranch_execz .LBB15_318
; %bb.317:                              ;   in Loop: Header=BB15_177 Depth=1
	v_mul_f32_e32 v18, v17, v17
	s_delay_alu instid0(VALU_DEP_1) | instskip(NEXT) | instid1(VALU_DEP_1)
	v_fmaak_f32 v20, s17, v18, 0x39679767
	v_fmaak_f32 v20, v18, v20, 0x3a9c54a1
	s_delay_alu instid0(VALU_DEP_1) | instskip(NEXT) | instid1(VALU_DEP_1)
	v_fmaak_f32 v20, v18, v20, 0x3bf2027e
	v_fmaak_f32 v20, v18, v20, 0x3d89f001
	s_delay_alu instid0(VALU_DEP_1) | instskip(SKIP_1) | instid1(VALU_DEP_1)
	v_fmaak_f32 v20, v18, v20, 0x3d9e233f
	v_fmaak_f32 v19, s18, v18, 0x38e28445
	;; [unrolled: 1-line block ×3, first 2 shown]
	s_delay_alu instid0(VALU_DEP_1) | instskip(NEXT) | instid1(VALU_DEP_1)
	v_fmaak_f32 v19, v18, v19, 0x3b3d6ec6
	v_fmaak_f32 v19, v18, v19, 0x3ca89915
	s_delay_alu instid0(VALU_DEP_1) | instskip(NEXT) | instid1(VALU_DEP_1)
	v_fmaak_f32 v19, v18, v19, 0x3ea51a66
	v_mul_f32_e32 v18, v18, v19
	s_delay_alu instid0(VALU_DEP_1) | instskip(NEXT) | instid1(VALU_DEP_1)
	v_fmac_f32_e32 v18, v17, v20
	v_fmac_f32_e32 v18, -0.5, v17
	s_delay_alu instid0(VALU_DEP_1)
	v_add_f32_e32 v16, v16, v18
.LBB15_318:                             ;   in Loop: Header=BB15_177 Depth=1
	s_or_b32 exec_lo, exec_lo, s24
.LBB15_319:                             ;   in Loop: Header=BB15_177 Depth=1
	s_delay_alu instid0(SALU_CYCLE_1)
	s_or_b32 exec_lo, exec_lo, s3
.LBB15_320:                             ;   in Loop: Header=BB15_177 Depth=1
	s_delay_alu instid0(SALU_CYCLE_1)
	s_or_b32 exec_lo, exec_lo, s23
.LBB15_321:                             ;   in Loop: Header=BB15_177 Depth=1
	s_and_not1_saveexec_b32 s3, s4
	s_cbranch_execz .LBB15_323
; %bb.322:                              ;   in Loop: Header=BB15_177 Depth=1
	v_cmp_gt_f32_e64 s4, 0x800000, |v9|
	v_fma_f32 v19, |v9|, s19, 0xbecd26ab
	s_delay_alu instid0(VALU_DEP_2) | instskip(NEXT) | instid1(VALU_DEP_1)
	v_cndmask_b32_e64 v16, 0, 32, s4
	v_ldexp_f32 v16, |v9|, v16
	s_delay_alu instid0(VALU_DEP_1) | instskip(SKIP_1) | instid1(TRANS32_DEP_1)
	v_log_f32_e32 v16, v16
	v_nop
	v_mul_f32_e32 v17, 0x3f317217, v16
	v_cmp_gt_f32_e64 s2, 0x7f800000, |v16|
	s_delay_alu instid0(VALU_DEP_2) | instskip(NEXT) | instid1(VALU_DEP_1)
	v_fma_f32 v18, 0x3f317217, v16, -v17
	v_fmac_f32_e32 v18, 0x3377d1cf, v16
	s_delay_alu instid0(VALU_DEP_1) | instskip(SKIP_1) | instid1(VALU_DEP_2)
	v_add_f32_e32 v17, v17, v18
	v_fma_f32 v18, |v9|, v19, 0x3f528d33
	v_cndmask_b32_e64 v16, v16, v17, s2
	v_cndmask_b32_e64 v17, 0, 0x41b17218, s4
	s_delay_alu instid0(VALU_DEP_3) | instskip(NEXT) | instid1(VALU_DEP_2)
	v_fma_f32 v18, |v9|, v18, 0xbf13c468
	v_sub_f32_e32 v16, v16, v17
	s_delay_alu instid0(VALU_DEP_1)
	v_fma_f32 v16, |v9|, v18, -v16
.LBB15_323:                             ;   in Loop: Header=BB15_177 Depth=1
	s_or_b32 exec_lo, exec_lo, s3
	v_cmp_le_f32_e64 s2, 0, v9
	s_mov_b32 s4, exec_lo
	v_cmpx_nle_f32_e32 0, v9
	s_xor_b32 s23, exec_lo, s4
	s_cbranch_execz .LBB15_327
; %bb.324:                              ;   in Loop: Header=BB15_177 Depth=1
	v_cmp_gt_f32_e64 s3, 0x4b000000, |v9|
	v_cmp_lt_f32_e64 s4, 0x35000000, |v9|
	s_and_b32 s3, s3, s4
	s_delay_alu instid0(SALU_CYCLE_1)
	s_and_saveexec_b32 s24, s3
	s_cbranch_execz .LBB15_326
; %bb.325:                              ;   in Loop: Header=BB15_177 Depth=1
	v_mul_f32_e64 v17, |v9|, 0.5
	s_delay_alu instid0(VALU_DEP_1) | instskip(SKIP_1) | instid1(VALU_DEP_2)
	v_floor_f32_e32 v18, v17
	v_cmp_neq_f32_e64 s3, 0x7f800000, v17
	v_sub_f32_e32 v18, v17, v18
	s_delay_alu instid0(VALU_DEP_1) | instskip(NEXT) | instid1(VALU_DEP_1)
	v_min_num_f32_e32 v18, 0x3f7fffff, v18
	v_add_f32_e32 v18, v18, v18
	s_delay_alu instid0(VALU_DEP_1) | instskip(SKIP_1) | instid1(VALU_DEP_1)
	v_cndmask_b32_e64 v17, 0, v18, s3
	v_cmp_gt_f32_e64 s3, |v9|, 1.0
	v_cndmask_b32_e64 v17, |v9|, v17, s3
	s_delay_alu instid0(VALU_DEP_1) | instskip(NEXT) | instid1(VALU_DEP_1)
	v_add_f32_e32 v18, v17, v17
	v_rndne_f32_e32 v18, v18
	s_delay_alu instid0(VALU_DEP_1) | instskip(SKIP_1) | instid1(VALU_DEP_2)
	v_fmac_f32_e32 v17, -0.5, v18
	v_cvt_i32_f32_e32 v18, v18
	v_mul_f32_e32 v19, v17, v17
	s_delay_alu instid0(VALU_DEP_1) | instskip(SKIP_1) | instid1(VALU_DEP_2)
	v_fmaak_f32 v20, s20, v19, 0xbf1f24be
	v_dual_fmaak_f32 v21, s21, v19, 0x3e642e9d :: v_dual_mul_f32 v22, v17, v19
	v_fmaak_f32 v20, v19, v20, 0x40234736
	s_delay_alu instid0(VALU_DEP_2) | instskip(NEXT) | instid1(VALU_DEP_2)
	v_fmaak_f32 v21, v19, v21, 0xbfaad1da
	v_fmaak_f32 v20, v19, v20, 0xc0a55e0e
	s_delay_alu instid0(VALU_DEP_1) | instskip(NEXT) | instid1(VALU_DEP_1)
	v_mul_f32_e32 v20, v22, v20
	v_fmac_f32_e32 v20, 0x40490fdb, v17
	v_dual_lshlrev_b32 v18, 30, v18 :: v_dual_bitop2_b32 v22, 1, v18 bitop3:0x40
	v_fmaak_f32 v21, v19, v21, 0x4081e0d3
	s_delay_alu instid0(VALU_DEP_2) | instskip(NEXT) | instid1(VALU_DEP_3)
	v_cmp_eq_u32_e64 s3, 0, v22
	v_and_or_b32 v15, 0x80000000, v18, v15
	s_delay_alu instid0(VALU_DEP_3) | instskip(NEXT) | instid1(VALU_DEP_1)
	v_fmaak_f32 v21, v19, v21, 0xc09de9e6
	v_fma_f32 v17, v19, v21, 1.0
	s_delay_alu instid0(VALU_DEP_1) | instskip(NEXT) | instid1(VALU_DEP_1)
	v_cndmask_b32_e64 v17, v17, v20, s3
	v_xor3_b32 v15, v15, v17, v9
	s_delay_alu instid0(VALU_DEP_1) | instskip(NEXT) | instid1(VALU_DEP_1)
	v_mul_f32_e32 v15, v9, v15
	v_frexp_mant_f32_e64 v17, |v15|
	v_frexp_exp_i32_f32_e32 v15, v15
	s_delay_alu instid0(VALU_DEP_2) | instskip(NEXT) | instid1(VALU_DEP_1)
	v_rcp_f32_e32 v17, v17
	v_sub_nc_u32_e32 v15, 2, v15
	s_delay_alu instid0(TRANS32_DEP_1) | instskip(NEXT) | instid1(VALU_DEP_1)
	v_mul_f32_e32 v17, 0x3f490fdb, v17
	v_ldexp_f32 v15, v17, v15
	s_delay_alu instid0(VALU_DEP_1) | instskip(NEXT) | instid1(VALU_DEP_1)
	v_cmp_gt_f32_e64 s3, 0x800000, v15
	v_cndmask_b32_e64 v17, 0, 32, s3
	s_delay_alu instid0(VALU_DEP_1) | instskip(NEXT) | instid1(VALU_DEP_1)
	v_ldexp_f32 v15, v15, v17
	v_log_f32_e32 v15, v15
	v_nop
	s_delay_alu instid0(TRANS32_DEP_1) | instskip(SKIP_1) | instid1(VALU_DEP_2)
	v_mul_f32_e32 v17, 0x3f317217, v15
	v_cmp_gt_f32_e64 s4, 0x7f800000, |v15|
	v_fma_f32 v18, 0x3f317217, v15, -v17
	s_delay_alu instid0(VALU_DEP_1) | instskip(NEXT) | instid1(VALU_DEP_1)
	v_fmac_f32_e32 v18, 0x3377d1cf, v15
	v_add_f32_e32 v17, v17, v18
	v_floor_f32_e32 v18, v9
	s_delay_alu instid0(VALU_DEP_2) | instskip(SKIP_1) | instid1(VALU_DEP_1)
	v_cndmask_b32_e64 v15, v15, v17, s4
	v_cndmask_b32_e64 v17, 0, 0x41b17218, s3
	v_dual_sub_f32 v18, v9, v18 :: v_dual_sub_f32 v15, v15, v17
	s_delay_alu instid0(VALU_DEP_1) | instskip(NEXT) | instid1(VALU_DEP_2)
	v_min_num_f32_e32 v17, 0x3f7fffff, v18
	v_sub_f32_e32 v15, v15, v16
	s_delay_alu instid0(VALU_DEP_2) | instskip(NEXT) | instid1(VALU_DEP_1)
	v_cmp_neq_f32_e64 s3, 0, v17
	v_cndmask_b32_e64 v16, 0x7f800000, v15, s3
.LBB15_326:                             ;   in Loop: Header=BB15_177 Depth=1
	s_or_b32 exec_lo, exec_lo, s24
.LBB15_327:                             ;   in Loop: Header=BB15_177 Depth=1
	s_and_not1_saveexec_b32 s23, s23
	s_cbranch_execz .LBB15_176
; %bb.328:                              ;   in Loop: Header=BB15_177 Depth=1
	v_cmp_eq_f32_e64 s3, 1.0, v9
	v_cmp_eq_f32_e64 s4, 2.0, v9
	s_or_b32 s3, s3, s4
	s_delay_alu instid0(SALU_CYCLE_1)
	v_cndmask_b32_e64 v16, v16, 0, s3
	s_branch .LBB15_176
.LBB15_329:
	s_endpgm
	.section	.rodata,"a",@progbits
	.p2align	6, 0x0
	.amdhsa_kernel _ZN2at6native12_GLOBAL__N_125multi_tensor_apply_kernelINS1_18TensorListMetadataILi1EEENS1_14UnaryOpFunctorIN3c108BFloat16ELi1ELi1ELi0EEEJNS0_6LgammaIfEEEEEvT_T0_DpT1_
		.amdhsa_group_segment_fixed_size 0
		.amdhsa_private_segment_fixed_size 0
		.amdhsa_kernarg_size 3632
		.amdhsa_user_sgpr_count 2
		.amdhsa_user_sgpr_dispatch_ptr 0
		.amdhsa_user_sgpr_queue_ptr 0
		.amdhsa_user_sgpr_kernarg_segment_ptr 1
		.amdhsa_user_sgpr_dispatch_id 0
		.amdhsa_user_sgpr_kernarg_preload_length 0
		.amdhsa_user_sgpr_kernarg_preload_offset 0
		.amdhsa_user_sgpr_private_segment_size 0
		.amdhsa_wavefront_size32 1
		.amdhsa_uses_dynamic_stack 0
		.amdhsa_enable_private_segment 0
		.amdhsa_system_sgpr_workgroup_id_x 1
		.amdhsa_system_sgpr_workgroup_id_y 0
		.amdhsa_system_sgpr_workgroup_id_z 0
		.amdhsa_system_sgpr_workgroup_info 0
		.amdhsa_system_vgpr_workitem_id 0
		.amdhsa_next_free_vgpr 37
		.amdhsa_next_free_sgpr 42
		.amdhsa_named_barrier_count 0
		.amdhsa_reserve_vcc 1
		.amdhsa_float_round_mode_32 0
		.amdhsa_float_round_mode_16_64 0
		.amdhsa_float_denorm_mode_32 3
		.amdhsa_float_denorm_mode_16_64 3
		.amdhsa_fp16_overflow 0
		.amdhsa_memory_ordered 1
		.amdhsa_forward_progress 1
		.amdhsa_inst_pref_size 177
		.amdhsa_round_robin_scheduling 0
		.amdhsa_exception_fp_ieee_invalid_op 0
		.amdhsa_exception_fp_denorm_src 0
		.amdhsa_exception_fp_ieee_div_zero 0
		.amdhsa_exception_fp_ieee_overflow 0
		.amdhsa_exception_fp_ieee_underflow 0
		.amdhsa_exception_fp_ieee_inexact 0
		.amdhsa_exception_int_div_zero 0
	.end_amdhsa_kernel
	.section	.text._ZN2at6native12_GLOBAL__N_125multi_tensor_apply_kernelINS1_18TensorListMetadataILi1EEENS1_14UnaryOpFunctorIN3c108BFloat16ELi1ELi1ELi0EEEJNS0_6LgammaIfEEEEEvT_T0_DpT1_,"axG",@progbits,_ZN2at6native12_GLOBAL__N_125multi_tensor_apply_kernelINS1_18TensorListMetadataILi1EEENS1_14UnaryOpFunctorIN3c108BFloat16ELi1ELi1ELi0EEEJNS0_6LgammaIfEEEEEvT_T0_DpT1_,comdat
.Lfunc_end15:
	.size	_ZN2at6native12_GLOBAL__N_125multi_tensor_apply_kernelINS1_18TensorListMetadataILi1EEENS1_14UnaryOpFunctorIN3c108BFloat16ELi1ELi1ELi0EEEJNS0_6LgammaIfEEEEEvT_T0_DpT1_, .Lfunc_end15-_ZN2at6native12_GLOBAL__N_125multi_tensor_apply_kernelINS1_18TensorListMetadataILi1EEENS1_14UnaryOpFunctorIN3c108BFloat16ELi1ELi1ELi0EEEJNS0_6LgammaIfEEEEEvT_T0_DpT1_
                                        ; -- End function
	.set _ZN2at6native12_GLOBAL__N_125multi_tensor_apply_kernelINS1_18TensorListMetadataILi1EEENS1_14UnaryOpFunctorIN3c108BFloat16ELi1ELi1ELi0EEEJNS0_6LgammaIfEEEEEvT_T0_DpT1_.num_vgpr, 37
	.set _ZN2at6native12_GLOBAL__N_125multi_tensor_apply_kernelINS1_18TensorListMetadataILi1EEENS1_14UnaryOpFunctorIN3c108BFloat16ELi1ELi1ELi0EEEJNS0_6LgammaIfEEEEEvT_T0_DpT1_.num_agpr, 0
	.set _ZN2at6native12_GLOBAL__N_125multi_tensor_apply_kernelINS1_18TensorListMetadataILi1EEENS1_14UnaryOpFunctorIN3c108BFloat16ELi1ELi1ELi0EEEJNS0_6LgammaIfEEEEEvT_T0_DpT1_.numbered_sgpr, 42
	.set _ZN2at6native12_GLOBAL__N_125multi_tensor_apply_kernelINS1_18TensorListMetadataILi1EEENS1_14UnaryOpFunctorIN3c108BFloat16ELi1ELi1ELi0EEEJNS0_6LgammaIfEEEEEvT_T0_DpT1_.num_named_barrier, 0
	.set _ZN2at6native12_GLOBAL__N_125multi_tensor_apply_kernelINS1_18TensorListMetadataILi1EEENS1_14UnaryOpFunctorIN3c108BFloat16ELi1ELi1ELi0EEEJNS0_6LgammaIfEEEEEvT_T0_DpT1_.private_seg_size, 0
	.set _ZN2at6native12_GLOBAL__N_125multi_tensor_apply_kernelINS1_18TensorListMetadataILi1EEENS1_14UnaryOpFunctorIN3c108BFloat16ELi1ELi1ELi0EEEJNS0_6LgammaIfEEEEEvT_T0_DpT1_.uses_vcc, 1
	.set _ZN2at6native12_GLOBAL__N_125multi_tensor_apply_kernelINS1_18TensorListMetadataILi1EEENS1_14UnaryOpFunctorIN3c108BFloat16ELi1ELi1ELi0EEEJNS0_6LgammaIfEEEEEvT_T0_DpT1_.uses_flat_scratch, 0
	.set _ZN2at6native12_GLOBAL__N_125multi_tensor_apply_kernelINS1_18TensorListMetadataILi1EEENS1_14UnaryOpFunctorIN3c108BFloat16ELi1ELi1ELi0EEEJNS0_6LgammaIfEEEEEvT_T0_DpT1_.has_dyn_sized_stack, 0
	.set _ZN2at6native12_GLOBAL__N_125multi_tensor_apply_kernelINS1_18TensorListMetadataILi1EEENS1_14UnaryOpFunctorIN3c108BFloat16ELi1ELi1ELi0EEEJNS0_6LgammaIfEEEEEvT_T0_DpT1_.has_recursion, 0
	.set _ZN2at6native12_GLOBAL__N_125multi_tensor_apply_kernelINS1_18TensorListMetadataILi1EEENS1_14UnaryOpFunctorIN3c108BFloat16ELi1ELi1ELi0EEEJNS0_6LgammaIfEEEEEvT_T0_DpT1_.has_indirect_call, 0
	.section	.AMDGPU.csdata,"",@progbits
; Kernel info:
; codeLenInByte = 22600
; TotalNumSgprs: 44
; NumVgprs: 37
; ScratchSize: 0
; MemoryBound: 0
; FloatMode: 240
; IeeeMode: 1
; LDSByteSize: 0 bytes/workgroup (compile time only)
; SGPRBlocks: 0
; VGPRBlocks: 2
; NumSGPRsForWavesPerEU: 44
; NumVGPRsForWavesPerEU: 37
; NamedBarCnt: 0
; Occupancy: 16
; WaveLimiterHint : 0
; COMPUTE_PGM_RSRC2:SCRATCH_EN: 0
; COMPUTE_PGM_RSRC2:USER_SGPR: 2
; COMPUTE_PGM_RSRC2:TRAP_HANDLER: 0
; COMPUTE_PGM_RSRC2:TGID_X_EN: 1
; COMPUTE_PGM_RSRC2:TGID_Y_EN: 0
; COMPUTE_PGM_RSRC2:TGID_Z_EN: 0
; COMPUTE_PGM_RSRC2:TIDIG_COMP_CNT: 0
	.section	.text._ZN2at6native12_GLOBAL__N_125multi_tensor_apply_kernelINS1_18TensorListMetadataILi2EEENS1_14UnaryOpFunctorIdLi2ELi1ELi1EEEJNS0_6TruncfIdEEEEEvT_T0_DpT1_,"axG",@progbits,_ZN2at6native12_GLOBAL__N_125multi_tensor_apply_kernelINS1_18TensorListMetadataILi2EEENS1_14UnaryOpFunctorIdLi2ELi1ELi1EEEJNS0_6TruncfIdEEEEEvT_T0_DpT1_,comdat
	.globl	_ZN2at6native12_GLOBAL__N_125multi_tensor_apply_kernelINS1_18TensorListMetadataILi2EEENS1_14UnaryOpFunctorIdLi2ELi1ELi1EEEJNS0_6TruncfIdEEEEEvT_T0_DpT1_ ; -- Begin function _ZN2at6native12_GLOBAL__N_125multi_tensor_apply_kernelINS1_18TensorListMetadataILi2EEENS1_14UnaryOpFunctorIdLi2ELi1ELi1EEEJNS0_6TruncfIdEEEEEvT_T0_DpT1_
	.p2align	8
	.type	_ZN2at6native12_GLOBAL__N_125multi_tensor_apply_kernelINS1_18TensorListMetadataILi2EEENS1_14UnaryOpFunctorIdLi2ELi1ELi1EEEJNS0_6TruncfIdEEEEEvT_T0_DpT1_,@function
_ZN2at6native12_GLOBAL__N_125multi_tensor_apply_kernelINS1_18TensorListMetadataILi2EEENS1_14UnaryOpFunctorIdLi2ELi1ELi1EEEJNS0_6TruncfIdEEEEEvT_T0_DpT1_: ; @_ZN2at6native12_GLOBAL__N_125multi_tensor_apply_kernelINS1_18TensorListMetadataILi2EEENS1_14UnaryOpFunctorIdLi2ELi1ELi1EEEJNS0_6TruncfIdEEEEEvT_T0_DpT1_
; %bb.0:
	s_bfe_u32 s2, ttmp6, 0x4000c
	s_and_b32 s3, ttmp6, 15
	s_add_co_i32 s2, s2, 1
	s_getreg_b32 s4, hwreg(HW_REG_IB_STS2, 6, 4)
	s_mul_i32 s2, ttmp9, s2
	s_mov_b32 s9, 0
	s_add_co_i32 s3, s3, s2
	s_cmp_eq_u32 s4, 0
	s_mov_b32 s15, s9
	s_cselect_b32 s8, ttmp9, s3
	s_load_u8 s11, s[0:1], s8 offset:0x600
	s_add_nc_u64 s[2:3], s[0:1], s[8:9]
	s_mul_u64 s[4:5], s[8:9], 3
	s_delay_alu instid0(SALU_CYCLE_1)
	s_add_nc_u64 s[4:5], s[2:3], s[4:5]
	s_load_b32 s10, s[4:5], 0x740
	s_wait_kmcnt 0x0
	s_clause 0x2
	s_load_b64 s[2:3], s[0:1], s11 offset:0x0 scale_offset
	s_load_b64 s[6:7], s[0:1], s11 offset:0x200 scale_offset
	;; [unrolled: 1-line block ×3, first 2 shown]
	s_wait_xcnt 0x0
	s_ashr_i32 s11, s10, 31
	s_delay_alu instid0(SALU_CYCLE_1)
	s_lshl_b64 s[4:5], s[10:11], 19
	s_wait_kmcnt 0x0
	s_and_b64 s[18:19], s[6:7], 31
	s_add_nc_u64 s[16:17], s[2:3], s[4:5]
	s_and_b32 s14, s12, 3
	s_and_b32 s8, s16, 31
	s_or_b64 s[14:15], s[18:19], s[14:15]
	s_lshl_b64 s[10:11], s[10:11], 16
	s_or_b64 s[14:15], s[14:15], s[8:9]
	s_sub_nc_u64 s[8:9], s[12:13], s[10:11]
	s_cmp_eq_u64 s[14:15], 0
	s_mov_b32 s10, -1
	s_cbranch_scc0 .LBB16_5
; %bb.1:
	v_min_i64 v[2:3], 0x10000, s[8:9]
	v_dual_mov_b32 v5, 0 :: v_dual_lshlrev_b32 v4, 2, v0
	s_mov_b32 s14, exec_lo
	s_delay_alu instid0(VALU_DEP_1)
	v_cmpx_lt_i64_e64 v[4:5], v[2:3]
	s_cbranch_execz .LBB16_4
; %bb.2:
	s_load_b32 s10, s[0:1], 0xc5c
	v_dual_mov_b32 v1, v5 :: v_dual_lshlrev_b32 v4, 5, v0
	s_mov_b32 s11, 0
	s_delay_alu instid0(SALU_CYCLE_1) | instskip(NEXT) | instid1(VALU_DEP_1)
	s_mov_b32 s13, s11
	v_add_nc_u64_e32 v[4:5], s[4:5], v[4:5]
	s_delay_alu instid0(VALU_DEP_2) | instskip(SKIP_3) | instid1(SALU_CYCLE_1)
	v_mov_b64_e32 v[6:7], v[0:1]
	s_mov_b32 s15, s11
	s_wait_kmcnt 0x0
	s_and_b32 s10, s10, 0xffff
	s_lshl_b32 s12, s10, 5
.LBB16_3:                               ; =>This Inner Loop Header: Depth=1
	s_delay_alu instid0(VALU_DEP_2) | instskip(NEXT) | instid1(VALU_DEP_2)
	v_add_nc_u64_e32 v[16:17], s[2:3], v[4:5]
	v_add_nc_u64_e32 v[6:7], s[10:11], v[6:7]
	s_clause 0x1
	global_load_b128 v[8:11], v[16:17], off
	global_load_b128 v[12:15], v[16:17], off offset:16
	s_wait_xcnt 0x0
	v_lshlrev_b64_e32 v[16:17], 2, v[6:7]
	s_delay_alu instid0(VALU_DEP_1)
	v_cmp_ge_i64_e32 vcc_lo, v[16:17], v[2:3]
	v_add_nc_u64_e32 v[16:17], s[6:7], v[4:5]
	v_add_nc_u64_e32 v[4:5], s[12:13], v[4:5]
	s_or_b32 s15, vcc_lo, s15
	s_wait_loadcnt 0x1
	v_trunc_f64_e32 v[8:9], v[8:9]
	v_trunc_f64_e32 v[10:11], v[10:11]
	s_wait_loadcnt 0x0
	v_trunc_f64_e32 v[12:13], v[12:13]
	v_trunc_f64_e32 v[14:15], v[14:15]
	s_clause 0x1
	global_store_b128 v[16:17], v[8:11], off
	global_store_b128 v[16:17], v[12:15], off offset:16
	s_wait_xcnt 0x0
	s_and_not1_b32 exec_lo, exec_lo, s15
	s_cbranch_execnz .LBB16_3
.LBB16_4:
	s_or_b32 exec_lo, exec_lo, s14
	s_mov_b32 s10, 0
.LBB16_5:
	s_delay_alu instid0(SALU_CYCLE_1)
	s_and_not1_b32 vcc_lo, exec_lo, s10
	s_cbranch_vccnz .LBB16_25
; %bb.6:
	v_cmp_lt_i64_e64 s10, s[8:9], 1
	s_and_b32 vcc_lo, exec_lo, s10
	s_cbranch_vccnz .LBB16_25
; %bb.7:
	s_load_b32 s0, s[0:1], 0xc5c
	v_min_i64 v[2:3], 0x10000, s[8:9]
	v_min_u64 v[4:5], 0x10000, s[8:9]
	v_dual_mov_b32 v1, 0 :: v_dual_lshlrev_b32 v10, 3, v0
	s_mov_b32 s9, 0
	s_delay_alu instid0(SALU_CYCLE_1) | instskip(NEXT) | instid1(VALU_DEP_1)
	s_mov_b32 s13, s9
	v_dual_mov_b32 v11, v1 :: v_dual_mov_b32 v27, v1
	s_wait_xcnt 0x0
	s_mov_b32 s1, s9
	s_mov_b32 s11, s9
	s_delay_alu instid0(VALU_DEP_1) | instskip(SKIP_2) | instid1(SALU_CYCLE_1)
	v_add_nc_u64_e32 v[6:7], s[2:3], v[10:11]
	s_wait_kmcnt 0x0
	s_and_b32 s8, s0, 0xffff
	v_add_nc_u64_e32 v[8:9], s[8:9], v[0:1]
	v_mad_nc_u64_u32 v[22:23], s8, 24, v[10:11]
	s_lshl_b32 s12, s8, 4
	s_mul_i32 s10, s8, 3
	v_add_nc_u64_e32 v[18:19], s[12:13], v[10:11]
	s_lshl_b32 s0, s8, 1
	v_add_nc_u64_e32 v[10:11], s[6:7], v[10:11]
	v_lshlrev_b32_e32 v26, 3, v8
	v_add_nc_u64_e32 v[12:13], s[10:11], v[0:1]
	v_add_nc_u64_e32 v[14:15], s[0:1], v[0:1]
	s_mov_b64 s[10:11], 0
	v_add_nc_u64_e32 v[16:17], s[2:3], v[18:19]
	v_add_nc_u64_e32 v[18:19], s[6:7], v[18:19]
	v_add_nc_u64_e32 v[20:21], s[2:3], v[22:23]
	v_add_nc_u64_e32 v[22:23], s[6:7], v[22:23]
	v_add_nc_u64_e32 v[24:25], s[2:3], v[26:27]
	v_add_nc_u64_e32 v[26:27], s[6:7], v[26:27]
	s_lshl_b32 s6, s8, 2
	s_mov_b32 s7, s9
	s_lshl_b32 s8, s8, 5
	s_branch .LBB16_9
.LBB16_8:                               ;   in Loop: Header=BB16_9 Depth=1
	s_wait_xcnt 0x0
	s_or_b32 exec_lo, exec_lo, s0
	s_add_nc_u64 s[10:11], s[10:11], s[6:7]
	v_add_nc_u64_e32 v[6:7], s[8:9], v[6:7]
	v_cmp_ge_i64_e32 vcc_lo, s[10:11], v[2:3]
	v_add_nc_u64_e32 v[10:11], s[8:9], v[10:11]
	v_add_nc_u64_e32 v[20:21], s[8:9], v[20:21]
	;; [unrolled: 1-line block ×7, first 2 shown]
	s_cbranch_vccnz .LBB16_25
.LBB16_9:                               ; =>This Inner Loop Header: Depth=1
	v_add_nc_u64_e32 v[30:31], s[10:11], v[0:1]
	v_mov_b64_e32 v[28:29], 0
	s_delay_alu instid0(VALU_DEP_2)
	v_cmp_lt_u64_e32 vcc_lo, v[30:31], v[4:5]
	v_mov_b64_e32 v[30:31], 0
	s_and_saveexec_b32 s0, vcc_lo
	s_cbranch_execz .LBB16_11
; %bb.10:                               ;   in Loop: Header=BB16_9 Depth=1
	v_add_nc_u64_e32 v[30:31], s[4:5], v[6:7]
	global_load_b64 v[30:31], v[30:31], off
	s_wait_loadcnt 0x0
	v_trunc_f64_e32 v[30:31], v[30:31]
.LBB16_11:                              ;   in Loop: Header=BB16_9 Depth=1
	s_or_b32 exec_lo, exec_lo, s0
	v_add_nc_u64_e32 v[32:33], s[10:11], v[8:9]
	s_delay_alu instid0(VALU_DEP_1)
	v_cmp_lt_u64_e64 s0, v[32:33], v[4:5]
	s_and_saveexec_b32 s1, s0
	s_cbranch_execz .LBB16_13
; %bb.12:                               ;   in Loop: Header=BB16_9 Depth=1
	v_add_nc_u64_e32 v[28:29], s[4:5], v[24:25]
	global_load_b64 v[28:29], v[28:29], off
	s_wait_loadcnt 0x0
	v_trunc_f64_e32 v[28:29], v[28:29]
.LBB16_13:                              ;   in Loop: Header=BB16_9 Depth=1
	s_or_b32 exec_lo, exec_lo, s1
	v_add_nc_u64_e32 v[34:35], s[10:11], v[14:15]
	v_mov_b64_e32 v[32:33], 0
	s_delay_alu instid0(VALU_DEP_2)
	v_cmp_lt_u64_e64 s1, v[34:35], v[4:5]
	v_mov_b64_e32 v[34:35], 0
	s_and_saveexec_b32 s2, s1
	s_cbranch_execz .LBB16_15
; %bb.14:                               ;   in Loop: Header=BB16_9 Depth=1
	v_add_nc_u64_e32 v[34:35], s[4:5], v[16:17]
	global_load_b64 v[34:35], v[34:35], off
	s_wait_loadcnt 0x0
	v_trunc_f64_e32 v[34:35], v[34:35]
.LBB16_15:                              ;   in Loop: Header=BB16_9 Depth=1
	s_or_b32 exec_lo, exec_lo, s2
	v_add_nc_u64_e32 v[36:37], s[10:11], v[12:13]
	s_delay_alu instid0(VALU_DEP_1)
	v_cmp_lt_u64_e64 s2, v[36:37], v[4:5]
	s_and_saveexec_b32 s3, s2
	s_cbranch_execnz .LBB16_20
; %bb.16:                               ;   in Loop: Header=BB16_9 Depth=1
	s_or_b32 exec_lo, exec_lo, s3
	s_and_saveexec_b32 s3, vcc_lo
	s_cbranch_execnz .LBB16_21
.LBB16_17:                              ;   in Loop: Header=BB16_9 Depth=1
	s_or_b32 exec_lo, exec_lo, s3
	s_and_saveexec_b32 s3, s0
	s_cbranch_execnz .LBB16_22
.LBB16_18:                              ;   in Loop: Header=BB16_9 Depth=1
	s_or_b32 exec_lo, exec_lo, s3
	s_and_saveexec_b32 s0, s1
	s_cbranch_execnz .LBB16_23
.LBB16_19:                              ;   in Loop: Header=BB16_9 Depth=1
	s_or_b32 exec_lo, exec_lo, s0
	s_and_saveexec_b32 s0, s2
	s_cbranch_execz .LBB16_8
	s_branch .LBB16_24
.LBB16_20:                              ;   in Loop: Header=BB16_9 Depth=1
	v_add_nc_u64_e32 v[32:33], s[4:5], v[20:21]
	global_load_b64 v[32:33], v[32:33], off
	s_wait_loadcnt 0x0
	v_trunc_f64_e32 v[32:33], v[32:33]
	s_or_b32 exec_lo, exec_lo, s3
	s_and_saveexec_b32 s3, vcc_lo
	s_cbranch_execz .LBB16_17
.LBB16_21:                              ;   in Loop: Header=BB16_9 Depth=1
	v_add_nc_u64_e32 v[36:37], s[4:5], v[10:11]
	global_store_b64 v[36:37], v[30:31], off
	s_wait_xcnt 0x0
	s_or_b32 exec_lo, exec_lo, s3
	s_and_saveexec_b32 s3, s0
	s_cbranch_execz .LBB16_18
.LBB16_22:                              ;   in Loop: Header=BB16_9 Depth=1
	v_add_nc_u64_e32 v[30:31], s[4:5], v[26:27]
	global_store_b64 v[30:31], v[28:29], off
	s_wait_xcnt 0x0
	s_or_b32 exec_lo, exec_lo, s3
	s_and_saveexec_b32 s0, s1
	s_cbranch_execz .LBB16_19
.LBB16_23:                              ;   in Loop: Header=BB16_9 Depth=1
	v_add_nc_u64_e32 v[28:29], s[4:5], v[18:19]
	global_store_b64 v[28:29], v[34:35], off
	s_wait_xcnt 0x0
	s_or_b32 exec_lo, exec_lo, s0
	s_and_saveexec_b32 s0, s2
	s_cbranch_execz .LBB16_8
.LBB16_24:                              ;   in Loop: Header=BB16_9 Depth=1
	v_add_nc_u64_e32 v[28:29], s[4:5], v[22:23]
	global_store_b64 v[28:29], v[32:33], off
	s_branch .LBB16_8
.LBB16_25:
	s_endpgm
	.section	.rodata,"a",@progbits
	.p2align	6, 0x0
	.amdhsa_kernel _ZN2at6native12_GLOBAL__N_125multi_tensor_apply_kernelINS1_18TensorListMetadataILi2EEENS1_14UnaryOpFunctorIdLi2ELi1ELi1EEEJNS0_6TruncfIdEEEEEvT_T0_DpT1_
		.amdhsa_group_segment_fixed_size 0
		.amdhsa_private_segment_fixed_size 0
		.amdhsa_kernarg_size 3408
		.amdhsa_user_sgpr_count 2
		.amdhsa_user_sgpr_dispatch_ptr 0
		.amdhsa_user_sgpr_queue_ptr 0
		.amdhsa_user_sgpr_kernarg_segment_ptr 1
		.amdhsa_user_sgpr_dispatch_id 0
		.amdhsa_user_sgpr_kernarg_preload_length 0
		.amdhsa_user_sgpr_kernarg_preload_offset 0
		.amdhsa_user_sgpr_private_segment_size 0
		.amdhsa_wavefront_size32 1
		.amdhsa_uses_dynamic_stack 0
		.amdhsa_enable_private_segment 0
		.amdhsa_system_sgpr_workgroup_id_x 1
		.amdhsa_system_sgpr_workgroup_id_y 0
		.amdhsa_system_sgpr_workgroup_id_z 0
		.amdhsa_system_sgpr_workgroup_info 0
		.amdhsa_system_vgpr_workitem_id 0
		.amdhsa_next_free_vgpr 38
		.amdhsa_next_free_sgpr 20
		.amdhsa_named_barrier_count 0
		.amdhsa_reserve_vcc 1
		.amdhsa_float_round_mode_32 0
		.amdhsa_float_round_mode_16_64 0
		.amdhsa_float_denorm_mode_32 3
		.amdhsa_float_denorm_mode_16_64 3
		.amdhsa_fp16_overflow 0
		.amdhsa_memory_ordered 1
		.amdhsa_forward_progress 1
		.amdhsa_inst_pref_size 9
		.amdhsa_round_robin_scheduling 0
		.amdhsa_exception_fp_ieee_invalid_op 0
		.amdhsa_exception_fp_denorm_src 0
		.amdhsa_exception_fp_ieee_div_zero 0
		.amdhsa_exception_fp_ieee_overflow 0
		.amdhsa_exception_fp_ieee_underflow 0
		.amdhsa_exception_fp_ieee_inexact 0
		.amdhsa_exception_int_div_zero 0
	.end_amdhsa_kernel
	.section	.text._ZN2at6native12_GLOBAL__N_125multi_tensor_apply_kernelINS1_18TensorListMetadataILi2EEENS1_14UnaryOpFunctorIdLi2ELi1ELi1EEEJNS0_6TruncfIdEEEEEvT_T0_DpT1_,"axG",@progbits,_ZN2at6native12_GLOBAL__N_125multi_tensor_apply_kernelINS1_18TensorListMetadataILi2EEENS1_14UnaryOpFunctorIdLi2ELi1ELi1EEEJNS0_6TruncfIdEEEEEvT_T0_DpT1_,comdat
.Lfunc_end16:
	.size	_ZN2at6native12_GLOBAL__N_125multi_tensor_apply_kernelINS1_18TensorListMetadataILi2EEENS1_14UnaryOpFunctorIdLi2ELi1ELi1EEEJNS0_6TruncfIdEEEEEvT_T0_DpT1_, .Lfunc_end16-_ZN2at6native12_GLOBAL__N_125multi_tensor_apply_kernelINS1_18TensorListMetadataILi2EEENS1_14UnaryOpFunctorIdLi2ELi1ELi1EEEJNS0_6TruncfIdEEEEEvT_T0_DpT1_
                                        ; -- End function
	.set _ZN2at6native12_GLOBAL__N_125multi_tensor_apply_kernelINS1_18TensorListMetadataILi2EEENS1_14UnaryOpFunctorIdLi2ELi1ELi1EEEJNS0_6TruncfIdEEEEEvT_T0_DpT1_.num_vgpr, 38
	.set _ZN2at6native12_GLOBAL__N_125multi_tensor_apply_kernelINS1_18TensorListMetadataILi2EEENS1_14UnaryOpFunctorIdLi2ELi1ELi1EEEJNS0_6TruncfIdEEEEEvT_T0_DpT1_.num_agpr, 0
	.set _ZN2at6native12_GLOBAL__N_125multi_tensor_apply_kernelINS1_18TensorListMetadataILi2EEENS1_14UnaryOpFunctorIdLi2ELi1ELi1EEEJNS0_6TruncfIdEEEEEvT_T0_DpT1_.numbered_sgpr, 20
	.set _ZN2at6native12_GLOBAL__N_125multi_tensor_apply_kernelINS1_18TensorListMetadataILi2EEENS1_14UnaryOpFunctorIdLi2ELi1ELi1EEEJNS0_6TruncfIdEEEEEvT_T0_DpT1_.num_named_barrier, 0
	.set _ZN2at6native12_GLOBAL__N_125multi_tensor_apply_kernelINS1_18TensorListMetadataILi2EEENS1_14UnaryOpFunctorIdLi2ELi1ELi1EEEJNS0_6TruncfIdEEEEEvT_T0_DpT1_.private_seg_size, 0
	.set _ZN2at6native12_GLOBAL__N_125multi_tensor_apply_kernelINS1_18TensorListMetadataILi2EEENS1_14UnaryOpFunctorIdLi2ELi1ELi1EEEJNS0_6TruncfIdEEEEEvT_T0_DpT1_.uses_vcc, 1
	.set _ZN2at6native12_GLOBAL__N_125multi_tensor_apply_kernelINS1_18TensorListMetadataILi2EEENS1_14UnaryOpFunctorIdLi2ELi1ELi1EEEJNS0_6TruncfIdEEEEEvT_T0_DpT1_.uses_flat_scratch, 0
	.set _ZN2at6native12_GLOBAL__N_125multi_tensor_apply_kernelINS1_18TensorListMetadataILi2EEENS1_14UnaryOpFunctorIdLi2ELi1ELi1EEEJNS0_6TruncfIdEEEEEvT_T0_DpT1_.has_dyn_sized_stack, 0
	.set _ZN2at6native12_GLOBAL__N_125multi_tensor_apply_kernelINS1_18TensorListMetadataILi2EEENS1_14UnaryOpFunctorIdLi2ELi1ELi1EEEJNS0_6TruncfIdEEEEEvT_T0_DpT1_.has_recursion, 0
	.set _ZN2at6native12_GLOBAL__N_125multi_tensor_apply_kernelINS1_18TensorListMetadataILi2EEENS1_14UnaryOpFunctorIdLi2ELi1ELi1EEEJNS0_6TruncfIdEEEEEvT_T0_DpT1_.has_indirect_call, 0
	.section	.AMDGPU.csdata,"",@progbits
; Kernel info:
; codeLenInByte = 1076
; TotalNumSgprs: 22
; NumVgprs: 38
; ScratchSize: 0
; MemoryBound: 0
; FloatMode: 240
; IeeeMode: 1
; LDSByteSize: 0 bytes/workgroup (compile time only)
; SGPRBlocks: 0
; VGPRBlocks: 2
; NumSGPRsForWavesPerEU: 22
; NumVGPRsForWavesPerEU: 38
; NamedBarCnt: 0
; Occupancy: 16
; WaveLimiterHint : 0
; COMPUTE_PGM_RSRC2:SCRATCH_EN: 0
; COMPUTE_PGM_RSRC2:USER_SGPR: 2
; COMPUTE_PGM_RSRC2:TRAP_HANDLER: 0
; COMPUTE_PGM_RSRC2:TGID_X_EN: 1
; COMPUTE_PGM_RSRC2:TGID_Y_EN: 0
; COMPUTE_PGM_RSRC2:TGID_Z_EN: 0
; COMPUTE_PGM_RSRC2:TIDIG_COMP_CNT: 0
	.section	.text._ZN2at6native12_GLOBAL__N_125multi_tensor_apply_kernelINS1_18TensorListMetadataILi2EEENS1_14UnaryOpFunctorIfLi2ELi1ELi1EEEJNS0_6TruncfIfEEEEEvT_T0_DpT1_,"axG",@progbits,_ZN2at6native12_GLOBAL__N_125multi_tensor_apply_kernelINS1_18TensorListMetadataILi2EEENS1_14UnaryOpFunctorIfLi2ELi1ELi1EEEJNS0_6TruncfIfEEEEEvT_T0_DpT1_,comdat
	.globl	_ZN2at6native12_GLOBAL__N_125multi_tensor_apply_kernelINS1_18TensorListMetadataILi2EEENS1_14UnaryOpFunctorIfLi2ELi1ELi1EEEJNS0_6TruncfIfEEEEEvT_T0_DpT1_ ; -- Begin function _ZN2at6native12_GLOBAL__N_125multi_tensor_apply_kernelINS1_18TensorListMetadataILi2EEENS1_14UnaryOpFunctorIfLi2ELi1ELi1EEEJNS0_6TruncfIfEEEEEvT_T0_DpT1_
	.p2align	8
	.type	_ZN2at6native12_GLOBAL__N_125multi_tensor_apply_kernelINS1_18TensorListMetadataILi2EEENS1_14UnaryOpFunctorIfLi2ELi1ELi1EEEJNS0_6TruncfIfEEEEEvT_T0_DpT1_,@function
_ZN2at6native12_GLOBAL__N_125multi_tensor_apply_kernelINS1_18TensorListMetadataILi2EEENS1_14UnaryOpFunctorIfLi2ELi1ELi1EEEJNS0_6TruncfIfEEEEEvT_T0_DpT1_: ; @_ZN2at6native12_GLOBAL__N_125multi_tensor_apply_kernelINS1_18TensorListMetadataILi2EEENS1_14UnaryOpFunctorIfLi2ELi1ELi1EEEJNS0_6TruncfIfEEEEEvT_T0_DpT1_
; %bb.0:
	s_bfe_u32 s2, ttmp6, 0x4000c
	s_and_b32 s3, ttmp6, 15
	s_add_co_i32 s2, s2, 1
	s_getreg_b32 s4, hwreg(HW_REG_IB_STS2, 6, 4)
	s_mul_i32 s2, ttmp9, s2
	s_mov_b32 s9, 0
	s_add_co_i32 s3, s3, s2
	s_cmp_eq_u32 s4, 0
	s_mov_b32 s15, s9
	s_cselect_b32 s8, ttmp9, s3
	s_load_u8 s11, s[0:1], s8 offset:0x600
	s_add_nc_u64 s[2:3], s[0:1], s[8:9]
	s_mul_u64 s[4:5], s[8:9], 3
	s_delay_alu instid0(SALU_CYCLE_1)
	s_add_nc_u64 s[4:5], s[2:3], s[4:5]
	s_load_b32 s10, s[4:5], 0x740
	s_wait_kmcnt 0x0
	s_clause 0x2
	s_load_b64 s[2:3], s[0:1], s11 offset:0x0 scale_offset
	s_load_b64 s[6:7], s[0:1], s11 offset:0x200 scale_offset
	;; [unrolled: 1-line block ×3, first 2 shown]
	s_wait_xcnt 0x0
	s_ashr_i32 s11, s10, 31
	s_delay_alu instid0(SALU_CYCLE_1)
	s_lshl_b64 s[4:5], s[10:11], 18
	s_wait_kmcnt 0x0
	s_and_b64 s[18:19], s[6:7], 15
	s_add_nc_u64 s[16:17], s[2:3], s[4:5]
	s_and_b32 s14, s12, 3
	s_and_b32 s8, s16, 15
	s_or_b64 s[14:15], s[18:19], s[14:15]
	s_lshl_b64 s[10:11], s[10:11], 16
	s_or_b64 s[14:15], s[14:15], s[8:9]
	s_sub_nc_u64 s[8:9], s[12:13], s[10:11]
	s_cmp_eq_u64 s[14:15], 0
	s_mov_b32 s10, -1
	s_cbranch_scc0 .LBB17_5
; %bb.1:
	v_min_i64 v[2:3], 0x10000, s[8:9]
	v_dual_mov_b32 v5, 0 :: v_dual_lshlrev_b32 v4, 2, v0
	s_mov_b32 s14, exec_lo
	s_delay_alu instid0(VALU_DEP_1)
	v_cmpx_lt_i64_e64 v[4:5], v[2:3]
	s_cbranch_execz .LBB17_4
; %bb.2:
	s_load_b32 s10, s[0:1], 0xc5c
	v_dual_mov_b32 v1, v5 :: v_dual_lshlrev_b32 v4, 4, v0
	s_mov_b32 s11, 0
	s_delay_alu instid0(SALU_CYCLE_1) | instskip(NEXT) | instid1(VALU_DEP_1)
	s_mov_b32 s13, s11
	v_add_nc_u64_e32 v[4:5], s[4:5], v[4:5]
	s_delay_alu instid0(VALU_DEP_2) | instskip(SKIP_3) | instid1(SALU_CYCLE_1)
	v_mov_b64_e32 v[6:7], v[0:1]
	s_mov_b32 s15, s11
	s_wait_kmcnt 0x0
	s_and_b32 s10, s10, 0xffff
	s_lshl_b32 s12, s10, 4
.LBB17_3:                               ; =>This Inner Loop Header: Depth=1
	s_delay_alu instid0(VALU_DEP_2) | instskip(NEXT) | instid1(VALU_DEP_2)
	v_add_nc_u64_e32 v[8:9], s[2:3], v[4:5]
	v_add_nc_u64_e32 v[6:7], s[10:11], v[6:7]
	;; [unrolled: 1-line block ×4, first 2 shown]
	global_load_b128 v[8:11], v[8:9], off
	v_lshlrev_b64_e32 v[12:13], 2, v[6:7]
	s_delay_alu instid0(VALU_DEP_1)
	v_cmp_ge_i64_e32 vcc_lo, v[12:13], v[2:3]
	s_or_b32 s15, vcc_lo, s15
	s_wait_loadcnt 0x0
	s_wait_xcnt 0x0
	v_trunc_f32_e32 v8, v8
	v_trunc_f32_e32 v9, v9
	;; [unrolled: 1-line block ×4, first 2 shown]
	global_store_b128 v[14:15], v[8:11], off
	s_wait_xcnt 0x0
	s_and_not1_b32 exec_lo, exec_lo, s15
	s_cbranch_execnz .LBB17_3
.LBB17_4:
	s_or_b32 exec_lo, exec_lo, s14
	s_mov_b32 s10, 0
.LBB17_5:
	s_delay_alu instid0(SALU_CYCLE_1)
	s_and_not1_b32 vcc_lo, exec_lo, s10
	s_cbranch_vccnz .LBB17_25
; %bb.6:
	v_cmp_lt_i64_e64 s10, s[8:9], 1
	s_and_b32 vcc_lo, exec_lo, s10
	s_cbranch_vccnz .LBB17_25
; %bb.7:
	s_load_b32 s0, s[0:1], 0xc5c
	v_min_i64 v[2:3], 0x10000, s[8:9]
	v_min_u64 v[4:5], 0x10000, s[8:9]
	v_dual_mov_b32 v1, 0 :: v_dual_lshlrev_b32 v10, 2, v0
	s_mov_b32 s9, 0
	s_delay_alu instid0(SALU_CYCLE_1) | instskip(NEXT) | instid1(VALU_DEP_1)
	s_mov_b32 s13, s9
	v_dual_mov_b32 v11, v1 :: v_dual_mov_b32 v27, v1
	s_wait_xcnt 0x0
	s_mov_b32 s1, s9
	s_mov_b32 s11, s9
	s_delay_alu instid0(VALU_DEP_1) | instskip(SKIP_2) | instid1(SALU_CYCLE_1)
	v_add_nc_u64_e32 v[6:7], s[2:3], v[10:11]
	s_wait_kmcnt 0x0
	s_and_b32 s8, s0, 0xffff
	v_add_nc_u64_e32 v[8:9], s[8:9], v[0:1]
	v_mad_nc_u64_u32 v[22:23], s8, 12, v[10:11]
	s_lshl_b32 s12, s8, 3
	s_mul_i32 s10, s8, 3
	v_add_nc_u64_e32 v[18:19], s[12:13], v[10:11]
	s_lshl_b32 s0, s8, 1
	v_add_nc_u64_e32 v[10:11], s[6:7], v[10:11]
	v_lshlrev_b32_e32 v26, 2, v8
	v_add_nc_u64_e32 v[12:13], s[10:11], v[0:1]
	v_add_nc_u64_e32 v[14:15], s[0:1], v[0:1]
	s_mov_b64 s[10:11], 0
	v_add_nc_u64_e32 v[16:17], s[2:3], v[18:19]
	v_add_nc_u64_e32 v[18:19], s[6:7], v[18:19]
	;; [unrolled: 1-line block ×6, first 2 shown]
	s_lshl_b32 s6, s8, 2
	s_mov_b32 s7, s9
	s_lshl_b32 s8, s8, 4
	s_branch .LBB17_9
.LBB17_8:                               ;   in Loop: Header=BB17_9 Depth=1
	s_wait_xcnt 0x0
	s_or_b32 exec_lo, exec_lo, s0
	s_add_nc_u64 s[10:11], s[10:11], s[6:7]
	v_add_nc_u64_e32 v[6:7], s[8:9], v[6:7]
	v_cmp_ge_i64_e32 vcc_lo, s[10:11], v[2:3]
	v_add_nc_u64_e32 v[10:11], s[8:9], v[10:11]
	v_add_nc_u64_e32 v[20:21], s[8:9], v[20:21]
	;; [unrolled: 1-line block ×7, first 2 shown]
	s_cbranch_vccnz .LBB17_25
.LBB17_9:                               ; =>This Inner Loop Header: Depth=1
	v_add_nc_u64_e32 v[28:29], s[10:11], v[0:1]
	s_delay_alu instid0(VALU_DEP_1)
	v_cmp_lt_u64_e32 vcc_lo, v[28:29], v[4:5]
	v_mov_b32_e32 v29, 0
	s_and_saveexec_b32 s0, vcc_lo
	s_cbranch_execz .LBB17_11
; %bb.10:                               ;   in Loop: Header=BB17_9 Depth=1
	v_add_nc_u64_e32 v[28:29], s[4:5], v[6:7]
	global_load_b32 v28, v[28:29], off
	s_wait_loadcnt 0x0
	v_trunc_f32_e32 v29, v28
.LBB17_11:                              ;   in Loop: Header=BB17_9 Depth=1
	s_or_b32 exec_lo, exec_lo, s0
	v_add_nc_u64_e32 v[30:31], s[10:11], v[8:9]
	v_mov_b32_e32 v28, 0
	s_delay_alu instid0(VALU_DEP_2)
	v_cmp_lt_u64_e64 s0, v[30:31], v[4:5]
	v_mov_b32_e32 v30, 0
	s_and_saveexec_b32 s1, s0
	s_cbranch_execz .LBB17_13
; %bb.12:                               ;   in Loop: Header=BB17_9 Depth=1
	v_add_nc_u64_e32 v[30:31], s[4:5], v[24:25]
	global_load_b32 v30, v[30:31], off
	s_wait_loadcnt 0x0
	v_trunc_f32_e32 v30, v30
.LBB17_13:                              ;   in Loop: Header=BB17_9 Depth=1
	s_or_b32 exec_lo, exec_lo, s1
	v_add_nc_u64_e32 v[32:33], s[10:11], v[14:15]
	s_delay_alu instid0(VALU_DEP_1)
	v_cmp_lt_u64_e64 s1, v[32:33], v[4:5]
	s_and_saveexec_b32 s2, s1
	s_cbranch_execz .LBB17_15
; %bb.14:                               ;   in Loop: Header=BB17_9 Depth=1
	v_add_nc_u64_e32 v[32:33], s[4:5], v[16:17]
	global_load_b32 v28, v[32:33], off
	s_wait_loadcnt 0x0
	v_trunc_f32_e32 v28, v28
.LBB17_15:                              ;   in Loop: Header=BB17_9 Depth=1
	s_wait_xcnt 0x0
	s_or_b32 exec_lo, exec_lo, s2
	v_add_nc_u64_e32 v[32:33], s[10:11], v[12:13]
	v_mov_b32_e32 v31, 0
	s_delay_alu instid0(VALU_DEP_2)
	v_cmp_lt_u64_e64 s2, v[32:33], v[4:5]
	s_and_saveexec_b32 s3, s2
	s_cbranch_execnz .LBB17_20
; %bb.16:                               ;   in Loop: Header=BB17_9 Depth=1
	s_or_b32 exec_lo, exec_lo, s3
	s_and_saveexec_b32 s3, vcc_lo
	s_cbranch_execnz .LBB17_21
.LBB17_17:                              ;   in Loop: Header=BB17_9 Depth=1
	s_or_b32 exec_lo, exec_lo, s3
	s_and_saveexec_b32 s3, s0
	s_cbranch_execnz .LBB17_22
.LBB17_18:                              ;   in Loop: Header=BB17_9 Depth=1
	s_or_b32 exec_lo, exec_lo, s3
	s_and_saveexec_b32 s0, s1
	s_cbranch_execnz .LBB17_23
.LBB17_19:                              ;   in Loop: Header=BB17_9 Depth=1
	s_or_b32 exec_lo, exec_lo, s0
	s_and_saveexec_b32 s0, s2
	s_cbranch_execz .LBB17_8
	s_branch .LBB17_24
.LBB17_20:                              ;   in Loop: Header=BB17_9 Depth=1
	v_add_nc_u64_e32 v[32:33], s[4:5], v[20:21]
	global_load_b32 v31, v[32:33], off
	s_wait_loadcnt 0x0
	v_trunc_f32_e32 v31, v31
	s_wait_xcnt 0x0
	s_or_b32 exec_lo, exec_lo, s3
	s_and_saveexec_b32 s3, vcc_lo
	s_cbranch_execz .LBB17_17
.LBB17_21:                              ;   in Loop: Header=BB17_9 Depth=1
	v_add_nc_u64_e32 v[32:33], s[4:5], v[10:11]
	global_store_b32 v[32:33], v29, off
	s_wait_xcnt 0x0
	s_or_b32 exec_lo, exec_lo, s3
	s_and_saveexec_b32 s3, s0
	s_cbranch_execz .LBB17_18
.LBB17_22:                              ;   in Loop: Header=BB17_9 Depth=1
	v_add_nc_u64_e32 v[32:33], s[4:5], v[26:27]
	global_store_b32 v[32:33], v30, off
	s_wait_xcnt 0x0
	s_or_b32 exec_lo, exec_lo, s3
	s_and_saveexec_b32 s0, s1
	s_cbranch_execz .LBB17_19
.LBB17_23:                              ;   in Loop: Header=BB17_9 Depth=1
	v_add_nc_u64_e32 v[32:33], s[4:5], v[18:19]
	global_store_b32 v[32:33], v28, off
	s_wait_xcnt 0x0
	s_or_b32 exec_lo, exec_lo, s0
	s_and_saveexec_b32 s0, s2
	s_cbranch_execz .LBB17_8
.LBB17_24:                              ;   in Loop: Header=BB17_9 Depth=1
	v_add_nc_u64_e32 v[28:29], s[4:5], v[22:23]
	global_store_b32 v[28:29], v31, off
	s_branch .LBB17_8
.LBB17_25:
	s_endpgm
	.section	.rodata,"a",@progbits
	.p2align	6, 0x0
	.amdhsa_kernel _ZN2at6native12_GLOBAL__N_125multi_tensor_apply_kernelINS1_18TensorListMetadataILi2EEENS1_14UnaryOpFunctorIfLi2ELi1ELi1EEEJNS0_6TruncfIfEEEEEvT_T0_DpT1_
		.amdhsa_group_segment_fixed_size 0
		.amdhsa_private_segment_fixed_size 0
		.amdhsa_kernarg_size 3408
		.amdhsa_user_sgpr_count 2
		.amdhsa_user_sgpr_dispatch_ptr 0
		.amdhsa_user_sgpr_queue_ptr 0
		.amdhsa_user_sgpr_kernarg_segment_ptr 1
		.amdhsa_user_sgpr_dispatch_id 0
		.amdhsa_user_sgpr_kernarg_preload_length 0
		.amdhsa_user_sgpr_kernarg_preload_offset 0
		.amdhsa_user_sgpr_private_segment_size 0
		.amdhsa_wavefront_size32 1
		.amdhsa_uses_dynamic_stack 0
		.amdhsa_enable_private_segment 0
		.amdhsa_system_sgpr_workgroup_id_x 1
		.amdhsa_system_sgpr_workgroup_id_y 0
		.amdhsa_system_sgpr_workgroup_id_z 0
		.amdhsa_system_sgpr_workgroup_info 0
		.amdhsa_system_vgpr_workitem_id 0
		.amdhsa_next_free_vgpr 34
		.amdhsa_next_free_sgpr 20
		.amdhsa_named_barrier_count 0
		.amdhsa_reserve_vcc 1
		.amdhsa_float_round_mode_32 0
		.amdhsa_float_round_mode_16_64 0
		.amdhsa_float_denorm_mode_32 3
		.amdhsa_float_denorm_mode_16_64 3
		.amdhsa_fp16_overflow 0
		.amdhsa_memory_ordered 1
		.amdhsa_forward_progress 1
		.amdhsa_inst_pref_size 9
		.amdhsa_round_robin_scheduling 0
		.amdhsa_exception_fp_ieee_invalid_op 0
		.amdhsa_exception_fp_denorm_src 0
		.amdhsa_exception_fp_ieee_div_zero 0
		.amdhsa_exception_fp_ieee_overflow 0
		.amdhsa_exception_fp_ieee_underflow 0
		.amdhsa_exception_fp_ieee_inexact 0
		.amdhsa_exception_int_div_zero 0
	.end_amdhsa_kernel
	.section	.text._ZN2at6native12_GLOBAL__N_125multi_tensor_apply_kernelINS1_18TensorListMetadataILi2EEENS1_14UnaryOpFunctorIfLi2ELi1ELi1EEEJNS0_6TruncfIfEEEEEvT_T0_DpT1_,"axG",@progbits,_ZN2at6native12_GLOBAL__N_125multi_tensor_apply_kernelINS1_18TensorListMetadataILi2EEENS1_14UnaryOpFunctorIfLi2ELi1ELi1EEEJNS0_6TruncfIfEEEEEvT_T0_DpT1_,comdat
.Lfunc_end17:
	.size	_ZN2at6native12_GLOBAL__N_125multi_tensor_apply_kernelINS1_18TensorListMetadataILi2EEENS1_14UnaryOpFunctorIfLi2ELi1ELi1EEEJNS0_6TruncfIfEEEEEvT_T0_DpT1_, .Lfunc_end17-_ZN2at6native12_GLOBAL__N_125multi_tensor_apply_kernelINS1_18TensorListMetadataILi2EEENS1_14UnaryOpFunctorIfLi2ELi1ELi1EEEJNS0_6TruncfIfEEEEEvT_T0_DpT1_
                                        ; -- End function
	.set _ZN2at6native12_GLOBAL__N_125multi_tensor_apply_kernelINS1_18TensorListMetadataILi2EEENS1_14UnaryOpFunctorIfLi2ELi1ELi1EEEJNS0_6TruncfIfEEEEEvT_T0_DpT1_.num_vgpr, 34
	.set _ZN2at6native12_GLOBAL__N_125multi_tensor_apply_kernelINS1_18TensorListMetadataILi2EEENS1_14UnaryOpFunctorIfLi2ELi1ELi1EEEJNS0_6TruncfIfEEEEEvT_T0_DpT1_.num_agpr, 0
	.set _ZN2at6native12_GLOBAL__N_125multi_tensor_apply_kernelINS1_18TensorListMetadataILi2EEENS1_14UnaryOpFunctorIfLi2ELi1ELi1EEEJNS0_6TruncfIfEEEEEvT_T0_DpT1_.numbered_sgpr, 20
	.set _ZN2at6native12_GLOBAL__N_125multi_tensor_apply_kernelINS1_18TensorListMetadataILi2EEENS1_14UnaryOpFunctorIfLi2ELi1ELi1EEEJNS0_6TruncfIfEEEEEvT_T0_DpT1_.num_named_barrier, 0
	.set _ZN2at6native12_GLOBAL__N_125multi_tensor_apply_kernelINS1_18TensorListMetadataILi2EEENS1_14UnaryOpFunctorIfLi2ELi1ELi1EEEJNS0_6TruncfIfEEEEEvT_T0_DpT1_.private_seg_size, 0
	.set _ZN2at6native12_GLOBAL__N_125multi_tensor_apply_kernelINS1_18TensorListMetadataILi2EEENS1_14UnaryOpFunctorIfLi2ELi1ELi1EEEJNS0_6TruncfIfEEEEEvT_T0_DpT1_.uses_vcc, 1
	.set _ZN2at6native12_GLOBAL__N_125multi_tensor_apply_kernelINS1_18TensorListMetadataILi2EEENS1_14UnaryOpFunctorIfLi2ELi1ELi1EEEJNS0_6TruncfIfEEEEEvT_T0_DpT1_.uses_flat_scratch, 0
	.set _ZN2at6native12_GLOBAL__N_125multi_tensor_apply_kernelINS1_18TensorListMetadataILi2EEENS1_14UnaryOpFunctorIfLi2ELi1ELi1EEEJNS0_6TruncfIfEEEEEvT_T0_DpT1_.has_dyn_sized_stack, 0
	.set _ZN2at6native12_GLOBAL__N_125multi_tensor_apply_kernelINS1_18TensorListMetadataILi2EEENS1_14UnaryOpFunctorIfLi2ELi1ELi1EEEJNS0_6TruncfIfEEEEEvT_T0_DpT1_.has_recursion, 0
	.set _ZN2at6native12_GLOBAL__N_125multi_tensor_apply_kernelINS1_18TensorListMetadataILi2EEENS1_14UnaryOpFunctorIfLi2ELi1ELi1EEEJNS0_6TruncfIfEEEEEvT_T0_DpT1_.has_indirect_call, 0
	.section	.AMDGPU.csdata,"",@progbits
; Kernel info:
; codeLenInByte = 1048
; TotalNumSgprs: 22
; NumVgprs: 34
; ScratchSize: 0
; MemoryBound: 0
; FloatMode: 240
; IeeeMode: 1
; LDSByteSize: 0 bytes/workgroup (compile time only)
; SGPRBlocks: 0
; VGPRBlocks: 2
; NumSGPRsForWavesPerEU: 22
; NumVGPRsForWavesPerEU: 34
; NamedBarCnt: 0
; Occupancy: 16
; WaveLimiterHint : 0
; COMPUTE_PGM_RSRC2:SCRATCH_EN: 0
; COMPUTE_PGM_RSRC2:USER_SGPR: 2
; COMPUTE_PGM_RSRC2:TRAP_HANDLER: 0
; COMPUTE_PGM_RSRC2:TGID_X_EN: 1
; COMPUTE_PGM_RSRC2:TGID_Y_EN: 0
; COMPUTE_PGM_RSRC2:TGID_Z_EN: 0
; COMPUTE_PGM_RSRC2:TIDIG_COMP_CNT: 0
	.section	.text._ZN2at6native12_GLOBAL__N_125multi_tensor_apply_kernelINS1_18TensorListMetadataILi2EEENS1_14UnaryOpFunctorIN3c104HalfELi2ELi1ELi1EEEJNS0_6TruncfIfEEEEEvT_T0_DpT1_,"axG",@progbits,_ZN2at6native12_GLOBAL__N_125multi_tensor_apply_kernelINS1_18TensorListMetadataILi2EEENS1_14UnaryOpFunctorIN3c104HalfELi2ELi1ELi1EEEJNS0_6TruncfIfEEEEEvT_T0_DpT1_,comdat
	.globl	_ZN2at6native12_GLOBAL__N_125multi_tensor_apply_kernelINS1_18TensorListMetadataILi2EEENS1_14UnaryOpFunctorIN3c104HalfELi2ELi1ELi1EEEJNS0_6TruncfIfEEEEEvT_T0_DpT1_ ; -- Begin function _ZN2at6native12_GLOBAL__N_125multi_tensor_apply_kernelINS1_18TensorListMetadataILi2EEENS1_14UnaryOpFunctorIN3c104HalfELi2ELi1ELi1EEEJNS0_6TruncfIfEEEEEvT_T0_DpT1_
	.p2align	8
	.type	_ZN2at6native12_GLOBAL__N_125multi_tensor_apply_kernelINS1_18TensorListMetadataILi2EEENS1_14UnaryOpFunctorIN3c104HalfELi2ELi1ELi1EEEJNS0_6TruncfIfEEEEEvT_T0_DpT1_,@function
_ZN2at6native12_GLOBAL__N_125multi_tensor_apply_kernelINS1_18TensorListMetadataILi2EEENS1_14UnaryOpFunctorIN3c104HalfELi2ELi1ELi1EEEJNS0_6TruncfIfEEEEEvT_T0_DpT1_: ; @_ZN2at6native12_GLOBAL__N_125multi_tensor_apply_kernelINS1_18TensorListMetadataILi2EEENS1_14UnaryOpFunctorIN3c104HalfELi2ELi1ELi1EEEJNS0_6TruncfIfEEEEEvT_T0_DpT1_
; %bb.0:
	s_bfe_u32 s2, ttmp6, 0x4000c
	s_and_b32 s3, ttmp6, 15
	s_add_co_i32 s2, s2, 1
	s_getreg_b32 s4, hwreg(HW_REG_IB_STS2, 6, 4)
	s_mul_i32 s2, ttmp9, s2
	s_mov_b32 s7, 0
	s_add_co_i32 s3, s3, s2
	s_cmp_eq_u32 s4, 0
	s_mov_b32 s15, s7
	s_cselect_b32 s6, ttmp9, s3
	s_load_u8 s11, s[0:1], s6 offset:0x600
	s_add_nc_u64 s[2:3], s[0:1], s[6:7]
	s_mul_u64 s[4:5], s[6:7], 3
	s_delay_alu instid0(SALU_CYCLE_1)
	s_add_nc_u64 s[4:5], s[2:3], s[4:5]
	s_load_b32 s10, s[4:5], 0x740
	s_wait_kmcnt 0x0
	s_clause 0x2
	s_load_b64 s[2:3], s[0:1], s11 offset:0x0 scale_offset
	s_load_b64 s[8:9], s[0:1], s11 offset:0x200 scale_offset
	s_load_b64 s[12:13], s[0:1], s11 offset:0x400 scale_offset
	s_wait_xcnt 0x0
	s_ashr_i32 s11, s10, 31
	s_delay_alu instid0(SALU_CYCLE_1)
	s_lshl_b64 s[4:5], s[10:11], 17
	s_wait_kmcnt 0x0
	s_and_b64 s[18:19], s[8:9], 7
	s_add_nc_u64 s[16:17], s[2:3], s[4:5]
	s_and_b32 s14, s12, 3
	s_and_b32 s6, s16, 7
	s_or_b64 s[14:15], s[18:19], s[14:15]
	s_lshl_b64 s[10:11], s[10:11], 16
	s_or_b64 s[14:15], s[14:15], s[6:7]
	s_sub_nc_u64 s[6:7], s[12:13], s[10:11]
	s_cmp_eq_u64 s[14:15], 0
	s_mov_b32 s10, -1
	s_cbranch_scc0 .LBB18_5
; %bb.1:
	v_min_i64 v[2:3], 0x10000, s[6:7]
	v_dual_mov_b32 v5, 0 :: v_dual_lshlrev_b32 v4, 2, v0
	s_mov_b32 s14, exec_lo
	s_delay_alu instid0(VALU_DEP_1)
	v_cmpx_lt_i64_e64 v[4:5], v[2:3]
	s_cbranch_execz .LBB18_4
; %bb.2:
	s_load_b32 s10, s[0:1], 0xc5c
	v_dual_mov_b32 v1, v5 :: v_dual_lshlrev_b32 v4, 3, v0
	s_mov_b32 s11, 0
	s_delay_alu instid0(SALU_CYCLE_1) | instskip(NEXT) | instid1(VALU_DEP_1)
	s_mov_b32 s13, s11
	v_add_nc_u64_e32 v[4:5], s[4:5], v[4:5]
	s_delay_alu instid0(VALU_DEP_2) | instskip(SKIP_3) | instid1(SALU_CYCLE_1)
	v_mov_b64_e32 v[6:7], v[0:1]
	s_mov_b32 s15, s11
	s_wait_kmcnt 0x0
	s_and_b32 s10, s10, 0xffff
	s_lshl_b32 s12, s10, 3
.LBB18_3:                               ; =>This Inner Loop Header: Depth=1
	s_delay_alu instid0(VALU_DEP_2) | instskip(NEXT) | instid1(VALU_DEP_2)
	v_add_nc_u64_e32 v[8:9], s[2:3], v[4:5]
	v_add_nc_u64_e32 v[6:7], s[10:11], v[6:7]
	global_load_b64 v[8:9], v[8:9], off
	v_lshlrev_b64_e32 v[10:11], 2, v[6:7]
	s_delay_alu instid0(VALU_DEP_1)
	v_cmp_ge_i64_e32 vcc_lo, v[10:11], v[2:3]
	s_or_b32 s15, vcc_lo, s15
	s_wait_loadcnt 0x0
	v_dual_lshrrev_b32 v1, 16, v9 :: v_dual_lshrrev_b32 v12, 16, v8
	v_trunc_f16_e32 v13, v8
	v_trunc_f16_e32 v14, v9
	s_wait_xcnt 0x0
	v_add_nc_u64_e32 v[8:9], s[8:9], v[4:5]
	v_trunc_f16_e32 v1, v1
	v_trunc_f16_e32 v12, v12
	v_add_nc_u64_e32 v[4:5], s[12:13], v[4:5]
	s_delay_alu instid0(VALU_DEP_3) | instskip(NEXT) | instid1(VALU_DEP_3)
	v_pack_b32_f16 v11, v14, v1
	v_pack_b32_f16 v10, v13, v12
	global_store_b64 v[8:9], v[10:11], off
	s_wait_xcnt 0x0
	s_and_not1_b32 exec_lo, exec_lo, s15
	s_cbranch_execnz .LBB18_3
.LBB18_4:
	s_or_b32 exec_lo, exec_lo, s14
	s_mov_b32 s10, 0
.LBB18_5:
	s_delay_alu instid0(SALU_CYCLE_1)
	s_and_not1_b32 vcc_lo, exec_lo, s10
	s_cbranch_vccnz .LBB18_25
; %bb.6:
	v_cmp_lt_i64_e64 s10, s[6:7], 1
	s_and_b32 vcc_lo, exec_lo, s10
	s_cbranch_vccnz .LBB18_25
; %bb.7:
	s_load_b32 s0, s[0:1], 0xc5c
	v_min_i64 v[2:3], 0x10000, s[6:7]
	v_min_u64 v[4:5], 0x10000, s[6:7]
	v_dual_mov_b32 v1, 0 :: v_dual_lshlrev_b32 v10, 1, v0
	s_wait_xcnt 0x0
	s_mov_b32 s1, 0
	s_delay_alu instid0(SALU_CYCLE_1) | instskip(NEXT) | instid1(VALU_DEP_1)
	s_mov_b32 s7, s1
	v_dual_mov_b32 v11, v1 :: v_dual_mov_b32 v27, v1
	s_mov_b32 s11, s1
	s_mov_b32 s13, s1
	s_delay_alu instid0(VALU_DEP_1) | instskip(SKIP_2) | instid1(SALU_CYCLE_1)
	v_add_nc_u64_e32 v[6:7], s[2:3], v[10:11]
	s_wait_kmcnt 0x0
	s_and_b32 s0, s0, 0xffff
	v_add_nc_u64_e32 v[8:9], s[0:1], v[0:1]
	v_mad_nc_u64_u32 v[22:23], s0, 6, v[10:11]
	s_lshl_b32 s6, s0, 2
	s_mul_i32 s12, s0, 3
	v_add_nc_u64_e32 v[18:19], s[6:7], v[10:11]
	s_lshl_b32 s10, s0, 1
	v_add_nc_u64_e32 v[10:11], s[8:9], v[10:11]
	v_lshlrev_b32_e32 v26, 1, v8
	v_add_nc_u64_e32 v[12:13], s[12:13], v[0:1]
	v_add_nc_u64_e32 v[14:15], s[10:11], v[0:1]
	s_mov_b64 s[10:11], 0
	v_add_nc_u64_e32 v[16:17], s[2:3], v[18:19]
	v_add_nc_u64_e32 v[18:19], s[8:9], v[18:19]
	;; [unrolled: 1-line block ×6, first 2 shown]
	s_lshl_b32 s8, s0, 3
	s_mov_b32 s9, s1
	s_branch .LBB18_9
.LBB18_8:                               ;   in Loop: Header=BB18_9 Depth=1
	s_wait_xcnt 0x0
	s_or_b32 exec_lo, exec_lo, s0
	s_add_nc_u64 s[10:11], s[10:11], s[6:7]
	v_add_nc_u64_e32 v[6:7], s[8:9], v[6:7]
	v_cmp_ge_i64_e32 vcc_lo, s[10:11], v[2:3]
	v_add_nc_u64_e32 v[10:11], s[8:9], v[10:11]
	v_add_nc_u64_e32 v[20:21], s[8:9], v[20:21]
	v_add_nc_u64_e32 v[22:23], s[8:9], v[22:23]
	v_add_nc_u64_e32 v[16:17], s[8:9], v[16:17]
	v_add_nc_u64_e32 v[18:19], s[8:9], v[18:19]
	v_add_nc_u64_e32 v[24:25], s[8:9], v[24:25]
	v_add_nc_u64_e32 v[26:27], s[8:9], v[26:27]
	s_cbranch_vccnz .LBB18_25
.LBB18_9:                               ; =>This Inner Loop Header: Depth=1
	v_add_nc_u64_e32 v[28:29], s[10:11], v[0:1]
	s_delay_alu instid0(VALU_DEP_1)
	v_cmp_lt_u64_e32 vcc_lo, v[28:29], v[4:5]
	v_mov_b32_e32 v29, 0
	s_and_saveexec_b32 s0, vcc_lo
	s_cbranch_execz .LBB18_11
; %bb.10:                               ;   in Loop: Header=BB18_9 Depth=1
	v_add_nc_u64_e32 v[28:29], s[4:5], v[6:7]
	global_load_u16 v28, v[28:29], off
	s_wait_loadcnt 0x0
	v_trunc_f16_e32 v29, v28
.LBB18_11:                              ;   in Loop: Header=BB18_9 Depth=1
	s_or_b32 exec_lo, exec_lo, s0
	v_add_nc_u64_e32 v[30:31], s[10:11], v[8:9]
	v_mov_b32_e32 v28, 0
	s_delay_alu instid0(VALU_DEP_2)
	v_cmp_lt_u64_e64 s0, v[30:31], v[4:5]
	v_mov_b32_e32 v30, 0
	s_and_saveexec_b32 s1, s0
	s_cbranch_execz .LBB18_13
; %bb.12:                               ;   in Loop: Header=BB18_9 Depth=1
	v_add_nc_u64_e32 v[30:31], s[4:5], v[24:25]
	global_load_u16 v30, v[30:31], off
	s_wait_loadcnt 0x0
	v_trunc_f16_e32 v30, v30
.LBB18_13:                              ;   in Loop: Header=BB18_9 Depth=1
	s_or_b32 exec_lo, exec_lo, s1
	v_add_nc_u64_e32 v[32:33], s[10:11], v[14:15]
	s_delay_alu instid0(VALU_DEP_1)
	v_cmp_lt_u64_e64 s1, v[32:33], v[4:5]
	s_and_saveexec_b32 s2, s1
	s_cbranch_execz .LBB18_15
; %bb.14:                               ;   in Loop: Header=BB18_9 Depth=1
	v_add_nc_u64_e32 v[32:33], s[4:5], v[16:17]
	global_load_u16 v28, v[32:33], off
	s_wait_loadcnt 0x0
	v_trunc_f16_e32 v28, v28
.LBB18_15:                              ;   in Loop: Header=BB18_9 Depth=1
	s_wait_xcnt 0x0
	s_or_b32 exec_lo, exec_lo, s2
	v_add_nc_u64_e32 v[32:33], s[10:11], v[12:13]
	v_mov_b32_e32 v31, 0
	s_delay_alu instid0(VALU_DEP_2)
	v_cmp_lt_u64_e64 s2, v[32:33], v[4:5]
	s_and_saveexec_b32 s3, s2
	s_cbranch_execnz .LBB18_20
; %bb.16:                               ;   in Loop: Header=BB18_9 Depth=1
	s_or_b32 exec_lo, exec_lo, s3
	s_and_saveexec_b32 s3, vcc_lo
	s_cbranch_execnz .LBB18_21
.LBB18_17:                              ;   in Loop: Header=BB18_9 Depth=1
	s_or_b32 exec_lo, exec_lo, s3
	s_and_saveexec_b32 s3, s0
	s_cbranch_execnz .LBB18_22
.LBB18_18:                              ;   in Loop: Header=BB18_9 Depth=1
	s_or_b32 exec_lo, exec_lo, s3
	s_and_saveexec_b32 s0, s1
	s_cbranch_execnz .LBB18_23
.LBB18_19:                              ;   in Loop: Header=BB18_9 Depth=1
	s_or_b32 exec_lo, exec_lo, s0
	s_and_saveexec_b32 s0, s2
	s_cbranch_execz .LBB18_8
	s_branch .LBB18_24
.LBB18_20:                              ;   in Loop: Header=BB18_9 Depth=1
	v_add_nc_u64_e32 v[32:33], s[4:5], v[20:21]
	global_load_u16 v31, v[32:33], off
	s_wait_loadcnt 0x0
	v_trunc_f16_e32 v31, v31
	s_wait_xcnt 0x0
	s_or_b32 exec_lo, exec_lo, s3
	s_and_saveexec_b32 s3, vcc_lo
	s_cbranch_execz .LBB18_17
.LBB18_21:                              ;   in Loop: Header=BB18_9 Depth=1
	v_add_nc_u64_e32 v[32:33], s[4:5], v[10:11]
	global_store_b16 v[32:33], v29, off
	s_wait_xcnt 0x0
	s_or_b32 exec_lo, exec_lo, s3
	s_and_saveexec_b32 s3, s0
	s_cbranch_execz .LBB18_18
.LBB18_22:                              ;   in Loop: Header=BB18_9 Depth=1
	v_add_nc_u64_e32 v[32:33], s[4:5], v[26:27]
	global_store_b16 v[32:33], v30, off
	s_wait_xcnt 0x0
	s_or_b32 exec_lo, exec_lo, s3
	s_and_saveexec_b32 s0, s1
	s_cbranch_execz .LBB18_19
.LBB18_23:                              ;   in Loop: Header=BB18_9 Depth=1
	v_add_nc_u64_e32 v[32:33], s[4:5], v[18:19]
	global_store_b16 v[32:33], v28, off
	s_wait_xcnt 0x0
	s_or_b32 exec_lo, exec_lo, s0
	s_and_saveexec_b32 s0, s2
	s_cbranch_execz .LBB18_8
.LBB18_24:                              ;   in Loop: Header=BB18_9 Depth=1
	v_add_nc_u64_e32 v[28:29], s[4:5], v[22:23]
	global_store_b16 v[28:29], v31, off
	s_branch .LBB18_8
.LBB18_25:
	s_endpgm
	.section	.rodata,"a",@progbits
	.p2align	6, 0x0
	.amdhsa_kernel _ZN2at6native12_GLOBAL__N_125multi_tensor_apply_kernelINS1_18TensorListMetadataILi2EEENS1_14UnaryOpFunctorIN3c104HalfELi2ELi1ELi1EEEJNS0_6TruncfIfEEEEEvT_T0_DpT1_
		.amdhsa_group_segment_fixed_size 0
		.amdhsa_private_segment_fixed_size 0
		.amdhsa_kernarg_size 3408
		.amdhsa_user_sgpr_count 2
		.amdhsa_user_sgpr_dispatch_ptr 0
		.amdhsa_user_sgpr_queue_ptr 0
		.amdhsa_user_sgpr_kernarg_segment_ptr 1
		.amdhsa_user_sgpr_dispatch_id 0
		.amdhsa_user_sgpr_kernarg_preload_length 0
		.amdhsa_user_sgpr_kernarg_preload_offset 0
		.amdhsa_user_sgpr_private_segment_size 0
		.amdhsa_wavefront_size32 1
		.amdhsa_uses_dynamic_stack 0
		.amdhsa_enable_private_segment 0
		.amdhsa_system_sgpr_workgroup_id_x 1
		.amdhsa_system_sgpr_workgroup_id_y 0
		.amdhsa_system_sgpr_workgroup_id_z 0
		.amdhsa_system_sgpr_workgroup_info 0
		.amdhsa_system_vgpr_workitem_id 0
		.amdhsa_next_free_vgpr 34
		.amdhsa_next_free_sgpr 20
		.amdhsa_named_barrier_count 0
		.amdhsa_reserve_vcc 1
		.amdhsa_float_round_mode_32 0
		.amdhsa_float_round_mode_16_64 0
		.amdhsa_float_denorm_mode_32 3
		.amdhsa_float_denorm_mode_16_64 3
		.amdhsa_fp16_overflow 0
		.amdhsa_memory_ordered 1
		.amdhsa_forward_progress 1
		.amdhsa_inst_pref_size 9
		.amdhsa_round_robin_scheduling 0
		.amdhsa_exception_fp_ieee_invalid_op 0
		.amdhsa_exception_fp_denorm_src 0
		.amdhsa_exception_fp_ieee_div_zero 0
		.amdhsa_exception_fp_ieee_overflow 0
		.amdhsa_exception_fp_ieee_underflow 0
		.amdhsa_exception_fp_ieee_inexact 0
		.amdhsa_exception_int_div_zero 0
	.end_amdhsa_kernel
	.section	.text._ZN2at6native12_GLOBAL__N_125multi_tensor_apply_kernelINS1_18TensorListMetadataILi2EEENS1_14UnaryOpFunctorIN3c104HalfELi2ELi1ELi1EEEJNS0_6TruncfIfEEEEEvT_T0_DpT1_,"axG",@progbits,_ZN2at6native12_GLOBAL__N_125multi_tensor_apply_kernelINS1_18TensorListMetadataILi2EEENS1_14UnaryOpFunctorIN3c104HalfELi2ELi1ELi1EEEJNS0_6TruncfIfEEEEEvT_T0_DpT1_,comdat
.Lfunc_end18:
	.size	_ZN2at6native12_GLOBAL__N_125multi_tensor_apply_kernelINS1_18TensorListMetadataILi2EEENS1_14UnaryOpFunctorIN3c104HalfELi2ELi1ELi1EEEJNS0_6TruncfIfEEEEEvT_T0_DpT1_, .Lfunc_end18-_ZN2at6native12_GLOBAL__N_125multi_tensor_apply_kernelINS1_18TensorListMetadataILi2EEENS1_14UnaryOpFunctorIN3c104HalfELi2ELi1ELi1EEEJNS0_6TruncfIfEEEEEvT_T0_DpT1_
                                        ; -- End function
	.set _ZN2at6native12_GLOBAL__N_125multi_tensor_apply_kernelINS1_18TensorListMetadataILi2EEENS1_14UnaryOpFunctorIN3c104HalfELi2ELi1ELi1EEEJNS0_6TruncfIfEEEEEvT_T0_DpT1_.num_vgpr, 34
	.set _ZN2at6native12_GLOBAL__N_125multi_tensor_apply_kernelINS1_18TensorListMetadataILi2EEENS1_14UnaryOpFunctorIN3c104HalfELi2ELi1ELi1EEEJNS0_6TruncfIfEEEEEvT_T0_DpT1_.num_agpr, 0
	.set _ZN2at6native12_GLOBAL__N_125multi_tensor_apply_kernelINS1_18TensorListMetadataILi2EEENS1_14UnaryOpFunctorIN3c104HalfELi2ELi1ELi1EEEJNS0_6TruncfIfEEEEEvT_T0_DpT1_.numbered_sgpr, 20
	.set _ZN2at6native12_GLOBAL__N_125multi_tensor_apply_kernelINS1_18TensorListMetadataILi2EEENS1_14UnaryOpFunctorIN3c104HalfELi2ELi1ELi1EEEJNS0_6TruncfIfEEEEEvT_T0_DpT1_.num_named_barrier, 0
	.set _ZN2at6native12_GLOBAL__N_125multi_tensor_apply_kernelINS1_18TensorListMetadataILi2EEENS1_14UnaryOpFunctorIN3c104HalfELi2ELi1ELi1EEEJNS0_6TruncfIfEEEEEvT_T0_DpT1_.private_seg_size, 0
	.set _ZN2at6native12_GLOBAL__N_125multi_tensor_apply_kernelINS1_18TensorListMetadataILi2EEENS1_14UnaryOpFunctorIN3c104HalfELi2ELi1ELi1EEEJNS0_6TruncfIfEEEEEvT_T0_DpT1_.uses_vcc, 1
	.set _ZN2at6native12_GLOBAL__N_125multi_tensor_apply_kernelINS1_18TensorListMetadataILi2EEENS1_14UnaryOpFunctorIN3c104HalfELi2ELi1ELi1EEEJNS0_6TruncfIfEEEEEvT_T0_DpT1_.uses_flat_scratch, 0
	.set _ZN2at6native12_GLOBAL__N_125multi_tensor_apply_kernelINS1_18TensorListMetadataILi2EEENS1_14UnaryOpFunctorIN3c104HalfELi2ELi1ELi1EEEJNS0_6TruncfIfEEEEEvT_T0_DpT1_.has_dyn_sized_stack, 0
	.set _ZN2at6native12_GLOBAL__N_125multi_tensor_apply_kernelINS1_18TensorListMetadataILi2EEENS1_14UnaryOpFunctorIN3c104HalfELi2ELi1ELi1EEEJNS0_6TruncfIfEEEEEvT_T0_DpT1_.has_recursion, 0
	.set _ZN2at6native12_GLOBAL__N_125multi_tensor_apply_kernelINS1_18TensorListMetadataILi2EEENS1_14UnaryOpFunctorIN3c104HalfELi2ELi1ELi1EEEJNS0_6TruncfIfEEEEEvT_T0_DpT1_.has_indirect_call, 0
	.section	.AMDGPU.csdata,"",@progbits
; Kernel info:
; codeLenInByte = 1076
; TotalNumSgprs: 22
; NumVgprs: 34
; ScratchSize: 0
; MemoryBound: 0
; FloatMode: 240
; IeeeMode: 1
; LDSByteSize: 0 bytes/workgroup (compile time only)
; SGPRBlocks: 0
; VGPRBlocks: 2
; NumSGPRsForWavesPerEU: 22
; NumVGPRsForWavesPerEU: 34
; NamedBarCnt: 0
; Occupancy: 16
; WaveLimiterHint : 0
; COMPUTE_PGM_RSRC2:SCRATCH_EN: 0
; COMPUTE_PGM_RSRC2:USER_SGPR: 2
; COMPUTE_PGM_RSRC2:TRAP_HANDLER: 0
; COMPUTE_PGM_RSRC2:TGID_X_EN: 1
; COMPUTE_PGM_RSRC2:TGID_Y_EN: 0
; COMPUTE_PGM_RSRC2:TGID_Z_EN: 0
; COMPUTE_PGM_RSRC2:TIDIG_COMP_CNT: 0
	.section	.text._ZN2at6native12_GLOBAL__N_125multi_tensor_apply_kernelINS1_18TensorListMetadataILi2EEENS1_14UnaryOpFunctorIN3c108BFloat16ELi2ELi1ELi1EEEJNS0_6TruncfIfEEEEEvT_T0_DpT1_,"axG",@progbits,_ZN2at6native12_GLOBAL__N_125multi_tensor_apply_kernelINS1_18TensorListMetadataILi2EEENS1_14UnaryOpFunctorIN3c108BFloat16ELi2ELi1ELi1EEEJNS0_6TruncfIfEEEEEvT_T0_DpT1_,comdat
	.globl	_ZN2at6native12_GLOBAL__N_125multi_tensor_apply_kernelINS1_18TensorListMetadataILi2EEENS1_14UnaryOpFunctorIN3c108BFloat16ELi2ELi1ELi1EEEJNS0_6TruncfIfEEEEEvT_T0_DpT1_ ; -- Begin function _ZN2at6native12_GLOBAL__N_125multi_tensor_apply_kernelINS1_18TensorListMetadataILi2EEENS1_14UnaryOpFunctorIN3c108BFloat16ELi2ELi1ELi1EEEJNS0_6TruncfIfEEEEEvT_T0_DpT1_
	.p2align	8
	.type	_ZN2at6native12_GLOBAL__N_125multi_tensor_apply_kernelINS1_18TensorListMetadataILi2EEENS1_14UnaryOpFunctorIN3c108BFloat16ELi2ELi1ELi1EEEJNS0_6TruncfIfEEEEEvT_T0_DpT1_,@function
_ZN2at6native12_GLOBAL__N_125multi_tensor_apply_kernelINS1_18TensorListMetadataILi2EEENS1_14UnaryOpFunctorIN3c108BFloat16ELi2ELi1ELi1EEEJNS0_6TruncfIfEEEEEvT_T0_DpT1_: ; @_ZN2at6native12_GLOBAL__N_125multi_tensor_apply_kernelINS1_18TensorListMetadataILi2EEENS1_14UnaryOpFunctorIN3c108BFloat16ELi2ELi1ELi1EEEJNS0_6TruncfIfEEEEEvT_T0_DpT1_
; %bb.0:
	s_bfe_u32 s2, ttmp6, 0x4000c
	s_and_b32 s3, ttmp6, 15
	s_add_co_i32 s2, s2, 1
	s_getreg_b32 s4, hwreg(HW_REG_IB_STS2, 6, 4)
	s_mul_i32 s2, ttmp9, s2
	s_delay_alu instid0(SALU_CYCLE_1)
	s_add_co_i32 s3, s3, s2
	s_cmp_eq_u32 s4, 0
	s_cselect_b32 s2, ttmp9, s3
	s_mov_b32 s3, 0
	s_load_u8 s11, s[0:1], s2 offset:0x600
	s_add_nc_u64 s[4:5], s[0:1], s[2:3]
	s_mul_u64 s[6:7], s[2:3], 3
	s_mov_b32 s15, s3
	s_add_nc_u64 s[4:5], s[4:5], s[6:7]
	s_load_b32 s10, s[4:5], 0x740
	s_wait_kmcnt 0x0
	s_clause 0x2
	s_load_b64 s[6:7], s[0:1], s11 offset:0x0 scale_offset
	s_load_b64 s[8:9], s[0:1], s11 offset:0x200 scale_offset
	;; [unrolled: 1-line block ×3, first 2 shown]
	s_wait_xcnt 0x0
	s_ashr_i32 s11, s10, 31
	s_delay_alu instid0(SALU_CYCLE_1)
	s_lshl_b64 s[4:5], s[10:11], 17
	s_wait_kmcnt 0x0
	s_and_b64 s[18:19], s[8:9], 7
	s_add_nc_u64 s[16:17], s[6:7], s[4:5]
	s_and_b32 s14, s12, 3
	s_and_b32 s2, s16, 7
	s_or_b64 s[14:15], s[18:19], s[14:15]
	s_lshl_b64 s[10:11], s[10:11], 16
	s_or_b64 s[2:3], s[14:15], s[2:3]
	s_sub_nc_u64 s[10:11], s[12:13], s[10:11]
	s_cmp_eq_u64 s[2:3], 0
	s_mov_b32 s2, -1
	s_cbranch_scc0 .LBB19_5
; %bb.1:
	v_min_i64 v[2:3], 0x10000, s[10:11]
	v_dual_mov_b32 v5, 0 :: v_dual_lshlrev_b32 v4, 2, v0
	s_mov_b32 s3, exec_lo
	s_delay_alu instid0(VALU_DEP_1)
	v_cmpx_lt_i64_e64 v[4:5], v[2:3]
	s_cbranch_execz .LBB19_4
; %bb.2:
	s_load_b32 s2, s[0:1], 0xc5c
	v_dual_mov_b32 v1, v5 :: v_dual_lshlrev_b32 v4, 3, v0
	s_mov_b32 s13, 0
	s_delay_alu instid0(SALU_CYCLE_1) | instskip(NEXT) | instid1(VALU_DEP_1)
	s_mov_b32 s15, s13
	v_add_nc_u64_e32 v[4:5], s[4:5], v[4:5]
	s_delay_alu instid0(VALU_DEP_2) | instskip(SKIP_3) | instid1(SALU_CYCLE_1)
	v_mov_b64_e32 v[6:7], v[0:1]
	s_mov_b32 s16, s13
	s_wait_kmcnt 0x0
	s_and_b32 s12, s2, 0xffff
	s_lshl_b32 s14, s12, 3
.LBB19_3:                               ; =>This Inner Loop Header: Depth=1
	s_delay_alu instid0(VALU_DEP_2) | instskip(NEXT) | instid1(VALU_DEP_2)
	v_add_nc_u64_e32 v[8:9], s[6:7], v[4:5]
	v_add_nc_u64_e32 v[6:7], s[12:13], v[6:7]
	global_load_b64 v[8:9], v[8:9], off
	v_lshlrev_b64_e32 v[10:11], 2, v[6:7]
	s_wait_loadcnt 0x0
	v_lshlrev_b32_e32 v1, 16, v8
	v_alignbit_b32 v12, v9, v8, 16
	s_wait_xcnt 0x0
	v_and_b32_e32 v8, 0xffff0000, v8
	v_and_b32_e32 v9, 0xffff0000, v9
	v_trunc_f32_e32 v1, v1
	v_and_b32_e32 v12, 0xffff0000, v12
	s_delay_alu instid0(VALU_DEP_4) | instskip(NEXT) | instid1(VALU_DEP_4)
	v_trunc_f32_e32 v8, v8
	v_trunc_f32_e32 v9, v9
	s_delay_alu instid0(VALU_DEP_4) | instskip(NEXT) | instid1(VALU_DEP_4)
	v_bfe_u32 v13, v1, 16, 1
	v_trunc_f32_e32 v12, v12
	s_delay_alu instid0(VALU_DEP_4) | instskip(NEXT) | instid1(VALU_DEP_4)
	v_bfe_u32 v14, v8, 16, 1
	v_bfe_u32 v15, v9, 16, 1
	v_cmp_o_f32_e32 vcc_lo, v8, v8
	v_add3_u32 v13, v1, v13, 0x7fff
	v_bfe_u32 v16, v12, 16, 1
	v_add3_u32 v14, v8, v14, 0x7fff
	v_add3_u32 v15, v9, v15, 0x7fff
	v_cmp_o_f32_e64 s2, v1, v1
	v_lshrrev_b32_e32 v13, 16, v13
	v_add3_u32 v16, v12, v16, 0x7fff
	v_and_b32_e32 v14, 0xffff0000, v14
	v_and_b32_e32 v15, 0xffff0000, v15
	s_delay_alu instid0(VALU_DEP_4) | instskip(NEXT) | instid1(VALU_DEP_3)
	v_cndmask_b32_e64 v13, 0x7fc0, v13, s2
	v_dual_cndmask_b32 v8, 0x7fc00000, v14 :: v_dual_lshrrev_b32 v1, 16, v16
	v_cmp_o_f32_e32 vcc_lo, v9, v9
	s_delay_alu instid0(VALU_DEP_4) | instskip(SKIP_1) | instid1(VALU_DEP_4)
	v_cndmask_b32_e32 v14, 0x7fc00000, v15, vcc_lo
	v_cmp_o_f32_e32 vcc_lo, v12, v12
	v_or_b32_e32 v12, v13, v8
	v_add_nc_u64_e32 v[8:9], s[8:9], v[4:5]
	v_add_nc_u64_e32 v[4:5], s[14:15], v[4:5]
	v_cndmask_b32_e32 v1, 0x7fc0, v1, vcc_lo
	v_cmp_ge_i64_e32 vcc_lo, v[10:11], v[2:3]
	v_or3_b32 v10, v12, 0, 0
	s_delay_alu instid0(VALU_DEP_3)
	v_or3_b32 v11, 0, v1, v14
	s_or_b32 s16, vcc_lo, s16
	global_store_b64 v[8:9], v[10:11], off
	s_wait_xcnt 0x0
	s_and_not1_b32 exec_lo, exec_lo, s16
	s_cbranch_execnz .LBB19_3
.LBB19_4:
	s_or_b32 exec_lo, exec_lo, s3
	s_mov_b32 s2, 0
.LBB19_5:
	s_delay_alu instid0(SALU_CYCLE_1)
	s_and_not1_b32 vcc_lo, exec_lo, s2
	s_cbranch_vccnz .LBB19_25
; %bb.6:
	v_cmp_lt_i64_e64 s2, s[10:11], 1
	s_and_b32 vcc_lo, exec_lo, s2
	s_cbranch_vccnz .LBB19_25
; %bb.7:
	s_load_b32 s0, s[0:1], 0xc5c
	v_min_i64 v[2:3], 0x10000, s[10:11]
	v_min_u64 v[4:5], 0x10000, s[10:11]
	v_dual_mov_b32 v1, 0 :: v_dual_lshlrev_b32 v10, 1, v0
	s_wait_xcnt 0x0
	s_mov_b32 s1, 0
	s_delay_alu instid0(SALU_CYCLE_1) | instskip(NEXT) | instid1(VALU_DEP_1)
	s_mov_b32 s11, s1
	v_dual_mov_b32 v11, v1 :: v_dual_mov_b32 v27, v1
	s_mov_b32 s3, s1
	s_mov_b32 s13, s1
	s_delay_alu instid0(VALU_DEP_1) | instskip(SKIP_2) | instid1(SALU_CYCLE_1)
	v_add_nc_u64_e32 v[6:7], s[6:7], v[10:11]
	s_wait_kmcnt 0x0
	s_and_b32 s0, s0, 0xffff
	v_add_nc_u64_e32 v[8:9], s[0:1], v[0:1]
	v_mad_nc_u64_u32 v[22:23], s0, 6, v[10:11]
	s_lshl_b32 s10, s0, 2
	s_mul_i32 s12, s0, 3
	v_add_nc_u64_e32 v[18:19], s[10:11], v[10:11]
	s_lshl_b32 s2, s0, 1
	v_add_nc_u64_e32 v[10:11], s[8:9], v[10:11]
	v_lshlrev_b32_e32 v26, 1, v8
	v_add_nc_u64_e32 v[12:13], s[12:13], v[0:1]
	v_add_nc_u64_e32 v[14:15], s[2:3], v[0:1]
	;; [unrolled: 1-line block ×8, first 2 shown]
	s_lshl_b32 s6, s0, 3
	s_mov_b32 s7, s1
	s_mov_b64 s[8:9], 0
	s_branch .LBB19_9
.LBB19_8:                               ;   in Loop: Header=BB19_9 Depth=1
	s_wait_xcnt 0x0
	s_or_b32 exec_lo, exec_lo, s0
	s_add_nc_u64 s[8:9], s[8:9], s[10:11]
	v_add_nc_u64_e32 v[6:7], s[6:7], v[6:7]
	v_cmp_ge_i64_e32 vcc_lo, s[8:9], v[2:3]
	v_add_nc_u64_e32 v[10:11], s[6:7], v[10:11]
	v_add_nc_u64_e32 v[20:21], s[6:7], v[20:21]
	;; [unrolled: 1-line block ×7, first 2 shown]
	s_cbranch_vccnz .LBB19_25
.LBB19_9:                               ; =>This Inner Loop Header: Depth=1
	v_add_nc_u64_e32 v[28:29], s[8:9], v[0:1]
	s_delay_alu instid0(VALU_DEP_1)
	v_cmp_lt_u64_e32 vcc_lo, v[28:29], v[4:5]
	v_mov_b32_e32 v29, 0
	s_and_saveexec_b32 s0, vcc_lo
	s_cbranch_execz .LBB19_11
; %bb.10:                               ;   in Loop: Header=BB19_9 Depth=1
	v_add_nc_u64_e32 v[28:29], s[4:5], v[6:7]
	global_load_u16 v28, v[28:29], off
	s_wait_loadcnt 0x0
	v_lshlrev_b32_e32 v28, 16, v28
	s_delay_alu instid0(VALU_DEP_1)
	v_trunc_f32_e32 v29, v28
.LBB19_11:                              ;   in Loop: Header=BB19_9 Depth=1
	s_or_b32 exec_lo, exec_lo, s0
	v_add_nc_u64_e32 v[30:31], s[8:9], v[8:9]
	v_mov_b32_e32 v28, 0
	s_delay_alu instid0(VALU_DEP_2)
	v_cmp_lt_u64_e64 s0, v[30:31], v[4:5]
	v_mov_b32_e32 v30, 0
	s_and_saveexec_b32 s1, s0
	s_cbranch_execz .LBB19_13
; %bb.12:                               ;   in Loop: Header=BB19_9 Depth=1
	v_add_nc_u64_e32 v[30:31], s[4:5], v[24:25]
	global_load_u16 v30, v[30:31], off
	s_wait_loadcnt 0x0
	v_lshlrev_b32_e32 v30, 16, v30
	s_delay_alu instid0(VALU_DEP_1)
	v_trunc_f32_e32 v30, v30
.LBB19_13:                              ;   in Loop: Header=BB19_9 Depth=1
	s_or_b32 exec_lo, exec_lo, s1
	v_add_nc_u64_e32 v[32:33], s[8:9], v[14:15]
	s_delay_alu instid0(VALU_DEP_1)
	v_cmp_lt_u64_e64 s1, v[32:33], v[4:5]
	s_and_saveexec_b32 s2, s1
	s_cbranch_execz .LBB19_15
; %bb.14:                               ;   in Loop: Header=BB19_9 Depth=1
	v_add_nc_u64_e32 v[32:33], s[4:5], v[16:17]
	global_load_u16 v28, v[32:33], off
	s_wait_loadcnt 0x0
	v_lshlrev_b32_e32 v28, 16, v28
	s_delay_alu instid0(VALU_DEP_1)
	v_trunc_f32_e32 v28, v28
.LBB19_15:                              ;   in Loop: Header=BB19_9 Depth=1
	s_wait_xcnt 0x0
	s_or_b32 exec_lo, exec_lo, s2
	v_add_nc_u64_e32 v[32:33], s[8:9], v[12:13]
	v_mov_b32_e32 v31, 0
	s_delay_alu instid0(VALU_DEP_2)
	v_cmp_lt_u64_e64 s2, v[32:33], v[4:5]
	s_and_saveexec_b32 s3, s2
	s_cbranch_execnz .LBB19_20
; %bb.16:                               ;   in Loop: Header=BB19_9 Depth=1
	s_or_b32 exec_lo, exec_lo, s3
	s_and_saveexec_b32 s3, vcc_lo
	s_cbranch_execnz .LBB19_21
.LBB19_17:                              ;   in Loop: Header=BB19_9 Depth=1
	s_or_b32 exec_lo, exec_lo, s3
	s_and_saveexec_b32 s3, s0
	s_cbranch_execnz .LBB19_22
.LBB19_18:                              ;   in Loop: Header=BB19_9 Depth=1
	s_or_b32 exec_lo, exec_lo, s3
	s_and_saveexec_b32 s0, s1
	s_cbranch_execnz .LBB19_23
.LBB19_19:                              ;   in Loop: Header=BB19_9 Depth=1
	s_or_b32 exec_lo, exec_lo, s0
	s_and_saveexec_b32 s0, s2
	s_cbranch_execz .LBB19_8
	s_branch .LBB19_24
.LBB19_20:                              ;   in Loop: Header=BB19_9 Depth=1
	v_add_nc_u64_e32 v[32:33], s[4:5], v[20:21]
	global_load_u16 v31, v[32:33], off
	s_wait_loadcnt 0x0
	v_lshlrev_b32_e32 v31, 16, v31
	s_delay_alu instid0(VALU_DEP_1)
	v_trunc_f32_e32 v31, v31
	s_wait_xcnt 0x0
	s_or_b32 exec_lo, exec_lo, s3
	s_and_saveexec_b32 s3, vcc_lo
	s_cbranch_execz .LBB19_17
.LBB19_21:                              ;   in Loop: Header=BB19_9 Depth=1
	v_bfe_u32 v32, v29, 16, 1
	v_cmp_o_f32_e32 vcc_lo, v29, v29
	s_delay_alu instid0(VALU_DEP_2) | instskip(NEXT) | instid1(VALU_DEP_1)
	v_add3_u32 v32, v29, v32, 0x7fff
	v_lshrrev_b32_e32 v34, 16, v32
	v_add_nc_u64_e32 v[32:33], s[4:5], v[10:11]
	s_delay_alu instid0(VALU_DEP_2)
	v_cndmask_b32_e32 v29, 0x7fc0, v34, vcc_lo
	global_store_b16 v[32:33], v29, off
	s_wait_xcnt 0x0
	s_or_b32 exec_lo, exec_lo, s3
	s_and_saveexec_b32 s3, s0
	s_cbranch_execz .LBB19_18
.LBB19_22:                              ;   in Loop: Header=BB19_9 Depth=1
	v_bfe_u32 v29, v30, 16, 1
	v_cmp_o_f32_e32 vcc_lo, v30, v30
	v_add_nc_u64_e32 v[32:33], s[4:5], v[26:27]
	s_delay_alu instid0(VALU_DEP_3) | instskip(NEXT) | instid1(VALU_DEP_1)
	v_add3_u32 v29, v30, v29, 0x7fff
	v_lshrrev_b32_e32 v29, 16, v29
	s_delay_alu instid0(VALU_DEP_1)
	v_cndmask_b32_e32 v29, 0x7fc0, v29, vcc_lo
	global_store_b16 v[32:33], v29, off
	s_wait_xcnt 0x0
	s_or_b32 exec_lo, exec_lo, s3
	s_and_saveexec_b32 s0, s1
	s_cbranch_execz .LBB19_19
.LBB19_23:                              ;   in Loop: Header=BB19_9 Depth=1
	v_bfe_u32 v29, v28, 16, 1
	v_cmp_o_f32_e32 vcc_lo, v28, v28
	v_add_nc_u64_e32 v[32:33], s[4:5], v[18:19]
	s_delay_alu instid0(VALU_DEP_3) | instskip(NEXT) | instid1(VALU_DEP_1)
	v_add3_u32 v29, v28, v29, 0x7fff
	v_lshrrev_b32_e32 v29, 16, v29
	s_delay_alu instid0(VALU_DEP_1)
	v_cndmask_b32_e32 v28, 0x7fc0, v29, vcc_lo
	global_store_b16 v[32:33], v28, off
	s_wait_xcnt 0x0
	s_or_b32 exec_lo, exec_lo, s0
	s_and_saveexec_b32 s0, s2
	s_cbranch_execz .LBB19_8
.LBB19_24:                              ;   in Loop: Header=BB19_9 Depth=1
	v_bfe_u32 v28, v31, 16, 1
	v_cmp_o_f32_e32 vcc_lo, v31, v31
	s_delay_alu instid0(VALU_DEP_2) | instskip(NEXT) | instid1(VALU_DEP_1)
	v_add3_u32 v28, v31, v28, 0x7fff
	v_lshrrev_b32_e32 v30, 16, v28
	v_add_nc_u64_e32 v[28:29], s[4:5], v[22:23]
	s_delay_alu instid0(VALU_DEP_2)
	v_cndmask_b32_e32 v30, 0x7fc0, v30, vcc_lo
	global_store_b16 v[28:29], v30, off
	s_branch .LBB19_8
.LBB19_25:
	s_endpgm
	.section	.rodata,"a",@progbits
	.p2align	6, 0x0
	.amdhsa_kernel _ZN2at6native12_GLOBAL__N_125multi_tensor_apply_kernelINS1_18TensorListMetadataILi2EEENS1_14UnaryOpFunctorIN3c108BFloat16ELi2ELi1ELi1EEEJNS0_6TruncfIfEEEEEvT_T0_DpT1_
		.amdhsa_group_segment_fixed_size 0
		.amdhsa_private_segment_fixed_size 0
		.amdhsa_kernarg_size 3408
		.amdhsa_user_sgpr_count 2
		.amdhsa_user_sgpr_dispatch_ptr 0
		.amdhsa_user_sgpr_queue_ptr 0
		.amdhsa_user_sgpr_kernarg_segment_ptr 1
		.amdhsa_user_sgpr_dispatch_id 0
		.amdhsa_user_sgpr_kernarg_preload_length 0
		.amdhsa_user_sgpr_kernarg_preload_offset 0
		.amdhsa_user_sgpr_private_segment_size 0
		.amdhsa_wavefront_size32 1
		.amdhsa_uses_dynamic_stack 0
		.amdhsa_enable_private_segment 0
		.amdhsa_system_sgpr_workgroup_id_x 1
		.amdhsa_system_sgpr_workgroup_id_y 0
		.amdhsa_system_sgpr_workgroup_id_z 0
		.amdhsa_system_sgpr_workgroup_info 0
		.amdhsa_system_vgpr_workitem_id 0
		.amdhsa_next_free_vgpr 35
		.amdhsa_next_free_sgpr 20
		.amdhsa_named_barrier_count 0
		.amdhsa_reserve_vcc 1
		.amdhsa_float_round_mode_32 0
		.amdhsa_float_round_mode_16_64 0
		.amdhsa_float_denorm_mode_32 3
		.amdhsa_float_denorm_mode_16_64 3
		.amdhsa_fp16_overflow 0
		.amdhsa_memory_ordered 1
		.amdhsa_forward_progress 1
		.amdhsa_inst_pref_size 12
		.amdhsa_round_robin_scheduling 0
		.amdhsa_exception_fp_ieee_invalid_op 0
		.amdhsa_exception_fp_denorm_src 0
		.amdhsa_exception_fp_ieee_div_zero 0
		.amdhsa_exception_fp_ieee_overflow 0
		.amdhsa_exception_fp_ieee_underflow 0
		.amdhsa_exception_fp_ieee_inexact 0
		.amdhsa_exception_int_div_zero 0
	.end_amdhsa_kernel
	.section	.text._ZN2at6native12_GLOBAL__N_125multi_tensor_apply_kernelINS1_18TensorListMetadataILi2EEENS1_14UnaryOpFunctorIN3c108BFloat16ELi2ELi1ELi1EEEJNS0_6TruncfIfEEEEEvT_T0_DpT1_,"axG",@progbits,_ZN2at6native12_GLOBAL__N_125multi_tensor_apply_kernelINS1_18TensorListMetadataILi2EEENS1_14UnaryOpFunctorIN3c108BFloat16ELi2ELi1ELi1EEEJNS0_6TruncfIfEEEEEvT_T0_DpT1_,comdat
.Lfunc_end19:
	.size	_ZN2at6native12_GLOBAL__N_125multi_tensor_apply_kernelINS1_18TensorListMetadataILi2EEENS1_14UnaryOpFunctorIN3c108BFloat16ELi2ELi1ELi1EEEJNS0_6TruncfIfEEEEEvT_T0_DpT1_, .Lfunc_end19-_ZN2at6native12_GLOBAL__N_125multi_tensor_apply_kernelINS1_18TensorListMetadataILi2EEENS1_14UnaryOpFunctorIN3c108BFloat16ELi2ELi1ELi1EEEJNS0_6TruncfIfEEEEEvT_T0_DpT1_
                                        ; -- End function
	.set _ZN2at6native12_GLOBAL__N_125multi_tensor_apply_kernelINS1_18TensorListMetadataILi2EEENS1_14UnaryOpFunctorIN3c108BFloat16ELi2ELi1ELi1EEEJNS0_6TruncfIfEEEEEvT_T0_DpT1_.num_vgpr, 35
	.set _ZN2at6native12_GLOBAL__N_125multi_tensor_apply_kernelINS1_18TensorListMetadataILi2EEENS1_14UnaryOpFunctorIN3c108BFloat16ELi2ELi1ELi1EEEJNS0_6TruncfIfEEEEEvT_T0_DpT1_.num_agpr, 0
	.set _ZN2at6native12_GLOBAL__N_125multi_tensor_apply_kernelINS1_18TensorListMetadataILi2EEENS1_14UnaryOpFunctorIN3c108BFloat16ELi2ELi1ELi1EEEJNS0_6TruncfIfEEEEEvT_T0_DpT1_.numbered_sgpr, 20
	.set _ZN2at6native12_GLOBAL__N_125multi_tensor_apply_kernelINS1_18TensorListMetadataILi2EEENS1_14UnaryOpFunctorIN3c108BFloat16ELi2ELi1ELi1EEEJNS0_6TruncfIfEEEEEvT_T0_DpT1_.num_named_barrier, 0
	.set _ZN2at6native12_GLOBAL__N_125multi_tensor_apply_kernelINS1_18TensorListMetadataILi2EEENS1_14UnaryOpFunctorIN3c108BFloat16ELi2ELi1ELi1EEEJNS0_6TruncfIfEEEEEvT_T0_DpT1_.private_seg_size, 0
	.set _ZN2at6native12_GLOBAL__N_125multi_tensor_apply_kernelINS1_18TensorListMetadataILi2EEENS1_14UnaryOpFunctorIN3c108BFloat16ELi2ELi1ELi1EEEJNS0_6TruncfIfEEEEEvT_T0_DpT1_.uses_vcc, 1
	.set _ZN2at6native12_GLOBAL__N_125multi_tensor_apply_kernelINS1_18TensorListMetadataILi2EEENS1_14UnaryOpFunctorIN3c108BFloat16ELi2ELi1ELi1EEEJNS0_6TruncfIfEEEEEvT_T0_DpT1_.uses_flat_scratch, 0
	.set _ZN2at6native12_GLOBAL__N_125multi_tensor_apply_kernelINS1_18TensorListMetadataILi2EEENS1_14UnaryOpFunctorIN3c108BFloat16ELi2ELi1ELi1EEEJNS0_6TruncfIfEEEEEvT_T0_DpT1_.has_dyn_sized_stack, 0
	.set _ZN2at6native12_GLOBAL__N_125multi_tensor_apply_kernelINS1_18TensorListMetadataILi2EEENS1_14UnaryOpFunctorIN3c108BFloat16ELi2ELi1ELi1EEEJNS0_6TruncfIfEEEEEvT_T0_DpT1_.has_recursion, 0
	.set _ZN2at6native12_GLOBAL__N_125multi_tensor_apply_kernelINS1_18TensorListMetadataILi2EEENS1_14UnaryOpFunctorIN3c108BFloat16ELi2ELi1ELi1EEEJNS0_6TruncfIfEEEEEvT_T0_DpT1_.has_indirect_call, 0
	.section	.AMDGPU.csdata,"",@progbits
; Kernel info:
; codeLenInByte = 1488
; TotalNumSgprs: 22
; NumVgprs: 35
; ScratchSize: 0
; MemoryBound: 0
; FloatMode: 240
; IeeeMode: 1
; LDSByteSize: 0 bytes/workgroup (compile time only)
; SGPRBlocks: 0
; VGPRBlocks: 2
; NumSGPRsForWavesPerEU: 22
; NumVGPRsForWavesPerEU: 35
; NamedBarCnt: 0
; Occupancy: 16
; WaveLimiterHint : 0
; COMPUTE_PGM_RSRC2:SCRATCH_EN: 0
; COMPUTE_PGM_RSRC2:USER_SGPR: 2
; COMPUTE_PGM_RSRC2:TRAP_HANDLER: 0
; COMPUTE_PGM_RSRC2:TGID_X_EN: 1
; COMPUTE_PGM_RSRC2:TGID_Y_EN: 0
; COMPUTE_PGM_RSRC2:TGID_Z_EN: 0
; COMPUTE_PGM_RSRC2:TIDIG_COMP_CNT: 0
	.section	.text._ZN2at6native12_GLOBAL__N_125multi_tensor_apply_kernelINS1_18TensorListMetadataILi1EEENS1_14UnaryOpFunctorIdLi1ELi1ELi0EEEJNS0_6TruncfIdEEEEEvT_T0_DpT1_,"axG",@progbits,_ZN2at6native12_GLOBAL__N_125multi_tensor_apply_kernelINS1_18TensorListMetadataILi1EEENS1_14UnaryOpFunctorIdLi1ELi1ELi0EEEJNS0_6TruncfIdEEEEEvT_T0_DpT1_,comdat
	.globl	_ZN2at6native12_GLOBAL__N_125multi_tensor_apply_kernelINS1_18TensorListMetadataILi1EEENS1_14UnaryOpFunctorIdLi1ELi1ELi0EEEJNS0_6TruncfIdEEEEEvT_T0_DpT1_ ; -- Begin function _ZN2at6native12_GLOBAL__N_125multi_tensor_apply_kernelINS1_18TensorListMetadataILi1EEENS1_14UnaryOpFunctorIdLi1ELi1ELi0EEEJNS0_6TruncfIdEEEEEvT_T0_DpT1_
	.p2align	8
	.type	_ZN2at6native12_GLOBAL__N_125multi_tensor_apply_kernelINS1_18TensorListMetadataILi1EEENS1_14UnaryOpFunctorIdLi1ELi1ELi0EEEJNS0_6TruncfIdEEEEEvT_T0_DpT1_,@function
_ZN2at6native12_GLOBAL__N_125multi_tensor_apply_kernelINS1_18TensorListMetadataILi1EEENS1_14UnaryOpFunctorIdLi1ELi1ELi0EEEJNS0_6TruncfIdEEEEEvT_T0_DpT1_: ; @_ZN2at6native12_GLOBAL__N_125multi_tensor_apply_kernelINS1_18TensorListMetadataILi1EEENS1_14UnaryOpFunctorIdLi1ELi1ELi0EEEJNS0_6TruncfIdEEEEEvT_T0_DpT1_
; %bb.0:
	s_bfe_u32 s2, ttmp6, 0x4000c
	s_and_b32 s3, ttmp6, 15
	s_add_co_i32 s2, s2, 1
	s_getreg_b32 s4, hwreg(HW_REG_IB_STS2, 6, 4)
	s_mul_i32 s2, ttmp9, s2
	s_delay_alu instid0(SALU_CYCLE_1)
	s_add_co_i32 s3, s3, s2
	s_cmp_eq_u32 s4, 0
	s_cselect_b32 s2, ttmp9, s3
	s_mov_b32 s3, 0
	s_load_u8 s8, s[0:1], s2 offset:0x6e0
	s_add_nc_u64 s[4:5], s[0:1], s[2:3]
	s_mul_u64 s[6:7], s[2:3], 3
	s_delay_alu instid0(SALU_CYCLE_1)
	s_add_nc_u64 s[4:5], s[4:5], s[6:7]
	s_load_b32 s10, s[4:5], 0x820
	s_wait_kmcnt 0x0
	s_clause 0x1
	s_load_b64 s[6:7], s[0:1], s8 offset:0x0 scale_offset
	s_load_b64 s[12:13], s[0:1], s8 offset:0x370 scale_offset
	s_ashr_i32 s11, s10, 31
	s_wait_kmcnt 0x0
	s_and_b64 s[4:5], s[6:7], 31
	s_and_b32 s2, s12, 3
	s_lshl_b64 s[8:9], s[10:11], 19
	s_or_b64 s[2:3], s[4:5], s[2:3]
	s_lshl_b64 s[4:5], s[10:11], 16
	s_cmp_eq_u64 s[2:3], 0
	s_sub_nc_u64 s[10:11], s[12:13], s[4:5]
	s_cbranch_scc1 .LBB20_21
; %bb.1:
	v_cmp_lt_i64_e64 s2, s[10:11], 1
	s_and_b32 vcc_lo, exec_lo, s2
	s_cbranch_vccnz .LBB20_20
; %bb.2:
	s_load_b32 s4, s[0:1], 0xd3c
	v_min_i64 v[2:3], 0x10000, s[10:11]
	v_min_u64 v[4:5], 0x10000, s[10:11]
	v_dual_mov_b32 v1, 0 :: v_dual_lshlrev_b32 v8, 3, v0
	s_mov_b32 s19, 0
	s_add_nc_u64 s[2:3], s[6:7], s[8:9]
	s_mov_b32 s5, s19
	s_delay_alu instid0(VALU_DEP_1)
	v_mov_b32_e32 v15, v1
	s_mov_b32 s17, s19
	s_mov_b32 s13, s19
	;; [unrolled: 1-line block ×3, first 2 shown]
	s_mov_b64 s[20:21], 0
	s_wait_kmcnt 0x0
	s_and_b32 s18, s4, 0xffff
	s_delay_alu instid0(SALU_CYCLE_1)
	v_add_nc_u64_e32 v[6:7], s[18:19], v[0:1]
	v_mov_b32_e32 v9, v1
	s_lshl_b32 s4, s18, 1
	s_mul_i32 s16, s18, 3
	v_add_nc_u64_e32 v[12:13], s[4:5], v[0:1]
	v_add_nc_u64_e32 v[10:11], s[16:17], v[0:1]
	s_lshl_b32 s12, s18, 2
	v_lshlrev_b32_e32 v14, 3, v6
	v_add_nc_u64_e32 v[8:9], s[2:3], v[8:9]
	s_lshl_b32 s14, s18, 5
	s_mul_u64 s[16:17], s[18:19], 24
	s_lshl_b32 s18, s18, 4
	v_add_nc_u64_e32 v[14:15], s[2:3], v[14:15]
	s_branch .LBB20_4
.LBB20_3:                               ;   in Loop: Header=BB20_4 Depth=1
	s_wait_xcnt 0x0
	s_or_b32 exec_lo, exec_lo, s2
	s_add_nc_u64 s[20:21], s[20:21], s[12:13]
	v_add_nc_u64_e32 v[8:9], s[14:15], v[8:9]
	v_cmp_lt_i64_e32 vcc_lo, s[20:21], v[2:3]
	v_add_nc_u64_e32 v[14:15], s[14:15], v[14:15]
	s_cbranch_vccz .LBB20_20
.LBB20_4:                               ; =>This Inner Loop Header: Depth=1
	v_add_nc_u64_e32 v[18:19], s[20:21], v[0:1]
	v_mov_b64_e32 v[16:17], 0
	s_delay_alu instid0(VALU_DEP_2)
	v_cmp_lt_u64_e32 vcc_lo, v[18:19], v[4:5]
	v_mov_b64_e32 v[18:19], 0
	s_and_saveexec_b32 s2, vcc_lo
	s_cbranch_execz .LBB20_6
; %bb.5:                                ;   in Loop: Header=BB20_4 Depth=1
	global_load_b64 v[18:19], v[8:9], off
	s_wait_loadcnt 0x0
	v_trunc_f64_e32 v[18:19], v[18:19]
.LBB20_6:                               ;   in Loop: Header=BB20_4 Depth=1
	s_wait_xcnt 0x0
	s_or_b32 exec_lo, exec_lo, s2
	v_add_nc_u64_e32 v[20:21], s[20:21], v[6:7]
	s_delay_alu instid0(VALU_DEP_1)
	v_cmp_lt_u64_e64 s2, v[20:21], v[4:5]
	s_and_saveexec_b32 s3, s2
	s_cbranch_execz .LBB20_8
; %bb.7:                                ;   in Loop: Header=BB20_4 Depth=1
	global_load_b64 v[16:17], v[14:15], off
	s_wait_loadcnt 0x0
	v_trunc_f64_e32 v[16:17], v[16:17]
.LBB20_8:                               ;   in Loop: Header=BB20_4 Depth=1
	s_wait_xcnt 0x0
	s_or_b32 exec_lo, exec_lo, s3
	v_add_nc_u64_e32 v[24:25], s[20:21], v[12:13]
	v_mov_b64_e32 v[20:21], 0
	v_add_nc_u64_e32 v[22:23], s[18:19], v[8:9]
	s_delay_alu instid0(VALU_DEP_3)
	v_cmp_lt_u64_e64 s3, v[24:25], v[4:5]
	v_mov_b64_e32 v[24:25], 0
	s_and_saveexec_b32 s4, s3
	s_cbranch_execz .LBB20_10
; %bb.9:                                ;   in Loop: Header=BB20_4 Depth=1
	global_load_b64 v[24:25], v[22:23], off
	s_wait_loadcnt 0x0
	v_trunc_f64_e32 v[24:25], v[24:25]
.LBB20_10:                              ;   in Loop: Header=BB20_4 Depth=1
	s_wait_xcnt 0x0
	s_or_b32 exec_lo, exec_lo, s4
	v_add_nc_u64_e32 v[26:27], s[20:21], v[10:11]
	s_delay_alu instid0(VALU_DEP_1)
	v_cmp_lt_u64_e64 s4, v[26:27], v[4:5]
	v_add_nc_u64_e32 v[26:27], s[16:17], v[8:9]
	s_and_saveexec_b32 s5, s4
	s_cbranch_execnz .LBB20_15
; %bb.11:                               ;   in Loop: Header=BB20_4 Depth=1
	s_or_b32 exec_lo, exec_lo, s5
	s_and_saveexec_b32 s5, vcc_lo
	s_cbranch_execnz .LBB20_16
.LBB20_12:                              ;   in Loop: Header=BB20_4 Depth=1
	s_or_b32 exec_lo, exec_lo, s5
	s_and_saveexec_b32 s5, s2
	s_cbranch_execnz .LBB20_17
.LBB20_13:                              ;   in Loop: Header=BB20_4 Depth=1
	s_or_b32 exec_lo, exec_lo, s5
	s_and_saveexec_b32 s2, s3
	s_cbranch_execnz .LBB20_18
.LBB20_14:                              ;   in Loop: Header=BB20_4 Depth=1
	s_or_b32 exec_lo, exec_lo, s2
	s_and_saveexec_b32 s2, s4
	s_cbranch_execz .LBB20_3
	s_branch .LBB20_19
.LBB20_15:                              ;   in Loop: Header=BB20_4 Depth=1
	global_load_b64 v[20:21], v[26:27], off
	s_wait_loadcnt 0x0
	v_trunc_f64_e32 v[20:21], v[20:21]
	s_wait_xcnt 0x0
	s_or_b32 exec_lo, exec_lo, s5
	s_and_saveexec_b32 s5, vcc_lo
	s_cbranch_execz .LBB20_12
.LBB20_16:                              ;   in Loop: Header=BB20_4 Depth=1
	global_store_b64 v[8:9], v[18:19], off
	s_wait_xcnt 0x0
	s_or_b32 exec_lo, exec_lo, s5
	s_and_saveexec_b32 s5, s2
	s_cbranch_execz .LBB20_13
.LBB20_17:                              ;   in Loop: Header=BB20_4 Depth=1
	global_store_b64 v[14:15], v[16:17], off
	s_wait_xcnt 0x0
	s_or_b32 exec_lo, exec_lo, s5
	s_and_saveexec_b32 s2, s3
	s_cbranch_execz .LBB20_14
.LBB20_18:                              ;   in Loop: Header=BB20_4 Depth=1
	global_store_b64 v[22:23], v[24:25], off
	s_wait_xcnt 0x0
	s_or_b32 exec_lo, exec_lo, s2
	s_and_saveexec_b32 s2, s4
	s_cbranch_execz .LBB20_3
.LBB20_19:                              ;   in Loop: Header=BB20_4 Depth=1
	global_store_b64 v[26:27], v[20:21], off
	s_branch .LBB20_3
.LBB20_20:
	s_cbranch_execz .LBB20_22
	s_branch .LBB20_25
.LBB20_21:
.LBB20_22:
	v_min_i64 v[2:3], 0x10000, s[10:11]
	v_dual_mov_b32 v5, 0 :: v_dual_lshlrev_b32 v4, 2, v0
	s_mov_b32 s2, exec_lo
	s_delay_alu instid0(VALU_DEP_1)
	v_cmpx_lt_i64_e64 v[4:5], v[2:3]
	s_cbranch_execz .LBB20_25
; %bb.23:
	s_load_b32 s2, s[0:1], 0xd3c
	v_dual_mov_b32 v1, v5 :: v_dual_lshlrev_b32 v4, 5, v0
	s_wait_xcnt 0x0
	s_add_nc_u64 s[0:1], s[6:7], s[8:9]
	s_delay_alu instid0(VALU_DEP_1) | instid1(SALU_CYCLE_1)
	v_add_nc_u64_e32 v[6:7], s[0:1], v[4:5]
	s_mov_b32 s1, 0
	s_delay_alu instid0(SALU_CYCLE_1) | instskip(SKIP_1) | instid1(VALU_DEP_1)
	s_mov_b32 s3, s1
	s_mov_b32 s4, s1
	v_add_nc_u64_e32 v[4:5], 16, v[6:7]
	s_wait_kmcnt 0x0
	s_and_b32 s0, s2, 0xffff
	s_delay_alu instid0(SALU_CYCLE_1)
	s_lshl_b32 s2, s0, 5
.LBB20_24:                              ; =>This Inner Loop Header: Depth=1
	s_clause 0x1
	global_load_b128 v[6:9], v[4:5], off offset:-16
	global_load_b128 v[10:13], v[4:5], off
	v_add_nc_u64_e32 v[0:1], s[0:1], v[0:1]
	s_delay_alu instid0(VALU_DEP_1) | instskip(NEXT) | instid1(VALU_DEP_1)
	v_lshlrev_b64_e32 v[14:15], 2, v[0:1]
	v_cmp_ge_i64_e32 vcc_lo, v[14:15], v[2:3]
	s_or_b32 s4, vcc_lo, s4
	s_wait_loadcnt 0x1
	v_trunc_f64_e32 v[6:7], v[6:7]
	v_trunc_f64_e32 v[8:9], v[8:9]
	s_wait_loadcnt 0x0
	v_trunc_f64_e32 v[10:11], v[10:11]
	v_trunc_f64_e32 v[12:13], v[12:13]
	s_clause 0x1
	global_store_b128 v[4:5], v[6:9], off offset:-16
	global_store_b128 v[4:5], v[10:13], off
	s_wait_xcnt 0x0
	v_add_nc_u64_e32 v[4:5], s[2:3], v[4:5]
	s_and_not1_b32 exec_lo, exec_lo, s4
	s_cbranch_execnz .LBB20_24
.LBB20_25:
	s_endpgm
	.section	.rodata,"a",@progbits
	.p2align	6, 0x0
	.amdhsa_kernel _ZN2at6native12_GLOBAL__N_125multi_tensor_apply_kernelINS1_18TensorListMetadataILi1EEENS1_14UnaryOpFunctorIdLi1ELi1ELi0EEEJNS0_6TruncfIdEEEEEvT_T0_DpT1_
		.amdhsa_group_segment_fixed_size 0
		.amdhsa_private_segment_fixed_size 0
		.amdhsa_kernarg_size 3632
		.amdhsa_user_sgpr_count 2
		.amdhsa_user_sgpr_dispatch_ptr 0
		.amdhsa_user_sgpr_queue_ptr 0
		.amdhsa_user_sgpr_kernarg_segment_ptr 1
		.amdhsa_user_sgpr_dispatch_id 0
		.amdhsa_user_sgpr_kernarg_preload_length 0
		.amdhsa_user_sgpr_kernarg_preload_offset 0
		.amdhsa_user_sgpr_private_segment_size 0
		.amdhsa_wavefront_size32 1
		.amdhsa_uses_dynamic_stack 0
		.amdhsa_enable_private_segment 0
		.amdhsa_system_sgpr_workgroup_id_x 1
		.amdhsa_system_sgpr_workgroup_id_y 0
		.amdhsa_system_sgpr_workgroup_id_z 0
		.amdhsa_system_sgpr_workgroup_info 0
		.amdhsa_system_vgpr_workitem_id 0
		.amdhsa_next_free_vgpr 28
		.amdhsa_next_free_sgpr 22
		.amdhsa_named_barrier_count 0
		.amdhsa_reserve_vcc 1
		.amdhsa_float_round_mode_32 0
		.amdhsa_float_round_mode_16_64 0
		.amdhsa_float_denorm_mode_32 3
		.amdhsa_float_denorm_mode_16_64 3
		.amdhsa_fp16_overflow 0
		.amdhsa_memory_ordered 1
		.amdhsa_forward_progress 1
		.amdhsa_inst_pref_size 8
		.amdhsa_round_robin_scheduling 0
		.amdhsa_exception_fp_ieee_invalid_op 0
		.amdhsa_exception_fp_denorm_src 0
		.amdhsa_exception_fp_ieee_div_zero 0
		.amdhsa_exception_fp_ieee_overflow 0
		.amdhsa_exception_fp_ieee_underflow 0
		.amdhsa_exception_fp_ieee_inexact 0
		.amdhsa_exception_int_div_zero 0
	.end_amdhsa_kernel
	.section	.text._ZN2at6native12_GLOBAL__N_125multi_tensor_apply_kernelINS1_18TensorListMetadataILi1EEENS1_14UnaryOpFunctorIdLi1ELi1ELi0EEEJNS0_6TruncfIdEEEEEvT_T0_DpT1_,"axG",@progbits,_ZN2at6native12_GLOBAL__N_125multi_tensor_apply_kernelINS1_18TensorListMetadataILi1EEENS1_14UnaryOpFunctorIdLi1ELi1ELi0EEEJNS0_6TruncfIdEEEEEvT_T0_DpT1_,comdat
.Lfunc_end20:
	.size	_ZN2at6native12_GLOBAL__N_125multi_tensor_apply_kernelINS1_18TensorListMetadataILi1EEENS1_14UnaryOpFunctorIdLi1ELi1ELi0EEEJNS0_6TruncfIdEEEEEvT_T0_DpT1_, .Lfunc_end20-_ZN2at6native12_GLOBAL__N_125multi_tensor_apply_kernelINS1_18TensorListMetadataILi1EEENS1_14UnaryOpFunctorIdLi1ELi1ELi0EEEJNS0_6TruncfIdEEEEEvT_T0_DpT1_
                                        ; -- End function
	.set _ZN2at6native12_GLOBAL__N_125multi_tensor_apply_kernelINS1_18TensorListMetadataILi1EEENS1_14UnaryOpFunctorIdLi1ELi1ELi0EEEJNS0_6TruncfIdEEEEEvT_T0_DpT1_.num_vgpr, 28
	.set _ZN2at6native12_GLOBAL__N_125multi_tensor_apply_kernelINS1_18TensorListMetadataILi1EEENS1_14UnaryOpFunctorIdLi1ELi1ELi0EEEJNS0_6TruncfIdEEEEEvT_T0_DpT1_.num_agpr, 0
	.set _ZN2at6native12_GLOBAL__N_125multi_tensor_apply_kernelINS1_18TensorListMetadataILi1EEENS1_14UnaryOpFunctorIdLi1ELi1ELi0EEEJNS0_6TruncfIdEEEEEvT_T0_DpT1_.numbered_sgpr, 22
	.set _ZN2at6native12_GLOBAL__N_125multi_tensor_apply_kernelINS1_18TensorListMetadataILi1EEENS1_14UnaryOpFunctorIdLi1ELi1ELi0EEEJNS0_6TruncfIdEEEEEvT_T0_DpT1_.num_named_barrier, 0
	.set _ZN2at6native12_GLOBAL__N_125multi_tensor_apply_kernelINS1_18TensorListMetadataILi1EEENS1_14UnaryOpFunctorIdLi1ELi1ELi0EEEJNS0_6TruncfIdEEEEEvT_T0_DpT1_.private_seg_size, 0
	.set _ZN2at6native12_GLOBAL__N_125multi_tensor_apply_kernelINS1_18TensorListMetadataILi1EEENS1_14UnaryOpFunctorIdLi1ELi1ELi0EEEJNS0_6TruncfIdEEEEEvT_T0_DpT1_.uses_vcc, 1
	.set _ZN2at6native12_GLOBAL__N_125multi_tensor_apply_kernelINS1_18TensorListMetadataILi1EEENS1_14UnaryOpFunctorIdLi1ELi1ELi0EEEJNS0_6TruncfIdEEEEEvT_T0_DpT1_.uses_flat_scratch, 0
	.set _ZN2at6native12_GLOBAL__N_125multi_tensor_apply_kernelINS1_18TensorListMetadataILi1EEENS1_14UnaryOpFunctorIdLi1ELi1ELi0EEEJNS0_6TruncfIdEEEEEvT_T0_DpT1_.has_dyn_sized_stack, 0
	.set _ZN2at6native12_GLOBAL__N_125multi_tensor_apply_kernelINS1_18TensorListMetadataILi1EEENS1_14UnaryOpFunctorIdLi1ELi1ELi0EEEJNS0_6TruncfIdEEEEEvT_T0_DpT1_.has_recursion, 0
	.set _ZN2at6native12_GLOBAL__N_125multi_tensor_apply_kernelINS1_18TensorListMetadataILi1EEENS1_14UnaryOpFunctorIdLi1ELi1ELi0EEEJNS0_6TruncfIdEEEEEvT_T0_DpT1_.has_indirect_call, 0
	.section	.AMDGPU.csdata,"",@progbits
; Kernel info:
; codeLenInByte = 960
; TotalNumSgprs: 24
; NumVgprs: 28
; ScratchSize: 0
; MemoryBound: 1
; FloatMode: 240
; IeeeMode: 1
; LDSByteSize: 0 bytes/workgroup (compile time only)
; SGPRBlocks: 0
; VGPRBlocks: 1
; NumSGPRsForWavesPerEU: 24
; NumVGPRsForWavesPerEU: 28
; NamedBarCnt: 0
; Occupancy: 16
; WaveLimiterHint : 0
; COMPUTE_PGM_RSRC2:SCRATCH_EN: 0
; COMPUTE_PGM_RSRC2:USER_SGPR: 2
; COMPUTE_PGM_RSRC2:TRAP_HANDLER: 0
; COMPUTE_PGM_RSRC2:TGID_X_EN: 1
; COMPUTE_PGM_RSRC2:TGID_Y_EN: 0
; COMPUTE_PGM_RSRC2:TGID_Z_EN: 0
; COMPUTE_PGM_RSRC2:TIDIG_COMP_CNT: 0
	.section	.text._ZN2at6native12_GLOBAL__N_125multi_tensor_apply_kernelINS1_18TensorListMetadataILi1EEENS1_14UnaryOpFunctorIfLi1ELi1ELi0EEEJNS0_6TruncfIfEEEEEvT_T0_DpT1_,"axG",@progbits,_ZN2at6native12_GLOBAL__N_125multi_tensor_apply_kernelINS1_18TensorListMetadataILi1EEENS1_14UnaryOpFunctorIfLi1ELi1ELi0EEEJNS0_6TruncfIfEEEEEvT_T0_DpT1_,comdat
	.globl	_ZN2at6native12_GLOBAL__N_125multi_tensor_apply_kernelINS1_18TensorListMetadataILi1EEENS1_14UnaryOpFunctorIfLi1ELi1ELi0EEEJNS0_6TruncfIfEEEEEvT_T0_DpT1_ ; -- Begin function _ZN2at6native12_GLOBAL__N_125multi_tensor_apply_kernelINS1_18TensorListMetadataILi1EEENS1_14UnaryOpFunctorIfLi1ELi1ELi0EEEJNS0_6TruncfIfEEEEEvT_T0_DpT1_
	.p2align	8
	.type	_ZN2at6native12_GLOBAL__N_125multi_tensor_apply_kernelINS1_18TensorListMetadataILi1EEENS1_14UnaryOpFunctorIfLi1ELi1ELi0EEEJNS0_6TruncfIfEEEEEvT_T0_DpT1_,@function
_ZN2at6native12_GLOBAL__N_125multi_tensor_apply_kernelINS1_18TensorListMetadataILi1EEENS1_14UnaryOpFunctorIfLi1ELi1ELi0EEEJNS0_6TruncfIfEEEEEvT_T0_DpT1_: ; @_ZN2at6native12_GLOBAL__N_125multi_tensor_apply_kernelINS1_18TensorListMetadataILi1EEENS1_14UnaryOpFunctorIfLi1ELi1ELi0EEEJNS0_6TruncfIfEEEEEvT_T0_DpT1_
; %bb.0:
	s_bfe_u32 s2, ttmp6, 0x4000c
	s_and_b32 s3, ttmp6, 15
	s_add_co_i32 s2, s2, 1
	s_getreg_b32 s4, hwreg(HW_REG_IB_STS2, 6, 4)
	s_mul_i32 s2, ttmp9, s2
	s_delay_alu instid0(SALU_CYCLE_1)
	s_add_co_i32 s3, s3, s2
	s_cmp_eq_u32 s4, 0
	s_cselect_b32 s2, ttmp9, s3
	s_mov_b32 s3, 0
	s_load_u8 s8, s[0:1], s2 offset:0x6e0
	s_add_nc_u64 s[4:5], s[0:1], s[2:3]
	s_mul_u64 s[6:7], s[2:3], 3
	s_delay_alu instid0(SALU_CYCLE_1)
	s_add_nc_u64 s[4:5], s[4:5], s[6:7]
	s_load_b32 s10, s[4:5], 0x820
	s_wait_kmcnt 0x0
	s_clause 0x1
	s_load_b64 s[6:7], s[0:1], s8 offset:0x0 scale_offset
	s_load_b64 s[12:13], s[0:1], s8 offset:0x370 scale_offset
	s_ashr_i32 s11, s10, 31
	s_wait_kmcnt 0x0
	s_and_b64 s[4:5], s[6:7], 15
	s_and_b32 s2, s12, 3
	s_lshl_b64 s[8:9], s[10:11], 18
	s_or_b64 s[2:3], s[4:5], s[2:3]
	s_lshl_b64 s[4:5], s[10:11], 16
	s_cmp_eq_u64 s[2:3], 0
	s_sub_nc_u64 s[10:11], s[12:13], s[4:5]
	s_cbranch_scc1 .LBB21_21
; %bb.1:
	v_cmp_lt_i64_e64 s2, s[10:11], 1
	s_and_b32 vcc_lo, exec_lo, s2
	s_cbranch_vccnz .LBB21_20
; %bb.2:
	s_load_b32 s4, s[0:1], 0xd3c
	v_min_i64 v[2:3], 0x10000, s[10:11]
	v_min_u64 v[4:5], 0x10000, s[10:11]
	v_dual_mov_b32 v1, 0 :: v_dual_lshlrev_b32 v8, 2, v0
	s_mov_b32 s19, 0
	s_add_nc_u64 s[2:3], s[6:7], s[8:9]
	s_mov_b32 s5, s19
	s_delay_alu instid0(VALU_DEP_1)
	v_mov_b32_e32 v15, v1
	s_mov_b32 s17, s19
	s_mov_b32 s13, s19
	;; [unrolled: 1-line block ×3, first 2 shown]
	s_mov_b64 s[20:21], 0
	s_wait_kmcnt 0x0
	s_and_b32 s18, s4, 0xffff
	s_delay_alu instid0(SALU_CYCLE_1)
	v_add_nc_u64_e32 v[6:7], s[18:19], v[0:1]
	v_mov_b32_e32 v9, v1
	s_lshl_b32 s4, s18, 1
	s_mul_i32 s16, s18, 3
	v_add_nc_u64_e32 v[12:13], s[4:5], v[0:1]
	v_add_nc_u64_e32 v[10:11], s[16:17], v[0:1]
	s_lshl_b32 s12, s18, 2
	v_lshlrev_b32_e32 v14, 2, v6
	v_add_nc_u64_e32 v[8:9], s[2:3], v[8:9]
	s_lshl_b32 s14, s18, 4
	s_mul_u64 s[16:17], s[18:19], 12
	s_lshl_b32 s18, s18, 3
	v_add_nc_u64_e32 v[14:15], s[2:3], v[14:15]
	s_branch .LBB21_4
.LBB21_3:                               ;   in Loop: Header=BB21_4 Depth=1
	s_wait_xcnt 0x0
	s_or_b32 exec_lo, exec_lo, s2
	s_add_nc_u64 s[20:21], s[20:21], s[12:13]
	v_add_nc_u64_e32 v[8:9], s[14:15], v[8:9]
	v_cmp_lt_i64_e32 vcc_lo, s[20:21], v[2:3]
	v_add_nc_u64_e32 v[14:15], s[14:15], v[14:15]
	s_cbranch_vccz .LBB21_20
.LBB21_4:                               ; =>This Inner Loop Header: Depth=1
	v_add_nc_u64_e32 v[16:17], s[20:21], v[0:1]
	v_mov_b32_e32 v21, 0
	s_delay_alu instid0(VALU_DEP_2)
	v_cmp_lt_u64_e32 vcc_lo, v[16:17], v[4:5]
	s_and_saveexec_b32 s2, vcc_lo
	s_cbranch_execz .LBB21_6
; %bb.5:                                ;   in Loop: Header=BB21_4 Depth=1
	global_load_b32 v16, v[8:9], off
	s_wait_loadcnt 0x0
	v_trunc_f32_e32 v21, v16
.LBB21_6:                               ;   in Loop: Header=BB21_4 Depth=1
	s_wait_xcnt 0x0
	s_or_b32 exec_lo, exec_lo, s2
	v_add_nc_u64_e32 v[16:17], s[20:21], v[6:7]
	v_dual_mov_b32 v20, 0 :: v_dual_mov_b32 v22, 0
	s_delay_alu instid0(VALU_DEP_2)
	v_cmp_lt_u64_e64 s2, v[16:17], v[4:5]
	s_and_saveexec_b32 s3, s2
	s_cbranch_execz .LBB21_8
; %bb.7:                                ;   in Loop: Header=BB21_4 Depth=1
	global_load_b32 v16, v[14:15], off
	s_wait_loadcnt 0x0
	v_trunc_f32_e32 v22, v16
.LBB21_8:                               ;   in Loop: Header=BB21_4 Depth=1
	s_wait_xcnt 0x0
	s_or_b32 exec_lo, exec_lo, s3
	v_add_nc_u64_e32 v[16:17], s[20:21], v[12:13]
	s_delay_alu instid0(VALU_DEP_1)
	v_cmp_lt_u64_e64 s3, v[16:17], v[4:5]
	v_add_nc_u64_e32 v[16:17], s[18:19], v[8:9]
	s_and_saveexec_b32 s4, s3
	s_cbranch_execz .LBB21_10
; %bb.9:                                ;   in Loop: Header=BB21_4 Depth=1
	global_load_b32 v18, v[16:17], off
	s_wait_loadcnt 0x0
	v_trunc_f32_e32 v20, v18
.LBB21_10:                              ;   in Loop: Header=BB21_4 Depth=1
	s_wait_xcnt 0x0
	s_or_b32 exec_lo, exec_lo, s4
	v_add_nc_u64_e32 v[18:19], s[20:21], v[10:11]
	v_mov_b32_e32 v23, 0
	s_delay_alu instid0(VALU_DEP_2)
	v_cmp_lt_u64_e64 s4, v[18:19], v[4:5]
	v_add_nc_u64_e32 v[18:19], s[16:17], v[8:9]
	s_and_saveexec_b32 s5, s4
	s_cbranch_execnz .LBB21_15
; %bb.11:                               ;   in Loop: Header=BB21_4 Depth=1
	s_or_b32 exec_lo, exec_lo, s5
	s_and_saveexec_b32 s5, vcc_lo
	s_cbranch_execnz .LBB21_16
.LBB21_12:                              ;   in Loop: Header=BB21_4 Depth=1
	s_or_b32 exec_lo, exec_lo, s5
	s_and_saveexec_b32 s5, s2
	s_cbranch_execnz .LBB21_17
.LBB21_13:                              ;   in Loop: Header=BB21_4 Depth=1
	s_or_b32 exec_lo, exec_lo, s5
	s_and_saveexec_b32 s2, s3
	s_cbranch_execnz .LBB21_18
.LBB21_14:                              ;   in Loop: Header=BB21_4 Depth=1
	s_or_b32 exec_lo, exec_lo, s2
	s_and_saveexec_b32 s2, s4
	s_cbranch_execz .LBB21_3
	s_branch .LBB21_19
.LBB21_15:                              ;   in Loop: Header=BB21_4 Depth=1
	global_load_b32 v23, v[18:19], off
	s_wait_loadcnt 0x0
	v_trunc_f32_e32 v23, v23
	s_wait_xcnt 0x0
	s_or_b32 exec_lo, exec_lo, s5
	s_and_saveexec_b32 s5, vcc_lo
	s_cbranch_execz .LBB21_12
.LBB21_16:                              ;   in Loop: Header=BB21_4 Depth=1
	global_store_b32 v[8:9], v21, off
	s_wait_xcnt 0x0
	s_or_b32 exec_lo, exec_lo, s5
	s_and_saveexec_b32 s5, s2
	s_cbranch_execz .LBB21_13
.LBB21_17:                              ;   in Loop: Header=BB21_4 Depth=1
	global_store_b32 v[14:15], v22, off
	s_wait_xcnt 0x0
	s_or_b32 exec_lo, exec_lo, s5
	s_and_saveexec_b32 s2, s3
	s_cbranch_execz .LBB21_14
.LBB21_18:                              ;   in Loop: Header=BB21_4 Depth=1
	global_store_b32 v[16:17], v20, off
	s_wait_xcnt 0x0
	s_or_b32 exec_lo, exec_lo, s2
	s_and_saveexec_b32 s2, s4
	s_cbranch_execz .LBB21_3
.LBB21_19:                              ;   in Loop: Header=BB21_4 Depth=1
	global_store_b32 v[18:19], v23, off
	s_branch .LBB21_3
.LBB21_20:
	s_cbranch_execz .LBB21_22
	s_branch .LBB21_30
.LBB21_21:
.LBB21_22:
	v_min_i64 v[2:3], 0x10000, s[10:11]
	v_dual_mov_b32 v5, 0 :: v_dual_lshlrev_b32 v4, 2, v0
	s_mov_b32 s2, exec_lo
	s_delay_alu instid0(VALU_DEP_1)
	v_cmpx_lt_i64_e64 v[4:5], v[2:3]
	s_cbranch_execz .LBB21_30
; %bb.23:
	v_dual_mov_b32 v7, v5 :: v_dual_add_nc_u32 v6, 4, v4
	s_load_b32 s0, s[0:1], 0xd3c
	s_wait_xcnt 0x0
	s_mov_b32 s1, 0
	v_mov_b32_e32 v1, v5
	s_mov_b32 s3, -1
	v_max_i64 v[6:7], v[2:3], v[6:7]
	v_mov_b32_e32 v9, s1
	s_wait_kmcnt 0x0
	s_and_b32 s0, s0, 0xffff
	s_delay_alu instid0(SALU_CYCLE_1) | instskip(SKIP_1) | instid1(VALU_DEP_2)
	s_cmp_eq_u32 s0, 1
	s_cselect_b32 s2, -1, 0
	v_add_nc_u64_e32 v[6:7], -4, v[6:7]
	s_delay_alu instid0(VALU_DEP_1) | instskip(SKIP_1) | instid1(VALU_DEP_1)
	v_cmp_ne_u64_e32 vcc_lo, v[6:7], v[4:5]
	v_cndmask_b32_e64 v8, 0, 1, vcc_lo
	v_or_b32_e32 v4, v4, v8
	s_delay_alu instid0(VALU_DEP_1) | instskip(NEXT) | instid1(VALU_DEP_1)
	v_sub_nc_u64_e32 v[6:7], v[6:7], v[4:5]
	v_lshrrev_b64 v[6:7], 2, v[6:7]
	s_delay_alu instid0(VALU_DEP_1) | instskip(NEXT) | instid1(VALU_DEP_1)
	v_add_nc_u64_e32 v[6:7], v[6:7], v[8:9]
	v_cmp_ne_u64_e32 vcc_lo, 0, v[6:7]
	s_and_b32 s4, vcc_lo, s2
	s_delay_alu instid0(SALU_CYCLE_1)
	s_and_saveexec_b32 s2, s4
	s_cbranch_execz .LBB21_27
; %bb.24:
	v_dual_mov_b32 v9, 0 :: v_dual_lshlrev_b32 v8, 4, v0
	v_add_nc_u64_e32 v[4:5], 1, v[6:7]
	s_add_nc_u64 s[4:5], s[6:7], s[8:9]
	s_delay_alu instid0(VALU_DEP_2) | instid1(SALU_CYCLE_1)
	v_add_nc_u64_e32 v[8:9], s[4:5], v[8:9]
	s_delay_alu instid0(VALU_DEP_2) | instskip(NEXT) | instid1(VALU_DEP_2)
	v_dual_mov_b32 v7, v5 :: v_dual_bitop2_b32 v6, -2, v4 bitop3:0x40
	v_add_nc_u64_e32 v[8:9], 28, v[8:9]
	s_delay_alu instid0(VALU_DEP_2)
	v_mov_b64_e32 v[10:11], v[6:7]
.LBB21_25:                              ; =>This Inner Loop Header: Depth=1
	s_clause 0x1
	global_load_b128 v[12:15], v[8:9], off offset:-12
	global_load_b128 v[16:19], v[8:9], off offset:-28
	v_add_nc_u64_e32 v[10:11], -2, v[10:11]
	s_delay_alu instid0(VALU_DEP_1)
	v_cmp_eq_u64_e32 vcc_lo, 0, v[10:11]
	s_or_b32 s1, vcc_lo, s1
	s_wait_loadcnt 0x1
	v_trunc_f32_e32 v12, v12
	s_wait_loadcnt 0x0
	v_trunc_f32_e32 v16, v16
	v_trunc_f32_e32 v17, v17
	;; [unrolled: 1-line block ×7, first 2 shown]
	s_clause 0x1
	global_store_b128 v[8:9], v[16:19], off offset:-28
	global_store_b128 v[8:9], v[12:15], off offset:-12
	s_wait_xcnt 0x0
	v_add_nc_u64_e32 v[8:9], 32, v[8:9]
	s_and_not1_b32 exec_lo, exec_lo, s1
	s_cbranch_execnz .LBB21_25
; %bb.26:
	s_or_b32 exec_lo, exec_lo, s1
	v_cmp_ne_u64_e32 vcc_lo, v[4:5], v[6:7]
	v_add_nc_u64_e32 v[0:1], v[6:7], v[0:1]
	s_or_not1_b32 s3, vcc_lo, exec_lo
.LBB21_27:
	s_or_b32 exec_lo, exec_lo, s2
	s_delay_alu instid0(SALU_CYCLE_1)
	s_and_b32 exec_lo, exec_lo, s3
	s_cbranch_execz .LBB21_30
; %bb.28:
	s_add_nc_u64 s[2:3], s[6:7], s[8:9]
	s_mov_b32 s1, 0
	v_lshl_add_u64 v[4:5], v[0:1], 4, s[2:3]
	s_lshl_b32 s2, s0, 4
	s_mov_b32 s3, s1
	s_mov_b32 s4, s1
	s_delay_alu instid0(VALU_DEP_1)
	v_add_nc_u64_e32 v[4:5], 8, v[4:5]
.LBB21_29:                              ; =>This Inner Loop Header: Depth=1
	global_load_b128 v[6:9], v[4:5], off offset:-8
	v_add_nc_u64_e32 v[0:1], s[0:1], v[0:1]
	s_delay_alu instid0(VALU_DEP_1) | instskip(NEXT) | instid1(VALU_DEP_1)
	v_lshlrev_b64_e32 v[10:11], 2, v[0:1]
	v_cmp_ge_i64_e32 vcc_lo, v[10:11], v[2:3]
	s_or_b32 s4, vcc_lo, s4
	s_wait_loadcnt 0x0
	v_trunc_f32_e32 v6, v6
	v_trunc_f32_e32 v7, v7
	;; [unrolled: 1-line block ×4, first 2 shown]
	global_store_b128 v[4:5], v[6:9], off offset:-8
	s_wait_xcnt 0x0
	v_add_nc_u64_e32 v[4:5], s[2:3], v[4:5]
	s_and_not1_b32 exec_lo, exec_lo, s4
	s_cbranch_execnz .LBB21_29
.LBB21_30:
	s_endpgm
	.section	.rodata,"a",@progbits
	.p2align	6, 0x0
	.amdhsa_kernel _ZN2at6native12_GLOBAL__N_125multi_tensor_apply_kernelINS1_18TensorListMetadataILi1EEENS1_14UnaryOpFunctorIfLi1ELi1ELi0EEEJNS0_6TruncfIfEEEEEvT_T0_DpT1_
		.amdhsa_group_segment_fixed_size 0
		.amdhsa_private_segment_fixed_size 0
		.amdhsa_kernarg_size 3632
		.amdhsa_user_sgpr_count 2
		.amdhsa_user_sgpr_dispatch_ptr 0
		.amdhsa_user_sgpr_queue_ptr 0
		.amdhsa_user_sgpr_kernarg_segment_ptr 1
		.amdhsa_user_sgpr_dispatch_id 0
		.amdhsa_user_sgpr_kernarg_preload_length 0
		.amdhsa_user_sgpr_kernarg_preload_offset 0
		.amdhsa_user_sgpr_private_segment_size 0
		.amdhsa_wavefront_size32 1
		.amdhsa_uses_dynamic_stack 0
		.amdhsa_enable_private_segment 0
		.amdhsa_system_sgpr_workgroup_id_x 1
		.amdhsa_system_sgpr_workgroup_id_y 0
		.amdhsa_system_sgpr_workgroup_id_z 0
		.amdhsa_system_sgpr_workgroup_info 0
		.amdhsa_system_vgpr_workitem_id 0
		.amdhsa_next_free_vgpr 24
		.amdhsa_next_free_sgpr 22
		.amdhsa_named_barrier_count 0
		.amdhsa_reserve_vcc 1
		.amdhsa_float_round_mode_32 0
		.amdhsa_float_round_mode_16_64 0
		.amdhsa_float_denorm_mode_32 3
		.amdhsa_float_denorm_mode_16_64 3
		.amdhsa_fp16_overflow 0
		.amdhsa_memory_ordered 1
		.amdhsa_forward_progress 1
		.amdhsa_inst_pref_size 10
		.amdhsa_round_robin_scheduling 0
		.amdhsa_exception_fp_ieee_invalid_op 0
		.amdhsa_exception_fp_denorm_src 0
		.amdhsa_exception_fp_ieee_div_zero 0
		.amdhsa_exception_fp_ieee_overflow 0
		.amdhsa_exception_fp_ieee_underflow 0
		.amdhsa_exception_fp_ieee_inexact 0
		.amdhsa_exception_int_div_zero 0
	.end_amdhsa_kernel
	.section	.text._ZN2at6native12_GLOBAL__N_125multi_tensor_apply_kernelINS1_18TensorListMetadataILi1EEENS1_14UnaryOpFunctorIfLi1ELi1ELi0EEEJNS0_6TruncfIfEEEEEvT_T0_DpT1_,"axG",@progbits,_ZN2at6native12_GLOBAL__N_125multi_tensor_apply_kernelINS1_18TensorListMetadataILi1EEENS1_14UnaryOpFunctorIfLi1ELi1ELi0EEEJNS0_6TruncfIfEEEEEvT_T0_DpT1_,comdat
.Lfunc_end21:
	.size	_ZN2at6native12_GLOBAL__N_125multi_tensor_apply_kernelINS1_18TensorListMetadataILi1EEENS1_14UnaryOpFunctorIfLi1ELi1ELi0EEEJNS0_6TruncfIfEEEEEvT_T0_DpT1_, .Lfunc_end21-_ZN2at6native12_GLOBAL__N_125multi_tensor_apply_kernelINS1_18TensorListMetadataILi1EEENS1_14UnaryOpFunctorIfLi1ELi1ELi0EEEJNS0_6TruncfIfEEEEEvT_T0_DpT1_
                                        ; -- End function
	.set _ZN2at6native12_GLOBAL__N_125multi_tensor_apply_kernelINS1_18TensorListMetadataILi1EEENS1_14UnaryOpFunctorIfLi1ELi1ELi0EEEJNS0_6TruncfIfEEEEEvT_T0_DpT1_.num_vgpr, 24
	.set _ZN2at6native12_GLOBAL__N_125multi_tensor_apply_kernelINS1_18TensorListMetadataILi1EEENS1_14UnaryOpFunctorIfLi1ELi1ELi0EEEJNS0_6TruncfIfEEEEEvT_T0_DpT1_.num_agpr, 0
	.set _ZN2at6native12_GLOBAL__N_125multi_tensor_apply_kernelINS1_18TensorListMetadataILi1EEENS1_14UnaryOpFunctorIfLi1ELi1ELi0EEEJNS0_6TruncfIfEEEEEvT_T0_DpT1_.numbered_sgpr, 22
	.set _ZN2at6native12_GLOBAL__N_125multi_tensor_apply_kernelINS1_18TensorListMetadataILi1EEENS1_14UnaryOpFunctorIfLi1ELi1ELi0EEEJNS0_6TruncfIfEEEEEvT_T0_DpT1_.num_named_barrier, 0
	.set _ZN2at6native12_GLOBAL__N_125multi_tensor_apply_kernelINS1_18TensorListMetadataILi1EEENS1_14UnaryOpFunctorIfLi1ELi1ELi0EEEJNS0_6TruncfIfEEEEEvT_T0_DpT1_.private_seg_size, 0
	.set _ZN2at6native12_GLOBAL__N_125multi_tensor_apply_kernelINS1_18TensorListMetadataILi1EEENS1_14UnaryOpFunctorIfLi1ELi1ELi0EEEJNS0_6TruncfIfEEEEEvT_T0_DpT1_.uses_vcc, 1
	.set _ZN2at6native12_GLOBAL__N_125multi_tensor_apply_kernelINS1_18TensorListMetadataILi1EEENS1_14UnaryOpFunctorIfLi1ELi1ELi0EEEJNS0_6TruncfIfEEEEEvT_T0_DpT1_.uses_flat_scratch, 0
	.set _ZN2at6native12_GLOBAL__N_125multi_tensor_apply_kernelINS1_18TensorListMetadataILi1EEENS1_14UnaryOpFunctorIfLi1ELi1ELi0EEEJNS0_6TruncfIfEEEEEvT_T0_DpT1_.has_dyn_sized_stack, 0
	.set _ZN2at6native12_GLOBAL__N_125multi_tensor_apply_kernelINS1_18TensorListMetadataILi1EEENS1_14UnaryOpFunctorIfLi1ELi1ELi0EEEJNS0_6TruncfIfEEEEEvT_T0_DpT1_.has_recursion, 0
	.set _ZN2at6native12_GLOBAL__N_125multi_tensor_apply_kernelINS1_18TensorListMetadataILi1EEENS1_14UnaryOpFunctorIfLi1ELi1ELi0EEEJNS0_6TruncfIfEEEEEvT_T0_DpT1_.has_indirect_call, 0
	.section	.AMDGPU.csdata,"",@progbits
; Kernel info:
; codeLenInByte = 1240
; TotalNumSgprs: 24
; NumVgprs: 24
; ScratchSize: 0
; MemoryBound: 0
; FloatMode: 240
; IeeeMode: 1
; LDSByteSize: 0 bytes/workgroup (compile time only)
; SGPRBlocks: 0
; VGPRBlocks: 1
; NumSGPRsForWavesPerEU: 24
; NumVGPRsForWavesPerEU: 24
; NamedBarCnt: 0
; Occupancy: 16
; WaveLimiterHint : 0
; COMPUTE_PGM_RSRC2:SCRATCH_EN: 0
; COMPUTE_PGM_RSRC2:USER_SGPR: 2
; COMPUTE_PGM_RSRC2:TRAP_HANDLER: 0
; COMPUTE_PGM_RSRC2:TGID_X_EN: 1
; COMPUTE_PGM_RSRC2:TGID_Y_EN: 0
; COMPUTE_PGM_RSRC2:TGID_Z_EN: 0
; COMPUTE_PGM_RSRC2:TIDIG_COMP_CNT: 0
	.section	.text._ZN2at6native12_GLOBAL__N_125multi_tensor_apply_kernelINS1_18TensorListMetadataILi1EEENS1_14UnaryOpFunctorIN3c104HalfELi1ELi1ELi0EEEJNS0_6TruncfIfEEEEEvT_T0_DpT1_,"axG",@progbits,_ZN2at6native12_GLOBAL__N_125multi_tensor_apply_kernelINS1_18TensorListMetadataILi1EEENS1_14UnaryOpFunctorIN3c104HalfELi1ELi1ELi0EEEJNS0_6TruncfIfEEEEEvT_T0_DpT1_,comdat
	.globl	_ZN2at6native12_GLOBAL__N_125multi_tensor_apply_kernelINS1_18TensorListMetadataILi1EEENS1_14UnaryOpFunctorIN3c104HalfELi1ELi1ELi0EEEJNS0_6TruncfIfEEEEEvT_T0_DpT1_ ; -- Begin function _ZN2at6native12_GLOBAL__N_125multi_tensor_apply_kernelINS1_18TensorListMetadataILi1EEENS1_14UnaryOpFunctorIN3c104HalfELi1ELi1ELi0EEEJNS0_6TruncfIfEEEEEvT_T0_DpT1_
	.p2align	8
	.type	_ZN2at6native12_GLOBAL__N_125multi_tensor_apply_kernelINS1_18TensorListMetadataILi1EEENS1_14UnaryOpFunctorIN3c104HalfELi1ELi1ELi0EEEJNS0_6TruncfIfEEEEEvT_T0_DpT1_,@function
_ZN2at6native12_GLOBAL__N_125multi_tensor_apply_kernelINS1_18TensorListMetadataILi1EEENS1_14UnaryOpFunctorIN3c104HalfELi1ELi1ELi0EEEJNS0_6TruncfIfEEEEEvT_T0_DpT1_: ; @_ZN2at6native12_GLOBAL__N_125multi_tensor_apply_kernelINS1_18TensorListMetadataILi1EEENS1_14UnaryOpFunctorIN3c104HalfELi1ELi1ELi0EEEJNS0_6TruncfIfEEEEEvT_T0_DpT1_
; %bb.0:
	s_bfe_u32 s2, ttmp6, 0x4000c
	s_and_b32 s3, ttmp6, 15
	s_add_co_i32 s2, s2, 1
	s_getreg_b32 s4, hwreg(HW_REG_IB_STS2, 6, 4)
	s_mul_i32 s2, ttmp9, s2
	s_delay_alu instid0(SALU_CYCLE_1)
	s_add_co_i32 s3, s3, s2
	s_cmp_eq_u32 s4, 0
	s_cselect_b32 s2, ttmp9, s3
	s_mov_b32 s3, 0
	s_load_u8 s8, s[0:1], s2 offset:0x6e0
	s_add_nc_u64 s[4:5], s[0:1], s[2:3]
	s_mul_u64 s[6:7], s[2:3], 3
	s_delay_alu instid0(SALU_CYCLE_1)
	s_add_nc_u64 s[4:5], s[4:5], s[6:7]
	s_load_b32 s10, s[4:5], 0x820
	s_wait_kmcnt 0x0
	s_clause 0x1
	s_load_b64 s[6:7], s[0:1], s8 offset:0x0 scale_offset
	s_load_b64 s[12:13], s[0:1], s8 offset:0x370 scale_offset
	s_ashr_i32 s11, s10, 31
	s_wait_kmcnt 0x0
	s_and_b64 s[4:5], s[6:7], 7
	s_and_b32 s2, s12, 3
	s_lshl_b64 s[8:9], s[10:11], 17
	s_or_b64 s[2:3], s[4:5], s[2:3]
	s_lshl_b64 s[4:5], s[10:11], 16
	s_cmp_eq_u64 s[2:3], 0
	s_sub_nc_u64 s[10:11], s[12:13], s[4:5]
	s_cbranch_scc1 .LBB22_21
; %bb.1:
	v_cmp_lt_i64_e64 s2, s[10:11], 1
	s_and_b32 vcc_lo, exec_lo, s2
	s_cbranch_vccnz .LBB22_20
; %bb.2:
	s_load_b32 s2, s[0:1], 0xd3c
	v_min_i64 v[2:3], 0x10000, s[10:11]
	v_min_u64 v[4:5], 0x10000, s[10:11]
	v_dual_mov_b32 v1, 0 :: v_dual_lshlrev_b32 v8, 1, v0
	s_mov_b32 s3, 0
	s_add_nc_u64 s[4:5], s[6:7], s[8:9]
	s_mov_b32 s15, s3
	s_delay_alu instid0(VALU_DEP_1)
	v_mov_b32_e32 v15, v1
	s_mov_b32 s17, s3
	s_mov_b32 s13, s3
	s_mov_b64 s[18:19], 0
	s_wait_kmcnt 0x0
	s_and_b32 s2, s2, 0xffff
	s_delay_alu instid0(SALU_CYCLE_1)
	v_add_nc_u64_e32 v[6:7], s[2:3], v[0:1]
	v_mov_b32_e32 v9, v1
	s_lshl_b32 s14, s2, 1
	s_mul_i32 s16, s2, 3
	v_add_nc_u64_e32 v[12:13], s[14:15], v[0:1]
	v_add_nc_u64_e32 v[10:11], s[16:17], v[0:1]
	s_lshl_b32 s12, s2, 2
	v_lshlrev_b32_e32 v14, 1, v6
	v_add_nc_u64_e32 v[8:9], s[4:5], v[8:9]
	s_lshl_b32 s14, s2, 3
	s_mul_u64 s[16:17], s[2:3], 6
	s_delay_alu instid0(VALU_DEP_2)
	v_add_nc_u64_e32 v[14:15], s[4:5], v[14:15]
	s_branch .LBB22_4
.LBB22_3:                               ;   in Loop: Header=BB22_4 Depth=1
	s_wait_xcnt 0x0
	s_or_b32 exec_lo, exec_lo, s2
	s_add_nc_u64 s[18:19], s[18:19], s[12:13]
	v_add_nc_u64_e32 v[8:9], s[14:15], v[8:9]
	v_cmp_lt_i64_e32 vcc_lo, s[18:19], v[2:3]
	v_add_nc_u64_e32 v[14:15], s[14:15], v[14:15]
	s_cbranch_vccz .LBB22_20
.LBB22_4:                               ; =>This Inner Loop Header: Depth=1
	v_add_nc_u64_e32 v[16:17], s[18:19], v[0:1]
	v_mov_b32_e32 v21, 0
	s_delay_alu instid0(VALU_DEP_2)
	v_cmp_lt_u64_e32 vcc_lo, v[16:17], v[4:5]
	s_and_saveexec_b32 s2, vcc_lo
	s_cbranch_execz .LBB22_6
; %bb.5:                                ;   in Loop: Header=BB22_4 Depth=1
	global_load_u16 v16, v[8:9], off
	s_wait_loadcnt 0x0
	v_trunc_f16_e32 v21, v16
.LBB22_6:                               ;   in Loop: Header=BB22_4 Depth=1
	s_wait_xcnt 0x0
	s_or_b32 exec_lo, exec_lo, s2
	v_add_nc_u64_e32 v[16:17], s[18:19], v[6:7]
	v_dual_mov_b32 v20, 0 :: v_dual_mov_b32 v22, 0
	s_delay_alu instid0(VALU_DEP_2)
	v_cmp_lt_u64_e64 s2, v[16:17], v[4:5]
	s_and_saveexec_b32 s3, s2
	s_cbranch_execz .LBB22_8
; %bb.7:                                ;   in Loop: Header=BB22_4 Depth=1
	global_load_u16 v16, v[14:15], off
	s_wait_loadcnt 0x0
	v_trunc_f16_e32 v22, v16
.LBB22_8:                               ;   in Loop: Header=BB22_4 Depth=1
	s_wait_xcnt 0x0
	s_or_b32 exec_lo, exec_lo, s3
	v_add_nc_u64_e32 v[16:17], s[18:19], v[12:13]
	s_delay_alu instid0(VALU_DEP_1)
	v_cmp_lt_u64_e64 s3, v[16:17], v[4:5]
	v_add_nc_u64_e32 v[16:17], s[12:13], v[8:9]
	s_and_saveexec_b32 s4, s3
	s_cbranch_execz .LBB22_10
; %bb.9:                                ;   in Loop: Header=BB22_4 Depth=1
	global_load_u16 v18, v[16:17], off
	s_wait_loadcnt 0x0
	v_trunc_f16_e32 v20, v18
.LBB22_10:                              ;   in Loop: Header=BB22_4 Depth=1
	s_wait_xcnt 0x0
	s_or_b32 exec_lo, exec_lo, s4
	v_add_nc_u64_e32 v[18:19], s[18:19], v[10:11]
	v_mov_b32_e32 v23, 0
	s_delay_alu instid0(VALU_DEP_2)
	v_cmp_lt_u64_e64 s4, v[18:19], v[4:5]
	v_add_nc_u64_e32 v[18:19], s[16:17], v[8:9]
	s_and_saveexec_b32 s5, s4
	s_cbranch_execnz .LBB22_15
; %bb.11:                               ;   in Loop: Header=BB22_4 Depth=1
	s_or_b32 exec_lo, exec_lo, s5
	s_and_saveexec_b32 s5, vcc_lo
	s_cbranch_execnz .LBB22_16
.LBB22_12:                              ;   in Loop: Header=BB22_4 Depth=1
	s_or_b32 exec_lo, exec_lo, s5
	s_and_saveexec_b32 s5, s2
	s_cbranch_execnz .LBB22_17
.LBB22_13:                              ;   in Loop: Header=BB22_4 Depth=1
	s_or_b32 exec_lo, exec_lo, s5
	s_and_saveexec_b32 s2, s3
	s_cbranch_execnz .LBB22_18
.LBB22_14:                              ;   in Loop: Header=BB22_4 Depth=1
	s_or_b32 exec_lo, exec_lo, s2
	s_and_saveexec_b32 s2, s4
	s_cbranch_execz .LBB22_3
	s_branch .LBB22_19
.LBB22_15:                              ;   in Loop: Header=BB22_4 Depth=1
	global_load_u16 v23, v[18:19], off
	s_wait_loadcnt 0x0
	v_trunc_f16_e32 v23, v23
	s_wait_xcnt 0x0
	s_or_b32 exec_lo, exec_lo, s5
	s_and_saveexec_b32 s5, vcc_lo
	s_cbranch_execz .LBB22_12
.LBB22_16:                              ;   in Loop: Header=BB22_4 Depth=1
	global_store_b16 v[8:9], v21, off
	s_wait_xcnt 0x0
	s_or_b32 exec_lo, exec_lo, s5
	s_and_saveexec_b32 s5, s2
	s_cbranch_execz .LBB22_13
.LBB22_17:                              ;   in Loop: Header=BB22_4 Depth=1
	global_store_b16 v[14:15], v22, off
	s_wait_xcnt 0x0
	s_or_b32 exec_lo, exec_lo, s5
	s_and_saveexec_b32 s2, s3
	s_cbranch_execz .LBB22_14
.LBB22_18:                              ;   in Loop: Header=BB22_4 Depth=1
	global_store_b16 v[16:17], v20, off
	s_wait_xcnt 0x0
	s_or_b32 exec_lo, exec_lo, s2
	s_and_saveexec_b32 s2, s4
	s_cbranch_execz .LBB22_3
.LBB22_19:                              ;   in Loop: Header=BB22_4 Depth=1
	global_store_b16 v[18:19], v23, off
	s_branch .LBB22_3
.LBB22_20:
	s_cbranch_execz .LBB22_22
	s_branch .LBB22_25
.LBB22_21:
.LBB22_22:
	v_min_i64 v[2:3], 0x10000, s[10:11]
	v_dual_mov_b32 v5, 0 :: v_dual_lshlrev_b32 v4, 2, v0
	s_mov_b32 s2, exec_lo
	s_delay_alu instid0(VALU_DEP_1)
	v_cmpx_lt_i64_e64 v[4:5], v[2:3]
	s_cbranch_execz .LBB22_25
; %bb.23:
	s_load_b32 s2, s[0:1], 0xd3c
	v_dual_mov_b32 v1, v5 :: v_dual_lshlrev_b32 v4, 3, v0
	s_wait_xcnt 0x0
	s_add_nc_u64 s[0:1], s[6:7], s[8:9]
	s_delay_alu instid0(VALU_DEP_1) | instid1(SALU_CYCLE_1)
	v_add_nc_u64_e32 v[6:7], s[0:1], v[4:5]
	s_mov_b32 s1, 0
	s_delay_alu instid0(SALU_CYCLE_1) | instskip(SKIP_1) | instid1(VALU_DEP_1)
	s_mov_b32 s3, s1
	s_mov_b32 s4, s1
	v_add_nc_u64_e32 v[4:5], 4, v[6:7]
	s_wait_kmcnt 0x0
	s_and_b32 s0, s2, 0xffff
	s_delay_alu instid0(SALU_CYCLE_1)
	s_lshl_b32 s2, s0, 3
.LBB22_24:                              ; =>This Inner Loop Header: Depth=1
	global_load_b64 v[6:7], v[4:5], off offset:-4
	v_add_nc_u64_e32 v[0:1], s[0:1], v[0:1]
	s_wait_loadcnt 0x0
	v_dual_lshrrev_b32 v8, 16, v7 :: v_dual_lshrrev_b32 v9, 16, v6
	v_trunc_f16_e32 v10, v6
	v_trunc_f16_e32 v11, v7
	s_delay_alu instid0(VALU_DEP_4) | instskip(NEXT) | instid1(VALU_DEP_4)
	v_lshlrev_b64_e32 v[6:7], 2, v[0:1]
	v_trunc_f16_e32 v8, v8
	v_trunc_f16_e32 v12, v9
	s_delay_alu instid0(VALU_DEP_2) | instskip(NEXT) | instid1(VALU_DEP_2)
	v_pack_b32_f16 v9, v11, v8
	v_pack_b32_f16 v8, v10, v12
	v_cmp_ge_i64_e32 vcc_lo, v[6:7], v[2:3]
	global_store_b64 v[4:5], v[8:9], off offset:-4
	s_wait_xcnt 0x0
	v_add_nc_u64_e32 v[4:5], s[2:3], v[4:5]
	s_or_b32 s4, vcc_lo, s4
	s_delay_alu instid0(SALU_CYCLE_1)
	s_and_not1_b32 exec_lo, exec_lo, s4
	s_cbranch_execnz .LBB22_24
.LBB22_25:
	s_endpgm
	.section	.rodata,"a",@progbits
	.p2align	6, 0x0
	.amdhsa_kernel _ZN2at6native12_GLOBAL__N_125multi_tensor_apply_kernelINS1_18TensorListMetadataILi1EEENS1_14UnaryOpFunctorIN3c104HalfELi1ELi1ELi0EEEJNS0_6TruncfIfEEEEEvT_T0_DpT1_
		.amdhsa_group_segment_fixed_size 0
		.amdhsa_private_segment_fixed_size 0
		.amdhsa_kernarg_size 3632
		.amdhsa_user_sgpr_count 2
		.amdhsa_user_sgpr_dispatch_ptr 0
		.amdhsa_user_sgpr_queue_ptr 0
		.amdhsa_user_sgpr_kernarg_segment_ptr 1
		.amdhsa_user_sgpr_dispatch_id 0
		.amdhsa_user_sgpr_kernarg_preload_length 0
		.amdhsa_user_sgpr_kernarg_preload_offset 0
		.amdhsa_user_sgpr_private_segment_size 0
		.amdhsa_wavefront_size32 1
		.amdhsa_uses_dynamic_stack 0
		.amdhsa_enable_private_segment 0
		.amdhsa_system_sgpr_workgroup_id_x 1
		.amdhsa_system_sgpr_workgroup_id_y 0
		.amdhsa_system_sgpr_workgroup_id_z 0
		.amdhsa_system_sgpr_workgroup_info 0
		.amdhsa_system_vgpr_workitem_id 0
		.amdhsa_next_free_vgpr 24
		.amdhsa_next_free_sgpr 20
		.amdhsa_named_barrier_count 0
		.amdhsa_reserve_vcc 1
		.amdhsa_float_round_mode_32 0
		.amdhsa_float_round_mode_16_64 0
		.amdhsa_float_denorm_mode_32 3
		.amdhsa_float_denorm_mode_16_64 3
		.amdhsa_fp16_overflow 0
		.amdhsa_memory_ordered 1
		.amdhsa_forward_progress 1
		.amdhsa_inst_pref_size 8
		.amdhsa_round_robin_scheduling 0
		.amdhsa_exception_fp_ieee_invalid_op 0
		.amdhsa_exception_fp_denorm_src 0
		.amdhsa_exception_fp_ieee_div_zero 0
		.amdhsa_exception_fp_ieee_overflow 0
		.amdhsa_exception_fp_ieee_underflow 0
		.amdhsa_exception_fp_ieee_inexact 0
		.amdhsa_exception_int_div_zero 0
	.end_amdhsa_kernel
	.section	.text._ZN2at6native12_GLOBAL__N_125multi_tensor_apply_kernelINS1_18TensorListMetadataILi1EEENS1_14UnaryOpFunctorIN3c104HalfELi1ELi1ELi0EEEJNS0_6TruncfIfEEEEEvT_T0_DpT1_,"axG",@progbits,_ZN2at6native12_GLOBAL__N_125multi_tensor_apply_kernelINS1_18TensorListMetadataILi1EEENS1_14UnaryOpFunctorIN3c104HalfELi1ELi1ELi0EEEJNS0_6TruncfIfEEEEEvT_T0_DpT1_,comdat
.Lfunc_end22:
	.size	_ZN2at6native12_GLOBAL__N_125multi_tensor_apply_kernelINS1_18TensorListMetadataILi1EEENS1_14UnaryOpFunctorIN3c104HalfELi1ELi1ELi0EEEJNS0_6TruncfIfEEEEEvT_T0_DpT1_, .Lfunc_end22-_ZN2at6native12_GLOBAL__N_125multi_tensor_apply_kernelINS1_18TensorListMetadataILi1EEENS1_14UnaryOpFunctorIN3c104HalfELi1ELi1ELi0EEEJNS0_6TruncfIfEEEEEvT_T0_DpT1_
                                        ; -- End function
	.set _ZN2at6native12_GLOBAL__N_125multi_tensor_apply_kernelINS1_18TensorListMetadataILi1EEENS1_14UnaryOpFunctorIN3c104HalfELi1ELi1ELi0EEEJNS0_6TruncfIfEEEEEvT_T0_DpT1_.num_vgpr, 24
	.set _ZN2at6native12_GLOBAL__N_125multi_tensor_apply_kernelINS1_18TensorListMetadataILi1EEENS1_14UnaryOpFunctorIN3c104HalfELi1ELi1ELi0EEEJNS0_6TruncfIfEEEEEvT_T0_DpT1_.num_agpr, 0
	.set _ZN2at6native12_GLOBAL__N_125multi_tensor_apply_kernelINS1_18TensorListMetadataILi1EEENS1_14UnaryOpFunctorIN3c104HalfELi1ELi1ELi0EEEJNS0_6TruncfIfEEEEEvT_T0_DpT1_.numbered_sgpr, 20
	.set _ZN2at6native12_GLOBAL__N_125multi_tensor_apply_kernelINS1_18TensorListMetadataILi1EEENS1_14UnaryOpFunctorIN3c104HalfELi1ELi1ELi0EEEJNS0_6TruncfIfEEEEEvT_T0_DpT1_.num_named_barrier, 0
	.set _ZN2at6native12_GLOBAL__N_125multi_tensor_apply_kernelINS1_18TensorListMetadataILi1EEENS1_14UnaryOpFunctorIN3c104HalfELi1ELi1ELi0EEEJNS0_6TruncfIfEEEEEvT_T0_DpT1_.private_seg_size, 0
	.set _ZN2at6native12_GLOBAL__N_125multi_tensor_apply_kernelINS1_18TensorListMetadataILi1EEENS1_14UnaryOpFunctorIN3c104HalfELi1ELi1ELi0EEEJNS0_6TruncfIfEEEEEvT_T0_DpT1_.uses_vcc, 1
	.set _ZN2at6native12_GLOBAL__N_125multi_tensor_apply_kernelINS1_18TensorListMetadataILi1EEENS1_14UnaryOpFunctorIN3c104HalfELi1ELi1ELi0EEEJNS0_6TruncfIfEEEEEvT_T0_DpT1_.uses_flat_scratch, 0
	.set _ZN2at6native12_GLOBAL__N_125multi_tensor_apply_kernelINS1_18TensorListMetadataILi1EEENS1_14UnaryOpFunctorIN3c104HalfELi1ELi1ELi0EEEJNS0_6TruncfIfEEEEEvT_T0_DpT1_.has_dyn_sized_stack, 0
	.set _ZN2at6native12_GLOBAL__N_125multi_tensor_apply_kernelINS1_18TensorListMetadataILi1EEENS1_14UnaryOpFunctorIN3c104HalfELi1ELi1ELi0EEEJNS0_6TruncfIfEEEEEvT_T0_DpT1_.has_recursion, 0
	.set _ZN2at6native12_GLOBAL__N_125multi_tensor_apply_kernelINS1_18TensorListMetadataILi1EEENS1_14UnaryOpFunctorIN3c104HalfELi1ELi1ELi0EEEJNS0_6TruncfIfEEEEEvT_T0_DpT1_.has_indirect_call, 0
	.section	.AMDGPU.csdata,"",@progbits
; Kernel info:
; codeLenInByte = 960
; TotalNumSgprs: 22
; NumVgprs: 24
; ScratchSize: 0
; MemoryBound: 0
; FloatMode: 240
; IeeeMode: 1
; LDSByteSize: 0 bytes/workgroup (compile time only)
; SGPRBlocks: 0
; VGPRBlocks: 1
; NumSGPRsForWavesPerEU: 22
; NumVGPRsForWavesPerEU: 24
; NamedBarCnt: 0
; Occupancy: 16
; WaveLimiterHint : 0
; COMPUTE_PGM_RSRC2:SCRATCH_EN: 0
; COMPUTE_PGM_RSRC2:USER_SGPR: 2
; COMPUTE_PGM_RSRC2:TRAP_HANDLER: 0
; COMPUTE_PGM_RSRC2:TGID_X_EN: 1
; COMPUTE_PGM_RSRC2:TGID_Y_EN: 0
; COMPUTE_PGM_RSRC2:TGID_Z_EN: 0
; COMPUTE_PGM_RSRC2:TIDIG_COMP_CNT: 0
	.section	.text._ZN2at6native12_GLOBAL__N_125multi_tensor_apply_kernelINS1_18TensorListMetadataILi1EEENS1_14UnaryOpFunctorIN3c108BFloat16ELi1ELi1ELi0EEEJNS0_6TruncfIfEEEEEvT_T0_DpT1_,"axG",@progbits,_ZN2at6native12_GLOBAL__N_125multi_tensor_apply_kernelINS1_18TensorListMetadataILi1EEENS1_14UnaryOpFunctorIN3c108BFloat16ELi1ELi1ELi0EEEJNS0_6TruncfIfEEEEEvT_T0_DpT1_,comdat
	.globl	_ZN2at6native12_GLOBAL__N_125multi_tensor_apply_kernelINS1_18TensorListMetadataILi1EEENS1_14UnaryOpFunctorIN3c108BFloat16ELi1ELi1ELi0EEEJNS0_6TruncfIfEEEEEvT_T0_DpT1_ ; -- Begin function _ZN2at6native12_GLOBAL__N_125multi_tensor_apply_kernelINS1_18TensorListMetadataILi1EEENS1_14UnaryOpFunctorIN3c108BFloat16ELi1ELi1ELi0EEEJNS0_6TruncfIfEEEEEvT_T0_DpT1_
	.p2align	8
	.type	_ZN2at6native12_GLOBAL__N_125multi_tensor_apply_kernelINS1_18TensorListMetadataILi1EEENS1_14UnaryOpFunctorIN3c108BFloat16ELi1ELi1ELi0EEEJNS0_6TruncfIfEEEEEvT_T0_DpT1_,@function
_ZN2at6native12_GLOBAL__N_125multi_tensor_apply_kernelINS1_18TensorListMetadataILi1EEENS1_14UnaryOpFunctorIN3c108BFloat16ELi1ELi1ELi0EEEJNS0_6TruncfIfEEEEEvT_T0_DpT1_: ; @_ZN2at6native12_GLOBAL__N_125multi_tensor_apply_kernelINS1_18TensorListMetadataILi1EEENS1_14UnaryOpFunctorIN3c108BFloat16ELi1ELi1ELi0EEEJNS0_6TruncfIfEEEEEvT_T0_DpT1_
; %bb.0:
	s_bfe_u32 s2, ttmp6, 0x4000c
	s_and_b32 s3, ttmp6, 15
	s_add_co_i32 s2, s2, 1
	s_getreg_b32 s4, hwreg(HW_REG_IB_STS2, 6, 4)
	s_mul_i32 s2, ttmp9, s2
	s_delay_alu instid0(SALU_CYCLE_1)
	s_add_co_i32 s3, s3, s2
	s_cmp_eq_u32 s4, 0
	s_cselect_b32 s2, ttmp9, s3
	s_mov_b32 s3, 0
	s_load_u8 s8, s[0:1], s2 offset:0x6e0
	s_add_nc_u64 s[4:5], s[0:1], s[2:3]
	s_mul_u64 s[6:7], s[2:3], 3
	s_delay_alu instid0(SALU_CYCLE_1)
	s_add_nc_u64 s[4:5], s[4:5], s[6:7]
	s_load_b32 s10, s[4:5], 0x820
	s_wait_kmcnt 0x0
	s_clause 0x1
	s_load_b64 s[6:7], s[0:1], s8 offset:0x0 scale_offset
	s_load_b64 s[12:13], s[0:1], s8 offset:0x370 scale_offset
	s_ashr_i32 s11, s10, 31
	s_wait_kmcnt 0x0
	s_and_b64 s[4:5], s[6:7], 7
	s_and_b32 s2, s12, 3
	s_lshl_b64 s[8:9], s[10:11], 17
	s_or_b64 s[2:3], s[4:5], s[2:3]
	s_lshl_b64 s[4:5], s[10:11], 16
	s_cmp_eq_u64 s[2:3], 0
	s_sub_nc_u64 s[10:11], s[12:13], s[4:5]
	s_cbranch_scc1 .LBB23_21
; %bb.1:
	v_cmp_lt_i64_e64 s2, s[10:11], 1
	s_and_b32 vcc_lo, exec_lo, s2
	s_cbranch_vccnz .LBB23_20
; %bb.2:
	s_load_b32 s2, s[0:1], 0xd3c
	v_min_i64 v[2:3], 0x10000, s[10:11]
	v_min_u64 v[4:5], 0x10000, s[10:11]
	v_dual_mov_b32 v1, 0 :: v_dual_lshlrev_b32 v8, 1, v0
	s_mov_b32 s3, 0
	s_add_nc_u64 s[4:5], s[6:7], s[8:9]
	s_mov_b32 s15, s3
	s_delay_alu instid0(VALU_DEP_1)
	v_mov_b32_e32 v15, v1
	s_mov_b32 s17, s3
	s_mov_b32 s13, s3
	s_mov_b64 s[18:19], 0
	s_wait_kmcnt 0x0
	s_and_b32 s2, s2, 0xffff
	s_delay_alu instid0(SALU_CYCLE_1)
	v_add_nc_u64_e32 v[6:7], s[2:3], v[0:1]
	v_mov_b32_e32 v9, v1
	s_lshl_b32 s14, s2, 1
	s_mul_i32 s16, s2, 3
	v_add_nc_u64_e32 v[12:13], s[14:15], v[0:1]
	v_add_nc_u64_e32 v[10:11], s[16:17], v[0:1]
	s_lshl_b32 s12, s2, 2
	v_lshlrev_b32_e32 v14, 1, v6
	v_add_nc_u64_e32 v[8:9], s[4:5], v[8:9]
	s_lshl_b32 s14, s2, 3
	s_mul_u64 s[16:17], s[2:3], 6
	s_delay_alu instid0(VALU_DEP_2)
	v_add_nc_u64_e32 v[14:15], s[4:5], v[14:15]
	s_branch .LBB23_4
.LBB23_3:                               ;   in Loop: Header=BB23_4 Depth=1
	s_wait_xcnt 0x0
	s_or_b32 exec_lo, exec_lo, s2
	s_add_nc_u64 s[18:19], s[18:19], s[12:13]
	v_add_nc_u64_e32 v[8:9], s[14:15], v[8:9]
	v_cmp_lt_i64_e32 vcc_lo, s[18:19], v[2:3]
	v_add_nc_u64_e32 v[14:15], s[14:15], v[14:15]
	s_cbranch_vccz .LBB23_20
.LBB23_4:                               ; =>This Inner Loop Header: Depth=1
	v_add_nc_u64_e32 v[16:17], s[18:19], v[0:1]
	v_mov_b32_e32 v21, 0
	s_delay_alu instid0(VALU_DEP_2)
	v_cmp_lt_u64_e32 vcc_lo, v[16:17], v[4:5]
	s_and_saveexec_b32 s2, vcc_lo
	s_cbranch_execz .LBB23_6
; %bb.5:                                ;   in Loop: Header=BB23_4 Depth=1
	global_load_u16 v16, v[8:9], off
	s_wait_loadcnt 0x0
	v_lshlrev_b32_e32 v16, 16, v16
	s_delay_alu instid0(VALU_DEP_1)
	v_trunc_f32_e32 v21, v16
.LBB23_6:                               ;   in Loop: Header=BB23_4 Depth=1
	s_wait_xcnt 0x0
	s_or_b32 exec_lo, exec_lo, s2
	v_add_nc_u64_e32 v[16:17], s[18:19], v[6:7]
	v_dual_mov_b32 v20, 0 :: v_dual_mov_b32 v22, 0
	s_delay_alu instid0(VALU_DEP_2)
	v_cmp_lt_u64_e64 s2, v[16:17], v[4:5]
	s_and_saveexec_b32 s3, s2
	s_cbranch_execz .LBB23_8
; %bb.7:                                ;   in Loop: Header=BB23_4 Depth=1
	global_load_u16 v16, v[14:15], off
	s_wait_loadcnt 0x0
	v_lshlrev_b32_e32 v16, 16, v16
	s_delay_alu instid0(VALU_DEP_1)
	v_trunc_f32_e32 v22, v16
.LBB23_8:                               ;   in Loop: Header=BB23_4 Depth=1
	s_wait_xcnt 0x0
	s_or_b32 exec_lo, exec_lo, s3
	v_add_nc_u64_e32 v[16:17], s[18:19], v[12:13]
	s_delay_alu instid0(VALU_DEP_1)
	v_cmp_lt_u64_e64 s3, v[16:17], v[4:5]
	v_add_nc_u64_e32 v[16:17], s[12:13], v[8:9]
	s_and_saveexec_b32 s4, s3
	s_cbranch_execz .LBB23_10
; %bb.9:                                ;   in Loop: Header=BB23_4 Depth=1
	global_load_u16 v18, v[16:17], off
	s_wait_loadcnt 0x0
	v_lshlrev_b32_e32 v18, 16, v18
	s_delay_alu instid0(VALU_DEP_1)
	v_trunc_f32_e32 v20, v18
.LBB23_10:                              ;   in Loop: Header=BB23_4 Depth=1
	s_wait_xcnt 0x0
	s_or_b32 exec_lo, exec_lo, s4
	v_add_nc_u64_e32 v[18:19], s[18:19], v[10:11]
	v_mov_b32_e32 v23, 0
	s_delay_alu instid0(VALU_DEP_2)
	v_cmp_lt_u64_e64 s4, v[18:19], v[4:5]
	v_add_nc_u64_e32 v[18:19], s[16:17], v[8:9]
	s_and_saveexec_b32 s5, s4
	s_cbranch_execnz .LBB23_15
; %bb.11:                               ;   in Loop: Header=BB23_4 Depth=1
	s_or_b32 exec_lo, exec_lo, s5
	s_and_saveexec_b32 s5, vcc_lo
	s_cbranch_execnz .LBB23_16
.LBB23_12:                              ;   in Loop: Header=BB23_4 Depth=1
	s_or_b32 exec_lo, exec_lo, s5
	s_and_saveexec_b32 s5, s2
	s_cbranch_execnz .LBB23_17
.LBB23_13:                              ;   in Loop: Header=BB23_4 Depth=1
	s_or_b32 exec_lo, exec_lo, s5
	s_and_saveexec_b32 s2, s3
	s_cbranch_execnz .LBB23_18
.LBB23_14:                              ;   in Loop: Header=BB23_4 Depth=1
	s_or_b32 exec_lo, exec_lo, s2
	s_and_saveexec_b32 s2, s4
	s_cbranch_execz .LBB23_3
	s_branch .LBB23_19
.LBB23_15:                              ;   in Loop: Header=BB23_4 Depth=1
	global_load_u16 v23, v[18:19], off
	s_wait_loadcnt 0x0
	v_lshlrev_b32_e32 v23, 16, v23
	s_delay_alu instid0(VALU_DEP_1)
	v_trunc_f32_e32 v23, v23
	s_wait_xcnt 0x0
	s_or_b32 exec_lo, exec_lo, s5
	s_and_saveexec_b32 s5, vcc_lo
	s_cbranch_execz .LBB23_12
.LBB23_16:                              ;   in Loop: Header=BB23_4 Depth=1
	v_bfe_u32 v24, v21, 16, 1
	v_cmp_o_f32_e32 vcc_lo, v21, v21
	s_delay_alu instid0(VALU_DEP_2) | instskip(NEXT) | instid1(VALU_DEP_1)
	v_add3_u32 v24, v21, v24, 0x7fff
	v_lshrrev_b32_e32 v24, 16, v24
	s_delay_alu instid0(VALU_DEP_1)
	v_cndmask_b32_e32 v21, 0x7fc0, v24, vcc_lo
	global_store_b16 v[8:9], v21, off
	s_wait_xcnt 0x0
	s_or_b32 exec_lo, exec_lo, s5
	s_and_saveexec_b32 s5, s2
	s_cbranch_execz .LBB23_13
.LBB23_17:                              ;   in Loop: Header=BB23_4 Depth=1
	v_bfe_u32 v21, v22, 16, 1
	v_cmp_o_f32_e32 vcc_lo, v22, v22
	s_delay_alu instid0(VALU_DEP_2) | instskip(NEXT) | instid1(VALU_DEP_1)
	v_add3_u32 v21, v22, v21, 0x7fff
	v_lshrrev_b32_e32 v21, 16, v21
	s_delay_alu instid0(VALU_DEP_1)
	v_cndmask_b32_e32 v21, 0x7fc0, v21, vcc_lo
	global_store_b16 v[14:15], v21, off
	s_wait_xcnt 0x0
	s_or_b32 exec_lo, exec_lo, s5
	s_and_saveexec_b32 s2, s3
	s_cbranch_execz .LBB23_14
.LBB23_18:                              ;   in Loop: Header=BB23_4 Depth=1
	v_bfe_u32 v21, v20, 16, 1
	v_cmp_o_f32_e32 vcc_lo, v20, v20
	s_delay_alu instid0(VALU_DEP_2) | instskip(NEXT) | instid1(VALU_DEP_1)
	v_add3_u32 v21, v20, v21, 0x7fff
	v_lshrrev_b32_e32 v21, 16, v21
	s_delay_alu instid0(VALU_DEP_1)
	v_cndmask_b32_e32 v20, 0x7fc0, v21, vcc_lo
	global_store_b16 v[16:17], v20, off
	s_wait_xcnt 0x0
	s_or_b32 exec_lo, exec_lo, s2
	s_and_saveexec_b32 s2, s4
	s_cbranch_execz .LBB23_3
.LBB23_19:                              ;   in Loop: Header=BB23_4 Depth=1
	v_bfe_u32 v16, v23, 16, 1
	v_cmp_o_f32_e32 vcc_lo, v23, v23
	s_delay_alu instid0(VALU_DEP_2) | instskip(NEXT) | instid1(VALU_DEP_1)
	v_add3_u32 v16, v23, v16, 0x7fff
	v_lshrrev_b32_e32 v16, 16, v16
	s_delay_alu instid0(VALU_DEP_1)
	v_cndmask_b32_e32 v16, 0x7fc0, v16, vcc_lo
	global_store_b16 v[18:19], v16, off
	s_branch .LBB23_3
.LBB23_20:
	s_cbranch_execz .LBB23_22
	s_branch .LBB23_25
.LBB23_21:
.LBB23_22:
	v_min_i64 v[2:3], 0x10000, s[10:11]
	v_dual_mov_b32 v5, 0 :: v_dual_lshlrev_b32 v4, 2, v0
	s_mov_b32 s2, exec_lo
	s_delay_alu instid0(VALU_DEP_1)
	v_cmpx_lt_i64_e64 v[4:5], v[2:3]
	s_cbranch_execz .LBB23_25
; %bb.23:
	s_load_b32 s2, s[0:1], 0xd3c
	v_dual_mov_b32 v1, v5 :: v_dual_lshlrev_b32 v4, 3, v0
	s_wait_xcnt 0x0
	s_add_nc_u64 s[0:1], s[6:7], s[8:9]
	s_delay_alu instid0(VALU_DEP_1) | instid1(SALU_CYCLE_1)
	v_add_nc_u64_e32 v[4:5], s[0:1], v[4:5]
	s_mov_b32 s1, 0
	s_delay_alu instid0(SALU_CYCLE_1) | instskip(SKIP_3) | instid1(SALU_CYCLE_1)
	s_mov_b32 s3, s1
	s_mov_b32 s4, s1
	s_wait_kmcnt 0x0
	s_and_b32 s0, s2, 0xffff
	s_lshl_b32 s2, s0, 3
.LBB23_24:                              ; =>This Inner Loop Header: Depth=1
	global_load_b64 v[6:7], v[4:5], off
	v_add_nc_u64_e32 v[0:1], s[0:1], v[0:1]
	s_wait_loadcnt 0x0
	v_and_b32_e32 v9, 0xffff0000, v6
	v_alignbit_b32 v8, v7, v6, 16
	v_lshlrev_b32_e32 v6, 16, v6
	v_and_b32_e32 v7, 0xffff0000, v7
	s_delay_alu instid0(VALU_DEP_4) | instskip(NEXT) | instid1(VALU_DEP_4)
	v_trunc_f32_e32 v9, v9
	v_and_b32_e32 v8, 0xffff0000, v8
	s_delay_alu instid0(VALU_DEP_4) | instskip(NEXT) | instid1(VALU_DEP_4)
	v_trunc_f32_e32 v6, v6
	v_trunc_f32_e32 v7, v7
	s_delay_alu instid0(VALU_DEP_4) | instskip(NEXT) | instid1(VALU_DEP_4)
	v_bfe_u32 v10, v9, 16, 1
	v_trunc_f32_e32 v8, v8
	s_delay_alu instid0(VALU_DEP_4) | instskip(NEXT) | instid1(VALU_DEP_4)
	v_bfe_u32 v11, v6, 16, 1
	v_bfe_u32 v12, v7, 16, 1
	v_cmp_o_f32_e32 vcc_lo, v9, v9
	v_add3_u32 v10, v9, v10, 0x7fff
	v_bfe_u32 v13, v8, 16, 1
	v_add3_u32 v11, v6, v11, 0x7fff
	v_add3_u32 v12, v7, v12, 0x7fff
	s_delay_alu instid0(VALU_DEP_4) | instskip(NEXT) | instid1(VALU_DEP_4)
	v_and_b32_e32 v10, 0xffff0000, v10
	v_add3_u32 v13, v8, v13, 0x7fff
	s_delay_alu instid0(VALU_DEP_4) | instskip(NEXT) | instid1(VALU_DEP_4)
	v_lshrrev_b32_e32 v11, 16, v11
	v_and_b32_e32 v12, 0xffff0000, v12
	s_delay_alu instid0(VALU_DEP_4) | instskip(SKIP_1) | instid1(VALU_DEP_4)
	v_cndmask_b32_e32 v9, 0x7fc00000, v10, vcc_lo
	v_cmp_o_f32_e32 vcc_lo, v6, v6
	v_dual_cndmask_b32 v6, 0x7fc0, v11 :: v_dual_lshrrev_b32 v13, 16, v13
	v_cmp_o_f32_e32 vcc_lo, v7, v7
	s_delay_alu instid0(VALU_DEP_2) | instskip(SKIP_4) | instid1(VALU_DEP_2)
	v_or_b32_e32 v11, v6, v9
	v_cndmask_b32_e32 v10, 0x7fc00000, v12, vcc_lo
	v_cmp_o_f32_e32 vcc_lo, v8, v8
	v_lshlrev_b64_e32 v[6:7], 2, v[0:1]
	v_cndmask_b32_e32 v8, 0x7fc0, v13, vcc_lo
	v_cmp_ge_i64_e32 vcc_lo, v[6:7], v[2:3]
	s_delay_alu instid0(VALU_DEP_2)
	v_or3_b32 v9, 0, v8, v10
	v_or3_b32 v8, v11, 0, 0
	s_or_b32 s4, vcc_lo, s4
	global_store_b64 v[4:5], v[8:9], off
	s_wait_xcnt 0x0
	v_add_nc_u64_e32 v[4:5], s[2:3], v[4:5]
	s_and_not1_b32 exec_lo, exec_lo, s4
	s_cbranch_execnz .LBB23_24
.LBB23_25:
	s_endpgm
	.section	.rodata,"a",@progbits
	.p2align	6, 0x0
	.amdhsa_kernel _ZN2at6native12_GLOBAL__N_125multi_tensor_apply_kernelINS1_18TensorListMetadataILi1EEENS1_14UnaryOpFunctorIN3c108BFloat16ELi1ELi1ELi0EEEJNS0_6TruncfIfEEEEEvT_T0_DpT1_
		.amdhsa_group_segment_fixed_size 0
		.amdhsa_private_segment_fixed_size 0
		.amdhsa_kernarg_size 3632
		.amdhsa_user_sgpr_count 2
		.amdhsa_user_sgpr_dispatch_ptr 0
		.amdhsa_user_sgpr_queue_ptr 0
		.amdhsa_user_sgpr_kernarg_segment_ptr 1
		.amdhsa_user_sgpr_dispatch_id 0
		.amdhsa_user_sgpr_kernarg_preload_length 0
		.amdhsa_user_sgpr_kernarg_preload_offset 0
		.amdhsa_user_sgpr_private_segment_size 0
		.amdhsa_wavefront_size32 1
		.amdhsa_uses_dynamic_stack 0
		.amdhsa_enable_private_segment 0
		.amdhsa_system_sgpr_workgroup_id_x 1
		.amdhsa_system_sgpr_workgroup_id_y 0
		.amdhsa_system_sgpr_workgroup_id_z 0
		.amdhsa_system_sgpr_workgroup_info 0
		.amdhsa_system_vgpr_workitem_id 0
		.amdhsa_next_free_vgpr 25
		.amdhsa_next_free_sgpr 20
		.amdhsa_named_barrier_count 0
		.amdhsa_reserve_vcc 1
		.amdhsa_float_round_mode_32 0
		.amdhsa_float_round_mode_16_64 0
		.amdhsa_float_denorm_mode_32 3
		.amdhsa_float_denorm_mode_16_64 3
		.amdhsa_fp16_overflow 0
		.amdhsa_memory_ordered 1
		.amdhsa_forward_progress 1
		.amdhsa_inst_pref_size 11
		.amdhsa_round_robin_scheduling 0
		.amdhsa_exception_fp_ieee_invalid_op 0
		.amdhsa_exception_fp_denorm_src 0
		.amdhsa_exception_fp_ieee_div_zero 0
		.amdhsa_exception_fp_ieee_overflow 0
		.amdhsa_exception_fp_ieee_underflow 0
		.amdhsa_exception_fp_ieee_inexact 0
		.amdhsa_exception_int_div_zero 0
	.end_amdhsa_kernel
	.section	.text._ZN2at6native12_GLOBAL__N_125multi_tensor_apply_kernelINS1_18TensorListMetadataILi1EEENS1_14UnaryOpFunctorIN3c108BFloat16ELi1ELi1ELi0EEEJNS0_6TruncfIfEEEEEvT_T0_DpT1_,"axG",@progbits,_ZN2at6native12_GLOBAL__N_125multi_tensor_apply_kernelINS1_18TensorListMetadataILi1EEENS1_14UnaryOpFunctorIN3c108BFloat16ELi1ELi1ELi0EEEJNS0_6TruncfIfEEEEEvT_T0_DpT1_,comdat
.Lfunc_end23:
	.size	_ZN2at6native12_GLOBAL__N_125multi_tensor_apply_kernelINS1_18TensorListMetadataILi1EEENS1_14UnaryOpFunctorIN3c108BFloat16ELi1ELi1ELi0EEEJNS0_6TruncfIfEEEEEvT_T0_DpT1_, .Lfunc_end23-_ZN2at6native12_GLOBAL__N_125multi_tensor_apply_kernelINS1_18TensorListMetadataILi1EEENS1_14UnaryOpFunctorIN3c108BFloat16ELi1ELi1ELi0EEEJNS0_6TruncfIfEEEEEvT_T0_DpT1_
                                        ; -- End function
	.set _ZN2at6native12_GLOBAL__N_125multi_tensor_apply_kernelINS1_18TensorListMetadataILi1EEENS1_14UnaryOpFunctorIN3c108BFloat16ELi1ELi1ELi0EEEJNS0_6TruncfIfEEEEEvT_T0_DpT1_.num_vgpr, 25
	.set _ZN2at6native12_GLOBAL__N_125multi_tensor_apply_kernelINS1_18TensorListMetadataILi1EEENS1_14UnaryOpFunctorIN3c108BFloat16ELi1ELi1ELi0EEEJNS0_6TruncfIfEEEEEvT_T0_DpT1_.num_agpr, 0
	.set _ZN2at6native12_GLOBAL__N_125multi_tensor_apply_kernelINS1_18TensorListMetadataILi1EEENS1_14UnaryOpFunctorIN3c108BFloat16ELi1ELi1ELi0EEEJNS0_6TruncfIfEEEEEvT_T0_DpT1_.numbered_sgpr, 20
	.set _ZN2at6native12_GLOBAL__N_125multi_tensor_apply_kernelINS1_18TensorListMetadataILi1EEENS1_14UnaryOpFunctorIN3c108BFloat16ELi1ELi1ELi0EEEJNS0_6TruncfIfEEEEEvT_T0_DpT1_.num_named_barrier, 0
	.set _ZN2at6native12_GLOBAL__N_125multi_tensor_apply_kernelINS1_18TensorListMetadataILi1EEENS1_14UnaryOpFunctorIN3c108BFloat16ELi1ELi1ELi0EEEJNS0_6TruncfIfEEEEEvT_T0_DpT1_.private_seg_size, 0
	.set _ZN2at6native12_GLOBAL__N_125multi_tensor_apply_kernelINS1_18TensorListMetadataILi1EEENS1_14UnaryOpFunctorIN3c108BFloat16ELi1ELi1ELi0EEEJNS0_6TruncfIfEEEEEvT_T0_DpT1_.uses_vcc, 1
	.set _ZN2at6native12_GLOBAL__N_125multi_tensor_apply_kernelINS1_18TensorListMetadataILi1EEENS1_14UnaryOpFunctorIN3c108BFloat16ELi1ELi1ELi0EEEJNS0_6TruncfIfEEEEEvT_T0_DpT1_.uses_flat_scratch, 0
	.set _ZN2at6native12_GLOBAL__N_125multi_tensor_apply_kernelINS1_18TensorListMetadataILi1EEENS1_14UnaryOpFunctorIN3c108BFloat16ELi1ELi1ELi0EEEJNS0_6TruncfIfEEEEEvT_T0_DpT1_.has_dyn_sized_stack, 0
	.set _ZN2at6native12_GLOBAL__N_125multi_tensor_apply_kernelINS1_18TensorListMetadataILi1EEENS1_14UnaryOpFunctorIN3c108BFloat16ELi1ELi1ELi0EEEJNS0_6TruncfIfEEEEEvT_T0_DpT1_.has_recursion, 0
	.set _ZN2at6native12_GLOBAL__N_125multi_tensor_apply_kernelINS1_18TensorListMetadataILi1EEENS1_14UnaryOpFunctorIN3c108BFloat16ELi1ELi1ELi0EEEJNS0_6TruncfIfEEEEEvT_T0_DpT1_.has_indirect_call, 0
	.section	.AMDGPU.csdata,"",@progbits
; Kernel info:
; codeLenInByte = 1364
; TotalNumSgprs: 22
; NumVgprs: 25
; ScratchSize: 0
; MemoryBound: 0
; FloatMode: 240
; IeeeMode: 1
; LDSByteSize: 0 bytes/workgroup (compile time only)
; SGPRBlocks: 0
; VGPRBlocks: 1
; NumSGPRsForWavesPerEU: 22
; NumVGPRsForWavesPerEU: 25
; NamedBarCnt: 0
; Occupancy: 16
; WaveLimiterHint : 0
; COMPUTE_PGM_RSRC2:SCRATCH_EN: 0
; COMPUTE_PGM_RSRC2:USER_SGPR: 2
; COMPUTE_PGM_RSRC2:TRAP_HANDLER: 0
; COMPUTE_PGM_RSRC2:TGID_X_EN: 1
; COMPUTE_PGM_RSRC2:TGID_Y_EN: 0
; COMPUTE_PGM_RSRC2:TGID_Z_EN: 0
; COMPUTE_PGM_RSRC2:TIDIG_COMP_CNT: 0
	.section	.text._ZN2at6native12_GLOBAL__N_125multi_tensor_apply_kernelINS1_18TensorListMetadataILi2EEENS1_14UnaryOpFunctorIdLi2ELi1ELi1EEEJNS0_5FloorIdEEEEEvT_T0_DpT1_,"axG",@progbits,_ZN2at6native12_GLOBAL__N_125multi_tensor_apply_kernelINS1_18TensorListMetadataILi2EEENS1_14UnaryOpFunctorIdLi2ELi1ELi1EEEJNS0_5FloorIdEEEEEvT_T0_DpT1_,comdat
	.globl	_ZN2at6native12_GLOBAL__N_125multi_tensor_apply_kernelINS1_18TensorListMetadataILi2EEENS1_14UnaryOpFunctorIdLi2ELi1ELi1EEEJNS0_5FloorIdEEEEEvT_T0_DpT1_ ; -- Begin function _ZN2at6native12_GLOBAL__N_125multi_tensor_apply_kernelINS1_18TensorListMetadataILi2EEENS1_14UnaryOpFunctorIdLi2ELi1ELi1EEEJNS0_5FloorIdEEEEEvT_T0_DpT1_
	.p2align	8
	.type	_ZN2at6native12_GLOBAL__N_125multi_tensor_apply_kernelINS1_18TensorListMetadataILi2EEENS1_14UnaryOpFunctorIdLi2ELi1ELi1EEEJNS0_5FloorIdEEEEEvT_T0_DpT1_,@function
_ZN2at6native12_GLOBAL__N_125multi_tensor_apply_kernelINS1_18TensorListMetadataILi2EEENS1_14UnaryOpFunctorIdLi2ELi1ELi1EEEJNS0_5FloorIdEEEEEvT_T0_DpT1_: ; @_ZN2at6native12_GLOBAL__N_125multi_tensor_apply_kernelINS1_18TensorListMetadataILi2EEENS1_14UnaryOpFunctorIdLi2ELi1ELi1EEEJNS0_5FloorIdEEEEEvT_T0_DpT1_
; %bb.0:
	s_bfe_u32 s2, ttmp6, 0x4000c
	s_and_b32 s3, ttmp6, 15
	s_add_co_i32 s2, s2, 1
	s_getreg_b32 s4, hwreg(HW_REG_IB_STS2, 6, 4)
	s_mul_i32 s2, ttmp9, s2
	s_mov_b32 s9, 0
	s_add_co_i32 s3, s3, s2
	s_cmp_eq_u32 s4, 0
	s_mov_b32 s15, s9
	s_cselect_b32 s8, ttmp9, s3
	s_load_u8 s11, s[0:1], s8 offset:0x600
	s_add_nc_u64 s[2:3], s[0:1], s[8:9]
	s_mul_u64 s[4:5], s[8:9], 3
	s_delay_alu instid0(SALU_CYCLE_1)
	s_add_nc_u64 s[4:5], s[2:3], s[4:5]
	s_load_b32 s10, s[4:5], 0x740
	s_wait_kmcnt 0x0
	s_clause 0x2
	s_load_b64 s[2:3], s[0:1], s11 offset:0x0 scale_offset
	s_load_b64 s[6:7], s[0:1], s11 offset:0x200 scale_offset
	;; [unrolled: 1-line block ×3, first 2 shown]
	s_wait_xcnt 0x0
	s_ashr_i32 s11, s10, 31
	s_delay_alu instid0(SALU_CYCLE_1)
	s_lshl_b64 s[4:5], s[10:11], 19
	s_wait_kmcnt 0x0
	s_and_b64 s[18:19], s[6:7], 31
	s_add_nc_u64 s[16:17], s[2:3], s[4:5]
	s_and_b32 s14, s12, 3
	s_and_b32 s8, s16, 31
	s_or_b64 s[14:15], s[18:19], s[14:15]
	s_lshl_b64 s[10:11], s[10:11], 16
	s_or_b64 s[14:15], s[14:15], s[8:9]
	s_sub_nc_u64 s[8:9], s[12:13], s[10:11]
	s_cmp_eq_u64 s[14:15], 0
	s_mov_b32 s10, -1
	s_cbranch_scc0 .LBB24_5
; %bb.1:
	v_min_i64 v[2:3], 0x10000, s[8:9]
	v_dual_mov_b32 v5, 0 :: v_dual_lshlrev_b32 v4, 2, v0
	s_mov_b32 s14, exec_lo
	s_delay_alu instid0(VALU_DEP_1)
	v_cmpx_lt_i64_e64 v[4:5], v[2:3]
	s_cbranch_execz .LBB24_4
; %bb.2:
	s_load_b32 s10, s[0:1], 0xc5c
	v_dual_mov_b32 v1, v5 :: v_dual_lshlrev_b32 v4, 5, v0
	s_mov_b32 s11, 0
	s_delay_alu instid0(SALU_CYCLE_1) | instskip(NEXT) | instid1(VALU_DEP_1)
	s_mov_b32 s13, s11
	v_add_nc_u64_e32 v[4:5], s[4:5], v[4:5]
	s_delay_alu instid0(VALU_DEP_2) | instskip(SKIP_3) | instid1(SALU_CYCLE_1)
	v_mov_b64_e32 v[6:7], v[0:1]
	s_mov_b32 s15, s11
	s_wait_kmcnt 0x0
	s_and_b32 s10, s10, 0xffff
	s_lshl_b32 s12, s10, 5
.LBB24_3:                               ; =>This Inner Loop Header: Depth=1
	s_delay_alu instid0(VALU_DEP_2) | instskip(NEXT) | instid1(VALU_DEP_2)
	v_add_nc_u64_e32 v[16:17], s[2:3], v[4:5]
	v_add_nc_u64_e32 v[6:7], s[10:11], v[6:7]
	s_clause 0x1
	global_load_b128 v[8:11], v[16:17], off
	global_load_b128 v[12:15], v[16:17], off offset:16
	s_wait_xcnt 0x0
	v_lshlrev_b64_e32 v[16:17], 2, v[6:7]
	s_delay_alu instid0(VALU_DEP_1)
	v_cmp_ge_i64_e32 vcc_lo, v[16:17], v[2:3]
	v_add_nc_u64_e32 v[16:17], s[6:7], v[4:5]
	v_add_nc_u64_e32 v[4:5], s[12:13], v[4:5]
	s_or_b32 s15, vcc_lo, s15
	s_wait_loadcnt 0x1
	v_floor_f64_e32 v[8:9], v[8:9]
	v_floor_f64_e32 v[10:11], v[10:11]
	s_wait_loadcnt 0x0
	v_floor_f64_e32 v[12:13], v[12:13]
	v_floor_f64_e32 v[14:15], v[14:15]
	s_clause 0x1
	global_store_b128 v[16:17], v[8:11], off
	global_store_b128 v[16:17], v[12:15], off offset:16
	s_wait_xcnt 0x0
	s_and_not1_b32 exec_lo, exec_lo, s15
	s_cbranch_execnz .LBB24_3
.LBB24_4:
	s_or_b32 exec_lo, exec_lo, s14
	s_mov_b32 s10, 0
.LBB24_5:
	s_delay_alu instid0(SALU_CYCLE_1)
	s_and_not1_b32 vcc_lo, exec_lo, s10
	s_cbranch_vccnz .LBB24_25
; %bb.6:
	v_cmp_lt_i64_e64 s10, s[8:9], 1
	s_and_b32 vcc_lo, exec_lo, s10
	s_cbranch_vccnz .LBB24_25
; %bb.7:
	s_load_b32 s0, s[0:1], 0xc5c
	v_min_i64 v[2:3], 0x10000, s[8:9]
	v_min_u64 v[4:5], 0x10000, s[8:9]
	v_dual_mov_b32 v1, 0 :: v_dual_lshlrev_b32 v10, 3, v0
	s_mov_b32 s9, 0
	s_delay_alu instid0(SALU_CYCLE_1) | instskip(NEXT) | instid1(VALU_DEP_1)
	s_mov_b32 s13, s9
	v_dual_mov_b32 v11, v1 :: v_dual_mov_b32 v27, v1
	s_wait_xcnt 0x0
	s_mov_b32 s1, s9
	s_mov_b32 s11, s9
	s_delay_alu instid0(VALU_DEP_1) | instskip(SKIP_2) | instid1(SALU_CYCLE_1)
	v_add_nc_u64_e32 v[6:7], s[2:3], v[10:11]
	s_wait_kmcnt 0x0
	s_and_b32 s8, s0, 0xffff
	v_add_nc_u64_e32 v[8:9], s[8:9], v[0:1]
	v_mad_nc_u64_u32 v[22:23], s8, 24, v[10:11]
	s_lshl_b32 s12, s8, 4
	s_mul_i32 s10, s8, 3
	v_add_nc_u64_e32 v[18:19], s[12:13], v[10:11]
	s_lshl_b32 s0, s8, 1
	v_add_nc_u64_e32 v[10:11], s[6:7], v[10:11]
	v_lshlrev_b32_e32 v26, 3, v8
	v_add_nc_u64_e32 v[12:13], s[10:11], v[0:1]
	v_add_nc_u64_e32 v[14:15], s[0:1], v[0:1]
	s_mov_b64 s[10:11], 0
	v_add_nc_u64_e32 v[16:17], s[2:3], v[18:19]
	v_add_nc_u64_e32 v[18:19], s[6:7], v[18:19]
	;; [unrolled: 1-line block ×6, first 2 shown]
	s_lshl_b32 s6, s8, 2
	s_mov_b32 s7, s9
	s_lshl_b32 s8, s8, 5
	s_branch .LBB24_9
.LBB24_8:                               ;   in Loop: Header=BB24_9 Depth=1
	s_wait_xcnt 0x0
	s_or_b32 exec_lo, exec_lo, s0
	s_add_nc_u64 s[10:11], s[10:11], s[6:7]
	v_add_nc_u64_e32 v[6:7], s[8:9], v[6:7]
	v_cmp_ge_i64_e32 vcc_lo, s[10:11], v[2:3]
	v_add_nc_u64_e32 v[10:11], s[8:9], v[10:11]
	v_add_nc_u64_e32 v[20:21], s[8:9], v[20:21]
	;; [unrolled: 1-line block ×7, first 2 shown]
	s_cbranch_vccnz .LBB24_25
.LBB24_9:                               ; =>This Inner Loop Header: Depth=1
	v_add_nc_u64_e32 v[30:31], s[10:11], v[0:1]
	v_mov_b64_e32 v[28:29], 0
	s_delay_alu instid0(VALU_DEP_2)
	v_cmp_lt_u64_e32 vcc_lo, v[30:31], v[4:5]
	v_mov_b64_e32 v[30:31], 0
	s_and_saveexec_b32 s0, vcc_lo
	s_cbranch_execz .LBB24_11
; %bb.10:                               ;   in Loop: Header=BB24_9 Depth=1
	v_add_nc_u64_e32 v[30:31], s[4:5], v[6:7]
	global_load_b64 v[30:31], v[30:31], off
	s_wait_loadcnt 0x0
	v_floor_f64_e32 v[30:31], v[30:31]
.LBB24_11:                              ;   in Loop: Header=BB24_9 Depth=1
	s_or_b32 exec_lo, exec_lo, s0
	v_add_nc_u64_e32 v[32:33], s[10:11], v[8:9]
	s_delay_alu instid0(VALU_DEP_1)
	v_cmp_lt_u64_e64 s0, v[32:33], v[4:5]
	s_and_saveexec_b32 s1, s0
	s_cbranch_execz .LBB24_13
; %bb.12:                               ;   in Loop: Header=BB24_9 Depth=1
	v_add_nc_u64_e32 v[28:29], s[4:5], v[24:25]
	global_load_b64 v[28:29], v[28:29], off
	s_wait_loadcnt 0x0
	v_floor_f64_e32 v[28:29], v[28:29]
.LBB24_13:                              ;   in Loop: Header=BB24_9 Depth=1
	s_or_b32 exec_lo, exec_lo, s1
	v_add_nc_u64_e32 v[34:35], s[10:11], v[14:15]
	v_mov_b64_e32 v[32:33], 0
	s_delay_alu instid0(VALU_DEP_2)
	v_cmp_lt_u64_e64 s1, v[34:35], v[4:5]
	v_mov_b64_e32 v[34:35], 0
	s_and_saveexec_b32 s2, s1
	s_cbranch_execz .LBB24_15
; %bb.14:                               ;   in Loop: Header=BB24_9 Depth=1
	v_add_nc_u64_e32 v[34:35], s[4:5], v[16:17]
	global_load_b64 v[34:35], v[34:35], off
	s_wait_loadcnt 0x0
	v_floor_f64_e32 v[34:35], v[34:35]
.LBB24_15:                              ;   in Loop: Header=BB24_9 Depth=1
	s_or_b32 exec_lo, exec_lo, s2
	v_add_nc_u64_e32 v[36:37], s[10:11], v[12:13]
	s_delay_alu instid0(VALU_DEP_1)
	v_cmp_lt_u64_e64 s2, v[36:37], v[4:5]
	s_and_saveexec_b32 s3, s2
	s_cbranch_execnz .LBB24_20
; %bb.16:                               ;   in Loop: Header=BB24_9 Depth=1
	s_or_b32 exec_lo, exec_lo, s3
	s_and_saveexec_b32 s3, vcc_lo
	s_cbranch_execnz .LBB24_21
.LBB24_17:                              ;   in Loop: Header=BB24_9 Depth=1
	s_or_b32 exec_lo, exec_lo, s3
	s_and_saveexec_b32 s3, s0
	s_cbranch_execnz .LBB24_22
.LBB24_18:                              ;   in Loop: Header=BB24_9 Depth=1
	s_or_b32 exec_lo, exec_lo, s3
	s_and_saveexec_b32 s0, s1
	s_cbranch_execnz .LBB24_23
.LBB24_19:                              ;   in Loop: Header=BB24_9 Depth=1
	s_or_b32 exec_lo, exec_lo, s0
	s_and_saveexec_b32 s0, s2
	s_cbranch_execz .LBB24_8
	s_branch .LBB24_24
.LBB24_20:                              ;   in Loop: Header=BB24_9 Depth=1
	v_add_nc_u64_e32 v[32:33], s[4:5], v[20:21]
	global_load_b64 v[32:33], v[32:33], off
	s_wait_loadcnt 0x0
	v_floor_f64_e32 v[32:33], v[32:33]
	s_or_b32 exec_lo, exec_lo, s3
	s_and_saveexec_b32 s3, vcc_lo
	s_cbranch_execz .LBB24_17
.LBB24_21:                              ;   in Loop: Header=BB24_9 Depth=1
	v_add_nc_u64_e32 v[36:37], s[4:5], v[10:11]
	global_store_b64 v[36:37], v[30:31], off
	s_wait_xcnt 0x0
	s_or_b32 exec_lo, exec_lo, s3
	s_and_saveexec_b32 s3, s0
	s_cbranch_execz .LBB24_18
.LBB24_22:                              ;   in Loop: Header=BB24_9 Depth=1
	v_add_nc_u64_e32 v[30:31], s[4:5], v[26:27]
	global_store_b64 v[30:31], v[28:29], off
	s_wait_xcnt 0x0
	s_or_b32 exec_lo, exec_lo, s3
	s_and_saveexec_b32 s0, s1
	s_cbranch_execz .LBB24_19
.LBB24_23:                              ;   in Loop: Header=BB24_9 Depth=1
	v_add_nc_u64_e32 v[28:29], s[4:5], v[18:19]
	global_store_b64 v[28:29], v[34:35], off
	s_wait_xcnt 0x0
	s_or_b32 exec_lo, exec_lo, s0
	s_and_saveexec_b32 s0, s2
	s_cbranch_execz .LBB24_8
.LBB24_24:                              ;   in Loop: Header=BB24_9 Depth=1
	v_add_nc_u64_e32 v[28:29], s[4:5], v[22:23]
	global_store_b64 v[28:29], v[32:33], off
	s_branch .LBB24_8
.LBB24_25:
	s_endpgm
	.section	.rodata,"a",@progbits
	.p2align	6, 0x0
	.amdhsa_kernel _ZN2at6native12_GLOBAL__N_125multi_tensor_apply_kernelINS1_18TensorListMetadataILi2EEENS1_14UnaryOpFunctorIdLi2ELi1ELi1EEEJNS0_5FloorIdEEEEEvT_T0_DpT1_
		.amdhsa_group_segment_fixed_size 0
		.amdhsa_private_segment_fixed_size 0
		.amdhsa_kernarg_size 3408
		.amdhsa_user_sgpr_count 2
		.amdhsa_user_sgpr_dispatch_ptr 0
		.amdhsa_user_sgpr_queue_ptr 0
		.amdhsa_user_sgpr_kernarg_segment_ptr 1
		.amdhsa_user_sgpr_dispatch_id 0
		.amdhsa_user_sgpr_kernarg_preload_length 0
		.amdhsa_user_sgpr_kernarg_preload_offset 0
		.amdhsa_user_sgpr_private_segment_size 0
		.amdhsa_wavefront_size32 1
		.amdhsa_uses_dynamic_stack 0
		.amdhsa_enable_private_segment 0
		.amdhsa_system_sgpr_workgroup_id_x 1
		.amdhsa_system_sgpr_workgroup_id_y 0
		.amdhsa_system_sgpr_workgroup_id_z 0
		.amdhsa_system_sgpr_workgroup_info 0
		.amdhsa_system_vgpr_workitem_id 0
		.amdhsa_next_free_vgpr 38
		.amdhsa_next_free_sgpr 20
		.amdhsa_named_barrier_count 0
		.amdhsa_reserve_vcc 1
		.amdhsa_float_round_mode_32 0
		.amdhsa_float_round_mode_16_64 0
		.amdhsa_float_denorm_mode_32 3
		.amdhsa_float_denorm_mode_16_64 3
		.amdhsa_fp16_overflow 0
		.amdhsa_memory_ordered 1
		.amdhsa_forward_progress 1
		.amdhsa_inst_pref_size 9
		.amdhsa_round_robin_scheduling 0
		.amdhsa_exception_fp_ieee_invalid_op 0
		.amdhsa_exception_fp_denorm_src 0
		.amdhsa_exception_fp_ieee_div_zero 0
		.amdhsa_exception_fp_ieee_overflow 0
		.amdhsa_exception_fp_ieee_underflow 0
		.amdhsa_exception_fp_ieee_inexact 0
		.amdhsa_exception_int_div_zero 0
	.end_amdhsa_kernel
	.section	.text._ZN2at6native12_GLOBAL__N_125multi_tensor_apply_kernelINS1_18TensorListMetadataILi2EEENS1_14UnaryOpFunctorIdLi2ELi1ELi1EEEJNS0_5FloorIdEEEEEvT_T0_DpT1_,"axG",@progbits,_ZN2at6native12_GLOBAL__N_125multi_tensor_apply_kernelINS1_18TensorListMetadataILi2EEENS1_14UnaryOpFunctorIdLi2ELi1ELi1EEEJNS0_5FloorIdEEEEEvT_T0_DpT1_,comdat
.Lfunc_end24:
	.size	_ZN2at6native12_GLOBAL__N_125multi_tensor_apply_kernelINS1_18TensorListMetadataILi2EEENS1_14UnaryOpFunctorIdLi2ELi1ELi1EEEJNS0_5FloorIdEEEEEvT_T0_DpT1_, .Lfunc_end24-_ZN2at6native12_GLOBAL__N_125multi_tensor_apply_kernelINS1_18TensorListMetadataILi2EEENS1_14UnaryOpFunctorIdLi2ELi1ELi1EEEJNS0_5FloorIdEEEEEvT_T0_DpT1_
                                        ; -- End function
	.set _ZN2at6native12_GLOBAL__N_125multi_tensor_apply_kernelINS1_18TensorListMetadataILi2EEENS1_14UnaryOpFunctorIdLi2ELi1ELi1EEEJNS0_5FloorIdEEEEEvT_T0_DpT1_.num_vgpr, 38
	.set _ZN2at6native12_GLOBAL__N_125multi_tensor_apply_kernelINS1_18TensorListMetadataILi2EEENS1_14UnaryOpFunctorIdLi2ELi1ELi1EEEJNS0_5FloorIdEEEEEvT_T0_DpT1_.num_agpr, 0
	.set _ZN2at6native12_GLOBAL__N_125multi_tensor_apply_kernelINS1_18TensorListMetadataILi2EEENS1_14UnaryOpFunctorIdLi2ELi1ELi1EEEJNS0_5FloorIdEEEEEvT_T0_DpT1_.numbered_sgpr, 20
	.set _ZN2at6native12_GLOBAL__N_125multi_tensor_apply_kernelINS1_18TensorListMetadataILi2EEENS1_14UnaryOpFunctorIdLi2ELi1ELi1EEEJNS0_5FloorIdEEEEEvT_T0_DpT1_.num_named_barrier, 0
	.set _ZN2at6native12_GLOBAL__N_125multi_tensor_apply_kernelINS1_18TensorListMetadataILi2EEENS1_14UnaryOpFunctorIdLi2ELi1ELi1EEEJNS0_5FloorIdEEEEEvT_T0_DpT1_.private_seg_size, 0
	.set _ZN2at6native12_GLOBAL__N_125multi_tensor_apply_kernelINS1_18TensorListMetadataILi2EEENS1_14UnaryOpFunctorIdLi2ELi1ELi1EEEJNS0_5FloorIdEEEEEvT_T0_DpT1_.uses_vcc, 1
	.set _ZN2at6native12_GLOBAL__N_125multi_tensor_apply_kernelINS1_18TensorListMetadataILi2EEENS1_14UnaryOpFunctorIdLi2ELi1ELi1EEEJNS0_5FloorIdEEEEEvT_T0_DpT1_.uses_flat_scratch, 0
	.set _ZN2at6native12_GLOBAL__N_125multi_tensor_apply_kernelINS1_18TensorListMetadataILi2EEENS1_14UnaryOpFunctorIdLi2ELi1ELi1EEEJNS0_5FloorIdEEEEEvT_T0_DpT1_.has_dyn_sized_stack, 0
	.set _ZN2at6native12_GLOBAL__N_125multi_tensor_apply_kernelINS1_18TensorListMetadataILi2EEENS1_14UnaryOpFunctorIdLi2ELi1ELi1EEEJNS0_5FloorIdEEEEEvT_T0_DpT1_.has_recursion, 0
	.set _ZN2at6native12_GLOBAL__N_125multi_tensor_apply_kernelINS1_18TensorListMetadataILi2EEENS1_14UnaryOpFunctorIdLi2ELi1ELi1EEEJNS0_5FloorIdEEEEEvT_T0_DpT1_.has_indirect_call, 0
	.section	.AMDGPU.csdata,"",@progbits
; Kernel info:
; codeLenInByte = 1076
; TotalNumSgprs: 22
; NumVgprs: 38
; ScratchSize: 0
; MemoryBound: 0
; FloatMode: 240
; IeeeMode: 1
; LDSByteSize: 0 bytes/workgroup (compile time only)
; SGPRBlocks: 0
; VGPRBlocks: 2
; NumSGPRsForWavesPerEU: 22
; NumVGPRsForWavesPerEU: 38
; NamedBarCnt: 0
; Occupancy: 16
; WaveLimiterHint : 0
; COMPUTE_PGM_RSRC2:SCRATCH_EN: 0
; COMPUTE_PGM_RSRC2:USER_SGPR: 2
; COMPUTE_PGM_RSRC2:TRAP_HANDLER: 0
; COMPUTE_PGM_RSRC2:TGID_X_EN: 1
; COMPUTE_PGM_RSRC2:TGID_Y_EN: 0
; COMPUTE_PGM_RSRC2:TGID_Z_EN: 0
; COMPUTE_PGM_RSRC2:TIDIG_COMP_CNT: 0
	.section	.text._ZN2at6native12_GLOBAL__N_125multi_tensor_apply_kernelINS1_18TensorListMetadataILi2EEENS1_14UnaryOpFunctorIfLi2ELi1ELi1EEEJNS0_5FloorIfEEEEEvT_T0_DpT1_,"axG",@progbits,_ZN2at6native12_GLOBAL__N_125multi_tensor_apply_kernelINS1_18TensorListMetadataILi2EEENS1_14UnaryOpFunctorIfLi2ELi1ELi1EEEJNS0_5FloorIfEEEEEvT_T0_DpT1_,comdat
	.globl	_ZN2at6native12_GLOBAL__N_125multi_tensor_apply_kernelINS1_18TensorListMetadataILi2EEENS1_14UnaryOpFunctorIfLi2ELi1ELi1EEEJNS0_5FloorIfEEEEEvT_T0_DpT1_ ; -- Begin function _ZN2at6native12_GLOBAL__N_125multi_tensor_apply_kernelINS1_18TensorListMetadataILi2EEENS1_14UnaryOpFunctorIfLi2ELi1ELi1EEEJNS0_5FloorIfEEEEEvT_T0_DpT1_
	.p2align	8
	.type	_ZN2at6native12_GLOBAL__N_125multi_tensor_apply_kernelINS1_18TensorListMetadataILi2EEENS1_14UnaryOpFunctorIfLi2ELi1ELi1EEEJNS0_5FloorIfEEEEEvT_T0_DpT1_,@function
_ZN2at6native12_GLOBAL__N_125multi_tensor_apply_kernelINS1_18TensorListMetadataILi2EEENS1_14UnaryOpFunctorIfLi2ELi1ELi1EEEJNS0_5FloorIfEEEEEvT_T0_DpT1_: ; @_ZN2at6native12_GLOBAL__N_125multi_tensor_apply_kernelINS1_18TensorListMetadataILi2EEENS1_14UnaryOpFunctorIfLi2ELi1ELi1EEEJNS0_5FloorIfEEEEEvT_T0_DpT1_
; %bb.0:
	s_bfe_u32 s2, ttmp6, 0x4000c
	s_and_b32 s3, ttmp6, 15
	s_add_co_i32 s2, s2, 1
	s_getreg_b32 s4, hwreg(HW_REG_IB_STS2, 6, 4)
	s_mul_i32 s2, ttmp9, s2
	s_mov_b32 s9, 0
	s_add_co_i32 s3, s3, s2
	s_cmp_eq_u32 s4, 0
	s_mov_b32 s15, s9
	s_cselect_b32 s8, ttmp9, s3
	s_load_u8 s11, s[0:1], s8 offset:0x600
	s_add_nc_u64 s[2:3], s[0:1], s[8:9]
	s_mul_u64 s[4:5], s[8:9], 3
	s_delay_alu instid0(SALU_CYCLE_1)
	s_add_nc_u64 s[4:5], s[2:3], s[4:5]
	s_load_b32 s10, s[4:5], 0x740
	s_wait_kmcnt 0x0
	s_clause 0x2
	s_load_b64 s[2:3], s[0:1], s11 offset:0x0 scale_offset
	s_load_b64 s[6:7], s[0:1], s11 offset:0x200 scale_offset
	;; [unrolled: 1-line block ×3, first 2 shown]
	s_wait_xcnt 0x0
	s_ashr_i32 s11, s10, 31
	s_delay_alu instid0(SALU_CYCLE_1)
	s_lshl_b64 s[4:5], s[10:11], 18
	s_wait_kmcnt 0x0
	s_and_b64 s[18:19], s[6:7], 15
	s_add_nc_u64 s[16:17], s[2:3], s[4:5]
	s_and_b32 s14, s12, 3
	s_and_b32 s8, s16, 15
	s_or_b64 s[14:15], s[18:19], s[14:15]
	s_lshl_b64 s[10:11], s[10:11], 16
	s_or_b64 s[14:15], s[14:15], s[8:9]
	s_sub_nc_u64 s[8:9], s[12:13], s[10:11]
	s_cmp_eq_u64 s[14:15], 0
	s_mov_b32 s10, -1
	s_cbranch_scc0 .LBB25_5
; %bb.1:
	v_min_i64 v[2:3], 0x10000, s[8:9]
	v_dual_mov_b32 v5, 0 :: v_dual_lshlrev_b32 v4, 2, v0
	s_mov_b32 s14, exec_lo
	s_delay_alu instid0(VALU_DEP_1)
	v_cmpx_lt_i64_e64 v[4:5], v[2:3]
	s_cbranch_execz .LBB25_4
; %bb.2:
	s_load_b32 s10, s[0:1], 0xc5c
	v_dual_mov_b32 v1, v5 :: v_dual_lshlrev_b32 v4, 4, v0
	s_mov_b32 s11, 0
	s_delay_alu instid0(SALU_CYCLE_1) | instskip(NEXT) | instid1(VALU_DEP_1)
	s_mov_b32 s13, s11
	v_add_nc_u64_e32 v[4:5], s[4:5], v[4:5]
	s_delay_alu instid0(VALU_DEP_2) | instskip(SKIP_3) | instid1(SALU_CYCLE_1)
	v_mov_b64_e32 v[6:7], v[0:1]
	s_mov_b32 s15, s11
	s_wait_kmcnt 0x0
	s_and_b32 s10, s10, 0xffff
	s_lshl_b32 s12, s10, 4
.LBB25_3:                               ; =>This Inner Loop Header: Depth=1
	s_delay_alu instid0(VALU_DEP_2) | instskip(NEXT) | instid1(VALU_DEP_2)
	v_add_nc_u64_e32 v[8:9], s[2:3], v[4:5]
	v_add_nc_u64_e32 v[6:7], s[10:11], v[6:7]
	;; [unrolled: 1-line block ×4, first 2 shown]
	global_load_b128 v[8:11], v[8:9], off
	v_lshlrev_b64_e32 v[12:13], 2, v[6:7]
	s_delay_alu instid0(VALU_DEP_1)
	v_cmp_ge_i64_e32 vcc_lo, v[12:13], v[2:3]
	s_or_b32 s15, vcc_lo, s15
	s_wait_loadcnt 0x0
	s_wait_xcnt 0x0
	v_floor_f32_e32 v8, v8
	v_floor_f32_e32 v9, v9
	;; [unrolled: 1-line block ×4, first 2 shown]
	global_store_b128 v[14:15], v[8:11], off
	s_wait_xcnt 0x0
	s_and_not1_b32 exec_lo, exec_lo, s15
	s_cbranch_execnz .LBB25_3
.LBB25_4:
	s_or_b32 exec_lo, exec_lo, s14
	s_mov_b32 s10, 0
.LBB25_5:
	s_delay_alu instid0(SALU_CYCLE_1)
	s_and_not1_b32 vcc_lo, exec_lo, s10
	s_cbranch_vccnz .LBB25_25
; %bb.6:
	v_cmp_lt_i64_e64 s10, s[8:9], 1
	s_and_b32 vcc_lo, exec_lo, s10
	s_cbranch_vccnz .LBB25_25
; %bb.7:
	s_load_b32 s0, s[0:1], 0xc5c
	v_min_i64 v[2:3], 0x10000, s[8:9]
	v_min_u64 v[4:5], 0x10000, s[8:9]
	v_dual_mov_b32 v1, 0 :: v_dual_lshlrev_b32 v10, 2, v0
	s_mov_b32 s9, 0
	s_delay_alu instid0(SALU_CYCLE_1) | instskip(NEXT) | instid1(VALU_DEP_1)
	s_mov_b32 s13, s9
	v_dual_mov_b32 v11, v1 :: v_dual_mov_b32 v27, v1
	s_wait_xcnt 0x0
	s_mov_b32 s1, s9
	s_mov_b32 s11, s9
	s_delay_alu instid0(VALU_DEP_1) | instskip(SKIP_2) | instid1(SALU_CYCLE_1)
	v_add_nc_u64_e32 v[6:7], s[2:3], v[10:11]
	s_wait_kmcnt 0x0
	s_and_b32 s8, s0, 0xffff
	v_add_nc_u64_e32 v[8:9], s[8:9], v[0:1]
	v_mad_nc_u64_u32 v[22:23], s8, 12, v[10:11]
	s_lshl_b32 s12, s8, 3
	s_mul_i32 s10, s8, 3
	v_add_nc_u64_e32 v[18:19], s[12:13], v[10:11]
	s_lshl_b32 s0, s8, 1
	v_add_nc_u64_e32 v[10:11], s[6:7], v[10:11]
	v_lshlrev_b32_e32 v26, 2, v8
	v_add_nc_u64_e32 v[12:13], s[10:11], v[0:1]
	v_add_nc_u64_e32 v[14:15], s[0:1], v[0:1]
	s_mov_b64 s[10:11], 0
	v_add_nc_u64_e32 v[16:17], s[2:3], v[18:19]
	v_add_nc_u64_e32 v[18:19], s[6:7], v[18:19]
	;; [unrolled: 1-line block ×6, first 2 shown]
	s_lshl_b32 s6, s8, 2
	s_mov_b32 s7, s9
	s_lshl_b32 s8, s8, 4
	s_branch .LBB25_9
.LBB25_8:                               ;   in Loop: Header=BB25_9 Depth=1
	s_wait_xcnt 0x0
	s_or_b32 exec_lo, exec_lo, s0
	s_add_nc_u64 s[10:11], s[10:11], s[6:7]
	v_add_nc_u64_e32 v[6:7], s[8:9], v[6:7]
	v_cmp_ge_i64_e32 vcc_lo, s[10:11], v[2:3]
	v_add_nc_u64_e32 v[10:11], s[8:9], v[10:11]
	v_add_nc_u64_e32 v[20:21], s[8:9], v[20:21]
	;; [unrolled: 1-line block ×7, first 2 shown]
	s_cbranch_vccnz .LBB25_25
.LBB25_9:                               ; =>This Inner Loop Header: Depth=1
	v_add_nc_u64_e32 v[28:29], s[10:11], v[0:1]
	s_delay_alu instid0(VALU_DEP_1)
	v_cmp_lt_u64_e32 vcc_lo, v[28:29], v[4:5]
	v_mov_b32_e32 v29, 0
	s_and_saveexec_b32 s0, vcc_lo
	s_cbranch_execz .LBB25_11
; %bb.10:                               ;   in Loop: Header=BB25_9 Depth=1
	v_add_nc_u64_e32 v[28:29], s[4:5], v[6:7]
	global_load_b32 v28, v[28:29], off
	s_wait_loadcnt 0x0
	v_floor_f32_e32 v29, v28
.LBB25_11:                              ;   in Loop: Header=BB25_9 Depth=1
	s_or_b32 exec_lo, exec_lo, s0
	v_add_nc_u64_e32 v[30:31], s[10:11], v[8:9]
	v_mov_b32_e32 v28, 0
	s_delay_alu instid0(VALU_DEP_2)
	v_cmp_lt_u64_e64 s0, v[30:31], v[4:5]
	v_mov_b32_e32 v30, 0
	s_and_saveexec_b32 s1, s0
	s_cbranch_execz .LBB25_13
; %bb.12:                               ;   in Loop: Header=BB25_9 Depth=1
	v_add_nc_u64_e32 v[30:31], s[4:5], v[24:25]
	global_load_b32 v30, v[30:31], off
	s_wait_loadcnt 0x0
	v_floor_f32_e32 v30, v30
.LBB25_13:                              ;   in Loop: Header=BB25_9 Depth=1
	s_or_b32 exec_lo, exec_lo, s1
	v_add_nc_u64_e32 v[32:33], s[10:11], v[14:15]
	s_delay_alu instid0(VALU_DEP_1)
	v_cmp_lt_u64_e64 s1, v[32:33], v[4:5]
	s_and_saveexec_b32 s2, s1
	s_cbranch_execz .LBB25_15
; %bb.14:                               ;   in Loop: Header=BB25_9 Depth=1
	v_add_nc_u64_e32 v[32:33], s[4:5], v[16:17]
	global_load_b32 v28, v[32:33], off
	s_wait_loadcnt 0x0
	v_floor_f32_e32 v28, v28
.LBB25_15:                              ;   in Loop: Header=BB25_9 Depth=1
	s_wait_xcnt 0x0
	s_or_b32 exec_lo, exec_lo, s2
	v_add_nc_u64_e32 v[32:33], s[10:11], v[12:13]
	v_mov_b32_e32 v31, 0
	s_delay_alu instid0(VALU_DEP_2)
	v_cmp_lt_u64_e64 s2, v[32:33], v[4:5]
	s_and_saveexec_b32 s3, s2
	s_cbranch_execnz .LBB25_20
; %bb.16:                               ;   in Loop: Header=BB25_9 Depth=1
	s_or_b32 exec_lo, exec_lo, s3
	s_and_saveexec_b32 s3, vcc_lo
	s_cbranch_execnz .LBB25_21
.LBB25_17:                              ;   in Loop: Header=BB25_9 Depth=1
	s_or_b32 exec_lo, exec_lo, s3
	s_and_saveexec_b32 s3, s0
	s_cbranch_execnz .LBB25_22
.LBB25_18:                              ;   in Loop: Header=BB25_9 Depth=1
	s_or_b32 exec_lo, exec_lo, s3
	s_and_saveexec_b32 s0, s1
	s_cbranch_execnz .LBB25_23
.LBB25_19:                              ;   in Loop: Header=BB25_9 Depth=1
	s_or_b32 exec_lo, exec_lo, s0
	s_and_saveexec_b32 s0, s2
	s_cbranch_execz .LBB25_8
	s_branch .LBB25_24
.LBB25_20:                              ;   in Loop: Header=BB25_9 Depth=1
	v_add_nc_u64_e32 v[32:33], s[4:5], v[20:21]
	global_load_b32 v31, v[32:33], off
	s_wait_loadcnt 0x0
	v_floor_f32_e32 v31, v31
	s_wait_xcnt 0x0
	s_or_b32 exec_lo, exec_lo, s3
	s_and_saveexec_b32 s3, vcc_lo
	s_cbranch_execz .LBB25_17
.LBB25_21:                              ;   in Loop: Header=BB25_9 Depth=1
	v_add_nc_u64_e32 v[32:33], s[4:5], v[10:11]
	global_store_b32 v[32:33], v29, off
	s_wait_xcnt 0x0
	s_or_b32 exec_lo, exec_lo, s3
	s_and_saveexec_b32 s3, s0
	s_cbranch_execz .LBB25_18
.LBB25_22:                              ;   in Loop: Header=BB25_9 Depth=1
	v_add_nc_u64_e32 v[32:33], s[4:5], v[26:27]
	global_store_b32 v[32:33], v30, off
	s_wait_xcnt 0x0
	s_or_b32 exec_lo, exec_lo, s3
	s_and_saveexec_b32 s0, s1
	s_cbranch_execz .LBB25_19
.LBB25_23:                              ;   in Loop: Header=BB25_9 Depth=1
	v_add_nc_u64_e32 v[32:33], s[4:5], v[18:19]
	global_store_b32 v[32:33], v28, off
	s_wait_xcnt 0x0
	s_or_b32 exec_lo, exec_lo, s0
	s_and_saveexec_b32 s0, s2
	s_cbranch_execz .LBB25_8
.LBB25_24:                              ;   in Loop: Header=BB25_9 Depth=1
	v_add_nc_u64_e32 v[28:29], s[4:5], v[22:23]
	global_store_b32 v[28:29], v31, off
	s_branch .LBB25_8
.LBB25_25:
	s_endpgm
	.section	.rodata,"a",@progbits
	.p2align	6, 0x0
	.amdhsa_kernel _ZN2at6native12_GLOBAL__N_125multi_tensor_apply_kernelINS1_18TensorListMetadataILi2EEENS1_14UnaryOpFunctorIfLi2ELi1ELi1EEEJNS0_5FloorIfEEEEEvT_T0_DpT1_
		.amdhsa_group_segment_fixed_size 0
		.amdhsa_private_segment_fixed_size 0
		.amdhsa_kernarg_size 3408
		.amdhsa_user_sgpr_count 2
		.amdhsa_user_sgpr_dispatch_ptr 0
		.amdhsa_user_sgpr_queue_ptr 0
		.amdhsa_user_sgpr_kernarg_segment_ptr 1
		.amdhsa_user_sgpr_dispatch_id 0
		.amdhsa_user_sgpr_kernarg_preload_length 0
		.amdhsa_user_sgpr_kernarg_preload_offset 0
		.amdhsa_user_sgpr_private_segment_size 0
		.amdhsa_wavefront_size32 1
		.amdhsa_uses_dynamic_stack 0
		.amdhsa_enable_private_segment 0
		.amdhsa_system_sgpr_workgroup_id_x 1
		.amdhsa_system_sgpr_workgroup_id_y 0
		.amdhsa_system_sgpr_workgroup_id_z 0
		.amdhsa_system_sgpr_workgroup_info 0
		.amdhsa_system_vgpr_workitem_id 0
		.amdhsa_next_free_vgpr 34
		.amdhsa_next_free_sgpr 20
		.amdhsa_named_barrier_count 0
		.amdhsa_reserve_vcc 1
		.amdhsa_float_round_mode_32 0
		.amdhsa_float_round_mode_16_64 0
		.amdhsa_float_denorm_mode_32 3
		.amdhsa_float_denorm_mode_16_64 3
		.amdhsa_fp16_overflow 0
		.amdhsa_memory_ordered 1
		.amdhsa_forward_progress 1
		.amdhsa_inst_pref_size 9
		.amdhsa_round_robin_scheduling 0
		.amdhsa_exception_fp_ieee_invalid_op 0
		.amdhsa_exception_fp_denorm_src 0
		.amdhsa_exception_fp_ieee_div_zero 0
		.amdhsa_exception_fp_ieee_overflow 0
		.amdhsa_exception_fp_ieee_underflow 0
		.amdhsa_exception_fp_ieee_inexact 0
		.amdhsa_exception_int_div_zero 0
	.end_amdhsa_kernel
	.section	.text._ZN2at6native12_GLOBAL__N_125multi_tensor_apply_kernelINS1_18TensorListMetadataILi2EEENS1_14UnaryOpFunctorIfLi2ELi1ELi1EEEJNS0_5FloorIfEEEEEvT_T0_DpT1_,"axG",@progbits,_ZN2at6native12_GLOBAL__N_125multi_tensor_apply_kernelINS1_18TensorListMetadataILi2EEENS1_14UnaryOpFunctorIfLi2ELi1ELi1EEEJNS0_5FloorIfEEEEEvT_T0_DpT1_,comdat
.Lfunc_end25:
	.size	_ZN2at6native12_GLOBAL__N_125multi_tensor_apply_kernelINS1_18TensorListMetadataILi2EEENS1_14UnaryOpFunctorIfLi2ELi1ELi1EEEJNS0_5FloorIfEEEEEvT_T0_DpT1_, .Lfunc_end25-_ZN2at6native12_GLOBAL__N_125multi_tensor_apply_kernelINS1_18TensorListMetadataILi2EEENS1_14UnaryOpFunctorIfLi2ELi1ELi1EEEJNS0_5FloorIfEEEEEvT_T0_DpT1_
                                        ; -- End function
	.set _ZN2at6native12_GLOBAL__N_125multi_tensor_apply_kernelINS1_18TensorListMetadataILi2EEENS1_14UnaryOpFunctorIfLi2ELi1ELi1EEEJNS0_5FloorIfEEEEEvT_T0_DpT1_.num_vgpr, 34
	.set _ZN2at6native12_GLOBAL__N_125multi_tensor_apply_kernelINS1_18TensorListMetadataILi2EEENS1_14UnaryOpFunctorIfLi2ELi1ELi1EEEJNS0_5FloorIfEEEEEvT_T0_DpT1_.num_agpr, 0
	.set _ZN2at6native12_GLOBAL__N_125multi_tensor_apply_kernelINS1_18TensorListMetadataILi2EEENS1_14UnaryOpFunctorIfLi2ELi1ELi1EEEJNS0_5FloorIfEEEEEvT_T0_DpT1_.numbered_sgpr, 20
	.set _ZN2at6native12_GLOBAL__N_125multi_tensor_apply_kernelINS1_18TensorListMetadataILi2EEENS1_14UnaryOpFunctorIfLi2ELi1ELi1EEEJNS0_5FloorIfEEEEEvT_T0_DpT1_.num_named_barrier, 0
	.set _ZN2at6native12_GLOBAL__N_125multi_tensor_apply_kernelINS1_18TensorListMetadataILi2EEENS1_14UnaryOpFunctorIfLi2ELi1ELi1EEEJNS0_5FloorIfEEEEEvT_T0_DpT1_.private_seg_size, 0
	.set _ZN2at6native12_GLOBAL__N_125multi_tensor_apply_kernelINS1_18TensorListMetadataILi2EEENS1_14UnaryOpFunctorIfLi2ELi1ELi1EEEJNS0_5FloorIfEEEEEvT_T0_DpT1_.uses_vcc, 1
	.set _ZN2at6native12_GLOBAL__N_125multi_tensor_apply_kernelINS1_18TensorListMetadataILi2EEENS1_14UnaryOpFunctorIfLi2ELi1ELi1EEEJNS0_5FloorIfEEEEEvT_T0_DpT1_.uses_flat_scratch, 0
	.set _ZN2at6native12_GLOBAL__N_125multi_tensor_apply_kernelINS1_18TensorListMetadataILi2EEENS1_14UnaryOpFunctorIfLi2ELi1ELi1EEEJNS0_5FloorIfEEEEEvT_T0_DpT1_.has_dyn_sized_stack, 0
	.set _ZN2at6native12_GLOBAL__N_125multi_tensor_apply_kernelINS1_18TensorListMetadataILi2EEENS1_14UnaryOpFunctorIfLi2ELi1ELi1EEEJNS0_5FloorIfEEEEEvT_T0_DpT1_.has_recursion, 0
	.set _ZN2at6native12_GLOBAL__N_125multi_tensor_apply_kernelINS1_18TensorListMetadataILi2EEENS1_14UnaryOpFunctorIfLi2ELi1ELi1EEEJNS0_5FloorIfEEEEEvT_T0_DpT1_.has_indirect_call, 0
	.section	.AMDGPU.csdata,"",@progbits
; Kernel info:
; codeLenInByte = 1048
; TotalNumSgprs: 22
; NumVgprs: 34
; ScratchSize: 0
; MemoryBound: 0
; FloatMode: 240
; IeeeMode: 1
; LDSByteSize: 0 bytes/workgroup (compile time only)
; SGPRBlocks: 0
; VGPRBlocks: 2
; NumSGPRsForWavesPerEU: 22
; NumVGPRsForWavesPerEU: 34
; NamedBarCnt: 0
; Occupancy: 16
; WaveLimiterHint : 0
; COMPUTE_PGM_RSRC2:SCRATCH_EN: 0
; COMPUTE_PGM_RSRC2:USER_SGPR: 2
; COMPUTE_PGM_RSRC2:TRAP_HANDLER: 0
; COMPUTE_PGM_RSRC2:TGID_X_EN: 1
; COMPUTE_PGM_RSRC2:TGID_Y_EN: 0
; COMPUTE_PGM_RSRC2:TGID_Z_EN: 0
; COMPUTE_PGM_RSRC2:TIDIG_COMP_CNT: 0
	.section	.text._ZN2at6native12_GLOBAL__N_125multi_tensor_apply_kernelINS1_18TensorListMetadataILi2EEENS1_14UnaryOpFunctorIN3c104HalfELi2ELi1ELi1EEEJNS0_5FloorIfEEEEEvT_T0_DpT1_,"axG",@progbits,_ZN2at6native12_GLOBAL__N_125multi_tensor_apply_kernelINS1_18TensorListMetadataILi2EEENS1_14UnaryOpFunctorIN3c104HalfELi2ELi1ELi1EEEJNS0_5FloorIfEEEEEvT_T0_DpT1_,comdat
	.globl	_ZN2at6native12_GLOBAL__N_125multi_tensor_apply_kernelINS1_18TensorListMetadataILi2EEENS1_14UnaryOpFunctorIN3c104HalfELi2ELi1ELi1EEEJNS0_5FloorIfEEEEEvT_T0_DpT1_ ; -- Begin function _ZN2at6native12_GLOBAL__N_125multi_tensor_apply_kernelINS1_18TensorListMetadataILi2EEENS1_14UnaryOpFunctorIN3c104HalfELi2ELi1ELi1EEEJNS0_5FloorIfEEEEEvT_T0_DpT1_
	.p2align	8
	.type	_ZN2at6native12_GLOBAL__N_125multi_tensor_apply_kernelINS1_18TensorListMetadataILi2EEENS1_14UnaryOpFunctorIN3c104HalfELi2ELi1ELi1EEEJNS0_5FloorIfEEEEEvT_T0_DpT1_,@function
_ZN2at6native12_GLOBAL__N_125multi_tensor_apply_kernelINS1_18TensorListMetadataILi2EEENS1_14UnaryOpFunctorIN3c104HalfELi2ELi1ELi1EEEJNS0_5FloorIfEEEEEvT_T0_DpT1_: ; @_ZN2at6native12_GLOBAL__N_125multi_tensor_apply_kernelINS1_18TensorListMetadataILi2EEENS1_14UnaryOpFunctorIN3c104HalfELi2ELi1ELi1EEEJNS0_5FloorIfEEEEEvT_T0_DpT1_
; %bb.0:
	s_bfe_u32 s2, ttmp6, 0x4000c
	s_and_b32 s3, ttmp6, 15
	s_add_co_i32 s2, s2, 1
	s_getreg_b32 s4, hwreg(HW_REG_IB_STS2, 6, 4)
	s_mul_i32 s2, ttmp9, s2
	s_mov_b32 s7, 0
	s_add_co_i32 s3, s3, s2
	s_cmp_eq_u32 s4, 0
	s_mov_b32 s15, s7
	s_cselect_b32 s6, ttmp9, s3
	s_load_u8 s11, s[0:1], s6 offset:0x600
	s_add_nc_u64 s[2:3], s[0:1], s[6:7]
	s_mul_u64 s[4:5], s[6:7], 3
	s_delay_alu instid0(SALU_CYCLE_1)
	s_add_nc_u64 s[4:5], s[2:3], s[4:5]
	s_load_b32 s10, s[4:5], 0x740
	s_wait_kmcnt 0x0
	s_clause 0x2
	s_load_b64 s[2:3], s[0:1], s11 offset:0x0 scale_offset
	s_load_b64 s[8:9], s[0:1], s11 offset:0x200 scale_offset
	;; [unrolled: 1-line block ×3, first 2 shown]
	s_wait_xcnt 0x0
	s_ashr_i32 s11, s10, 31
	s_delay_alu instid0(SALU_CYCLE_1)
	s_lshl_b64 s[4:5], s[10:11], 17
	s_wait_kmcnt 0x0
	s_and_b64 s[18:19], s[8:9], 7
	s_add_nc_u64 s[16:17], s[2:3], s[4:5]
	s_and_b32 s14, s12, 3
	s_and_b32 s6, s16, 7
	s_or_b64 s[14:15], s[18:19], s[14:15]
	s_lshl_b64 s[10:11], s[10:11], 16
	s_or_b64 s[14:15], s[14:15], s[6:7]
	s_sub_nc_u64 s[6:7], s[12:13], s[10:11]
	s_cmp_eq_u64 s[14:15], 0
	s_mov_b32 s10, -1
	s_cbranch_scc0 .LBB26_5
; %bb.1:
	v_min_i64 v[2:3], 0x10000, s[6:7]
	v_dual_mov_b32 v5, 0 :: v_dual_lshlrev_b32 v4, 2, v0
	s_mov_b32 s14, exec_lo
	s_delay_alu instid0(VALU_DEP_1)
	v_cmpx_lt_i64_e64 v[4:5], v[2:3]
	s_cbranch_execz .LBB26_4
; %bb.2:
	s_load_b32 s10, s[0:1], 0xc5c
	v_dual_mov_b32 v1, v5 :: v_dual_lshlrev_b32 v4, 3, v0
	s_mov_b32 s11, 0
	s_delay_alu instid0(SALU_CYCLE_1) | instskip(NEXT) | instid1(VALU_DEP_1)
	s_mov_b32 s13, s11
	v_add_nc_u64_e32 v[4:5], s[4:5], v[4:5]
	s_delay_alu instid0(VALU_DEP_2) | instskip(SKIP_3) | instid1(SALU_CYCLE_1)
	v_mov_b64_e32 v[6:7], v[0:1]
	s_mov_b32 s15, s11
	s_wait_kmcnt 0x0
	s_and_b32 s10, s10, 0xffff
	s_lshl_b32 s12, s10, 3
.LBB26_3:                               ; =>This Inner Loop Header: Depth=1
	s_delay_alu instid0(VALU_DEP_2) | instskip(NEXT) | instid1(VALU_DEP_2)
	v_add_nc_u64_e32 v[8:9], s[2:3], v[4:5]
	v_add_nc_u64_e32 v[6:7], s[10:11], v[6:7]
	global_load_b64 v[8:9], v[8:9], off
	v_lshlrev_b64_e32 v[10:11], 2, v[6:7]
	s_delay_alu instid0(VALU_DEP_1)
	v_cmp_ge_i64_e32 vcc_lo, v[10:11], v[2:3]
	s_or_b32 s15, vcc_lo, s15
	s_wait_loadcnt 0x0
	v_dual_lshrrev_b32 v1, 16, v9 :: v_dual_lshrrev_b32 v12, 16, v8
	v_floor_f16_e32 v13, v8
	v_floor_f16_e32 v14, v9
	s_wait_xcnt 0x0
	v_add_nc_u64_e32 v[8:9], s[8:9], v[4:5]
	v_floor_f16_e32 v1, v1
	v_floor_f16_e32 v12, v12
	v_add_nc_u64_e32 v[4:5], s[12:13], v[4:5]
	s_delay_alu instid0(VALU_DEP_3) | instskip(NEXT) | instid1(VALU_DEP_3)
	v_pack_b32_f16 v11, v14, v1
	v_pack_b32_f16 v10, v13, v12
	global_store_b64 v[8:9], v[10:11], off
	s_wait_xcnt 0x0
	s_and_not1_b32 exec_lo, exec_lo, s15
	s_cbranch_execnz .LBB26_3
.LBB26_4:
	s_or_b32 exec_lo, exec_lo, s14
	s_mov_b32 s10, 0
.LBB26_5:
	s_delay_alu instid0(SALU_CYCLE_1)
	s_and_not1_b32 vcc_lo, exec_lo, s10
	s_cbranch_vccnz .LBB26_25
; %bb.6:
	v_cmp_lt_i64_e64 s10, s[6:7], 1
	s_and_b32 vcc_lo, exec_lo, s10
	s_cbranch_vccnz .LBB26_25
; %bb.7:
	s_load_b32 s0, s[0:1], 0xc5c
	v_min_i64 v[2:3], 0x10000, s[6:7]
	v_min_u64 v[4:5], 0x10000, s[6:7]
	v_dual_mov_b32 v1, 0 :: v_dual_lshlrev_b32 v10, 1, v0
	s_wait_xcnt 0x0
	s_mov_b32 s1, 0
	s_delay_alu instid0(SALU_CYCLE_1) | instskip(NEXT) | instid1(VALU_DEP_1)
	s_mov_b32 s7, s1
	v_dual_mov_b32 v11, v1 :: v_dual_mov_b32 v27, v1
	s_mov_b32 s11, s1
	s_mov_b32 s13, s1
	s_delay_alu instid0(VALU_DEP_1) | instskip(SKIP_2) | instid1(SALU_CYCLE_1)
	v_add_nc_u64_e32 v[6:7], s[2:3], v[10:11]
	s_wait_kmcnt 0x0
	s_and_b32 s0, s0, 0xffff
	v_add_nc_u64_e32 v[8:9], s[0:1], v[0:1]
	v_mad_nc_u64_u32 v[22:23], s0, 6, v[10:11]
	s_lshl_b32 s6, s0, 2
	s_mul_i32 s12, s0, 3
	v_add_nc_u64_e32 v[18:19], s[6:7], v[10:11]
	s_lshl_b32 s10, s0, 1
	v_add_nc_u64_e32 v[10:11], s[8:9], v[10:11]
	v_lshlrev_b32_e32 v26, 1, v8
	v_add_nc_u64_e32 v[12:13], s[12:13], v[0:1]
	v_add_nc_u64_e32 v[14:15], s[10:11], v[0:1]
	s_mov_b64 s[10:11], 0
	v_add_nc_u64_e32 v[16:17], s[2:3], v[18:19]
	v_add_nc_u64_e32 v[18:19], s[8:9], v[18:19]
	;; [unrolled: 1-line block ×6, first 2 shown]
	s_lshl_b32 s8, s0, 3
	s_mov_b32 s9, s1
	s_branch .LBB26_9
.LBB26_8:                               ;   in Loop: Header=BB26_9 Depth=1
	s_wait_xcnt 0x0
	s_or_b32 exec_lo, exec_lo, s0
	s_add_nc_u64 s[10:11], s[10:11], s[6:7]
	v_add_nc_u64_e32 v[6:7], s[8:9], v[6:7]
	v_cmp_ge_i64_e32 vcc_lo, s[10:11], v[2:3]
	v_add_nc_u64_e32 v[10:11], s[8:9], v[10:11]
	v_add_nc_u64_e32 v[20:21], s[8:9], v[20:21]
	;; [unrolled: 1-line block ×7, first 2 shown]
	s_cbranch_vccnz .LBB26_25
.LBB26_9:                               ; =>This Inner Loop Header: Depth=1
	v_add_nc_u64_e32 v[28:29], s[10:11], v[0:1]
	s_delay_alu instid0(VALU_DEP_1)
	v_cmp_lt_u64_e32 vcc_lo, v[28:29], v[4:5]
	v_mov_b32_e32 v29, 0
	s_and_saveexec_b32 s0, vcc_lo
	s_cbranch_execz .LBB26_11
; %bb.10:                               ;   in Loop: Header=BB26_9 Depth=1
	v_add_nc_u64_e32 v[28:29], s[4:5], v[6:7]
	global_load_u16 v28, v[28:29], off
	s_wait_loadcnt 0x0
	v_floor_f16_e32 v29, v28
.LBB26_11:                              ;   in Loop: Header=BB26_9 Depth=1
	s_or_b32 exec_lo, exec_lo, s0
	v_add_nc_u64_e32 v[30:31], s[10:11], v[8:9]
	v_mov_b32_e32 v28, 0
	s_delay_alu instid0(VALU_DEP_2)
	v_cmp_lt_u64_e64 s0, v[30:31], v[4:5]
	v_mov_b32_e32 v30, 0
	s_and_saveexec_b32 s1, s0
	s_cbranch_execz .LBB26_13
; %bb.12:                               ;   in Loop: Header=BB26_9 Depth=1
	v_add_nc_u64_e32 v[30:31], s[4:5], v[24:25]
	global_load_u16 v30, v[30:31], off
	s_wait_loadcnt 0x0
	v_floor_f16_e32 v30, v30
.LBB26_13:                              ;   in Loop: Header=BB26_9 Depth=1
	s_or_b32 exec_lo, exec_lo, s1
	v_add_nc_u64_e32 v[32:33], s[10:11], v[14:15]
	s_delay_alu instid0(VALU_DEP_1)
	v_cmp_lt_u64_e64 s1, v[32:33], v[4:5]
	s_and_saveexec_b32 s2, s1
	s_cbranch_execz .LBB26_15
; %bb.14:                               ;   in Loop: Header=BB26_9 Depth=1
	v_add_nc_u64_e32 v[32:33], s[4:5], v[16:17]
	global_load_u16 v28, v[32:33], off
	s_wait_loadcnt 0x0
	v_floor_f16_e32 v28, v28
.LBB26_15:                              ;   in Loop: Header=BB26_9 Depth=1
	s_wait_xcnt 0x0
	s_or_b32 exec_lo, exec_lo, s2
	v_add_nc_u64_e32 v[32:33], s[10:11], v[12:13]
	v_mov_b32_e32 v31, 0
	s_delay_alu instid0(VALU_DEP_2)
	v_cmp_lt_u64_e64 s2, v[32:33], v[4:5]
	s_and_saveexec_b32 s3, s2
	s_cbranch_execnz .LBB26_20
; %bb.16:                               ;   in Loop: Header=BB26_9 Depth=1
	s_or_b32 exec_lo, exec_lo, s3
	s_and_saveexec_b32 s3, vcc_lo
	s_cbranch_execnz .LBB26_21
.LBB26_17:                              ;   in Loop: Header=BB26_9 Depth=1
	s_or_b32 exec_lo, exec_lo, s3
	s_and_saveexec_b32 s3, s0
	s_cbranch_execnz .LBB26_22
.LBB26_18:                              ;   in Loop: Header=BB26_9 Depth=1
	s_or_b32 exec_lo, exec_lo, s3
	s_and_saveexec_b32 s0, s1
	s_cbranch_execnz .LBB26_23
.LBB26_19:                              ;   in Loop: Header=BB26_9 Depth=1
	s_or_b32 exec_lo, exec_lo, s0
	s_and_saveexec_b32 s0, s2
	s_cbranch_execz .LBB26_8
	s_branch .LBB26_24
.LBB26_20:                              ;   in Loop: Header=BB26_9 Depth=1
	v_add_nc_u64_e32 v[32:33], s[4:5], v[20:21]
	global_load_u16 v31, v[32:33], off
	s_wait_loadcnt 0x0
	v_floor_f16_e32 v31, v31
	s_wait_xcnt 0x0
	s_or_b32 exec_lo, exec_lo, s3
	s_and_saveexec_b32 s3, vcc_lo
	s_cbranch_execz .LBB26_17
.LBB26_21:                              ;   in Loop: Header=BB26_9 Depth=1
	v_add_nc_u64_e32 v[32:33], s[4:5], v[10:11]
	global_store_b16 v[32:33], v29, off
	s_wait_xcnt 0x0
	s_or_b32 exec_lo, exec_lo, s3
	s_and_saveexec_b32 s3, s0
	s_cbranch_execz .LBB26_18
.LBB26_22:                              ;   in Loop: Header=BB26_9 Depth=1
	v_add_nc_u64_e32 v[32:33], s[4:5], v[26:27]
	global_store_b16 v[32:33], v30, off
	s_wait_xcnt 0x0
	s_or_b32 exec_lo, exec_lo, s3
	s_and_saveexec_b32 s0, s1
	s_cbranch_execz .LBB26_19
.LBB26_23:                              ;   in Loop: Header=BB26_9 Depth=1
	v_add_nc_u64_e32 v[32:33], s[4:5], v[18:19]
	global_store_b16 v[32:33], v28, off
	s_wait_xcnt 0x0
	s_or_b32 exec_lo, exec_lo, s0
	s_and_saveexec_b32 s0, s2
	s_cbranch_execz .LBB26_8
.LBB26_24:                              ;   in Loop: Header=BB26_9 Depth=1
	v_add_nc_u64_e32 v[28:29], s[4:5], v[22:23]
	global_store_b16 v[28:29], v31, off
	s_branch .LBB26_8
.LBB26_25:
	s_endpgm
	.section	.rodata,"a",@progbits
	.p2align	6, 0x0
	.amdhsa_kernel _ZN2at6native12_GLOBAL__N_125multi_tensor_apply_kernelINS1_18TensorListMetadataILi2EEENS1_14UnaryOpFunctorIN3c104HalfELi2ELi1ELi1EEEJNS0_5FloorIfEEEEEvT_T0_DpT1_
		.amdhsa_group_segment_fixed_size 0
		.amdhsa_private_segment_fixed_size 0
		.amdhsa_kernarg_size 3408
		.amdhsa_user_sgpr_count 2
		.amdhsa_user_sgpr_dispatch_ptr 0
		.amdhsa_user_sgpr_queue_ptr 0
		.amdhsa_user_sgpr_kernarg_segment_ptr 1
		.amdhsa_user_sgpr_dispatch_id 0
		.amdhsa_user_sgpr_kernarg_preload_length 0
		.amdhsa_user_sgpr_kernarg_preload_offset 0
		.amdhsa_user_sgpr_private_segment_size 0
		.amdhsa_wavefront_size32 1
		.amdhsa_uses_dynamic_stack 0
		.amdhsa_enable_private_segment 0
		.amdhsa_system_sgpr_workgroup_id_x 1
		.amdhsa_system_sgpr_workgroup_id_y 0
		.amdhsa_system_sgpr_workgroup_id_z 0
		.amdhsa_system_sgpr_workgroup_info 0
		.amdhsa_system_vgpr_workitem_id 0
		.amdhsa_next_free_vgpr 34
		.amdhsa_next_free_sgpr 20
		.amdhsa_named_barrier_count 0
		.amdhsa_reserve_vcc 1
		.amdhsa_float_round_mode_32 0
		.amdhsa_float_round_mode_16_64 0
		.amdhsa_float_denorm_mode_32 3
		.amdhsa_float_denorm_mode_16_64 3
		.amdhsa_fp16_overflow 0
		.amdhsa_memory_ordered 1
		.amdhsa_forward_progress 1
		.amdhsa_inst_pref_size 9
		.amdhsa_round_robin_scheduling 0
		.amdhsa_exception_fp_ieee_invalid_op 0
		.amdhsa_exception_fp_denorm_src 0
		.amdhsa_exception_fp_ieee_div_zero 0
		.amdhsa_exception_fp_ieee_overflow 0
		.amdhsa_exception_fp_ieee_underflow 0
		.amdhsa_exception_fp_ieee_inexact 0
		.amdhsa_exception_int_div_zero 0
	.end_amdhsa_kernel
	.section	.text._ZN2at6native12_GLOBAL__N_125multi_tensor_apply_kernelINS1_18TensorListMetadataILi2EEENS1_14UnaryOpFunctorIN3c104HalfELi2ELi1ELi1EEEJNS0_5FloorIfEEEEEvT_T0_DpT1_,"axG",@progbits,_ZN2at6native12_GLOBAL__N_125multi_tensor_apply_kernelINS1_18TensorListMetadataILi2EEENS1_14UnaryOpFunctorIN3c104HalfELi2ELi1ELi1EEEJNS0_5FloorIfEEEEEvT_T0_DpT1_,comdat
.Lfunc_end26:
	.size	_ZN2at6native12_GLOBAL__N_125multi_tensor_apply_kernelINS1_18TensorListMetadataILi2EEENS1_14UnaryOpFunctorIN3c104HalfELi2ELi1ELi1EEEJNS0_5FloorIfEEEEEvT_T0_DpT1_, .Lfunc_end26-_ZN2at6native12_GLOBAL__N_125multi_tensor_apply_kernelINS1_18TensorListMetadataILi2EEENS1_14UnaryOpFunctorIN3c104HalfELi2ELi1ELi1EEEJNS0_5FloorIfEEEEEvT_T0_DpT1_
                                        ; -- End function
	.set _ZN2at6native12_GLOBAL__N_125multi_tensor_apply_kernelINS1_18TensorListMetadataILi2EEENS1_14UnaryOpFunctorIN3c104HalfELi2ELi1ELi1EEEJNS0_5FloorIfEEEEEvT_T0_DpT1_.num_vgpr, 34
	.set _ZN2at6native12_GLOBAL__N_125multi_tensor_apply_kernelINS1_18TensorListMetadataILi2EEENS1_14UnaryOpFunctorIN3c104HalfELi2ELi1ELi1EEEJNS0_5FloorIfEEEEEvT_T0_DpT1_.num_agpr, 0
	.set _ZN2at6native12_GLOBAL__N_125multi_tensor_apply_kernelINS1_18TensorListMetadataILi2EEENS1_14UnaryOpFunctorIN3c104HalfELi2ELi1ELi1EEEJNS0_5FloorIfEEEEEvT_T0_DpT1_.numbered_sgpr, 20
	.set _ZN2at6native12_GLOBAL__N_125multi_tensor_apply_kernelINS1_18TensorListMetadataILi2EEENS1_14UnaryOpFunctorIN3c104HalfELi2ELi1ELi1EEEJNS0_5FloorIfEEEEEvT_T0_DpT1_.num_named_barrier, 0
	.set _ZN2at6native12_GLOBAL__N_125multi_tensor_apply_kernelINS1_18TensorListMetadataILi2EEENS1_14UnaryOpFunctorIN3c104HalfELi2ELi1ELi1EEEJNS0_5FloorIfEEEEEvT_T0_DpT1_.private_seg_size, 0
	.set _ZN2at6native12_GLOBAL__N_125multi_tensor_apply_kernelINS1_18TensorListMetadataILi2EEENS1_14UnaryOpFunctorIN3c104HalfELi2ELi1ELi1EEEJNS0_5FloorIfEEEEEvT_T0_DpT1_.uses_vcc, 1
	.set _ZN2at6native12_GLOBAL__N_125multi_tensor_apply_kernelINS1_18TensorListMetadataILi2EEENS1_14UnaryOpFunctorIN3c104HalfELi2ELi1ELi1EEEJNS0_5FloorIfEEEEEvT_T0_DpT1_.uses_flat_scratch, 0
	.set _ZN2at6native12_GLOBAL__N_125multi_tensor_apply_kernelINS1_18TensorListMetadataILi2EEENS1_14UnaryOpFunctorIN3c104HalfELi2ELi1ELi1EEEJNS0_5FloorIfEEEEEvT_T0_DpT1_.has_dyn_sized_stack, 0
	.set _ZN2at6native12_GLOBAL__N_125multi_tensor_apply_kernelINS1_18TensorListMetadataILi2EEENS1_14UnaryOpFunctorIN3c104HalfELi2ELi1ELi1EEEJNS0_5FloorIfEEEEEvT_T0_DpT1_.has_recursion, 0
	.set _ZN2at6native12_GLOBAL__N_125multi_tensor_apply_kernelINS1_18TensorListMetadataILi2EEENS1_14UnaryOpFunctorIN3c104HalfELi2ELi1ELi1EEEJNS0_5FloorIfEEEEEvT_T0_DpT1_.has_indirect_call, 0
	.section	.AMDGPU.csdata,"",@progbits
; Kernel info:
; codeLenInByte = 1076
; TotalNumSgprs: 22
; NumVgprs: 34
; ScratchSize: 0
; MemoryBound: 0
; FloatMode: 240
; IeeeMode: 1
; LDSByteSize: 0 bytes/workgroup (compile time only)
; SGPRBlocks: 0
; VGPRBlocks: 2
; NumSGPRsForWavesPerEU: 22
; NumVGPRsForWavesPerEU: 34
; NamedBarCnt: 0
; Occupancy: 16
; WaveLimiterHint : 0
; COMPUTE_PGM_RSRC2:SCRATCH_EN: 0
; COMPUTE_PGM_RSRC2:USER_SGPR: 2
; COMPUTE_PGM_RSRC2:TRAP_HANDLER: 0
; COMPUTE_PGM_RSRC2:TGID_X_EN: 1
; COMPUTE_PGM_RSRC2:TGID_Y_EN: 0
; COMPUTE_PGM_RSRC2:TGID_Z_EN: 0
; COMPUTE_PGM_RSRC2:TIDIG_COMP_CNT: 0
	.section	.text._ZN2at6native12_GLOBAL__N_125multi_tensor_apply_kernelINS1_18TensorListMetadataILi2EEENS1_14UnaryOpFunctorIN3c108BFloat16ELi2ELi1ELi1EEEJNS0_5FloorIfEEEEEvT_T0_DpT1_,"axG",@progbits,_ZN2at6native12_GLOBAL__N_125multi_tensor_apply_kernelINS1_18TensorListMetadataILi2EEENS1_14UnaryOpFunctorIN3c108BFloat16ELi2ELi1ELi1EEEJNS0_5FloorIfEEEEEvT_T0_DpT1_,comdat
	.globl	_ZN2at6native12_GLOBAL__N_125multi_tensor_apply_kernelINS1_18TensorListMetadataILi2EEENS1_14UnaryOpFunctorIN3c108BFloat16ELi2ELi1ELi1EEEJNS0_5FloorIfEEEEEvT_T0_DpT1_ ; -- Begin function _ZN2at6native12_GLOBAL__N_125multi_tensor_apply_kernelINS1_18TensorListMetadataILi2EEENS1_14UnaryOpFunctorIN3c108BFloat16ELi2ELi1ELi1EEEJNS0_5FloorIfEEEEEvT_T0_DpT1_
	.p2align	8
	.type	_ZN2at6native12_GLOBAL__N_125multi_tensor_apply_kernelINS1_18TensorListMetadataILi2EEENS1_14UnaryOpFunctorIN3c108BFloat16ELi2ELi1ELi1EEEJNS0_5FloorIfEEEEEvT_T0_DpT1_,@function
_ZN2at6native12_GLOBAL__N_125multi_tensor_apply_kernelINS1_18TensorListMetadataILi2EEENS1_14UnaryOpFunctorIN3c108BFloat16ELi2ELi1ELi1EEEJNS0_5FloorIfEEEEEvT_T0_DpT1_: ; @_ZN2at6native12_GLOBAL__N_125multi_tensor_apply_kernelINS1_18TensorListMetadataILi2EEENS1_14UnaryOpFunctorIN3c108BFloat16ELi2ELi1ELi1EEEJNS0_5FloorIfEEEEEvT_T0_DpT1_
; %bb.0:
	s_bfe_u32 s2, ttmp6, 0x4000c
	s_and_b32 s3, ttmp6, 15
	s_add_co_i32 s2, s2, 1
	s_getreg_b32 s4, hwreg(HW_REG_IB_STS2, 6, 4)
	s_mul_i32 s2, ttmp9, s2
	s_delay_alu instid0(SALU_CYCLE_1)
	s_add_co_i32 s3, s3, s2
	s_cmp_eq_u32 s4, 0
	s_cselect_b32 s2, ttmp9, s3
	s_mov_b32 s3, 0
	s_load_u8 s11, s[0:1], s2 offset:0x600
	s_add_nc_u64 s[4:5], s[0:1], s[2:3]
	s_mul_u64 s[6:7], s[2:3], 3
	s_mov_b32 s15, s3
	s_add_nc_u64 s[4:5], s[4:5], s[6:7]
	s_load_b32 s10, s[4:5], 0x740
	s_wait_kmcnt 0x0
	s_clause 0x2
	s_load_b64 s[6:7], s[0:1], s11 offset:0x0 scale_offset
	s_load_b64 s[8:9], s[0:1], s11 offset:0x200 scale_offset
	s_load_b64 s[12:13], s[0:1], s11 offset:0x400 scale_offset
	s_wait_xcnt 0x0
	s_ashr_i32 s11, s10, 31
	s_delay_alu instid0(SALU_CYCLE_1)
	s_lshl_b64 s[4:5], s[10:11], 17
	s_wait_kmcnt 0x0
	s_and_b64 s[18:19], s[8:9], 7
	s_add_nc_u64 s[16:17], s[6:7], s[4:5]
	s_and_b32 s14, s12, 3
	s_and_b32 s2, s16, 7
	s_or_b64 s[14:15], s[18:19], s[14:15]
	s_lshl_b64 s[10:11], s[10:11], 16
	s_or_b64 s[2:3], s[14:15], s[2:3]
	s_sub_nc_u64 s[10:11], s[12:13], s[10:11]
	s_cmp_eq_u64 s[2:3], 0
	s_mov_b32 s2, -1
	s_cbranch_scc0 .LBB27_5
; %bb.1:
	v_min_i64 v[2:3], 0x10000, s[10:11]
	v_dual_mov_b32 v5, 0 :: v_dual_lshlrev_b32 v4, 2, v0
	s_mov_b32 s3, exec_lo
	s_delay_alu instid0(VALU_DEP_1)
	v_cmpx_lt_i64_e64 v[4:5], v[2:3]
	s_cbranch_execz .LBB27_4
; %bb.2:
	s_load_b32 s2, s[0:1], 0xc5c
	v_dual_mov_b32 v1, v5 :: v_dual_lshlrev_b32 v4, 3, v0
	s_mov_b32 s13, 0
	s_delay_alu instid0(SALU_CYCLE_1) | instskip(NEXT) | instid1(VALU_DEP_1)
	s_mov_b32 s15, s13
	v_add_nc_u64_e32 v[4:5], s[4:5], v[4:5]
	s_delay_alu instid0(VALU_DEP_2) | instskip(SKIP_3) | instid1(SALU_CYCLE_1)
	v_mov_b64_e32 v[6:7], v[0:1]
	s_mov_b32 s16, s13
	s_wait_kmcnt 0x0
	s_and_b32 s12, s2, 0xffff
	s_lshl_b32 s14, s12, 3
.LBB27_3:                               ; =>This Inner Loop Header: Depth=1
	s_delay_alu instid0(VALU_DEP_2) | instskip(NEXT) | instid1(VALU_DEP_2)
	v_add_nc_u64_e32 v[8:9], s[6:7], v[4:5]
	v_add_nc_u64_e32 v[6:7], s[12:13], v[6:7]
	global_load_b64 v[8:9], v[8:9], off
	v_lshlrev_b64_e32 v[10:11], 2, v[6:7]
	s_wait_loadcnt 0x0
	v_lshlrev_b32_e32 v1, 16, v8
	v_alignbit_b32 v12, v9, v8, 16
	s_wait_xcnt 0x0
	v_and_b32_e32 v8, 0xffff0000, v8
	v_and_b32_e32 v9, 0xffff0000, v9
	v_floor_f32_e32 v1, v1
	v_and_b32_e32 v12, 0xffff0000, v12
	s_delay_alu instid0(VALU_DEP_4) | instskip(NEXT) | instid1(VALU_DEP_4)
	v_floor_f32_e32 v8, v8
	v_floor_f32_e32 v9, v9
	s_delay_alu instid0(VALU_DEP_4) | instskip(NEXT) | instid1(VALU_DEP_4)
	v_bfe_u32 v13, v1, 16, 1
	v_floor_f32_e32 v12, v12
	s_delay_alu instid0(VALU_DEP_4) | instskip(NEXT) | instid1(VALU_DEP_4)
	v_bfe_u32 v14, v8, 16, 1
	v_bfe_u32 v15, v9, 16, 1
	v_cmp_o_f32_e32 vcc_lo, v8, v8
	v_add3_u32 v13, v1, v13, 0x7fff
	v_bfe_u32 v16, v12, 16, 1
	v_add3_u32 v14, v8, v14, 0x7fff
	v_add3_u32 v15, v9, v15, 0x7fff
	v_cmp_o_f32_e64 s2, v1, v1
	v_lshrrev_b32_e32 v13, 16, v13
	v_add3_u32 v16, v12, v16, 0x7fff
	v_and_b32_e32 v14, 0xffff0000, v14
	v_and_b32_e32 v15, 0xffff0000, v15
	s_delay_alu instid0(VALU_DEP_4) | instskip(NEXT) | instid1(VALU_DEP_3)
	v_cndmask_b32_e64 v13, 0x7fc0, v13, s2
	v_dual_cndmask_b32 v8, 0x7fc00000, v14 :: v_dual_lshrrev_b32 v1, 16, v16
	v_cmp_o_f32_e32 vcc_lo, v9, v9
	s_delay_alu instid0(VALU_DEP_4) | instskip(SKIP_1) | instid1(VALU_DEP_4)
	v_cndmask_b32_e32 v14, 0x7fc00000, v15, vcc_lo
	v_cmp_o_f32_e32 vcc_lo, v12, v12
	v_or_b32_e32 v12, v13, v8
	v_add_nc_u64_e32 v[8:9], s[8:9], v[4:5]
	v_add_nc_u64_e32 v[4:5], s[14:15], v[4:5]
	v_cndmask_b32_e32 v1, 0x7fc0, v1, vcc_lo
	v_cmp_ge_i64_e32 vcc_lo, v[10:11], v[2:3]
	v_or3_b32 v10, v12, 0, 0
	s_delay_alu instid0(VALU_DEP_3)
	v_or3_b32 v11, 0, v1, v14
	s_or_b32 s16, vcc_lo, s16
	global_store_b64 v[8:9], v[10:11], off
	s_wait_xcnt 0x0
	s_and_not1_b32 exec_lo, exec_lo, s16
	s_cbranch_execnz .LBB27_3
.LBB27_4:
	s_or_b32 exec_lo, exec_lo, s3
	s_mov_b32 s2, 0
.LBB27_5:
	s_delay_alu instid0(SALU_CYCLE_1)
	s_and_not1_b32 vcc_lo, exec_lo, s2
	s_cbranch_vccnz .LBB27_25
; %bb.6:
	v_cmp_lt_i64_e64 s2, s[10:11], 1
	s_and_b32 vcc_lo, exec_lo, s2
	s_cbranch_vccnz .LBB27_25
; %bb.7:
	s_load_b32 s0, s[0:1], 0xc5c
	v_min_i64 v[2:3], 0x10000, s[10:11]
	v_min_u64 v[4:5], 0x10000, s[10:11]
	v_dual_mov_b32 v1, 0 :: v_dual_lshlrev_b32 v10, 1, v0
	s_wait_xcnt 0x0
	s_mov_b32 s1, 0
	s_delay_alu instid0(SALU_CYCLE_1) | instskip(NEXT) | instid1(VALU_DEP_1)
	s_mov_b32 s11, s1
	v_dual_mov_b32 v11, v1 :: v_dual_mov_b32 v27, v1
	s_mov_b32 s3, s1
	s_mov_b32 s13, s1
	s_delay_alu instid0(VALU_DEP_1) | instskip(SKIP_2) | instid1(SALU_CYCLE_1)
	v_add_nc_u64_e32 v[6:7], s[6:7], v[10:11]
	s_wait_kmcnt 0x0
	s_and_b32 s0, s0, 0xffff
	v_add_nc_u64_e32 v[8:9], s[0:1], v[0:1]
	v_mad_nc_u64_u32 v[22:23], s0, 6, v[10:11]
	s_lshl_b32 s10, s0, 2
	s_mul_i32 s12, s0, 3
	v_add_nc_u64_e32 v[18:19], s[10:11], v[10:11]
	s_lshl_b32 s2, s0, 1
	v_add_nc_u64_e32 v[10:11], s[8:9], v[10:11]
	v_lshlrev_b32_e32 v26, 1, v8
	v_add_nc_u64_e32 v[12:13], s[12:13], v[0:1]
	v_add_nc_u64_e32 v[14:15], s[2:3], v[0:1]
	;; [unrolled: 1-line block ×8, first 2 shown]
	s_lshl_b32 s6, s0, 3
	s_mov_b32 s7, s1
	s_mov_b64 s[8:9], 0
	s_branch .LBB27_9
.LBB27_8:                               ;   in Loop: Header=BB27_9 Depth=1
	s_wait_xcnt 0x0
	s_or_b32 exec_lo, exec_lo, s0
	s_add_nc_u64 s[8:9], s[8:9], s[10:11]
	v_add_nc_u64_e32 v[6:7], s[6:7], v[6:7]
	v_cmp_ge_i64_e32 vcc_lo, s[8:9], v[2:3]
	v_add_nc_u64_e32 v[10:11], s[6:7], v[10:11]
	v_add_nc_u64_e32 v[20:21], s[6:7], v[20:21]
	;; [unrolled: 1-line block ×7, first 2 shown]
	s_cbranch_vccnz .LBB27_25
.LBB27_9:                               ; =>This Inner Loop Header: Depth=1
	v_add_nc_u64_e32 v[28:29], s[8:9], v[0:1]
	s_delay_alu instid0(VALU_DEP_1)
	v_cmp_lt_u64_e32 vcc_lo, v[28:29], v[4:5]
	v_mov_b32_e32 v29, 0
	s_and_saveexec_b32 s0, vcc_lo
	s_cbranch_execz .LBB27_11
; %bb.10:                               ;   in Loop: Header=BB27_9 Depth=1
	v_add_nc_u64_e32 v[28:29], s[4:5], v[6:7]
	global_load_u16 v28, v[28:29], off
	s_wait_loadcnt 0x0
	v_lshlrev_b32_e32 v28, 16, v28
	s_delay_alu instid0(VALU_DEP_1)
	v_floor_f32_e32 v29, v28
.LBB27_11:                              ;   in Loop: Header=BB27_9 Depth=1
	s_or_b32 exec_lo, exec_lo, s0
	v_add_nc_u64_e32 v[30:31], s[8:9], v[8:9]
	v_mov_b32_e32 v28, 0
	s_delay_alu instid0(VALU_DEP_2)
	v_cmp_lt_u64_e64 s0, v[30:31], v[4:5]
	v_mov_b32_e32 v30, 0
	s_and_saveexec_b32 s1, s0
	s_cbranch_execz .LBB27_13
; %bb.12:                               ;   in Loop: Header=BB27_9 Depth=1
	v_add_nc_u64_e32 v[30:31], s[4:5], v[24:25]
	global_load_u16 v30, v[30:31], off
	s_wait_loadcnt 0x0
	v_lshlrev_b32_e32 v30, 16, v30
	s_delay_alu instid0(VALU_DEP_1)
	v_floor_f32_e32 v30, v30
.LBB27_13:                              ;   in Loop: Header=BB27_9 Depth=1
	s_or_b32 exec_lo, exec_lo, s1
	v_add_nc_u64_e32 v[32:33], s[8:9], v[14:15]
	s_delay_alu instid0(VALU_DEP_1)
	v_cmp_lt_u64_e64 s1, v[32:33], v[4:5]
	s_and_saveexec_b32 s2, s1
	s_cbranch_execz .LBB27_15
; %bb.14:                               ;   in Loop: Header=BB27_9 Depth=1
	v_add_nc_u64_e32 v[32:33], s[4:5], v[16:17]
	global_load_u16 v28, v[32:33], off
	s_wait_loadcnt 0x0
	v_lshlrev_b32_e32 v28, 16, v28
	s_delay_alu instid0(VALU_DEP_1)
	v_floor_f32_e32 v28, v28
.LBB27_15:                              ;   in Loop: Header=BB27_9 Depth=1
	s_wait_xcnt 0x0
	s_or_b32 exec_lo, exec_lo, s2
	v_add_nc_u64_e32 v[32:33], s[8:9], v[12:13]
	v_mov_b32_e32 v31, 0
	s_delay_alu instid0(VALU_DEP_2)
	v_cmp_lt_u64_e64 s2, v[32:33], v[4:5]
	s_and_saveexec_b32 s3, s2
	s_cbranch_execnz .LBB27_20
; %bb.16:                               ;   in Loop: Header=BB27_9 Depth=1
	s_or_b32 exec_lo, exec_lo, s3
	s_and_saveexec_b32 s3, vcc_lo
	s_cbranch_execnz .LBB27_21
.LBB27_17:                              ;   in Loop: Header=BB27_9 Depth=1
	s_or_b32 exec_lo, exec_lo, s3
	s_and_saveexec_b32 s3, s0
	s_cbranch_execnz .LBB27_22
.LBB27_18:                              ;   in Loop: Header=BB27_9 Depth=1
	s_or_b32 exec_lo, exec_lo, s3
	s_and_saveexec_b32 s0, s1
	s_cbranch_execnz .LBB27_23
.LBB27_19:                              ;   in Loop: Header=BB27_9 Depth=1
	s_or_b32 exec_lo, exec_lo, s0
	s_and_saveexec_b32 s0, s2
	s_cbranch_execz .LBB27_8
	s_branch .LBB27_24
.LBB27_20:                              ;   in Loop: Header=BB27_9 Depth=1
	v_add_nc_u64_e32 v[32:33], s[4:5], v[20:21]
	global_load_u16 v31, v[32:33], off
	s_wait_loadcnt 0x0
	v_lshlrev_b32_e32 v31, 16, v31
	s_delay_alu instid0(VALU_DEP_1)
	v_floor_f32_e32 v31, v31
	s_wait_xcnt 0x0
	s_or_b32 exec_lo, exec_lo, s3
	s_and_saveexec_b32 s3, vcc_lo
	s_cbranch_execz .LBB27_17
.LBB27_21:                              ;   in Loop: Header=BB27_9 Depth=1
	v_bfe_u32 v32, v29, 16, 1
	v_cmp_o_f32_e32 vcc_lo, v29, v29
	s_delay_alu instid0(VALU_DEP_2) | instskip(NEXT) | instid1(VALU_DEP_1)
	v_add3_u32 v32, v29, v32, 0x7fff
	v_lshrrev_b32_e32 v34, 16, v32
	v_add_nc_u64_e32 v[32:33], s[4:5], v[10:11]
	s_delay_alu instid0(VALU_DEP_2)
	v_cndmask_b32_e32 v29, 0x7fc0, v34, vcc_lo
	global_store_b16 v[32:33], v29, off
	s_wait_xcnt 0x0
	s_or_b32 exec_lo, exec_lo, s3
	s_and_saveexec_b32 s3, s0
	s_cbranch_execz .LBB27_18
.LBB27_22:                              ;   in Loop: Header=BB27_9 Depth=1
	v_bfe_u32 v29, v30, 16, 1
	v_cmp_o_f32_e32 vcc_lo, v30, v30
	v_add_nc_u64_e32 v[32:33], s[4:5], v[26:27]
	s_delay_alu instid0(VALU_DEP_3) | instskip(NEXT) | instid1(VALU_DEP_1)
	v_add3_u32 v29, v30, v29, 0x7fff
	v_lshrrev_b32_e32 v29, 16, v29
	s_delay_alu instid0(VALU_DEP_1)
	v_cndmask_b32_e32 v29, 0x7fc0, v29, vcc_lo
	global_store_b16 v[32:33], v29, off
	s_wait_xcnt 0x0
	s_or_b32 exec_lo, exec_lo, s3
	s_and_saveexec_b32 s0, s1
	s_cbranch_execz .LBB27_19
.LBB27_23:                              ;   in Loop: Header=BB27_9 Depth=1
	v_bfe_u32 v29, v28, 16, 1
	v_cmp_o_f32_e32 vcc_lo, v28, v28
	v_add_nc_u64_e32 v[32:33], s[4:5], v[18:19]
	s_delay_alu instid0(VALU_DEP_3) | instskip(NEXT) | instid1(VALU_DEP_1)
	v_add3_u32 v29, v28, v29, 0x7fff
	v_lshrrev_b32_e32 v29, 16, v29
	s_delay_alu instid0(VALU_DEP_1)
	v_cndmask_b32_e32 v28, 0x7fc0, v29, vcc_lo
	global_store_b16 v[32:33], v28, off
	s_wait_xcnt 0x0
	s_or_b32 exec_lo, exec_lo, s0
	s_and_saveexec_b32 s0, s2
	s_cbranch_execz .LBB27_8
.LBB27_24:                              ;   in Loop: Header=BB27_9 Depth=1
	v_bfe_u32 v28, v31, 16, 1
	v_cmp_o_f32_e32 vcc_lo, v31, v31
	s_delay_alu instid0(VALU_DEP_2) | instskip(NEXT) | instid1(VALU_DEP_1)
	v_add3_u32 v28, v31, v28, 0x7fff
	v_lshrrev_b32_e32 v30, 16, v28
	v_add_nc_u64_e32 v[28:29], s[4:5], v[22:23]
	s_delay_alu instid0(VALU_DEP_2)
	v_cndmask_b32_e32 v30, 0x7fc0, v30, vcc_lo
	global_store_b16 v[28:29], v30, off
	s_branch .LBB27_8
.LBB27_25:
	s_endpgm
	.section	.rodata,"a",@progbits
	.p2align	6, 0x0
	.amdhsa_kernel _ZN2at6native12_GLOBAL__N_125multi_tensor_apply_kernelINS1_18TensorListMetadataILi2EEENS1_14UnaryOpFunctorIN3c108BFloat16ELi2ELi1ELi1EEEJNS0_5FloorIfEEEEEvT_T0_DpT1_
		.amdhsa_group_segment_fixed_size 0
		.amdhsa_private_segment_fixed_size 0
		.amdhsa_kernarg_size 3408
		.amdhsa_user_sgpr_count 2
		.amdhsa_user_sgpr_dispatch_ptr 0
		.amdhsa_user_sgpr_queue_ptr 0
		.amdhsa_user_sgpr_kernarg_segment_ptr 1
		.amdhsa_user_sgpr_dispatch_id 0
		.amdhsa_user_sgpr_kernarg_preload_length 0
		.amdhsa_user_sgpr_kernarg_preload_offset 0
		.amdhsa_user_sgpr_private_segment_size 0
		.amdhsa_wavefront_size32 1
		.amdhsa_uses_dynamic_stack 0
		.amdhsa_enable_private_segment 0
		.amdhsa_system_sgpr_workgroup_id_x 1
		.amdhsa_system_sgpr_workgroup_id_y 0
		.amdhsa_system_sgpr_workgroup_id_z 0
		.amdhsa_system_sgpr_workgroup_info 0
		.amdhsa_system_vgpr_workitem_id 0
		.amdhsa_next_free_vgpr 35
		.amdhsa_next_free_sgpr 20
		.amdhsa_named_barrier_count 0
		.amdhsa_reserve_vcc 1
		.amdhsa_float_round_mode_32 0
		.amdhsa_float_round_mode_16_64 0
		.amdhsa_float_denorm_mode_32 3
		.amdhsa_float_denorm_mode_16_64 3
		.amdhsa_fp16_overflow 0
		.amdhsa_memory_ordered 1
		.amdhsa_forward_progress 1
		.amdhsa_inst_pref_size 12
		.amdhsa_round_robin_scheduling 0
		.amdhsa_exception_fp_ieee_invalid_op 0
		.amdhsa_exception_fp_denorm_src 0
		.amdhsa_exception_fp_ieee_div_zero 0
		.amdhsa_exception_fp_ieee_overflow 0
		.amdhsa_exception_fp_ieee_underflow 0
		.amdhsa_exception_fp_ieee_inexact 0
		.amdhsa_exception_int_div_zero 0
	.end_amdhsa_kernel
	.section	.text._ZN2at6native12_GLOBAL__N_125multi_tensor_apply_kernelINS1_18TensorListMetadataILi2EEENS1_14UnaryOpFunctorIN3c108BFloat16ELi2ELi1ELi1EEEJNS0_5FloorIfEEEEEvT_T0_DpT1_,"axG",@progbits,_ZN2at6native12_GLOBAL__N_125multi_tensor_apply_kernelINS1_18TensorListMetadataILi2EEENS1_14UnaryOpFunctorIN3c108BFloat16ELi2ELi1ELi1EEEJNS0_5FloorIfEEEEEvT_T0_DpT1_,comdat
.Lfunc_end27:
	.size	_ZN2at6native12_GLOBAL__N_125multi_tensor_apply_kernelINS1_18TensorListMetadataILi2EEENS1_14UnaryOpFunctorIN3c108BFloat16ELi2ELi1ELi1EEEJNS0_5FloorIfEEEEEvT_T0_DpT1_, .Lfunc_end27-_ZN2at6native12_GLOBAL__N_125multi_tensor_apply_kernelINS1_18TensorListMetadataILi2EEENS1_14UnaryOpFunctorIN3c108BFloat16ELi2ELi1ELi1EEEJNS0_5FloorIfEEEEEvT_T0_DpT1_
                                        ; -- End function
	.set _ZN2at6native12_GLOBAL__N_125multi_tensor_apply_kernelINS1_18TensorListMetadataILi2EEENS1_14UnaryOpFunctorIN3c108BFloat16ELi2ELi1ELi1EEEJNS0_5FloorIfEEEEEvT_T0_DpT1_.num_vgpr, 35
	.set _ZN2at6native12_GLOBAL__N_125multi_tensor_apply_kernelINS1_18TensorListMetadataILi2EEENS1_14UnaryOpFunctorIN3c108BFloat16ELi2ELi1ELi1EEEJNS0_5FloorIfEEEEEvT_T0_DpT1_.num_agpr, 0
	.set _ZN2at6native12_GLOBAL__N_125multi_tensor_apply_kernelINS1_18TensorListMetadataILi2EEENS1_14UnaryOpFunctorIN3c108BFloat16ELi2ELi1ELi1EEEJNS0_5FloorIfEEEEEvT_T0_DpT1_.numbered_sgpr, 20
	.set _ZN2at6native12_GLOBAL__N_125multi_tensor_apply_kernelINS1_18TensorListMetadataILi2EEENS1_14UnaryOpFunctorIN3c108BFloat16ELi2ELi1ELi1EEEJNS0_5FloorIfEEEEEvT_T0_DpT1_.num_named_barrier, 0
	.set _ZN2at6native12_GLOBAL__N_125multi_tensor_apply_kernelINS1_18TensorListMetadataILi2EEENS1_14UnaryOpFunctorIN3c108BFloat16ELi2ELi1ELi1EEEJNS0_5FloorIfEEEEEvT_T0_DpT1_.private_seg_size, 0
	.set _ZN2at6native12_GLOBAL__N_125multi_tensor_apply_kernelINS1_18TensorListMetadataILi2EEENS1_14UnaryOpFunctorIN3c108BFloat16ELi2ELi1ELi1EEEJNS0_5FloorIfEEEEEvT_T0_DpT1_.uses_vcc, 1
	.set _ZN2at6native12_GLOBAL__N_125multi_tensor_apply_kernelINS1_18TensorListMetadataILi2EEENS1_14UnaryOpFunctorIN3c108BFloat16ELi2ELi1ELi1EEEJNS0_5FloorIfEEEEEvT_T0_DpT1_.uses_flat_scratch, 0
	.set _ZN2at6native12_GLOBAL__N_125multi_tensor_apply_kernelINS1_18TensorListMetadataILi2EEENS1_14UnaryOpFunctorIN3c108BFloat16ELi2ELi1ELi1EEEJNS0_5FloorIfEEEEEvT_T0_DpT1_.has_dyn_sized_stack, 0
	.set _ZN2at6native12_GLOBAL__N_125multi_tensor_apply_kernelINS1_18TensorListMetadataILi2EEENS1_14UnaryOpFunctorIN3c108BFloat16ELi2ELi1ELi1EEEJNS0_5FloorIfEEEEEvT_T0_DpT1_.has_recursion, 0
	.set _ZN2at6native12_GLOBAL__N_125multi_tensor_apply_kernelINS1_18TensorListMetadataILi2EEENS1_14UnaryOpFunctorIN3c108BFloat16ELi2ELi1ELi1EEEJNS0_5FloorIfEEEEEvT_T0_DpT1_.has_indirect_call, 0
	.section	.AMDGPU.csdata,"",@progbits
; Kernel info:
; codeLenInByte = 1488
; TotalNumSgprs: 22
; NumVgprs: 35
; ScratchSize: 0
; MemoryBound: 0
; FloatMode: 240
; IeeeMode: 1
; LDSByteSize: 0 bytes/workgroup (compile time only)
; SGPRBlocks: 0
; VGPRBlocks: 2
; NumSGPRsForWavesPerEU: 22
; NumVGPRsForWavesPerEU: 35
; NamedBarCnt: 0
; Occupancy: 16
; WaveLimiterHint : 0
; COMPUTE_PGM_RSRC2:SCRATCH_EN: 0
; COMPUTE_PGM_RSRC2:USER_SGPR: 2
; COMPUTE_PGM_RSRC2:TRAP_HANDLER: 0
; COMPUTE_PGM_RSRC2:TGID_X_EN: 1
; COMPUTE_PGM_RSRC2:TGID_Y_EN: 0
; COMPUTE_PGM_RSRC2:TGID_Z_EN: 0
; COMPUTE_PGM_RSRC2:TIDIG_COMP_CNT: 0
	.section	.text._ZN2at6native12_GLOBAL__N_125multi_tensor_apply_kernelINS1_18TensorListMetadataILi1EEENS1_14UnaryOpFunctorIdLi1ELi1ELi0EEEJNS0_5FloorIdEEEEEvT_T0_DpT1_,"axG",@progbits,_ZN2at6native12_GLOBAL__N_125multi_tensor_apply_kernelINS1_18TensorListMetadataILi1EEENS1_14UnaryOpFunctorIdLi1ELi1ELi0EEEJNS0_5FloorIdEEEEEvT_T0_DpT1_,comdat
	.globl	_ZN2at6native12_GLOBAL__N_125multi_tensor_apply_kernelINS1_18TensorListMetadataILi1EEENS1_14UnaryOpFunctorIdLi1ELi1ELi0EEEJNS0_5FloorIdEEEEEvT_T0_DpT1_ ; -- Begin function _ZN2at6native12_GLOBAL__N_125multi_tensor_apply_kernelINS1_18TensorListMetadataILi1EEENS1_14UnaryOpFunctorIdLi1ELi1ELi0EEEJNS0_5FloorIdEEEEEvT_T0_DpT1_
	.p2align	8
	.type	_ZN2at6native12_GLOBAL__N_125multi_tensor_apply_kernelINS1_18TensorListMetadataILi1EEENS1_14UnaryOpFunctorIdLi1ELi1ELi0EEEJNS0_5FloorIdEEEEEvT_T0_DpT1_,@function
_ZN2at6native12_GLOBAL__N_125multi_tensor_apply_kernelINS1_18TensorListMetadataILi1EEENS1_14UnaryOpFunctorIdLi1ELi1ELi0EEEJNS0_5FloorIdEEEEEvT_T0_DpT1_: ; @_ZN2at6native12_GLOBAL__N_125multi_tensor_apply_kernelINS1_18TensorListMetadataILi1EEENS1_14UnaryOpFunctorIdLi1ELi1ELi0EEEJNS0_5FloorIdEEEEEvT_T0_DpT1_
; %bb.0:
	s_bfe_u32 s2, ttmp6, 0x4000c
	s_and_b32 s3, ttmp6, 15
	s_add_co_i32 s2, s2, 1
	s_getreg_b32 s4, hwreg(HW_REG_IB_STS2, 6, 4)
	s_mul_i32 s2, ttmp9, s2
	s_delay_alu instid0(SALU_CYCLE_1)
	s_add_co_i32 s3, s3, s2
	s_cmp_eq_u32 s4, 0
	s_cselect_b32 s2, ttmp9, s3
	s_mov_b32 s3, 0
	s_load_u8 s8, s[0:1], s2 offset:0x6e0
	s_add_nc_u64 s[4:5], s[0:1], s[2:3]
	s_mul_u64 s[6:7], s[2:3], 3
	s_delay_alu instid0(SALU_CYCLE_1)
	s_add_nc_u64 s[4:5], s[4:5], s[6:7]
	s_load_b32 s10, s[4:5], 0x820
	s_wait_kmcnt 0x0
	s_clause 0x1
	s_load_b64 s[6:7], s[0:1], s8 offset:0x0 scale_offset
	s_load_b64 s[12:13], s[0:1], s8 offset:0x370 scale_offset
	s_ashr_i32 s11, s10, 31
	s_wait_kmcnt 0x0
	s_and_b64 s[4:5], s[6:7], 31
	s_and_b32 s2, s12, 3
	s_lshl_b64 s[8:9], s[10:11], 19
	s_or_b64 s[2:3], s[4:5], s[2:3]
	s_lshl_b64 s[4:5], s[10:11], 16
	s_cmp_eq_u64 s[2:3], 0
	s_sub_nc_u64 s[10:11], s[12:13], s[4:5]
	s_cbranch_scc1 .LBB28_21
; %bb.1:
	v_cmp_lt_i64_e64 s2, s[10:11], 1
	s_and_b32 vcc_lo, exec_lo, s2
	s_cbranch_vccnz .LBB28_20
; %bb.2:
	s_load_b32 s4, s[0:1], 0xd3c
	v_min_i64 v[2:3], 0x10000, s[10:11]
	v_min_u64 v[4:5], 0x10000, s[10:11]
	v_dual_mov_b32 v1, 0 :: v_dual_lshlrev_b32 v8, 3, v0
	s_mov_b32 s19, 0
	s_add_nc_u64 s[2:3], s[6:7], s[8:9]
	s_mov_b32 s5, s19
	s_delay_alu instid0(VALU_DEP_1)
	v_mov_b32_e32 v15, v1
	s_mov_b32 s17, s19
	s_mov_b32 s13, s19
	;; [unrolled: 1-line block ×3, first 2 shown]
	s_mov_b64 s[20:21], 0
	s_wait_kmcnt 0x0
	s_and_b32 s18, s4, 0xffff
	s_delay_alu instid0(SALU_CYCLE_1)
	v_add_nc_u64_e32 v[6:7], s[18:19], v[0:1]
	v_mov_b32_e32 v9, v1
	s_lshl_b32 s4, s18, 1
	s_mul_i32 s16, s18, 3
	v_add_nc_u64_e32 v[12:13], s[4:5], v[0:1]
	v_add_nc_u64_e32 v[10:11], s[16:17], v[0:1]
	s_lshl_b32 s12, s18, 2
	v_lshlrev_b32_e32 v14, 3, v6
	v_add_nc_u64_e32 v[8:9], s[2:3], v[8:9]
	s_lshl_b32 s14, s18, 5
	s_mul_u64 s[16:17], s[18:19], 24
	s_lshl_b32 s18, s18, 4
	v_add_nc_u64_e32 v[14:15], s[2:3], v[14:15]
	s_branch .LBB28_4
.LBB28_3:                               ;   in Loop: Header=BB28_4 Depth=1
	s_wait_xcnt 0x0
	s_or_b32 exec_lo, exec_lo, s2
	s_add_nc_u64 s[20:21], s[20:21], s[12:13]
	v_add_nc_u64_e32 v[8:9], s[14:15], v[8:9]
	v_cmp_lt_i64_e32 vcc_lo, s[20:21], v[2:3]
	v_add_nc_u64_e32 v[14:15], s[14:15], v[14:15]
	s_cbranch_vccz .LBB28_20
.LBB28_4:                               ; =>This Inner Loop Header: Depth=1
	v_add_nc_u64_e32 v[18:19], s[20:21], v[0:1]
	v_mov_b64_e32 v[16:17], 0
	s_delay_alu instid0(VALU_DEP_2)
	v_cmp_lt_u64_e32 vcc_lo, v[18:19], v[4:5]
	v_mov_b64_e32 v[18:19], 0
	s_and_saveexec_b32 s2, vcc_lo
	s_cbranch_execz .LBB28_6
; %bb.5:                                ;   in Loop: Header=BB28_4 Depth=1
	global_load_b64 v[18:19], v[8:9], off
	s_wait_loadcnt 0x0
	v_floor_f64_e32 v[18:19], v[18:19]
.LBB28_6:                               ;   in Loop: Header=BB28_4 Depth=1
	s_wait_xcnt 0x0
	s_or_b32 exec_lo, exec_lo, s2
	v_add_nc_u64_e32 v[20:21], s[20:21], v[6:7]
	s_delay_alu instid0(VALU_DEP_1)
	v_cmp_lt_u64_e64 s2, v[20:21], v[4:5]
	s_and_saveexec_b32 s3, s2
	s_cbranch_execz .LBB28_8
; %bb.7:                                ;   in Loop: Header=BB28_4 Depth=1
	global_load_b64 v[16:17], v[14:15], off
	s_wait_loadcnt 0x0
	v_floor_f64_e32 v[16:17], v[16:17]
.LBB28_8:                               ;   in Loop: Header=BB28_4 Depth=1
	s_wait_xcnt 0x0
	s_or_b32 exec_lo, exec_lo, s3
	v_add_nc_u64_e32 v[24:25], s[20:21], v[12:13]
	v_mov_b64_e32 v[20:21], 0
	v_add_nc_u64_e32 v[22:23], s[18:19], v[8:9]
	s_delay_alu instid0(VALU_DEP_3)
	v_cmp_lt_u64_e64 s3, v[24:25], v[4:5]
	v_mov_b64_e32 v[24:25], 0
	s_and_saveexec_b32 s4, s3
	s_cbranch_execz .LBB28_10
; %bb.9:                                ;   in Loop: Header=BB28_4 Depth=1
	global_load_b64 v[24:25], v[22:23], off
	s_wait_loadcnt 0x0
	v_floor_f64_e32 v[24:25], v[24:25]
.LBB28_10:                              ;   in Loop: Header=BB28_4 Depth=1
	s_wait_xcnt 0x0
	s_or_b32 exec_lo, exec_lo, s4
	v_add_nc_u64_e32 v[26:27], s[20:21], v[10:11]
	s_delay_alu instid0(VALU_DEP_1)
	v_cmp_lt_u64_e64 s4, v[26:27], v[4:5]
	v_add_nc_u64_e32 v[26:27], s[16:17], v[8:9]
	s_and_saveexec_b32 s5, s4
	s_cbranch_execnz .LBB28_15
; %bb.11:                               ;   in Loop: Header=BB28_4 Depth=1
	s_or_b32 exec_lo, exec_lo, s5
	s_and_saveexec_b32 s5, vcc_lo
	s_cbranch_execnz .LBB28_16
.LBB28_12:                              ;   in Loop: Header=BB28_4 Depth=1
	s_or_b32 exec_lo, exec_lo, s5
	s_and_saveexec_b32 s5, s2
	s_cbranch_execnz .LBB28_17
.LBB28_13:                              ;   in Loop: Header=BB28_4 Depth=1
	s_or_b32 exec_lo, exec_lo, s5
	s_and_saveexec_b32 s2, s3
	s_cbranch_execnz .LBB28_18
.LBB28_14:                              ;   in Loop: Header=BB28_4 Depth=1
	s_or_b32 exec_lo, exec_lo, s2
	s_and_saveexec_b32 s2, s4
	s_cbranch_execz .LBB28_3
	s_branch .LBB28_19
.LBB28_15:                              ;   in Loop: Header=BB28_4 Depth=1
	global_load_b64 v[20:21], v[26:27], off
	s_wait_loadcnt 0x0
	v_floor_f64_e32 v[20:21], v[20:21]
	s_wait_xcnt 0x0
	s_or_b32 exec_lo, exec_lo, s5
	s_and_saveexec_b32 s5, vcc_lo
	s_cbranch_execz .LBB28_12
.LBB28_16:                              ;   in Loop: Header=BB28_4 Depth=1
	global_store_b64 v[8:9], v[18:19], off
	s_wait_xcnt 0x0
	s_or_b32 exec_lo, exec_lo, s5
	s_and_saveexec_b32 s5, s2
	s_cbranch_execz .LBB28_13
.LBB28_17:                              ;   in Loop: Header=BB28_4 Depth=1
	global_store_b64 v[14:15], v[16:17], off
	s_wait_xcnt 0x0
	s_or_b32 exec_lo, exec_lo, s5
	s_and_saveexec_b32 s2, s3
	s_cbranch_execz .LBB28_14
.LBB28_18:                              ;   in Loop: Header=BB28_4 Depth=1
	global_store_b64 v[22:23], v[24:25], off
	s_wait_xcnt 0x0
	s_or_b32 exec_lo, exec_lo, s2
	s_and_saveexec_b32 s2, s4
	s_cbranch_execz .LBB28_3
.LBB28_19:                              ;   in Loop: Header=BB28_4 Depth=1
	global_store_b64 v[26:27], v[20:21], off
	s_branch .LBB28_3
.LBB28_20:
	s_cbranch_execz .LBB28_22
	s_branch .LBB28_25
.LBB28_21:
.LBB28_22:
	v_min_i64 v[2:3], 0x10000, s[10:11]
	v_dual_mov_b32 v5, 0 :: v_dual_lshlrev_b32 v4, 2, v0
	s_mov_b32 s2, exec_lo
	s_delay_alu instid0(VALU_DEP_1)
	v_cmpx_lt_i64_e64 v[4:5], v[2:3]
	s_cbranch_execz .LBB28_25
; %bb.23:
	s_load_b32 s2, s[0:1], 0xd3c
	v_dual_mov_b32 v1, v5 :: v_dual_lshlrev_b32 v4, 5, v0
	s_wait_xcnt 0x0
	s_add_nc_u64 s[0:1], s[6:7], s[8:9]
	s_delay_alu instid0(VALU_DEP_1) | instid1(SALU_CYCLE_1)
	v_add_nc_u64_e32 v[6:7], s[0:1], v[4:5]
	s_mov_b32 s1, 0
	s_delay_alu instid0(SALU_CYCLE_1) | instskip(SKIP_1) | instid1(VALU_DEP_1)
	s_mov_b32 s3, s1
	s_mov_b32 s4, s1
	v_add_nc_u64_e32 v[4:5], 16, v[6:7]
	s_wait_kmcnt 0x0
	s_and_b32 s0, s2, 0xffff
	s_delay_alu instid0(SALU_CYCLE_1)
	s_lshl_b32 s2, s0, 5
.LBB28_24:                              ; =>This Inner Loop Header: Depth=1
	s_clause 0x1
	global_load_b128 v[6:9], v[4:5], off offset:-16
	global_load_b128 v[10:13], v[4:5], off
	v_add_nc_u64_e32 v[0:1], s[0:1], v[0:1]
	s_delay_alu instid0(VALU_DEP_1) | instskip(NEXT) | instid1(VALU_DEP_1)
	v_lshlrev_b64_e32 v[14:15], 2, v[0:1]
	v_cmp_ge_i64_e32 vcc_lo, v[14:15], v[2:3]
	s_or_b32 s4, vcc_lo, s4
	s_wait_loadcnt 0x1
	v_floor_f64_e32 v[6:7], v[6:7]
	v_floor_f64_e32 v[8:9], v[8:9]
	s_wait_loadcnt 0x0
	v_floor_f64_e32 v[10:11], v[10:11]
	v_floor_f64_e32 v[12:13], v[12:13]
	s_clause 0x1
	global_store_b128 v[4:5], v[6:9], off offset:-16
	global_store_b128 v[4:5], v[10:13], off
	s_wait_xcnt 0x0
	v_add_nc_u64_e32 v[4:5], s[2:3], v[4:5]
	s_and_not1_b32 exec_lo, exec_lo, s4
	s_cbranch_execnz .LBB28_24
.LBB28_25:
	s_endpgm
	.section	.rodata,"a",@progbits
	.p2align	6, 0x0
	.amdhsa_kernel _ZN2at6native12_GLOBAL__N_125multi_tensor_apply_kernelINS1_18TensorListMetadataILi1EEENS1_14UnaryOpFunctorIdLi1ELi1ELi0EEEJNS0_5FloorIdEEEEEvT_T0_DpT1_
		.amdhsa_group_segment_fixed_size 0
		.amdhsa_private_segment_fixed_size 0
		.amdhsa_kernarg_size 3632
		.amdhsa_user_sgpr_count 2
		.amdhsa_user_sgpr_dispatch_ptr 0
		.amdhsa_user_sgpr_queue_ptr 0
		.amdhsa_user_sgpr_kernarg_segment_ptr 1
		.amdhsa_user_sgpr_dispatch_id 0
		.amdhsa_user_sgpr_kernarg_preload_length 0
		.amdhsa_user_sgpr_kernarg_preload_offset 0
		.amdhsa_user_sgpr_private_segment_size 0
		.amdhsa_wavefront_size32 1
		.amdhsa_uses_dynamic_stack 0
		.amdhsa_enable_private_segment 0
		.amdhsa_system_sgpr_workgroup_id_x 1
		.amdhsa_system_sgpr_workgroup_id_y 0
		.amdhsa_system_sgpr_workgroup_id_z 0
		.amdhsa_system_sgpr_workgroup_info 0
		.amdhsa_system_vgpr_workitem_id 0
		.amdhsa_next_free_vgpr 28
		.amdhsa_next_free_sgpr 22
		.amdhsa_named_barrier_count 0
		.amdhsa_reserve_vcc 1
		.amdhsa_float_round_mode_32 0
		.amdhsa_float_round_mode_16_64 0
		.amdhsa_float_denorm_mode_32 3
		.amdhsa_float_denorm_mode_16_64 3
		.amdhsa_fp16_overflow 0
		.amdhsa_memory_ordered 1
		.amdhsa_forward_progress 1
		.amdhsa_inst_pref_size 8
		.amdhsa_round_robin_scheduling 0
		.amdhsa_exception_fp_ieee_invalid_op 0
		.amdhsa_exception_fp_denorm_src 0
		.amdhsa_exception_fp_ieee_div_zero 0
		.amdhsa_exception_fp_ieee_overflow 0
		.amdhsa_exception_fp_ieee_underflow 0
		.amdhsa_exception_fp_ieee_inexact 0
		.amdhsa_exception_int_div_zero 0
	.end_amdhsa_kernel
	.section	.text._ZN2at6native12_GLOBAL__N_125multi_tensor_apply_kernelINS1_18TensorListMetadataILi1EEENS1_14UnaryOpFunctorIdLi1ELi1ELi0EEEJNS0_5FloorIdEEEEEvT_T0_DpT1_,"axG",@progbits,_ZN2at6native12_GLOBAL__N_125multi_tensor_apply_kernelINS1_18TensorListMetadataILi1EEENS1_14UnaryOpFunctorIdLi1ELi1ELi0EEEJNS0_5FloorIdEEEEEvT_T0_DpT1_,comdat
.Lfunc_end28:
	.size	_ZN2at6native12_GLOBAL__N_125multi_tensor_apply_kernelINS1_18TensorListMetadataILi1EEENS1_14UnaryOpFunctorIdLi1ELi1ELi0EEEJNS0_5FloorIdEEEEEvT_T0_DpT1_, .Lfunc_end28-_ZN2at6native12_GLOBAL__N_125multi_tensor_apply_kernelINS1_18TensorListMetadataILi1EEENS1_14UnaryOpFunctorIdLi1ELi1ELi0EEEJNS0_5FloorIdEEEEEvT_T0_DpT1_
                                        ; -- End function
	.set _ZN2at6native12_GLOBAL__N_125multi_tensor_apply_kernelINS1_18TensorListMetadataILi1EEENS1_14UnaryOpFunctorIdLi1ELi1ELi0EEEJNS0_5FloorIdEEEEEvT_T0_DpT1_.num_vgpr, 28
	.set _ZN2at6native12_GLOBAL__N_125multi_tensor_apply_kernelINS1_18TensorListMetadataILi1EEENS1_14UnaryOpFunctorIdLi1ELi1ELi0EEEJNS0_5FloorIdEEEEEvT_T0_DpT1_.num_agpr, 0
	.set _ZN2at6native12_GLOBAL__N_125multi_tensor_apply_kernelINS1_18TensorListMetadataILi1EEENS1_14UnaryOpFunctorIdLi1ELi1ELi0EEEJNS0_5FloorIdEEEEEvT_T0_DpT1_.numbered_sgpr, 22
	.set _ZN2at6native12_GLOBAL__N_125multi_tensor_apply_kernelINS1_18TensorListMetadataILi1EEENS1_14UnaryOpFunctorIdLi1ELi1ELi0EEEJNS0_5FloorIdEEEEEvT_T0_DpT1_.num_named_barrier, 0
	.set _ZN2at6native12_GLOBAL__N_125multi_tensor_apply_kernelINS1_18TensorListMetadataILi1EEENS1_14UnaryOpFunctorIdLi1ELi1ELi0EEEJNS0_5FloorIdEEEEEvT_T0_DpT1_.private_seg_size, 0
	.set _ZN2at6native12_GLOBAL__N_125multi_tensor_apply_kernelINS1_18TensorListMetadataILi1EEENS1_14UnaryOpFunctorIdLi1ELi1ELi0EEEJNS0_5FloorIdEEEEEvT_T0_DpT1_.uses_vcc, 1
	.set _ZN2at6native12_GLOBAL__N_125multi_tensor_apply_kernelINS1_18TensorListMetadataILi1EEENS1_14UnaryOpFunctorIdLi1ELi1ELi0EEEJNS0_5FloorIdEEEEEvT_T0_DpT1_.uses_flat_scratch, 0
	.set _ZN2at6native12_GLOBAL__N_125multi_tensor_apply_kernelINS1_18TensorListMetadataILi1EEENS1_14UnaryOpFunctorIdLi1ELi1ELi0EEEJNS0_5FloorIdEEEEEvT_T0_DpT1_.has_dyn_sized_stack, 0
	.set _ZN2at6native12_GLOBAL__N_125multi_tensor_apply_kernelINS1_18TensorListMetadataILi1EEENS1_14UnaryOpFunctorIdLi1ELi1ELi0EEEJNS0_5FloorIdEEEEEvT_T0_DpT1_.has_recursion, 0
	.set _ZN2at6native12_GLOBAL__N_125multi_tensor_apply_kernelINS1_18TensorListMetadataILi1EEENS1_14UnaryOpFunctorIdLi1ELi1ELi0EEEJNS0_5FloorIdEEEEEvT_T0_DpT1_.has_indirect_call, 0
	.section	.AMDGPU.csdata,"",@progbits
; Kernel info:
; codeLenInByte = 960
; TotalNumSgprs: 24
; NumVgprs: 28
; ScratchSize: 0
; MemoryBound: 1
; FloatMode: 240
; IeeeMode: 1
; LDSByteSize: 0 bytes/workgroup (compile time only)
; SGPRBlocks: 0
; VGPRBlocks: 1
; NumSGPRsForWavesPerEU: 24
; NumVGPRsForWavesPerEU: 28
; NamedBarCnt: 0
; Occupancy: 16
; WaveLimiterHint : 0
; COMPUTE_PGM_RSRC2:SCRATCH_EN: 0
; COMPUTE_PGM_RSRC2:USER_SGPR: 2
; COMPUTE_PGM_RSRC2:TRAP_HANDLER: 0
; COMPUTE_PGM_RSRC2:TGID_X_EN: 1
; COMPUTE_PGM_RSRC2:TGID_Y_EN: 0
; COMPUTE_PGM_RSRC2:TGID_Z_EN: 0
; COMPUTE_PGM_RSRC2:TIDIG_COMP_CNT: 0
	.section	.text._ZN2at6native12_GLOBAL__N_125multi_tensor_apply_kernelINS1_18TensorListMetadataILi1EEENS1_14UnaryOpFunctorIfLi1ELi1ELi0EEEJNS0_5FloorIfEEEEEvT_T0_DpT1_,"axG",@progbits,_ZN2at6native12_GLOBAL__N_125multi_tensor_apply_kernelINS1_18TensorListMetadataILi1EEENS1_14UnaryOpFunctorIfLi1ELi1ELi0EEEJNS0_5FloorIfEEEEEvT_T0_DpT1_,comdat
	.globl	_ZN2at6native12_GLOBAL__N_125multi_tensor_apply_kernelINS1_18TensorListMetadataILi1EEENS1_14UnaryOpFunctorIfLi1ELi1ELi0EEEJNS0_5FloorIfEEEEEvT_T0_DpT1_ ; -- Begin function _ZN2at6native12_GLOBAL__N_125multi_tensor_apply_kernelINS1_18TensorListMetadataILi1EEENS1_14UnaryOpFunctorIfLi1ELi1ELi0EEEJNS0_5FloorIfEEEEEvT_T0_DpT1_
	.p2align	8
	.type	_ZN2at6native12_GLOBAL__N_125multi_tensor_apply_kernelINS1_18TensorListMetadataILi1EEENS1_14UnaryOpFunctorIfLi1ELi1ELi0EEEJNS0_5FloorIfEEEEEvT_T0_DpT1_,@function
_ZN2at6native12_GLOBAL__N_125multi_tensor_apply_kernelINS1_18TensorListMetadataILi1EEENS1_14UnaryOpFunctorIfLi1ELi1ELi0EEEJNS0_5FloorIfEEEEEvT_T0_DpT1_: ; @_ZN2at6native12_GLOBAL__N_125multi_tensor_apply_kernelINS1_18TensorListMetadataILi1EEENS1_14UnaryOpFunctorIfLi1ELi1ELi0EEEJNS0_5FloorIfEEEEEvT_T0_DpT1_
; %bb.0:
	s_bfe_u32 s2, ttmp6, 0x4000c
	s_and_b32 s3, ttmp6, 15
	s_add_co_i32 s2, s2, 1
	s_getreg_b32 s4, hwreg(HW_REG_IB_STS2, 6, 4)
	s_mul_i32 s2, ttmp9, s2
	s_delay_alu instid0(SALU_CYCLE_1)
	s_add_co_i32 s3, s3, s2
	s_cmp_eq_u32 s4, 0
	s_cselect_b32 s2, ttmp9, s3
	s_mov_b32 s3, 0
	s_load_u8 s8, s[0:1], s2 offset:0x6e0
	s_add_nc_u64 s[4:5], s[0:1], s[2:3]
	s_mul_u64 s[6:7], s[2:3], 3
	s_delay_alu instid0(SALU_CYCLE_1)
	s_add_nc_u64 s[4:5], s[4:5], s[6:7]
	s_load_b32 s10, s[4:5], 0x820
	s_wait_kmcnt 0x0
	s_clause 0x1
	s_load_b64 s[6:7], s[0:1], s8 offset:0x0 scale_offset
	s_load_b64 s[12:13], s[0:1], s8 offset:0x370 scale_offset
	s_ashr_i32 s11, s10, 31
	s_wait_kmcnt 0x0
	s_and_b64 s[4:5], s[6:7], 15
	s_and_b32 s2, s12, 3
	s_lshl_b64 s[8:9], s[10:11], 18
	s_or_b64 s[2:3], s[4:5], s[2:3]
	s_lshl_b64 s[4:5], s[10:11], 16
	s_cmp_eq_u64 s[2:3], 0
	s_sub_nc_u64 s[10:11], s[12:13], s[4:5]
	s_cbranch_scc1 .LBB29_21
; %bb.1:
	v_cmp_lt_i64_e64 s2, s[10:11], 1
	s_and_b32 vcc_lo, exec_lo, s2
	s_cbranch_vccnz .LBB29_20
; %bb.2:
	s_load_b32 s4, s[0:1], 0xd3c
	v_min_i64 v[2:3], 0x10000, s[10:11]
	v_min_u64 v[4:5], 0x10000, s[10:11]
	v_dual_mov_b32 v1, 0 :: v_dual_lshlrev_b32 v8, 2, v0
	s_mov_b32 s19, 0
	s_add_nc_u64 s[2:3], s[6:7], s[8:9]
	s_mov_b32 s5, s19
	s_delay_alu instid0(VALU_DEP_1)
	v_mov_b32_e32 v15, v1
	s_mov_b32 s17, s19
	s_mov_b32 s13, s19
	;; [unrolled: 1-line block ×3, first 2 shown]
	s_mov_b64 s[20:21], 0
	s_wait_kmcnt 0x0
	s_and_b32 s18, s4, 0xffff
	s_delay_alu instid0(SALU_CYCLE_1)
	v_add_nc_u64_e32 v[6:7], s[18:19], v[0:1]
	v_mov_b32_e32 v9, v1
	s_lshl_b32 s4, s18, 1
	s_mul_i32 s16, s18, 3
	v_add_nc_u64_e32 v[12:13], s[4:5], v[0:1]
	v_add_nc_u64_e32 v[10:11], s[16:17], v[0:1]
	s_lshl_b32 s12, s18, 2
	v_lshlrev_b32_e32 v14, 2, v6
	v_add_nc_u64_e32 v[8:9], s[2:3], v[8:9]
	s_lshl_b32 s14, s18, 4
	s_mul_u64 s[16:17], s[18:19], 12
	s_lshl_b32 s18, s18, 3
	v_add_nc_u64_e32 v[14:15], s[2:3], v[14:15]
	s_branch .LBB29_4
.LBB29_3:                               ;   in Loop: Header=BB29_4 Depth=1
	s_wait_xcnt 0x0
	s_or_b32 exec_lo, exec_lo, s2
	s_add_nc_u64 s[20:21], s[20:21], s[12:13]
	v_add_nc_u64_e32 v[8:9], s[14:15], v[8:9]
	v_cmp_lt_i64_e32 vcc_lo, s[20:21], v[2:3]
	v_add_nc_u64_e32 v[14:15], s[14:15], v[14:15]
	s_cbranch_vccz .LBB29_20
.LBB29_4:                               ; =>This Inner Loop Header: Depth=1
	v_add_nc_u64_e32 v[16:17], s[20:21], v[0:1]
	v_mov_b32_e32 v21, 0
	s_delay_alu instid0(VALU_DEP_2)
	v_cmp_lt_u64_e32 vcc_lo, v[16:17], v[4:5]
	s_and_saveexec_b32 s2, vcc_lo
	s_cbranch_execz .LBB29_6
; %bb.5:                                ;   in Loop: Header=BB29_4 Depth=1
	global_load_b32 v16, v[8:9], off
	s_wait_loadcnt 0x0
	v_floor_f32_e32 v21, v16
.LBB29_6:                               ;   in Loop: Header=BB29_4 Depth=1
	s_wait_xcnt 0x0
	s_or_b32 exec_lo, exec_lo, s2
	v_add_nc_u64_e32 v[16:17], s[20:21], v[6:7]
	v_dual_mov_b32 v20, 0 :: v_dual_mov_b32 v22, 0
	s_delay_alu instid0(VALU_DEP_2)
	v_cmp_lt_u64_e64 s2, v[16:17], v[4:5]
	s_and_saveexec_b32 s3, s2
	s_cbranch_execz .LBB29_8
; %bb.7:                                ;   in Loop: Header=BB29_4 Depth=1
	global_load_b32 v16, v[14:15], off
	s_wait_loadcnt 0x0
	v_floor_f32_e32 v22, v16
.LBB29_8:                               ;   in Loop: Header=BB29_4 Depth=1
	s_wait_xcnt 0x0
	s_or_b32 exec_lo, exec_lo, s3
	v_add_nc_u64_e32 v[16:17], s[20:21], v[12:13]
	s_delay_alu instid0(VALU_DEP_1)
	v_cmp_lt_u64_e64 s3, v[16:17], v[4:5]
	v_add_nc_u64_e32 v[16:17], s[18:19], v[8:9]
	s_and_saveexec_b32 s4, s3
	s_cbranch_execz .LBB29_10
; %bb.9:                                ;   in Loop: Header=BB29_4 Depth=1
	global_load_b32 v18, v[16:17], off
	s_wait_loadcnt 0x0
	v_floor_f32_e32 v20, v18
.LBB29_10:                              ;   in Loop: Header=BB29_4 Depth=1
	s_wait_xcnt 0x0
	s_or_b32 exec_lo, exec_lo, s4
	v_add_nc_u64_e32 v[18:19], s[20:21], v[10:11]
	v_mov_b32_e32 v23, 0
	s_delay_alu instid0(VALU_DEP_2)
	v_cmp_lt_u64_e64 s4, v[18:19], v[4:5]
	v_add_nc_u64_e32 v[18:19], s[16:17], v[8:9]
	s_and_saveexec_b32 s5, s4
	s_cbranch_execnz .LBB29_15
; %bb.11:                               ;   in Loop: Header=BB29_4 Depth=1
	s_or_b32 exec_lo, exec_lo, s5
	s_and_saveexec_b32 s5, vcc_lo
	s_cbranch_execnz .LBB29_16
.LBB29_12:                              ;   in Loop: Header=BB29_4 Depth=1
	s_or_b32 exec_lo, exec_lo, s5
	s_and_saveexec_b32 s5, s2
	s_cbranch_execnz .LBB29_17
.LBB29_13:                              ;   in Loop: Header=BB29_4 Depth=1
	s_or_b32 exec_lo, exec_lo, s5
	s_and_saveexec_b32 s2, s3
	s_cbranch_execnz .LBB29_18
.LBB29_14:                              ;   in Loop: Header=BB29_4 Depth=1
	s_or_b32 exec_lo, exec_lo, s2
	s_and_saveexec_b32 s2, s4
	s_cbranch_execz .LBB29_3
	s_branch .LBB29_19
.LBB29_15:                              ;   in Loop: Header=BB29_4 Depth=1
	global_load_b32 v23, v[18:19], off
	s_wait_loadcnt 0x0
	v_floor_f32_e32 v23, v23
	s_wait_xcnt 0x0
	s_or_b32 exec_lo, exec_lo, s5
	s_and_saveexec_b32 s5, vcc_lo
	s_cbranch_execz .LBB29_12
.LBB29_16:                              ;   in Loop: Header=BB29_4 Depth=1
	global_store_b32 v[8:9], v21, off
	s_wait_xcnt 0x0
	s_or_b32 exec_lo, exec_lo, s5
	s_and_saveexec_b32 s5, s2
	s_cbranch_execz .LBB29_13
.LBB29_17:                              ;   in Loop: Header=BB29_4 Depth=1
	global_store_b32 v[14:15], v22, off
	s_wait_xcnt 0x0
	s_or_b32 exec_lo, exec_lo, s5
	s_and_saveexec_b32 s2, s3
	s_cbranch_execz .LBB29_14
.LBB29_18:                              ;   in Loop: Header=BB29_4 Depth=1
	global_store_b32 v[16:17], v20, off
	s_wait_xcnt 0x0
	s_or_b32 exec_lo, exec_lo, s2
	s_and_saveexec_b32 s2, s4
	s_cbranch_execz .LBB29_3
.LBB29_19:                              ;   in Loop: Header=BB29_4 Depth=1
	global_store_b32 v[18:19], v23, off
	s_branch .LBB29_3
.LBB29_20:
	s_cbranch_execz .LBB29_22
	s_branch .LBB29_30
.LBB29_21:
.LBB29_22:
	v_min_i64 v[2:3], 0x10000, s[10:11]
	v_dual_mov_b32 v5, 0 :: v_dual_lshlrev_b32 v4, 2, v0
	s_mov_b32 s2, exec_lo
	s_delay_alu instid0(VALU_DEP_1)
	v_cmpx_lt_i64_e64 v[4:5], v[2:3]
	s_cbranch_execz .LBB29_30
; %bb.23:
	v_dual_mov_b32 v7, v5 :: v_dual_add_nc_u32 v6, 4, v4
	s_load_b32 s0, s[0:1], 0xd3c
	s_wait_xcnt 0x0
	s_mov_b32 s1, 0
	v_mov_b32_e32 v1, v5
	s_mov_b32 s3, -1
	v_max_i64 v[6:7], v[2:3], v[6:7]
	v_mov_b32_e32 v9, s1
	s_wait_kmcnt 0x0
	s_and_b32 s0, s0, 0xffff
	s_delay_alu instid0(SALU_CYCLE_1) | instskip(SKIP_1) | instid1(VALU_DEP_2)
	s_cmp_eq_u32 s0, 1
	s_cselect_b32 s2, -1, 0
	v_add_nc_u64_e32 v[6:7], -4, v[6:7]
	s_delay_alu instid0(VALU_DEP_1) | instskip(SKIP_1) | instid1(VALU_DEP_1)
	v_cmp_ne_u64_e32 vcc_lo, v[6:7], v[4:5]
	v_cndmask_b32_e64 v8, 0, 1, vcc_lo
	v_or_b32_e32 v4, v4, v8
	s_delay_alu instid0(VALU_DEP_1) | instskip(NEXT) | instid1(VALU_DEP_1)
	v_sub_nc_u64_e32 v[6:7], v[6:7], v[4:5]
	v_lshrrev_b64 v[6:7], 2, v[6:7]
	s_delay_alu instid0(VALU_DEP_1) | instskip(NEXT) | instid1(VALU_DEP_1)
	v_add_nc_u64_e32 v[6:7], v[6:7], v[8:9]
	v_cmp_ne_u64_e32 vcc_lo, 0, v[6:7]
	s_and_b32 s4, vcc_lo, s2
	s_delay_alu instid0(SALU_CYCLE_1)
	s_and_saveexec_b32 s2, s4
	s_cbranch_execz .LBB29_27
; %bb.24:
	v_dual_mov_b32 v9, 0 :: v_dual_lshlrev_b32 v8, 4, v0
	v_add_nc_u64_e32 v[4:5], 1, v[6:7]
	s_add_nc_u64 s[4:5], s[6:7], s[8:9]
	s_delay_alu instid0(VALU_DEP_2) | instid1(SALU_CYCLE_1)
	v_add_nc_u64_e32 v[8:9], s[4:5], v[8:9]
	s_delay_alu instid0(VALU_DEP_2) | instskip(NEXT) | instid1(VALU_DEP_2)
	v_dual_mov_b32 v7, v5 :: v_dual_bitop2_b32 v6, -2, v4 bitop3:0x40
	v_add_nc_u64_e32 v[8:9], 28, v[8:9]
	s_delay_alu instid0(VALU_DEP_2)
	v_mov_b64_e32 v[10:11], v[6:7]
.LBB29_25:                              ; =>This Inner Loop Header: Depth=1
	s_clause 0x1
	global_load_b128 v[12:15], v[8:9], off offset:-12
	global_load_b128 v[16:19], v[8:9], off offset:-28
	v_add_nc_u64_e32 v[10:11], -2, v[10:11]
	s_delay_alu instid0(VALU_DEP_1)
	v_cmp_eq_u64_e32 vcc_lo, 0, v[10:11]
	s_or_b32 s1, vcc_lo, s1
	s_wait_loadcnt 0x1
	v_floor_f32_e32 v12, v12
	s_wait_loadcnt 0x0
	v_floor_f32_e32 v16, v16
	v_floor_f32_e32 v17, v17
	;; [unrolled: 1-line block ×7, first 2 shown]
	s_clause 0x1
	global_store_b128 v[8:9], v[16:19], off offset:-28
	global_store_b128 v[8:9], v[12:15], off offset:-12
	s_wait_xcnt 0x0
	v_add_nc_u64_e32 v[8:9], 32, v[8:9]
	s_and_not1_b32 exec_lo, exec_lo, s1
	s_cbranch_execnz .LBB29_25
; %bb.26:
	s_or_b32 exec_lo, exec_lo, s1
	v_cmp_ne_u64_e32 vcc_lo, v[4:5], v[6:7]
	v_add_nc_u64_e32 v[0:1], v[6:7], v[0:1]
	s_or_not1_b32 s3, vcc_lo, exec_lo
.LBB29_27:
	s_or_b32 exec_lo, exec_lo, s2
	s_delay_alu instid0(SALU_CYCLE_1)
	s_and_b32 exec_lo, exec_lo, s3
	s_cbranch_execz .LBB29_30
; %bb.28:
	s_add_nc_u64 s[2:3], s[6:7], s[8:9]
	s_mov_b32 s1, 0
	v_lshl_add_u64 v[4:5], v[0:1], 4, s[2:3]
	s_lshl_b32 s2, s0, 4
	s_mov_b32 s3, s1
	s_mov_b32 s4, s1
	s_delay_alu instid0(VALU_DEP_1)
	v_add_nc_u64_e32 v[4:5], 8, v[4:5]
.LBB29_29:                              ; =>This Inner Loop Header: Depth=1
	global_load_b128 v[6:9], v[4:5], off offset:-8
	v_add_nc_u64_e32 v[0:1], s[0:1], v[0:1]
	s_delay_alu instid0(VALU_DEP_1) | instskip(NEXT) | instid1(VALU_DEP_1)
	v_lshlrev_b64_e32 v[10:11], 2, v[0:1]
	v_cmp_ge_i64_e32 vcc_lo, v[10:11], v[2:3]
	s_or_b32 s4, vcc_lo, s4
	s_wait_loadcnt 0x0
	v_floor_f32_e32 v6, v6
	v_floor_f32_e32 v7, v7
	;; [unrolled: 1-line block ×4, first 2 shown]
	global_store_b128 v[4:5], v[6:9], off offset:-8
	s_wait_xcnt 0x0
	v_add_nc_u64_e32 v[4:5], s[2:3], v[4:5]
	s_and_not1_b32 exec_lo, exec_lo, s4
	s_cbranch_execnz .LBB29_29
.LBB29_30:
	s_endpgm
	.section	.rodata,"a",@progbits
	.p2align	6, 0x0
	.amdhsa_kernel _ZN2at6native12_GLOBAL__N_125multi_tensor_apply_kernelINS1_18TensorListMetadataILi1EEENS1_14UnaryOpFunctorIfLi1ELi1ELi0EEEJNS0_5FloorIfEEEEEvT_T0_DpT1_
		.amdhsa_group_segment_fixed_size 0
		.amdhsa_private_segment_fixed_size 0
		.amdhsa_kernarg_size 3632
		.amdhsa_user_sgpr_count 2
		.amdhsa_user_sgpr_dispatch_ptr 0
		.amdhsa_user_sgpr_queue_ptr 0
		.amdhsa_user_sgpr_kernarg_segment_ptr 1
		.amdhsa_user_sgpr_dispatch_id 0
		.amdhsa_user_sgpr_kernarg_preload_length 0
		.amdhsa_user_sgpr_kernarg_preload_offset 0
		.amdhsa_user_sgpr_private_segment_size 0
		.amdhsa_wavefront_size32 1
		.amdhsa_uses_dynamic_stack 0
		.amdhsa_enable_private_segment 0
		.amdhsa_system_sgpr_workgroup_id_x 1
		.amdhsa_system_sgpr_workgroup_id_y 0
		.amdhsa_system_sgpr_workgroup_id_z 0
		.amdhsa_system_sgpr_workgroup_info 0
		.amdhsa_system_vgpr_workitem_id 0
		.amdhsa_next_free_vgpr 24
		.amdhsa_next_free_sgpr 22
		.amdhsa_named_barrier_count 0
		.amdhsa_reserve_vcc 1
		.amdhsa_float_round_mode_32 0
		.amdhsa_float_round_mode_16_64 0
		.amdhsa_float_denorm_mode_32 3
		.amdhsa_float_denorm_mode_16_64 3
		.amdhsa_fp16_overflow 0
		.amdhsa_memory_ordered 1
		.amdhsa_forward_progress 1
		.amdhsa_inst_pref_size 10
		.amdhsa_round_robin_scheduling 0
		.amdhsa_exception_fp_ieee_invalid_op 0
		.amdhsa_exception_fp_denorm_src 0
		.amdhsa_exception_fp_ieee_div_zero 0
		.amdhsa_exception_fp_ieee_overflow 0
		.amdhsa_exception_fp_ieee_underflow 0
		.amdhsa_exception_fp_ieee_inexact 0
		.amdhsa_exception_int_div_zero 0
	.end_amdhsa_kernel
	.section	.text._ZN2at6native12_GLOBAL__N_125multi_tensor_apply_kernelINS1_18TensorListMetadataILi1EEENS1_14UnaryOpFunctorIfLi1ELi1ELi0EEEJNS0_5FloorIfEEEEEvT_T0_DpT1_,"axG",@progbits,_ZN2at6native12_GLOBAL__N_125multi_tensor_apply_kernelINS1_18TensorListMetadataILi1EEENS1_14UnaryOpFunctorIfLi1ELi1ELi0EEEJNS0_5FloorIfEEEEEvT_T0_DpT1_,comdat
.Lfunc_end29:
	.size	_ZN2at6native12_GLOBAL__N_125multi_tensor_apply_kernelINS1_18TensorListMetadataILi1EEENS1_14UnaryOpFunctorIfLi1ELi1ELi0EEEJNS0_5FloorIfEEEEEvT_T0_DpT1_, .Lfunc_end29-_ZN2at6native12_GLOBAL__N_125multi_tensor_apply_kernelINS1_18TensorListMetadataILi1EEENS1_14UnaryOpFunctorIfLi1ELi1ELi0EEEJNS0_5FloorIfEEEEEvT_T0_DpT1_
                                        ; -- End function
	.set _ZN2at6native12_GLOBAL__N_125multi_tensor_apply_kernelINS1_18TensorListMetadataILi1EEENS1_14UnaryOpFunctorIfLi1ELi1ELi0EEEJNS0_5FloorIfEEEEEvT_T0_DpT1_.num_vgpr, 24
	.set _ZN2at6native12_GLOBAL__N_125multi_tensor_apply_kernelINS1_18TensorListMetadataILi1EEENS1_14UnaryOpFunctorIfLi1ELi1ELi0EEEJNS0_5FloorIfEEEEEvT_T0_DpT1_.num_agpr, 0
	.set _ZN2at6native12_GLOBAL__N_125multi_tensor_apply_kernelINS1_18TensorListMetadataILi1EEENS1_14UnaryOpFunctorIfLi1ELi1ELi0EEEJNS0_5FloorIfEEEEEvT_T0_DpT1_.numbered_sgpr, 22
	.set _ZN2at6native12_GLOBAL__N_125multi_tensor_apply_kernelINS1_18TensorListMetadataILi1EEENS1_14UnaryOpFunctorIfLi1ELi1ELi0EEEJNS0_5FloorIfEEEEEvT_T0_DpT1_.num_named_barrier, 0
	.set _ZN2at6native12_GLOBAL__N_125multi_tensor_apply_kernelINS1_18TensorListMetadataILi1EEENS1_14UnaryOpFunctorIfLi1ELi1ELi0EEEJNS0_5FloorIfEEEEEvT_T0_DpT1_.private_seg_size, 0
	.set _ZN2at6native12_GLOBAL__N_125multi_tensor_apply_kernelINS1_18TensorListMetadataILi1EEENS1_14UnaryOpFunctorIfLi1ELi1ELi0EEEJNS0_5FloorIfEEEEEvT_T0_DpT1_.uses_vcc, 1
	.set _ZN2at6native12_GLOBAL__N_125multi_tensor_apply_kernelINS1_18TensorListMetadataILi1EEENS1_14UnaryOpFunctorIfLi1ELi1ELi0EEEJNS0_5FloorIfEEEEEvT_T0_DpT1_.uses_flat_scratch, 0
	.set _ZN2at6native12_GLOBAL__N_125multi_tensor_apply_kernelINS1_18TensorListMetadataILi1EEENS1_14UnaryOpFunctorIfLi1ELi1ELi0EEEJNS0_5FloorIfEEEEEvT_T0_DpT1_.has_dyn_sized_stack, 0
	.set _ZN2at6native12_GLOBAL__N_125multi_tensor_apply_kernelINS1_18TensorListMetadataILi1EEENS1_14UnaryOpFunctorIfLi1ELi1ELi0EEEJNS0_5FloorIfEEEEEvT_T0_DpT1_.has_recursion, 0
	.set _ZN2at6native12_GLOBAL__N_125multi_tensor_apply_kernelINS1_18TensorListMetadataILi1EEENS1_14UnaryOpFunctorIfLi1ELi1ELi0EEEJNS0_5FloorIfEEEEEvT_T0_DpT1_.has_indirect_call, 0
	.section	.AMDGPU.csdata,"",@progbits
; Kernel info:
; codeLenInByte = 1240
; TotalNumSgprs: 24
; NumVgprs: 24
; ScratchSize: 0
; MemoryBound: 0
; FloatMode: 240
; IeeeMode: 1
; LDSByteSize: 0 bytes/workgroup (compile time only)
; SGPRBlocks: 0
; VGPRBlocks: 1
; NumSGPRsForWavesPerEU: 24
; NumVGPRsForWavesPerEU: 24
; NamedBarCnt: 0
; Occupancy: 16
; WaveLimiterHint : 0
; COMPUTE_PGM_RSRC2:SCRATCH_EN: 0
; COMPUTE_PGM_RSRC2:USER_SGPR: 2
; COMPUTE_PGM_RSRC2:TRAP_HANDLER: 0
; COMPUTE_PGM_RSRC2:TGID_X_EN: 1
; COMPUTE_PGM_RSRC2:TGID_Y_EN: 0
; COMPUTE_PGM_RSRC2:TGID_Z_EN: 0
; COMPUTE_PGM_RSRC2:TIDIG_COMP_CNT: 0
	.section	.text._ZN2at6native12_GLOBAL__N_125multi_tensor_apply_kernelINS1_18TensorListMetadataILi1EEENS1_14UnaryOpFunctorIN3c104HalfELi1ELi1ELi0EEEJNS0_5FloorIfEEEEEvT_T0_DpT1_,"axG",@progbits,_ZN2at6native12_GLOBAL__N_125multi_tensor_apply_kernelINS1_18TensorListMetadataILi1EEENS1_14UnaryOpFunctorIN3c104HalfELi1ELi1ELi0EEEJNS0_5FloorIfEEEEEvT_T0_DpT1_,comdat
	.globl	_ZN2at6native12_GLOBAL__N_125multi_tensor_apply_kernelINS1_18TensorListMetadataILi1EEENS1_14UnaryOpFunctorIN3c104HalfELi1ELi1ELi0EEEJNS0_5FloorIfEEEEEvT_T0_DpT1_ ; -- Begin function _ZN2at6native12_GLOBAL__N_125multi_tensor_apply_kernelINS1_18TensorListMetadataILi1EEENS1_14UnaryOpFunctorIN3c104HalfELi1ELi1ELi0EEEJNS0_5FloorIfEEEEEvT_T0_DpT1_
	.p2align	8
	.type	_ZN2at6native12_GLOBAL__N_125multi_tensor_apply_kernelINS1_18TensorListMetadataILi1EEENS1_14UnaryOpFunctorIN3c104HalfELi1ELi1ELi0EEEJNS0_5FloorIfEEEEEvT_T0_DpT1_,@function
_ZN2at6native12_GLOBAL__N_125multi_tensor_apply_kernelINS1_18TensorListMetadataILi1EEENS1_14UnaryOpFunctorIN3c104HalfELi1ELi1ELi0EEEJNS0_5FloorIfEEEEEvT_T0_DpT1_: ; @_ZN2at6native12_GLOBAL__N_125multi_tensor_apply_kernelINS1_18TensorListMetadataILi1EEENS1_14UnaryOpFunctorIN3c104HalfELi1ELi1ELi0EEEJNS0_5FloorIfEEEEEvT_T0_DpT1_
; %bb.0:
	s_bfe_u32 s2, ttmp6, 0x4000c
	s_and_b32 s3, ttmp6, 15
	s_add_co_i32 s2, s2, 1
	s_getreg_b32 s4, hwreg(HW_REG_IB_STS2, 6, 4)
	s_mul_i32 s2, ttmp9, s2
	s_delay_alu instid0(SALU_CYCLE_1)
	s_add_co_i32 s3, s3, s2
	s_cmp_eq_u32 s4, 0
	s_cselect_b32 s2, ttmp9, s3
	s_mov_b32 s3, 0
	s_load_u8 s8, s[0:1], s2 offset:0x6e0
	s_add_nc_u64 s[4:5], s[0:1], s[2:3]
	s_mul_u64 s[6:7], s[2:3], 3
	s_delay_alu instid0(SALU_CYCLE_1)
	s_add_nc_u64 s[4:5], s[4:5], s[6:7]
	s_load_b32 s10, s[4:5], 0x820
	s_wait_kmcnt 0x0
	s_clause 0x1
	s_load_b64 s[6:7], s[0:1], s8 offset:0x0 scale_offset
	s_load_b64 s[12:13], s[0:1], s8 offset:0x370 scale_offset
	s_ashr_i32 s11, s10, 31
	s_wait_kmcnt 0x0
	s_and_b64 s[4:5], s[6:7], 7
	s_and_b32 s2, s12, 3
	s_lshl_b64 s[8:9], s[10:11], 17
	s_or_b64 s[2:3], s[4:5], s[2:3]
	s_lshl_b64 s[4:5], s[10:11], 16
	s_cmp_eq_u64 s[2:3], 0
	s_sub_nc_u64 s[10:11], s[12:13], s[4:5]
	s_cbranch_scc1 .LBB30_21
; %bb.1:
	v_cmp_lt_i64_e64 s2, s[10:11], 1
	s_and_b32 vcc_lo, exec_lo, s2
	s_cbranch_vccnz .LBB30_20
; %bb.2:
	s_load_b32 s2, s[0:1], 0xd3c
	v_min_i64 v[2:3], 0x10000, s[10:11]
	v_min_u64 v[4:5], 0x10000, s[10:11]
	v_dual_mov_b32 v1, 0 :: v_dual_lshlrev_b32 v8, 1, v0
	s_mov_b32 s3, 0
	s_add_nc_u64 s[4:5], s[6:7], s[8:9]
	s_mov_b32 s15, s3
	s_delay_alu instid0(VALU_DEP_1)
	v_mov_b32_e32 v15, v1
	s_mov_b32 s17, s3
	s_mov_b32 s13, s3
	s_mov_b64 s[18:19], 0
	s_wait_kmcnt 0x0
	s_and_b32 s2, s2, 0xffff
	s_delay_alu instid0(SALU_CYCLE_1)
	v_add_nc_u64_e32 v[6:7], s[2:3], v[0:1]
	v_mov_b32_e32 v9, v1
	s_lshl_b32 s14, s2, 1
	s_mul_i32 s16, s2, 3
	v_add_nc_u64_e32 v[12:13], s[14:15], v[0:1]
	v_add_nc_u64_e32 v[10:11], s[16:17], v[0:1]
	s_lshl_b32 s12, s2, 2
	v_lshlrev_b32_e32 v14, 1, v6
	v_add_nc_u64_e32 v[8:9], s[4:5], v[8:9]
	s_lshl_b32 s14, s2, 3
	s_mul_u64 s[16:17], s[2:3], 6
	s_delay_alu instid0(VALU_DEP_2)
	v_add_nc_u64_e32 v[14:15], s[4:5], v[14:15]
	s_branch .LBB30_4
.LBB30_3:                               ;   in Loop: Header=BB30_4 Depth=1
	s_wait_xcnt 0x0
	s_or_b32 exec_lo, exec_lo, s2
	s_add_nc_u64 s[18:19], s[18:19], s[12:13]
	v_add_nc_u64_e32 v[8:9], s[14:15], v[8:9]
	v_cmp_lt_i64_e32 vcc_lo, s[18:19], v[2:3]
	v_add_nc_u64_e32 v[14:15], s[14:15], v[14:15]
	s_cbranch_vccz .LBB30_20
.LBB30_4:                               ; =>This Inner Loop Header: Depth=1
	v_add_nc_u64_e32 v[16:17], s[18:19], v[0:1]
	v_mov_b32_e32 v21, 0
	s_delay_alu instid0(VALU_DEP_2)
	v_cmp_lt_u64_e32 vcc_lo, v[16:17], v[4:5]
	s_and_saveexec_b32 s2, vcc_lo
	s_cbranch_execz .LBB30_6
; %bb.5:                                ;   in Loop: Header=BB30_4 Depth=1
	global_load_u16 v16, v[8:9], off
	s_wait_loadcnt 0x0
	v_floor_f16_e32 v21, v16
.LBB30_6:                               ;   in Loop: Header=BB30_4 Depth=1
	s_wait_xcnt 0x0
	s_or_b32 exec_lo, exec_lo, s2
	v_add_nc_u64_e32 v[16:17], s[18:19], v[6:7]
	v_dual_mov_b32 v20, 0 :: v_dual_mov_b32 v22, 0
	s_delay_alu instid0(VALU_DEP_2)
	v_cmp_lt_u64_e64 s2, v[16:17], v[4:5]
	s_and_saveexec_b32 s3, s2
	s_cbranch_execz .LBB30_8
; %bb.7:                                ;   in Loop: Header=BB30_4 Depth=1
	global_load_u16 v16, v[14:15], off
	s_wait_loadcnt 0x0
	v_floor_f16_e32 v22, v16
.LBB30_8:                               ;   in Loop: Header=BB30_4 Depth=1
	s_wait_xcnt 0x0
	s_or_b32 exec_lo, exec_lo, s3
	v_add_nc_u64_e32 v[16:17], s[18:19], v[12:13]
	s_delay_alu instid0(VALU_DEP_1)
	v_cmp_lt_u64_e64 s3, v[16:17], v[4:5]
	v_add_nc_u64_e32 v[16:17], s[12:13], v[8:9]
	s_and_saveexec_b32 s4, s3
	s_cbranch_execz .LBB30_10
; %bb.9:                                ;   in Loop: Header=BB30_4 Depth=1
	global_load_u16 v18, v[16:17], off
	s_wait_loadcnt 0x0
	v_floor_f16_e32 v20, v18
.LBB30_10:                              ;   in Loop: Header=BB30_4 Depth=1
	s_wait_xcnt 0x0
	s_or_b32 exec_lo, exec_lo, s4
	v_add_nc_u64_e32 v[18:19], s[18:19], v[10:11]
	v_mov_b32_e32 v23, 0
	s_delay_alu instid0(VALU_DEP_2)
	v_cmp_lt_u64_e64 s4, v[18:19], v[4:5]
	v_add_nc_u64_e32 v[18:19], s[16:17], v[8:9]
	s_and_saveexec_b32 s5, s4
	s_cbranch_execnz .LBB30_15
; %bb.11:                               ;   in Loop: Header=BB30_4 Depth=1
	s_or_b32 exec_lo, exec_lo, s5
	s_and_saveexec_b32 s5, vcc_lo
	s_cbranch_execnz .LBB30_16
.LBB30_12:                              ;   in Loop: Header=BB30_4 Depth=1
	s_or_b32 exec_lo, exec_lo, s5
	s_and_saveexec_b32 s5, s2
	s_cbranch_execnz .LBB30_17
.LBB30_13:                              ;   in Loop: Header=BB30_4 Depth=1
	s_or_b32 exec_lo, exec_lo, s5
	s_and_saveexec_b32 s2, s3
	s_cbranch_execnz .LBB30_18
.LBB30_14:                              ;   in Loop: Header=BB30_4 Depth=1
	s_or_b32 exec_lo, exec_lo, s2
	s_and_saveexec_b32 s2, s4
	s_cbranch_execz .LBB30_3
	s_branch .LBB30_19
.LBB30_15:                              ;   in Loop: Header=BB30_4 Depth=1
	global_load_u16 v23, v[18:19], off
	s_wait_loadcnt 0x0
	v_floor_f16_e32 v23, v23
	s_wait_xcnt 0x0
	s_or_b32 exec_lo, exec_lo, s5
	s_and_saveexec_b32 s5, vcc_lo
	s_cbranch_execz .LBB30_12
.LBB30_16:                              ;   in Loop: Header=BB30_4 Depth=1
	global_store_b16 v[8:9], v21, off
	s_wait_xcnt 0x0
	s_or_b32 exec_lo, exec_lo, s5
	s_and_saveexec_b32 s5, s2
	s_cbranch_execz .LBB30_13
.LBB30_17:                              ;   in Loop: Header=BB30_4 Depth=1
	global_store_b16 v[14:15], v22, off
	s_wait_xcnt 0x0
	s_or_b32 exec_lo, exec_lo, s5
	s_and_saveexec_b32 s2, s3
	s_cbranch_execz .LBB30_14
.LBB30_18:                              ;   in Loop: Header=BB30_4 Depth=1
	global_store_b16 v[16:17], v20, off
	s_wait_xcnt 0x0
	s_or_b32 exec_lo, exec_lo, s2
	s_and_saveexec_b32 s2, s4
	s_cbranch_execz .LBB30_3
.LBB30_19:                              ;   in Loop: Header=BB30_4 Depth=1
	global_store_b16 v[18:19], v23, off
	s_branch .LBB30_3
.LBB30_20:
	s_cbranch_execz .LBB30_22
	s_branch .LBB30_25
.LBB30_21:
.LBB30_22:
	v_min_i64 v[2:3], 0x10000, s[10:11]
	v_dual_mov_b32 v5, 0 :: v_dual_lshlrev_b32 v4, 2, v0
	s_mov_b32 s2, exec_lo
	s_delay_alu instid0(VALU_DEP_1)
	v_cmpx_lt_i64_e64 v[4:5], v[2:3]
	s_cbranch_execz .LBB30_25
; %bb.23:
	s_load_b32 s2, s[0:1], 0xd3c
	v_dual_mov_b32 v1, v5 :: v_dual_lshlrev_b32 v4, 3, v0
	s_wait_xcnt 0x0
	s_add_nc_u64 s[0:1], s[6:7], s[8:9]
	s_delay_alu instid0(VALU_DEP_1) | instid1(SALU_CYCLE_1)
	v_add_nc_u64_e32 v[6:7], s[0:1], v[4:5]
	s_mov_b32 s1, 0
	s_delay_alu instid0(SALU_CYCLE_1) | instskip(SKIP_1) | instid1(VALU_DEP_1)
	s_mov_b32 s3, s1
	s_mov_b32 s4, s1
	v_add_nc_u64_e32 v[4:5], 4, v[6:7]
	s_wait_kmcnt 0x0
	s_and_b32 s0, s2, 0xffff
	s_delay_alu instid0(SALU_CYCLE_1)
	s_lshl_b32 s2, s0, 3
.LBB30_24:                              ; =>This Inner Loop Header: Depth=1
	global_load_b64 v[6:7], v[4:5], off offset:-4
	v_add_nc_u64_e32 v[0:1], s[0:1], v[0:1]
	s_wait_loadcnt 0x0
	v_dual_lshrrev_b32 v8, 16, v7 :: v_dual_lshrrev_b32 v9, 16, v6
	v_floor_f16_e32 v10, v6
	v_floor_f16_e32 v11, v7
	s_delay_alu instid0(VALU_DEP_4) | instskip(NEXT) | instid1(VALU_DEP_4)
	v_lshlrev_b64_e32 v[6:7], 2, v[0:1]
	v_floor_f16_e32 v8, v8
	v_floor_f16_e32 v12, v9
	s_delay_alu instid0(VALU_DEP_2) | instskip(NEXT) | instid1(VALU_DEP_2)
	v_pack_b32_f16 v9, v11, v8
	v_pack_b32_f16 v8, v10, v12
	v_cmp_ge_i64_e32 vcc_lo, v[6:7], v[2:3]
	global_store_b64 v[4:5], v[8:9], off offset:-4
	s_wait_xcnt 0x0
	v_add_nc_u64_e32 v[4:5], s[2:3], v[4:5]
	s_or_b32 s4, vcc_lo, s4
	s_delay_alu instid0(SALU_CYCLE_1)
	s_and_not1_b32 exec_lo, exec_lo, s4
	s_cbranch_execnz .LBB30_24
.LBB30_25:
	s_endpgm
	.section	.rodata,"a",@progbits
	.p2align	6, 0x0
	.amdhsa_kernel _ZN2at6native12_GLOBAL__N_125multi_tensor_apply_kernelINS1_18TensorListMetadataILi1EEENS1_14UnaryOpFunctorIN3c104HalfELi1ELi1ELi0EEEJNS0_5FloorIfEEEEEvT_T0_DpT1_
		.amdhsa_group_segment_fixed_size 0
		.amdhsa_private_segment_fixed_size 0
		.amdhsa_kernarg_size 3632
		.amdhsa_user_sgpr_count 2
		.amdhsa_user_sgpr_dispatch_ptr 0
		.amdhsa_user_sgpr_queue_ptr 0
		.amdhsa_user_sgpr_kernarg_segment_ptr 1
		.amdhsa_user_sgpr_dispatch_id 0
		.amdhsa_user_sgpr_kernarg_preload_length 0
		.amdhsa_user_sgpr_kernarg_preload_offset 0
		.amdhsa_user_sgpr_private_segment_size 0
		.amdhsa_wavefront_size32 1
		.amdhsa_uses_dynamic_stack 0
		.amdhsa_enable_private_segment 0
		.amdhsa_system_sgpr_workgroup_id_x 1
		.amdhsa_system_sgpr_workgroup_id_y 0
		.amdhsa_system_sgpr_workgroup_id_z 0
		.amdhsa_system_sgpr_workgroup_info 0
		.amdhsa_system_vgpr_workitem_id 0
		.amdhsa_next_free_vgpr 24
		.amdhsa_next_free_sgpr 20
		.amdhsa_named_barrier_count 0
		.amdhsa_reserve_vcc 1
		.amdhsa_float_round_mode_32 0
		.amdhsa_float_round_mode_16_64 0
		.amdhsa_float_denorm_mode_32 3
		.amdhsa_float_denorm_mode_16_64 3
		.amdhsa_fp16_overflow 0
		.amdhsa_memory_ordered 1
		.amdhsa_forward_progress 1
		.amdhsa_inst_pref_size 8
		.amdhsa_round_robin_scheduling 0
		.amdhsa_exception_fp_ieee_invalid_op 0
		.amdhsa_exception_fp_denorm_src 0
		.amdhsa_exception_fp_ieee_div_zero 0
		.amdhsa_exception_fp_ieee_overflow 0
		.amdhsa_exception_fp_ieee_underflow 0
		.amdhsa_exception_fp_ieee_inexact 0
		.amdhsa_exception_int_div_zero 0
	.end_amdhsa_kernel
	.section	.text._ZN2at6native12_GLOBAL__N_125multi_tensor_apply_kernelINS1_18TensorListMetadataILi1EEENS1_14UnaryOpFunctorIN3c104HalfELi1ELi1ELi0EEEJNS0_5FloorIfEEEEEvT_T0_DpT1_,"axG",@progbits,_ZN2at6native12_GLOBAL__N_125multi_tensor_apply_kernelINS1_18TensorListMetadataILi1EEENS1_14UnaryOpFunctorIN3c104HalfELi1ELi1ELi0EEEJNS0_5FloorIfEEEEEvT_T0_DpT1_,comdat
.Lfunc_end30:
	.size	_ZN2at6native12_GLOBAL__N_125multi_tensor_apply_kernelINS1_18TensorListMetadataILi1EEENS1_14UnaryOpFunctorIN3c104HalfELi1ELi1ELi0EEEJNS0_5FloorIfEEEEEvT_T0_DpT1_, .Lfunc_end30-_ZN2at6native12_GLOBAL__N_125multi_tensor_apply_kernelINS1_18TensorListMetadataILi1EEENS1_14UnaryOpFunctorIN3c104HalfELi1ELi1ELi0EEEJNS0_5FloorIfEEEEEvT_T0_DpT1_
                                        ; -- End function
	.set _ZN2at6native12_GLOBAL__N_125multi_tensor_apply_kernelINS1_18TensorListMetadataILi1EEENS1_14UnaryOpFunctorIN3c104HalfELi1ELi1ELi0EEEJNS0_5FloorIfEEEEEvT_T0_DpT1_.num_vgpr, 24
	.set _ZN2at6native12_GLOBAL__N_125multi_tensor_apply_kernelINS1_18TensorListMetadataILi1EEENS1_14UnaryOpFunctorIN3c104HalfELi1ELi1ELi0EEEJNS0_5FloorIfEEEEEvT_T0_DpT1_.num_agpr, 0
	.set _ZN2at6native12_GLOBAL__N_125multi_tensor_apply_kernelINS1_18TensorListMetadataILi1EEENS1_14UnaryOpFunctorIN3c104HalfELi1ELi1ELi0EEEJNS0_5FloorIfEEEEEvT_T0_DpT1_.numbered_sgpr, 20
	.set _ZN2at6native12_GLOBAL__N_125multi_tensor_apply_kernelINS1_18TensorListMetadataILi1EEENS1_14UnaryOpFunctorIN3c104HalfELi1ELi1ELi0EEEJNS0_5FloorIfEEEEEvT_T0_DpT1_.num_named_barrier, 0
	.set _ZN2at6native12_GLOBAL__N_125multi_tensor_apply_kernelINS1_18TensorListMetadataILi1EEENS1_14UnaryOpFunctorIN3c104HalfELi1ELi1ELi0EEEJNS0_5FloorIfEEEEEvT_T0_DpT1_.private_seg_size, 0
	.set _ZN2at6native12_GLOBAL__N_125multi_tensor_apply_kernelINS1_18TensorListMetadataILi1EEENS1_14UnaryOpFunctorIN3c104HalfELi1ELi1ELi0EEEJNS0_5FloorIfEEEEEvT_T0_DpT1_.uses_vcc, 1
	.set _ZN2at6native12_GLOBAL__N_125multi_tensor_apply_kernelINS1_18TensorListMetadataILi1EEENS1_14UnaryOpFunctorIN3c104HalfELi1ELi1ELi0EEEJNS0_5FloorIfEEEEEvT_T0_DpT1_.uses_flat_scratch, 0
	.set _ZN2at6native12_GLOBAL__N_125multi_tensor_apply_kernelINS1_18TensorListMetadataILi1EEENS1_14UnaryOpFunctorIN3c104HalfELi1ELi1ELi0EEEJNS0_5FloorIfEEEEEvT_T0_DpT1_.has_dyn_sized_stack, 0
	.set _ZN2at6native12_GLOBAL__N_125multi_tensor_apply_kernelINS1_18TensorListMetadataILi1EEENS1_14UnaryOpFunctorIN3c104HalfELi1ELi1ELi0EEEJNS0_5FloorIfEEEEEvT_T0_DpT1_.has_recursion, 0
	.set _ZN2at6native12_GLOBAL__N_125multi_tensor_apply_kernelINS1_18TensorListMetadataILi1EEENS1_14UnaryOpFunctorIN3c104HalfELi1ELi1ELi0EEEJNS0_5FloorIfEEEEEvT_T0_DpT1_.has_indirect_call, 0
	.section	.AMDGPU.csdata,"",@progbits
; Kernel info:
; codeLenInByte = 960
; TotalNumSgprs: 22
; NumVgprs: 24
; ScratchSize: 0
; MemoryBound: 0
; FloatMode: 240
; IeeeMode: 1
; LDSByteSize: 0 bytes/workgroup (compile time only)
; SGPRBlocks: 0
; VGPRBlocks: 1
; NumSGPRsForWavesPerEU: 22
; NumVGPRsForWavesPerEU: 24
; NamedBarCnt: 0
; Occupancy: 16
; WaveLimiterHint : 0
; COMPUTE_PGM_RSRC2:SCRATCH_EN: 0
; COMPUTE_PGM_RSRC2:USER_SGPR: 2
; COMPUTE_PGM_RSRC2:TRAP_HANDLER: 0
; COMPUTE_PGM_RSRC2:TGID_X_EN: 1
; COMPUTE_PGM_RSRC2:TGID_Y_EN: 0
; COMPUTE_PGM_RSRC2:TGID_Z_EN: 0
; COMPUTE_PGM_RSRC2:TIDIG_COMP_CNT: 0
	.section	.text._ZN2at6native12_GLOBAL__N_125multi_tensor_apply_kernelINS1_18TensorListMetadataILi1EEENS1_14UnaryOpFunctorIN3c108BFloat16ELi1ELi1ELi0EEEJNS0_5FloorIfEEEEEvT_T0_DpT1_,"axG",@progbits,_ZN2at6native12_GLOBAL__N_125multi_tensor_apply_kernelINS1_18TensorListMetadataILi1EEENS1_14UnaryOpFunctorIN3c108BFloat16ELi1ELi1ELi0EEEJNS0_5FloorIfEEEEEvT_T0_DpT1_,comdat
	.globl	_ZN2at6native12_GLOBAL__N_125multi_tensor_apply_kernelINS1_18TensorListMetadataILi1EEENS1_14UnaryOpFunctorIN3c108BFloat16ELi1ELi1ELi0EEEJNS0_5FloorIfEEEEEvT_T0_DpT1_ ; -- Begin function _ZN2at6native12_GLOBAL__N_125multi_tensor_apply_kernelINS1_18TensorListMetadataILi1EEENS1_14UnaryOpFunctorIN3c108BFloat16ELi1ELi1ELi0EEEJNS0_5FloorIfEEEEEvT_T0_DpT1_
	.p2align	8
	.type	_ZN2at6native12_GLOBAL__N_125multi_tensor_apply_kernelINS1_18TensorListMetadataILi1EEENS1_14UnaryOpFunctorIN3c108BFloat16ELi1ELi1ELi0EEEJNS0_5FloorIfEEEEEvT_T0_DpT1_,@function
_ZN2at6native12_GLOBAL__N_125multi_tensor_apply_kernelINS1_18TensorListMetadataILi1EEENS1_14UnaryOpFunctorIN3c108BFloat16ELi1ELi1ELi0EEEJNS0_5FloorIfEEEEEvT_T0_DpT1_: ; @_ZN2at6native12_GLOBAL__N_125multi_tensor_apply_kernelINS1_18TensorListMetadataILi1EEENS1_14UnaryOpFunctorIN3c108BFloat16ELi1ELi1ELi0EEEJNS0_5FloorIfEEEEEvT_T0_DpT1_
; %bb.0:
	s_bfe_u32 s2, ttmp6, 0x4000c
	s_and_b32 s3, ttmp6, 15
	s_add_co_i32 s2, s2, 1
	s_getreg_b32 s4, hwreg(HW_REG_IB_STS2, 6, 4)
	s_mul_i32 s2, ttmp9, s2
	s_delay_alu instid0(SALU_CYCLE_1)
	s_add_co_i32 s3, s3, s2
	s_cmp_eq_u32 s4, 0
	s_cselect_b32 s2, ttmp9, s3
	s_mov_b32 s3, 0
	s_load_u8 s8, s[0:1], s2 offset:0x6e0
	s_add_nc_u64 s[4:5], s[0:1], s[2:3]
	s_mul_u64 s[6:7], s[2:3], 3
	s_delay_alu instid0(SALU_CYCLE_1)
	s_add_nc_u64 s[4:5], s[4:5], s[6:7]
	s_load_b32 s10, s[4:5], 0x820
	s_wait_kmcnt 0x0
	s_clause 0x1
	s_load_b64 s[6:7], s[0:1], s8 offset:0x0 scale_offset
	s_load_b64 s[12:13], s[0:1], s8 offset:0x370 scale_offset
	s_ashr_i32 s11, s10, 31
	s_wait_kmcnt 0x0
	s_and_b64 s[4:5], s[6:7], 7
	s_and_b32 s2, s12, 3
	s_lshl_b64 s[8:9], s[10:11], 17
	s_or_b64 s[2:3], s[4:5], s[2:3]
	s_lshl_b64 s[4:5], s[10:11], 16
	s_cmp_eq_u64 s[2:3], 0
	s_sub_nc_u64 s[10:11], s[12:13], s[4:5]
	s_cbranch_scc1 .LBB31_21
; %bb.1:
	v_cmp_lt_i64_e64 s2, s[10:11], 1
	s_and_b32 vcc_lo, exec_lo, s2
	s_cbranch_vccnz .LBB31_20
; %bb.2:
	s_load_b32 s2, s[0:1], 0xd3c
	v_min_i64 v[2:3], 0x10000, s[10:11]
	v_min_u64 v[4:5], 0x10000, s[10:11]
	v_dual_mov_b32 v1, 0 :: v_dual_lshlrev_b32 v8, 1, v0
	s_mov_b32 s3, 0
	s_add_nc_u64 s[4:5], s[6:7], s[8:9]
	s_mov_b32 s15, s3
	s_delay_alu instid0(VALU_DEP_1)
	v_mov_b32_e32 v15, v1
	s_mov_b32 s17, s3
	s_mov_b32 s13, s3
	s_mov_b64 s[18:19], 0
	s_wait_kmcnt 0x0
	s_and_b32 s2, s2, 0xffff
	s_delay_alu instid0(SALU_CYCLE_1)
	v_add_nc_u64_e32 v[6:7], s[2:3], v[0:1]
	v_mov_b32_e32 v9, v1
	s_lshl_b32 s14, s2, 1
	s_mul_i32 s16, s2, 3
	v_add_nc_u64_e32 v[12:13], s[14:15], v[0:1]
	v_add_nc_u64_e32 v[10:11], s[16:17], v[0:1]
	s_lshl_b32 s12, s2, 2
	v_lshlrev_b32_e32 v14, 1, v6
	v_add_nc_u64_e32 v[8:9], s[4:5], v[8:9]
	s_lshl_b32 s14, s2, 3
	s_mul_u64 s[16:17], s[2:3], 6
	s_delay_alu instid0(VALU_DEP_2)
	v_add_nc_u64_e32 v[14:15], s[4:5], v[14:15]
	s_branch .LBB31_4
.LBB31_3:                               ;   in Loop: Header=BB31_4 Depth=1
	s_wait_xcnt 0x0
	s_or_b32 exec_lo, exec_lo, s2
	s_add_nc_u64 s[18:19], s[18:19], s[12:13]
	v_add_nc_u64_e32 v[8:9], s[14:15], v[8:9]
	v_cmp_lt_i64_e32 vcc_lo, s[18:19], v[2:3]
	v_add_nc_u64_e32 v[14:15], s[14:15], v[14:15]
	s_cbranch_vccz .LBB31_20
.LBB31_4:                               ; =>This Inner Loop Header: Depth=1
	v_add_nc_u64_e32 v[16:17], s[18:19], v[0:1]
	v_mov_b32_e32 v21, 0
	s_delay_alu instid0(VALU_DEP_2)
	v_cmp_lt_u64_e32 vcc_lo, v[16:17], v[4:5]
	s_and_saveexec_b32 s2, vcc_lo
	s_cbranch_execz .LBB31_6
; %bb.5:                                ;   in Loop: Header=BB31_4 Depth=1
	global_load_u16 v16, v[8:9], off
	s_wait_loadcnt 0x0
	v_lshlrev_b32_e32 v16, 16, v16
	s_delay_alu instid0(VALU_DEP_1)
	v_floor_f32_e32 v21, v16
.LBB31_6:                               ;   in Loop: Header=BB31_4 Depth=1
	s_wait_xcnt 0x0
	s_or_b32 exec_lo, exec_lo, s2
	v_add_nc_u64_e32 v[16:17], s[18:19], v[6:7]
	v_dual_mov_b32 v20, 0 :: v_dual_mov_b32 v22, 0
	s_delay_alu instid0(VALU_DEP_2)
	v_cmp_lt_u64_e64 s2, v[16:17], v[4:5]
	s_and_saveexec_b32 s3, s2
	s_cbranch_execz .LBB31_8
; %bb.7:                                ;   in Loop: Header=BB31_4 Depth=1
	global_load_u16 v16, v[14:15], off
	s_wait_loadcnt 0x0
	v_lshlrev_b32_e32 v16, 16, v16
	s_delay_alu instid0(VALU_DEP_1)
	v_floor_f32_e32 v22, v16
.LBB31_8:                               ;   in Loop: Header=BB31_4 Depth=1
	s_wait_xcnt 0x0
	s_or_b32 exec_lo, exec_lo, s3
	v_add_nc_u64_e32 v[16:17], s[18:19], v[12:13]
	s_delay_alu instid0(VALU_DEP_1)
	v_cmp_lt_u64_e64 s3, v[16:17], v[4:5]
	v_add_nc_u64_e32 v[16:17], s[12:13], v[8:9]
	s_and_saveexec_b32 s4, s3
	s_cbranch_execz .LBB31_10
; %bb.9:                                ;   in Loop: Header=BB31_4 Depth=1
	global_load_u16 v18, v[16:17], off
	s_wait_loadcnt 0x0
	v_lshlrev_b32_e32 v18, 16, v18
	s_delay_alu instid0(VALU_DEP_1)
	v_floor_f32_e32 v20, v18
.LBB31_10:                              ;   in Loop: Header=BB31_4 Depth=1
	s_wait_xcnt 0x0
	s_or_b32 exec_lo, exec_lo, s4
	v_add_nc_u64_e32 v[18:19], s[18:19], v[10:11]
	v_mov_b32_e32 v23, 0
	s_delay_alu instid0(VALU_DEP_2)
	v_cmp_lt_u64_e64 s4, v[18:19], v[4:5]
	v_add_nc_u64_e32 v[18:19], s[16:17], v[8:9]
	s_and_saveexec_b32 s5, s4
	s_cbranch_execnz .LBB31_15
; %bb.11:                               ;   in Loop: Header=BB31_4 Depth=1
	s_or_b32 exec_lo, exec_lo, s5
	s_and_saveexec_b32 s5, vcc_lo
	s_cbranch_execnz .LBB31_16
.LBB31_12:                              ;   in Loop: Header=BB31_4 Depth=1
	s_or_b32 exec_lo, exec_lo, s5
	s_and_saveexec_b32 s5, s2
	s_cbranch_execnz .LBB31_17
.LBB31_13:                              ;   in Loop: Header=BB31_4 Depth=1
	s_or_b32 exec_lo, exec_lo, s5
	s_and_saveexec_b32 s2, s3
	s_cbranch_execnz .LBB31_18
.LBB31_14:                              ;   in Loop: Header=BB31_4 Depth=1
	s_or_b32 exec_lo, exec_lo, s2
	s_and_saveexec_b32 s2, s4
	s_cbranch_execz .LBB31_3
	s_branch .LBB31_19
.LBB31_15:                              ;   in Loop: Header=BB31_4 Depth=1
	global_load_u16 v23, v[18:19], off
	s_wait_loadcnt 0x0
	v_lshlrev_b32_e32 v23, 16, v23
	s_delay_alu instid0(VALU_DEP_1)
	v_floor_f32_e32 v23, v23
	s_wait_xcnt 0x0
	s_or_b32 exec_lo, exec_lo, s5
	s_and_saveexec_b32 s5, vcc_lo
	s_cbranch_execz .LBB31_12
.LBB31_16:                              ;   in Loop: Header=BB31_4 Depth=1
	v_bfe_u32 v24, v21, 16, 1
	v_cmp_o_f32_e32 vcc_lo, v21, v21
	s_delay_alu instid0(VALU_DEP_2) | instskip(NEXT) | instid1(VALU_DEP_1)
	v_add3_u32 v24, v21, v24, 0x7fff
	v_lshrrev_b32_e32 v24, 16, v24
	s_delay_alu instid0(VALU_DEP_1)
	v_cndmask_b32_e32 v21, 0x7fc0, v24, vcc_lo
	global_store_b16 v[8:9], v21, off
	s_wait_xcnt 0x0
	s_or_b32 exec_lo, exec_lo, s5
	s_and_saveexec_b32 s5, s2
	s_cbranch_execz .LBB31_13
.LBB31_17:                              ;   in Loop: Header=BB31_4 Depth=1
	v_bfe_u32 v21, v22, 16, 1
	v_cmp_o_f32_e32 vcc_lo, v22, v22
	s_delay_alu instid0(VALU_DEP_2) | instskip(NEXT) | instid1(VALU_DEP_1)
	v_add3_u32 v21, v22, v21, 0x7fff
	v_lshrrev_b32_e32 v21, 16, v21
	s_delay_alu instid0(VALU_DEP_1)
	v_cndmask_b32_e32 v21, 0x7fc0, v21, vcc_lo
	global_store_b16 v[14:15], v21, off
	s_wait_xcnt 0x0
	s_or_b32 exec_lo, exec_lo, s5
	s_and_saveexec_b32 s2, s3
	s_cbranch_execz .LBB31_14
.LBB31_18:                              ;   in Loop: Header=BB31_4 Depth=1
	v_bfe_u32 v21, v20, 16, 1
	v_cmp_o_f32_e32 vcc_lo, v20, v20
	s_delay_alu instid0(VALU_DEP_2) | instskip(NEXT) | instid1(VALU_DEP_1)
	v_add3_u32 v21, v20, v21, 0x7fff
	v_lshrrev_b32_e32 v21, 16, v21
	s_delay_alu instid0(VALU_DEP_1)
	v_cndmask_b32_e32 v20, 0x7fc0, v21, vcc_lo
	global_store_b16 v[16:17], v20, off
	s_wait_xcnt 0x0
	s_or_b32 exec_lo, exec_lo, s2
	s_and_saveexec_b32 s2, s4
	s_cbranch_execz .LBB31_3
.LBB31_19:                              ;   in Loop: Header=BB31_4 Depth=1
	v_bfe_u32 v16, v23, 16, 1
	v_cmp_o_f32_e32 vcc_lo, v23, v23
	s_delay_alu instid0(VALU_DEP_2) | instskip(NEXT) | instid1(VALU_DEP_1)
	v_add3_u32 v16, v23, v16, 0x7fff
	v_lshrrev_b32_e32 v16, 16, v16
	s_delay_alu instid0(VALU_DEP_1)
	v_cndmask_b32_e32 v16, 0x7fc0, v16, vcc_lo
	global_store_b16 v[18:19], v16, off
	s_branch .LBB31_3
.LBB31_20:
	s_cbranch_execz .LBB31_22
	s_branch .LBB31_25
.LBB31_21:
.LBB31_22:
	v_min_i64 v[2:3], 0x10000, s[10:11]
	v_dual_mov_b32 v5, 0 :: v_dual_lshlrev_b32 v4, 2, v0
	s_mov_b32 s2, exec_lo
	s_delay_alu instid0(VALU_DEP_1)
	v_cmpx_lt_i64_e64 v[4:5], v[2:3]
	s_cbranch_execz .LBB31_25
; %bb.23:
	s_load_b32 s2, s[0:1], 0xd3c
	v_dual_mov_b32 v1, v5 :: v_dual_lshlrev_b32 v4, 3, v0
	s_wait_xcnt 0x0
	s_add_nc_u64 s[0:1], s[6:7], s[8:9]
	s_delay_alu instid0(VALU_DEP_1) | instid1(SALU_CYCLE_1)
	v_add_nc_u64_e32 v[4:5], s[0:1], v[4:5]
	s_mov_b32 s1, 0
	s_delay_alu instid0(SALU_CYCLE_1) | instskip(SKIP_3) | instid1(SALU_CYCLE_1)
	s_mov_b32 s3, s1
	s_mov_b32 s4, s1
	s_wait_kmcnt 0x0
	s_and_b32 s0, s2, 0xffff
	s_lshl_b32 s2, s0, 3
.LBB31_24:                              ; =>This Inner Loop Header: Depth=1
	global_load_b64 v[6:7], v[4:5], off
	v_add_nc_u64_e32 v[0:1], s[0:1], v[0:1]
	s_wait_loadcnt 0x0
	v_and_b32_e32 v9, 0xffff0000, v6
	v_alignbit_b32 v8, v7, v6, 16
	v_lshlrev_b32_e32 v6, 16, v6
	v_and_b32_e32 v7, 0xffff0000, v7
	s_delay_alu instid0(VALU_DEP_4) | instskip(NEXT) | instid1(VALU_DEP_4)
	v_floor_f32_e32 v9, v9
	v_and_b32_e32 v8, 0xffff0000, v8
	s_delay_alu instid0(VALU_DEP_4) | instskip(NEXT) | instid1(VALU_DEP_4)
	v_floor_f32_e32 v6, v6
	v_floor_f32_e32 v7, v7
	s_delay_alu instid0(VALU_DEP_4) | instskip(NEXT) | instid1(VALU_DEP_4)
	v_bfe_u32 v10, v9, 16, 1
	v_floor_f32_e32 v8, v8
	s_delay_alu instid0(VALU_DEP_4) | instskip(NEXT) | instid1(VALU_DEP_4)
	v_bfe_u32 v11, v6, 16, 1
	v_bfe_u32 v12, v7, 16, 1
	v_cmp_o_f32_e32 vcc_lo, v9, v9
	v_add3_u32 v10, v9, v10, 0x7fff
	v_bfe_u32 v13, v8, 16, 1
	v_add3_u32 v11, v6, v11, 0x7fff
	v_add3_u32 v12, v7, v12, 0x7fff
	s_delay_alu instid0(VALU_DEP_4) | instskip(NEXT) | instid1(VALU_DEP_4)
	v_and_b32_e32 v10, 0xffff0000, v10
	v_add3_u32 v13, v8, v13, 0x7fff
	s_delay_alu instid0(VALU_DEP_4) | instskip(NEXT) | instid1(VALU_DEP_4)
	v_lshrrev_b32_e32 v11, 16, v11
	v_and_b32_e32 v12, 0xffff0000, v12
	s_delay_alu instid0(VALU_DEP_4) | instskip(SKIP_1) | instid1(VALU_DEP_4)
	v_cndmask_b32_e32 v9, 0x7fc00000, v10, vcc_lo
	v_cmp_o_f32_e32 vcc_lo, v6, v6
	v_dual_cndmask_b32 v6, 0x7fc0, v11 :: v_dual_lshrrev_b32 v13, 16, v13
	v_cmp_o_f32_e32 vcc_lo, v7, v7
	s_delay_alu instid0(VALU_DEP_2) | instskip(SKIP_4) | instid1(VALU_DEP_2)
	v_or_b32_e32 v11, v6, v9
	v_cndmask_b32_e32 v10, 0x7fc00000, v12, vcc_lo
	v_cmp_o_f32_e32 vcc_lo, v8, v8
	v_lshlrev_b64_e32 v[6:7], 2, v[0:1]
	v_cndmask_b32_e32 v8, 0x7fc0, v13, vcc_lo
	v_cmp_ge_i64_e32 vcc_lo, v[6:7], v[2:3]
	s_delay_alu instid0(VALU_DEP_2)
	v_or3_b32 v9, 0, v8, v10
	v_or3_b32 v8, v11, 0, 0
	s_or_b32 s4, vcc_lo, s4
	global_store_b64 v[4:5], v[8:9], off
	s_wait_xcnt 0x0
	v_add_nc_u64_e32 v[4:5], s[2:3], v[4:5]
	s_and_not1_b32 exec_lo, exec_lo, s4
	s_cbranch_execnz .LBB31_24
.LBB31_25:
	s_endpgm
	.section	.rodata,"a",@progbits
	.p2align	6, 0x0
	.amdhsa_kernel _ZN2at6native12_GLOBAL__N_125multi_tensor_apply_kernelINS1_18TensorListMetadataILi1EEENS1_14UnaryOpFunctorIN3c108BFloat16ELi1ELi1ELi0EEEJNS0_5FloorIfEEEEEvT_T0_DpT1_
		.amdhsa_group_segment_fixed_size 0
		.amdhsa_private_segment_fixed_size 0
		.amdhsa_kernarg_size 3632
		.amdhsa_user_sgpr_count 2
		.amdhsa_user_sgpr_dispatch_ptr 0
		.amdhsa_user_sgpr_queue_ptr 0
		.amdhsa_user_sgpr_kernarg_segment_ptr 1
		.amdhsa_user_sgpr_dispatch_id 0
		.amdhsa_user_sgpr_kernarg_preload_length 0
		.amdhsa_user_sgpr_kernarg_preload_offset 0
		.amdhsa_user_sgpr_private_segment_size 0
		.amdhsa_wavefront_size32 1
		.amdhsa_uses_dynamic_stack 0
		.amdhsa_enable_private_segment 0
		.amdhsa_system_sgpr_workgroup_id_x 1
		.amdhsa_system_sgpr_workgroup_id_y 0
		.amdhsa_system_sgpr_workgroup_id_z 0
		.amdhsa_system_sgpr_workgroup_info 0
		.amdhsa_system_vgpr_workitem_id 0
		.amdhsa_next_free_vgpr 25
		.amdhsa_next_free_sgpr 20
		.amdhsa_named_barrier_count 0
		.amdhsa_reserve_vcc 1
		.amdhsa_float_round_mode_32 0
		.amdhsa_float_round_mode_16_64 0
		.amdhsa_float_denorm_mode_32 3
		.amdhsa_float_denorm_mode_16_64 3
		.amdhsa_fp16_overflow 0
		.amdhsa_memory_ordered 1
		.amdhsa_forward_progress 1
		.amdhsa_inst_pref_size 11
		.amdhsa_round_robin_scheduling 0
		.amdhsa_exception_fp_ieee_invalid_op 0
		.amdhsa_exception_fp_denorm_src 0
		.amdhsa_exception_fp_ieee_div_zero 0
		.amdhsa_exception_fp_ieee_overflow 0
		.amdhsa_exception_fp_ieee_underflow 0
		.amdhsa_exception_fp_ieee_inexact 0
		.amdhsa_exception_int_div_zero 0
	.end_amdhsa_kernel
	.section	.text._ZN2at6native12_GLOBAL__N_125multi_tensor_apply_kernelINS1_18TensorListMetadataILi1EEENS1_14UnaryOpFunctorIN3c108BFloat16ELi1ELi1ELi0EEEJNS0_5FloorIfEEEEEvT_T0_DpT1_,"axG",@progbits,_ZN2at6native12_GLOBAL__N_125multi_tensor_apply_kernelINS1_18TensorListMetadataILi1EEENS1_14UnaryOpFunctorIN3c108BFloat16ELi1ELi1ELi0EEEJNS0_5FloorIfEEEEEvT_T0_DpT1_,comdat
.Lfunc_end31:
	.size	_ZN2at6native12_GLOBAL__N_125multi_tensor_apply_kernelINS1_18TensorListMetadataILi1EEENS1_14UnaryOpFunctorIN3c108BFloat16ELi1ELi1ELi0EEEJNS0_5FloorIfEEEEEvT_T0_DpT1_, .Lfunc_end31-_ZN2at6native12_GLOBAL__N_125multi_tensor_apply_kernelINS1_18TensorListMetadataILi1EEENS1_14UnaryOpFunctorIN3c108BFloat16ELi1ELi1ELi0EEEJNS0_5FloorIfEEEEEvT_T0_DpT1_
                                        ; -- End function
	.set _ZN2at6native12_GLOBAL__N_125multi_tensor_apply_kernelINS1_18TensorListMetadataILi1EEENS1_14UnaryOpFunctorIN3c108BFloat16ELi1ELi1ELi0EEEJNS0_5FloorIfEEEEEvT_T0_DpT1_.num_vgpr, 25
	.set _ZN2at6native12_GLOBAL__N_125multi_tensor_apply_kernelINS1_18TensorListMetadataILi1EEENS1_14UnaryOpFunctorIN3c108BFloat16ELi1ELi1ELi0EEEJNS0_5FloorIfEEEEEvT_T0_DpT1_.num_agpr, 0
	.set _ZN2at6native12_GLOBAL__N_125multi_tensor_apply_kernelINS1_18TensorListMetadataILi1EEENS1_14UnaryOpFunctorIN3c108BFloat16ELi1ELi1ELi0EEEJNS0_5FloorIfEEEEEvT_T0_DpT1_.numbered_sgpr, 20
	.set _ZN2at6native12_GLOBAL__N_125multi_tensor_apply_kernelINS1_18TensorListMetadataILi1EEENS1_14UnaryOpFunctorIN3c108BFloat16ELi1ELi1ELi0EEEJNS0_5FloorIfEEEEEvT_T0_DpT1_.num_named_barrier, 0
	.set _ZN2at6native12_GLOBAL__N_125multi_tensor_apply_kernelINS1_18TensorListMetadataILi1EEENS1_14UnaryOpFunctorIN3c108BFloat16ELi1ELi1ELi0EEEJNS0_5FloorIfEEEEEvT_T0_DpT1_.private_seg_size, 0
	.set _ZN2at6native12_GLOBAL__N_125multi_tensor_apply_kernelINS1_18TensorListMetadataILi1EEENS1_14UnaryOpFunctorIN3c108BFloat16ELi1ELi1ELi0EEEJNS0_5FloorIfEEEEEvT_T0_DpT1_.uses_vcc, 1
	.set _ZN2at6native12_GLOBAL__N_125multi_tensor_apply_kernelINS1_18TensorListMetadataILi1EEENS1_14UnaryOpFunctorIN3c108BFloat16ELi1ELi1ELi0EEEJNS0_5FloorIfEEEEEvT_T0_DpT1_.uses_flat_scratch, 0
	.set _ZN2at6native12_GLOBAL__N_125multi_tensor_apply_kernelINS1_18TensorListMetadataILi1EEENS1_14UnaryOpFunctorIN3c108BFloat16ELi1ELi1ELi0EEEJNS0_5FloorIfEEEEEvT_T0_DpT1_.has_dyn_sized_stack, 0
	.set _ZN2at6native12_GLOBAL__N_125multi_tensor_apply_kernelINS1_18TensorListMetadataILi1EEENS1_14UnaryOpFunctorIN3c108BFloat16ELi1ELi1ELi0EEEJNS0_5FloorIfEEEEEvT_T0_DpT1_.has_recursion, 0
	.set _ZN2at6native12_GLOBAL__N_125multi_tensor_apply_kernelINS1_18TensorListMetadataILi1EEENS1_14UnaryOpFunctorIN3c108BFloat16ELi1ELi1ELi0EEEJNS0_5FloorIfEEEEEvT_T0_DpT1_.has_indirect_call, 0
	.section	.AMDGPU.csdata,"",@progbits
; Kernel info:
; codeLenInByte = 1364
; TotalNumSgprs: 22
; NumVgprs: 25
; ScratchSize: 0
; MemoryBound: 0
; FloatMode: 240
; IeeeMode: 1
; LDSByteSize: 0 bytes/workgroup (compile time only)
; SGPRBlocks: 0
; VGPRBlocks: 1
; NumSGPRsForWavesPerEU: 22
; NumVGPRsForWavesPerEU: 25
; NamedBarCnt: 0
; Occupancy: 16
; WaveLimiterHint : 0
; COMPUTE_PGM_RSRC2:SCRATCH_EN: 0
; COMPUTE_PGM_RSRC2:USER_SGPR: 2
; COMPUTE_PGM_RSRC2:TRAP_HANDLER: 0
; COMPUTE_PGM_RSRC2:TGID_X_EN: 1
; COMPUTE_PGM_RSRC2:TGID_Y_EN: 0
; COMPUTE_PGM_RSRC2:TGID_Z_EN: 0
; COMPUTE_PGM_RSRC2:TIDIG_COMP_CNT: 0
	.section	.text._ZN2at6native12_GLOBAL__N_125multi_tensor_apply_kernelINS1_18TensorListMetadataILi2EEENS1_14UnaryOpFunctorIdLi2ELi1ELi1EEEJNS0_4CeilIdEEEEEvT_T0_DpT1_,"axG",@progbits,_ZN2at6native12_GLOBAL__N_125multi_tensor_apply_kernelINS1_18TensorListMetadataILi2EEENS1_14UnaryOpFunctorIdLi2ELi1ELi1EEEJNS0_4CeilIdEEEEEvT_T0_DpT1_,comdat
	.globl	_ZN2at6native12_GLOBAL__N_125multi_tensor_apply_kernelINS1_18TensorListMetadataILi2EEENS1_14UnaryOpFunctorIdLi2ELi1ELi1EEEJNS0_4CeilIdEEEEEvT_T0_DpT1_ ; -- Begin function _ZN2at6native12_GLOBAL__N_125multi_tensor_apply_kernelINS1_18TensorListMetadataILi2EEENS1_14UnaryOpFunctorIdLi2ELi1ELi1EEEJNS0_4CeilIdEEEEEvT_T0_DpT1_
	.p2align	8
	.type	_ZN2at6native12_GLOBAL__N_125multi_tensor_apply_kernelINS1_18TensorListMetadataILi2EEENS1_14UnaryOpFunctorIdLi2ELi1ELi1EEEJNS0_4CeilIdEEEEEvT_T0_DpT1_,@function
_ZN2at6native12_GLOBAL__N_125multi_tensor_apply_kernelINS1_18TensorListMetadataILi2EEENS1_14UnaryOpFunctorIdLi2ELi1ELi1EEEJNS0_4CeilIdEEEEEvT_T0_DpT1_: ; @_ZN2at6native12_GLOBAL__N_125multi_tensor_apply_kernelINS1_18TensorListMetadataILi2EEENS1_14UnaryOpFunctorIdLi2ELi1ELi1EEEJNS0_4CeilIdEEEEEvT_T0_DpT1_
; %bb.0:
	s_bfe_u32 s2, ttmp6, 0x4000c
	s_and_b32 s3, ttmp6, 15
	s_add_co_i32 s2, s2, 1
	s_getreg_b32 s4, hwreg(HW_REG_IB_STS2, 6, 4)
	s_mul_i32 s2, ttmp9, s2
	s_mov_b32 s9, 0
	s_add_co_i32 s3, s3, s2
	s_cmp_eq_u32 s4, 0
	s_mov_b32 s15, s9
	s_cselect_b32 s8, ttmp9, s3
	s_load_u8 s11, s[0:1], s8 offset:0x600
	s_add_nc_u64 s[2:3], s[0:1], s[8:9]
	s_mul_u64 s[4:5], s[8:9], 3
	s_delay_alu instid0(SALU_CYCLE_1)
	s_add_nc_u64 s[4:5], s[2:3], s[4:5]
	s_load_b32 s10, s[4:5], 0x740
	s_wait_kmcnt 0x0
	s_clause 0x2
	s_load_b64 s[2:3], s[0:1], s11 offset:0x0 scale_offset
	s_load_b64 s[6:7], s[0:1], s11 offset:0x200 scale_offset
	;; [unrolled: 1-line block ×3, first 2 shown]
	s_wait_xcnt 0x0
	s_ashr_i32 s11, s10, 31
	s_delay_alu instid0(SALU_CYCLE_1)
	s_lshl_b64 s[4:5], s[10:11], 19
	s_wait_kmcnt 0x0
	s_and_b64 s[18:19], s[6:7], 31
	s_add_nc_u64 s[16:17], s[2:3], s[4:5]
	s_and_b32 s14, s12, 3
	s_and_b32 s8, s16, 31
	s_or_b64 s[14:15], s[18:19], s[14:15]
	s_lshl_b64 s[10:11], s[10:11], 16
	s_or_b64 s[14:15], s[14:15], s[8:9]
	s_sub_nc_u64 s[8:9], s[12:13], s[10:11]
	s_cmp_eq_u64 s[14:15], 0
	s_mov_b32 s10, -1
	s_cbranch_scc0 .LBB32_5
; %bb.1:
	v_min_i64 v[2:3], 0x10000, s[8:9]
	v_dual_mov_b32 v5, 0 :: v_dual_lshlrev_b32 v4, 2, v0
	s_mov_b32 s14, exec_lo
	s_delay_alu instid0(VALU_DEP_1)
	v_cmpx_lt_i64_e64 v[4:5], v[2:3]
	s_cbranch_execz .LBB32_4
; %bb.2:
	s_load_b32 s10, s[0:1], 0xc5c
	v_dual_mov_b32 v1, v5 :: v_dual_lshlrev_b32 v4, 5, v0
	s_mov_b32 s11, 0
	s_delay_alu instid0(SALU_CYCLE_1) | instskip(NEXT) | instid1(VALU_DEP_1)
	s_mov_b32 s13, s11
	v_add_nc_u64_e32 v[4:5], s[4:5], v[4:5]
	s_delay_alu instid0(VALU_DEP_2) | instskip(SKIP_3) | instid1(SALU_CYCLE_1)
	v_mov_b64_e32 v[6:7], v[0:1]
	s_mov_b32 s15, s11
	s_wait_kmcnt 0x0
	s_and_b32 s10, s10, 0xffff
	s_lshl_b32 s12, s10, 5
.LBB32_3:                               ; =>This Inner Loop Header: Depth=1
	s_delay_alu instid0(VALU_DEP_2) | instskip(NEXT) | instid1(VALU_DEP_2)
	v_add_nc_u64_e32 v[16:17], s[2:3], v[4:5]
	v_add_nc_u64_e32 v[6:7], s[10:11], v[6:7]
	s_clause 0x1
	global_load_b128 v[8:11], v[16:17], off
	global_load_b128 v[12:15], v[16:17], off offset:16
	s_wait_xcnt 0x0
	v_lshlrev_b64_e32 v[16:17], 2, v[6:7]
	s_delay_alu instid0(VALU_DEP_1)
	v_cmp_ge_i64_e32 vcc_lo, v[16:17], v[2:3]
	v_add_nc_u64_e32 v[16:17], s[6:7], v[4:5]
	v_add_nc_u64_e32 v[4:5], s[12:13], v[4:5]
	s_or_b32 s15, vcc_lo, s15
	s_wait_loadcnt 0x1
	v_ceil_f64_e32 v[8:9], v[8:9]
	v_ceil_f64_e32 v[10:11], v[10:11]
	s_wait_loadcnt 0x0
	v_ceil_f64_e32 v[12:13], v[12:13]
	v_ceil_f64_e32 v[14:15], v[14:15]
	s_clause 0x1
	global_store_b128 v[16:17], v[8:11], off
	global_store_b128 v[16:17], v[12:15], off offset:16
	s_wait_xcnt 0x0
	s_and_not1_b32 exec_lo, exec_lo, s15
	s_cbranch_execnz .LBB32_3
.LBB32_4:
	s_or_b32 exec_lo, exec_lo, s14
	s_mov_b32 s10, 0
.LBB32_5:
	s_delay_alu instid0(SALU_CYCLE_1)
	s_and_not1_b32 vcc_lo, exec_lo, s10
	s_cbranch_vccnz .LBB32_25
; %bb.6:
	v_cmp_lt_i64_e64 s10, s[8:9], 1
	s_and_b32 vcc_lo, exec_lo, s10
	s_cbranch_vccnz .LBB32_25
; %bb.7:
	s_load_b32 s0, s[0:1], 0xc5c
	v_min_i64 v[2:3], 0x10000, s[8:9]
	v_min_u64 v[4:5], 0x10000, s[8:9]
	v_dual_mov_b32 v1, 0 :: v_dual_lshlrev_b32 v10, 3, v0
	s_mov_b32 s9, 0
	s_delay_alu instid0(SALU_CYCLE_1) | instskip(NEXT) | instid1(VALU_DEP_1)
	s_mov_b32 s13, s9
	v_dual_mov_b32 v11, v1 :: v_dual_mov_b32 v27, v1
	s_wait_xcnt 0x0
	s_mov_b32 s1, s9
	s_mov_b32 s11, s9
	s_delay_alu instid0(VALU_DEP_1) | instskip(SKIP_2) | instid1(SALU_CYCLE_1)
	v_add_nc_u64_e32 v[6:7], s[2:3], v[10:11]
	s_wait_kmcnt 0x0
	s_and_b32 s8, s0, 0xffff
	v_add_nc_u64_e32 v[8:9], s[8:9], v[0:1]
	v_mad_nc_u64_u32 v[22:23], s8, 24, v[10:11]
	s_lshl_b32 s12, s8, 4
	s_mul_i32 s10, s8, 3
	v_add_nc_u64_e32 v[18:19], s[12:13], v[10:11]
	s_lshl_b32 s0, s8, 1
	v_add_nc_u64_e32 v[10:11], s[6:7], v[10:11]
	v_lshlrev_b32_e32 v26, 3, v8
	v_add_nc_u64_e32 v[12:13], s[10:11], v[0:1]
	v_add_nc_u64_e32 v[14:15], s[0:1], v[0:1]
	s_mov_b64 s[10:11], 0
	v_add_nc_u64_e32 v[16:17], s[2:3], v[18:19]
	v_add_nc_u64_e32 v[18:19], s[6:7], v[18:19]
	;; [unrolled: 1-line block ×6, first 2 shown]
	s_lshl_b32 s6, s8, 2
	s_mov_b32 s7, s9
	s_lshl_b32 s8, s8, 5
	s_branch .LBB32_9
.LBB32_8:                               ;   in Loop: Header=BB32_9 Depth=1
	s_wait_xcnt 0x0
	s_or_b32 exec_lo, exec_lo, s0
	s_add_nc_u64 s[10:11], s[10:11], s[6:7]
	v_add_nc_u64_e32 v[6:7], s[8:9], v[6:7]
	v_cmp_ge_i64_e32 vcc_lo, s[10:11], v[2:3]
	v_add_nc_u64_e32 v[10:11], s[8:9], v[10:11]
	v_add_nc_u64_e32 v[20:21], s[8:9], v[20:21]
	;; [unrolled: 1-line block ×7, first 2 shown]
	s_cbranch_vccnz .LBB32_25
.LBB32_9:                               ; =>This Inner Loop Header: Depth=1
	v_add_nc_u64_e32 v[30:31], s[10:11], v[0:1]
	v_mov_b64_e32 v[28:29], 0
	s_delay_alu instid0(VALU_DEP_2)
	v_cmp_lt_u64_e32 vcc_lo, v[30:31], v[4:5]
	v_mov_b64_e32 v[30:31], 0
	s_and_saveexec_b32 s0, vcc_lo
	s_cbranch_execz .LBB32_11
; %bb.10:                               ;   in Loop: Header=BB32_9 Depth=1
	v_add_nc_u64_e32 v[30:31], s[4:5], v[6:7]
	global_load_b64 v[30:31], v[30:31], off
	s_wait_loadcnt 0x0
	v_ceil_f64_e32 v[30:31], v[30:31]
.LBB32_11:                              ;   in Loop: Header=BB32_9 Depth=1
	s_or_b32 exec_lo, exec_lo, s0
	v_add_nc_u64_e32 v[32:33], s[10:11], v[8:9]
	s_delay_alu instid0(VALU_DEP_1)
	v_cmp_lt_u64_e64 s0, v[32:33], v[4:5]
	s_and_saveexec_b32 s1, s0
	s_cbranch_execz .LBB32_13
; %bb.12:                               ;   in Loop: Header=BB32_9 Depth=1
	v_add_nc_u64_e32 v[28:29], s[4:5], v[24:25]
	global_load_b64 v[28:29], v[28:29], off
	s_wait_loadcnt 0x0
	v_ceil_f64_e32 v[28:29], v[28:29]
.LBB32_13:                              ;   in Loop: Header=BB32_9 Depth=1
	s_or_b32 exec_lo, exec_lo, s1
	v_add_nc_u64_e32 v[34:35], s[10:11], v[14:15]
	v_mov_b64_e32 v[32:33], 0
	s_delay_alu instid0(VALU_DEP_2)
	v_cmp_lt_u64_e64 s1, v[34:35], v[4:5]
	v_mov_b64_e32 v[34:35], 0
	s_and_saveexec_b32 s2, s1
	s_cbranch_execz .LBB32_15
; %bb.14:                               ;   in Loop: Header=BB32_9 Depth=1
	v_add_nc_u64_e32 v[34:35], s[4:5], v[16:17]
	global_load_b64 v[34:35], v[34:35], off
	s_wait_loadcnt 0x0
	v_ceil_f64_e32 v[34:35], v[34:35]
.LBB32_15:                              ;   in Loop: Header=BB32_9 Depth=1
	s_or_b32 exec_lo, exec_lo, s2
	v_add_nc_u64_e32 v[36:37], s[10:11], v[12:13]
	s_delay_alu instid0(VALU_DEP_1)
	v_cmp_lt_u64_e64 s2, v[36:37], v[4:5]
	s_and_saveexec_b32 s3, s2
	s_cbranch_execnz .LBB32_20
; %bb.16:                               ;   in Loop: Header=BB32_9 Depth=1
	s_or_b32 exec_lo, exec_lo, s3
	s_and_saveexec_b32 s3, vcc_lo
	s_cbranch_execnz .LBB32_21
.LBB32_17:                              ;   in Loop: Header=BB32_9 Depth=1
	s_or_b32 exec_lo, exec_lo, s3
	s_and_saveexec_b32 s3, s0
	s_cbranch_execnz .LBB32_22
.LBB32_18:                              ;   in Loop: Header=BB32_9 Depth=1
	s_or_b32 exec_lo, exec_lo, s3
	s_and_saveexec_b32 s0, s1
	s_cbranch_execnz .LBB32_23
.LBB32_19:                              ;   in Loop: Header=BB32_9 Depth=1
	s_or_b32 exec_lo, exec_lo, s0
	s_and_saveexec_b32 s0, s2
	s_cbranch_execz .LBB32_8
	s_branch .LBB32_24
.LBB32_20:                              ;   in Loop: Header=BB32_9 Depth=1
	v_add_nc_u64_e32 v[32:33], s[4:5], v[20:21]
	global_load_b64 v[32:33], v[32:33], off
	s_wait_loadcnt 0x0
	v_ceil_f64_e32 v[32:33], v[32:33]
	s_or_b32 exec_lo, exec_lo, s3
	s_and_saveexec_b32 s3, vcc_lo
	s_cbranch_execz .LBB32_17
.LBB32_21:                              ;   in Loop: Header=BB32_9 Depth=1
	v_add_nc_u64_e32 v[36:37], s[4:5], v[10:11]
	global_store_b64 v[36:37], v[30:31], off
	s_wait_xcnt 0x0
	s_or_b32 exec_lo, exec_lo, s3
	s_and_saveexec_b32 s3, s0
	s_cbranch_execz .LBB32_18
.LBB32_22:                              ;   in Loop: Header=BB32_9 Depth=1
	v_add_nc_u64_e32 v[30:31], s[4:5], v[26:27]
	global_store_b64 v[30:31], v[28:29], off
	s_wait_xcnt 0x0
	s_or_b32 exec_lo, exec_lo, s3
	s_and_saveexec_b32 s0, s1
	s_cbranch_execz .LBB32_19
.LBB32_23:                              ;   in Loop: Header=BB32_9 Depth=1
	v_add_nc_u64_e32 v[28:29], s[4:5], v[18:19]
	global_store_b64 v[28:29], v[34:35], off
	s_wait_xcnt 0x0
	s_or_b32 exec_lo, exec_lo, s0
	s_and_saveexec_b32 s0, s2
	s_cbranch_execz .LBB32_8
.LBB32_24:                              ;   in Loop: Header=BB32_9 Depth=1
	v_add_nc_u64_e32 v[28:29], s[4:5], v[22:23]
	global_store_b64 v[28:29], v[32:33], off
	s_branch .LBB32_8
.LBB32_25:
	s_endpgm
	.section	.rodata,"a",@progbits
	.p2align	6, 0x0
	.amdhsa_kernel _ZN2at6native12_GLOBAL__N_125multi_tensor_apply_kernelINS1_18TensorListMetadataILi2EEENS1_14UnaryOpFunctorIdLi2ELi1ELi1EEEJNS0_4CeilIdEEEEEvT_T0_DpT1_
		.amdhsa_group_segment_fixed_size 0
		.amdhsa_private_segment_fixed_size 0
		.amdhsa_kernarg_size 3408
		.amdhsa_user_sgpr_count 2
		.amdhsa_user_sgpr_dispatch_ptr 0
		.amdhsa_user_sgpr_queue_ptr 0
		.amdhsa_user_sgpr_kernarg_segment_ptr 1
		.amdhsa_user_sgpr_dispatch_id 0
		.amdhsa_user_sgpr_kernarg_preload_length 0
		.amdhsa_user_sgpr_kernarg_preload_offset 0
		.amdhsa_user_sgpr_private_segment_size 0
		.amdhsa_wavefront_size32 1
		.amdhsa_uses_dynamic_stack 0
		.amdhsa_enable_private_segment 0
		.amdhsa_system_sgpr_workgroup_id_x 1
		.amdhsa_system_sgpr_workgroup_id_y 0
		.amdhsa_system_sgpr_workgroup_id_z 0
		.amdhsa_system_sgpr_workgroup_info 0
		.amdhsa_system_vgpr_workitem_id 0
		.amdhsa_next_free_vgpr 38
		.amdhsa_next_free_sgpr 20
		.amdhsa_named_barrier_count 0
		.amdhsa_reserve_vcc 1
		.amdhsa_float_round_mode_32 0
		.amdhsa_float_round_mode_16_64 0
		.amdhsa_float_denorm_mode_32 3
		.amdhsa_float_denorm_mode_16_64 3
		.amdhsa_fp16_overflow 0
		.amdhsa_memory_ordered 1
		.amdhsa_forward_progress 1
		.amdhsa_inst_pref_size 9
		.amdhsa_round_robin_scheduling 0
		.amdhsa_exception_fp_ieee_invalid_op 0
		.amdhsa_exception_fp_denorm_src 0
		.amdhsa_exception_fp_ieee_div_zero 0
		.amdhsa_exception_fp_ieee_overflow 0
		.amdhsa_exception_fp_ieee_underflow 0
		.amdhsa_exception_fp_ieee_inexact 0
		.amdhsa_exception_int_div_zero 0
	.end_amdhsa_kernel
	.section	.text._ZN2at6native12_GLOBAL__N_125multi_tensor_apply_kernelINS1_18TensorListMetadataILi2EEENS1_14UnaryOpFunctorIdLi2ELi1ELi1EEEJNS0_4CeilIdEEEEEvT_T0_DpT1_,"axG",@progbits,_ZN2at6native12_GLOBAL__N_125multi_tensor_apply_kernelINS1_18TensorListMetadataILi2EEENS1_14UnaryOpFunctorIdLi2ELi1ELi1EEEJNS0_4CeilIdEEEEEvT_T0_DpT1_,comdat
.Lfunc_end32:
	.size	_ZN2at6native12_GLOBAL__N_125multi_tensor_apply_kernelINS1_18TensorListMetadataILi2EEENS1_14UnaryOpFunctorIdLi2ELi1ELi1EEEJNS0_4CeilIdEEEEEvT_T0_DpT1_, .Lfunc_end32-_ZN2at6native12_GLOBAL__N_125multi_tensor_apply_kernelINS1_18TensorListMetadataILi2EEENS1_14UnaryOpFunctorIdLi2ELi1ELi1EEEJNS0_4CeilIdEEEEEvT_T0_DpT1_
                                        ; -- End function
	.set _ZN2at6native12_GLOBAL__N_125multi_tensor_apply_kernelINS1_18TensorListMetadataILi2EEENS1_14UnaryOpFunctorIdLi2ELi1ELi1EEEJNS0_4CeilIdEEEEEvT_T0_DpT1_.num_vgpr, 38
	.set _ZN2at6native12_GLOBAL__N_125multi_tensor_apply_kernelINS1_18TensorListMetadataILi2EEENS1_14UnaryOpFunctorIdLi2ELi1ELi1EEEJNS0_4CeilIdEEEEEvT_T0_DpT1_.num_agpr, 0
	.set _ZN2at6native12_GLOBAL__N_125multi_tensor_apply_kernelINS1_18TensorListMetadataILi2EEENS1_14UnaryOpFunctorIdLi2ELi1ELi1EEEJNS0_4CeilIdEEEEEvT_T0_DpT1_.numbered_sgpr, 20
	.set _ZN2at6native12_GLOBAL__N_125multi_tensor_apply_kernelINS1_18TensorListMetadataILi2EEENS1_14UnaryOpFunctorIdLi2ELi1ELi1EEEJNS0_4CeilIdEEEEEvT_T0_DpT1_.num_named_barrier, 0
	.set _ZN2at6native12_GLOBAL__N_125multi_tensor_apply_kernelINS1_18TensorListMetadataILi2EEENS1_14UnaryOpFunctorIdLi2ELi1ELi1EEEJNS0_4CeilIdEEEEEvT_T0_DpT1_.private_seg_size, 0
	.set _ZN2at6native12_GLOBAL__N_125multi_tensor_apply_kernelINS1_18TensorListMetadataILi2EEENS1_14UnaryOpFunctorIdLi2ELi1ELi1EEEJNS0_4CeilIdEEEEEvT_T0_DpT1_.uses_vcc, 1
	.set _ZN2at6native12_GLOBAL__N_125multi_tensor_apply_kernelINS1_18TensorListMetadataILi2EEENS1_14UnaryOpFunctorIdLi2ELi1ELi1EEEJNS0_4CeilIdEEEEEvT_T0_DpT1_.uses_flat_scratch, 0
	.set _ZN2at6native12_GLOBAL__N_125multi_tensor_apply_kernelINS1_18TensorListMetadataILi2EEENS1_14UnaryOpFunctorIdLi2ELi1ELi1EEEJNS0_4CeilIdEEEEEvT_T0_DpT1_.has_dyn_sized_stack, 0
	.set _ZN2at6native12_GLOBAL__N_125multi_tensor_apply_kernelINS1_18TensorListMetadataILi2EEENS1_14UnaryOpFunctorIdLi2ELi1ELi1EEEJNS0_4CeilIdEEEEEvT_T0_DpT1_.has_recursion, 0
	.set _ZN2at6native12_GLOBAL__N_125multi_tensor_apply_kernelINS1_18TensorListMetadataILi2EEENS1_14UnaryOpFunctorIdLi2ELi1ELi1EEEJNS0_4CeilIdEEEEEvT_T0_DpT1_.has_indirect_call, 0
	.section	.AMDGPU.csdata,"",@progbits
; Kernel info:
; codeLenInByte = 1076
; TotalNumSgprs: 22
; NumVgprs: 38
; ScratchSize: 0
; MemoryBound: 0
; FloatMode: 240
; IeeeMode: 1
; LDSByteSize: 0 bytes/workgroup (compile time only)
; SGPRBlocks: 0
; VGPRBlocks: 2
; NumSGPRsForWavesPerEU: 22
; NumVGPRsForWavesPerEU: 38
; NamedBarCnt: 0
; Occupancy: 16
; WaveLimiterHint : 0
; COMPUTE_PGM_RSRC2:SCRATCH_EN: 0
; COMPUTE_PGM_RSRC2:USER_SGPR: 2
; COMPUTE_PGM_RSRC2:TRAP_HANDLER: 0
; COMPUTE_PGM_RSRC2:TGID_X_EN: 1
; COMPUTE_PGM_RSRC2:TGID_Y_EN: 0
; COMPUTE_PGM_RSRC2:TGID_Z_EN: 0
; COMPUTE_PGM_RSRC2:TIDIG_COMP_CNT: 0
	.section	.text._ZN2at6native12_GLOBAL__N_125multi_tensor_apply_kernelINS1_18TensorListMetadataILi2EEENS1_14UnaryOpFunctorIfLi2ELi1ELi1EEEJNS0_4CeilIfEEEEEvT_T0_DpT1_,"axG",@progbits,_ZN2at6native12_GLOBAL__N_125multi_tensor_apply_kernelINS1_18TensorListMetadataILi2EEENS1_14UnaryOpFunctorIfLi2ELi1ELi1EEEJNS0_4CeilIfEEEEEvT_T0_DpT1_,comdat
	.globl	_ZN2at6native12_GLOBAL__N_125multi_tensor_apply_kernelINS1_18TensorListMetadataILi2EEENS1_14UnaryOpFunctorIfLi2ELi1ELi1EEEJNS0_4CeilIfEEEEEvT_T0_DpT1_ ; -- Begin function _ZN2at6native12_GLOBAL__N_125multi_tensor_apply_kernelINS1_18TensorListMetadataILi2EEENS1_14UnaryOpFunctorIfLi2ELi1ELi1EEEJNS0_4CeilIfEEEEEvT_T0_DpT1_
	.p2align	8
	.type	_ZN2at6native12_GLOBAL__N_125multi_tensor_apply_kernelINS1_18TensorListMetadataILi2EEENS1_14UnaryOpFunctorIfLi2ELi1ELi1EEEJNS0_4CeilIfEEEEEvT_T0_DpT1_,@function
_ZN2at6native12_GLOBAL__N_125multi_tensor_apply_kernelINS1_18TensorListMetadataILi2EEENS1_14UnaryOpFunctorIfLi2ELi1ELi1EEEJNS0_4CeilIfEEEEEvT_T0_DpT1_: ; @_ZN2at6native12_GLOBAL__N_125multi_tensor_apply_kernelINS1_18TensorListMetadataILi2EEENS1_14UnaryOpFunctorIfLi2ELi1ELi1EEEJNS0_4CeilIfEEEEEvT_T0_DpT1_
; %bb.0:
	s_bfe_u32 s2, ttmp6, 0x4000c
	s_and_b32 s3, ttmp6, 15
	s_add_co_i32 s2, s2, 1
	s_getreg_b32 s4, hwreg(HW_REG_IB_STS2, 6, 4)
	s_mul_i32 s2, ttmp9, s2
	s_mov_b32 s9, 0
	s_add_co_i32 s3, s3, s2
	s_cmp_eq_u32 s4, 0
	s_mov_b32 s15, s9
	s_cselect_b32 s8, ttmp9, s3
	s_load_u8 s11, s[0:1], s8 offset:0x600
	s_add_nc_u64 s[2:3], s[0:1], s[8:9]
	s_mul_u64 s[4:5], s[8:9], 3
	s_delay_alu instid0(SALU_CYCLE_1)
	s_add_nc_u64 s[4:5], s[2:3], s[4:5]
	s_load_b32 s10, s[4:5], 0x740
	s_wait_kmcnt 0x0
	s_clause 0x2
	s_load_b64 s[2:3], s[0:1], s11 offset:0x0 scale_offset
	s_load_b64 s[6:7], s[0:1], s11 offset:0x200 scale_offset
	;; [unrolled: 1-line block ×3, first 2 shown]
	s_wait_xcnt 0x0
	s_ashr_i32 s11, s10, 31
	s_delay_alu instid0(SALU_CYCLE_1)
	s_lshl_b64 s[4:5], s[10:11], 18
	s_wait_kmcnt 0x0
	s_and_b64 s[18:19], s[6:7], 15
	s_add_nc_u64 s[16:17], s[2:3], s[4:5]
	s_and_b32 s14, s12, 3
	s_and_b32 s8, s16, 15
	s_or_b64 s[14:15], s[18:19], s[14:15]
	s_lshl_b64 s[10:11], s[10:11], 16
	s_or_b64 s[14:15], s[14:15], s[8:9]
	s_sub_nc_u64 s[8:9], s[12:13], s[10:11]
	s_cmp_eq_u64 s[14:15], 0
	s_mov_b32 s10, -1
	s_cbranch_scc0 .LBB33_5
; %bb.1:
	v_min_i64 v[2:3], 0x10000, s[8:9]
	v_dual_mov_b32 v5, 0 :: v_dual_lshlrev_b32 v4, 2, v0
	s_mov_b32 s14, exec_lo
	s_delay_alu instid0(VALU_DEP_1)
	v_cmpx_lt_i64_e64 v[4:5], v[2:3]
	s_cbranch_execz .LBB33_4
; %bb.2:
	s_load_b32 s10, s[0:1], 0xc5c
	v_dual_mov_b32 v1, v5 :: v_dual_lshlrev_b32 v4, 4, v0
	s_mov_b32 s11, 0
	s_delay_alu instid0(SALU_CYCLE_1) | instskip(NEXT) | instid1(VALU_DEP_1)
	s_mov_b32 s13, s11
	v_add_nc_u64_e32 v[4:5], s[4:5], v[4:5]
	s_delay_alu instid0(VALU_DEP_2) | instskip(SKIP_3) | instid1(SALU_CYCLE_1)
	v_mov_b64_e32 v[6:7], v[0:1]
	s_mov_b32 s15, s11
	s_wait_kmcnt 0x0
	s_and_b32 s10, s10, 0xffff
	s_lshl_b32 s12, s10, 4
.LBB33_3:                               ; =>This Inner Loop Header: Depth=1
	s_delay_alu instid0(VALU_DEP_2) | instskip(NEXT) | instid1(VALU_DEP_2)
	v_add_nc_u64_e32 v[8:9], s[2:3], v[4:5]
	v_add_nc_u64_e32 v[6:7], s[10:11], v[6:7]
	;; [unrolled: 1-line block ×4, first 2 shown]
	global_load_b128 v[8:11], v[8:9], off
	v_lshlrev_b64_e32 v[12:13], 2, v[6:7]
	s_delay_alu instid0(VALU_DEP_1)
	v_cmp_ge_i64_e32 vcc_lo, v[12:13], v[2:3]
	s_or_b32 s15, vcc_lo, s15
	s_wait_loadcnt 0x0
	s_wait_xcnt 0x0
	v_ceil_f32_e32 v8, v8
	v_ceil_f32_e32 v9, v9
	v_ceil_f32_e32 v10, v10
	v_ceil_f32_e32 v11, v11
	global_store_b128 v[14:15], v[8:11], off
	s_wait_xcnt 0x0
	s_and_not1_b32 exec_lo, exec_lo, s15
	s_cbranch_execnz .LBB33_3
.LBB33_4:
	s_or_b32 exec_lo, exec_lo, s14
	s_mov_b32 s10, 0
.LBB33_5:
	s_delay_alu instid0(SALU_CYCLE_1)
	s_and_not1_b32 vcc_lo, exec_lo, s10
	s_cbranch_vccnz .LBB33_25
; %bb.6:
	v_cmp_lt_i64_e64 s10, s[8:9], 1
	s_and_b32 vcc_lo, exec_lo, s10
	s_cbranch_vccnz .LBB33_25
; %bb.7:
	s_load_b32 s0, s[0:1], 0xc5c
	v_min_i64 v[2:3], 0x10000, s[8:9]
	v_min_u64 v[4:5], 0x10000, s[8:9]
	v_dual_mov_b32 v1, 0 :: v_dual_lshlrev_b32 v10, 2, v0
	s_mov_b32 s9, 0
	s_delay_alu instid0(SALU_CYCLE_1) | instskip(NEXT) | instid1(VALU_DEP_1)
	s_mov_b32 s13, s9
	v_dual_mov_b32 v11, v1 :: v_dual_mov_b32 v27, v1
	s_wait_xcnt 0x0
	s_mov_b32 s1, s9
	s_mov_b32 s11, s9
	s_delay_alu instid0(VALU_DEP_1) | instskip(SKIP_2) | instid1(SALU_CYCLE_1)
	v_add_nc_u64_e32 v[6:7], s[2:3], v[10:11]
	s_wait_kmcnt 0x0
	s_and_b32 s8, s0, 0xffff
	v_add_nc_u64_e32 v[8:9], s[8:9], v[0:1]
	v_mad_nc_u64_u32 v[22:23], s8, 12, v[10:11]
	s_lshl_b32 s12, s8, 3
	s_mul_i32 s10, s8, 3
	v_add_nc_u64_e32 v[18:19], s[12:13], v[10:11]
	s_lshl_b32 s0, s8, 1
	v_add_nc_u64_e32 v[10:11], s[6:7], v[10:11]
	v_lshlrev_b32_e32 v26, 2, v8
	v_add_nc_u64_e32 v[12:13], s[10:11], v[0:1]
	v_add_nc_u64_e32 v[14:15], s[0:1], v[0:1]
	s_mov_b64 s[10:11], 0
	v_add_nc_u64_e32 v[16:17], s[2:3], v[18:19]
	v_add_nc_u64_e32 v[18:19], s[6:7], v[18:19]
	;; [unrolled: 1-line block ×6, first 2 shown]
	s_lshl_b32 s6, s8, 2
	s_mov_b32 s7, s9
	s_lshl_b32 s8, s8, 4
	s_branch .LBB33_9
.LBB33_8:                               ;   in Loop: Header=BB33_9 Depth=1
	s_wait_xcnt 0x0
	s_or_b32 exec_lo, exec_lo, s0
	s_add_nc_u64 s[10:11], s[10:11], s[6:7]
	v_add_nc_u64_e32 v[6:7], s[8:9], v[6:7]
	v_cmp_ge_i64_e32 vcc_lo, s[10:11], v[2:3]
	v_add_nc_u64_e32 v[10:11], s[8:9], v[10:11]
	v_add_nc_u64_e32 v[20:21], s[8:9], v[20:21]
	;; [unrolled: 1-line block ×7, first 2 shown]
	s_cbranch_vccnz .LBB33_25
.LBB33_9:                               ; =>This Inner Loop Header: Depth=1
	v_add_nc_u64_e32 v[28:29], s[10:11], v[0:1]
	s_delay_alu instid0(VALU_DEP_1)
	v_cmp_lt_u64_e32 vcc_lo, v[28:29], v[4:5]
	v_mov_b32_e32 v29, 0
	s_and_saveexec_b32 s0, vcc_lo
	s_cbranch_execz .LBB33_11
; %bb.10:                               ;   in Loop: Header=BB33_9 Depth=1
	v_add_nc_u64_e32 v[28:29], s[4:5], v[6:7]
	global_load_b32 v28, v[28:29], off
	s_wait_loadcnt 0x0
	v_ceil_f32_e32 v29, v28
.LBB33_11:                              ;   in Loop: Header=BB33_9 Depth=1
	s_or_b32 exec_lo, exec_lo, s0
	v_add_nc_u64_e32 v[30:31], s[10:11], v[8:9]
	v_mov_b32_e32 v28, 0
	s_delay_alu instid0(VALU_DEP_2)
	v_cmp_lt_u64_e64 s0, v[30:31], v[4:5]
	v_mov_b32_e32 v30, 0
	s_and_saveexec_b32 s1, s0
	s_cbranch_execz .LBB33_13
; %bb.12:                               ;   in Loop: Header=BB33_9 Depth=1
	v_add_nc_u64_e32 v[30:31], s[4:5], v[24:25]
	global_load_b32 v30, v[30:31], off
	s_wait_loadcnt 0x0
	v_ceil_f32_e32 v30, v30
.LBB33_13:                              ;   in Loop: Header=BB33_9 Depth=1
	s_or_b32 exec_lo, exec_lo, s1
	v_add_nc_u64_e32 v[32:33], s[10:11], v[14:15]
	s_delay_alu instid0(VALU_DEP_1)
	v_cmp_lt_u64_e64 s1, v[32:33], v[4:5]
	s_and_saveexec_b32 s2, s1
	s_cbranch_execz .LBB33_15
; %bb.14:                               ;   in Loop: Header=BB33_9 Depth=1
	v_add_nc_u64_e32 v[32:33], s[4:5], v[16:17]
	global_load_b32 v28, v[32:33], off
	s_wait_loadcnt 0x0
	v_ceil_f32_e32 v28, v28
.LBB33_15:                              ;   in Loop: Header=BB33_9 Depth=1
	s_wait_xcnt 0x0
	s_or_b32 exec_lo, exec_lo, s2
	v_add_nc_u64_e32 v[32:33], s[10:11], v[12:13]
	v_mov_b32_e32 v31, 0
	s_delay_alu instid0(VALU_DEP_2)
	v_cmp_lt_u64_e64 s2, v[32:33], v[4:5]
	s_and_saveexec_b32 s3, s2
	s_cbranch_execnz .LBB33_20
; %bb.16:                               ;   in Loop: Header=BB33_9 Depth=1
	s_or_b32 exec_lo, exec_lo, s3
	s_and_saveexec_b32 s3, vcc_lo
	s_cbranch_execnz .LBB33_21
.LBB33_17:                              ;   in Loop: Header=BB33_9 Depth=1
	s_or_b32 exec_lo, exec_lo, s3
	s_and_saveexec_b32 s3, s0
	s_cbranch_execnz .LBB33_22
.LBB33_18:                              ;   in Loop: Header=BB33_9 Depth=1
	s_or_b32 exec_lo, exec_lo, s3
	s_and_saveexec_b32 s0, s1
	s_cbranch_execnz .LBB33_23
.LBB33_19:                              ;   in Loop: Header=BB33_9 Depth=1
	s_or_b32 exec_lo, exec_lo, s0
	s_and_saveexec_b32 s0, s2
	s_cbranch_execz .LBB33_8
	s_branch .LBB33_24
.LBB33_20:                              ;   in Loop: Header=BB33_9 Depth=1
	v_add_nc_u64_e32 v[32:33], s[4:5], v[20:21]
	global_load_b32 v31, v[32:33], off
	s_wait_loadcnt 0x0
	v_ceil_f32_e32 v31, v31
	s_wait_xcnt 0x0
	s_or_b32 exec_lo, exec_lo, s3
	s_and_saveexec_b32 s3, vcc_lo
	s_cbranch_execz .LBB33_17
.LBB33_21:                              ;   in Loop: Header=BB33_9 Depth=1
	v_add_nc_u64_e32 v[32:33], s[4:5], v[10:11]
	global_store_b32 v[32:33], v29, off
	s_wait_xcnt 0x0
	s_or_b32 exec_lo, exec_lo, s3
	s_and_saveexec_b32 s3, s0
	s_cbranch_execz .LBB33_18
.LBB33_22:                              ;   in Loop: Header=BB33_9 Depth=1
	v_add_nc_u64_e32 v[32:33], s[4:5], v[26:27]
	global_store_b32 v[32:33], v30, off
	s_wait_xcnt 0x0
	s_or_b32 exec_lo, exec_lo, s3
	s_and_saveexec_b32 s0, s1
	s_cbranch_execz .LBB33_19
.LBB33_23:                              ;   in Loop: Header=BB33_9 Depth=1
	v_add_nc_u64_e32 v[32:33], s[4:5], v[18:19]
	global_store_b32 v[32:33], v28, off
	s_wait_xcnt 0x0
	s_or_b32 exec_lo, exec_lo, s0
	s_and_saveexec_b32 s0, s2
	s_cbranch_execz .LBB33_8
.LBB33_24:                              ;   in Loop: Header=BB33_9 Depth=1
	v_add_nc_u64_e32 v[28:29], s[4:5], v[22:23]
	global_store_b32 v[28:29], v31, off
	s_branch .LBB33_8
.LBB33_25:
	s_endpgm
	.section	.rodata,"a",@progbits
	.p2align	6, 0x0
	.amdhsa_kernel _ZN2at6native12_GLOBAL__N_125multi_tensor_apply_kernelINS1_18TensorListMetadataILi2EEENS1_14UnaryOpFunctorIfLi2ELi1ELi1EEEJNS0_4CeilIfEEEEEvT_T0_DpT1_
		.amdhsa_group_segment_fixed_size 0
		.amdhsa_private_segment_fixed_size 0
		.amdhsa_kernarg_size 3408
		.amdhsa_user_sgpr_count 2
		.amdhsa_user_sgpr_dispatch_ptr 0
		.amdhsa_user_sgpr_queue_ptr 0
		.amdhsa_user_sgpr_kernarg_segment_ptr 1
		.amdhsa_user_sgpr_dispatch_id 0
		.amdhsa_user_sgpr_kernarg_preload_length 0
		.amdhsa_user_sgpr_kernarg_preload_offset 0
		.amdhsa_user_sgpr_private_segment_size 0
		.amdhsa_wavefront_size32 1
		.amdhsa_uses_dynamic_stack 0
		.amdhsa_enable_private_segment 0
		.amdhsa_system_sgpr_workgroup_id_x 1
		.amdhsa_system_sgpr_workgroup_id_y 0
		.amdhsa_system_sgpr_workgroup_id_z 0
		.amdhsa_system_sgpr_workgroup_info 0
		.amdhsa_system_vgpr_workitem_id 0
		.amdhsa_next_free_vgpr 34
		.amdhsa_next_free_sgpr 20
		.amdhsa_named_barrier_count 0
		.amdhsa_reserve_vcc 1
		.amdhsa_float_round_mode_32 0
		.amdhsa_float_round_mode_16_64 0
		.amdhsa_float_denorm_mode_32 3
		.amdhsa_float_denorm_mode_16_64 3
		.amdhsa_fp16_overflow 0
		.amdhsa_memory_ordered 1
		.amdhsa_forward_progress 1
		.amdhsa_inst_pref_size 9
		.amdhsa_round_robin_scheduling 0
		.amdhsa_exception_fp_ieee_invalid_op 0
		.amdhsa_exception_fp_denorm_src 0
		.amdhsa_exception_fp_ieee_div_zero 0
		.amdhsa_exception_fp_ieee_overflow 0
		.amdhsa_exception_fp_ieee_underflow 0
		.amdhsa_exception_fp_ieee_inexact 0
		.amdhsa_exception_int_div_zero 0
	.end_amdhsa_kernel
	.section	.text._ZN2at6native12_GLOBAL__N_125multi_tensor_apply_kernelINS1_18TensorListMetadataILi2EEENS1_14UnaryOpFunctorIfLi2ELi1ELi1EEEJNS0_4CeilIfEEEEEvT_T0_DpT1_,"axG",@progbits,_ZN2at6native12_GLOBAL__N_125multi_tensor_apply_kernelINS1_18TensorListMetadataILi2EEENS1_14UnaryOpFunctorIfLi2ELi1ELi1EEEJNS0_4CeilIfEEEEEvT_T0_DpT1_,comdat
.Lfunc_end33:
	.size	_ZN2at6native12_GLOBAL__N_125multi_tensor_apply_kernelINS1_18TensorListMetadataILi2EEENS1_14UnaryOpFunctorIfLi2ELi1ELi1EEEJNS0_4CeilIfEEEEEvT_T0_DpT1_, .Lfunc_end33-_ZN2at6native12_GLOBAL__N_125multi_tensor_apply_kernelINS1_18TensorListMetadataILi2EEENS1_14UnaryOpFunctorIfLi2ELi1ELi1EEEJNS0_4CeilIfEEEEEvT_T0_DpT1_
                                        ; -- End function
	.set _ZN2at6native12_GLOBAL__N_125multi_tensor_apply_kernelINS1_18TensorListMetadataILi2EEENS1_14UnaryOpFunctorIfLi2ELi1ELi1EEEJNS0_4CeilIfEEEEEvT_T0_DpT1_.num_vgpr, 34
	.set _ZN2at6native12_GLOBAL__N_125multi_tensor_apply_kernelINS1_18TensorListMetadataILi2EEENS1_14UnaryOpFunctorIfLi2ELi1ELi1EEEJNS0_4CeilIfEEEEEvT_T0_DpT1_.num_agpr, 0
	.set _ZN2at6native12_GLOBAL__N_125multi_tensor_apply_kernelINS1_18TensorListMetadataILi2EEENS1_14UnaryOpFunctorIfLi2ELi1ELi1EEEJNS0_4CeilIfEEEEEvT_T0_DpT1_.numbered_sgpr, 20
	.set _ZN2at6native12_GLOBAL__N_125multi_tensor_apply_kernelINS1_18TensorListMetadataILi2EEENS1_14UnaryOpFunctorIfLi2ELi1ELi1EEEJNS0_4CeilIfEEEEEvT_T0_DpT1_.num_named_barrier, 0
	.set _ZN2at6native12_GLOBAL__N_125multi_tensor_apply_kernelINS1_18TensorListMetadataILi2EEENS1_14UnaryOpFunctorIfLi2ELi1ELi1EEEJNS0_4CeilIfEEEEEvT_T0_DpT1_.private_seg_size, 0
	.set _ZN2at6native12_GLOBAL__N_125multi_tensor_apply_kernelINS1_18TensorListMetadataILi2EEENS1_14UnaryOpFunctorIfLi2ELi1ELi1EEEJNS0_4CeilIfEEEEEvT_T0_DpT1_.uses_vcc, 1
	.set _ZN2at6native12_GLOBAL__N_125multi_tensor_apply_kernelINS1_18TensorListMetadataILi2EEENS1_14UnaryOpFunctorIfLi2ELi1ELi1EEEJNS0_4CeilIfEEEEEvT_T0_DpT1_.uses_flat_scratch, 0
	.set _ZN2at6native12_GLOBAL__N_125multi_tensor_apply_kernelINS1_18TensorListMetadataILi2EEENS1_14UnaryOpFunctorIfLi2ELi1ELi1EEEJNS0_4CeilIfEEEEEvT_T0_DpT1_.has_dyn_sized_stack, 0
	.set _ZN2at6native12_GLOBAL__N_125multi_tensor_apply_kernelINS1_18TensorListMetadataILi2EEENS1_14UnaryOpFunctorIfLi2ELi1ELi1EEEJNS0_4CeilIfEEEEEvT_T0_DpT1_.has_recursion, 0
	.set _ZN2at6native12_GLOBAL__N_125multi_tensor_apply_kernelINS1_18TensorListMetadataILi2EEENS1_14UnaryOpFunctorIfLi2ELi1ELi1EEEJNS0_4CeilIfEEEEEvT_T0_DpT1_.has_indirect_call, 0
	.section	.AMDGPU.csdata,"",@progbits
; Kernel info:
; codeLenInByte = 1048
; TotalNumSgprs: 22
; NumVgprs: 34
; ScratchSize: 0
; MemoryBound: 0
; FloatMode: 240
; IeeeMode: 1
; LDSByteSize: 0 bytes/workgroup (compile time only)
; SGPRBlocks: 0
; VGPRBlocks: 2
; NumSGPRsForWavesPerEU: 22
; NumVGPRsForWavesPerEU: 34
; NamedBarCnt: 0
; Occupancy: 16
; WaveLimiterHint : 0
; COMPUTE_PGM_RSRC2:SCRATCH_EN: 0
; COMPUTE_PGM_RSRC2:USER_SGPR: 2
; COMPUTE_PGM_RSRC2:TRAP_HANDLER: 0
; COMPUTE_PGM_RSRC2:TGID_X_EN: 1
; COMPUTE_PGM_RSRC2:TGID_Y_EN: 0
; COMPUTE_PGM_RSRC2:TGID_Z_EN: 0
; COMPUTE_PGM_RSRC2:TIDIG_COMP_CNT: 0
	.section	.text._ZN2at6native12_GLOBAL__N_125multi_tensor_apply_kernelINS1_18TensorListMetadataILi2EEENS1_14UnaryOpFunctorIN3c104HalfELi2ELi1ELi1EEEJNS0_4CeilIfEEEEEvT_T0_DpT1_,"axG",@progbits,_ZN2at6native12_GLOBAL__N_125multi_tensor_apply_kernelINS1_18TensorListMetadataILi2EEENS1_14UnaryOpFunctorIN3c104HalfELi2ELi1ELi1EEEJNS0_4CeilIfEEEEEvT_T0_DpT1_,comdat
	.globl	_ZN2at6native12_GLOBAL__N_125multi_tensor_apply_kernelINS1_18TensorListMetadataILi2EEENS1_14UnaryOpFunctorIN3c104HalfELi2ELi1ELi1EEEJNS0_4CeilIfEEEEEvT_T0_DpT1_ ; -- Begin function _ZN2at6native12_GLOBAL__N_125multi_tensor_apply_kernelINS1_18TensorListMetadataILi2EEENS1_14UnaryOpFunctorIN3c104HalfELi2ELi1ELi1EEEJNS0_4CeilIfEEEEEvT_T0_DpT1_
	.p2align	8
	.type	_ZN2at6native12_GLOBAL__N_125multi_tensor_apply_kernelINS1_18TensorListMetadataILi2EEENS1_14UnaryOpFunctorIN3c104HalfELi2ELi1ELi1EEEJNS0_4CeilIfEEEEEvT_T0_DpT1_,@function
_ZN2at6native12_GLOBAL__N_125multi_tensor_apply_kernelINS1_18TensorListMetadataILi2EEENS1_14UnaryOpFunctorIN3c104HalfELi2ELi1ELi1EEEJNS0_4CeilIfEEEEEvT_T0_DpT1_: ; @_ZN2at6native12_GLOBAL__N_125multi_tensor_apply_kernelINS1_18TensorListMetadataILi2EEENS1_14UnaryOpFunctorIN3c104HalfELi2ELi1ELi1EEEJNS0_4CeilIfEEEEEvT_T0_DpT1_
; %bb.0:
	s_bfe_u32 s2, ttmp6, 0x4000c
	s_and_b32 s3, ttmp6, 15
	s_add_co_i32 s2, s2, 1
	s_getreg_b32 s4, hwreg(HW_REG_IB_STS2, 6, 4)
	s_mul_i32 s2, ttmp9, s2
	s_mov_b32 s7, 0
	s_add_co_i32 s3, s3, s2
	s_cmp_eq_u32 s4, 0
	s_mov_b32 s15, s7
	s_cselect_b32 s6, ttmp9, s3
	s_load_u8 s11, s[0:1], s6 offset:0x600
	s_add_nc_u64 s[2:3], s[0:1], s[6:7]
	s_mul_u64 s[4:5], s[6:7], 3
	s_delay_alu instid0(SALU_CYCLE_1)
	s_add_nc_u64 s[4:5], s[2:3], s[4:5]
	s_load_b32 s10, s[4:5], 0x740
	s_wait_kmcnt 0x0
	s_clause 0x2
	s_load_b64 s[2:3], s[0:1], s11 offset:0x0 scale_offset
	s_load_b64 s[8:9], s[0:1], s11 offset:0x200 scale_offset
	s_load_b64 s[12:13], s[0:1], s11 offset:0x400 scale_offset
	s_wait_xcnt 0x0
	s_ashr_i32 s11, s10, 31
	s_delay_alu instid0(SALU_CYCLE_1)
	s_lshl_b64 s[4:5], s[10:11], 17
	s_wait_kmcnt 0x0
	s_and_b64 s[18:19], s[8:9], 7
	s_add_nc_u64 s[16:17], s[2:3], s[4:5]
	s_and_b32 s14, s12, 3
	s_and_b32 s6, s16, 7
	s_or_b64 s[14:15], s[18:19], s[14:15]
	s_lshl_b64 s[10:11], s[10:11], 16
	s_or_b64 s[14:15], s[14:15], s[6:7]
	s_sub_nc_u64 s[6:7], s[12:13], s[10:11]
	s_cmp_eq_u64 s[14:15], 0
	s_mov_b32 s10, -1
	s_cbranch_scc0 .LBB34_5
; %bb.1:
	v_min_i64 v[2:3], 0x10000, s[6:7]
	v_dual_mov_b32 v5, 0 :: v_dual_lshlrev_b32 v4, 2, v0
	s_mov_b32 s14, exec_lo
	s_delay_alu instid0(VALU_DEP_1)
	v_cmpx_lt_i64_e64 v[4:5], v[2:3]
	s_cbranch_execz .LBB34_4
; %bb.2:
	s_load_b32 s10, s[0:1], 0xc5c
	v_dual_mov_b32 v1, v5 :: v_dual_lshlrev_b32 v4, 3, v0
	s_mov_b32 s11, 0
	s_delay_alu instid0(SALU_CYCLE_1) | instskip(NEXT) | instid1(VALU_DEP_1)
	s_mov_b32 s13, s11
	v_add_nc_u64_e32 v[4:5], s[4:5], v[4:5]
	s_delay_alu instid0(VALU_DEP_2) | instskip(SKIP_3) | instid1(SALU_CYCLE_1)
	v_mov_b64_e32 v[6:7], v[0:1]
	s_mov_b32 s15, s11
	s_wait_kmcnt 0x0
	s_and_b32 s10, s10, 0xffff
	s_lshl_b32 s12, s10, 3
.LBB34_3:                               ; =>This Inner Loop Header: Depth=1
	s_delay_alu instid0(VALU_DEP_2) | instskip(NEXT) | instid1(VALU_DEP_2)
	v_add_nc_u64_e32 v[8:9], s[2:3], v[4:5]
	v_add_nc_u64_e32 v[6:7], s[10:11], v[6:7]
	global_load_b64 v[8:9], v[8:9], off
	v_lshlrev_b64_e32 v[10:11], 2, v[6:7]
	s_delay_alu instid0(VALU_DEP_1)
	v_cmp_ge_i64_e32 vcc_lo, v[10:11], v[2:3]
	s_or_b32 s15, vcc_lo, s15
	s_wait_loadcnt 0x0
	v_dual_lshrrev_b32 v1, 16, v9 :: v_dual_lshrrev_b32 v12, 16, v8
	v_ceil_f16_e32 v13, v8
	v_ceil_f16_e32 v14, v9
	s_wait_xcnt 0x0
	v_add_nc_u64_e32 v[8:9], s[8:9], v[4:5]
	v_ceil_f16_e32 v1, v1
	v_ceil_f16_e32 v12, v12
	v_add_nc_u64_e32 v[4:5], s[12:13], v[4:5]
	s_delay_alu instid0(VALU_DEP_3) | instskip(NEXT) | instid1(VALU_DEP_3)
	v_pack_b32_f16 v11, v14, v1
	v_pack_b32_f16 v10, v13, v12
	global_store_b64 v[8:9], v[10:11], off
	s_wait_xcnt 0x0
	s_and_not1_b32 exec_lo, exec_lo, s15
	s_cbranch_execnz .LBB34_3
.LBB34_4:
	s_or_b32 exec_lo, exec_lo, s14
	s_mov_b32 s10, 0
.LBB34_5:
	s_delay_alu instid0(SALU_CYCLE_1)
	s_and_not1_b32 vcc_lo, exec_lo, s10
	s_cbranch_vccnz .LBB34_25
; %bb.6:
	v_cmp_lt_i64_e64 s10, s[6:7], 1
	s_and_b32 vcc_lo, exec_lo, s10
	s_cbranch_vccnz .LBB34_25
; %bb.7:
	s_load_b32 s0, s[0:1], 0xc5c
	v_min_i64 v[2:3], 0x10000, s[6:7]
	v_min_u64 v[4:5], 0x10000, s[6:7]
	v_dual_mov_b32 v1, 0 :: v_dual_lshlrev_b32 v10, 1, v0
	s_wait_xcnt 0x0
	s_mov_b32 s1, 0
	s_delay_alu instid0(SALU_CYCLE_1) | instskip(NEXT) | instid1(VALU_DEP_1)
	s_mov_b32 s7, s1
	v_dual_mov_b32 v11, v1 :: v_dual_mov_b32 v27, v1
	s_mov_b32 s11, s1
	s_mov_b32 s13, s1
	s_delay_alu instid0(VALU_DEP_1) | instskip(SKIP_2) | instid1(SALU_CYCLE_1)
	v_add_nc_u64_e32 v[6:7], s[2:3], v[10:11]
	s_wait_kmcnt 0x0
	s_and_b32 s0, s0, 0xffff
	v_add_nc_u64_e32 v[8:9], s[0:1], v[0:1]
	v_mad_nc_u64_u32 v[22:23], s0, 6, v[10:11]
	s_lshl_b32 s6, s0, 2
	s_mul_i32 s12, s0, 3
	v_add_nc_u64_e32 v[18:19], s[6:7], v[10:11]
	s_lshl_b32 s10, s0, 1
	v_add_nc_u64_e32 v[10:11], s[8:9], v[10:11]
	v_lshlrev_b32_e32 v26, 1, v8
	v_add_nc_u64_e32 v[12:13], s[12:13], v[0:1]
	v_add_nc_u64_e32 v[14:15], s[10:11], v[0:1]
	s_mov_b64 s[10:11], 0
	v_add_nc_u64_e32 v[16:17], s[2:3], v[18:19]
	v_add_nc_u64_e32 v[18:19], s[8:9], v[18:19]
	;; [unrolled: 1-line block ×6, first 2 shown]
	s_lshl_b32 s8, s0, 3
	s_mov_b32 s9, s1
	s_branch .LBB34_9
.LBB34_8:                               ;   in Loop: Header=BB34_9 Depth=1
	s_wait_xcnt 0x0
	s_or_b32 exec_lo, exec_lo, s0
	s_add_nc_u64 s[10:11], s[10:11], s[6:7]
	v_add_nc_u64_e32 v[6:7], s[8:9], v[6:7]
	v_cmp_ge_i64_e32 vcc_lo, s[10:11], v[2:3]
	v_add_nc_u64_e32 v[10:11], s[8:9], v[10:11]
	v_add_nc_u64_e32 v[20:21], s[8:9], v[20:21]
	;; [unrolled: 1-line block ×7, first 2 shown]
	s_cbranch_vccnz .LBB34_25
.LBB34_9:                               ; =>This Inner Loop Header: Depth=1
	v_add_nc_u64_e32 v[28:29], s[10:11], v[0:1]
	s_delay_alu instid0(VALU_DEP_1)
	v_cmp_lt_u64_e32 vcc_lo, v[28:29], v[4:5]
	v_mov_b32_e32 v29, 0
	s_and_saveexec_b32 s0, vcc_lo
	s_cbranch_execz .LBB34_11
; %bb.10:                               ;   in Loop: Header=BB34_9 Depth=1
	v_add_nc_u64_e32 v[28:29], s[4:5], v[6:7]
	global_load_u16 v28, v[28:29], off
	s_wait_loadcnt 0x0
	v_ceil_f16_e32 v29, v28
.LBB34_11:                              ;   in Loop: Header=BB34_9 Depth=1
	s_or_b32 exec_lo, exec_lo, s0
	v_add_nc_u64_e32 v[30:31], s[10:11], v[8:9]
	v_mov_b32_e32 v28, 0
	s_delay_alu instid0(VALU_DEP_2)
	v_cmp_lt_u64_e64 s0, v[30:31], v[4:5]
	v_mov_b32_e32 v30, 0
	s_and_saveexec_b32 s1, s0
	s_cbranch_execz .LBB34_13
; %bb.12:                               ;   in Loop: Header=BB34_9 Depth=1
	v_add_nc_u64_e32 v[30:31], s[4:5], v[24:25]
	global_load_u16 v30, v[30:31], off
	s_wait_loadcnt 0x0
	v_ceil_f16_e32 v30, v30
.LBB34_13:                              ;   in Loop: Header=BB34_9 Depth=1
	s_or_b32 exec_lo, exec_lo, s1
	v_add_nc_u64_e32 v[32:33], s[10:11], v[14:15]
	s_delay_alu instid0(VALU_DEP_1)
	v_cmp_lt_u64_e64 s1, v[32:33], v[4:5]
	s_and_saveexec_b32 s2, s1
	s_cbranch_execz .LBB34_15
; %bb.14:                               ;   in Loop: Header=BB34_9 Depth=1
	v_add_nc_u64_e32 v[32:33], s[4:5], v[16:17]
	global_load_u16 v28, v[32:33], off
	s_wait_loadcnt 0x0
	v_ceil_f16_e32 v28, v28
.LBB34_15:                              ;   in Loop: Header=BB34_9 Depth=1
	s_wait_xcnt 0x0
	s_or_b32 exec_lo, exec_lo, s2
	v_add_nc_u64_e32 v[32:33], s[10:11], v[12:13]
	v_mov_b32_e32 v31, 0
	s_delay_alu instid0(VALU_DEP_2)
	v_cmp_lt_u64_e64 s2, v[32:33], v[4:5]
	s_and_saveexec_b32 s3, s2
	s_cbranch_execnz .LBB34_20
; %bb.16:                               ;   in Loop: Header=BB34_9 Depth=1
	s_or_b32 exec_lo, exec_lo, s3
	s_and_saveexec_b32 s3, vcc_lo
	s_cbranch_execnz .LBB34_21
.LBB34_17:                              ;   in Loop: Header=BB34_9 Depth=1
	s_or_b32 exec_lo, exec_lo, s3
	s_and_saveexec_b32 s3, s0
	s_cbranch_execnz .LBB34_22
.LBB34_18:                              ;   in Loop: Header=BB34_9 Depth=1
	s_or_b32 exec_lo, exec_lo, s3
	s_and_saveexec_b32 s0, s1
	s_cbranch_execnz .LBB34_23
.LBB34_19:                              ;   in Loop: Header=BB34_9 Depth=1
	s_or_b32 exec_lo, exec_lo, s0
	s_and_saveexec_b32 s0, s2
	s_cbranch_execz .LBB34_8
	s_branch .LBB34_24
.LBB34_20:                              ;   in Loop: Header=BB34_9 Depth=1
	v_add_nc_u64_e32 v[32:33], s[4:5], v[20:21]
	global_load_u16 v31, v[32:33], off
	s_wait_loadcnt 0x0
	v_ceil_f16_e32 v31, v31
	s_wait_xcnt 0x0
	s_or_b32 exec_lo, exec_lo, s3
	s_and_saveexec_b32 s3, vcc_lo
	s_cbranch_execz .LBB34_17
.LBB34_21:                              ;   in Loop: Header=BB34_9 Depth=1
	v_add_nc_u64_e32 v[32:33], s[4:5], v[10:11]
	global_store_b16 v[32:33], v29, off
	s_wait_xcnt 0x0
	s_or_b32 exec_lo, exec_lo, s3
	s_and_saveexec_b32 s3, s0
	s_cbranch_execz .LBB34_18
.LBB34_22:                              ;   in Loop: Header=BB34_9 Depth=1
	v_add_nc_u64_e32 v[32:33], s[4:5], v[26:27]
	global_store_b16 v[32:33], v30, off
	s_wait_xcnt 0x0
	s_or_b32 exec_lo, exec_lo, s3
	s_and_saveexec_b32 s0, s1
	s_cbranch_execz .LBB34_19
.LBB34_23:                              ;   in Loop: Header=BB34_9 Depth=1
	v_add_nc_u64_e32 v[32:33], s[4:5], v[18:19]
	global_store_b16 v[32:33], v28, off
	s_wait_xcnt 0x0
	s_or_b32 exec_lo, exec_lo, s0
	s_and_saveexec_b32 s0, s2
	s_cbranch_execz .LBB34_8
.LBB34_24:                              ;   in Loop: Header=BB34_9 Depth=1
	v_add_nc_u64_e32 v[28:29], s[4:5], v[22:23]
	global_store_b16 v[28:29], v31, off
	s_branch .LBB34_8
.LBB34_25:
	s_endpgm
	.section	.rodata,"a",@progbits
	.p2align	6, 0x0
	.amdhsa_kernel _ZN2at6native12_GLOBAL__N_125multi_tensor_apply_kernelINS1_18TensorListMetadataILi2EEENS1_14UnaryOpFunctorIN3c104HalfELi2ELi1ELi1EEEJNS0_4CeilIfEEEEEvT_T0_DpT1_
		.amdhsa_group_segment_fixed_size 0
		.amdhsa_private_segment_fixed_size 0
		.amdhsa_kernarg_size 3408
		.amdhsa_user_sgpr_count 2
		.amdhsa_user_sgpr_dispatch_ptr 0
		.amdhsa_user_sgpr_queue_ptr 0
		.amdhsa_user_sgpr_kernarg_segment_ptr 1
		.amdhsa_user_sgpr_dispatch_id 0
		.amdhsa_user_sgpr_kernarg_preload_length 0
		.amdhsa_user_sgpr_kernarg_preload_offset 0
		.amdhsa_user_sgpr_private_segment_size 0
		.amdhsa_wavefront_size32 1
		.amdhsa_uses_dynamic_stack 0
		.amdhsa_enable_private_segment 0
		.amdhsa_system_sgpr_workgroup_id_x 1
		.amdhsa_system_sgpr_workgroup_id_y 0
		.amdhsa_system_sgpr_workgroup_id_z 0
		.amdhsa_system_sgpr_workgroup_info 0
		.amdhsa_system_vgpr_workitem_id 0
		.amdhsa_next_free_vgpr 34
		.amdhsa_next_free_sgpr 20
		.amdhsa_named_barrier_count 0
		.amdhsa_reserve_vcc 1
		.amdhsa_float_round_mode_32 0
		.amdhsa_float_round_mode_16_64 0
		.amdhsa_float_denorm_mode_32 3
		.amdhsa_float_denorm_mode_16_64 3
		.amdhsa_fp16_overflow 0
		.amdhsa_memory_ordered 1
		.amdhsa_forward_progress 1
		.amdhsa_inst_pref_size 9
		.amdhsa_round_robin_scheduling 0
		.amdhsa_exception_fp_ieee_invalid_op 0
		.amdhsa_exception_fp_denorm_src 0
		.amdhsa_exception_fp_ieee_div_zero 0
		.amdhsa_exception_fp_ieee_overflow 0
		.amdhsa_exception_fp_ieee_underflow 0
		.amdhsa_exception_fp_ieee_inexact 0
		.amdhsa_exception_int_div_zero 0
	.end_amdhsa_kernel
	.section	.text._ZN2at6native12_GLOBAL__N_125multi_tensor_apply_kernelINS1_18TensorListMetadataILi2EEENS1_14UnaryOpFunctorIN3c104HalfELi2ELi1ELi1EEEJNS0_4CeilIfEEEEEvT_T0_DpT1_,"axG",@progbits,_ZN2at6native12_GLOBAL__N_125multi_tensor_apply_kernelINS1_18TensorListMetadataILi2EEENS1_14UnaryOpFunctorIN3c104HalfELi2ELi1ELi1EEEJNS0_4CeilIfEEEEEvT_T0_DpT1_,comdat
.Lfunc_end34:
	.size	_ZN2at6native12_GLOBAL__N_125multi_tensor_apply_kernelINS1_18TensorListMetadataILi2EEENS1_14UnaryOpFunctorIN3c104HalfELi2ELi1ELi1EEEJNS0_4CeilIfEEEEEvT_T0_DpT1_, .Lfunc_end34-_ZN2at6native12_GLOBAL__N_125multi_tensor_apply_kernelINS1_18TensorListMetadataILi2EEENS1_14UnaryOpFunctorIN3c104HalfELi2ELi1ELi1EEEJNS0_4CeilIfEEEEEvT_T0_DpT1_
                                        ; -- End function
	.set _ZN2at6native12_GLOBAL__N_125multi_tensor_apply_kernelINS1_18TensorListMetadataILi2EEENS1_14UnaryOpFunctorIN3c104HalfELi2ELi1ELi1EEEJNS0_4CeilIfEEEEEvT_T0_DpT1_.num_vgpr, 34
	.set _ZN2at6native12_GLOBAL__N_125multi_tensor_apply_kernelINS1_18TensorListMetadataILi2EEENS1_14UnaryOpFunctorIN3c104HalfELi2ELi1ELi1EEEJNS0_4CeilIfEEEEEvT_T0_DpT1_.num_agpr, 0
	.set _ZN2at6native12_GLOBAL__N_125multi_tensor_apply_kernelINS1_18TensorListMetadataILi2EEENS1_14UnaryOpFunctorIN3c104HalfELi2ELi1ELi1EEEJNS0_4CeilIfEEEEEvT_T0_DpT1_.numbered_sgpr, 20
	.set _ZN2at6native12_GLOBAL__N_125multi_tensor_apply_kernelINS1_18TensorListMetadataILi2EEENS1_14UnaryOpFunctorIN3c104HalfELi2ELi1ELi1EEEJNS0_4CeilIfEEEEEvT_T0_DpT1_.num_named_barrier, 0
	.set _ZN2at6native12_GLOBAL__N_125multi_tensor_apply_kernelINS1_18TensorListMetadataILi2EEENS1_14UnaryOpFunctorIN3c104HalfELi2ELi1ELi1EEEJNS0_4CeilIfEEEEEvT_T0_DpT1_.private_seg_size, 0
	.set _ZN2at6native12_GLOBAL__N_125multi_tensor_apply_kernelINS1_18TensorListMetadataILi2EEENS1_14UnaryOpFunctorIN3c104HalfELi2ELi1ELi1EEEJNS0_4CeilIfEEEEEvT_T0_DpT1_.uses_vcc, 1
	.set _ZN2at6native12_GLOBAL__N_125multi_tensor_apply_kernelINS1_18TensorListMetadataILi2EEENS1_14UnaryOpFunctorIN3c104HalfELi2ELi1ELi1EEEJNS0_4CeilIfEEEEEvT_T0_DpT1_.uses_flat_scratch, 0
	.set _ZN2at6native12_GLOBAL__N_125multi_tensor_apply_kernelINS1_18TensorListMetadataILi2EEENS1_14UnaryOpFunctorIN3c104HalfELi2ELi1ELi1EEEJNS0_4CeilIfEEEEEvT_T0_DpT1_.has_dyn_sized_stack, 0
	.set _ZN2at6native12_GLOBAL__N_125multi_tensor_apply_kernelINS1_18TensorListMetadataILi2EEENS1_14UnaryOpFunctorIN3c104HalfELi2ELi1ELi1EEEJNS0_4CeilIfEEEEEvT_T0_DpT1_.has_recursion, 0
	.set _ZN2at6native12_GLOBAL__N_125multi_tensor_apply_kernelINS1_18TensorListMetadataILi2EEENS1_14UnaryOpFunctorIN3c104HalfELi2ELi1ELi1EEEJNS0_4CeilIfEEEEEvT_T0_DpT1_.has_indirect_call, 0
	.section	.AMDGPU.csdata,"",@progbits
; Kernel info:
; codeLenInByte = 1076
; TotalNumSgprs: 22
; NumVgprs: 34
; ScratchSize: 0
; MemoryBound: 0
; FloatMode: 240
; IeeeMode: 1
; LDSByteSize: 0 bytes/workgroup (compile time only)
; SGPRBlocks: 0
; VGPRBlocks: 2
; NumSGPRsForWavesPerEU: 22
; NumVGPRsForWavesPerEU: 34
; NamedBarCnt: 0
; Occupancy: 16
; WaveLimiterHint : 0
; COMPUTE_PGM_RSRC2:SCRATCH_EN: 0
; COMPUTE_PGM_RSRC2:USER_SGPR: 2
; COMPUTE_PGM_RSRC2:TRAP_HANDLER: 0
; COMPUTE_PGM_RSRC2:TGID_X_EN: 1
; COMPUTE_PGM_RSRC2:TGID_Y_EN: 0
; COMPUTE_PGM_RSRC2:TGID_Z_EN: 0
; COMPUTE_PGM_RSRC2:TIDIG_COMP_CNT: 0
	.section	.text._ZN2at6native12_GLOBAL__N_125multi_tensor_apply_kernelINS1_18TensorListMetadataILi2EEENS1_14UnaryOpFunctorIN3c108BFloat16ELi2ELi1ELi1EEEJNS0_4CeilIfEEEEEvT_T0_DpT1_,"axG",@progbits,_ZN2at6native12_GLOBAL__N_125multi_tensor_apply_kernelINS1_18TensorListMetadataILi2EEENS1_14UnaryOpFunctorIN3c108BFloat16ELi2ELi1ELi1EEEJNS0_4CeilIfEEEEEvT_T0_DpT1_,comdat
	.globl	_ZN2at6native12_GLOBAL__N_125multi_tensor_apply_kernelINS1_18TensorListMetadataILi2EEENS1_14UnaryOpFunctorIN3c108BFloat16ELi2ELi1ELi1EEEJNS0_4CeilIfEEEEEvT_T0_DpT1_ ; -- Begin function _ZN2at6native12_GLOBAL__N_125multi_tensor_apply_kernelINS1_18TensorListMetadataILi2EEENS1_14UnaryOpFunctorIN3c108BFloat16ELi2ELi1ELi1EEEJNS0_4CeilIfEEEEEvT_T0_DpT1_
	.p2align	8
	.type	_ZN2at6native12_GLOBAL__N_125multi_tensor_apply_kernelINS1_18TensorListMetadataILi2EEENS1_14UnaryOpFunctorIN3c108BFloat16ELi2ELi1ELi1EEEJNS0_4CeilIfEEEEEvT_T0_DpT1_,@function
_ZN2at6native12_GLOBAL__N_125multi_tensor_apply_kernelINS1_18TensorListMetadataILi2EEENS1_14UnaryOpFunctorIN3c108BFloat16ELi2ELi1ELi1EEEJNS0_4CeilIfEEEEEvT_T0_DpT1_: ; @_ZN2at6native12_GLOBAL__N_125multi_tensor_apply_kernelINS1_18TensorListMetadataILi2EEENS1_14UnaryOpFunctorIN3c108BFloat16ELi2ELi1ELi1EEEJNS0_4CeilIfEEEEEvT_T0_DpT1_
; %bb.0:
	s_bfe_u32 s2, ttmp6, 0x4000c
	s_and_b32 s3, ttmp6, 15
	s_add_co_i32 s2, s2, 1
	s_getreg_b32 s4, hwreg(HW_REG_IB_STS2, 6, 4)
	s_mul_i32 s2, ttmp9, s2
	s_delay_alu instid0(SALU_CYCLE_1)
	s_add_co_i32 s3, s3, s2
	s_cmp_eq_u32 s4, 0
	s_cselect_b32 s2, ttmp9, s3
	s_mov_b32 s3, 0
	s_load_u8 s11, s[0:1], s2 offset:0x600
	s_add_nc_u64 s[4:5], s[0:1], s[2:3]
	s_mul_u64 s[6:7], s[2:3], 3
	s_mov_b32 s15, s3
	s_add_nc_u64 s[4:5], s[4:5], s[6:7]
	s_load_b32 s10, s[4:5], 0x740
	s_wait_kmcnt 0x0
	s_clause 0x2
	s_load_b64 s[6:7], s[0:1], s11 offset:0x0 scale_offset
	s_load_b64 s[8:9], s[0:1], s11 offset:0x200 scale_offset
	;; [unrolled: 1-line block ×3, first 2 shown]
	s_wait_xcnt 0x0
	s_ashr_i32 s11, s10, 31
	s_delay_alu instid0(SALU_CYCLE_1)
	s_lshl_b64 s[4:5], s[10:11], 17
	s_wait_kmcnt 0x0
	s_and_b64 s[18:19], s[8:9], 7
	s_add_nc_u64 s[16:17], s[6:7], s[4:5]
	s_and_b32 s14, s12, 3
	s_and_b32 s2, s16, 7
	s_or_b64 s[14:15], s[18:19], s[14:15]
	s_lshl_b64 s[10:11], s[10:11], 16
	s_or_b64 s[2:3], s[14:15], s[2:3]
	s_sub_nc_u64 s[10:11], s[12:13], s[10:11]
	s_cmp_eq_u64 s[2:3], 0
	s_mov_b32 s2, -1
	s_cbranch_scc0 .LBB35_5
; %bb.1:
	v_min_i64 v[2:3], 0x10000, s[10:11]
	v_dual_mov_b32 v5, 0 :: v_dual_lshlrev_b32 v4, 2, v0
	s_mov_b32 s3, exec_lo
	s_delay_alu instid0(VALU_DEP_1)
	v_cmpx_lt_i64_e64 v[4:5], v[2:3]
	s_cbranch_execz .LBB35_4
; %bb.2:
	s_load_b32 s2, s[0:1], 0xc5c
	v_dual_mov_b32 v1, v5 :: v_dual_lshlrev_b32 v4, 3, v0
	s_mov_b32 s13, 0
	s_delay_alu instid0(SALU_CYCLE_1) | instskip(NEXT) | instid1(VALU_DEP_1)
	s_mov_b32 s15, s13
	v_add_nc_u64_e32 v[4:5], s[4:5], v[4:5]
	s_delay_alu instid0(VALU_DEP_2) | instskip(SKIP_3) | instid1(SALU_CYCLE_1)
	v_mov_b64_e32 v[6:7], v[0:1]
	s_mov_b32 s16, s13
	s_wait_kmcnt 0x0
	s_and_b32 s12, s2, 0xffff
	s_lshl_b32 s14, s12, 3
.LBB35_3:                               ; =>This Inner Loop Header: Depth=1
	s_delay_alu instid0(VALU_DEP_2) | instskip(NEXT) | instid1(VALU_DEP_2)
	v_add_nc_u64_e32 v[8:9], s[6:7], v[4:5]
	v_add_nc_u64_e32 v[6:7], s[12:13], v[6:7]
	global_load_b64 v[8:9], v[8:9], off
	v_lshlrev_b64_e32 v[10:11], 2, v[6:7]
	s_wait_loadcnt 0x0
	v_lshlrev_b32_e32 v1, 16, v8
	v_alignbit_b32 v12, v9, v8, 16
	s_wait_xcnt 0x0
	v_and_b32_e32 v8, 0xffff0000, v8
	v_and_b32_e32 v9, 0xffff0000, v9
	v_ceil_f32_e32 v1, v1
	v_and_b32_e32 v12, 0xffff0000, v12
	s_delay_alu instid0(VALU_DEP_4) | instskip(NEXT) | instid1(VALU_DEP_4)
	v_ceil_f32_e32 v8, v8
	v_ceil_f32_e32 v9, v9
	s_delay_alu instid0(VALU_DEP_4) | instskip(NEXT) | instid1(VALU_DEP_4)
	v_bfe_u32 v13, v1, 16, 1
	v_ceil_f32_e32 v12, v12
	s_delay_alu instid0(VALU_DEP_4) | instskip(NEXT) | instid1(VALU_DEP_4)
	v_bfe_u32 v14, v8, 16, 1
	v_bfe_u32 v15, v9, 16, 1
	v_cmp_o_f32_e32 vcc_lo, v8, v8
	v_add3_u32 v13, v1, v13, 0x7fff
	v_bfe_u32 v16, v12, 16, 1
	v_add3_u32 v14, v8, v14, 0x7fff
	v_add3_u32 v15, v9, v15, 0x7fff
	v_cmp_o_f32_e64 s2, v1, v1
	v_lshrrev_b32_e32 v13, 16, v13
	v_add3_u32 v16, v12, v16, 0x7fff
	v_and_b32_e32 v14, 0xffff0000, v14
	v_and_b32_e32 v15, 0xffff0000, v15
	s_delay_alu instid0(VALU_DEP_4) | instskip(NEXT) | instid1(VALU_DEP_3)
	v_cndmask_b32_e64 v13, 0x7fc0, v13, s2
	v_dual_cndmask_b32 v8, 0x7fc00000, v14 :: v_dual_lshrrev_b32 v1, 16, v16
	v_cmp_o_f32_e32 vcc_lo, v9, v9
	s_delay_alu instid0(VALU_DEP_4) | instskip(SKIP_1) | instid1(VALU_DEP_4)
	v_cndmask_b32_e32 v14, 0x7fc00000, v15, vcc_lo
	v_cmp_o_f32_e32 vcc_lo, v12, v12
	v_or_b32_e32 v12, v13, v8
	v_add_nc_u64_e32 v[8:9], s[8:9], v[4:5]
	v_add_nc_u64_e32 v[4:5], s[14:15], v[4:5]
	v_cndmask_b32_e32 v1, 0x7fc0, v1, vcc_lo
	v_cmp_ge_i64_e32 vcc_lo, v[10:11], v[2:3]
	v_or3_b32 v10, v12, 0, 0
	s_delay_alu instid0(VALU_DEP_3)
	v_or3_b32 v11, 0, v1, v14
	s_or_b32 s16, vcc_lo, s16
	global_store_b64 v[8:9], v[10:11], off
	s_wait_xcnt 0x0
	s_and_not1_b32 exec_lo, exec_lo, s16
	s_cbranch_execnz .LBB35_3
.LBB35_4:
	s_or_b32 exec_lo, exec_lo, s3
	s_mov_b32 s2, 0
.LBB35_5:
	s_delay_alu instid0(SALU_CYCLE_1)
	s_and_not1_b32 vcc_lo, exec_lo, s2
	s_cbranch_vccnz .LBB35_25
; %bb.6:
	v_cmp_lt_i64_e64 s2, s[10:11], 1
	s_and_b32 vcc_lo, exec_lo, s2
	s_cbranch_vccnz .LBB35_25
; %bb.7:
	s_load_b32 s0, s[0:1], 0xc5c
	v_min_i64 v[2:3], 0x10000, s[10:11]
	v_min_u64 v[4:5], 0x10000, s[10:11]
	v_dual_mov_b32 v1, 0 :: v_dual_lshlrev_b32 v10, 1, v0
	s_wait_xcnt 0x0
	s_mov_b32 s1, 0
	s_delay_alu instid0(SALU_CYCLE_1) | instskip(NEXT) | instid1(VALU_DEP_1)
	s_mov_b32 s11, s1
	v_dual_mov_b32 v11, v1 :: v_dual_mov_b32 v27, v1
	s_mov_b32 s3, s1
	s_mov_b32 s13, s1
	s_delay_alu instid0(VALU_DEP_1) | instskip(SKIP_2) | instid1(SALU_CYCLE_1)
	v_add_nc_u64_e32 v[6:7], s[6:7], v[10:11]
	s_wait_kmcnt 0x0
	s_and_b32 s0, s0, 0xffff
	v_add_nc_u64_e32 v[8:9], s[0:1], v[0:1]
	v_mad_nc_u64_u32 v[22:23], s0, 6, v[10:11]
	s_lshl_b32 s10, s0, 2
	s_mul_i32 s12, s0, 3
	v_add_nc_u64_e32 v[18:19], s[10:11], v[10:11]
	s_lshl_b32 s2, s0, 1
	v_add_nc_u64_e32 v[10:11], s[8:9], v[10:11]
	v_lshlrev_b32_e32 v26, 1, v8
	v_add_nc_u64_e32 v[12:13], s[12:13], v[0:1]
	v_add_nc_u64_e32 v[14:15], s[2:3], v[0:1]
	;; [unrolled: 1-line block ×8, first 2 shown]
	s_lshl_b32 s6, s0, 3
	s_mov_b32 s7, s1
	s_mov_b64 s[8:9], 0
	s_branch .LBB35_9
.LBB35_8:                               ;   in Loop: Header=BB35_9 Depth=1
	s_wait_xcnt 0x0
	s_or_b32 exec_lo, exec_lo, s0
	s_add_nc_u64 s[8:9], s[8:9], s[10:11]
	v_add_nc_u64_e32 v[6:7], s[6:7], v[6:7]
	v_cmp_ge_i64_e32 vcc_lo, s[8:9], v[2:3]
	v_add_nc_u64_e32 v[10:11], s[6:7], v[10:11]
	v_add_nc_u64_e32 v[20:21], s[6:7], v[20:21]
	;; [unrolled: 1-line block ×7, first 2 shown]
	s_cbranch_vccnz .LBB35_25
.LBB35_9:                               ; =>This Inner Loop Header: Depth=1
	v_add_nc_u64_e32 v[28:29], s[8:9], v[0:1]
	s_delay_alu instid0(VALU_DEP_1)
	v_cmp_lt_u64_e32 vcc_lo, v[28:29], v[4:5]
	v_mov_b32_e32 v29, 0
	s_and_saveexec_b32 s0, vcc_lo
	s_cbranch_execz .LBB35_11
; %bb.10:                               ;   in Loop: Header=BB35_9 Depth=1
	v_add_nc_u64_e32 v[28:29], s[4:5], v[6:7]
	global_load_u16 v28, v[28:29], off
	s_wait_loadcnt 0x0
	v_lshlrev_b32_e32 v28, 16, v28
	s_delay_alu instid0(VALU_DEP_1)
	v_ceil_f32_e32 v29, v28
.LBB35_11:                              ;   in Loop: Header=BB35_9 Depth=1
	s_or_b32 exec_lo, exec_lo, s0
	v_add_nc_u64_e32 v[30:31], s[8:9], v[8:9]
	v_mov_b32_e32 v28, 0
	s_delay_alu instid0(VALU_DEP_2)
	v_cmp_lt_u64_e64 s0, v[30:31], v[4:5]
	v_mov_b32_e32 v30, 0
	s_and_saveexec_b32 s1, s0
	s_cbranch_execz .LBB35_13
; %bb.12:                               ;   in Loop: Header=BB35_9 Depth=1
	v_add_nc_u64_e32 v[30:31], s[4:5], v[24:25]
	global_load_u16 v30, v[30:31], off
	s_wait_loadcnt 0x0
	v_lshlrev_b32_e32 v30, 16, v30
	s_delay_alu instid0(VALU_DEP_1)
	v_ceil_f32_e32 v30, v30
.LBB35_13:                              ;   in Loop: Header=BB35_9 Depth=1
	s_or_b32 exec_lo, exec_lo, s1
	v_add_nc_u64_e32 v[32:33], s[8:9], v[14:15]
	s_delay_alu instid0(VALU_DEP_1)
	v_cmp_lt_u64_e64 s1, v[32:33], v[4:5]
	s_and_saveexec_b32 s2, s1
	s_cbranch_execz .LBB35_15
; %bb.14:                               ;   in Loop: Header=BB35_9 Depth=1
	v_add_nc_u64_e32 v[32:33], s[4:5], v[16:17]
	global_load_u16 v28, v[32:33], off
	s_wait_loadcnt 0x0
	v_lshlrev_b32_e32 v28, 16, v28
	s_delay_alu instid0(VALU_DEP_1)
	v_ceil_f32_e32 v28, v28
.LBB35_15:                              ;   in Loop: Header=BB35_9 Depth=1
	s_wait_xcnt 0x0
	s_or_b32 exec_lo, exec_lo, s2
	v_add_nc_u64_e32 v[32:33], s[8:9], v[12:13]
	v_mov_b32_e32 v31, 0
	s_delay_alu instid0(VALU_DEP_2)
	v_cmp_lt_u64_e64 s2, v[32:33], v[4:5]
	s_and_saveexec_b32 s3, s2
	s_cbranch_execnz .LBB35_20
; %bb.16:                               ;   in Loop: Header=BB35_9 Depth=1
	s_or_b32 exec_lo, exec_lo, s3
	s_and_saveexec_b32 s3, vcc_lo
	s_cbranch_execnz .LBB35_21
.LBB35_17:                              ;   in Loop: Header=BB35_9 Depth=1
	s_or_b32 exec_lo, exec_lo, s3
	s_and_saveexec_b32 s3, s0
	s_cbranch_execnz .LBB35_22
.LBB35_18:                              ;   in Loop: Header=BB35_9 Depth=1
	s_or_b32 exec_lo, exec_lo, s3
	s_and_saveexec_b32 s0, s1
	s_cbranch_execnz .LBB35_23
.LBB35_19:                              ;   in Loop: Header=BB35_9 Depth=1
	s_or_b32 exec_lo, exec_lo, s0
	s_and_saveexec_b32 s0, s2
	s_cbranch_execz .LBB35_8
	s_branch .LBB35_24
.LBB35_20:                              ;   in Loop: Header=BB35_9 Depth=1
	v_add_nc_u64_e32 v[32:33], s[4:5], v[20:21]
	global_load_u16 v31, v[32:33], off
	s_wait_loadcnt 0x0
	v_lshlrev_b32_e32 v31, 16, v31
	s_delay_alu instid0(VALU_DEP_1)
	v_ceil_f32_e32 v31, v31
	s_wait_xcnt 0x0
	s_or_b32 exec_lo, exec_lo, s3
	s_and_saveexec_b32 s3, vcc_lo
	s_cbranch_execz .LBB35_17
.LBB35_21:                              ;   in Loop: Header=BB35_9 Depth=1
	v_bfe_u32 v32, v29, 16, 1
	v_cmp_o_f32_e32 vcc_lo, v29, v29
	s_delay_alu instid0(VALU_DEP_2) | instskip(NEXT) | instid1(VALU_DEP_1)
	v_add3_u32 v32, v29, v32, 0x7fff
	v_lshrrev_b32_e32 v34, 16, v32
	v_add_nc_u64_e32 v[32:33], s[4:5], v[10:11]
	s_delay_alu instid0(VALU_DEP_2)
	v_cndmask_b32_e32 v29, 0x7fc0, v34, vcc_lo
	global_store_b16 v[32:33], v29, off
	s_wait_xcnt 0x0
	s_or_b32 exec_lo, exec_lo, s3
	s_and_saveexec_b32 s3, s0
	s_cbranch_execz .LBB35_18
.LBB35_22:                              ;   in Loop: Header=BB35_9 Depth=1
	v_bfe_u32 v29, v30, 16, 1
	v_cmp_o_f32_e32 vcc_lo, v30, v30
	v_add_nc_u64_e32 v[32:33], s[4:5], v[26:27]
	s_delay_alu instid0(VALU_DEP_3) | instskip(NEXT) | instid1(VALU_DEP_1)
	v_add3_u32 v29, v30, v29, 0x7fff
	v_lshrrev_b32_e32 v29, 16, v29
	s_delay_alu instid0(VALU_DEP_1)
	v_cndmask_b32_e32 v29, 0x7fc0, v29, vcc_lo
	global_store_b16 v[32:33], v29, off
	s_wait_xcnt 0x0
	s_or_b32 exec_lo, exec_lo, s3
	s_and_saveexec_b32 s0, s1
	s_cbranch_execz .LBB35_19
.LBB35_23:                              ;   in Loop: Header=BB35_9 Depth=1
	v_bfe_u32 v29, v28, 16, 1
	v_cmp_o_f32_e32 vcc_lo, v28, v28
	v_add_nc_u64_e32 v[32:33], s[4:5], v[18:19]
	s_delay_alu instid0(VALU_DEP_3) | instskip(NEXT) | instid1(VALU_DEP_1)
	v_add3_u32 v29, v28, v29, 0x7fff
	v_lshrrev_b32_e32 v29, 16, v29
	s_delay_alu instid0(VALU_DEP_1)
	v_cndmask_b32_e32 v28, 0x7fc0, v29, vcc_lo
	global_store_b16 v[32:33], v28, off
	s_wait_xcnt 0x0
	s_or_b32 exec_lo, exec_lo, s0
	s_and_saveexec_b32 s0, s2
	s_cbranch_execz .LBB35_8
.LBB35_24:                              ;   in Loop: Header=BB35_9 Depth=1
	v_bfe_u32 v28, v31, 16, 1
	v_cmp_o_f32_e32 vcc_lo, v31, v31
	s_delay_alu instid0(VALU_DEP_2) | instskip(NEXT) | instid1(VALU_DEP_1)
	v_add3_u32 v28, v31, v28, 0x7fff
	v_lshrrev_b32_e32 v30, 16, v28
	v_add_nc_u64_e32 v[28:29], s[4:5], v[22:23]
	s_delay_alu instid0(VALU_DEP_2)
	v_cndmask_b32_e32 v30, 0x7fc0, v30, vcc_lo
	global_store_b16 v[28:29], v30, off
	s_branch .LBB35_8
.LBB35_25:
	s_endpgm
	.section	.rodata,"a",@progbits
	.p2align	6, 0x0
	.amdhsa_kernel _ZN2at6native12_GLOBAL__N_125multi_tensor_apply_kernelINS1_18TensorListMetadataILi2EEENS1_14UnaryOpFunctorIN3c108BFloat16ELi2ELi1ELi1EEEJNS0_4CeilIfEEEEEvT_T0_DpT1_
		.amdhsa_group_segment_fixed_size 0
		.amdhsa_private_segment_fixed_size 0
		.amdhsa_kernarg_size 3408
		.amdhsa_user_sgpr_count 2
		.amdhsa_user_sgpr_dispatch_ptr 0
		.amdhsa_user_sgpr_queue_ptr 0
		.amdhsa_user_sgpr_kernarg_segment_ptr 1
		.amdhsa_user_sgpr_dispatch_id 0
		.amdhsa_user_sgpr_kernarg_preload_length 0
		.amdhsa_user_sgpr_kernarg_preload_offset 0
		.amdhsa_user_sgpr_private_segment_size 0
		.amdhsa_wavefront_size32 1
		.amdhsa_uses_dynamic_stack 0
		.amdhsa_enable_private_segment 0
		.amdhsa_system_sgpr_workgroup_id_x 1
		.amdhsa_system_sgpr_workgroup_id_y 0
		.amdhsa_system_sgpr_workgroup_id_z 0
		.amdhsa_system_sgpr_workgroup_info 0
		.amdhsa_system_vgpr_workitem_id 0
		.amdhsa_next_free_vgpr 35
		.amdhsa_next_free_sgpr 20
		.amdhsa_named_barrier_count 0
		.amdhsa_reserve_vcc 1
		.amdhsa_float_round_mode_32 0
		.amdhsa_float_round_mode_16_64 0
		.amdhsa_float_denorm_mode_32 3
		.amdhsa_float_denorm_mode_16_64 3
		.amdhsa_fp16_overflow 0
		.amdhsa_memory_ordered 1
		.amdhsa_forward_progress 1
		.amdhsa_inst_pref_size 12
		.amdhsa_round_robin_scheduling 0
		.amdhsa_exception_fp_ieee_invalid_op 0
		.amdhsa_exception_fp_denorm_src 0
		.amdhsa_exception_fp_ieee_div_zero 0
		.amdhsa_exception_fp_ieee_overflow 0
		.amdhsa_exception_fp_ieee_underflow 0
		.amdhsa_exception_fp_ieee_inexact 0
		.amdhsa_exception_int_div_zero 0
	.end_amdhsa_kernel
	.section	.text._ZN2at6native12_GLOBAL__N_125multi_tensor_apply_kernelINS1_18TensorListMetadataILi2EEENS1_14UnaryOpFunctorIN3c108BFloat16ELi2ELi1ELi1EEEJNS0_4CeilIfEEEEEvT_T0_DpT1_,"axG",@progbits,_ZN2at6native12_GLOBAL__N_125multi_tensor_apply_kernelINS1_18TensorListMetadataILi2EEENS1_14UnaryOpFunctorIN3c108BFloat16ELi2ELi1ELi1EEEJNS0_4CeilIfEEEEEvT_T0_DpT1_,comdat
.Lfunc_end35:
	.size	_ZN2at6native12_GLOBAL__N_125multi_tensor_apply_kernelINS1_18TensorListMetadataILi2EEENS1_14UnaryOpFunctorIN3c108BFloat16ELi2ELi1ELi1EEEJNS0_4CeilIfEEEEEvT_T0_DpT1_, .Lfunc_end35-_ZN2at6native12_GLOBAL__N_125multi_tensor_apply_kernelINS1_18TensorListMetadataILi2EEENS1_14UnaryOpFunctorIN3c108BFloat16ELi2ELi1ELi1EEEJNS0_4CeilIfEEEEEvT_T0_DpT1_
                                        ; -- End function
	.set _ZN2at6native12_GLOBAL__N_125multi_tensor_apply_kernelINS1_18TensorListMetadataILi2EEENS1_14UnaryOpFunctorIN3c108BFloat16ELi2ELi1ELi1EEEJNS0_4CeilIfEEEEEvT_T0_DpT1_.num_vgpr, 35
	.set _ZN2at6native12_GLOBAL__N_125multi_tensor_apply_kernelINS1_18TensorListMetadataILi2EEENS1_14UnaryOpFunctorIN3c108BFloat16ELi2ELi1ELi1EEEJNS0_4CeilIfEEEEEvT_T0_DpT1_.num_agpr, 0
	.set _ZN2at6native12_GLOBAL__N_125multi_tensor_apply_kernelINS1_18TensorListMetadataILi2EEENS1_14UnaryOpFunctorIN3c108BFloat16ELi2ELi1ELi1EEEJNS0_4CeilIfEEEEEvT_T0_DpT1_.numbered_sgpr, 20
	.set _ZN2at6native12_GLOBAL__N_125multi_tensor_apply_kernelINS1_18TensorListMetadataILi2EEENS1_14UnaryOpFunctorIN3c108BFloat16ELi2ELi1ELi1EEEJNS0_4CeilIfEEEEEvT_T0_DpT1_.num_named_barrier, 0
	.set _ZN2at6native12_GLOBAL__N_125multi_tensor_apply_kernelINS1_18TensorListMetadataILi2EEENS1_14UnaryOpFunctorIN3c108BFloat16ELi2ELi1ELi1EEEJNS0_4CeilIfEEEEEvT_T0_DpT1_.private_seg_size, 0
	.set _ZN2at6native12_GLOBAL__N_125multi_tensor_apply_kernelINS1_18TensorListMetadataILi2EEENS1_14UnaryOpFunctorIN3c108BFloat16ELi2ELi1ELi1EEEJNS0_4CeilIfEEEEEvT_T0_DpT1_.uses_vcc, 1
	.set _ZN2at6native12_GLOBAL__N_125multi_tensor_apply_kernelINS1_18TensorListMetadataILi2EEENS1_14UnaryOpFunctorIN3c108BFloat16ELi2ELi1ELi1EEEJNS0_4CeilIfEEEEEvT_T0_DpT1_.uses_flat_scratch, 0
	.set _ZN2at6native12_GLOBAL__N_125multi_tensor_apply_kernelINS1_18TensorListMetadataILi2EEENS1_14UnaryOpFunctorIN3c108BFloat16ELi2ELi1ELi1EEEJNS0_4CeilIfEEEEEvT_T0_DpT1_.has_dyn_sized_stack, 0
	.set _ZN2at6native12_GLOBAL__N_125multi_tensor_apply_kernelINS1_18TensorListMetadataILi2EEENS1_14UnaryOpFunctorIN3c108BFloat16ELi2ELi1ELi1EEEJNS0_4CeilIfEEEEEvT_T0_DpT1_.has_recursion, 0
	.set _ZN2at6native12_GLOBAL__N_125multi_tensor_apply_kernelINS1_18TensorListMetadataILi2EEENS1_14UnaryOpFunctorIN3c108BFloat16ELi2ELi1ELi1EEEJNS0_4CeilIfEEEEEvT_T0_DpT1_.has_indirect_call, 0
	.section	.AMDGPU.csdata,"",@progbits
; Kernel info:
; codeLenInByte = 1488
; TotalNumSgprs: 22
; NumVgprs: 35
; ScratchSize: 0
; MemoryBound: 0
; FloatMode: 240
; IeeeMode: 1
; LDSByteSize: 0 bytes/workgroup (compile time only)
; SGPRBlocks: 0
; VGPRBlocks: 2
; NumSGPRsForWavesPerEU: 22
; NumVGPRsForWavesPerEU: 35
; NamedBarCnt: 0
; Occupancy: 16
; WaveLimiterHint : 0
; COMPUTE_PGM_RSRC2:SCRATCH_EN: 0
; COMPUTE_PGM_RSRC2:USER_SGPR: 2
; COMPUTE_PGM_RSRC2:TRAP_HANDLER: 0
; COMPUTE_PGM_RSRC2:TGID_X_EN: 1
; COMPUTE_PGM_RSRC2:TGID_Y_EN: 0
; COMPUTE_PGM_RSRC2:TGID_Z_EN: 0
; COMPUTE_PGM_RSRC2:TIDIG_COMP_CNT: 0
	.section	.text._ZN2at6native12_GLOBAL__N_125multi_tensor_apply_kernelINS1_18TensorListMetadataILi1EEENS1_14UnaryOpFunctorIdLi1ELi1ELi0EEEJNS0_4CeilIdEEEEEvT_T0_DpT1_,"axG",@progbits,_ZN2at6native12_GLOBAL__N_125multi_tensor_apply_kernelINS1_18TensorListMetadataILi1EEENS1_14UnaryOpFunctorIdLi1ELi1ELi0EEEJNS0_4CeilIdEEEEEvT_T0_DpT1_,comdat
	.globl	_ZN2at6native12_GLOBAL__N_125multi_tensor_apply_kernelINS1_18TensorListMetadataILi1EEENS1_14UnaryOpFunctorIdLi1ELi1ELi0EEEJNS0_4CeilIdEEEEEvT_T0_DpT1_ ; -- Begin function _ZN2at6native12_GLOBAL__N_125multi_tensor_apply_kernelINS1_18TensorListMetadataILi1EEENS1_14UnaryOpFunctorIdLi1ELi1ELi0EEEJNS0_4CeilIdEEEEEvT_T0_DpT1_
	.p2align	8
	.type	_ZN2at6native12_GLOBAL__N_125multi_tensor_apply_kernelINS1_18TensorListMetadataILi1EEENS1_14UnaryOpFunctorIdLi1ELi1ELi0EEEJNS0_4CeilIdEEEEEvT_T0_DpT1_,@function
_ZN2at6native12_GLOBAL__N_125multi_tensor_apply_kernelINS1_18TensorListMetadataILi1EEENS1_14UnaryOpFunctorIdLi1ELi1ELi0EEEJNS0_4CeilIdEEEEEvT_T0_DpT1_: ; @_ZN2at6native12_GLOBAL__N_125multi_tensor_apply_kernelINS1_18TensorListMetadataILi1EEENS1_14UnaryOpFunctorIdLi1ELi1ELi0EEEJNS0_4CeilIdEEEEEvT_T0_DpT1_
; %bb.0:
	s_bfe_u32 s2, ttmp6, 0x4000c
	s_and_b32 s3, ttmp6, 15
	s_add_co_i32 s2, s2, 1
	s_getreg_b32 s4, hwreg(HW_REG_IB_STS2, 6, 4)
	s_mul_i32 s2, ttmp9, s2
	s_delay_alu instid0(SALU_CYCLE_1)
	s_add_co_i32 s3, s3, s2
	s_cmp_eq_u32 s4, 0
	s_cselect_b32 s2, ttmp9, s3
	s_mov_b32 s3, 0
	s_load_u8 s8, s[0:1], s2 offset:0x6e0
	s_add_nc_u64 s[4:5], s[0:1], s[2:3]
	s_mul_u64 s[6:7], s[2:3], 3
	s_delay_alu instid0(SALU_CYCLE_1)
	s_add_nc_u64 s[4:5], s[4:5], s[6:7]
	s_load_b32 s10, s[4:5], 0x820
	s_wait_kmcnt 0x0
	s_clause 0x1
	s_load_b64 s[6:7], s[0:1], s8 offset:0x0 scale_offset
	s_load_b64 s[12:13], s[0:1], s8 offset:0x370 scale_offset
	s_ashr_i32 s11, s10, 31
	s_wait_kmcnt 0x0
	s_and_b64 s[4:5], s[6:7], 31
	s_and_b32 s2, s12, 3
	s_lshl_b64 s[8:9], s[10:11], 19
	s_or_b64 s[2:3], s[4:5], s[2:3]
	s_lshl_b64 s[4:5], s[10:11], 16
	s_cmp_eq_u64 s[2:3], 0
	s_sub_nc_u64 s[10:11], s[12:13], s[4:5]
	s_cbranch_scc1 .LBB36_21
; %bb.1:
	v_cmp_lt_i64_e64 s2, s[10:11], 1
	s_and_b32 vcc_lo, exec_lo, s2
	s_cbranch_vccnz .LBB36_20
; %bb.2:
	s_load_b32 s4, s[0:1], 0xd3c
	v_min_i64 v[2:3], 0x10000, s[10:11]
	v_min_u64 v[4:5], 0x10000, s[10:11]
	v_dual_mov_b32 v1, 0 :: v_dual_lshlrev_b32 v8, 3, v0
	s_mov_b32 s19, 0
	s_add_nc_u64 s[2:3], s[6:7], s[8:9]
	s_mov_b32 s5, s19
	s_delay_alu instid0(VALU_DEP_1)
	v_mov_b32_e32 v15, v1
	s_mov_b32 s17, s19
	s_mov_b32 s13, s19
	;; [unrolled: 1-line block ×3, first 2 shown]
	s_mov_b64 s[20:21], 0
	s_wait_kmcnt 0x0
	s_and_b32 s18, s4, 0xffff
	s_delay_alu instid0(SALU_CYCLE_1)
	v_add_nc_u64_e32 v[6:7], s[18:19], v[0:1]
	v_mov_b32_e32 v9, v1
	s_lshl_b32 s4, s18, 1
	s_mul_i32 s16, s18, 3
	v_add_nc_u64_e32 v[12:13], s[4:5], v[0:1]
	v_add_nc_u64_e32 v[10:11], s[16:17], v[0:1]
	s_lshl_b32 s12, s18, 2
	v_lshlrev_b32_e32 v14, 3, v6
	v_add_nc_u64_e32 v[8:9], s[2:3], v[8:9]
	s_lshl_b32 s14, s18, 5
	s_mul_u64 s[16:17], s[18:19], 24
	s_lshl_b32 s18, s18, 4
	v_add_nc_u64_e32 v[14:15], s[2:3], v[14:15]
	s_branch .LBB36_4
.LBB36_3:                               ;   in Loop: Header=BB36_4 Depth=1
	s_wait_xcnt 0x0
	s_or_b32 exec_lo, exec_lo, s2
	s_add_nc_u64 s[20:21], s[20:21], s[12:13]
	v_add_nc_u64_e32 v[8:9], s[14:15], v[8:9]
	v_cmp_lt_i64_e32 vcc_lo, s[20:21], v[2:3]
	v_add_nc_u64_e32 v[14:15], s[14:15], v[14:15]
	s_cbranch_vccz .LBB36_20
.LBB36_4:                               ; =>This Inner Loop Header: Depth=1
	v_add_nc_u64_e32 v[18:19], s[20:21], v[0:1]
	v_mov_b64_e32 v[16:17], 0
	s_delay_alu instid0(VALU_DEP_2)
	v_cmp_lt_u64_e32 vcc_lo, v[18:19], v[4:5]
	v_mov_b64_e32 v[18:19], 0
	s_and_saveexec_b32 s2, vcc_lo
	s_cbranch_execz .LBB36_6
; %bb.5:                                ;   in Loop: Header=BB36_4 Depth=1
	global_load_b64 v[18:19], v[8:9], off
	s_wait_loadcnt 0x0
	v_ceil_f64_e32 v[18:19], v[18:19]
.LBB36_6:                               ;   in Loop: Header=BB36_4 Depth=1
	s_wait_xcnt 0x0
	s_or_b32 exec_lo, exec_lo, s2
	v_add_nc_u64_e32 v[20:21], s[20:21], v[6:7]
	s_delay_alu instid0(VALU_DEP_1)
	v_cmp_lt_u64_e64 s2, v[20:21], v[4:5]
	s_and_saveexec_b32 s3, s2
	s_cbranch_execz .LBB36_8
; %bb.7:                                ;   in Loop: Header=BB36_4 Depth=1
	global_load_b64 v[16:17], v[14:15], off
	s_wait_loadcnt 0x0
	v_ceil_f64_e32 v[16:17], v[16:17]
.LBB36_8:                               ;   in Loop: Header=BB36_4 Depth=1
	s_wait_xcnt 0x0
	s_or_b32 exec_lo, exec_lo, s3
	v_add_nc_u64_e32 v[24:25], s[20:21], v[12:13]
	v_mov_b64_e32 v[20:21], 0
	v_add_nc_u64_e32 v[22:23], s[18:19], v[8:9]
	s_delay_alu instid0(VALU_DEP_3)
	v_cmp_lt_u64_e64 s3, v[24:25], v[4:5]
	v_mov_b64_e32 v[24:25], 0
	s_and_saveexec_b32 s4, s3
	s_cbranch_execz .LBB36_10
; %bb.9:                                ;   in Loop: Header=BB36_4 Depth=1
	global_load_b64 v[24:25], v[22:23], off
	s_wait_loadcnt 0x0
	v_ceil_f64_e32 v[24:25], v[24:25]
.LBB36_10:                              ;   in Loop: Header=BB36_4 Depth=1
	s_wait_xcnt 0x0
	s_or_b32 exec_lo, exec_lo, s4
	v_add_nc_u64_e32 v[26:27], s[20:21], v[10:11]
	s_delay_alu instid0(VALU_DEP_1)
	v_cmp_lt_u64_e64 s4, v[26:27], v[4:5]
	v_add_nc_u64_e32 v[26:27], s[16:17], v[8:9]
	s_and_saveexec_b32 s5, s4
	s_cbranch_execnz .LBB36_15
; %bb.11:                               ;   in Loop: Header=BB36_4 Depth=1
	s_or_b32 exec_lo, exec_lo, s5
	s_and_saveexec_b32 s5, vcc_lo
	s_cbranch_execnz .LBB36_16
.LBB36_12:                              ;   in Loop: Header=BB36_4 Depth=1
	s_or_b32 exec_lo, exec_lo, s5
	s_and_saveexec_b32 s5, s2
	s_cbranch_execnz .LBB36_17
.LBB36_13:                              ;   in Loop: Header=BB36_4 Depth=1
	s_or_b32 exec_lo, exec_lo, s5
	s_and_saveexec_b32 s2, s3
	s_cbranch_execnz .LBB36_18
.LBB36_14:                              ;   in Loop: Header=BB36_4 Depth=1
	s_or_b32 exec_lo, exec_lo, s2
	s_and_saveexec_b32 s2, s4
	s_cbranch_execz .LBB36_3
	s_branch .LBB36_19
.LBB36_15:                              ;   in Loop: Header=BB36_4 Depth=1
	global_load_b64 v[20:21], v[26:27], off
	s_wait_loadcnt 0x0
	v_ceil_f64_e32 v[20:21], v[20:21]
	s_wait_xcnt 0x0
	s_or_b32 exec_lo, exec_lo, s5
	s_and_saveexec_b32 s5, vcc_lo
	s_cbranch_execz .LBB36_12
.LBB36_16:                              ;   in Loop: Header=BB36_4 Depth=1
	global_store_b64 v[8:9], v[18:19], off
	s_wait_xcnt 0x0
	s_or_b32 exec_lo, exec_lo, s5
	s_and_saveexec_b32 s5, s2
	s_cbranch_execz .LBB36_13
.LBB36_17:                              ;   in Loop: Header=BB36_4 Depth=1
	global_store_b64 v[14:15], v[16:17], off
	s_wait_xcnt 0x0
	s_or_b32 exec_lo, exec_lo, s5
	s_and_saveexec_b32 s2, s3
	s_cbranch_execz .LBB36_14
.LBB36_18:                              ;   in Loop: Header=BB36_4 Depth=1
	global_store_b64 v[22:23], v[24:25], off
	s_wait_xcnt 0x0
	s_or_b32 exec_lo, exec_lo, s2
	s_and_saveexec_b32 s2, s4
	s_cbranch_execz .LBB36_3
.LBB36_19:                              ;   in Loop: Header=BB36_4 Depth=1
	global_store_b64 v[26:27], v[20:21], off
	s_branch .LBB36_3
.LBB36_20:
	s_cbranch_execz .LBB36_22
	s_branch .LBB36_25
.LBB36_21:
.LBB36_22:
	v_min_i64 v[2:3], 0x10000, s[10:11]
	v_dual_mov_b32 v5, 0 :: v_dual_lshlrev_b32 v4, 2, v0
	s_mov_b32 s2, exec_lo
	s_delay_alu instid0(VALU_DEP_1)
	v_cmpx_lt_i64_e64 v[4:5], v[2:3]
	s_cbranch_execz .LBB36_25
; %bb.23:
	s_load_b32 s2, s[0:1], 0xd3c
	v_dual_mov_b32 v1, v5 :: v_dual_lshlrev_b32 v4, 5, v0
	s_wait_xcnt 0x0
	s_add_nc_u64 s[0:1], s[6:7], s[8:9]
	s_delay_alu instid0(VALU_DEP_1) | instid1(SALU_CYCLE_1)
	v_add_nc_u64_e32 v[6:7], s[0:1], v[4:5]
	s_mov_b32 s1, 0
	s_delay_alu instid0(SALU_CYCLE_1) | instskip(SKIP_1) | instid1(VALU_DEP_1)
	s_mov_b32 s3, s1
	s_mov_b32 s4, s1
	v_add_nc_u64_e32 v[4:5], 16, v[6:7]
	s_wait_kmcnt 0x0
	s_and_b32 s0, s2, 0xffff
	s_delay_alu instid0(SALU_CYCLE_1)
	s_lshl_b32 s2, s0, 5
.LBB36_24:                              ; =>This Inner Loop Header: Depth=1
	s_clause 0x1
	global_load_b128 v[6:9], v[4:5], off offset:-16
	global_load_b128 v[10:13], v[4:5], off
	v_add_nc_u64_e32 v[0:1], s[0:1], v[0:1]
	s_delay_alu instid0(VALU_DEP_1) | instskip(NEXT) | instid1(VALU_DEP_1)
	v_lshlrev_b64_e32 v[14:15], 2, v[0:1]
	v_cmp_ge_i64_e32 vcc_lo, v[14:15], v[2:3]
	s_or_b32 s4, vcc_lo, s4
	s_wait_loadcnt 0x1
	v_ceil_f64_e32 v[6:7], v[6:7]
	v_ceil_f64_e32 v[8:9], v[8:9]
	s_wait_loadcnt 0x0
	v_ceil_f64_e32 v[10:11], v[10:11]
	v_ceil_f64_e32 v[12:13], v[12:13]
	s_clause 0x1
	global_store_b128 v[4:5], v[6:9], off offset:-16
	global_store_b128 v[4:5], v[10:13], off
	s_wait_xcnt 0x0
	v_add_nc_u64_e32 v[4:5], s[2:3], v[4:5]
	s_and_not1_b32 exec_lo, exec_lo, s4
	s_cbranch_execnz .LBB36_24
.LBB36_25:
	s_endpgm
	.section	.rodata,"a",@progbits
	.p2align	6, 0x0
	.amdhsa_kernel _ZN2at6native12_GLOBAL__N_125multi_tensor_apply_kernelINS1_18TensorListMetadataILi1EEENS1_14UnaryOpFunctorIdLi1ELi1ELi0EEEJNS0_4CeilIdEEEEEvT_T0_DpT1_
		.amdhsa_group_segment_fixed_size 0
		.amdhsa_private_segment_fixed_size 0
		.amdhsa_kernarg_size 3632
		.amdhsa_user_sgpr_count 2
		.amdhsa_user_sgpr_dispatch_ptr 0
		.amdhsa_user_sgpr_queue_ptr 0
		.amdhsa_user_sgpr_kernarg_segment_ptr 1
		.amdhsa_user_sgpr_dispatch_id 0
		.amdhsa_user_sgpr_kernarg_preload_length 0
		.amdhsa_user_sgpr_kernarg_preload_offset 0
		.amdhsa_user_sgpr_private_segment_size 0
		.amdhsa_wavefront_size32 1
		.amdhsa_uses_dynamic_stack 0
		.amdhsa_enable_private_segment 0
		.amdhsa_system_sgpr_workgroup_id_x 1
		.amdhsa_system_sgpr_workgroup_id_y 0
		.amdhsa_system_sgpr_workgroup_id_z 0
		.amdhsa_system_sgpr_workgroup_info 0
		.amdhsa_system_vgpr_workitem_id 0
		.amdhsa_next_free_vgpr 28
		.amdhsa_next_free_sgpr 22
		.amdhsa_named_barrier_count 0
		.amdhsa_reserve_vcc 1
		.amdhsa_float_round_mode_32 0
		.amdhsa_float_round_mode_16_64 0
		.amdhsa_float_denorm_mode_32 3
		.amdhsa_float_denorm_mode_16_64 3
		.amdhsa_fp16_overflow 0
		.amdhsa_memory_ordered 1
		.amdhsa_forward_progress 1
		.amdhsa_inst_pref_size 8
		.amdhsa_round_robin_scheduling 0
		.amdhsa_exception_fp_ieee_invalid_op 0
		.amdhsa_exception_fp_denorm_src 0
		.amdhsa_exception_fp_ieee_div_zero 0
		.amdhsa_exception_fp_ieee_overflow 0
		.amdhsa_exception_fp_ieee_underflow 0
		.amdhsa_exception_fp_ieee_inexact 0
		.amdhsa_exception_int_div_zero 0
	.end_amdhsa_kernel
	.section	.text._ZN2at6native12_GLOBAL__N_125multi_tensor_apply_kernelINS1_18TensorListMetadataILi1EEENS1_14UnaryOpFunctorIdLi1ELi1ELi0EEEJNS0_4CeilIdEEEEEvT_T0_DpT1_,"axG",@progbits,_ZN2at6native12_GLOBAL__N_125multi_tensor_apply_kernelINS1_18TensorListMetadataILi1EEENS1_14UnaryOpFunctorIdLi1ELi1ELi0EEEJNS0_4CeilIdEEEEEvT_T0_DpT1_,comdat
.Lfunc_end36:
	.size	_ZN2at6native12_GLOBAL__N_125multi_tensor_apply_kernelINS1_18TensorListMetadataILi1EEENS1_14UnaryOpFunctorIdLi1ELi1ELi0EEEJNS0_4CeilIdEEEEEvT_T0_DpT1_, .Lfunc_end36-_ZN2at6native12_GLOBAL__N_125multi_tensor_apply_kernelINS1_18TensorListMetadataILi1EEENS1_14UnaryOpFunctorIdLi1ELi1ELi0EEEJNS0_4CeilIdEEEEEvT_T0_DpT1_
                                        ; -- End function
	.set _ZN2at6native12_GLOBAL__N_125multi_tensor_apply_kernelINS1_18TensorListMetadataILi1EEENS1_14UnaryOpFunctorIdLi1ELi1ELi0EEEJNS0_4CeilIdEEEEEvT_T0_DpT1_.num_vgpr, 28
	.set _ZN2at6native12_GLOBAL__N_125multi_tensor_apply_kernelINS1_18TensorListMetadataILi1EEENS1_14UnaryOpFunctorIdLi1ELi1ELi0EEEJNS0_4CeilIdEEEEEvT_T0_DpT1_.num_agpr, 0
	.set _ZN2at6native12_GLOBAL__N_125multi_tensor_apply_kernelINS1_18TensorListMetadataILi1EEENS1_14UnaryOpFunctorIdLi1ELi1ELi0EEEJNS0_4CeilIdEEEEEvT_T0_DpT1_.numbered_sgpr, 22
	.set _ZN2at6native12_GLOBAL__N_125multi_tensor_apply_kernelINS1_18TensorListMetadataILi1EEENS1_14UnaryOpFunctorIdLi1ELi1ELi0EEEJNS0_4CeilIdEEEEEvT_T0_DpT1_.num_named_barrier, 0
	.set _ZN2at6native12_GLOBAL__N_125multi_tensor_apply_kernelINS1_18TensorListMetadataILi1EEENS1_14UnaryOpFunctorIdLi1ELi1ELi0EEEJNS0_4CeilIdEEEEEvT_T0_DpT1_.private_seg_size, 0
	.set _ZN2at6native12_GLOBAL__N_125multi_tensor_apply_kernelINS1_18TensorListMetadataILi1EEENS1_14UnaryOpFunctorIdLi1ELi1ELi0EEEJNS0_4CeilIdEEEEEvT_T0_DpT1_.uses_vcc, 1
	.set _ZN2at6native12_GLOBAL__N_125multi_tensor_apply_kernelINS1_18TensorListMetadataILi1EEENS1_14UnaryOpFunctorIdLi1ELi1ELi0EEEJNS0_4CeilIdEEEEEvT_T0_DpT1_.uses_flat_scratch, 0
	.set _ZN2at6native12_GLOBAL__N_125multi_tensor_apply_kernelINS1_18TensorListMetadataILi1EEENS1_14UnaryOpFunctorIdLi1ELi1ELi0EEEJNS0_4CeilIdEEEEEvT_T0_DpT1_.has_dyn_sized_stack, 0
	.set _ZN2at6native12_GLOBAL__N_125multi_tensor_apply_kernelINS1_18TensorListMetadataILi1EEENS1_14UnaryOpFunctorIdLi1ELi1ELi0EEEJNS0_4CeilIdEEEEEvT_T0_DpT1_.has_recursion, 0
	.set _ZN2at6native12_GLOBAL__N_125multi_tensor_apply_kernelINS1_18TensorListMetadataILi1EEENS1_14UnaryOpFunctorIdLi1ELi1ELi0EEEJNS0_4CeilIdEEEEEvT_T0_DpT1_.has_indirect_call, 0
	.section	.AMDGPU.csdata,"",@progbits
; Kernel info:
; codeLenInByte = 960
; TotalNumSgprs: 24
; NumVgprs: 28
; ScratchSize: 0
; MemoryBound: 1
; FloatMode: 240
; IeeeMode: 1
; LDSByteSize: 0 bytes/workgroup (compile time only)
; SGPRBlocks: 0
; VGPRBlocks: 1
; NumSGPRsForWavesPerEU: 24
; NumVGPRsForWavesPerEU: 28
; NamedBarCnt: 0
; Occupancy: 16
; WaveLimiterHint : 0
; COMPUTE_PGM_RSRC2:SCRATCH_EN: 0
; COMPUTE_PGM_RSRC2:USER_SGPR: 2
; COMPUTE_PGM_RSRC2:TRAP_HANDLER: 0
; COMPUTE_PGM_RSRC2:TGID_X_EN: 1
; COMPUTE_PGM_RSRC2:TGID_Y_EN: 0
; COMPUTE_PGM_RSRC2:TGID_Z_EN: 0
; COMPUTE_PGM_RSRC2:TIDIG_COMP_CNT: 0
	.section	.text._ZN2at6native12_GLOBAL__N_125multi_tensor_apply_kernelINS1_18TensorListMetadataILi1EEENS1_14UnaryOpFunctorIfLi1ELi1ELi0EEEJNS0_4CeilIfEEEEEvT_T0_DpT1_,"axG",@progbits,_ZN2at6native12_GLOBAL__N_125multi_tensor_apply_kernelINS1_18TensorListMetadataILi1EEENS1_14UnaryOpFunctorIfLi1ELi1ELi0EEEJNS0_4CeilIfEEEEEvT_T0_DpT1_,comdat
	.globl	_ZN2at6native12_GLOBAL__N_125multi_tensor_apply_kernelINS1_18TensorListMetadataILi1EEENS1_14UnaryOpFunctorIfLi1ELi1ELi0EEEJNS0_4CeilIfEEEEEvT_T0_DpT1_ ; -- Begin function _ZN2at6native12_GLOBAL__N_125multi_tensor_apply_kernelINS1_18TensorListMetadataILi1EEENS1_14UnaryOpFunctorIfLi1ELi1ELi0EEEJNS0_4CeilIfEEEEEvT_T0_DpT1_
	.p2align	8
	.type	_ZN2at6native12_GLOBAL__N_125multi_tensor_apply_kernelINS1_18TensorListMetadataILi1EEENS1_14UnaryOpFunctorIfLi1ELi1ELi0EEEJNS0_4CeilIfEEEEEvT_T0_DpT1_,@function
_ZN2at6native12_GLOBAL__N_125multi_tensor_apply_kernelINS1_18TensorListMetadataILi1EEENS1_14UnaryOpFunctorIfLi1ELi1ELi0EEEJNS0_4CeilIfEEEEEvT_T0_DpT1_: ; @_ZN2at6native12_GLOBAL__N_125multi_tensor_apply_kernelINS1_18TensorListMetadataILi1EEENS1_14UnaryOpFunctorIfLi1ELi1ELi0EEEJNS0_4CeilIfEEEEEvT_T0_DpT1_
; %bb.0:
	s_bfe_u32 s2, ttmp6, 0x4000c
	s_and_b32 s3, ttmp6, 15
	s_add_co_i32 s2, s2, 1
	s_getreg_b32 s4, hwreg(HW_REG_IB_STS2, 6, 4)
	s_mul_i32 s2, ttmp9, s2
	s_delay_alu instid0(SALU_CYCLE_1)
	s_add_co_i32 s3, s3, s2
	s_cmp_eq_u32 s4, 0
	s_cselect_b32 s2, ttmp9, s3
	s_mov_b32 s3, 0
	s_load_u8 s8, s[0:1], s2 offset:0x6e0
	s_add_nc_u64 s[4:5], s[0:1], s[2:3]
	s_mul_u64 s[6:7], s[2:3], 3
	s_delay_alu instid0(SALU_CYCLE_1)
	s_add_nc_u64 s[4:5], s[4:5], s[6:7]
	s_load_b32 s10, s[4:5], 0x820
	s_wait_kmcnt 0x0
	s_clause 0x1
	s_load_b64 s[6:7], s[0:1], s8 offset:0x0 scale_offset
	s_load_b64 s[12:13], s[0:1], s8 offset:0x370 scale_offset
	s_ashr_i32 s11, s10, 31
	s_wait_kmcnt 0x0
	s_and_b64 s[4:5], s[6:7], 15
	s_and_b32 s2, s12, 3
	s_lshl_b64 s[8:9], s[10:11], 18
	s_or_b64 s[2:3], s[4:5], s[2:3]
	s_lshl_b64 s[4:5], s[10:11], 16
	s_cmp_eq_u64 s[2:3], 0
	s_sub_nc_u64 s[10:11], s[12:13], s[4:5]
	s_cbranch_scc1 .LBB37_21
; %bb.1:
	v_cmp_lt_i64_e64 s2, s[10:11], 1
	s_and_b32 vcc_lo, exec_lo, s2
	s_cbranch_vccnz .LBB37_20
; %bb.2:
	s_load_b32 s4, s[0:1], 0xd3c
	v_min_i64 v[2:3], 0x10000, s[10:11]
	v_min_u64 v[4:5], 0x10000, s[10:11]
	v_dual_mov_b32 v1, 0 :: v_dual_lshlrev_b32 v8, 2, v0
	s_mov_b32 s19, 0
	s_add_nc_u64 s[2:3], s[6:7], s[8:9]
	s_mov_b32 s5, s19
	s_delay_alu instid0(VALU_DEP_1)
	v_mov_b32_e32 v15, v1
	s_mov_b32 s17, s19
	s_mov_b32 s13, s19
	;; [unrolled: 1-line block ×3, first 2 shown]
	s_mov_b64 s[20:21], 0
	s_wait_kmcnt 0x0
	s_and_b32 s18, s4, 0xffff
	s_delay_alu instid0(SALU_CYCLE_1)
	v_add_nc_u64_e32 v[6:7], s[18:19], v[0:1]
	v_mov_b32_e32 v9, v1
	s_lshl_b32 s4, s18, 1
	s_mul_i32 s16, s18, 3
	v_add_nc_u64_e32 v[12:13], s[4:5], v[0:1]
	v_add_nc_u64_e32 v[10:11], s[16:17], v[0:1]
	s_lshl_b32 s12, s18, 2
	v_lshlrev_b32_e32 v14, 2, v6
	v_add_nc_u64_e32 v[8:9], s[2:3], v[8:9]
	s_lshl_b32 s14, s18, 4
	s_mul_u64 s[16:17], s[18:19], 12
	s_lshl_b32 s18, s18, 3
	v_add_nc_u64_e32 v[14:15], s[2:3], v[14:15]
	s_branch .LBB37_4
.LBB37_3:                               ;   in Loop: Header=BB37_4 Depth=1
	s_wait_xcnt 0x0
	s_or_b32 exec_lo, exec_lo, s2
	s_add_nc_u64 s[20:21], s[20:21], s[12:13]
	v_add_nc_u64_e32 v[8:9], s[14:15], v[8:9]
	v_cmp_lt_i64_e32 vcc_lo, s[20:21], v[2:3]
	v_add_nc_u64_e32 v[14:15], s[14:15], v[14:15]
	s_cbranch_vccz .LBB37_20
.LBB37_4:                               ; =>This Inner Loop Header: Depth=1
	v_add_nc_u64_e32 v[16:17], s[20:21], v[0:1]
	v_mov_b32_e32 v21, 0
	s_delay_alu instid0(VALU_DEP_2)
	v_cmp_lt_u64_e32 vcc_lo, v[16:17], v[4:5]
	s_and_saveexec_b32 s2, vcc_lo
	s_cbranch_execz .LBB37_6
; %bb.5:                                ;   in Loop: Header=BB37_4 Depth=1
	global_load_b32 v16, v[8:9], off
	s_wait_loadcnt 0x0
	v_ceil_f32_e32 v21, v16
.LBB37_6:                               ;   in Loop: Header=BB37_4 Depth=1
	s_wait_xcnt 0x0
	s_or_b32 exec_lo, exec_lo, s2
	v_add_nc_u64_e32 v[16:17], s[20:21], v[6:7]
	v_dual_mov_b32 v20, 0 :: v_dual_mov_b32 v22, 0
	s_delay_alu instid0(VALU_DEP_2)
	v_cmp_lt_u64_e64 s2, v[16:17], v[4:5]
	s_and_saveexec_b32 s3, s2
	s_cbranch_execz .LBB37_8
; %bb.7:                                ;   in Loop: Header=BB37_4 Depth=1
	global_load_b32 v16, v[14:15], off
	s_wait_loadcnt 0x0
	v_ceil_f32_e32 v22, v16
.LBB37_8:                               ;   in Loop: Header=BB37_4 Depth=1
	s_wait_xcnt 0x0
	s_or_b32 exec_lo, exec_lo, s3
	v_add_nc_u64_e32 v[16:17], s[20:21], v[12:13]
	s_delay_alu instid0(VALU_DEP_1)
	v_cmp_lt_u64_e64 s3, v[16:17], v[4:5]
	v_add_nc_u64_e32 v[16:17], s[18:19], v[8:9]
	s_and_saveexec_b32 s4, s3
	s_cbranch_execz .LBB37_10
; %bb.9:                                ;   in Loop: Header=BB37_4 Depth=1
	global_load_b32 v18, v[16:17], off
	s_wait_loadcnt 0x0
	v_ceil_f32_e32 v20, v18
.LBB37_10:                              ;   in Loop: Header=BB37_4 Depth=1
	s_wait_xcnt 0x0
	s_or_b32 exec_lo, exec_lo, s4
	v_add_nc_u64_e32 v[18:19], s[20:21], v[10:11]
	v_mov_b32_e32 v23, 0
	s_delay_alu instid0(VALU_DEP_2)
	v_cmp_lt_u64_e64 s4, v[18:19], v[4:5]
	v_add_nc_u64_e32 v[18:19], s[16:17], v[8:9]
	s_and_saveexec_b32 s5, s4
	s_cbranch_execnz .LBB37_15
; %bb.11:                               ;   in Loop: Header=BB37_4 Depth=1
	s_or_b32 exec_lo, exec_lo, s5
	s_and_saveexec_b32 s5, vcc_lo
	s_cbranch_execnz .LBB37_16
.LBB37_12:                              ;   in Loop: Header=BB37_4 Depth=1
	s_or_b32 exec_lo, exec_lo, s5
	s_and_saveexec_b32 s5, s2
	s_cbranch_execnz .LBB37_17
.LBB37_13:                              ;   in Loop: Header=BB37_4 Depth=1
	s_or_b32 exec_lo, exec_lo, s5
	s_and_saveexec_b32 s2, s3
	s_cbranch_execnz .LBB37_18
.LBB37_14:                              ;   in Loop: Header=BB37_4 Depth=1
	s_or_b32 exec_lo, exec_lo, s2
	s_and_saveexec_b32 s2, s4
	s_cbranch_execz .LBB37_3
	s_branch .LBB37_19
.LBB37_15:                              ;   in Loop: Header=BB37_4 Depth=1
	global_load_b32 v23, v[18:19], off
	s_wait_loadcnt 0x0
	v_ceil_f32_e32 v23, v23
	s_wait_xcnt 0x0
	s_or_b32 exec_lo, exec_lo, s5
	s_and_saveexec_b32 s5, vcc_lo
	s_cbranch_execz .LBB37_12
.LBB37_16:                              ;   in Loop: Header=BB37_4 Depth=1
	global_store_b32 v[8:9], v21, off
	s_wait_xcnt 0x0
	s_or_b32 exec_lo, exec_lo, s5
	s_and_saveexec_b32 s5, s2
	s_cbranch_execz .LBB37_13
.LBB37_17:                              ;   in Loop: Header=BB37_4 Depth=1
	global_store_b32 v[14:15], v22, off
	s_wait_xcnt 0x0
	s_or_b32 exec_lo, exec_lo, s5
	s_and_saveexec_b32 s2, s3
	s_cbranch_execz .LBB37_14
.LBB37_18:                              ;   in Loop: Header=BB37_4 Depth=1
	global_store_b32 v[16:17], v20, off
	s_wait_xcnt 0x0
	s_or_b32 exec_lo, exec_lo, s2
	s_and_saveexec_b32 s2, s4
	s_cbranch_execz .LBB37_3
.LBB37_19:                              ;   in Loop: Header=BB37_4 Depth=1
	global_store_b32 v[18:19], v23, off
	s_branch .LBB37_3
.LBB37_20:
	s_cbranch_execz .LBB37_22
	s_branch .LBB37_30
.LBB37_21:
.LBB37_22:
	v_min_i64 v[2:3], 0x10000, s[10:11]
	v_dual_mov_b32 v5, 0 :: v_dual_lshlrev_b32 v4, 2, v0
	s_mov_b32 s2, exec_lo
	s_delay_alu instid0(VALU_DEP_1)
	v_cmpx_lt_i64_e64 v[4:5], v[2:3]
	s_cbranch_execz .LBB37_30
; %bb.23:
	v_dual_mov_b32 v7, v5 :: v_dual_add_nc_u32 v6, 4, v4
	s_load_b32 s0, s[0:1], 0xd3c
	s_wait_xcnt 0x0
	s_mov_b32 s1, 0
	v_mov_b32_e32 v1, v5
	s_mov_b32 s3, -1
	v_max_i64 v[6:7], v[2:3], v[6:7]
	v_mov_b32_e32 v9, s1
	s_wait_kmcnt 0x0
	s_and_b32 s0, s0, 0xffff
	s_delay_alu instid0(SALU_CYCLE_1) | instskip(SKIP_1) | instid1(VALU_DEP_2)
	s_cmp_eq_u32 s0, 1
	s_cselect_b32 s2, -1, 0
	v_add_nc_u64_e32 v[6:7], -4, v[6:7]
	s_delay_alu instid0(VALU_DEP_1) | instskip(SKIP_1) | instid1(VALU_DEP_1)
	v_cmp_ne_u64_e32 vcc_lo, v[6:7], v[4:5]
	v_cndmask_b32_e64 v8, 0, 1, vcc_lo
	v_or_b32_e32 v4, v4, v8
	s_delay_alu instid0(VALU_DEP_1) | instskip(NEXT) | instid1(VALU_DEP_1)
	v_sub_nc_u64_e32 v[6:7], v[6:7], v[4:5]
	v_lshrrev_b64 v[6:7], 2, v[6:7]
	s_delay_alu instid0(VALU_DEP_1) | instskip(NEXT) | instid1(VALU_DEP_1)
	v_add_nc_u64_e32 v[6:7], v[6:7], v[8:9]
	v_cmp_ne_u64_e32 vcc_lo, 0, v[6:7]
	s_and_b32 s4, vcc_lo, s2
	s_delay_alu instid0(SALU_CYCLE_1)
	s_and_saveexec_b32 s2, s4
	s_cbranch_execz .LBB37_27
; %bb.24:
	v_dual_mov_b32 v9, 0 :: v_dual_lshlrev_b32 v8, 4, v0
	v_add_nc_u64_e32 v[4:5], 1, v[6:7]
	s_add_nc_u64 s[4:5], s[6:7], s[8:9]
	s_delay_alu instid0(VALU_DEP_2) | instid1(SALU_CYCLE_1)
	v_add_nc_u64_e32 v[8:9], s[4:5], v[8:9]
	s_delay_alu instid0(VALU_DEP_2) | instskip(NEXT) | instid1(VALU_DEP_2)
	v_dual_mov_b32 v7, v5 :: v_dual_bitop2_b32 v6, -2, v4 bitop3:0x40
	v_add_nc_u64_e32 v[8:9], 28, v[8:9]
	s_delay_alu instid0(VALU_DEP_2)
	v_mov_b64_e32 v[10:11], v[6:7]
.LBB37_25:                              ; =>This Inner Loop Header: Depth=1
	s_clause 0x1
	global_load_b128 v[12:15], v[8:9], off offset:-12
	global_load_b128 v[16:19], v[8:9], off offset:-28
	v_add_nc_u64_e32 v[10:11], -2, v[10:11]
	s_delay_alu instid0(VALU_DEP_1)
	v_cmp_eq_u64_e32 vcc_lo, 0, v[10:11]
	s_or_b32 s1, vcc_lo, s1
	s_wait_loadcnt 0x1
	v_ceil_f32_e32 v12, v12
	s_wait_loadcnt 0x0
	v_ceil_f32_e32 v16, v16
	v_ceil_f32_e32 v17, v17
	;; [unrolled: 1-line block ×7, first 2 shown]
	s_clause 0x1
	global_store_b128 v[8:9], v[16:19], off offset:-28
	global_store_b128 v[8:9], v[12:15], off offset:-12
	s_wait_xcnt 0x0
	v_add_nc_u64_e32 v[8:9], 32, v[8:9]
	s_and_not1_b32 exec_lo, exec_lo, s1
	s_cbranch_execnz .LBB37_25
; %bb.26:
	s_or_b32 exec_lo, exec_lo, s1
	v_cmp_ne_u64_e32 vcc_lo, v[4:5], v[6:7]
	v_add_nc_u64_e32 v[0:1], v[6:7], v[0:1]
	s_or_not1_b32 s3, vcc_lo, exec_lo
.LBB37_27:
	s_or_b32 exec_lo, exec_lo, s2
	s_delay_alu instid0(SALU_CYCLE_1)
	s_and_b32 exec_lo, exec_lo, s3
	s_cbranch_execz .LBB37_30
; %bb.28:
	s_add_nc_u64 s[2:3], s[6:7], s[8:9]
	s_mov_b32 s1, 0
	v_lshl_add_u64 v[4:5], v[0:1], 4, s[2:3]
	s_lshl_b32 s2, s0, 4
	s_mov_b32 s3, s1
	s_mov_b32 s4, s1
	s_delay_alu instid0(VALU_DEP_1)
	v_add_nc_u64_e32 v[4:5], 8, v[4:5]
.LBB37_29:                              ; =>This Inner Loop Header: Depth=1
	global_load_b128 v[6:9], v[4:5], off offset:-8
	v_add_nc_u64_e32 v[0:1], s[0:1], v[0:1]
	s_delay_alu instid0(VALU_DEP_1) | instskip(NEXT) | instid1(VALU_DEP_1)
	v_lshlrev_b64_e32 v[10:11], 2, v[0:1]
	v_cmp_ge_i64_e32 vcc_lo, v[10:11], v[2:3]
	s_or_b32 s4, vcc_lo, s4
	s_wait_loadcnt 0x0
	v_ceil_f32_e32 v6, v6
	v_ceil_f32_e32 v7, v7
	;; [unrolled: 1-line block ×4, first 2 shown]
	global_store_b128 v[4:5], v[6:9], off offset:-8
	s_wait_xcnt 0x0
	v_add_nc_u64_e32 v[4:5], s[2:3], v[4:5]
	s_and_not1_b32 exec_lo, exec_lo, s4
	s_cbranch_execnz .LBB37_29
.LBB37_30:
	s_endpgm
	.section	.rodata,"a",@progbits
	.p2align	6, 0x0
	.amdhsa_kernel _ZN2at6native12_GLOBAL__N_125multi_tensor_apply_kernelINS1_18TensorListMetadataILi1EEENS1_14UnaryOpFunctorIfLi1ELi1ELi0EEEJNS0_4CeilIfEEEEEvT_T0_DpT1_
		.amdhsa_group_segment_fixed_size 0
		.amdhsa_private_segment_fixed_size 0
		.amdhsa_kernarg_size 3632
		.amdhsa_user_sgpr_count 2
		.amdhsa_user_sgpr_dispatch_ptr 0
		.amdhsa_user_sgpr_queue_ptr 0
		.amdhsa_user_sgpr_kernarg_segment_ptr 1
		.amdhsa_user_sgpr_dispatch_id 0
		.amdhsa_user_sgpr_kernarg_preload_length 0
		.amdhsa_user_sgpr_kernarg_preload_offset 0
		.amdhsa_user_sgpr_private_segment_size 0
		.amdhsa_wavefront_size32 1
		.amdhsa_uses_dynamic_stack 0
		.amdhsa_enable_private_segment 0
		.amdhsa_system_sgpr_workgroup_id_x 1
		.amdhsa_system_sgpr_workgroup_id_y 0
		.amdhsa_system_sgpr_workgroup_id_z 0
		.amdhsa_system_sgpr_workgroup_info 0
		.amdhsa_system_vgpr_workitem_id 0
		.amdhsa_next_free_vgpr 24
		.amdhsa_next_free_sgpr 22
		.amdhsa_named_barrier_count 0
		.amdhsa_reserve_vcc 1
		.amdhsa_float_round_mode_32 0
		.amdhsa_float_round_mode_16_64 0
		.amdhsa_float_denorm_mode_32 3
		.amdhsa_float_denorm_mode_16_64 3
		.amdhsa_fp16_overflow 0
		.amdhsa_memory_ordered 1
		.amdhsa_forward_progress 1
		.amdhsa_inst_pref_size 10
		.amdhsa_round_robin_scheduling 0
		.amdhsa_exception_fp_ieee_invalid_op 0
		.amdhsa_exception_fp_denorm_src 0
		.amdhsa_exception_fp_ieee_div_zero 0
		.amdhsa_exception_fp_ieee_overflow 0
		.amdhsa_exception_fp_ieee_underflow 0
		.amdhsa_exception_fp_ieee_inexact 0
		.amdhsa_exception_int_div_zero 0
	.end_amdhsa_kernel
	.section	.text._ZN2at6native12_GLOBAL__N_125multi_tensor_apply_kernelINS1_18TensorListMetadataILi1EEENS1_14UnaryOpFunctorIfLi1ELi1ELi0EEEJNS0_4CeilIfEEEEEvT_T0_DpT1_,"axG",@progbits,_ZN2at6native12_GLOBAL__N_125multi_tensor_apply_kernelINS1_18TensorListMetadataILi1EEENS1_14UnaryOpFunctorIfLi1ELi1ELi0EEEJNS0_4CeilIfEEEEEvT_T0_DpT1_,comdat
.Lfunc_end37:
	.size	_ZN2at6native12_GLOBAL__N_125multi_tensor_apply_kernelINS1_18TensorListMetadataILi1EEENS1_14UnaryOpFunctorIfLi1ELi1ELi0EEEJNS0_4CeilIfEEEEEvT_T0_DpT1_, .Lfunc_end37-_ZN2at6native12_GLOBAL__N_125multi_tensor_apply_kernelINS1_18TensorListMetadataILi1EEENS1_14UnaryOpFunctorIfLi1ELi1ELi0EEEJNS0_4CeilIfEEEEEvT_T0_DpT1_
                                        ; -- End function
	.set _ZN2at6native12_GLOBAL__N_125multi_tensor_apply_kernelINS1_18TensorListMetadataILi1EEENS1_14UnaryOpFunctorIfLi1ELi1ELi0EEEJNS0_4CeilIfEEEEEvT_T0_DpT1_.num_vgpr, 24
	.set _ZN2at6native12_GLOBAL__N_125multi_tensor_apply_kernelINS1_18TensorListMetadataILi1EEENS1_14UnaryOpFunctorIfLi1ELi1ELi0EEEJNS0_4CeilIfEEEEEvT_T0_DpT1_.num_agpr, 0
	.set _ZN2at6native12_GLOBAL__N_125multi_tensor_apply_kernelINS1_18TensorListMetadataILi1EEENS1_14UnaryOpFunctorIfLi1ELi1ELi0EEEJNS0_4CeilIfEEEEEvT_T0_DpT1_.numbered_sgpr, 22
	.set _ZN2at6native12_GLOBAL__N_125multi_tensor_apply_kernelINS1_18TensorListMetadataILi1EEENS1_14UnaryOpFunctorIfLi1ELi1ELi0EEEJNS0_4CeilIfEEEEEvT_T0_DpT1_.num_named_barrier, 0
	.set _ZN2at6native12_GLOBAL__N_125multi_tensor_apply_kernelINS1_18TensorListMetadataILi1EEENS1_14UnaryOpFunctorIfLi1ELi1ELi0EEEJNS0_4CeilIfEEEEEvT_T0_DpT1_.private_seg_size, 0
	.set _ZN2at6native12_GLOBAL__N_125multi_tensor_apply_kernelINS1_18TensorListMetadataILi1EEENS1_14UnaryOpFunctorIfLi1ELi1ELi0EEEJNS0_4CeilIfEEEEEvT_T0_DpT1_.uses_vcc, 1
	.set _ZN2at6native12_GLOBAL__N_125multi_tensor_apply_kernelINS1_18TensorListMetadataILi1EEENS1_14UnaryOpFunctorIfLi1ELi1ELi0EEEJNS0_4CeilIfEEEEEvT_T0_DpT1_.uses_flat_scratch, 0
	.set _ZN2at6native12_GLOBAL__N_125multi_tensor_apply_kernelINS1_18TensorListMetadataILi1EEENS1_14UnaryOpFunctorIfLi1ELi1ELi0EEEJNS0_4CeilIfEEEEEvT_T0_DpT1_.has_dyn_sized_stack, 0
	.set _ZN2at6native12_GLOBAL__N_125multi_tensor_apply_kernelINS1_18TensorListMetadataILi1EEENS1_14UnaryOpFunctorIfLi1ELi1ELi0EEEJNS0_4CeilIfEEEEEvT_T0_DpT1_.has_recursion, 0
	.set _ZN2at6native12_GLOBAL__N_125multi_tensor_apply_kernelINS1_18TensorListMetadataILi1EEENS1_14UnaryOpFunctorIfLi1ELi1ELi0EEEJNS0_4CeilIfEEEEEvT_T0_DpT1_.has_indirect_call, 0
	.section	.AMDGPU.csdata,"",@progbits
; Kernel info:
; codeLenInByte = 1240
; TotalNumSgprs: 24
; NumVgprs: 24
; ScratchSize: 0
; MemoryBound: 0
; FloatMode: 240
; IeeeMode: 1
; LDSByteSize: 0 bytes/workgroup (compile time only)
; SGPRBlocks: 0
; VGPRBlocks: 1
; NumSGPRsForWavesPerEU: 24
; NumVGPRsForWavesPerEU: 24
; NamedBarCnt: 0
; Occupancy: 16
; WaveLimiterHint : 0
; COMPUTE_PGM_RSRC2:SCRATCH_EN: 0
; COMPUTE_PGM_RSRC2:USER_SGPR: 2
; COMPUTE_PGM_RSRC2:TRAP_HANDLER: 0
; COMPUTE_PGM_RSRC2:TGID_X_EN: 1
; COMPUTE_PGM_RSRC2:TGID_Y_EN: 0
; COMPUTE_PGM_RSRC2:TGID_Z_EN: 0
; COMPUTE_PGM_RSRC2:TIDIG_COMP_CNT: 0
	.section	.text._ZN2at6native12_GLOBAL__N_125multi_tensor_apply_kernelINS1_18TensorListMetadataILi1EEENS1_14UnaryOpFunctorIN3c104HalfELi1ELi1ELi0EEEJNS0_4CeilIfEEEEEvT_T0_DpT1_,"axG",@progbits,_ZN2at6native12_GLOBAL__N_125multi_tensor_apply_kernelINS1_18TensorListMetadataILi1EEENS1_14UnaryOpFunctorIN3c104HalfELi1ELi1ELi0EEEJNS0_4CeilIfEEEEEvT_T0_DpT1_,comdat
	.globl	_ZN2at6native12_GLOBAL__N_125multi_tensor_apply_kernelINS1_18TensorListMetadataILi1EEENS1_14UnaryOpFunctorIN3c104HalfELi1ELi1ELi0EEEJNS0_4CeilIfEEEEEvT_T0_DpT1_ ; -- Begin function _ZN2at6native12_GLOBAL__N_125multi_tensor_apply_kernelINS1_18TensorListMetadataILi1EEENS1_14UnaryOpFunctorIN3c104HalfELi1ELi1ELi0EEEJNS0_4CeilIfEEEEEvT_T0_DpT1_
	.p2align	8
	.type	_ZN2at6native12_GLOBAL__N_125multi_tensor_apply_kernelINS1_18TensorListMetadataILi1EEENS1_14UnaryOpFunctorIN3c104HalfELi1ELi1ELi0EEEJNS0_4CeilIfEEEEEvT_T0_DpT1_,@function
_ZN2at6native12_GLOBAL__N_125multi_tensor_apply_kernelINS1_18TensorListMetadataILi1EEENS1_14UnaryOpFunctorIN3c104HalfELi1ELi1ELi0EEEJNS0_4CeilIfEEEEEvT_T0_DpT1_: ; @_ZN2at6native12_GLOBAL__N_125multi_tensor_apply_kernelINS1_18TensorListMetadataILi1EEENS1_14UnaryOpFunctorIN3c104HalfELi1ELi1ELi0EEEJNS0_4CeilIfEEEEEvT_T0_DpT1_
; %bb.0:
	s_bfe_u32 s2, ttmp6, 0x4000c
	s_and_b32 s3, ttmp6, 15
	s_add_co_i32 s2, s2, 1
	s_getreg_b32 s4, hwreg(HW_REG_IB_STS2, 6, 4)
	s_mul_i32 s2, ttmp9, s2
	s_delay_alu instid0(SALU_CYCLE_1)
	s_add_co_i32 s3, s3, s2
	s_cmp_eq_u32 s4, 0
	s_cselect_b32 s2, ttmp9, s3
	s_mov_b32 s3, 0
	s_load_u8 s8, s[0:1], s2 offset:0x6e0
	s_add_nc_u64 s[4:5], s[0:1], s[2:3]
	s_mul_u64 s[6:7], s[2:3], 3
	s_delay_alu instid0(SALU_CYCLE_1)
	s_add_nc_u64 s[4:5], s[4:5], s[6:7]
	s_load_b32 s10, s[4:5], 0x820
	s_wait_kmcnt 0x0
	s_clause 0x1
	s_load_b64 s[6:7], s[0:1], s8 offset:0x0 scale_offset
	s_load_b64 s[12:13], s[0:1], s8 offset:0x370 scale_offset
	s_ashr_i32 s11, s10, 31
	s_wait_kmcnt 0x0
	s_and_b64 s[4:5], s[6:7], 7
	s_and_b32 s2, s12, 3
	s_lshl_b64 s[8:9], s[10:11], 17
	s_or_b64 s[2:3], s[4:5], s[2:3]
	s_lshl_b64 s[4:5], s[10:11], 16
	s_cmp_eq_u64 s[2:3], 0
	s_sub_nc_u64 s[10:11], s[12:13], s[4:5]
	s_cbranch_scc1 .LBB38_21
; %bb.1:
	v_cmp_lt_i64_e64 s2, s[10:11], 1
	s_and_b32 vcc_lo, exec_lo, s2
	s_cbranch_vccnz .LBB38_20
; %bb.2:
	s_load_b32 s2, s[0:1], 0xd3c
	v_min_i64 v[2:3], 0x10000, s[10:11]
	v_min_u64 v[4:5], 0x10000, s[10:11]
	v_dual_mov_b32 v1, 0 :: v_dual_lshlrev_b32 v8, 1, v0
	s_mov_b32 s3, 0
	s_add_nc_u64 s[4:5], s[6:7], s[8:9]
	s_mov_b32 s15, s3
	s_delay_alu instid0(VALU_DEP_1)
	v_mov_b32_e32 v15, v1
	s_mov_b32 s17, s3
	s_mov_b32 s13, s3
	s_mov_b64 s[18:19], 0
	s_wait_kmcnt 0x0
	s_and_b32 s2, s2, 0xffff
	s_delay_alu instid0(SALU_CYCLE_1)
	v_add_nc_u64_e32 v[6:7], s[2:3], v[0:1]
	v_mov_b32_e32 v9, v1
	s_lshl_b32 s14, s2, 1
	s_mul_i32 s16, s2, 3
	v_add_nc_u64_e32 v[12:13], s[14:15], v[0:1]
	v_add_nc_u64_e32 v[10:11], s[16:17], v[0:1]
	s_lshl_b32 s12, s2, 2
	v_lshlrev_b32_e32 v14, 1, v6
	v_add_nc_u64_e32 v[8:9], s[4:5], v[8:9]
	s_lshl_b32 s14, s2, 3
	s_mul_u64 s[16:17], s[2:3], 6
	s_delay_alu instid0(VALU_DEP_2)
	v_add_nc_u64_e32 v[14:15], s[4:5], v[14:15]
	s_branch .LBB38_4
.LBB38_3:                               ;   in Loop: Header=BB38_4 Depth=1
	s_wait_xcnt 0x0
	s_or_b32 exec_lo, exec_lo, s2
	s_add_nc_u64 s[18:19], s[18:19], s[12:13]
	v_add_nc_u64_e32 v[8:9], s[14:15], v[8:9]
	v_cmp_lt_i64_e32 vcc_lo, s[18:19], v[2:3]
	v_add_nc_u64_e32 v[14:15], s[14:15], v[14:15]
	s_cbranch_vccz .LBB38_20
.LBB38_4:                               ; =>This Inner Loop Header: Depth=1
	v_add_nc_u64_e32 v[16:17], s[18:19], v[0:1]
	v_mov_b32_e32 v21, 0
	s_delay_alu instid0(VALU_DEP_2)
	v_cmp_lt_u64_e32 vcc_lo, v[16:17], v[4:5]
	s_and_saveexec_b32 s2, vcc_lo
	s_cbranch_execz .LBB38_6
; %bb.5:                                ;   in Loop: Header=BB38_4 Depth=1
	global_load_u16 v16, v[8:9], off
	s_wait_loadcnt 0x0
	v_ceil_f16_e32 v21, v16
.LBB38_6:                               ;   in Loop: Header=BB38_4 Depth=1
	s_wait_xcnt 0x0
	s_or_b32 exec_lo, exec_lo, s2
	v_add_nc_u64_e32 v[16:17], s[18:19], v[6:7]
	v_dual_mov_b32 v20, 0 :: v_dual_mov_b32 v22, 0
	s_delay_alu instid0(VALU_DEP_2)
	v_cmp_lt_u64_e64 s2, v[16:17], v[4:5]
	s_and_saveexec_b32 s3, s2
	s_cbranch_execz .LBB38_8
; %bb.7:                                ;   in Loop: Header=BB38_4 Depth=1
	global_load_u16 v16, v[14:15], off
	s_wait_loadcnt 0x0
	v_ceil_f16_e32 v22, v16
.LBB38_8:                               ;   in Loop: Header=BB38_4 Depth=1
	s_wait_xcnt 0x0
	s_or_b32 exec_lo, exec_lo, s3
	v_add_nc_u64_e32 v[16:17], s[18:19], v[12:13]
	s_delay_alu instid0(VALU_DEP_1)
	v_cmp_lt_u64_e64 s3, v[16:17], v[4:5]
	v_add_nc_u64_e32 v[16:17], s[12:13], v[8:9]
	s_and_saveexec_b32 s4, s3
	s_cbranch_execz .LBB38_10
; %bb.9:                                ;   in Loop: Header=BB38_4 Depth=1
	global_load_u16 v18, v[16:17], off
	s_wait_loadcnt 0x0
	v_ceil_f16_e32 v20, v18
.LBB38_10:                              ;   in Loop: Header=BB38_4 Depth=1
	s_wait_xcnt 0x0
	s_or_b32 exec_lo, exec_lo, s4
	v_add_nc_u64_e32 v[18:19], s[18:19], v[10:11]
	v_mov_b32_e32 v23, 0
	s_delay_alu instid0(VALU_DEP_2)
	v_cmp_lt_u64_e64 s4, v[18:19], v[4:5]
	v_add_nc_u64_e32 v[18:19], s[16:17], v[8:9]
	s_and_saveexec_b32 s5, s4
	s_cbranch_execnz .LBB38_15
; %bb.11:                               ;   in Loop: Header=BB38_4 Depth=1
	s_or_b32 exec_lo, exec_lo, s5
	s_and_saveexec_b32 s5, vcc_lo
	s_cbranch_execnz .LBB38_16
.LBB38_12:                              ;   in Loop: Header=BB38_4 Depth=1
	s_or_b32 exec_lo, exec_lo, s5
	s_and_saveexec_b32 s5, s2
	s_cbranch_execnz .LBB38_17
.LBB38_13:                              ;   in Loop: Header=BB38_4 Depth=1
	s_or_b32 exec_lo, exec_lo, s5
	s_and_saveexec_b32 s2, s3
	s_cbranch_execnz .LBB38_18
.LBB38_14:                              ;   in Loop: Header=BB38_4 Depth=1
	s_or_b32 exec_lo, exec_lo, s2
	s_and_saveexec_b32 s2, s4
	s_cbranch_execz .LBB38_3
	s_branch .LBB38_19
.LBB38_15:                              ;   in Loop: Header=BB38_4 Depth=1
	global_load_u16 v23, v[18:19], off
	s_wait_loadcnt 0x0
	v_ceil_f16_e32 v23, v23
	s_wait_xcnt 0x0
	s_or_b32 exec_lo, exec_lo, s5
	s_and_saveexec_b32 s5, vcc_lo
	s_cbranch_execz .LBB38_12
.LBB38_16:                              ;   in Loop: Header=BB38_4 Depth=1
	global_store_b16 v[8:9], v21, off
	s_wait_xcnt 0x0
	s_or_b32 exec_lo, exec_lo, s5
	s_and_saveexec_b32 s5, s2
	s_cbranch_execz .LBB38_13
.LBB38_17:                              ;   in Loop: Header=BB38_4 Depth=1
	global_store_b16 v[14:15], v22, off
	s_wait_xcnt 0x0
	s_or_b32 exec_lo, exec_lo, s5
	s_and_saveexec_b32 s2, s3
	s_cbranch_execz .LBB38_14
.LBB38_18:                              ;   in Loop: Header=BB38_4 Depth=1
	global_store_b16 v[16:17], v20, off
	s_wait_xcnt 0x0
	s_or_b32 exec_lo, exec_lo, s2
	s_and_saveexec_b32 s2, s4
	s_cbranch_execz .LBB38_3
.LBB38_19:                              ;   in Loop: Header=BB38_4 Depth=1
	global_store_b16 v[18:19], v23, off
	s_branch .LBB38_3
.LBB38_20:
	s_cbranch_execz .LBB38_22
	s_branch .LBB38_25
.LBB38_21:
.LBB38_22:
	v_min_i64 v[2:3], 0x10000, s[10:11]
	v_dual_mov_b32 v5, 0 :: v_dual_lshlrev_b32 v4, 2, v0
	s_mov_b32 s2, exec_lo
	s_delay_alu instid0(VALU_DEP_1)
	v_cmpx_lt_i64_e64 v[4:5], v[2:3]
	s_cbranch_execz .LBB38_25
; %bb.23:
	s_load_b32 s2, s[0:1], 0xd3c
	v_dual_mov_b32 v1, v5 :: v_dual_lshlrev_b32 v4, 3, v0
	s_wait_xcnt 0x0
	s_add_nc_u64 s[0:1], s[6:7], s[8:9]
	s_delay_alu instid0(VALU_DEP_1) | instid1(SALU_CYCLE_1)
	v_add_nc_u64_e32 v[6:7], s[0:1], v[4:5]
	s_mov_b32 s1, 0
	s_delay_alu instid0(SALU_CYCLE_1) | instskip(SKIP_1) | instid1(VALU_DEP_1)
	s_mov_b32 s3, s1
	s_mov_b32 s4, s1
	v_add_nc_u64_e32 v[4:5], 4, v[6:7]
	s_wait_kmcnt 0x0
	s_and_b32 s0, s2, 0xffff
	s_delay_alu instid0(SALU_CYCLE_1)
	s_lshl_b32 s2, s0, 3
.LBB38_24:                              ; =>This Inner Loop Header: Depth=1
	global_load_b64 v[6:7], v[4:5], off offset:-4
	v_add_nc_u64_e32 v[0:1], s[0:1], v[0:1]
	s_wait_loadcnt 0x0
	v_dual_lshrrev_b32 v8, 16, v7 :: v_dual_lshrrev_b32 v9, 16, v6
	v_ceil_f16_e32 v10, v6
	v_ceil_f16_e32 v11, v7
	s_delay_alu instid0(VALU_DEP_4) | instskip(NEXT) | instid1(VALU_DEP_4)
	v_lshlrev_b64_e32 v[6:7], 2, v[0:1]
	v_ceil_f16_e32 v8, v8
	v_ceil_f16_e32 v12, v9
	s_delay_alu instid0(VALU_DEP_2) | instskip(NEXT) | instid1(VALU_DEP_2)
	v_pack_b32_f16 v9, v11, v8
	v_pack_b32_f16 v8, v10, v12
	v_cmp_ge_i64_e32 vcc_lo, v[6:7], v[2:3]
	global_store_b64 v[4:5], v[8:9], off offset:-4
	s_wait_xcnt 0x0
	v_add_nc_u64_e32 v[4:5], s[2:3], v[4:5]
	s_or_b32 s4, vcc_lo, s4
	s_delay_alu instid0(SALU_CYCLE_1)
	s_and_not1_b32 exec_lo, exec_lo, s4
	s_cbranch_execnz .LBB38_24
.LBB38_25:
	s_endpgm
	.section	.rodata,"a",@progbits
	.p2align	6, 0x0
	.amdhsa_kernel _ZN2at6native12_GLOBAL__N_125multi_tensor_apply_kernelINS1_18TensorListMetadataILi1EEENS1_14UnaryOpFunctorIN3c104HalfELi1ELi1ELi0EEEJNS0_4CeilIfEEEEEvT_T0_DpT1_
		.amdhsa_group_segment_fixed_size 0
		.amdhsa_private_segment_fixed_size 0
		.amdhsa_kernarg_size 3632
		.amdhsa_user_sgpr_count 2
		.amdhsa_user_sgpr_dispatch_ptr 0
		.amdhsa_user_sgpr_queue_ptr 0
		.amdhsa_user_sgpr_kernarg_segment_ptr 1
		.amdhsa_user_sgpr_dispatch_id 0
		.amdhsa_user_sgpr_kernarg_preload_length 0
		.amdhsa_user_sgpr_kernarg_preload_offset 0
		.amdhsa_user_sgpr_private_segment_size 0
		.amdhsa_wavefront_size32 1
		.amdhsa_uses_dynamic_stack 0
		.amdhsa_enable_private_segment 0
		.amdhsa_system_sgpr_workgroup_id_x 1
		.amdhsa_system_sgpr_workgroup_id_y 0
		.amdhsa_system_sgpr_workgroup_id_z 0
		.amdhsa_system_sgpr_workgroup_info 0
		.amdhsa_system_vgpr_workitem_id 0
		.amdhsa_next_free_vgpr 24
		.amdhsa_next_free_sgpr 20
		.amdhsa_named_barrier_count 0
		.amdhsa_reserve_vcc 1
		.amdhsa_float_round_mode_32 0
		.amdhsa_float_round_mode_16_64 0
		.amdhsa_float_denorm_mode_32 3
		.amdhsa_float_denorm_mode_16_64 3
		.amdhsa_fp16_overflow 0
		.amdhsa_memory_ordered 1
		.amdhsa_forward_progress 1
		.amdhsa_inst_pref_size 8
		.amdhsa_round_robin_scheduling 0
		.amdhsa_exception_fp_ieee_invalid_op 0
		.amdhsa_exception_fp_denorm_src 0
		.amdhsa_exception_fp_ieee_div_zero 0
		.amdhsa_exception_fp_ieee_overflow 0
		.amdhsa_exception_fp_ieee_underflow 0
		.amdhsa_exception_fp_ieee_inexact 0
		.amdhsa_exception_int_div_zero 0
	.end_amdhsa_kernel
	.section	.text._ZN2at6native12_GLOBAL__N_125multi_tensor_apply_kernelINS1_18TensorListMetadataILi1EEENS1_14UnaryOpFunctorIN3c104HalfELi1ELi1ELi0EEEJNS0_4CeilIfEEEEEvT_T0_DpT1_,"axG",@progbits,_ZN2at6native12_GLOBAL__N_125multi_tensor_apply_kernelINS1_18TensorListMetadataILi1EEENS1_14UnaryOpFunctorIN3c104HalfELi1ELi1ELi0EEEJNS0_4CeilIfEEEEEvT_T0_DpT1_,comdat
.Lfunc_end38:
	.size	_ZN2at6native12_GLOBAL__N_125multi_tensor_apply_kernelINS1_18TensorListMetadataILi1EEENS1_14UnaryOpFunctorIN3c104HalfELi1ELi1ELi0EEEJNS0_4CeilIfEEEEEvT_T0_DpT1_, .Lfunc_end38-_ZN2at6native12_GLOBAL__N_125multi_tensor_apply_kernelINS1_18TensorListMetadataILi1EEENS1_14UnaryOpFunctorIN3c104HalfELi1ELi1ELi0EEEJNS0_4CeilIfEEEEEvT_T0_DpT1_
                                        ; -- End function
	.set _ZN2at6native12_GLOBAL__N_125multi_tensor_apply_kernelINS1_18TensorListMetadataILi1EEENS1_14UnaryOpFunctorIN3c104HalfELi1ELi1ELi0EEEJNS0_4CeilIfEEEEEvT_T0_DpT1_.num_vgpr, 24
	.set _ZN2at6native12_GLOBAL__N_125multi_tensor_apply_kernelINS1_18TensorListMetadataILi1EEENS1_14UnaryOpFunctorIN3c104HalfELi1ELi1ELi0EEEJNS0_4CeilIfEEEEEvT_T0_DpT1_.num_agpr, 0
	.set _ZN2at6native12_GLOBAL__N_125multi_tensor_apply_kernelINS1_18TensorListMetadataILi1EEENS1_14UnaryOpFunctorIN3c104HalfELi1ELi1ELi0EEEJNS0_4CeilIfEEEEEvT_T0_DpT1_.numbered_sgpr, 20
	.set _ZN2at6native12_GLOBAL__N_125multi_tensor_apply_kernelINS1_18TensorListMetadataILi1EEENS1_14UnaryOpFunctorIN3c104HalfELi1ELi1ELi0EEEJNS0_4CeilIfEEEEEvT_T0_DpT1_.num_named_barrier, 0
	.set _ZN2at6native12_GLOBAL__N_125multi_tensor_apply_kernelINS1_18TensorListMetadataILi1EEENS1_14UnaryOpFunctorIN3c104HalfELi1ELi1ELi0EEEJNS0_4CeilIfEEEEEvT_T0_DpT1_.private_seg_size, 0
	.set _ZN2at6native12_GLOBAL__N_125multi_tensor_apply_kernelINS1_18TensorListMetadataILi1EEENS1_14UnaryOpFunctorIN3c104HalfELi1ELi1ELi0EEEJNS0_4CeilIfEEEEEvT_T0_DpT1_.uses_vcc, 1
	.set _ZN2at6native12_GLOBAL__N_125multi_tensor_apply_kernelINS1_18TensorListMetadataILi1EEENS1_14UnaryOpFunctorIN3c104HalfELi1ELi1ELi0EEEJNS0_4CeilIfEEEEEvT_T0_DpT1_.uses_flat_scratch, 0
	.set _ZN2at6native12_GLOBAL__N_125multi_tensor_apply_kernelINS1_18TensorListMetadataILi1EEENS1_14UnaryOpFunctorIN3c104HalfELi1ELi1ELi0EEEJNS0_4CeilIfEEEEEvT_T0_DpT1_.has_dyn_sized_stack, 0
	.set _ZN2at6native12_GLOBAL__N_125multi_tensor_apply_kernelINS1_18TensorListMetadataILi1EEENS1_14UnaryOpFunctorIN3c104HalfELi1ELi1ELi0EEEJNS0_4CeilIfEEEEEvT_T0_DpT1_.has_recursion, 0
	.set _ZN2at6native12_GLOBAL__N_125multi_tensor_apply_kernelINS1_18TensorListMetadataILi1EEENS1_14UnaryOpFunctorIN3c104HalfELi1ELi1ELi0EEEJNS0_4CeilIfEEEEEvT_T0_DpT1_.has_indirect_call, 0
	.section	.AMDGPU.csdata,"",@progbits
; Kernel info:
; codeLenInByte = 960
; TotalNumSgprs: 22
; NumVgprs: 24
; ScratchSize: 0
; MemoryBound: 0
; FloatMode: 240
; IeeeMode: 1
; LDSByteSize: 0 bytes/workgroup (compile time only)
; SGPRBlocks: 0
; VGPRBlocks: 1
; NumSGPRsForWavesPerEU: 22
; NumVGPRsForWavesPerEU: 24
; NamedBarCnt: 0
; Occupancy: 16
; WaveLimiterHint : 0
; COMPUTE_PGM_RSRC2:SCRATCH_EN: 0
; COMPUTE_PGM_RSRC2:USER_SGPR: 2
; COMPUTE_PGM_RSRC2:TRAP_HANDLER: 0
; COMPUTE_PGM_RSRC2:TGID_X_EN: 1
; COMPUTE_PGM_RSRC2:TGID_Y_EN: 0
; COMPUTE_PGM_RSRC2:TGID_Z_EN: 0
; COMPUTE_PGM_RSRC2:TIDIG_COMP_CNT: 0
	.section	.text._ZN2at6native12_GLOBAL__N_125multi_tensor_apply_kernelINS1_18TensorListMetadataILi1EEENS1_14UnaryOpFunctorIN3c108BFloat16ELi1ELi1ELi0EEEJNS0_4CeilIfEEEEEvT_T0_DpT1_,"axG",@progbits,_ZN2at6native12_GLOBAL__N_125multi_tensor_apply_kernelINS1_18TensorListMetadataILi1EEENS1_14UnaryOpFunctorIN3c108BFloat16ELi1ELi1ELi0EEEJNS0_4CeilIfEEEEEvT_T0_DpT1_,comdat
	.globl	_ZN2at6native12_GLOBAL__N_125multi_tensor_apply_kernelINS1_18TensorListMetadataILi1EEENS1_14UnaryOpFunctorIN3c108BFloat16ELi1ELi1ELi0EEEJNS0_4CeilIfEEEEEvT_T0_DpT1_ ; -- Begin function _ZN2at6native12_GLOBAL__N_125multi_tensor_apply_kernelINS1_18TensorListMetadataILi1EEENS1_14UnaryOpFunctorIN3c108BFloat16ELi1ELi1ELi0EEEJNS0_4CeilIfEEEEEvT_T0_DpT1_
	.p2align	8
	.type	_ZN2at6native12_GLOBAL__N_125multi_tensor_apply_kernelINS1_18TensorListMetadataILi1EEENS1_14UnaryOpFunctorIN3c108BFloat16ELi1ELi1ELi0EEEJNS0_4CeilIfEEEEEvT_T0_DpT1_,@function
_ZN2at6native12_GLOBAL__N_125multi_tensor_apply_kernelINS1_18TensorListMetadataILi1EEENS1_14UnaryOpFunctorIN3c108BFloat16ELi1ELi1ELi0EEEJNS0_4CeilIfEEEEEvT_T0_DpT1_: ; @_ZN2at6native12_GLOBAL__N_125multi_tensor_apply_kernelINS1_18TensorListMetadataILi1EEENS1_14UnaryOpFunctorIN3c108BFloat16ELi1ELi1ELi0EEEJNS0_4CeilIfEEEEEvT_T0_DpT1_
; %bb.0:
	s_bfe_u32 s2, ttmp6, 0x4000c
	s_and_b32 s3, ttmp6, 15
	s_add_co_i32 s2, s2, 1
	s_getreg_b32 s4, hwreg(HW_REG_IB_STS2, 6, 4)
	s_mul_i32 s2, ttmp9, s2
	s_delay_alu instid0(SALU_CYCLE_1)
	s_add_co_i32 s3, s3, s2
	s_cmp_eq_u32 s4, 0
	s_cselect_b32 s2, ttmp9, s3
	s_mov_b32 s3, 0
	s_load_u8 s8, s[0:1], s2 offset:0x6e0
	s_add_nc_u64 s[4:5], s[0:1], s[2:3]
	s_mul_u64 s[6:7], s[2:3], 3
	s_delay_alu instid0(SALU_CYCLE_1)
	s_add_nc_u64 s[4:5], s[4:5], s[6:7]
	s_load_b32 s10, s[4:5], 0x820
	s_wait_kmcnt 0x0
	s_clause 0x1
	s_load_b64 s[6:7], s[0:1], s8 offset:0x0 scale_offset
	s_load_b64 s[12:13], s[0:1], s8 offset:0x370 scale_offset
	s_ashr_i32 s11, s10, 31
	s_wait_kmcnt 0x0
	s_and_b64 s[4:5], s[6:7], 7
	s_and_b32 s2, s12, 3
	s_lshl_b64 s[8:9], s[10:11], 17
	s_or_b64 s[2:3], s[4:5], s[2:3]
	s_lshl_b64 s[4:5], s[10:11], 16
	s_cmp_eq_u64 s[2:3], 0
	s_sub_nc_u64 s[10:11], s[12:13], s[4:5]
	s_cbranch_scc1 .LBB39_21
; %bb.1:
	v_cmp_lt_i64_e64 s2, s[10:11], 1
	s_and_b32 vcc_lo, exec_lo, s2
	s_cbranch_vccnz .LBB39_20
; %bb.2:
	s_load_b32 s2, s[0:1], 0xd3c
	v_min_i64 v[2:3], 0x10000, s[10:11]
	v_min_u64 v[4:5], 0x10000, s[10:11]
	v_dual_mov_b32 v1, 0 :: v_dual_lshlrev_b32 v8, 1, v0
	s_mov_b32 s3, 0
	s_add_nc_u64 s[4:5], s[6:7], s[8:9]
	s_mov_b32 s15, s3
	s_delay_alu instid0(VALU_DEP_1)
	v_mov_b32_e32 v15, v1
	s_mov_b32 s17, s3
	s_mov_b32 s13, s3
	s_mov_b64 s[18:19], 0
	s_wait_kmcnt 0x0
	s_and_b32 s2, s2, 0xffff
	s_delay_alu instid0(SALU_CYCLE_1)
	v_add_nc_u64_e32 v[6:7], s[2:3], v[0:1]
	v_mov_b32_e32 v9, v1
	s_lshl_b32 s14, s2, 1
	s_mul_i32 s16, s2, 3
	v_add_nc_u64_e32 v[12:13], s[14:15], v[0:1]
	v_add_nc_u64_e32 v[10:11], s[16:17], v[0:1]
	s_lshl_b32 s12, s2, 2
	v_lshlrev_b32_e32 v14, 1, v6
	v_add_nc_u64_e32 v[8:9], s[4:5], v[8:9]
	s_lshl_b32 s14, s2, 3
	s_mul_u64 s[16:17], s[2:3], 6
	s_delay_alu instid0(VALU_DEP_2)
	v_add_nc_u64_e32 v[14:15], s[4:5], v[14:15]
	s_branch .LBB39_4
.LBB39_3:                               ;   in Loop: Header=BB39_4 Depth=1
	s_wait_xcnt 0x0
	s_or_b32 exec_lo, exec_lo, s2
	s_add_nc_u64 s[18:19], s[18:19], s[12:13]
	v_add_nc_u64_e32 v[8:9], s[14:15], v[8:9]
	v_cmp_lt_i64_e32 vcc_lo, s[18:19], v[2:3]
	v_add_nc_u64_e32 v[14:15], s[14:15], v[14:15]
	s_cbranch_vccz .LBB39_20
.LBB39_4:                               ; =>This Inner Loop Header: Depth=1
	v_add_nc_u64_e32 v[16:17], s[18:19], v[0:1]
	v_mov_b32_e32 v21, 0
	s_delay_alu instid0(VALU_DEP_2)
	v_cmp_lt_u64_e32 vcc_lo, v[16:17], v[4:5]
	s_and_saveexec_b32 s2, vcc_lo
	s_cbranch_execz .LBB39_6
; %bb.5:                                ;   in Loop: Header=BB39_4 Depth=1
	global_load_u16 v16, v[8:9], off
	s_wait_loadcnt 0x0
	v_lshlrev_b32_e32 v16, 16, v16
	s_delay_alu instid0(VALU_DEP_1)
	v_ceil_f32_e32 v21, v16
.LBB39_6:                               ;   in Loop: Header=BB39_4 Depth=1
	s_wait_xcnt 0x0
	s_or_b32 exec_lo, exec_lo, s2
	v_add_nc_u64_e32 v[16:17], s[18:19], v[6:7]
	v_dual_mov_b32 v20, 0 :: v_dual_mov_b32 v22, 0
	s_delay_alu instid0(VALU_DEP_2)
	v_cmp_lt_u64_e64 s2, v[16:17], v[4:5]
	s_and_saveexec_b32 s3, s2
	s_cbranch_execz .LBB39_8
; %bb.7:                                ;   in Loop: Header=BB39_4 Depth=1
	global_load_u16 v16, v[14:15], off
	s_wait_loadcnt 0x0
	v_lshlrev_b32_e32 v16, 16, v16
	s_delay_alu instid0(VALU_DEP_1)
	v_ceil_f32_e32 v22, v16
.LBB39_8:                               ;   in Loop: Header=BB39_4 Depth=1
	s_wait_xcnt 0x0
	s_or_b32 exec_lo, exec_lo, s3
	v_add_nc_u64_e32 v[16:17], s[18:19], v[12:13]
	s_delay_alu instid0(VALU_DEP_1)
	v_cmp_lt_u64_e64 s3, v[16:17], v[4:5]
	v_add_nc_u64_e32 v[16:17], s[12:13], v[8:9]
	s_and_saveexec_b32 s4, s3
	s_cbranch_execz .LBB39_10
; %bb.9:                                ;   in Loop: Header=BB39_4 Depth=1
	global_load_u16 v18, v[16:17], off
	s_wait_loadcnt 0x0
	v_lshlrev_b32_e32 v18, 16, v18
	s_delay_alu instid0(VALU_DEP_1)
	v_ceil_f32_e32 v20, v18
.LBB39_10:                              ;   in Loop: Header=BB39_4 Depth=1
	s_wait_xcnt 0x0
	s_or_b32 exec_lo, exec_lo, s4
	v_add_nc_u64_e32 v[18:19], s[18:19], v[10:11]
	v_mov_b32_e32 v23, 0
	s_delay_alu instid0(VALU_DEP_2)
	v_cmp_lt_u64_e64 s4, v[18:19], v[4:5]
	v_add_nc_u64_e32 v[18:19], s[16:17], v[8:9]
	s_and_saveexec_b32 s5, s4
	s_cbranch_execnz .LBB39_15
; %bb.11:                               ;   in Loop: Header=BB39_4 Depth=1
	s_or_b32 exec_lo, exec_lo, s5
	s_and_saveexec_b32 s5, vcc_lo
	s_cbranch_execnz .LBB39_16
.LBB39_12:                              ;   in Loop: Header=BB39_4 Depth=1
	s_or_b32 exec_lo, exec_lo, s5
	s_and_saveexec_b32 s5, s2
	s_cbranch_execnz .LBB39_17
.LBB39_13:                              ;   in Loop: Header=BB39_4 Depth=1
	s_or_b32 exec_lo, exec_lo, s5
	s_and_saveexec_b32 s2, s3
	s_cbranch_execnz .LBB39_18
.LBB39_14:                              ;   in Loop: Header=BB39_4 Depth=1
	s_or_b32 exec_lo, exec_lo, s2
	s_and_saveexec_b32 s2, s4
	s_cbranch_execz .LBB39_3
	s_branch .LBB39_19
.LBB39_15:                              ;   in Loop: Header=BB39_4 Depth=1
	global_load_u16 v23, v[18:19], off
	s_wait_loadcnt 0x0
	v_lshlrev_b32_e32 v23, 16, v23
	s_delay_alu instid0(VALU_DEP_1)
	v_ceil_f32_e32 v23, v23
	s_wait_xcnt 0x0
	s_or_b32 exec_lo, exec_lo, s5
	s_and_saveexec_b32 s5, vcc_lo
	s_cbranch_execz .LBB39_12
.LBB39_16:                              ;   in Loop: Header=BB39_4 Depth=1
	v_bfe_u32 v24, v21, 16, 1
	v_cmp_o_f32_e32 vcc_lo, v21, v21
	s_delay_alu instid0(VALU_DEP_2) | instskip(NEXT) | instid1(VALU_DEP_1)
	v_add3_u32 v24, v21, v24, 0x7fff
	v_lshrrev_b32_e32 v24, 16, v24
	s_delay_alu instid0(VALU_DEP_1)
	v_cndmask_b32_e32 v21, 0x7fc0, v24, vcc_lo
	global_store_b16 v[8:9], v21, off
	s_wait_xcnt 0x0
	s_or_b32 exec_lo, exec_lo, s5
	s_and_saveexec_b32 s5, s2
	s_cbranch_execz .LBB39_13
.LBB39_17:                              ;   in Loop: Header=BB39_4 Depth=1
	v_bfe_u32 v21, v22, 16, 1
	v_cmp_o_f32_e32 vcc_lo, v22, v22
	s_delay_alu instid0(VALU_DEP_2) | instskip(NEXT) | instid1(VALU_DEP_1)
	v_add3_u32 v21, v22, v21, 0x7fff
	v_lshrrev_b32_e32 v21, 16, v21
	s_delay_alu instid0(VALU_DEP_1)
	v_cndmask_b32_e32 v21, 0x7fc0, v21, vcc_lo
	global_store_b16 v[14:15], v21, off
	s_wait_xcnt 0x0
	s_or_b32 exec_lo, exec_lo, s5
	s_and_saveexec_b32 s2, s3
	s_cbranch_execz .LBB39_14
.LBB39_18:                              ;   in Loop: Header=BB39_4 Depth=1
	v_bfe_u32 v21, v20, 16, 1
	v_cmp_o_f32_e32 vcc_lo, v20, v20
	s_delay_alu instid0(VALU_DEP_2) | instskip(NEXT) | instid1(VALU_DEP_1)
	v_add3_u32 v21, v20, v21, 0x7fff
	v_lshrrev_b32_e32 v21, 16, v21
	s_delay_alu instid0(VALU_DEP_1)
	v_cndmask_b32_e32 v20, 0x7fc0, v21, vcc_lo
	global_store_b16 v[16:17], v20, off
	s_wait_xcnt 0x0
	s_or_b32 exec_lo, exec_lo, s2
	s_and_saveexec_b32 s2, s4
	s_cbranch_execz .LBB39_3
.LBB39_19:                              ;   in Loop: Header=BB39_4 Depth=1
	v_bfe_u32 v16, v23, 16, 1
	v_cmp_o_f32_e32 vcc_lo, v23, v23
	s_delay_alu instid0(VALU_DEP_2) | instskip(NEXT) | instid1(VALU_DEP_1)
	v_add3_u32 v16, v23, v16, 0x7fff
	v_lshrrev_b32_e32 v16, 16, v16
	s_delay_alu instid0(VALU_DEP_1)
	v_cndmask_b32_e32 v16, 0x7fc0, v16, vcc_lo
	global_store_b16 v[18:19], v16, off
	s_branch .LBB39_3
.LBB39_20:
	s_cbranch_execz .LBB39_22
	s_branch .LBB39_25
.LBB39_21:
.LBB39_22:
	v_min_i64 v[2:3], 0x10000, s[10:11]
	v_dual_mov_b32 v5, 0 :: v_dual_lshlrev_b32 v4, 2, v0
	s_mov_b32 s2, exec_lo
	s_delay_alu instid0(VALU_DEP_1)
	v_cmpx_lt_i64_e64 v[4:5], v[2:3]
	s_cbranch_execz .LBB39_25
; %bb.23:
	s_load_b32 s2, s[0:1], 0xd3c
	v_dual_mov_b32 v1, v5 :: v_dual_lshlrev_b32 v4, 3, v0
	s_wait_xcnt 0x0
	s_add_nc_u64 s[0:1], s[6:7], s[8:9]
	s_delay_alu instid0(VALU_DEP_1) | instid1(SALU_CYCLE_1)
	v_add_nc_u64_e32 v[4:5], s[0:1], v[4:5]
	s_mov_b32 s1, 0
	s_delay_alu instid0(SALU_CYCLE_1) | instskip(SKIP_3) | instid1(SALU_CYCLE_1)
	s_mov_b32 s3, s1
	s_mov_b32 s4, s1
	s_wait_kmcnt 0x0
	s_and_b32 s0, s2, 0xffff
	s_lshl_b32 s2, s0, 3
.LBB39_24:                              ; =>This Inner Loop Header: Depth=1
	global_load_b64 v[6:7], v[4:5], off
	v_add_nc_u64_e32 v[0:1], s[0:1], v[0:1]
	s_wait_loadcnt 0x0
	v_and_b32_e32 v9, 0xffff0000, v6
	v_alignbit_b32 v8, v7, v6, 16
	v_lshlrev_b32_e32 v6, 16, v6
	v_and_b32_e32 v7, 0xffff0000, v7
	s_delay_alu instid0(VALU_DEP_4) | instskip(NEXT) | instid1(VALU_DEP_4)
	v_ceil_f32_e32 v9, v9
	v_and_b32_e32 v8, 0xffff0000, v8
	s_delay_alu instid0(VALU_DEP_4) | instskip(NEXT) | instid1(VALU_DEP_4)
	v_ceil_f32_e32 v6, v6
	v_ceil_f32_e32 v7, v7
	s_delay_alu instid0(VALU_DEP_4) | instskip(NEXT) | instid1(VALU_DEP_4)
	v_bfe_u32 v10, v9, 16, 1
	v_ceil_f32_e32 v8, v8
	s_delay_alu instid0(VALU_DEP_4) | instskip(NEXT) | instid1(VALU_DEP_4)
	v_bfe_u32 v11, v6, 16, 1
	v_bfe_u32 v12, v7, 16, 1
	v_cmp_o_f32_e32 vcc_lo, v9, v9
	v_add3_u32 v10, v9, v10, 0x7fff
	v_bfe_u32 v13, v8, 16, 1
	v_add3_u32 v11, v6, v11, 0x7fff
	v_add3_u32 v12, v7, v12, 0x7fff
	s_delay_alu instid0(VALU_DEP_4) | instskip(NEXT) | instid1(VALU_DEP_4)
	v_and_b32_e32 v10, 0xffff0000, v10
	v_add3_u32 v13, v8, v13, 0x7fff
	s_delay_alu instid0(VALU_DEP_4) | instskip(NEXT) | instid1(VALU_DEP_4)
	v_lshrrev_b32_e32 v11, 16, v11
	v_and_b32_e32 v12, 0xffff0000, v12
	s_delay_alu instid0(VALU_DEP_4) | instskip(SKIP_1) | instid1(VALU_DEP_4)
	v_cndmask_b32_e32 v9, 0x7fc00000, v10, vcc_lo
	v_cmp_o_f32_e32 vcc_lo, v6, v6
	v_dual_cndmask_b32 v6, 0x7fc0, v11 :: v_dual_lshrrev_b32 v13, 16, v13
	v_cmp_o_f32_e32 vcc_lo, v7, v7
	s_delay_alu instid0(VALU_DEP_2) | instskip(SKIP_4) | instid1(VALU_DEP_2)
	v_or_b32_e32 v11, v6, v9
	v_cndmask_b32_e32 v10, 0x7fc00000, v12, vcc_lo
	v_cmp_o_f32_e32 vcc_lo, v8, v8
	v_lshlrev_b64_e32 v[6:7], 2, v[0:1]
	v_cndmask_b32_e32 v8, 0x7fc0, v13, vcc_lo
	v_cmp_ge_i64_e32 vcc_lo, v[6:7], v[2:3]
	s_delay_alu instid0(VALU_DEP_2)
	v_or3_b32 v9, 0, v8, v10
	v_or3_b32 v8, v11, 0, 0
	s_or_b32 s4, vcc_lo, s4
	global_store_b64 v[4:5], v[8:9], off
	s_wait_xcnt 0x0
	v_add_nc_u64_e32 v[4:5], s[2:3], v[4:5]
	s_and_not1_b32 exec_lo, exec_lo, s4
	s_cbranch_execnz .LBB39_24
.LBB39_25:
	s_endpgm
	.section	.rodata,"a",@progbits
	.p2align	6, 0x0
	.amdhsa_kernel _ZN2at6native12_GLOBAL__N_125multi_tensor_apply_kernelINS1_18TensorListMetadataILi1EEENS1_14UnaryOpFunctorIN3c108BFloat16ELi1ELi1ELi0EEEJNS0_4CeilIfEEEEEvT_T0_DpT1_
		.amdhsa_group_segment_fixed_size 0
		.amdhsa_private_segment_fixed_size 0
		.amdhsa_kernarg_size 3632
		.amdhsa_user_sgpr_count 2
		.amdhsa_user_sgpr_dispatch_ptr 0
		.amdhsa_user_sgpr_queue_ptr 0
		.amdhsa_user_sgpr_kernarg_segment_ptr 1
		.amdhsa_user_sgpr_dispatch_id 0
		.amdhsa_user_sgpr_kernarg_preload_length 0
		.amdhsa_user_sgpr_kernarg_preload_offset 0
		.amdhsa_user_sgpr_private_segment_size 0
		.amdhsa_wavefront_size32 1
		.amdhsa_uses_dynamic_stack 0
		.amdhsa_enable_private_segment 0
		.amdhsa_system_sgpr_workgroup_id_x 1
		.amdhsa_system_sgpr_workgroup_id_y 0
		.amdhsa_system_sgpr_workgroup_id_z 0
		.amdhsa_system_sgpr_workgroup_info 0
		.amdhsa_system_vgpr_workitem_id 0
		.amdhsa_next_free_vgpr 25
		.amdhsa_next_free_sgpr 20
		.amdhsa_named_barrier_count 0
		.amdhsa_reserve_vcc 1
		.amdhsa_float_round_mode_32 0
		.amdhsa_float_round_mode_16_64 0
		.amdhsa_float_denorm_mode_32 3
		.amdhsa_float_denorm_mode_16_64 3
		.amdhsa_fp16_overflow 0
		.amdhsa_memory_ordered 1
		.amdhsa_forward_progress 1
		.amdhsa_inst_pref_size 11
		.amdhsa_round_robin_scheduling 0
		.amdhsa_exception_fp_ieee_invalid_op 0
		.amdhsa_exception_fp_denorm_src 0
		.amdhsa_exception_fp_ieee_div_zero 0
		.amdhsa_exception_fp_ieee_overflow 0
		.amdhsa_exception_fp_ieee_underflow 0
		.amdhsa_exception_fp_ieee_inexact 0
		.amdhsa_exception_int_div_zero 0
	.end_amdhsa_kernel
	.section	.text._ZN2at6native12_GLOBAL__N_125multi_tensor_apply_kernelINS1_18TensorListMetadataILi1EEENS1_14UnaryOpFunctorIN3c108BFloat16ELi1ELi1ELi0EEEJNS0_4CeilIfEEEEEvT_T0_DpT1_,"axG",@progbits,_ZN2at6native12_GLOBAL__N_125multi_tensor_apply_kernelINS1_18TensorListMetadataILi1EEENS1_14UnaryOpFunctorIN3c108BFloat16ELi1ELi1ELi0EEEJNS0_4CeilIfEEEEEvT_T0_DpT1_,comdat
.Lfunc_end39:
	.size	_ZN2at6native12_GLOBAL__N_125multi_tensor_apply_kernelINS1_18TensorListMetadataILi1EEENS1_14UnaryOpFunctorIN3c108BFloat16ELi1ELi1ELi0EEEJNS0_4CeilIfEEEEEvT_T0_DpT1_, .Lfunc_end39-_ZN2at6native12_GLOBAL__N_125multi_tensor_apply_kernelINS1_18TensorListMetadataILi1EEENS1_14UnaryOpFunctorIN3c108BFloat16ELi1ELi1ELi0EEEJNS0_4CeilIfEEEEEvT_T0_DpT1_
                                        ; -- End function
	.set _ZN2at6native12_GLOBAL__N_125multi_tensor_apply_kernelINS1_18TensorListMetadataILi1EEENS1_14UnaryOpFunctorIN3c108BFloat16ELi1ELi1ELi0EEEJNS0_4CeilIfEEEEEvT_T0_DpT1_.num_vgpr, 25
	.set _ZN2at6native12_GLOBAL__N_125multi_tensor_apply_kernelINS1_18TensorListMetadataILi1EEENS1_14UnaryOpFunctorIN3c108BFloat16ELi1ELi1ELi0EEEJNS0_4CeilIfEEEEEvT_T0_DpT1_.num_agpr, 0
	.set _ZN2at6native12_GLOBAL__N_125multi_tensor_apply_kernelINS1_18TensorListMetadataILi1EEENS1_14UnaryOpFunctorIN3c108BFloat16ELi1ELi1ELi0EEEJNS0_4CeilIfEEEEEvT_T0_DpT1_.numbered_sgpr, 20
	.set _ZN2at6native12_GLOBAL__N_125multi_tensor_apply_kernelINS1_18TensorListMetadataILi1EEENS1_14UnaryOpFunctorIN3c108BFloat16ELi1ELi1ELi0EEEJNS0_4CeilIfEEEEEvT_T0_DpT1_.num_named_barrier, 0
	.set _ZN2at6native12_GLOBAL__N_125multi_tensor_apply_kernelINS1_18TensorListMetadataILi1EEENS1_14UnaryOpFunctorIN3c108BFloat16ELi1ELi1ELi0EEEJNS0_4CeilIfEEEEEvT_T0_DpT1_.private_seg_size, 0
	.set _ZN2at6native12_GLOBAL__N_125multi_tensor_apply_kernelINS1_18TensorListMetadataILi1EEENS1_14UnaryOpFunctorIN3c108BFloat16ELi1ELi1ELi0EEEJNS0_4CeilIfEEEEEvT_T0_DpT1_.uses_vcc, 1
	.set _ZN2at6native12_GLOBAL__N_125multi_tensor_apply_kernelINS1_18TensorListMetadataILi1EEENS1_14UnaryOpFunctorIN3c108BFloat16ELi1ELi1ELi0EEEJNS0_4CeilIfEEEEEvT_T0_DpT1_.uses_flat_scratch, 0
	.set _ZN2at6native12_GLOBAL__N_125multi_tensor_apply_kernelINS1_18TensorListMetadataILi1EEENS1_14UnaryOpFunctorIN3c108BFloat16ELi1ELi1ELi0EEEJNS0_4CeilIfEEEEEvT_T0_DpT1_.has_dyn_sized_stack, 0
	.set _ZN2at6native12_GLOBAL__N_125multi_tensor_apply_kernelINS1_18TensorListMetadataILi1EEENS1_14UnaryOpFunctorIN3c108BFloat16ELi1ELi1ELi0EEEJNS0_4CeilIfEEEEEvT_T0_DpT1_.has_recursion, 0
	.set _ZN2at6native12_GLOBAL__N_125multi_tensor_apply_kernelINS1_18TensorListMetadataILi1EEENS1_14UnaryOpFunctorIN3c108BFloat16ELi1ELi1ELi0EEEJNS0_4CeilIfEEEEEvT_T0_DpT1_.has_indirect_call, 0
	.section	.AMDGPU.csdata,"",@progbits
; Kernel info:
; codeLenInByte = 1364
; TotalNumSgprs: 22
; NumVgprs: 25
; ScratchSize: 0
; MemoryBound: 0
; FloatMode: 240
; IeeeMode: 1
; LDSByteSize: 0 bytes/workgroup (compile time only)
; SGPRBlocks: 0
; VGPRBlocks: 1
; NumSGPRsForWavesPerEU: 22
; NumVGPRsForWavesPerEU: 25
; NamedBarCnt: 0
; Occupancy: 16
; WaveLimiterHint : 0
; COMPUTE_PGM_RSRC2:SCRATCH_EN: 0
; COMPUTE_PGM_RSRC2:USER_SGPR: 2
; COMPUTE_PGM_RSRC2:TRAP_HANDLER: 0
; COMPUTE_PGM_RSRC2:TGID_X_EN: 1
; COMPUTE_PGM_RSRC2:TGID_Y_EN: 0
; COMPUTE_PGM_RSRC2:TGID_Z_EN: 0
; COMPUTE_PGM_RSRC2:TIDIG_COMP_CNT: 0
	.section	.text._ZN2at6native12_GLOBAL__N_125multi_tensor_apply_kernelINS1_18TensorListMetadataILi2EEENS1_14UnaryOpFunctorIdLi2ELi1ELi1EEEJNS0_4AcosIdEEEEEvT_T0_DpT1_,"axG",@progbits,_ZN2at6native12_GLOBAL__N_125multi_tensor_apply_kernelINS1_18TensorListMetadataILi2EEENS1_14UnaryOpFunctorIdLi2ELi1ELi1EEEJNS0_4AcosIdEEEEEvT_T0_DpT1_,comdat
	.globl	_ZN2at6native12_GLOBAL__N_125multi_tensor_apply_kernelINS1_18TensorListMetadataILi2EEENS1_14UnaryOpFunctorIdLi2ELi1ELi1EEEJNS0_4AcosIdEEEEEvT_T0_DpT1_ ; -- Begin function _ZN2at6native12_GLOBAL__N_125multi_tensor_apply_kernelINS1_18TensorListMetadataILi2EEENS1_14UnaryOpFunctorIdLi2ELi1ELi1EEEJNS0_4AcosIdEEEEEvT_T0_DpT1_
	.p2align	8
	.type	_ZN2at6native12_GLOBAL__N_125multi_tensor_apply_kernelINS1_18TensorListMetadataILi2EEENS1_14UnaryOpFunctorIdLi2ELi1ELi1EEEJNS0_4AcosIdEEEEEvT_T0_DpT1_,@function
_ZN2at6native12_GLOBAL__N_125multi_tensor_apply_kernelINS1_18TensorListMetadataILi2EEENS1_14UnaryOpFunctorIdLi2ELi1ELi1EEEJNS0_4AcosIdEEEEEvT_T0_DpT1_: ; @_ZN2at6native12_GLOBAL__N_125multi_tensor_apply_kernelINS1_18TensorListMetadataILi2EEENS1_14UnaryOpFunctorIdLi2ELi1ELi1EEEJNS0_4AcosIdEEEEEvT_T0_DpT1_
; %bb.0:
	s_bfe_u32 s2, ttmp6, 0x4000c
	s_and_b32 s3, ttmp6, 15
	s_add_co_i32 s2, s2, 1
	s_getreg_b32 s4, hwreg(HW_REG_IB_STS2, 6, 4)
	s_mul_i32 s2, ttmp9, s2
	s_mov_b32 s9, 0
	s_add_co_i32 s3, s3, s2
	s_cmp_eq_u32 s4, 0
	s_mov_b32 s15, s9
	s_cselect_b32 s8, ttmp9, s3
	s_load_u8 s11, s[0:1], s8 offset:0x600
	s_add_nc_u64 s[2:3], s[0:1], s[8:9]
	s_mul_u64 s[4:5], s[8:9], 3
	s_delay_alu instid0(SALU_CYCLE_1)
	s_add_nc_u64 s[4:5], s[2:3], s[4:5]
	s_load_b32 s10, s[4:5], 0x740
	s_wait_kmcnt 0x0
	s_clause 0x2
	s_load_b64 s[2:3], s[0:1], s11 offset:0x0 scale_offset
	s_load_b64 s[6:7], s[0:1], s11 offset:0x200 scale_offset
	;; [unrolled: 1-line block ×3, first 2 shown]
	s_wait_xcnt 0x0
	s_ashr_i32 s11, s10, 31
	s_delay_alu instid0(SALU_CYCLE_1)
	s_lshl_b64 s[4:5], s[10:11], 19
	s_wait_kmcnt 0x0
	s_and_b64 s[18:19], s[6:7], 31
	s_add_nc_u64 s[16:17], s[2:3], s[4:5]
	s_and_b32 s14, s12, 3
	s_and_b32 s8, s16, 31
	s_or_b64 s[14:15], s[18:19], s[14:15]
	s_lshl_b64 s[10:11], s[10:11], 16
	s_or_b64 s[14:15], s[14:15], s[8:9]
	s_sub_nc_u64 s[8:9], s[12:13], s[10:11]
	s_cmp_eq_u64 s[14:15], 0
	s_mov_b32 s10, -1
	s_cbranch_scc0 .LBB40_13
; %bb.1:
	v_min_i64 v[14:15], 0x10000, s[8:9]
	v_dual_mov_b32 v3, 0 :: v_dual_lshlrev_b32 v2, 2, v0
	s_mov_b32 s20, exec_lo
	s_delay_alu instid0(VALU_DEP_1)
	v_cmpx_lt_i64_e64 v[2:3], v[14:15]
	s_cbranch_execz .LBB40_12
; %bb.2:
	s_load_b32 s10, s[0:1], 0xc5c
	v_dual_mov_b32 v1, v3 :: v_dual_lshlrev_b32 v2, 5, v0
	v_mov_b64_e32 v[16:17], 0xbf90a5a378a05eaf
	s_mov_b32 s11, 0
	s_mov_b64 s[12:13], 0x3ffaf154eeb562d6
	s_delay_alu instid0(VALU_DEP_2)
	v_mov_b64_e32 v[20:21], v[0:1]
	v_add_nc_u64_e32 v[18:19], s[4:5], v[2:3]
	s_mov_b64 s[14:15], 0x3fedd9ad336a0500
	s_mov_b64 s[16:17], 0x3ffdd9ad336a0500
	s_mov_b32 s19, s11
	s_mov_b32 s21, s11
                                        ; implicit-def: $vgpr2_vgpr3
                                        ; implicit-def: $vgpr2_vgpr3
	;; [unrolled: 1-line block ×10, first 2 shown]
	s_wait_kmcnt 0x0
	s_and_b32 s10, s10, 0xffff
	s_delay_alu instid0(SALU_CYCLE_1)
	s_lshl_b32 s18, s10, 5
	s_branch .LBB40_4
.LBB40_3:                               ;   in Loop: Header=BB40_4 Depth=1
	s_or_b32 exec_lo, exec_lo, s22
	v_add_nc_u64_e32 v[20:21], s[10:11], v[20:21]
	s_delay_alu instid0(VALU_DEP_1) | instskip(NEXT) | instid1(VALU_DEP_1)
	v_lshlrev_b64_e32 v[2:3], 2, v[20:21]
	v_cmp_ge_i64_e32 vcc_lo, v[2:3], v[14:15]
	v_add_nc_u64_e32 v[2:3], s[6:7], v[18:19]
	v_add_nc_u64_e32 v[18:19], s[18:19], v[18:19]
	s_clause 0x1
	global_store_b128 v[2:3], v[6:9], off
	global_store_b128 v[2:3], v[10:13], off offset:16
	s_or_b32 s21, vcc_lo, s21
	s_wait_xcnt 0x0
	s_and_not1_b32 exec_lo, exec_lo, s21
	s_cbranch_execz .LBB40_12
.LBB40_4:                               ; =>This Inner Loop Header: Depth=1
	v_add_nc_u64_e32 v[6:7], s[2:3], v[18:19]
	s_clause 0x1
	global_load_b128 v[8:11], v[6:7], off
	global_load_b128 v[2:5], v[6:7], off offset:16
	s_wait_loadcnt 0x1
	v_fma_f64 v[22:23], |v[8:9]|, -0.5, 0.5
	s_wait_xcnt 0x0
	v_mul_f64_e32 v[6:7], v[8:9], v[8:9]
	v_cmp_ge_f64_e64 vcc_lo, |v[8:9]|, 0.5
	s_delay_alu instid0(VALU_DEP_2) | instskip(NEXT) | instid1(VALU_DEP_1)
	v_dual_cndmask_b32 v7, v7, v23 :: v_dual_cndmask_b32 v6, v6, v22
	v_fmamk_f64 v[12:13], v[6:7], 0x3fa059859fea6a70, v[16:17]
	s_delay_alu instid0(VALU_DEP_1) | instskip(NEXT) | instid1(VALU_DEP_1)
	v_fmaak_f64 v[12:13], v[6:7], v[12:13], 0x3f94052137024d6a
	v_fmaak_f64 v[12:13], v[6:7], v[12:13], 0x3f7ab3a098a70509
	s_delay_alu instid0(VALU_DEP_1) | instskip(NEXT) | instid1(VALU_DEP_1)
	v_fmaak_f64 v[12:13], v[6:7], v[12:13], 0x3f88ed60a300c8d2
	v_fmaak_f64 v[12:13], v[6:7], v[12:13], 0x3f8c6fa84b77012b
	;; [unrolled: 3-line block ×5, first 2 shown]
	s_delay_alu instid0(VALU_DEP_1) | instskip(NEXT) | instid1(VALU_DEP_1)
	v_mul_f64_e32 v[12:13], v[6:7], v[12:13]
	v_fma_f64 v[6:7], v[8:9], v[12:13], v[8:9]
	s_delay_alu instid0(VALU_DEP_1)
	v_fma_f64 v[6:7], s[14:15], s[12:13], -v[6:7]
	s_and_saveexec_b32 s22, vcc_lo
	s_cbranch_execz .LBB40_6
; %bb.5:                                ;   in Loop: Header=BB40_4 Depth=1
	v_rsq_f64_e32 v[6:7], v[22:23]
	v_cmp_eq_f64_e32 vcc_lo, 0, v[22:23]
	s_delay_alu instid0(TRANS32_DEP_1) | instskip(SKIP_1) | instid1(VALU_DEP_1)
	v_mul_f64_e32 v[24:25], v[22:23], v[6:7]
	v_mul_f64_e32 v[6:7], 0.5, v[6:7]
	v_fma_f64 v[26:27], -v[6:7], v[24:25], 0.5
	s_delay_alu instid0(VALU_DEP_1) | instskip(SKIP_1) | instid1(VALU_DEP_2)
	v_fmac_f64_e32 v[24:25], v[24:25], v[26:27]
	v_fmac_f64_e32 v[6:7], v[6:7], v[26:27]
	v_fma_f64 v[26:27], -v[24:25], v[24:25], v[22:23]
	s_delay_alu instid0(VALU_DEP_1) | instskip(NEXT) | instid1(VALU_DEP_1)
	v_fmac_f64_e32 v[24:25], v[26:27], v[6:7]
	v_dual_cndmask_b32 v7, v25, v23 :: v_dual_cndmask_b32 v6, v24, v22
	s_delay_alu instid0(VALU_DEP_1) | instskip(SKIP_1) | instid1(VALU_DEP_2)
	v_add_f64_e32 v[24:25], v[6:7], v[6:7]
	v_mul_f64_e32 v[26:27], v[6:7], v[6:7]
	v_rcp_f64_e32 v[28:29], v[24:25]
	s_delay_alu instid0(VALU_DEP_1) | instskip(SKIP_1) | instid1(VALU_DEP_2)
	v_add_f64_e64 v[30:31], v[22:23], -v[26:27]
	v_fma_f64 v[34:35], v[6:7], v[6:7], -v[26:27]
	v_add_f64_e64 v[22:23], v[22:23], -v[30:31]
	s_delay_alu instid0(TRANS32_DEP_1) | instskip(NEXT) | instid1(VALU_DEP_2)
	v_fma_f64 v[32:33], -v[24:25], v[28:29], 1.0
	v_add_f64_e64 v[22:23], v[22:23], -v[26:27]
	s_delay_alu instid0(VALU_DEP_2) | instskip(NEXT) | instid1(VALU_DEP_2)
	v_fmac_f64_e32 v[28:29], v[32:33], v[28:29]
	v_add_f64_e64 v[22:23], v[22:23], -v[34:35]
	s_delay_alu instid0(VALU_DEP_2) | instskip(NEXT) | instid1(VALU_DEP_2)
	v_fma_f64 v[26:27], -v[24:25], v[28:29], 1.0
	v_add_f64_e32 v[22:23], v[30:31], v[22:23]
	s_delay_alu instid0(VALU_DEP_2) | instskip(NEXT) | instid1(VALU_DEP_1)
	v_fmac_f64_e32 v[28:29], v[26:27], v[28:29]
	v_mul_f64_e32 v[26:27], v[22:23], v[28:29]
	s_delay_alu instid0(VALU_DEP_1) | instskip(NEXT) | instid1(VALU_DEP_1)
	v_fma_f64 v[22:23], -v[24:25], v[26:27], v[22:23]
	v_fmac_f64_e32 v[26:27], v[22:23], v[28:29]
	s_delay_alu instid0(VALU_DEP_1) | instskip(NEXT) | instid1(VALU_DEP_2)
	v_cndmask_b32_e64 v23, v27, 0, vcc_lo
	v_cndmask_b32_e64 v22, v26, 0, vcc_lo
	v_cmp_gt_f64_e32 vcc_lo, 0, v[8:9]
	s_delay_alu instid0(VALU_DEP_2) | instskip(NEXT) | instid1(VALU_DEP_1)
	v_add_f64_e32 v[24:25], v[6:7], v[22:23]
	v_add_f64_e64 v[6:7], v[24:25], -v[6:7]
	s_delay_alu instid0(VALU_DEP_1) | instskip(SKIP_1) | instid1(VALU_DEP_2)
	v_add_f64_e64 v[6:7], v[22:23], -v[6:7]
	v_fma_f64 v[22:23], v[24:25], v[12:13], v[24:25]
	v_fmac_f64_e32 v[6:7], v[24:25], v[12:13]
	s_delay_alu instid0(VALU_DEP_2) | instskip(NEXT) | instid1(VALU_DEP_2)
	v_mul_f64_e32 v[12:13], -2.0, v[22:23]
	v_add_f64_e32 v[6:7], v[24:25], v[6:7]
	s_delay_alu instid0(VALU_DEP_2) | instskip(NEXT) | instid1(VALU_DEP_2)
	v_fmac_f64_e64 v[12:13], s[16:17], s[12:13]
	v_add_f64_e32 v[6:7], v[6:7], v[6:7]
	s_delay_alu instid0(VALU_DEP_1) | instskip(SKIP_1) | instid1(VALU_DEP_2)
	v_dual_cndmask_b32 v1, v7, v13 :: v_dual_cndmask_b32 v6, v6, v12
	v_cmp_neq_f64_e32 vcc_lo, -1.0, v[8:9]
	v_cndmask_b32_e32 v6, 0x54442d18, v6, vcc_lo
	s_delay_alu instid0(VALU_DEP_3) | instskip(SKIP_1) | instid1(VALU_DEP_2)
	v_cndmask_b32_e32 v1, 0x400921fb, v1, vcc_lo
	v_cmp_neq_f64_e32 vcc_lo, 1.0, v[8:9]
	v_dual_cndmask_b32 v7, 0, v1 :: v_dual_cndmask_b32 v6, 0, v6
.LBB40_6:                               ;   in Loop: Header=BB40_4 Depth=1
	s_or_b32 exec_lo, exec_lo, s22
	v_fma_f64 v[22:23], |v[10:11]|, -0.5, 0.5
	v_mul_f64_e32 v[8:9], v[10:11], v[10:11]
	v_cmp_ge_f64_e64 vcc_lo, |v[10:11]|, 0.5
	s_delay_alu instid0(VALU_DEP_2) | instskip(NEXT) | instid1(VALU_DEP_1)
	v_dual_cndmask_b32 v9, v9, v23 :: v_dual_cndmask_b32 v8, v8, v22
	v_fmamk_f64 v[12:13], v[8:9], 0x3fa059859fea6a70, v[16:17]
	s_delay_alu instid0(VALU_DEP_1) | instskip(NEXT) | instid1(VALU_DEP_1)
	v_fmaak_f64 v[12:13], v[8:9], v[12:13], 0x3f94052137024d6a
	v_fmaak_f64 v[12:13], v[8:9], v[12:13], 0x3f7ab3a098a70509
	s_delay_alu instid0(VALU_DEP_1) | instskip(NEXT) | instid1(VALU_DEP_1)
	v_fmaak_f64 v[12:13], v[8:9], v[12:13], 0x3f88ed60a300c8d2
	v_fmaak_f64 v[12:13], v[8:9], v[12:13], 0x3f8c6fa84b77012b
	;; [unrolled: 3-line block ×5, first 2 shown]
	s_delay_alu instid0(VALU_DEP_1) | instskip(NEXT) | instid1(VALU_DEP_1)
	v_mul_f64_e32 v[12:13], v[8:9], v[12:13]
	v_fma_f64 v[8:9], v[10:11], v[12:13], v[10:11]
	s_delay_alu instid0(VALU_DEP_1)
	v_fma_f64 v[8:9], s[14:15], s[12:13], -v[8:9]
	s_and_saveexec_b32 s22, vcc_lo
	s_cbranch_execz .LBB40_8
; %bb.7:                                ;   in Loop: Header=BB40_4 Depth=1
	v_rsq_f64_e32 v[8:9], v[22:23]
	v_cmp_eq_f64_e32 vcc_lo, 0, v[22:23]
	s_delay_alu instid0(TRANS32_DEP_1) | instskip(SKIP_1) | instid1(VALU_DEP_1)
	v_mul_f64_e32 v[24:25], v[22:23], v[8:9]
	v_mul_f64_e32 v[8:9], 0.5, v[8:9]
	v_fma_f64 v[26:27], -v[8:9], v[24:25], 0.5
	s_delay_alu instid0(VALU_DEP_1) | instskip(SKIP_1) | instid1(VALU_DEP_2)
	v_fmac_f64_e32 v[24:25], v[24:25], v[26:27]
	v_fmac_f64_e32 v[8:9], v[8:9], v[26:27]
	v_fma_f64 v[26:27], -v[24:25], v[24:25], v[22:23]
	s_delay_alu instid0(VALU_DEP_1) | instskip(NEXT) | instid1(VALU_DEP_1)
	v_fmac_f64_e32 v[24:25], v[26:27], v[8:9]
	v_dual_cndmask_b32 v9, v25, v23 :: v_dual_cndmask_b32 v8, v24, v22
	s_delay_alu instid0(VALU_DEP_1) | instskip(SKIP_1) | instid1(VALU_DEP_2)
	v_add_f64_e32 v[24:25], v[8:9], v[8:9]
	v_mul_f64_e32 v[26:27], v[8:9], v[8:9]
	v_rcp_f64_e32 v[28:29], v[24:25]
	s_delay_alu instid0(VALU_DEP_1) | instskip(SKIP_1) | instid1(VALU_DEP_2)
	v_add_f64_e64 v[30:31], v[22:23], -v[26:27]
	v_fma_f64 v[34:35], v[8:9], v[8:9], -v[26:27]
	v_add_f64_e64 v[22:23], v[22:23], -v[30:31]
	s_delay_alu instid0(TRANS32_DEP_1) | instskip(NEXT) | instid1(VALU_DEP_2)
	v_fma_f64 v[32:33], -v[24:25], v[28:29], 1.0
	v_add_f64_e64 v[22:23], v[22:23], -v[26:27]
	s_delay_alu instid0(VALU_DEP_2) | instskip(NEXT) | instid1(VALU_DEP_2)
	v_fmac_f64_e32 v[28:29], v[32:33], v[28:29]
	v_add_f64_e64 v[22:23], v[22:23], -v[34:35]
	s_delay_alu instid0(VALU_DEP_2) | instskip(NEXT) | instid1(VALU_DEP_2)
	v_fma_f64 v[26:27], -v[24:25], v[28:29], 1.0
	v_add_f64_e32 v[22:23], v[30:31], v[22:23]
	s_delay_alu instid0(VALU_DEP_2) | instskip(NEXT) | instid1(VALU_DEP_1)
	v_fmac_f64_e32 v[28:29], v[26:27], v[28:29]
	v_mul_f64_e32 v[26:27], v[22:23], v[28:29]
	s_delay_alu instid0(VALU_DEP_1) | instskip(NEXT) | instid1(VALU_DEP_1)
	v_fma_f64 v[22:23], -v[24:25], v[26:27], v[22:23]
	v_fmac_f64_e32 v[26:27], v[22:23], v[28:29]
	s_delay_alu instid0(VALU_DEP_1) | instskip(NEXT) | instid1(VALU_DEP_2)
	v_cndmask_b32_e64 v23, v27, 0, vcc_lo
	v_cndmask_b32_e64 v22, v26, 0, vcc_lo
	v_cmp_gt_f64_e32 vcc_lo, 0, v[10:11]
	s_delay_alu instid0(VALU_DEP_2) | instskip(NEXT) | instid1(VALU_DEP_1)
	v_add_f64_e32 v[24:25], v[8:9], v[22:23]
	v_add_f64_e64 v[8:9], v[24:25], -v[8:9]
	s_delay_alu instid0(VALU_DEP_1) | instskip(SKIP_1) | instid1(VALU_DEP_2)
	v_add_f64_e64 v[8:9], v[22:23], -v[8:9]
	v_fma_f64 v[22:23], v[24:25], v[12:13], v[24:25]
	v_fmac_f64_e32 v[8:9], v[24:25], v[12:13]
	s_delay_alu instid0(VALU_DEP_2) | instskip(NEXT) | instid1(VALU_DEP_2)
	v_mul_f64_e32 v[12:13], -2.0, v[22:23]
	v_add_f64_e32 v[8:9], v[24:25], v[8:9]
	s_delay_alu instid0(VALU_DEP_2) | instskip(NEXT) | instid1(VALU_DEP_2)
	v_fmac_f64_e64 v[12:13], s[16:17], s[12:13]
	v_add_f64_e32 v[8:9], v[8:9], v[8:9]
	s_delay_alu instid0(VALU_DEP_1) | instskip(SKIP_1) | instid1(VALU_DEP_2)
	v_dual_cndmask_b32 v1, v9, v13 :: v_dual_cndmask_b32 v8, v8, v12
	v_cmp_neq_f64_e32 vcc_lo, -1.0, v[10:11]
	v_cndmask_b32_e32 v8, 0x54442d18, v8, vcc_lo
	s_delay_alu instid0(VALU_DEP_3) | instskip(SKIP_1) | instid1(VALU_DEP_2)
	v_cndmask_b32_e32 v1, 0x400921fb, v1, vcc_lo
	v_cmp_neq_f64_e32 vcc_lo, 1.0, v[10:11]
	v_dual_cndmask_b32 v9, 0, v1 :: v_dual_cndmask_b32 v8, 0, v8
.LBB40_8:                               ;   in Loop: Header=BB40_4 Depth=1
	s_or_b32 exec_lo, exec_lo, s22
	s_wait_loadcnt 0x0
	v_fma_f64 v[22:23], |v[2:3]|, -0.5, 0.5
	v_mul_f64_e32 v[10:11], v[2:3], v[2:3]
	v_cmp_ge_f64_e64 vcc_lo, |v[2:3]|, 0.5
	s_delay_alu instid0(VALU_DEP_2) | instskip(NEXT) | instid1(VALU_DEP_1)
	v_dual_cndmask_b32 v11, v11, v23 :: v_dual_cndmask_b32 v10, v10, v22
	v_fmamk_f64 v[12:13], v[10:11], 0x3fa059859fea6a70, v[16:17]
	s_delay_alu instid0(VALU_DEP_1) | instskip(NEXT) | instid1(VALU_DEP_1)
	v_fmaak_f64 v[12:13], v[10:11], v[12:13], 0x3f94052137024d6a
	v_fmaak_f64 v[12:13], v[10:11], v[12:13], 0x3f7ab3a098a70509
	s_delay_alu instid0(VALU_DEP_1) | instskip(NEXT) | instid1(VALU_DEP_1)
	v_fmaak_f64 v[12:13], v[10:11], v[12:13], 0x3f88ed60a300c8d2
	v_fmaak_f64 v[12:13], v[10:11], v[12:13], 0x3f8c6fa84b77012b
	;; [unrolled: 3-line block ×5, first 2 shown]
	s_delay_alu instid0(VALU_DEP_1) | instskip(NEXT) | instid1(VALU_DEP_1)
	v_mul_f64_e32 v[12:13], v[10:11], v[12:13]
	v_fma_f64 v[10:11], v[2:3], v[12:13], v[2:3]
	s_delay_alu instid0(VALU_DEP_1)
	v_fma_f64 v[10:11], s[14:15], s[12:13], -v[10:11]
	s_and_saveexec_b32 s22, vcc_lo
	s_cbranch_execz .LBB40_10
; %bb.9:                                ;   in Loop: Header=BB40_4 Depth=1
	v_rsq_f64_e32 v[10:11], v[22:23]
	v_cmp_eq_f64_e32 vcc_lo, 0, v[22:23]
	s_delay_alu instid0(TRANS32_DEP_1) | instskip(SKIP_1) | instid1(VALU_DEP_1)
	v_mul_f64_e32 v[24:25], v[22:23], v[10:11]
	v_mul_f64_e32 v[10:11], 0.5, v[10:11]
	v_fma_f64 v[26:27], -v[10:11], v[24:25], 0.5
	s_delay_alu instid0(VALU_DEP_1) | instskip(SKIP_1) | instid1(VALU_DEP_2)
	v_fmac_f64_e32 v[24:25], v[24:25], v[26:27]
	v_fmac_f64_e32 v[10:11], v[10:11], v[26:27]
	v_fma_f64 v[26:27], -v[24:25], v[24:25], v[22:23]
	s_delay_alu instid0(VALU_DEP_1) | instskip(NEXT) | instid1(VALU_DEP_1)
	v_fmac_f64_e32 v[24:25], v[26:27], v[10:11]
	v_dual_cndmask_b32 v11, v25, v23 :: v_dual_cndmask_b32 v10, v24, v22
	s_delay_alu instid0(VALU_DEP_1) | instskip(SKIP_1) | instid1(VALU_DEP_2)
	v_add_f64_e32 v[24:25], v[10:11], v[10:11]
	v_mul_f64_e32 v[26:27], v[10:11], v[10:11]
	v_rcp_f64_e32 v[28:29], v[24:25]
	s_delay_alu instid0(VALU_DEP_1) | instskip(SKIP_1) | instid1(VALU_DEP_2)
	v_add_f64_e64 v[30:31], v[22:23], -v[26:27]
	v_fma_f64 v[34:35], v[10:11], v[10:11], -v[26:27]
	v_add_f64_e64 v[22:23], v[22:23], -v[30:31]
	s_delay_alu instid0(TRANS32_DEP_1) | instskip(NEXT) | instid1(VALU_DEP_2)
	v_fma_f64 v[32:33], -v[24:25], v[28:29], 1.0
	v_add_f64_e64 v[22:23], v[22:23], -v[26:27]
	s_delay_alu instid0(VALU_DEP_2) | instskip(NEXT) | instid1(VALU_DEP_2)
	v_fmac_f64_e32 v[28:29], v[32:33], v[28:29]
	v_add_f64_e64 v[22:23], v[22:23], -v[34:35]
	s_delay_alu instid0(VALU_DEP_2) | instskip(NEXT) | instid1(VALU_DEP_2)
	v_fma_f64 v[26:27], -v[24:25], v[28:29], 1.0
	v_add_f64_e32 v[22:23], v[30:31], v[22:23]
	s_delay_alu instid0(VALU_DEP_2) | instskip(NEXT) | instid1(VALU_DEP_1)
	v_fmac_f64_e32 v[28:29], v[26:27], v[28:29]
	v_mul_f64_e32 v[26:27], v[22:23], v[28:29]
	s_delay_alu instid0(VALU_DEP_1) | instskip(NEXT) | instid1(VALU_DEP_1)
	v_fma_f64 v[22:23], -v[24:25], v[26:27], v[22:23]
	v_fmac_f64_e32 v[26:27], v[22:23], v[28:29]
	s_delay_alu instid0(VALU_DEP_1) | instskip(NEXT) | instid1(VALU_DEP_2)
	v_cndmask_b32_e64 v23, v27, 0, vcc_lo
	v_cndmask_b32_e64 v22, v26, 0, vcc_lo
	v_cmp_gt_f64_e32 vcc_lo, 0, v[2:3]
	s_delay_alu instid0(VALU_DEP_2) | instskip(NEXT) | instid1(VALU_DEP_1)
	v_add_f64_e32 v[24:25], v[10:11], v[22:23]
	v_add_f64_e64 v[10:11], v[24:25], -v[10:11]
	s_delay_alu instid0(VALU_DEP_1) | instskip(SKIP_1) | instid1(VALU_DEP_2)
	v_add_f64_e64 v[10:11], v[22:23], -v[10:11]
	v_fma_f64 v[22:23], v[24:25], v[12:13], v[24:25]
	v_fmac_f64_e32 v[10:11], v[24:25], v[12:13]
	s_delay_alu instid0(VALU_DEP_2) | instskip(NEXT) | instid1(VALU_DEP_2)
	v_mul_f64_e32 v[12:13], -2.0, v[22:23]
	v_add_f64_e32 v[10:11], v[24:25], v[10:11]
	s_delay_alu instid0(VALU_DEP_2) | instskip(NEXT) | instid1(VALU_DEP_2)
	v_fmac_f64_e64 v[12:13], s[16:17], s[12:13]
	v_add_f64_e32 v[10:11], v[10:11], v[10:11]
	s_delay_alu instid0(VALU_DEP_1) | instskip(SKIP_1) | instid1(VALU_DEP_2)
	v_dual_cndmask_b32 v1, v11, v13 :: v_dual_cndmask_b32 v10, v10, v12
	v_cmp_neq_f64_e32 vcc_lo, -1.0, v[2:3]
	v_cndmask_b32_e32 v10, 0x54442d18, v10, vcc_lo
	s_delay_alu instid0(VALU_DEP_3) | instskip(SKIP_1) | instid1(VALU_DEP_2)
	v_cndmask_b32_e32 v1, 0x400921fb, v1, vcc_lo
	v_cmp_neq_f64_e32 vcc_lo, 1.0, v[2:3]
	v_dual_cndmask_b32 v11, 0, v1 :: v_dual_cndmask_b32 v10, 0, v10
.LBB40_10:                              ;   in Loop: Header=BB40_4 Depth=1
	s_or_b32 exec_lo, exec_lo, s22
	v_fma_f64 v[22:23], |v[4:5]|, -0.5, 0.5
	v_mul_f64_e32 v[2:3], v[4:5], v[4:5]
	v_cmp_ge_f64_e64 vcc_lo, |v[4:5]|, 0.5
	s_delay_alu instid0(VALU_DEP_2) | instskip(NEXT) | instid1(VALU_DEP_1)
	v_dual_cndmask_b32 v3, v3, v23 :: v_dual_cndmask_b32 v2, v2, v22
	v_fmamk_f64 v[12:13], v[2:3], 0x3fa059859fea6a70, v[16:17]
	s_delay_alu instid0(VALU_DEP_1) | instskip(NEXT) | instid1(VALU_DEP_1)
	v_fmaak_f64 v[12:13], v[2:3], v[12:13], 0x3f94052137024d6a
	v_fmaak_f64 v[12:13], v[2:3], v[12:13], 0x3f7ab3a098a70509
	s_delay_alu instid0(VALU_DEP_1) | instskip(NEXT) | instid1(VALU_DEP_1)
	v_fmaak_f64 v[12:13], v[2:3], v[12:13], 0x3f88ed60a300c8d2
	v_fmaak_f64 v[12:13], v[2:3], v[12:13], 0x3f8c6fa84b77012b
	;; [unrolled: 3-line block ×5, first 2 shown]
	s_delay_alu instid0(VALU_DEP_1) | instskip(NEXT) | instid1(VALU_DEP_1)
	v_mul_f64_e32 v[2:3], v[2:3], v[12:13]
	v_fma_f64 v[12:13], v[4:5], v[2:3], v[4:5]
	s_delay_alu instid0(VALU_DEP_1)
	v_fma_f64 v[12:13], s[14:15], s[12:13], -v[12:13]
	s_and_saveexec_b32 s22, vcc_lo
	s_cbranch_execz .LBB40_3
; %bb.11:                               ;   in Loop: Header=BB40_4 Depth=1
	v_rsq_f64_e32 v[12:13], v[22:23]
	v_cmp_eq_f64_e32 vcc_lo, 0, v[22:23]
	s_delay_alu instid0(TRANS32_DEP_1) | instskip(SKIP_1) | instid1(VALU_DEP_1)
	v_mul_f64_e32 v[24:25], v[22:23], v[12:13]
	v_mul_f64_e32 v[12:13], 0.5, v[12:13]
	v_fma_f64 v[26:27], -v[12:13], v[24:25], 0.5
	s_delay_alu instid0(VALU_DEP_1) | instskip(SKIP_1) | instid1(VALU_DEP_2)
	v_fmac_f64_e32 v[24:25], v[24:25], v[26:27]
	v_fmac_f64_e32 v[12:13], v[12:13], v[26:27]
	v_fma_f64 v[26:27], -v[24:25], v[24:25], v[22:23]
	s_delay_alu instid0(VALU_DEP_1) | instskip(NEXT) | instid1(VALU_DEP_1)
	v_fmac_f64_e32 v[24:25], v[26:27], v[12:13]
	v_dual_cndmask_b32 v13, v25, v23 :: v_dual_cndmask_b32 v12, v24, v22
	s_delay_alu instid0(VALU_DEP_1) | instskip(SKIP_1) | instid1(VALU_DEP_2)
	v_add_f64_e32 v[24:25], v[12:13], v[12:13]
	v_mul_f64_e32 v[26:27], v[12:13], v[12:13]
	v_rcp_f64_e32 v[28:29], v[24:25]
	s_delay_alu instid0(VALU_DEP_1) | instskip(SKIP_1) | instid1(VALU_DEP_2)
	v_add_f64_e64 v[30:31], v[22:23], -v[26:27]
	v_fma_f64 v[34:35], v[12:13], v[12:13], -v[26:27]
	v_add_f64_e64 v[22:23], v[22:23], -v[30:31]
	s_delay_alu instid0(TRANS32_DEP_1) | instskip(NEXT) | instid1(VALU_DEP_2)
	v_fma_f64 v[32:33], -v[24:25], v[28:29], 1.0
	v_add_f64_e64 v[22:23], v[22:23], -v[26:27]
	s_delay_alu instid0(VALU_DEP_2) | instskip(NEXT) | instid1(VALU_DEP_2)
	v_fmac_f64_e32 v[28:29], v[32:33], v[28:29]
	v_add_f64_e64 v[22:23], v[22:23], -v[34:35]
	s_delay_alu instid0(VALU_DEP_2) | instskip(NEXT) | instid1(VALU_DEP_2)
	v_fma_f64 v[26:27], -v[24:25], v[28:29], 1.0
	v_add_f64_e32 v[22:23], v[30:31], v[22:23]
	s_delay_alu instid0(VALU_DEP_2) | instskip(NEXT) | instid1(VALU_DEP_1)
	v_fmac_f64_e32 v[28:29], v[26:27], v[28:29]
	v_mul_f64_e32 v[26:27], v[22:23], v[28:29]
	s_delay_alu instid0(VALU_DEP_1) | instskip(NEXT) | instid1(VALU_DEP_1)
	v_fma_f64 v[22:23], -v[24:25], v[26:27], v[22:23]
	v_fmac_f64_e32 v[26:27], v[22:23], v[28:29]
	s_delay_alu instid0(VALU_DEP_1) | instskip(NEXT) | instid1(VALU_DEP_2)
	v_cndmask_b32_e64 v23, v27, 0, vcc_lo
	v_cndmask_b32_e64 v22, v26, 0, vcc_lo
	v_cmp_gt_f64_e32 vcc_lo, 0, v[4:5]
	s_delay_alu instid0(VALU_DEP_2) | instskip(NEXT) | instid1(VALU_DEP_1)
	v_add_f64_e32 v[24:25], v[12:13], v[22:23]
	v_add_f64_e64 v[12:13], v[24:25], -v[12:13]
	s_delay_alu instid0(VALU_DEP_1) | instskip(SKIP_1) | instid1(VALU_DEP_2)
	v_add_f64_e64 v[12:13], v[22:23], -v[12:13]
	v_fma_f64 v[22:23], v[24:25], v[2:3], v[24:25]
	v_fmac_f64_e32 v[12:13], v[24:25], v[2:3]
	s_delay_alu instid0(VALU_DEP_2) | instskip(NEXT) | instid1(VALU_DEP_2)
	v_mul_f64_e32 v[2:3], -2.0, v[22:23]
	v_add_f64_e32 v[12:13], v[24:25], v[12:13]
	s_delay_alu instid0(VALU_DEP_2) | instskip(NEXT) | instid1(VALU_DEP_2)
	v_fmac_f64_e64 v[2:3], s[16:17], s[12:13]
	v_add_f64_e32 v[12:13], v[12:13], v[12:13]
	s_delay_alu instid0(VALU_DEP_1) | instskip(SKIP_1) | instid1(VALU_DEP_2)
	v_dual_cndmask_b32 v1, v13, v3 :: v_dual_cndmask_b32 v2, v12, v2
	v_cmp_neq_f64_e32 vcc_lo, -1.0, v[4:5]
	v_cndmask_b32_e32 v2, 0x54442d18, v2, vcc_lo
	s_delay_alu instid0(VALU_DEP_3) | instskip(SKIP_1) | instid1(VALU_DEP_2)
	v_cndmask_b32_e32 v1, 0x400921fb, v1, vcc_lo
	v_cmp_neq_f64_e32 vcc_lo, 1.0, v[4:5]
	v_dual_cndmask_b32 v13, 0, v1 :: v_dual_cndmask_b32 v12, 0, v2
	s_branch .LBB40_3
.LBB40_12:
	s_or_b32 exec_lo, exec_lo, s20
	s_mov_b32 s10, 0
.LBB40_13:
	s_delay_alu instid0(SALU_CYCLE_1)
	s_and_not1_b32 vcc_lo, exec_lo, s10
	s_cbranch_vccnz .LBB40_41
; %bb.14:
	v_cmp_lt_i64_e64 s10, s[8:9], 1
	s_and_b32 vcc_lo, exec_lo, s10
	s_cbranch_vccnz .LBB40_41
; %bb.15:
	s_load_b32 s0, s[0:1], 0xc5c
	v_min_i64 v[2:3], 0x10000, s[8:9]
	v_min_u64 v[4:5], 0x10000, s[8:9]
	v_dual_mov_b32 v1, 0 :: v_dual_lshlrev_b32 v12, 3, v0
	s_mov_b32 s15, 0
	v_mov_b64_e32 v[6:7], 0xbf90a5a378a05eaf
	s_mov_b32 s17, s15
	s_delay_alu instid0(VALU_DEP_2)
	v_dual_mov_b32 v13, v1 :: v_dual_mov_b32 v29, v1
	s_wait_xcnt 0x0
	s_mov_b32 s1, s15
	s_mov_b32 s13, s15
	s_mov_b64 s[8:9], 0x3ffaf154eeb562d6
	v_add_nc_u64_e32 v[8:9], s[2:3], v[12:13]
	s_mov_b64 s[10:11], 0x3fedd9ad336a0500
                                        ; implicit-def: $vgpr30_vgpr31
                                        ; implicit-def: $vgpr30_vgpr31
	;; [unrolled: 1-line block ×10, first 2 shown]
	s_wait_kmcnt 0x0
	s_and_b32 s14, s0, 0xffff
	s_delay_alu instid0(SALU_CYCLE_1)
	v_add_nc_u64_e32 v[10:11], s[14:15], v[0:1]
	v_mad_nc_u64_u32 v[24:25], s14, 24, v[12:13]
	s_lshl_b32 s16, s14, 4
	s_mul_i32 s12, s14, 3
	v_add_nc_u64_e32 v[20:21], s[16:17], v[12:13]
	s_lshl_b32 s0, s14, 1
	v_add_nc_u64_e32 v[12:13], s[6:7], v[12:13]
	v_lshlrev_b32_e32 v28, 3, v10
	v_add_nc_u64_e32 v[14:15], s[12:13], v[0:1]
	v_add_nc_u64_e32 v[16:17], s[0:1], v[0:1]
	s_lshl_b32 s12, s14, 2
	v_add_nc_u64_e32 v[18:19], s[2:3], v[20:21]
	v_add_nc_u64_e32 v[20:21], s[6:7], v[20:21]
	;; [unrolled: 1-line block ×6, first 2 shown]
	s_mov_b64 s[6:7], 0x3ffdd9ad336a0500
	s_lshl_b32 s14, s14, 5
	s_mov_b64 s[16:17], 0
	s_branch .LBB40_17
.LBB40_16:                              ;   in Loop: Header=BB40_17 Depth=1
	s_wait_xcnt 0x0
	s_or_b32 exec_lo, exec_lo, s0
	s_add_nc_u64 s[16:17], s[16:17], s[12:13]
	v_add_nc_u64_e32 v[8:9], s[14:15], v[8:9]
	v_cmp_ge_i64_e32 vcc_lo, s[16:17], v[2:3]
	v_add_nc_u64_e32 v[12:13], s[14:15], v[12:13]
	v_add_nc_u64_e32 v[22:23], s[14:15], v[22:23]
	;; [unrolled: 1-line block ×7, first 2 shown]
	s_cbranch_vccnz .LBB40_41
.LBB40_17:                              ; =>This Inner Loop Header: Depth=1
	v_add_nc_u64_e32 v[30:31], s[16:17], v[0:1]
	v_mov_b64_e32 v[36:37], 0
	v_mov_b64_e32 v[38:39], 0
	s_delay_alu instid0(VALU_DEP_3)
	v_cmp_lt_u64_e32 vcc_lo, v[30:31], v[4:5]
	s_and_saveexec_b32 s0, vcc_lo
	s_cbranch_execz .LBB40_19
; %bb.18:                               ;   in Loop: Header=BB40_17 Depth=1
	v_add_nc_u64_e32 v[30:31], s[4:5], v[8:9]
	global_load_b64 v[38:39], v[30:31], off
.LBB40_19:                              ;   in Loop: Header=BB40_17 Depth=1
	s_wait_xcnt 0x0
	s_or_b32 exec_lo, exec_lo, s0
	v_add_nc_u64_e32 v[30:31], s[16:17], v[10:11]
	s_delay_alu instid0(VALU_DEP_1)
	v_cmp_lt_u64_e64 s0, v[30:31], v[4:5]
	s_and_saveexec_b32 s1, s0
	s_cbranch_execz .LBB40_21
; %bb.20:                               ;   in Loop: Header=BB40_17 Depth=1
	v_add_nc_u64_e32 v[30:31], s[4:5], v[26:27]
	global_load_b64 v[36:37], v[30:31], off
.LBB40_21:                              ;   in Loop: Header=BB40_17 Depth=1
	s_wait_xcnt 0x0
	s_or_b32 exec_lo, exec_lo, s1
	v_add_nc_u64_e32 v[32:33], s[16:17], v[16:17]
	v_mov_b64_e32 v[30:31], 0
	v_mov_b64_e32 v[34:35], 0
	s_delay_alu instid0(VALU_DEP_3)
	v_cmp_lt_u64_e64 s1, v[32:33], v[4:5]
	s_and_saveexec_b32 s2, s1
	s_cbranch_execz .LBB40_23
; %bb.22:                               ;   in Loop: Header=BB40_17 Depth=1
	v_add_nc_u64_e32 v[32:33], s[4:5], v[18:19]
	global_load_b64 v[34:35], v[32:33], off
.LBB40_23:                              ;   in Loop: Header=BB40_17 Depth=1
	s_wait_xcnt 0x0
	s_or_b32 exec_lo, exec_lo, s2
	v_add_nc_u64_e32 v[32:33], s[16:17], v[14:15]
	s_delay_alu instid0(VALU_DEP_1)
	v_cmp_lt_u64_e64 s2, v[32:33], v[4:5]
	s_and_saveexec_b32 s3, s2
	s_cbranch_execz .LBB40_25
; %bb.24:                               ;   in Loop: Header=BB40_17 Depth=1
	v_add_nc_u64_e32 v[30:31], s[4:5], v[22:23]
	global_load_b64 v[30:31], v[30:31], off
.LBB40_25:                              ;   in Loop: Header=BB40_17 Depth=1
	s_wait_xcnt 0x0
	s_or_b32 exec_lo, exec_lo, s3
	s_wait_loadcnt 0x0
	v_fma_f64 v[42:43], |v[38:39]|, -0.5, 0.5
	v_mul_f64_e32 v[32:33], v[38:39], v[38:39]
	v_cmp_ge_f64_e64 s3, |v[38:39]|, 0.5
	s_delay_alu instid0(VALU_DEP_1) | instskip(NEXT) | instid1(VALU_DEP_1)
	v_dual_cndmask_b32 v33, v33, v43, s3 :: v_dual_cndmask_b32 v32, v32, v42, s3
	v_fmamk_f64 v[40:41], v[32:33], 0x3fa059859fea6a70, v[6:7]
	s_delay_alu instid0(VALU_DEP_1) | instskip(NEXT) | instid1(VALU_DEP_1)
	v_fmaak_f64 v[40:41], v[32:33], v[40:41], 0x3f94052137024d6a
	v_fmaak_f64 v[40:41], v[32:33], v[40:41], 0x3f7ab3a098a70509
	s_delay_alu instid0(VALU_DEP_1) | instskip(NEXT) | instid1(VALU_DEP_1)
	v_fmaak_f64 v[40:41], v[32:33], v[40:41], 0x3f88ed60a300c8d2
	v_fmaak_f64 v[40:41], v[32:33], v[40:41], 0x3f8c6fa84b77012b
	;; [unrolled: 3-line block ×5, first 2 shown]
	s_delay_alu instid0(VALU_DEP_1) | instskip(NEXT) | instid1(VALU_DEP_1)
	v_mul_f64_e32 v[40:41], v[32:33], v[40:41]
	v_fma_f64 v[32:33], v[38:39], v[40:41], v[38:39]
	s_delay_alu instid0(VALU_DEP_1)
	v_fma_f64 v[32:33], s[10:11], s[8:9], -v[32:33]
	s_and_saveexec_b32 s18, s3
	s_cbranch_execz .LBB40_27
; %bb.26:                               ;   in Loop: Header=BB40_17 Depth=1
	v_rsq_f64_e32 v[32:33], v[42:43]
	v_cmp_eq_f64_e64 s3, 0, v[42:43]
	s_delay_alu instid0(TRANS32_DEP_1) | instskip(SKIP_1) | instid1(VALU_DEP_1)
	v_mul_f64_e32 v[44:45], v[42:43], v[32:33]
	v_mul_f64_e32 v[32:33], 0.5, v[32:33]
	v_fma_f64 v[46:47], -v[32:33], v[44:45], 0.5
	s_delay_alu instid0(VALU_DEP_1) | instskip(SKIP_1) | instid1(VALU_DEP_2)
	v_fmac_f64_e32 v[44:45], v[44:45], v[46:47]
	v_fmac_f64_e32 v[32:33], v[32:33], v[46:47]
	v_fma_f64 v[46:47], -v[44:45], v[44:45], v[42:43]
	s_delay_alu instid0(VALU_DEP_1) | instskip(NEXT) | instid1(VALU_DEP_1)
	v_fmac_f64_e32 v[44:45], v[46:47], v[32:33]
	v_dual_cndmask_b32 v33, v45, v43, s3 :: v_dual_cndmask_b32 v32, v44, v42, s3
	s_delay_alu instid0(VALU_DEP_1) | instskip(SKIP_1) | instid1(VALU_DEP_2)
	v_add_f64_e32 v[44:45], v[32:33], v[32:33]
	v_mul_f64_e32 v[46:47], v[32:33], v[32:33]
	v_rcp_f64_e32 v[48:49], v[44:45]
	s_delay_alu instid0(VALU_DEP_1) | instskip(SKIP_1) | instid1(VALU_DEP_2)
	v_add_f64_e64 v[50:51], v[42:43], -v[46:47]
	v_fma_f64 v[54:55], v[32:33], v[32:33], -v[46:47]
	v_add_f64_e64 v[42:43], v[42:43], -v[50:51]
	s_delay_alu instid0(TRANS32_DEP_1) | instskip(NEXT) | instid1(VALU_DEP_2)
	v_fma_f64 v[52:53], -v[44:45], v[48:49], 1.0
	v_add_f64_e64 v[42:43], v[42:43], -v[46:47]
	s_delay_alu instid0(VALU_DEP_2) | instskip(NEXT) | instid1(VALU_DEP_2)
	v_fmac_f64_e32 v[48:49], v[52:53], v[48:49]
	v_add_f64_e64 v[42:43], v[42:43], -v[54:55]
	s_delay_alu instid0(VALU_DEP_2) | instskip(NEXT) | instid1(VALU_DEP_2)
	v_fma_f64 v[46:47], -v[44:45], v[48:49], 1.0
	v_add_f64_e32 v[42:43], v[50:51], v[42:43]
	s_delay_alu instid0(VALU_DEP_2) | instskip(NEXT) | instid1(VALU_DEP_1)
	v_fmac_f64_e32 v[48:49], v[46:47], v[48:49]
	v_mul_f64_e32 v[46:47], v[42:43], v[48:49]
	s_delay_alu instid0(VALU_DEP_1) | instskip(NEXT) | instid1(VALU_DEP_1)
	v_fma_f64 v[42:43], -v[44:45], v[46:47], v[42:43]
	v_fmac_f64_e32 v[46:47], v[42:43], v[48:49]
	s_delay_alu instid0(VALU_DEP_1) | instskip(NEXT) | instid1(VALU_DEP_2)
	v_cndmask_b32_e64 v43, v47, 0, s3
	v_cndmask_b32_e64 v42, v46, 0, s3
	v_cmp_gt_f64_e64 s3, 0, v[38:39]
	s_delay_alu instid0(VALU_DEP_2) | instskip(NEXT) | instid1(VALU_DEP_1)
	v_add_f64_e32 v[44:45], v[32:33], v[42:43]
	v_add_f64_e64 v[32:33], v[44:45], -v[32:33]
	s_delay_alu instid0(VALU_DEP_1) | instskip(SKIP_1) | instid1(VALU_DEP_2)
	v_add_f64_e64 v[32:33], v[42:43], -v[32:33]
	v_fma_f64 v[42:43], v[44:45], v[40:41], v[44:45]
	v_fmac_f64_e32 v[32:33], v[44:45], v[40:41]
	s_delay_alu instid0(VALU_DEP_2) | instskip(NEXT) | instid1(VALU_DEP_2)
	v_mul_f64_e32 v[40:41], -2.0, v[42:43]
	v_add_f64_e32 v[32:33], v[44:45], v[32:33]
	s_delay_alu instid0(VALU_DEP_2) | instskip(NEXT) | instid1(VALU_DEP_2)
	v_fmac_f64_e64 v[40:41], s[6:7], s[8:9]
	v_add_f64_e32 v[32:33], v[32:33], v[32:33]
	s_delay_alu instid0(VALU_DEP_1) | instskip(SKIP_1) | instid1(VALU_DEP_1)
	v_dual_cndmask_b32 v33, v33, v41, s3 :: v_dual_cndmask_b32 v32, v32, v40, s3
	v_cmp_neq_f64_e64 s3, -1.0, v[38:39]
	v_cndmask_b32_e64 v32, 0x54442d18, v32, s3
	s_delay_alu instid0(VALU_DEP_3) | instskip(SKIP_1) | instid1(VALU_DEP_1)
	v_cndmask_b32_e64 v33, 0x400921fb, v33, s3
	v_cmp_neq_f64_e64 s3, 1.0, v[38:39]
	v_dual_cndmask_b32 v33, 0, v33, s3 :: v_dual_cndmask_b32 v32, 0, v32, s3
.LBB40_27:                              ;   in Loop: Header=BB40_17 Depth=1
	s_or_b32 exec_lo, exec_lo, s18
	v_fma_f64 v[42:43], |v[36:37]|, -0.5, 0.5
	v_mul_f64_e32 v[38:39], v[36:37], v[36:37]
	v_cmp_ge_f64_e64 s3, |v[36:37]|, 0.5
	s_delay_alu instid0(VALU_DEP_1) | instskip(NEXT) | instid1(VALU_DEP_1)
	v_dual_cndmask_b32 v39, v39, v43, s3 :: v_dual_cndmask_b32 v38, v38, v42, s3
	v_fmamk_f64 v[40:41], v[38:39], 0x3fa059859fea6a70, v[6:7]
	s_delay_alu instid0(VALU_DEP_1) | instskip(NEXT) | instid1(VALU_DEP_1)
	v_fmaak_f64 v[40:41], v[38:39], v[40:41], 0x3f94052137024d6a
	v_fmaak_f64 v[40:41], v[38:39], v[40:41], 0x3f7ab3a098a70509
	s_delay_alu instid0(VALU_DEP_1) | instskip(NEXT) | instid1(VALU_DEP_1)
	v_fmaak_f64 v[40:41], v[38:39], v[40:41], 0x3f88ed60a300c8d2
	v_fmaak_f64 v[40:41], v[38:39], v[40:41], 0x3f8c6fa84b77012b
	;; [unrolled: 3-line block ×5, first 2 shown]
	s_delay_alu instid0(VALU_DEP_1) | instskip(NEXT) | instid1(VALU_DEP_1)
	v_mul_f64_e32 v[40:41], v[38:39], v[40:41]
	v_fma_f64 v[38:39], v[36:37], v[40:41], v[36:37]
	s_delay_alu instid0(VALU_DEP_1)
	v_fma_f64 v[38:39], s[10:11], s[8:9], -v[38:39]
	s_and_saveexec_b32 s18, s3
	s_cbranch_execz .LBB40_29
; %bb.28:                               ;   in Loop: Header=BB40_17 Depth=1
	v_rsq_f64_e32 v[38:39], v[42:43]
	v_cmp_eq_f64_e64 s3, 0, v[42:43]
	s_delay_alu instid0(TRANS32_DEP_1) | instskip(SKIP_1) | instid1(VALU_DEP_1)
	v_mul_f64_e32 v[44:45], v[42:43], v[38:39]
	v_mul_f64_e32 v[38:39], 0.5, v[38:39]
	v_fma_f64 v[46:47], -v[38:39], v[44:45], 0.5
	s_delay_alu instid0(VALU_DEP_1) | instskip(SKIP_1) | instid1(VALU_DEP_2)
	v_fmac_f64_e32 v[44:45], v[44:45], v[46:47]
	v_fmac_f64_e32 v[38:39], v[38:39], v[46:47]
	v_fma_f64 v[46:47], -v[44:45], v[44:45], v[42:43]
	s_delay_alu instid0(VALU_DEP_1) | instskip(NEXT) | instid1(VALU_DEP_1)
	v_fmac_f64_e32 v[44:45], v[46:47], v[38:39]
	v_dual_cndmask_b32 v39, v45, v43, s3 :: v_dual_cndmask_b32 v38, v44, v42, s3
	s_delay_alu instid0(VALU_DEP_1) | instskip(SKIP_1) | instid1(VALU_DEP_2)
	v_add_f64_e32 v[44:45], v[38:39], v[38:39]
	v_mul_f64_e32 v[46:47], v[38:39], v[38:39]
	v_rcp_f64_e32 v[48:49], v[44:45]
	s_delay_alu instid0(VALU_DEP_1) | instskip(SKIP_1) | instid1(VALU_DEP_2)
	v_add_f64_e64 v[50:51], v[42:43], -v[46:47]
	v_fma_f64 v[54:55], v[38:39], v[38:39], -v[46:47]
	v_add_f64_e64 v[42:43], v[42:43], -v[50:51]
	s_delay_alu instid0(TRANS32_DEP_1) | instskip(NEXT) | instid1(VALU_DEP_2)
	v_fma_f64 v[52:53], -v[44:45], v[48:49], 1.0
	v_add_f64_e64 v[42:43], v[42:43], -v[46:47]
	s_delay_alu instid0(VALU_DEP_2) | instskip(NEXT) | instid1(VALU_DEP_2)
	v_fmac_f64_e32 v[48:49], v[52:53], v[48:49]
	v_add_f64_e64 v[42:43], v[42:43], -v[54:55]
	s_delay_alu instid0(VALU_DEP_2) | instskip(NEXT) | instid1(VALU_DEP_2)
	v_fma_f64 v[46:47], -v[44:45], v[48:49], 1.0
	v_add_f64_e32 v[42:43], v[50:51], v[42:43]
	s_delay_alu instid0(VALU_DEP_2) | instskip(NEXT) | instid1(VALU_DEP_1)
	v_fmac_f64_e32 v[48:49], v[46:47], v[48:49]
	v_mul_f64_e32 v[46:47], v[42:43], v[48:49]
	s_delay_alu instid0(VALU_DEP_1) | instskip(NEXT) | instid1(VALU_DEP_1)
	v_fma_f64 v[42:43], -v[44:45], v[46:47], v[42:43]
	v_fmac_f64_e32 v[46:47], v[42:43], v[48:49]
	s_delay_alu instid0(VALU_DEP_1) | instskip(NEXT) | instid1(VALU_DEP_2)
	v_cndmask_b32_e64 v43, v47, 0, s3
	v_cndmask_b32_e64 v42, v46, 0, s3
	v_cmp_gt_f64_e64 s3, 0, v[36:37]
	s_delay_alu instid0(VALU_DEP_2) | instskip(NEXT) | instid1(VALU_DEP_1)
	v_add_f64_e32 v[44:45], v[38:39], v[42:43]
	v_add_f64_e64 v[38:39], v[44:45], -v[38:39]
	s_delay_alu instid0(VALU_DEP_1) | instskip(SKIP_1) | instid1(VALU_DEP_2)
	v_add_f64_e64 v[38:39], v[42:43], -v[38:39]
	v_fma_f64 v[42:43], v[44:45], v[40:41], v[44:45]
	v_fmac_f64_e32 v[38:39], v[44:45], v[40:41]
	s_delay_alu instid0(VALU_DEP_2) | instskip(NEXT) | instid1(VALU_DEP_2)
	v_mul_f64_e32 v[40:41], -2.0, v[42:43]
	v_add_f64_e32 v[38:39], v[44:45], v[38:39]
	s_delay_alu instid0(VALU_DEP_2) | instskip(NEXT) | instid1(VALU_DEP_2)
	v_fmac_f64_e64 v[40:41], s[6:7], s[8:9]
	v_add_f64_e32 v[38:39], v[38:39], v[38:39]
	s_delay_alu instid0(VALU_DEP_1) | instskip(SKIP_1) | instid1(VALU_DEP_1)
	v_dual_cndmask_b32 v39, v39, v41, s3 :: v_dual_cndmask_b32 v38, v38, v40, s3
	v_cmp_neq_f64_e64 s3, -1.0, v[36:37]
	v_cndmask_b32_e64 v38, 0x54442d18, v38, s3
	s_delay_alu instid0(VALU_DEP_3) | instskip(SKIP_1) | instid1(VALU_DEP_1)
	v_cndmask_b32_e64 v39, 0x400921fb, v39, s3
	v_cmp_neq_f64_e64 s3, 1.0, v[36:37]
	v_dual_cndmask_b32 v39, 0, v39, s3 :: v_dual_cndmask_b32 v38, 0, v38, s3
.LBB40_29:                              ;   in Loop: Header=BB40_17 Depth=1
	s_or_b32 exec_lo, exec_lo, s18
	v_fma_f64 v[42:43], |v[34:35]|, -0.5, 0.5
	v_mul_f64_e32 v[36:37], v[34:35], v[34:35]
	v_cmp_ge_f64_e64 s3, |v[34:35]|, 0.5
	s_delay_alu instid0(VALU_DEP_1) | instskip(NEXT) | instid1(VALU_DEP_1)
	v_dual_cndmask_b32 v37, v37, v43, s3 :: v_dual_cndmask_b32 v36, v36, v42, s3
	v_fmamk_f64 v[40:41], v[36:37], 0x3fa059859fea6a70, v[6:7]
	s_delay_alu instid0(VALU_DEP_1) | instskip(NEXT) | instid1(VALU_DEP_1)
	v_fmaak_f64 v[40:41], v[36:37], v[40:41], 0x3f94052137024d6a
	v_fmaak_f64 v[40:41], v[36:37], v[40:41], 0x3f7ab3a098a70509
	s_delay_alu instid0(VALU_DEP_1) | instskip(NEXT) | instid1(VALU_DEP_1)
	v_fmaak_f64 v[40:41], v[36:37], v[40:41], 0x3f88ed60a300c8d2
	v_fmaak_f64 v[40:41], v[36:37], v[40:41], 0x3f8c6fa84b77012b
	;; [unrolled: 3-line block ×5, first 2 shown]
	s_delay_alu instid0(VALU_DEP_1) | instskip(NEXT) | instid1(VALU_DEP_1)
	v_mul_f64_e32 v[40:41], v[36:37], v[40:41]
	v_fma_f64 v[36:37], v[34:35], v[40:41], v[34:35]
	s_delay_alu instid0(VALU_DEP_1)
	v_fma_f64 v[36:37], s[10:11], s[8:9], -v[36:37]
	s_and_saveexec_b32 s18, s3
	s_cbranch_execz .LBB40_31
; %bb.30:                               ;   in Loop: Header=BB40_17 Depth=1
	v_rsq_f64_e32 v[36:37], v[42:43]
	v_cmp_eq_f64_e64 s3, 0, v[42:43]
	s_delay_alu instid0(TRANS32_DEP_1) | instskip(SKIP_1) | instid1(VALU_DEP_1)
	v_mul_f64_e32 v[44:45], v[42:43], v[36:37]
	v_mul_f64_e32 v[36:37], 0.5, v[36:37]
	v_fma_f64 v[46:47], -v[36:37], v[44:45], 0.5
	s_delay_alu instid0(VALU_DEP_1) | instskip(SKIP_1) | instid1(VALU_DEP_2)
	v_fmac_f64_e32 v[44:45], v[44:45], v[46:47]
	v_fmac_f64_e32 v[36:37], v[36:37], v[46:47]
	v_fma_f64 v[46:47], -v[44:45], v[44:45], v[42:43]
	s_delay_alu instid0(VALU_DEP_1) | instskip(NEXT) | instid1(VALU_DEP_1)
	v_fmac_f64_e32 v[44:45], v[46:47], v[36:37]
	v_dual_cndmask_b32 v37, v45, v43, s3 :: v_dual_cndmask_b32 v36, v44, v42, s3
	s_delay_alu instid0(VALU_DEP_1) | instskip(SKIP_1) | instid1(VALU_DEP_2)
	v_add_f64_e32 v[44:45], v[36:37], v[36:37]
	v_mul_f64_e32 v[46:47], v[36:37], v[36:37]
	v_rcp_f64_e32 v[48:49], v[44:45]
	s_delay_alu instid0(VALU_DEP_1) | instskip(SKIP_1) | instid1(VALU_DEP_2)
	v_add_f64_e64 v[50:51], v[42:43], -v[46:47]
	v_fma_f64 v[54:55], v[36:37], v[36:37], -v[46:47]
	v_add_f64_e64 v[42:43], v[42:43], -v[50:51]
	s_delay_alu instid0(TRANS32_DEP_1) | instskip(NEXT) | instid1(VALU_DEP_2)
	v_fma_f64 v[52:53], -v[44:45], v[48:49], 1.0
	v_add_f64_e64 v[42:43], v[42:43], -v[46:47]
	s_delay_alu instid0(VALU_DEP_2) | instskip(NEXT) | instid1(VALU_DEP_2)
	v_fmac_f64_e32 v[48:49], v[52:53], v[48:49]
	v_add_f64_e64 v[42:43], v[42:43], -v[54:55]
	s_delay_alu instid0(VALU_DEP_2) | instskip(NEXT) | instid1(VALU_DEP_2)
	v_fma_f64 v[46:47], -v[44:45], v[48:49], 1.0
	v_add_f64_e32 v[42:43], v[50:51], v[42:43]
	s_delay_alu instid0(VALU_DEP_2) | instskip(NEXT) | instid1(VALU_DEP_1)
	v_fmac_f64_e32 v[48:49], v[46:47], v[48:49]
	v_mul_f64_e32 v[46:47], v[42:43], v[48:49]
	s_delay_alu instid0(VALU_DEP_1) | instskip(NEXT) | instid1(VALU_DEP_1)
	v_fma_f64 v[42:43], -v[44:45], v[46:47], v[42:43]
	v_fmac_f64_e32 v[46:47], v[42:43], v[48:49]
	s_delay_alu instid0(VALU_DEP_1) | instskip(NEXT) | instid1(VALU_DEP_2)
	v_cndmask_b32_e64 v43, v47, 0, s3
	v_cndmask_b32_e64 v42, v46, 0, s3
	v_cmp_gt_f64_e64 s3, 0, v[34:35]
	s_delay_alu instid0(VALU_DEP_2) | instskip(NEXT) | instid1(VALU_DEP_1)
	v_add_f64_e32 v[44:45], v[36:37], v[42:43]
	v_add_f64_e64 v[36:37], v[44:45], -v[36:37]
	s_delay_alu instid0(VALU_DEP_1) | instskip(SKIP_1) | instid1(VALU_DEP_2)
	v_add_f64_e64 v[36:37], v[42:43], -v[36:37]
	v_fma_f64 v[42:43], v[44:45], v[40:41], v[44:45]
	v_fmac_f64_e32 v[36:37], v[44:45], v[40:41]
	s_delay_alu instid0(VALU_DEP_2) | instskip(NEXT) | instid1(VALU_DEP_2)
	v_mul_f64_e32 v[40:41], -2.0, v[42:43]
	v_add_f64_e32 v[36:37], v[44:45], v[36:37]
	s_delay_alu instid0(VALU_DEP_2) | instskip(NEXT) | instid1(VALU_DEP_2)
	v_fmac_f64_e64 v[40:41], s[6:7], s[8:9]
	v_add_f64_e32 v[36:37], v[36:37], v[36:37]
	s_delay_alu instid0(VALU_DEP_1) | instskip(SKIP_1) | instid1(VALU_DEP_1)
	v_dual_cndmask_b32 v37, v37, v41, s3 :: v_dual_cndmask_b32 v36, v36, v40, s3
	v_cmp_neq_f64_e64 s3, -1.0, v[34:35]
	v_cndmask_b32_e64 v36, 0x54442d18, v36, s3
	s_delay_alu instid0(VALU_DEP_3) | instskip(SKIP_1) | instid1(VALU_DEP_1)
	v_cndmask_b32_e64 v37, 0x400921fb, v37, s3
	v_cmp_neq_f64_e64 s3, 1.0, v[34:35]
	v_dual_cndmask_b32 v37, 0, v37, s3 :: v_dual_cndmask_b32 v36, 0, v36, s3
.LBB40_31:                              ;   in Loop: Header=BB40_17 Depth=1
	s_or_b32 exec_lo, exec_lo, s18
	v_fma_f64 v[40:41], |v[30:31]|, -0.5, 0.5
	v_mul_f64_e32 v[34:35], v[30:31], v[30:31]
	v_cmp_ge_f64_e64 s3, |v[30:31]|, 0.5
	s_delay_alu instid0(VALU_DEP_1) | instskip(NEXT) | instid1(VALU_DEP_1)
	v_dual_cndmask_b32 v35, v35, v41, s3 :: v_dual_cndmask_b32 v34, v34, v40, s3
	v_fmamk_f64 v[42:43], v[34:35], 0x3fa059859fea6a70, v[6:7]
	s_delay_alu instid0(VALU_DEP_1) | instskip(NEXT) | instid1(VALU_DEP_1)
	v_fmaak_f64 v[42:43], v[34:35], v[42:43], 0x3f94052137024d6a
	v_fmaak_f64 v[42:43], v[34:35], v[42:43], 0x3f7ab3a098a70509
	s_delay_alu instid0(VALU_DEP_1) | instskip(NEXT) | instid1(VALU_DEP_1)
	v_fmaak_f64 v[42:43], v[34:35], v[42:43], 0x3f88ed60a300c8d2
	v_fmaak_f64 v[42:43], v[34:35], v[42:43], 0x3f8c6fa84b77012b
	;; [unrolled: 3-line block ×5, first 2 shown]
	s_delay_alu instid0(VALU_DEP_1) | instskip(NEXT) | instid1(VALU_DEP_1)
	v_mul_f64_e32 v[34:35], v[34:35], v[42:43]
	v_fma_f64 v[42:43], v[30:31], v[34:35], v[30:31]
	s_delay_alu instid0(VALU_DEP_1)
	v_fma_f64 v[42:43], s[10:11], s[8:9], -v[42:43]
	s_and_saveexec_b32 s18, s3
	s_cbranch_execnz .LBB40_36
; %bb.32:                               ;   in Loop: Header=BB40_17 Depth=1
	s_or_b32 exec_lo, exec_lo, s18
	s_and_saveexec_b32 s3, vcc_lo
	s_delay_alu instid0(SALU_CYCLE_1)
	s_xor_b32 s3, exec_lo, s3
	s_cbranch_execnz .LBB40_37
.LBB40_33:                              ;   in Loop: Header=BB40_17 Depth=1
	s_or_b32 exec_lo, exec_lo, s3
	s_and_saveexec_b32 s3, s0
	s_cbranch_execnz .LBB40_38
.LBB40_34:                              ;   in Loop: Header=BB40_17 Depth=1
	s_or_b32 exec_lo, exec_lo, s3
	s_and_saveexec_b32 s0, s1
	s_cbranch_execnz .LBB40_39
.LBB40_35:                              ;   in Loop: Header=BB40_17 Depth=1
	s_or_b32 exec_lo, exec_lo, s0
	s_and_saveexec_b32 s0, s2
	s_cbranch_execz .LBB40_16
	s_branch .LBB40_40
.LBB40_36:                              ;   in Loop: Header=BB40_17 Depth=1
	v_rsq_f64_e32 v[42:43], v[40:41]
	v_cmp_eq_f64_e64 s3, 0, v[40:41]
	s_delay_alu instid0(TRANS32_DEP_1) | instskip(SKIP_1) | instid1(VALU_DEP_1)
	v_mul_f64_e32 v[44:45], v[40:41], v[42:43]
	v_mul_f64_e32 v[42:43], 0.5, v[42:43]
	v_fma_f64 v[46:47], -v[42:43], v[44:45], 0.5
	s_delay_alu instid0(VALU_DEP_1) | instskip(SKIP_1) | instid1(VALU_DEP_2)
	v_fmac_f64_e32 v[44:45], v[44:45], v[46:47]
	v_fmac_f64_e32 v[42:43], v[42:43], v[46:47]
	v_fma_f64 v[46:47], -v[44:45], v[44:45], v[40:41]
	s_delay_alu instid0(VALU_DEP_1) | instskip(NEXT) | instid1(VALU_DEP_1)
	v_fmac_f64_e32 v[44:45], v[46:47], v[42:43]
	v_dual_cndmask_b32 v43, v45, v41, s3 :: v_dual_cndmask_b32 v42, v44, v40, s3
	s_delay_alu instid0(VALU_DEP_1) | instskip(SKIP_1) | instid1(VALU_DEP_2)
	v_add_f64_e32 v[44:45], v[42:43], v[42:43]
	v_mul_f64_e32 v[46:47], v[42:43], v[42:43]
	v_rcp_f64_e32 v[48:49], v[44:45]
	s_delay_alu instid0(VALU_DEP_1) | instskip(SKIP_1) | instid1(VALU_DEP_2)
	v_add_f64_e64 v[50:51], v[40:41], -v[46:47]
	v_fma_f64 v[54:55], v[42:43], v[42:43], -v[46:47]
	v_add_f64_e64 v[40:41], v[40:41], -v[50:51]
	s_delay_alu instid0(TRANS32_DEP_1) | instskip(NEXT) | instid1(VALU_DEP_2)
	v_fma_f64 v[52:53], -v[44:45], v[48:49], 1.0
	v_add_f64_e64 v[40:41], v[40:41], -v[46:47]
	s_delay_alu instid0(VALU_DEP_2) | instskip(NEXT) | instid1(VALU_DEP_2)
	v_fmac_f64_e32 v[48:49], v[52:53], v[48:49]
	v_add_f64_e64 v[40:41], v[40:41], -v[54:55]
	s_delay_alu instid0(VALU_DEP_2) | instskip(NEXT) | instid1(VALU_DEP_2)
	v_fma_f64 v[46:47], -v[44:45], v[48:49], 1.0
	v_add_f64_e32 v[40:41], v[50:51], v[40:41]
	s_delay_alu instid0(VALU_DEP_2) | instskip(NEXT) | instid1(VALU_DEP_1)
	v_fmac_f64_e32 v[48:49], v[46:47], v[48:49]
	v_mul_f64_e32 v[46:47], v[40:41], v[48:49]
	s_delay_alu instid0(VALU_DEP_1) | instskip(NEXT) | instid1(VALU_DEP_1)
	v_fma_f64 v[40:41], -v[44:45], v[46:47], v[40:41]
	v_fmac_f64_e32 v[46:47], v[40:41], v[48:49]
	s_delay_alu instid0(VALU_DEP_1) | instskip(NEXT) | instid1(VALU_DEP_2)
	v_cndmask_b32_e64 v41, v47, 0, s3
	v_cndmask_b32_e64 v40, v46, 0, s3
	v_cmp_gt_f64_e64 s3, 0, v[30:31]
	s_delay_alu instid0(VALU_DEP_2) | instskip(NEXT) | instid1(VALU_DEP_1)
	v_add_f64_e32 v[44:45], v[42:43], v[40:41]
	v_add_f64_e64 v[42:43], v[44:45], -v[42:43]
	s_delay_alu instid0(VALU_DEP_1) | instskip(SKIP_1) | instid1(VALU_DEP_2)
	v_add_f64_e64 v[40:41], v[40:41], -v[42:43]
	v_fma_f64 v[42:43], v[44:45], v[34:35], v[44:45]
	v_fmac_f64_e32 v[40:41], v[44:45], v[34:35]
	s_delay_alu instid0(VALU_DEP_2) | instskip(NEXT) | instid1(VALU_DEP_2)
	v_mul_f64_e32 v[34:35], -2.0, v[42:43]
	v_add_f64_e32 v[40:41], v[44:45], v[40:41]
	s_delay_alu instid0(VALU_DEP_2) | instskip(NEXT) | instid1(VALU_DEP_2)
	v_fmac_f64_e64 v[34:35], s[6:7], s[8:9]
	v_add_f64_e32 v[40:41], v[40:41], v[40:41]
	s_delay_alu instid0(VALU_DEP_1) | instskip(SKIP_1) | instid1(VALU_DEP_1)
	v_dual_cndmask_b32 v35, v41, v35, s3 :: v_dual_cndmask_b32 v34, v40, v34, s3
	v_cmp_neq_f64_e64 s3, -1.0, v[30:31]
	v_cndmask_b32_e64 v34, 0x54442d18, v34, s3
	s_delay_alu instid0(VALU_DEP_3) | instskip(SKIP_1) | instid1(VALU_DEP_1)
	v_cndmask_b32_e64 v35, 0x400921fb, v35, s3
	v_cmp_neq_f64_e64 s3, 1.0, v[30:31]
	v_dual_cndmask_b32 v43, 0, v35, s3 :: v_dual_cndmask_b32 v42, 0, v34, s3
	s_or_b32 exec_lo, exec_lo, s18
	s_and_saveexec_b32 s3, vcc_lo
	s_delay_alu instid0(SALU_CYCLE_1)
	s_xor_b32 s3, exec_lo, s3
	s_cbranch_execz .LBB40_33
.LBB40_37:                              ;   in Loop: Header=BB40_17 Depth=1
	v_add_nc_u64_e32 v[30:31], s[4:5], v[12:13]
	global_store_b64 v[30:31], v[32:33], off
	s_wait_xcnt 0x0
	s_or_b32 exec_lo, exec_lo, s3
	s_and_saveexec_b32 s3, s0
	s_cbranch_execz .LBB40_34
.LBB40_38:                              ;   in Loop: Header=BB40_17 Depth=1
	v_add_nc_u64_e32 v[30:31], s[4:5], v[28:29]
	global_store_b64 v[30:31], v[38:39], off
	s_wait_xcnt 0x0
	s_or_b32 exec_lo, exec_lo, s3
	s_and_saveexec_b32 s0, s1
	s_cbranch_execz .LBB40_35
.LBB40_39:                              ;   in Loop: Header=BB40_17 Depth=1
	v_add_nc_u64_e32 v[30:31], s[4:5], v[20:21]
	global_store_b64 v[30:31], v[36:37], off
	s_wait_xcnt 0x0
	s_or_b32 exec_lo, exec_lo, s0
	s_and_saveexec_b32 s0, s2
	s_cbranch_execz .LBB40_16
.LBB40_40:                              ;   in Loop: Header=BB40_17 Depth=1
	v_add_nc_u64_e32 v[30:31], s[4:5], v[24:25]
	global_store_b64 v[30:31], v[42:43], off
	s_branch .LBB40_16
.LBB40_41:
	s_endpgm
	.section	.rodata,"a",@progbits
	.p2align	6, 0x0
	.amdhsa_kernel _ZN2at6native12_GLOBAL__N_125multi_tensor_apply_kernelINS1_18TensorListMetadataILi2EEENS1_14UnaryOpFunctorIdLi2ELi1ELi1EEEJNS0_4AcosIdEEEEEvT_T0_DpT1_
		.amdhsa_group_segment_fixed_size 0
		.amdhsa_private_segment_fixed_size 0
		.amdhsa_kernarg_size 3408
		.amdhsa_user_sgpr_count 2
		.amdhsa_user_sgpr_dispatch_ptr 0
		.amdhsa_user_sgpr_queue_ptr 0
		.amdhsa_user_sgpr_kernarg_segment_ptr 1
		.amdhsa_user_sgpr_dispatch_id 0
		.amdhsa_user_sgpr_kernarg_preload_length 0
		.amdhsa_user_sgpr_kernarg_preload_offset 0
		.amdhsa_user_sgpr_private_segment_size 0
		.amdhsa_wavefront_size32 1
		.amdhsa_uses_dynamic_stack 0
		.amdhsa_enable_private_segment 0
		.amdhsa_system_sgpr_workgroup_id_x 1
		.amdhsa_system_sgpr_workgroup_id_y 0
		.amdhsa_system_sgpr_workgroup_id_z 0
		.amdhsa_system_sgpr_workgroup_info 0
		.amdhsa_system_vgpr_workitem_id 0
		.amdhsa_next_free_vgpr 56
		.amdhsa_next_free_sgpr 23
		.amdhsa_named_barrier_count 0
		.amdhsa_reserve_vcc 1
		.amdhsa_float_round_mode_32 0
		.amdhsa_float_round_mode_16_64 0
		.amdhsa_float_denorm_mode_32 3
		.amdhsa_float_denorm_mode_16_64 3
		.amdhsa_fp16_overflow 0
		.amdhsa_memory_ordered 1
		.amdhsa_forward_progress 1
		.amdhsa_inst_pref_size 45
		.amdhsa_round_robin_scheduling 0
		.amdhsa_exception_fp_ieee_invalid_op 0
		.amdhsa_exception_fp_denorm_src 0
		.amdhsa_exception_fp_ieee_div_zero 0
		.amdhsa_exception_fp_ieee_overflow 0
		.amdhsa_exception_fp_ieee_underflow 0
		.amdhsa_exception_fp_ieee_inexact 0
		.amdhsa_exception_int_div_zero 0
	.end_amdhsa_kernel
	.section	.text._ZN2at6native12_GLOBAL__N_125multi_tensor_apply_kernelINS1_18TensorListMetadataILi2EEENS1_14UnaryOpFunctorIdLi2ELi1ELi1EEEJNS0_4AcosIdEEEEEvT_T0_DpT1_,"axG",@progbits,_ZN2at6native12_GLOBAL__N_125multi_tensor_apply_kernelINS1_18TensorListMetadataILi2EEENS1_14UnaryOpFunctorIdLi2ELi1ELi1EEEJNS0_4AcosIdEEEEEvT_T0_DpT1_,comdat
.Lfunc_end40:
	.size	_ZN2at6native12_GLOBAL__N_125multi_tensor_apply_kernelINS1_18TensorListMetadataILi2EEENS1_14UnaryOpFunctorIdLi2ELi1ELi1EEEJNS0_4AcosIdEEEEEvT_T0_DpT1_, .Lfunc_end40-_ZN2at6native12_GLOBAL__N_125multi_tensor_apply_kernelINS1_18TensorListMetadataILi2EEENS1_14UnaryOpFunctorIdLi2ELi1ELi1EEEJNS0_4AcosIdEEEEEvT_T0_DpT1_
                                        ; -- End function
	.set _ZN2at6native12_GLOBAL__N_125multi_tensor_apply_kernelINS1_18TensorListMetadataILi2EEENS1_14UnaryOpFunctorIdLi2ELi1ELi1EEEJNS0_4AcosIdEEEEEvT_T0_DpT1_.num_vgpr, 56
	.set _ZN2at6native12_GLOBAL__N_125multi_tensor_apply_kernelINS1_18TensorListMetadataILi2EEENS1_14UnaryOpFunctorIdLi2ELi1ELi1EEEJNS0_4AcosIdEEEEEvT_T0_DpT1_.num_agpr, 0
	.set _ZN2at6native12_GLOBAL__N_125multi_tensor_apply_kernelINS1_18TensorListMetadataILi2EEENS1_14UnaryOpFunctorIdLi2ELi1ELi1EEEJNS0_4AcosIdEEEEEvT_T0_DpT1_.numbered_sgpr, 23
	.set _ZN2at6native12_GLOBAL__N_125multi_tensor_apply_kernelINS1_18TensorListMetadataILi2EEENS1_14UnaryOpFunctorIdLi2ELi1ELi1EEEJNS0_4AcosIdEEEEEvT_T0_DpT1_.num_named_barrier, 0
	.set _ZN2at6native12_GLOBAL__N_125multi_tensor_apply_kernelINS1_18TensorListMetadataILi2EEENS1_14UnaryOpFunctorIdLi2ELi1ELi1EEEJNS0_4AcosIdEEEEEvT_T0_DpT1_.private_seg_size, 0
	.set _ZN2at6native12_GLOBAL__N_125multi_tensor_apply_kernelINS1_18TensorListMetadataILi2EEENS1_14UnaryOpFunctorIdLi2ELi1ELi1EEEJNS0_4AcosIdEEEEEvT_T0_DpT1_.uses_vcc, 1
	.set _ZN2at6native12_GLOBAL__N_125multi_tensor_apply_kernelINS1_18TensorListMetadataILi2EEENS1_14UnaryOpFunctorIdLi2ELi1ELi1EEEJNS0_4AcosIdEEEEEvT_T0_DpT1_.uses_flat_scratch, 0
	.set _ZN2at6native12_GLOBAL__N_125multi_tensor_apply_kernelINS1_18TensorListMetadataILi2EEENS1_14UnaryOpFunctorIdLi2ELi1ELi1EEEJNS0_4AcosIdEEEEEvT_T0_DpT1_.has_dyn_sized_stack, 0
	.set _ZN2at6native12_GLOBAL__N_125multi_tensor_apply_kernelINS1_18TensorListMetadataILi2EEENS1_14UnaryOpFunctorIdLi2ELi1ELi1EEEJNS0_4AcosIdEEEEEvT_T0_DpT1_.has_recursion, 0
	.set _ZN2at6native12_GLOBAL__N_125multi_tensor_apply_kernelINS1_18TensorListMetadataILi2EEENS1_14UnaryOpFunctorIdLi2ELi1ELi1EEEJNS0_4AcosIdEEEEEvT_T0_DpT1_.has_indirect_call, 0
	.section	.AMDGPU.csdata,"",@progbits
; Kernel info:
; codeLenInByte = 5736
; TotalNumSgprs: 25
; NumVgprs: 56
; ScratchSize: 0
; MemoryBound: 0
; FloatMode: 240
; IeeeMode: 1
; LDSByteSize: 0 bytes/workgroup (compile time only)
; SGPRBlocks: 0
; VGPRBlocks: 3
; NumSGPRsForWavesPerEU: 25
; NumVGPRsForWavesPerEU: 56
; NamedBarCnt: 0
; Occupancy: 16
; WaveLimiterHint : 0
; COMPUTE_PGM_RSRC2:SCRATCH_EN: 0
; COMPUTE_PGM_RSRC2:USER_SGPR: 2
; COMPUTE_PGM_RSRC2:TRAP_HANDLER: 0
; COMPUTE_PGM_RSRC2:TGID_X_EN: 1
; COMPUTE_PGM_RSRC2:TGID_Y_EN: 0
; COMPUTE_PGM_RSRC2:TGID_Z_EN: 0
; COMPUTE_PGM_RSRC2:TIDIG_COMP_CNT: 0
	.section	.text._ZN2at6native12_GLOBAL__N_125multi_tensor_apply_kernelINS1_18TensorListMetadataILi2EEENS1_14UnaryOpFunctorIfLi2ELi1ELi1EEEJNS0_4AcosIfEEEEEvT_T0_DpT1_,"axG",@progbits,_ZN2at6native12_GLOBAL__N_125multi_tensor_apply_kernelINS1_18TensorListMetadataILi2EEENS1_14UnaryOpFunctorIfLi2ELi1ELi1EEEJNS0_4AcosIfEEEEEvT_T0_DpT1_,comdat
	.globl	_ZN2at6native12_GLOBAL__N_125multi_tensor_apply_kernelINS1_18TensorListMetadataILi2EEENS1_14UnaryOpFunctorIfLi2ELi1ELi1EEEJNS0_4AcosIfEEEEEvT_T0_DpT1_ ; -- Begin function _ZN2at6native12_GLOBAL__N_125multi_tensor_apply_kernelINS1_18TensorListMetadataILi2EEENS1_14UnaryOpFunctorIfLi2ELi1ELi1EEEJNS0_4AcosIfEEEEEvT_T0_DpT1_
	.p2align	8
	.type	_ZN2at6native12_GLOBAL__N_125multi_tensor_apply_kernelINS1_18TensorListMetadataILi2EEENS1_14UnaryOpFunctorIfLi2ELi1ELi1EEEJNS0_4AcosIfEEEEEvT_T0_DpT1_,@function
_ZN2at6native12_GLOBAL__N_125multi_tensor_apply_kernelINS1_18TensorListMetadataILi2EEENS1_14UnaryOpFunctorIfLi2ELi1ELi1EEEJNS0_4AcosIfEEEEEvT_T0_DpT1_: ; @_ZN2at6native12_GLOBAL__N_125multi_tensor_apply_kernelINS1_18TensorListMetadataILi2EEENS1_14UnaryOpFunctorIfLi2ELi1ELi1EEEJNS0_4AcosIfEEEEEvT_T0_DpT1_
; %bb.0:
	s_bfe_u32 s2, ttmp6, 0x4000c
	s_and_b32 s3, ttmp6, 15
	s_add_co_i32 s2, s2, 1
	s_getreg_b32 s4, hwreg(HW_REG_IB_STS2, 6, 4)
	s_mul_i32 s2, ttmp9, s2
	s_delay_alu instid0(SALU_CYCLE_1)
	s_add_co_i32 s3, s3, s2
	s_cmp_eq_u32 s4, 0
	s_cselect_b32 s2, ttmp9, s3
	s_mov_b32 s3, 0
	s_load_u8 s10, s[0:1], s2 offset:0x600
	s_add_nc_u64 s[4:5], s[0:1], s[2:3]
	s_mul_u64 s[6:7], s[2:3], 3
	s_delay_alu instid0(SALU_CYCLE_1)
	s_add_nc_u64 s[4:5], s[4:5], s[6:7]
	s_load_b32 s6, s[4:5], 0x740
	s_wait_kmcnt 0x0
	s_clause 0x2
	s_load_b64 s[12:13], s[0:1], s10 offset:0x0 scale_offset
	s_load_b64 s[14:15], s[0:1], s10 offset:0x200 scale_offset
	;; [unrolled: 1-line block ×3, first 2 shown]
	s_mov_b32 s5, s3
	s_ashr_i32 s7, s6, 31
	s_wait_xcnt 0x0
	s_lshl_b64 s[10:11], s[6:7], 18
	s_wait_kmcnt 0x0
	s_and_b64 s[18:19], s[14:15], 15
	s_add_nc_u64 s[16:17], s[12:13], s[10:11]
	s_and_b32 s4, s8, 3
	s_and_b32 s2, s16, 15
	s_or_b64 s[4:5], s[18:19], s[4:5]
	s_lshl_b64 s[6:7], s[6:7], 16
	s_or_b64 s[2:3], s[4:5], s[2:3]
	s_sub_nc_u64 s[16:17], s[8:9], s[6:7]
	s_cmp_eq_u64 s[2:3], 0
	s_mov_b32 s2, -1
	s_cbranch_scc0 .LBB41_5
; %bb.1:
	v_min_i64 v[2:3], 0x10000, s[16:17]
	v_dual_mov_b32 v5, 0 :: v_dual_lshlrev_b32 v4, 2, v0
	s_mov_b32 s9, exec_lo
	s_delay_alu instid0(VALU_DEP_1)
	v_cmpx_lt_i64_e64 v[4:5], v[2:3]
	s_cbranch_execz .LBB41_4
; %bb.2:
	s_load_b32 s2, s[0:1], 0xc5c
	v_dual_mov_b32 v1, v5 :: v_dual_lshlrev_b32 v4, 4, v0
	s_mov_b32 s19, 0
	s_add_nc_u64 s[20:21], s[12:13], 8
	s_mov_b32 s22, 0x3c5fc5da
	s_delay_alu instid0(VALU_DEP_1)
	v_mov_b64_e32 v[6:7], v[0:1]
	v_add_nc_u64_e32 v[4:5], s[10:11], v[4:5]
	s_mov_b32 s24, 0x3d1c21a7
	s_mov_b32 s26, 0x3d034c3c
	;; [unrolled: 1-line block ×9, first 2 shown]
	s_wait_kmcnt 0x0
	s_and_b32 s18, s2, 0xffff
	s_delay_alu instid0(SALU_CYCLE_1)
	s_lshl_b32 s40, s18, 4
.LBB41_3:                               ; =>This Inner Loop Header: Depth=1
	v_add_nc_u64_e32 v[8:9], s[20:21], v[4:5]
	v_add_nc_u64_e32 v[6:7], s[18:19], v[6:7]
	;; [unrolled: 1-line block ×4, first 2 shown]
	global_load_b128 v[8:11], v[8:9], off offset:-8
	v_lshlrev_b64_e32 v[14:15], 2, v[6:7]
	s_wait_loadcnt 0x0
	v_and_b32_e32 v17, 0x7fffffff, v9
	v_and_b32_e32 v16, 0x7fffffff, v8
	;; [unrolled: 1-line block ×4, first 2 shown]
	v_pk_mul_f32 v[20:21], v[8:9], v[8:9]
	v_pk_mul_f32 v[22:23], v[10:11], v[10:11]
	v_pk_fma_f32 v[16:17], v[16:17], -0.5, 0.5 op_sel_hi:[1,0,0]
	v_cmp_gt_f32_e64 vcc_lo, |v9|, 0.5
	v_pk_fma_f32 v[18:19], v[18:19], -0.5, 0.5 op_sel_hi:[1,0,0]
	v_cmp_gt_f32_e64 s2, |v10|, 0.5
	v_cmp_gt_f32_e64 s3, |v11|, 0.5
	;; [unrolled: 1-line block ×3, first 2 shown]
	v_cndmask_b32_e32 v17, v21, v17, vcc_lo
	v_cmp_gt_f32_e64 s5, 0, v8
	s_delay_alu instid0(VALU_DEP_4) | instskip(NEXT) | instid1(VALU_DEP_4)
	v_dual_cndmask_b32 v18, v22, v18, s2 :: v_dual_cndmask_b32 v19, v23, v19, s3
	v_cndmask_b32_e64 v16, v20, v16, s4
	s_delay_alu instid0(VALU_DEP_4) | instskip(SKIP_1) | instid1(VALU_DEP_3)
	v_sqrt_f32_e32 v21, v17
	v_cmp_gt_f32_e64 s6, 0, v11
	v_sqrt_f32_e32 v26, v18
	v_pk_fma_f32 v[24:25], v[18:19], s[24:25], s[22:23] op_sel_hi:[1,0,0]
	v_pk_fma_f32 v[22:23], v[16:17], s[24:25], s[22:23] op_sel_hi:[1,0,0]
	v_sqrt_f32_e32 v20, v16
	v_sqrt_f32_e32 v27, v19
	v_cmp_gt_f32_e64 s7, 0, v10
	v_pk_fma_f32 v[24:25], v[18:19], v[24:25], s[26:27] op_sel_hi:[1,1,0]
	v_pk_fma_f32 v[22:23], v[16:17], v[22:23], s[26:27] op_sel_hi:[1,1,0]
	v_cmp_gt_f32_e64 s8, 0, v9
	s_delay_alu instid0(VALU_DEP_3) | instskip(NEXT) | instid1(VALU_DEP_3)
	v_pk_fma_f32 v[24:25], v[18:19], v[24:25], s[28:29] op_sel_hi:[1,1,0]
	v_pk_fma_f32 v[22:23], v[16:17], v[22:23], s[28:29] op_sel_hi:[1,1,0]
	s_delay_alu instid0(VALU_DEP_2) | instskip(NEXT) | instid1(VALU_DEP_2)
	v_pk_fma_f32 v[24:25], v[18:19], v[24:25], s[30:31] op_sel_hi:[1,1,0]
	v_pk_fma_f32 v[22:23], v[16:17], v[22:23], s[30:31] op_sel_hi:[1,1,0]
	s_delay_alu instid0(VALU_DEP_2) | instskip(NEXT) | instid1(VALU_DEP_2)
	;; [unrolled: 3-line block ×3, first 2 shown]
	v_pk_mul_f32 v[18:19], v[18:19], v[24:25]
	v_pk_mul_f32 v[16:17], v[16:17], v[22:23]
	s_delay_alu instid0(VALU_DEP_2) | instskip(NEXT) | instid1(VALU_DEP_2)
	v_pk_fma_f32 v[22:23], v[26:27], v[18:19], v[26:27]
	v_pk_fma_f32 v[20:21], v[20:21], v[16:17], v[20:21]
	v_pk_fma_f32 v[16:17], v[8:9], v[16:17], v[8:9]
	v_pk_fma_f32 v[18:19], v[10:11], v[18:19], v[10:11]
	s_delay_alu instid0(VALU_DEP_4) | instskip(NEXT) | instid1(VALU_DEP_4)
	v_pk_add_f32 v[22:23], v[22:23], v[22:23]
	v_pk_add_f32 v[20:21], v[20:21], v[20:21]
	s_delay_alu instid0(VALU_DEP_4) | instskip(NEXT) | instid1(VALU_DEP_4)
	v_pk_add_f32 v[16:17], v[16:17], s[38:39] op_sel_hi:[1,0] neg_lo:[1,0] neg_hi:[1,0]
	v_pk_add_f32 v[18:19], v[18:19], s[38:39] op_sel_hi:[1,0] neg_lo:[1,0] neg_hi:[1,0]
	s_delay_alu instid0(VALU_DEP_4) | instskip(NEXT) | instid1(VALU_DEP_4)
	v_pk_add_f32 v[26:27], v[22:23], s[36:37] op_sel_hi:[1,0] neg_lo:[1,0] neg_hi:[1,0]
	v_pk_add_f32 v[24:25], v[20:21], s[36:37] op_sel_hi:[1,0] neg_lo:[1,0] neg_hi:[1,0]
	s_delay_alu instid0(VALU_DEP_1) | instskip(SKIP_1) | instid1(VALU_DEP_2)
	v_dual_cndmask_b32 v10, v23, v27, s6 :: v_dual_cndmask_b32 v1, v21, v25, s8
	s_wait_xcnt 0x0
	v_dual_cndmask_b32 v8, v20, v24, s5 :: v_dual_cndmask_b32 v20, v22, v26, s7
	v_cmp_ge_i64_e64 s5, v[14:15], v[2:3]
	s_delay_alu instid0(VALU_DEP_3) | instskip(NEXT) | instid1(VALU_DEP_3)
	v_dual_cndmask_b32 v11, v19, v10, s3 :: v_dual_cndmask_b32 v9, v17, v1, vcc_lo
	v_cndmask_b32_e64 v8, v16, v8, s4
	s_delay_alu instid0(VALU_DEP_4)
	v_cndmask_b32_e64 v10, v18, v20, s2
	s_or_b32 s23, s5, s23
	global_store_b128 v[12:13], v[8:11], off
	s_wait_xcnt 0x0
	s_and_not1_b32 exec_lo, exec_lo, s23
	s_cbranch_execnz .LBB41_3
.LBB41_4:
	s_or_b32 exec_lo, exec_lo, s9
	s_mov_b32 s2, 0
.LBB41_5:
	s_delay_alu instid0(SALU_CYCLE_1)
	s_and_not1_b32 vcc_lo, exec_lo, s2
	s_cbranch_vccnz .LBB41_25
; %bb.6:
	v_cmp_lt_i64_e64 s2, s[16:17], 1
	s_and_b32 vcc_lo, exec_lo, s2
	s_cbranch_vccnz .LBB41_25
; %bb.7:
	s_load_b32 s0, s[0:1], 0xc5c
	v_min_i64 v[2:3], 0x10000, s[16:17]
	v_min_u64 v[4:5], 0x10000, s[16:17]
	v_dual_mov_b32 v1, 0 :: v_dual_lshlrev_b32 v12, 2, v0
	s_mov_b32 s7, 0
	s_mov_b64 s[8:9], 0
	s_mov_b32 s5, s7
	s_delay_alu instid0(VALU_DEP_1) | instskip(SKIP_3) | instid1(VALU_DEP_1)
	v_dual_mov_b32 v13, v1 :: v_dual_mov_b32 v27, v1
	s_wait_xcnt 0x0
	s_mov_b32 s1, s7
	s_mov_b32 s3, s7
	v_add_nc_u64_e32 v[6:7], s[12:13], v[12:13]
	v_add_nc_u64_e32 v[8:9], s[14:15], v[12:13]
	s_wait_kmcnt 0x0
	s_and_b32 s6, s0, 0xffff
	s_delay_alu instid0(SALU_CYCLE_1)
	v_add_nc_u64_e32 v[10:11], s[6:7], v[0:1]
	v_mad_nc_u64_u32 v[22:23], s6, 12, v[12:13]
	s_lshl_b32 s4, s6, 3
	s_lshl_b32 s0, s6, 1
	v_add_nc_u64_e32 v[18:19], s[4:5], v[12:13]
	s_mul_i32 s2, s6, 3
	v_add_nc_u64_e32 v[14:15], s[0:1], v[0:1]
	v_lshlrev_b32_e32 v26, 2, v10
	v_add_nc_u64_e32 v[12:13], s[2:3], v[0:1]
	s_lshl_b32 s4, s6, 2
	s_lshl_b32 s6, s6, 4
	v_add_nc_u64_e32 v[16:17], s[12:13], v[18:19]
	v_add_nc_u64_e32 v[18:19], s[14:15], v[18:19]
	;; [unrolled: 1-line block ×6, first 2 shown]
	s_mov_b32 s12, 0x3d1c21a7
	s_branch .LBB41_9
.LBB41_8:                               ;   in Loop: Header=BB41_9 Depth=1
	s_wait_xcnt 0x0
	s_or_b32 exec_lo, exec_lo, s1
	s_add_nc_u64 s[8:9], s[8:9], s[4:5]
	v_add_nc_u64_e32 v[6:7], s[6:7], v[6:7]
	v_cmp_ge_i64_e32 vcc_lo, s[8:9], v[2:3]
	v_add_nc_u64_e32 v[8:9], s[6:7], v[8:9]
	v_add_nc_u64_e32 v[20:21], s[6:7], v[20:21]
	;; [unrolled: 1-line block ×7, first 2 shown]
	s_cbranch_vccnz .LBB41_25
.LBB41_9:                               ; =>This Inner Loop Header: Depth=1
	s_wait_loadcnt 0x0
	v_add_nc_u64_e32 v[28:29], s[8:9], v[0:1]
	v_mov_b32_e32 v31, 0
	s_delay_alu instid0(VALU_DEP_2)
	v_cmp_lt_u64_e64 s2, v[28:29], v[4:5]
	s_and_saveexec_b32 s0, s2
	s_cbranch_execz .LBB41_11
; %bb.10:                               ;   in Loop: Header=BB41_9 Depth=1
	v_add_nc_u64_e32 v[28:29], s[10:11], v[6:7]
	global_load_b32 v31, v[28:29], off
.LBB41_11:                              ;   in Loop: Header=BB41_9 Depth=1
	s_wait_xcnt 0x0
	s_or_b32 exec_lo, exec_lo, s0
	v_add_nc_u64_e32 v[28:29], s[8:9], v[10:11]
	v_mov_b32_e32 v30, 0
	s_delay_alu instid0(VALU_DEP_2)
	v_cmp_lt_u64_e64 s1, v[28:29], v[4:5]
	v_mov_b32_e32 v29, 0
	s_and_saveexec_b32 s0, s1
	s_cbranch_execz .LBB41_13
; %bb.12:                               ;   in Loop: Header=BB41_9 Depth=1
	v_add_nc_u64_e32 v[32:33], s[10:11], v[24:25]
	global_load_b32 v30, v[32:33], off
.LBB41_13:                              ;   in Loop: Header=BB41_9 Depth=1
	s_wait_xcnt 0x0
	s_or_b32 exec_lo, exec_lo, s0
	v_add_nc_u64_e32 v[32:33], s[8:9], v[14:15]
	s_delay_alu instid0(VALU_DEP_1)
	v_cmp_lt_u64_e64 s0, v[32:33], v[4:5]
	s_and_saveexec_b32 s3, s0
	s_cbranch_execz .LBB41_15
; %bb.14:                               ;   in Loop: Header=BB41_9 Depth=1
	v_add_nc_u64_e32 v[28:29], s[10:11], v[16:17]
	global_load_b32 v29, v[28:29], off
.LBB41_15:                              ;   in Loop: Header=BB41_9 Depth=1
	s_wait_xcnt 0x0
	s_or_b32 exec_lo, exec_lo, s3
	v_add_nc_u64_e32 v[32:33], s[8:9], v[12:13]
	v_mov_b32_e32 v28, 0
	s_delay_alu instid0(VALU_DEP_2)
	v_cmp_lt_u64_e32 vcc_lo, v[32:33], v[4:5]
	s_and_saveexec_b32 s3, vcc_lo
	s_cbranch_execnz .LBB41_20
; %bb.16:                               ;   in Loop: Header=BB41_9 Depth=1
	s_or_b32 exec_lo, exec_lo, s3
	s_and_saveexec_b32 s13, s2
	s_cbranch_execnz .LBB41_21
.LBB41_17:                              ;   in Loop: Header=BB41_9 Depth=1
	s_or_b32 exec_lo, exec_lo, s13
	s_and_saveexec_b32 s3, s1
	s_cbranch_execnz .LBB41_22
.LBB41_18:                              ;   in Loop: Header=BB41_9 Depth=1
	s_or_b32 exec_lo, exec_lo, s3
	s_and_saveexec_b32 s2, s0
	s_cbranch_execnz .LBB41_23
.LBB41_19:                              ;   in Loop: Header=BB41_9 Depth=1
	s_or_b32 exec_lo, exec_lo, s2
	s_and_saveexec_b32 s1, vcc_lo
	s_cbranch_execz .LBB41_8
	s_branch .LBB41_24
.LBB41_20:                              ;   in Loop: Header=BB41_9 Depth=1
	v_add_nc_u64_e32 v[32:33], s[10:11], v[20:21]
	global_load_b32 v28, v[32:33], off
	s_wait_xcnt 0x0
	s_or_b32 exec_lo, exec_lo, s3
	s_and_saveexec_b32 s13, s2
	s_cbranch_execz .LBB41_17
.LBB41_21:                              ;   in Loop: Header=BB41_9 Depth=1
	s_wait_loadcnt 0x0
	v_fma_f32 v32, |v31|, -0.5, 0.5
	v_mul_f32_e32 v33, v31, v31
	v_cmp_gt_f32_e64 s2, |v31|, 0.5
	v_cmp_gt_f32_e64 s3, 0, v31
	s_delay_alu instid0(VALU_DEP_2) | instskip(NEXT) | instid1(VALU_DEP_1)
	v_cndmask_b32_e64 v32, v33, v32, s2
	v_fmaak_f32 v33, s12, v32, 0x3c5fc5da
	v_sqrt_f32_e32 v34, v32
	s_delay_alu instid0(VALU_DEP_1) | instskip(NEXT) | instid1(VALU_DEP_1)
	v_fmaak_f32 v33, v32, v33, 0x3d034c3c
	v_fmaak_f32 v33, v32, v33, 0x3d3641b1
	s_delay_alu instid0(VALU_DEP_1) | instskip(NEXT) | instid1(VALU_DEP_1)
	v_fmaak_f32 v33, v32, v33, 0x3d999bc8
	v_fmaak_f32 v33, v32, v33, 0x3e2aaaac
	s_delay_alu instid0(VALU_DEP_1)
	v_mul_f32_e32 v32, v32, v33
	s_delay_alu instid0(TRANS32_DEP_1) | instid1(VALU_DEP_1)
	v_fmac_f32_e32 v34, v34, v32
	s_delay_alu instid0(VALU_DEP_1) | instskip(NEXT) | instid1(VALU_DEP_1)
	v_add_f32_e32 v33, v34, v34
	v_sub_f32_e32 v34, 0x40490fdb, v33
	s_delay_alu instid0(VALU_DEP_1) | instskip(SKIP_1) | instid1(VALU_DEP_2)
	v_dual_cndmask_b32 v34, v33, v34, s3 :: v_dual_fmac_f32 v31, v31, v32
	v_add_nc_u64_e32 v[32:33], s[10:11], v[8:9]
	v_sub_f32_e32 v31, 0x3fc90fdb, v31
	s_delay_alu instid0(VALU_DEP_1)
	v_cndmask_b32_e64 v31, v31, v34, s2
	global_store_b32 v[32:33], v31, off
	s_wait_xcnt 0x0
	s_or_b32 exec_lo, exec_lo, s13
	s_and_saveexec_b32 s3, s1
	s_cbranch_execz .LBB41_18
.LBB41_22:                              ;   in Loop: Header=BB41_9 Depth=1
	s_wait_loadcnt 0x0
	v_fma_f32 v31, |v30|, -0.5, 0.5
	v_mul_f32_e32 v32, v30, v30
	v_cmp_gt_f32_e64 s1, |v30|, 0.5
	v_cmp_gt_f32_e64 s2, 0, v30
	s_delay_alu instid0(VALU_DEP_2) | instskip(NEXT) | instid1(VALU_DEP_1)
	v_cndmask_b32_e64 v31, v32, v31, s1
	v_fmaak_f32 v32, s12, v31, 0x3c5fc5da
	v_sqrt_f32_e32 v33, v31
	s_delay_alu instid0(VALU_DEP_1) | instskip(NEXT) | instid1(VALU_DEP_1)
	v_fmaak_f32 v32, v31, v32, 0x3d034c3c
	v_fmaak_f32 v32, v31, v32, 0x3d3641b1
	s_delay_alu instid0(VALU_DEP_1) | instskip(NEXT) | instid1(VALU_DEP_1)
	v_fmaak_f32 v32, v31, v32, 0x3d999bc8
	v_fmaak_f32 v32, v31, v32, 0x3e2aaaac
	s_delay_alu instid0(VALU_DEP_1)
	v_mul_f32_e32 v31, v31, v32
	s_delay_alu instid0(TRANS32_DEP_1) | instid1(VALU_DEP_1)
	v_fmac_f32_e32 v33, v33, v31
	s_delay_alu instid0(VALU_DEP_1) | instskip(NEXT) | instid1(VALU_DEP_1)
	v_add_f32_e32 v32, v33, v33
	v_sub_f32_e32 v33, 0x40490fdb, v32
	s_delay_alu instid0(VALU_DEP_1) | instskip(NEXT) | instid1(VALU_DEP_1)
	v_dual_cndmask_b32 v32, v32, v33, s2 :: v_dual_fmac_f32 v30, v30, v31
	v_sub_f32_e32 v33, 0x3fc90fdb, v30
	v_add_nc_u64_e32 v[30:31], s[10:11], v[26:27]
	s_delay_alu instid0(VALU_DEP_2)
	v_cndmask_b32_e64 v32, v33, v32, s1
	global_store_b32 v[30:31], v32, off
	s_wait_xcnt 0x0
	s_or_b32 exec_lo, exec_lo, s3
	s_and_saveexec_b32 s2, s0
	s_cbranch_execz .LBB41_19
.LBB41_23:                              ;   in Loop: Header=BB41_9 Depth=1
	s_wait_loadcnt 0x0
	v_fma_f32 v30, |v29|, -0.5, 0.5
	v_mul_f32_e32 v31, v29, v29
	v_cmp_gt_f32_e64 s0, |v29|, 0.5
	v_cmp_gt_f32_e64 s1, 0, v29
	s_delay_alu instid0(VALU_DEP_2) | instskip(NEXT) | instid1(VALU_DEP_1)
	v_cndmask_b32_e64 v30, v31, v30, s0
	v_fmaak_f32 v31, s12, v30, 0x3c5fc5da
	v_sqrt_f32_e32 v32, v30
	s_delay_alu instid0(VALU_DEP_1) | instskip(NEXT) | instid1(VALU_DEP_1)
	v_fmaak_f32 v31, v30, v31, 0x3d034c3c
	v_fmaak_f32 v31, v30, v31, 0x3d3641b1
	s_delay_alu instid0(VALU_DEP_1) | instskip(NEXT) | instid1(VALU_DEP_1)
	v_fmaak_f32 v31, v30, v31, 0x3d999bc8
	v_fmaak_f32 v31, v30, v31, 0x3e2aaaac
	s_delay_alu instid0(VALU_DEP_1)
	v_mul_f32_e32 v30, v30, v31
	s_delay_alu instid0(TRANS32_DEP_1) | instid1(VALU_DEP_1)
	v_fmac_f32_e32 v32, v32, v30
	s_delay_alu instid0(VALU_DEP_1) | instskip(NEXT) | instid1(VALU_DEP_1)
	v_add_f32_e32 v31, v32, v32
	v_sub_f32_e32 v32, 0x40490fdb, v31
	s_delay_alu instid0(VALU_DEP_1) | instskip(SKIP_1) | instid1(VALU_DEP_2)
	v_dual_cndmask_b32 v32, v31, v32, s1 :: v_dual_fmac_f32 v29, v29, v30
	v_add_nc_u64_e32 v[30:31], s[10:11], v[18:19]
	v_sub_f32_e32 v29, 0x3fc90fdb, v29
	s_delay_alu instid0(VALU_DEP_1)
	v_cndmask_b32_e64 v29, v29, v32, s0
	global_store_b32 v[30:31], v29, off
	s_wait_xcnt 0x0
	s_or_b32 exec_lo, exec_lo, s2
	s_and_saveexec_b32 s1, vcc_lo
	s_cbranch_execz .LBB41_8
.LBB41_24:                              ;   in Loop: Header=BB41_9 Depth=1
	s_wait_loadcnt 0x0
	v_fma_f32 v29, |v28|, -0.5, 0.5
	v_mul_f32_e32 v30, v28, v28
	v_cmp_gt_f32_e64 vcc_lo, |v28|, 0.5
	v_cmp_gt_f32_e64 s0, 0, v28
	s_delay_alu instid0(VALU_DEP_3) | instskip(NEXT) | instid1(VALU_DEP_1)
	v_cndmask_b32_e32 v29, v30, v29, vcc_lo
	v_fmaak_f32 v30, s12, v29, 0x3c5fc5da
	v_sqrt_f32_e32 v31, v29
	s_delay_alu instid0(VALU_DEP_1) | instskip(NEXT) | instid1(VALU_DEP_1)
	v_fmaak_f32 v30, v29, v30, 0x3d034c3c
	v_fmaak_f32 v30, v29, v30, 0x3d3641b1
	s_delay_alu instid0(VALU_DEP_1) | instskip(NEXT) | instid1(VALU_DEP_1)
	v_fmaak_f32 v30, v29, v30, 0x3d999bc8
	v_fmaak_f32 v30, v29, v30, 0x3e2aaaac
	s_delay_alu instid0(VALU_DEP_1)
	v_mul_f32_e32 v29, v29, v30
	s_delay_alu instid0(TRANS32_DEP_1) | instid1(VALU_DEP_1)
	v_fmac_f32_e32 v31, v31, v29
	s_delay_alu instid0(VALU_DEP_1) | instskip(NEXT) | instid1(VALU_DEP_1)
	v_add_f32_e32 v30, v31, v31
	v_sub_f32_e32 v31, 0x40490fdb, v30
	s_delay_alu instid0(VALU_DEP_1) | instskip(NEXT) | instid1(VALU_DEP_1)
	v_dual_cndmask_b32 v30, v30, v31, s0 :: v_dual_fmac_f32 v28, v28, v29
	v_sub_f32_e32 v31, 0x3fc90fdb, v28
	v_add_nc_u64_e32 v[28:29], s[10:11], v[22:23]
	s_delay_alu instid0(VALU_DEP_2)
	v_cndmask_b32_e32 v30, v31, v30, vcc_lo
	global_store_b32 v[28:29], v30, off
	s_branch .LBB41_8
.LBB41_25:
	s_endpgm
	.section	.rodata,"a",@progbits
	.p2align	6, 0x0
	.amdhsa_kernel _ZN2at6native12_GLOBAL__N_125multi_tensor_apply_kernelINS1_18TensorListMetadataILi2EEENS1_14UnaryOpFunctorIfLi2ELi1ELi1EEEJNS0_4AcosIfEEEEEvT_T0_DpT1_
		.amdhsa_group_segment_fixed_size 0
		.amdhsa_private_segment_fixed_size 0
		.amdhsa_kernarg_size 3408
		.amdhsa_user_sgpr_count 2
		.amdhsa_user_sgpr_dispatch_ptr 0
		.amdhsa_user_sgpr_queue_ptr 0
		.amdhsa_user_sgpr_kernarg_segment_ptr 1
		.amdhsa_user_sgpr_dispatch_id 0
		.amdhsa_user_sgpr_kernarg_preload_length 0
		.amdhsa_user_sgpr_kernarg_preload_offset 0
		.amdhsa_user_sgpr_private_segment_size 0
		.amdhsa_wavefront_size32 1
		.amdhsa_uses_dynamic_stack 0
		.amdhsa_enable_private_segment 0
		.amdhsa_system_sgpr_workgroup_id_x 1
		.amdhsa_system_sgpr_workgroup_id_y 0
		.amdhsa_system_sgpr_workgroup_id_z 0
		.amdhsa_system_sgpr_workgroup_info 0
		.amdhsa_system_vgpr_workitem_id 0
		.amdhsa_next_free_vgpr 35
		.amdhsa_next_free_sgpr 42
		.amdhsa_named_barrier_count 0
		.amdhsa_reserve_vcc 1
		.amdhsa_float_round_mode_32 0
		.amdhsa_float_round_mode_16_64 0
		.amdhsa_float_denorm_mode_32 3
		.amdhsa_float_denorm_mode_16_64 3
		.amdhsa_fp16_overflow 0
		.amdhsa_memory_ordered 1
		.amdhsa_forward_progress 1
		.amdhsa_inst_pref_size 17
		.amdhsa_round_robin_scheduling 0
		.amdhsa_exception_fp_ieee_invalid_op 0
		.amdhsa_exception_fp_denorm_src 0
		.amdhsa_exception_fp_ieee_div_zero 0
		.amdhsa_exception_fp_ieee_overflow 0
		.amdhsa_exception_fp_ieee_underflow 0
		.amdhsa_exception_fp_ieee_inexact 0
		.amdhsa_exception_int_div_zero 0
	.end_amdhsa_kernel
	.section	.text._ZN2at6native12_GLOBAL__N_125multi_tensor_apply_kernelINS1_18TensorListMetadataILi2EEENS1_14UnaryOpFunctorIfLi2ELi1ELi1EEEJNS0_4AcosIfEEEEEvT_T0_DpT1_,"axG",@progbits,_ZN2at6native12_GLOBAL__N_125multi_tensor_apply_kernelINS1_18TensorListMetadataILi2EEENS1_14UnaryOpFunctorIfLi2ELi1ELi1EEEJNS0_4AcosIfEEEEEvT_T0_DpT1_,comdat
.Lfunc_end41:
	.size	_ZN2at6native12_GLOBAL__N_125multi_tensor_apply_kernelINS1_18TensorListMetadataILi2EEENS1_14UnaryOpFunctorIfLi2ELi1ELi1EEEJNS0_4AcosIfEEEEEvT_T0_DpT1_, .Lfunc_end41-_ZN2at6native12_GLOBAL__N_125multi_tensor_apply_kernelINS1_18TensorListMetadataILi2EEENS1_14UnaryOpFunctorIfLi2ELi1ELi1EEEJNS0_4AcosIfEEEEEvT_T0_DpT1_
                                        ; -- End function
	.set _ZN2at6native12_GLOBAL__N_125multi_tensor_apply_kernelINS1_18TensorListMetadataILi2EEENS1_14UnaryOpFunctorIfLi2ELi1ELi1EEEJNS0_4AcosIfEEEEEvT_T0_DpT1_.num_vgpr, 35
	.set _ZN2at6native12_GLOBAL__N_125multi_tensor_apply_kernelINS1_18TensorListMetadataILi2EEENS1_14UnaryOpFunctorIfLi2ELi1ELi1EEEJNS0_4AcosIfEEEEEvT_T0_DpT1_.num_agpr, 0
	.set _ZN2at6native12_GLOBAL__N_125multi_tensor_apply_kernelINS1_18TensorListMetadataILi2EEENS1_14UnaryOpFunctorIfLi2ELi1ELi1EEEJNS0_4AcosIfEEEEEvT_T0_DpT1_.numbered_sgpr, 42
	.set _ZN2at6native12_GLOBAL__N_125multi_tensor_apply_kernelINS1_18TensorListMetadataILi2EEENS1_14UnaryOpFunctorIfLi2ELi1ELi1EEEJNS0_4AcosIfEEEEEvT_T0_DpT1_.num_named_barrier, 0
	.set _ZN2at6native12_GLOBAL__N_125multi_tensor_apply_kernelINS1_18TensorListMetadataILi2EEENS1_14UnaryOpFunctorIfLi2ELi1ELi1EEEJNS0_4AcosIfEEEEEvT_T0_DpT1_.private_seg_size, 0
	.set _ZN2at6native12_GLOBAL__N_125multi_tensor_apply_kernelINS1_18TensorListMetadataILi2EEENS1_14UnaryOpFunctorIfLi2ELi1ELi1EEEJNS0_4AcosIfEEEEEvT_T0_DpT1_.uses_vcc, 1
	.set _ZN2at6native12_GLOBAL__N_125multi_tensor_apply_kernelINS1_18TensorListMetadataILi2EEENS1_14UnaryOpFunctorIfLi2ELi1ELi1EEEJNS0_4AcosIfEEEEEvT_T0_DpT1_.uses_flat_scratch, 0
	.set _ZN2at6native12_GLOBAL__N_125multi_tensor_apply_kernelINS1_18TensorListMetadataILi2EEENS1_14UnaryOpFunctorIfLi2ELi1ELi1EEEJNS0_4AcosIfEEEEEvT_T0_DpT1_.has_dyn_sized_stack, 0
	.set _ZN2at6native12_GLOBAL__N_125multi_tensor_apply_kernelINS1_18TensorListMetadataILi2EEENS1_14UnaryOpFunctorIfLi2ELi1ELi1EEEJNS0_4AcosIfEEEEEvT_T0_DpT1_.has_recursion, 0
	.set _ZN2at6native12_GLOBAL__N_125multi_tensor_apply_kernelINS1_18TensorListMetadataILi2EEENS1_14UnaryOpFunctorIfLi2ELi1ELi1EEEJNS0_4AcosIfEEEEEvT_T0_DpT1_.has_indirect_call, 0
	.section	.AMDGPU.csdata,"",@progbits
; Kernel info:
; codeLenInByte = 2176
; TotalNumSgprs: 44
; NumVgprs: 35
; ScratchSize: 0
; MemoryBound: 0
; FloatMode: 240
; IeeeMode: 1
; LDSByteSize: 0 bytes/workgroup (compile time only)
; SGPRBlocks: 0
; VGPRBlocks: 2
; NumSGPRsForWavesPerEU: 44
; NumVGPRsForWavesPerEU: 35
; NamedBarCnt: 0
; Occupancy: 16
; WaveLimiterHint : 0
; COMPUTE_PGM_RSRC2:SCRATCH_EN: 0
; COMPUTE_PGM_RSRC2:USER_SGPR: 2
; COMPUTE_PGM_RSRC2:TRAP_HANDLER: 0
; COMPUTE_PGM_RSRC2:TGID_X_EN: 1
; COMPUTE_PGM_RSRC2:TGID_Y_EN: 0
; COMPUTE_PGM_RSRC2:TGID_Z_EN: 0
; COMPUTE_PGM_RSRC2:TIDIG_COMP_CNT: 0
	.section	.text._ZN2at6native12_GLOBAL__N_125multi_tensor_apply_kernelINS1_18TensorListMetadataILi2EEENS1_14UnaryOpFunctorIN3c107complexIdEELi2ELi1ELi1EEEJNS0_4AcosIS8_EEEEEvT_T0_DpT1_,"axG",@progbits,_ZN2at6native12_GLOBAL__N_125multi_tensor_apply_kernelINS1_18TensorListMetadataILi2EEENS1_14UnaryOpFunctorIN3c107complexIdEELi2ELi1ELi1EEEJNS0_4AcosIS8_EEEEEvT_T0_DpT1_,comdat
	.globl	_ZN2at6native12_GLOBAL__N_125multi_tensor_apply_kernelINS1_18TensorListMetadataILi2EEENS1_14UnaryOpFunctorIN3c107complexIdEELi2ELi1ELi1EEEJNS0_4AcosIS8_EEEEEvT_T0_DpT1_ ; -- Begin function _ZN2at6native12_GLOBAL__N_125multi_tensor_apply_kernelINS1_18TensorListMetadataILi2EEENS1_14UnaryOpFunctorIN3c107complexIdEELi2ELi1ELi1EEEJNS0_4AcosIS8_EEEEEvT_T0_DpT1_
	.p2align	8
	.type	_ZN2at6native12_GLOBAL__N_125multi_tensor_apply_kernelINS1_18TensorListMetadataILi2EEENS1_14UnaryOpFunctorIN3c107complexIdEELi2ELi1ELi1EEEJNS0_4AcosIS8_EEEEEvT_T0_DpT1_,@function
_ZN2at6native12_GLOBAL__N_125multi_tensor_apply_kernelINS1_18TensorListMetadataILi2EEENS1_14UnaryOpFunctorIN3c107complexIdEELi2ELi1ELi1EEEJNS0_4AcosIS8_EEEEEvT_T0_DpT1_: ; @_ZN2at6native12_GLOBAL__N_125multi_tensor_apply_kernelINS1_18TensorListMetadataILi2EEENS1_14UnaryOpFunctorIN3c107complexIdEELi2ELi1ELi1EEEJNS0_4AcosIS8_EEEEEvT_T0_DpT1_
; %bb.0:
	s_bfe_u32 s2, ttmp6, 0x4000c
	s_and_b32 s3, ttmp6, 15
	s_add_co_i32 s2, s2, 1
	s_getreg_b32 s4, hwreg(HW_REG_IB_STS2, 6, 4)
	s_mul_i32 s2, ttmp9, s2
	s_delay_alu instid0(SALU_CYCLE_1)
	s_add_co_i32 s3, s3, s2
	s_cmp_eq_u32 s4, 0
	s_cselect_b32 s2, ttmp9, s3
	s_mov_b32 s3, 0
	s_load_u8 s14, s[0:1], s2 offset:0x600
	s_add_nc_u64 s[4:5], s[0:1], s[2:3]
	s_mul_u64 s[6:7], s[2:3], 3
	s_delay_alu instid0(SALU_CYCLE_1)
	s_add_nc_u64 s[4:5], s[4:5], s[6:7]
	s_load_b32 s6, s[4:5], 0x740
	s_wait_kmcnt 0x0
	s_clause 0x2
	s_load_b64 s[8:9], s[0:1], s14 offset:0x0 scale_offset
	s_load_b64 s[10:11], s[0:1], s14 offset:0x200 scale_offset
	;; [unrolled: 1-line block ×3, first 2 shown]
	s_ashr_i32 s7, s6, 31
	s_delay_alu instid0(SALU_CYCLE_1)
	s_lshl_b64 s[4:5], s[6:7], 20
	s_lshl_b64 s[6:7], s[6:7], 16
	s_wait_kmcnt 0x0
	s_add_nc_u64 s[10:11], s[10:11], s[4:5]
	s_add_nc_u64 s[8:9], s[8:9], s[4:5]
	s_and_b32 s4, s12, 3
	s_and_b64 s[14:15], s[10:11], 63
	s_mov_b32 s5, s3
	s_and_b32 s2, s8, 63
	s_or_b64 s[4:5], s[14:15], s[4:5]
	s_sub_nc_u64 s[6:7], s[12:13], s[6:7]
	s_or_b64 s[2:3], s[4:5], s[2:3]
	s_delay_alu instid0(SALU_CYCLE_1)
	s_cmp_eq_u64 s[2:3], 0
	s_mov_b32 s2, -1
	s_cbranch_scc0 .LBB42_413
; %bb.1:
	v_min_i64 v[22:23], 0x10000, s[6:7]
	v_dual_mov_b32 v3, 0 :: v_dual_lshlrev_b32 v2, 2, v0
	s_mov_b32 s33, exec_lo
	s_delay_alu instid0(VALU_DEP_1)
	v_cmpx_lt_i64_e64 v[2:3], v[22:23]
	s_cbranch_execz .LBB42_412
; %bb.2:
	v_mbcnt_lo_u32_b32 v1, -1, 0
	v_mov_b32_e32 v4, 8
	v_mov_b64_e32 v[24:25], 0x3c91a62633145c07
	v_mov_b64_e32 v[28:29], 0x3fc385386b47b09a
	;; [unrolled: 1-line block ×3, first 2 shown]
	v_dual_lshlrev_b32 v5, 20, v1 :: v_dual_mov_b32 v1, v3
	v_mov_b32_e32 v58, 0xd800000
	v_mov_b64_e32 v[36:37], 0xbf23e260bd3237f4
	v_mov_b32_e32 v60, 0x4002d97c
	s_delay_alu instid0(VALU_DEP_4) | instskip(SKIP_4) | instid1(VALU_DEP_2)
	v_add_nc_u64_e32 v[26:27], src_flat_scratch_base_lo, v[4:5]
	v_dual_mov_b32 v4, 0 :: v_dual_mov_b32 v59, 0x7f3321d2
	v_mov_b64_e32 v[38:39], v[0:1]
	s_mov_b64 s[12:13], 0x3e43988e1409212f
	s_mov_b64 s[14:15], 0x3fe5555555555555
	v_add_nc_u64_e32 v[30:31], src_flat_scratch_base_lo, v[4:5]
	v_mov_b32_e32 v4, 4
	s_mov_b64 s[16:17], 0x3fe62e42fefa39ef
	s_mov_b64 s[18:19], 0x3fe488ce703afb7f
	;; [unrolled: 1-line block ×4, first 2 shown]
	v_add_nc_u64_e32 v[34:35], src_flat_scratch_base_lo, v[4:5]
	s_mov_b64 s[24:25], 0x3ffdd9ad336a0500
	s_mov_b64 s[26:27], 0x3ff921fb54442d18
	;; [unrolled: 1-line block ×5, first 2 shown]
	s_add_nc_u64 s[36:37], s[0:1], 0xc50
	s_mov_b32 s5, 0
	s_mov_b32 s38, 0
                                        ; implicit-def: $vgpr2_vgpr3
                                        ; implicit-def: $vgpr2_vgpr3
	;; [unrolled: 1-line block ×33, first 2 shown]
	s_branch .LBB42_5
.LBB42_3:                               ;   in Loop: Header=BB42_5 Depth=1
	s_or_b32 exec_lo, exec_lo, s3
.LBB42_4:                               ;   in Loop: Header=BB42_5 Depth=1
	s_delay_alu instid0(SALU_CYCLE_1)
	s_or_b32 exec_lo, exec_lo, s2
	v_add_nc_u64_e32 v[2:3], s[10:11], v[40:41]
	s_clause 0x3
	global_store_b128 v[2:3], v[6:9], off
	global_store_b128 v[2:3], v[14:17], off offset:16
	global_store_b128 v[2:3], v[18:21], off offset:32
	global_store_b128 v[2:3], v[10:13], off offset:48
	s_load_b32 s2, s[36:37], 0xc
	s_wait_kmcnt 0x0
	s_and_b32 s4, s2, 0xffff
	s_delay_alu instid0(SALU_CYCLE_1) | instskip(NEXT) | instid1(VALU_DEP_1)
	v_add_nc_u64_e32 v[38:39], s[4:5], v[38:39]
	v_lshlrev_b64_e32 v[2:3], 2, v[38:39]
	s_delay_alu instid0(VALU_DEP_1) | instskip(SKIP_1) | instid1(SALU_CYCLE_1)
	v_cmp_ge_i64_e32 vcc_lo, v[2:3], v[22:23]
	s_or_b32 s38, vcc_lo, s38
	s_and_not1_b32 exec_lo, exec_lo, s38
	s_cbranch_execz .LBB42_412
.LBB42_5:                               ; =>This Inner Loop Header: Depth=1
	v_lshlrev_b64_e32 v[40:41], 6, v[38:39]
	s_mov_b32 s2, exec_lo
	s_delay_alu instid0(VALU_DEP_1)
	v_add_nc_u64_e32 v[6:7], s[8:9], v[40:41]
	s_clause 0x3
	global_load_b128 v[14:17], v[6:7], off
	global_load_b128 v[18:21], v[6:7], off offset:16
	global_load_b128 v[2:5], v[6:7], off offset:48
	global_load_b128 v[10:13], v[6:7], off offset:32
	flat_store_b64 v[26:27], v[24:25] scope:SCOPE_SYS
	s_wait_storecnt 0x0
                                        ; implicit-def: $vgpr8_vgpr9
	s_wait_loadcnt 0x3
	s_wait_xcnt 0x0
	v_cmpx_o_f64_e32 v[14:15], v[16:17]
	s_xor_b32 s39, exec_lo, s2
	s_cbranch_execz .LBB42_93
; %bb.6:                                ;   in Loop: Header=BB42_5 Depth=1
	v_max_num_f64_e64 v[46:47], |v[16:17]|, |v[16:17]|
	v_max_num_f64_e64 v[44:45], |v[14:15]|, |v[14:15]|
	v_cmp_gt_i64_e64 s2, 0, v[16:17]
                                        ; implicit-def: $vgpr8_vgpr9
	s_mov_b32 s3, exec_lo
	v_max_num_f64_e32 v[42:43], v[44:45], v[46:47]
	s_delay_alu instid0(VALU_DEP_1)
	v_cmpx_nlt_f64_e32 0x43300000, v[42:43]
	s_xor_b32 s40, exec_lo, s3
	s_cbranch_execz .LBB42_82
; %bb.7:                                ;   in Loop: Header=BB42_5 Depth=1
	v_cmp_neq_f64_e32 vcc_lo, 1.0, v[14:15]
	v_cmp_neq_f64_e64 s3, 0, v[16:17]
	v_xor_b32_e32 v9, 0x80000000, v17
	v_mov_b32_e32 v8, v16
	s_or_b32 s3, vcc_lo, s3
	s_delay_alu instid0(SALU_CYCLE_1) | instskip(NEXT) | instid1(SALU_CYCLE_1)
	s_and_saveexec_b32 s4, s3
	s_xor_b32 s41, exec_lo, s4
	s_cbranch_execz .LBB42_79
; %bb.8:                                ;   in Loop: Header=BB42_5 Depth=1
	flat_store_b32 v[30:31], v58 scope:SCOPE_SYS
	s_wait_storecnt_dscnt 0x2
	flat_load_b32 v1, v[30:31] scope:SCOPE_SYS
	s_wait_loadcnt 0x0
	v_cmp_nlt_f64_e64 s3, |v[14:15]|, s[12:13]
	v_cmp_nlt_f64_e64 s4, |v[16:17]|, s[12:13]
	v_mov_b32_e32 v8, v16
	s_or_b32 s3, s3, s4
	s_wait_dscnt 0x0
	v_add_f32_e32 v1, 1.0, v1
	flat_store_b32 v[34:35], v1 scope:SCOPE_SYS
	s_wait_storecnt 0x0
	flat_load_b32 v1, v[34:35] scope:SCOPE_SYS
	s_wait_loadcnt 0x0
	s_wait_xcnt 0x0
	s_and_saveexec_b32 s4, s3
	s_delay_alu instid0(SALU_CYCLE_1)
	s_xor_b32 s42, exec_lo, s4
	s_cbranch_execz .LBB42_76
; %bb.9:                                ;   in Loop: Header=BB42_5 Depth=1
	v_add_f64_e64 v[6:7], |v[14:15]|, -1.0
	v_add_f64_e64 v[44:45], |v[14:15]|, 1.0
	s_delay_alu instid0(VALU_DEP_2) | instskip(NEXT) | instid1(VALU_DEP_1)
	v_max_num_f64_e64 v[42:43], v[46:47], |v[6:7]|
	v_frexp_exp_i32_f64_e32 v61, v[42:43]
	s_delay_alu instid0(VALU_DEP_1) | instskip(NEXT) | instid1(VALU_DEP_1)
	v_sub_nc_u32_e32 v48, 0, v61
	v_ldexp_f64 v[42:43], |v[6:7]|, v48
	s_delay_alu instid0(VALU_DEP_1) | instskip(SKIP_1) | instid1(VALU_DEP_1)
	v_mul_f64_e32 v[42:43], v[42:43], v[42:43]
	v_ldexp_f64 v[48:49], |v[16:17]|, v48
	v_fmac_f64_e32 v[42:43], v[48:49], v[48:49]
	s_delay_alu instid0(VALU_DEP_1) | instskip(SKIP_1) | instid1(TRANS32_DEP_1)
	v_rsq_f64_e32 v[48:49], v[42:43]
	v_cmp_eq_f64_e64 s3, 0, v[42:43]
	v_mul_f64_e32 v[52:53], v[42:43], v[48:49]
	v_mul_f64_e32 v[48:49], 0.5, v[48:49]
	s_delay_alu instid0(VALU_DEP_1) | instskip(NEXT) | instid1(VALU_DEP_1)
	v_fma_f64 v[56:57], -v[48:49], v[52:53], 0.5
	v_fmac_f64_e32 v[52:53], v[52:53], v[56:57]
	v_fmac_f64_e32 v[48:49], v[48:49], v[56:57]
	s_delay_alu instid0(VALU_DEP_2) | instskip(NEXT) | instid1(VALU_DEP_1)
	v_fma_f64 v[56:57], -v[52:53], v[52:53], v[42:43]
	v_fmac_f64_e32 v[52:53], v[56:57], v[48:49]
	s_delay_alu instid0(VALU_DEP_1) | instskip(SKIP_1) | instid1(VALU_DEP_1)
	v_dual_max_num_f64 v[8:9], v[46:47], v[44:45] :: v_dual_cndmask_b32 v43, v53, v43, s3
	s_wait_dscnt 0x0
	v_frexp_exp_i32_f64_e32 v1, v[8:9]
	s_delay_alu instid0(VALU_DEP_3) | instskip(SKIP_1) | instid1(VALU_DEP_2)
	v_cndmask_b32_e64 v42, v52, v42, s3
	v_cmp_neq_f64_e64 s3, 0x7ff00000, |v[6:7]|
	v_ldexp_f64 v[42:43], v[42:43], v61
	s_delay_alu instid0(VALU_DEP_4) | instskip(NEXT) | instid1(VALU_DEP_1)
	v_sub_nc_u32_e32 v46, 0, v1
	v_ldexp_f64 v[8:9], v[44:45], v46
	v_ldexp_f64 v[46:47], |v[16:17]|, v46
	s_delay_alu instid0(VALU_DEP_2) | instskip(NEXT) | instid1(VALU_DEP_1)
	v_mul_f64_e32 v[8:9], v[8:9], v[8:9]
	v_fmac_f64_e32 v[8:9], v[46:47], v[46:47]
	s_delay_alu instid0(VALU_DEP_1) | instskip(SKIP_1) | instid1(TRANS32_DEP_1)
	v_rsq_f64_e32 v[46:47], v[8:9]
	v_cmp_eq_f64_e32 vcc_lo, 0, v[8:9]
	v_mul_f64_e32 v[50:51], v[8:9], v[46:47]
	v_mul_f64_e32 v[46:47], 0.5, v[46:47]
	s_delay_alu instid0(VALU_DEP_1) | instskip(NEXT) | instid1(VALU_DEP_1)
	v_fma_f64 v[54:55], -v[46:47], v[50:51], 0.5
	v_fmac_f64_e32 v[50:51], v[50:51], v[54:55]
	v_fmac_f64_e32 v[46:47], v[46:47], v[54:55]
	s_delay_alu instid0(VALU_DEP_2) | instskip(NEXT) | instid1(VALU_DEP_1)
	v_fma_f64 v[54:55], -v[50:51], v[50:51], v[8:9]
	v_fmac_f64_e32 v[50:51], v[54:55], v[46:47]
	v_cndmask_b32_e64 v47, 0x7ff00000, v43, s3
	v_cndmask_b32_e64 v46, 0, v42, s3
	s_mov_b32 s3, exec_lo
	s_delay_alu instid0(VALU_DEP_3) | instskip(SKIP_1) | instid1(VALU_DEP_2)
	v_dual_cndmask_b32 v9, v51, v9 :: v_dual_cndmask_b32 v8, v50, v8
	v_cmp_neq_f64_e32 vcc_lo, 0x7ff00000, v[44:45]
	v_ldexp_f64 v[8:9], v[8:9], v1
	s_delay_alu instid0(VALU_DEP_1) | instskip(NEXT) | instid1(VALU_DEP_2)
	v_cndmask_b32_e32 v49, 0x7ff00000, v9, vcc_lo
	v_cndmask_b32_e32 v48, 0, v8, vcc_lo
	s_delay_alu instid0(VALU_DEP_1) | instskip(NEXT) | instid1(VALU_DEP_1)
	v_add_f64_e32 v[8:9], v[48:49], v[46:47]
	v_mul_f64_e32 v[8:9], 0.5, v[8:9]
	s_delay_alu instid0(VALU_DEP_1) | instskip(SKIP_2) | instid1(VALU_DEP_1)
	v_cmp_ngt_f64_e32 vcc_lo, 1.0, v[8:9]
	v_cndmask_b32_e32 v43, 0x3ff00000, v9, vcc_lo
	v_cndmask_b32_e32 v42, 0, v8, vcc_lo
                                        ; implicit-def: $vgpr8_vgpr9
	v_cmpx_ngt_f64_e32 0x40240000, v[42:43]
	s_xor_b32 s3, exec_lo, s3
	s_cbranch_execz .LBB42_11
; %bb.10:                               ;   in Loop: Header=BB42_5 Depth=1
	v_fma_f64 v[8:9], v[42:43], v[42:43], -1.0
	s_delay_alu instid0(VALU_DEP_1) | instskip(SKIP_1) | instid1(VALU_DEP_1)
	v_cmp_gt_f64_e32 vcc_lo, 0x10000000, v[8:9]
	v_cndmask_b32_e64 v1, 0, 0x100, vcc_lo
	v_ldexp_f64 v[8:9], v[8:9], v1
	v_cndmask_b32_e64 v1, 0, 0xffffff80, vcc_lo
	s_delay_alu instid0(VALU_DEP_2) | instskip(SKIP_1) | instid1(TRANS32_DEP_1)
	v_rsq_f64_e32 v[50:51], v[8:9]
	v_cmp_class_f64_e64 vcc_lo, v[8:9], 0x260
	v_mul_f64_e32 v[52:53], v[8:9], v[50:51]
	v_mul_f64_e32 v[50:51], 0.5, v[50:51]
	s_delay_alu instid0(VALU_DEP_1) | instskip(NEXT) | instid1(VALU_DEP_1)
	v_fma_f64 v[54:55], -v[50:51], v[52:53], 0.5
	v_fmac_f64_e32 v[52:53], v[52:53], v[54:55]
	v_fmac_f64_e32 v[50:51], v[50:51], v[54:55]
	s_delay_alu instid0(VALU_DEP_2) | instskip(NEXT) | instid1(VALU_DEP_1)
	v_fma_f64 v[54:55], -v[52:53], v[52:53], v[8:9]
	v_fmac_f64_e32 v[52:53], v[54:55], v[50:51]
	s_delay_alu instid0(VALU_DEP_1) | instskip(NEXT) | instid1(VALU_DEP_1)
	v_fma_f64 v[54:55], -v[52:53], v[52:53], v[8:9]
	v_fmac_f64_e32 v[52:53], v[54:55], v[50:51]
	s_delay_alu instid0(VALU_DEP_1) | instskip(NEXT) | instid1(VALU_DEP_1)
	v_ldexp_f64 v[50:51], v[52:53], v1
	v_dual_cndmask_b32 v9, v51, v9 :: v_dual_cndmask_b32 v8, v50, v8
	s_delay_alu instid0(VALU_DEP_1) | instskip(NEXT) | instid1(VALU_DEP_1)
	v_add_f64_e32 v[8:9], v[42:43], v[8:9]
	v_frexp_mant_f64_e32 v[50:51], v[8:9]
	s_delay_alu instid0(VALU_DEP_1) | instskip(SKIP_1) | instid1(VALU_DEP_1)
	v_cmp_gt_f64_e32 vcc_lo, s[14:15], v[50:51]
	v_cndmask_b32_e64 v1, 0, 1, vcc_lo
	v_ldexp_f64 v[50:51], v[50:51], v1
	v_frexp_exp_i32_f64_e32 v1, v[8:9]
	s_delay_alu instid0(VALU_DEP_2) | instskip(NEXT) | instid1(VALU_DEP_2)
	v_add_f64_e32 v[52:53], 1.0, v[50:51]
	v_subrev_co_ci_u32_e64 v1, null, 0, v1, vcc_lo
	v_cmp_class_f64_e64 vcc_lo, v[8:9], 0x204
	v_add_f64_e32 v[62:63], -1.0, v[50:51]
	s_delay_alu instid0(VALU_DEP_4) | instskip(SKIP_1) | instid1(VALU_DEP_1)
	v_rcp_f64_e32 v[54:55], v[52:53]
	v_add_f64_e32 v[64:65], -1.0, v[52:53]
	v_add_f64_e64 v[50:51], v[50:51], -v[64:65]
	s_delay_alu instid0(TRANS32_DEP_1) | instskip(NEXT) | instid1(VALU_DEP_1)
	v_fma_f64 v[56:57], -v[52:53], v[54:55], 1.0
	v_fmac_f64_e32 v[54:55], v[56:57], v[54:55]
	s_delay_alu instid0(VALU_DEP_1) | instskip(NEXT) | instid1(VALU_DEP_1)
	v_fma_f64 v[56:57], -v[52:53], v[54:55], 1.0
	v_fmac_f64_e32 v[54:55], v[56:57], v[54:55]
	s_delay_alu instid0(VALU_DEP_1) | instskip(NEXT) | instid1(VALU_DEP_1)
	v_mul_f64_e32 v[56:57], v[62:63], v[54:55]
	v_mul_f64_e32 v[66:67], v[52:53], v[56:57]
	s_delay_alu instid0(VALU_DEP_1) | instskip(NEXT) | instid1(VALU_DEP_1)
	v_fma_f64 v[52:53], v[56:57], v[52:53], -v[66:67]
	v_fmac_f64_e32 v[52:53], v[56:57], v[50:51]
	s_delay_alu instid0(VALU_DEP_1) | instskip(NEXT) | instid1(VALU_DEP_1)
	v_add_f64_e32 v[50:51], v[66:67], v[52:53]
	v_add_f64_e64 v[64:65], v[62:63], -v[50:51]
	v_add_f64_e64 v[66:67], v[50:51], -v[66:67]
	s_delay_alu instid0(VALU_DEP_2) | instskip(NEXT) | instid1(VALU_DEP_2)
	v_add_f64_e64 v[62:63], v[62:63], -v[64:65]
	v_add_f64_e64 v[52:53], v[66:67], -v[52:53]
	s_delay_alu instid0(VALU_DEP_2) | instskip(NEXT) | instid1(VALU_DEP_1)
	v_add_f64_e64 v[50:51], v[62:63], -v[50:51]
	v_add_f64_e32 v[50:51], v[52:53], v[50:51]
	s_delay_alu instid0(VALU_DEP_1) | instskip(NEXT) | instid1(VALU_DEP_1)
	v_add_f64_e32 v[50:51], v[64:65], v[50:51]
	v_mul_f64_e32 v[50:51], v[54:55], v[50:51]
	s_delay_alu instid0(VALU_DEP_1) | instskip(NEXT) | instid1(VALU_DEP_1)
	v_add_f64_e32 v[52:53], v[56:57], v[50:51]
	v_mul_f64_e32 v[54:55], v[52:53], v[52:53]
	s_delay_alu instid0(VALU_DEP_1) | instskip(SKIP_1) | instid1(VALU_DEP_2)
	v_fmamk_f64 v[62:63], v[54:55], 0x3fc3ab76bf559e2b, v[28:29]
	v_mul_f64_e32 v[64:65], v[52:53], v[54:55]
	v_fmaak_f64 v[62:63], v[54:55], v[62:63], 0x3fc7474dd7f4df2e
	s_delay_alu instid0(VALU_DEP_1) | instskip(NEXT) | instid1(VALU_DEP_1)
	v_fmaak_f64 v[62:63], v[54:55], v[62:63], 0x3fcc71c016291751
	v_fmaak_f64 v[62:63], v[54:55], v[62:63], 0x3fd249249b27acf1
	s_delay_alu instid0(VALU_DEP_1) | instskip(NEXT) | instid1(VALU_DEP_1)
	v_fmaak_f64 v[62:63], v[54:55], v[62:63], 0x3fd99999998ef7b6
	v_fmaak_f64 v[54:55], v[54:55], v[62:63], 0x3fe5555555555780
	v_ldexp_f64 v[62:63], v[52:53], 1
	v_add_f64_e64 v[52:53], v[52:53], -v[56:57]
	s_delay_alu instid0(VALU_DEP_3) | instskip(SKIP_1) | instid1(VALU_DEP_3)
	v_mul_f64_e32 v[54:55], v[64:65], v[54:55]
	v_cvt_f64_i32_e32 v[64:65], v1
	v_add_f64_e64 v[50:51], v[50:51], -v[52:53]
	s_delay_alu instid0(VALU_DEP_3) | instskip(NEXT) | instid1(VALU_DEP_3)
	v_add_f64_e32 v[56:57], v[62:63], v[54:55]
	v_mul_f64_e32 v[66:67], 0x3fe62e42fefa39ef, v[64:65]
	s_delay_alu instid0(VALU_DEP_3) | instskip(NEXT) | instid1(VALU_DEP_3)
	v_ldexp_f64 v[50:51], v[50:51], 1
	v_add_f64_e64 v[52:53], v[56:57], -v[62:63]
	s_delay_alu instid0(VALU_DEP_3) | instskip(NEXT) | instid1(VALU_DEP_2)
	v_fma_f64 v[62:63], v[64:65], s[16:17], -v[66:67]
	v_add_f64_e64 v[52:53], v[54:55], -v[52:53]
	s_delay_alu instid0(VALU_DEP_2) | instskip(NEXT) | instid1(VALU_DEP_2)
	v_fmac_f64_e32 v[62:63], 0x3c7abc9e3b39803f, v[64:65]
	v_add_f64_e32 v[50:51], v[50:51], v[52:53]
	s_delay_alu instid0(VALU_DEP_2) | instskip(NEXT) | instid1(VALU_DEP_2)
	v_add_f64_e32 v[52:53], v[66:67], v[62:63]
	v_add_f64_e32 v[54:55], v[56:57], v[50:51]
	s_delay_alu instid0(VALU_DEP_2) | instskip(NEXT) | instid1(VALU_DEP_2)
	v_add_f64_e64 v[66:67], v[52:53], -v[66:67]
	v_add_f64_e32 v[64:65], v[52:53], v[54:55]
	v_add_f64_e64 v[56:57], v[54:55], -v[56:57]
	s_delay_alu instid0(VALU_DEP_3) | instskip(NEXT) | instid1(VALU_DEP_3)
	v_add_f64_e64 v[62:63], v[62:63], -v[66:67]
	v_add_f64_e64 v[68:69], v[64:65], -v[52:53]
	s_delay_alu instid0(VALU_DEP_3) | instskip(NEXT) | instid1(VALU_DEP_2)
	v_add_f64_e64 v[50:51], v[50:51], -v[56:57]
	v_add_f64_e64 v[70:71], v[64:65], -v[68:69]
	;; [unrolled: 1-line block ×3, first 2 shown]
	s_delay_alu instid0(VALU_DEP_3) | instskip(NEXT) | instid1(VALU_DEP_3)
	v_add_f64_e32 v[56:57], v[62:63], v[50:51]
	v_add_f64_e64 v[52:53], v[52:53], -v[70:71]
	s_delay_alu instid0(VALU_DEP_1) | instskip(NEXT) | instid1(VALU_DEP_3)
	v_add_f64_e32 v[52:53], v[54:55], v[52:53]
	v_add_f64_e64 v[54:55], v[56:57], -v[62:63]
	s_delay_alu instid0(VALU_DEP_2) | instskip(NEXT) | instid1(VALU_DEP_2)
	v_add_f64_e32 v[52:53], v[56:57], v[52:53]
	v_add_f64_e64 v[56:57], v[56:57], -v[54:55]
	v_add_f64_e64 v[50:51], v[50:51], -v[54:55]
	s_delay_alu instid0(VALU_DEP_3) | instskip(NEXT) | instid1(VALU_DEP_3)
	v_add_f64_e32 v[66:67], v[64:65], v[52:53]
	v_add_f64_e64 v[54:55], v[62:63], -v[56:57]
	s_delay_alu instid0(VALU_DEP_2) | instskip(NEXT) | instid1(VALU_DEP_2)
	v_add_f64_e64 v[56:57], v[66:67], -v[64:65]
	v_add_f64_e32 v[50:51], v[50:51], v[54:55]
	s_delay_alu instid0(VALU_DEP_2) | instskip(NEXT) | instid1(VALU_DEP_1)
	v_add_f64_e64 v[52:53], v[52:53], -v[56:57]
	v_add_f64_e32 v[50:51], v[50:51], v[52:53]
	s_delay_alu instid0(VALU_DEP_1) | instskip(NEXT) | instid1(VALU_DEP_1)
	v_add_f64_e32 v[50:51], v[66:67], v[50:51]
	v_dual_cndmask_b32 v1, v50, v8 :: v_dual_cndmask_b32 v50, v51, v9
	v_cmp_neq_f64_e32 vcc_lo, 0, v[8:9]
	s_delay_alu instid0(VALU_DEP_2) | instskip(NEXT) | instid1(VALU_DEP_3)
	v_cndmask_b32_e32 v9, 0xfff00000, v50, vcc_lo
	v_cndmask_b32_e32 v8, 0, v1, vcc_lo
.LBB42_11:                              ;   in Loop: Header=BB42_5 Depth=1
	s_or_saveexec_b32 s43, s3
	v_and_b32_e32 v51, 0x7fffffff, v17
	v_mov_b32_e32 v50, v16
	s_xor_b32 exec_lo, exec_lo, s43
	s_cbranch_execz .LBB42_33
; %bb.12:                               ;   in Loop: Header=BB42_5 Depth=1
	v_cmp_neq_f64_e64 s3, |v[14:15]|, 1.0
	v_cmp_ngt_f64_e64 s4, 0x39000000, |v[16:17]|
                                        ; implicit-def: $vgpr8_vgpr9
	s_or_b32 s3, s3, s4
	s_delay_alu instid0(SALU_CYCLE_1) | instskip(NEXT) | instid1(SALU_CYCLE_1)
	s_and_saveexec_b32 s4, s3
	s_xor_b32 s44, exec_lo, s4
	s_cbranch_execz .LBB42_30
; %bb.13:                               ;   in Loop: Header=BB42_5 Depth=1
	v_ldexp_f64 v[8:9], |v[6:7]|, 0xffffffcc
	s_delay_alu instid0(VALU_DEP_1) | instskip(SKIP_1) | instid1(SALU_CYCLE_1)
	v_cmp_ge_f64_e64 s3, |v[16:17]|, v[8:9]
                                        ; implicit-def: $vgpr8_vgpr9
	s_and_saveexec_b32 s4, s3
	s_xor_b32 s45, exec_lo, s4
	s_cbranch_execz .LBB42_23
; %bb.14:                               ;   in Loop: Header=BB42_5 Depth=1
	v_mov_b64_e32 v[8:9], v[50:51]
	s_mov_b32 s3, exec_lo
	v_cmpx_neq_f64_e32 0, v[44:45]
	s_cbranch_execz .LBB42_16
; %bb.15:                               ;   in Loop: Header=BB42_5 Depth=1
	v_mul_f64_e32 v[8:9], v[16:17], v[16:17]
	v_add_f64_e32 v[52:53], v[44:45], v[48:49]
	s_delay_alu instid0(VALU_DEP_1) | instskip(NEXT) | instid1(VALU_DEP_1)
	v_div_scale_f64 v[54:55], null, v[52:53], v[52:53], v[8:9]
	v_rcp_f64_e32 v[56:57], v[54:55]
	v_nop
	s_delay_alu instid0(TRANS32_DEP_1) | instskip(NEXT) | instid1(VALU_DEP_1)
	v_fma_f64 v[62:63], -v[54:55], v[56:57], 1.0
	v_fmac_f64_e32 v[56:57], v[56:57], v[62:63]
	s_delay_alu instid0(VALU_DEP_1) | instskip(NEXT) | instid1(VALU_DEP_1)
	v_fma_f64 v[62:63], -v[54:55], v[56:57], 1.0
	v_fmac_f64_e32 v[56:57], v[56:57], v[62:63]
	v_div_scale_f64 v[62:63], vcc_lo, v[8:9], v[52:53], v[8:9]
	s_delay_alu instid0(VALU_DEP_1) | instskip(NEXT) | instid1(VALU_DEP_1)
	v_mul_f64_e32 v[64:65], v[62:63], v[56:57]
	v_fma_f64 v[54:55], -v[54:55], v[64:65], v[62:63]
	s_delay_alu instid0(VALU_DEP_1) | instskip(NEXT) | instid1(VALU_DEP_1)
	v_div_fmas_f64 v[54:55], v[54:55], v[56:57], v[64:65]
	v_div_fixup_f64 v[8:9], v[54:55], v[52:53], v[8:9]
.LBB42_16:                              ;   in Loop: Header=BB42_5 Depth=1
	s_or_b32 exec_lo, exec_lo, s3
	v_add_f64_e64 v[54:55], -|v[14:15]|, 1.0
	s_mov_b32 s3, exec_lo
                                        ; implicit-def: $vgpr52_vgpr53
	s_delay_alu instid0(VALU_DEP_1)
	v_cmpx_ngt_f64_e32 0, v[54:55]
	s_xor_b32 s3, exec_lo, s3
	s_cbranch_execz .LBB42_20
; %bb.17:                               ;   in Loop: Header=BB42_5 Depth=1
	v_mov_b64_e32 v[52:53], v[50:51]
	s_mov_b32 s4, exec_lo
	v_cmpx_neq_f64_e32 0, v[54:55]
	s_cbranch_execz .LBB42_19
; %bb.18:                               ;   in Loop: Header=BB42_5 Depth=1
	v_mul_f64_e32 v[52:53], v[16:17], v[16:17]
	v_add_f64_e32 v[54:55], v[54:55], v[46:47]
	s_delay_alu instid0(VALU_DEP_1) | instskip(NEXT) | instid1(VALU_DEP_1)
	v_div_scale_f64 v[56:57], null, v[54:55], v[54:55], v[52:53]
	v_rcp_f64_e32 v[62:63], v[56:57]
	v_nop
	s_delay_alu instid0(TRANS32_DEP_1) | instskip(NEXT) | instid1(VALU_DEP_1)
	v_fma_f64 v[64:65], -v[56:57], v[62:63], 1.0
	v_fmac_f64_e32 v[62:63], v[62:63], v[64:65]
	s_delay_alu instid0(VALU_DEP_1) | instskip(NEXT) | instid1(VALU_DEP_1)
	v_fma_f64 v[64:65], -v[56:57], v[62:63], 1.0
	v_fmac_f64_e32 v[62:63], v[62:63], v[64:65]
	v_div_scale_f64 v[64:65], vcc_lo, v[52:53], v[54:55], v[52:53]
	s_delay_alu instid0(VALU_DEP_1) | instskip(NEXT) | instid1(VALU_DEP_1)
	v_mul_f64_e32 v[66:67], v[64:65], v[62:63]
	v_fma_f64 v[56:57], -v[56:57], v[66:67], v[64:65]
	s_delay_alu instid0(VALU_DEP_1) | instskip(NEXT) | instid1(VALU_DEP_1)
	v_div_fmas_f64 v[56:57], v[56:57], v[62:63], v[66:67]
	v_div_fixup_f64 v[52:53], v[56:57], v[54:55], v[52:53]
.LBB42_19:                              ;   in Loop: Header=BB42_5 Depth=1
	s_or_b32 exec_lo, exec_lo, s4
                                        ; implicit-def: $vgpr54_vgpr55
.LBB42_20:                              ;   in Loop: Header=BB42_5 Depth=1
	s_and_not1_saveexec_b32 s3, s3
; %bb.21:                               ;   in Loop: Header=BB42_5 Depth=1
	v_add_f64_e64 v[52:53], v[46:47], -v[54:55]
; %bb.22:                               ;   in Loop: Header=BB42_5 Depth=1
	s_or_b32 exec_lo, exec_lo, s3
	s_delay_alu instid0(VALU_DEP_1) | instskip(SKIP_1) | instid1(VALU_DEP_2)
	v_mul_f64_e32 v[52:53], 0.5, v[52:53]
	v_add_f64_e32 v[54:55], 1.0, v[42:43]
	v_fmac_f64_e32 v[52:53], 0.5, v[8:9]
	s_delay_alu instid0(VALU_DEP_1) | instskip(NEXT) | instid1(VALU_DEP_1)
	v_mul_f64_e32 v[8:9], v[54:55], v[52:53]
	v_cmp_gt_f64_e32 vcc_lo, 0x10000000, v[8:9]
	v_cndmask_b32_e64 v1, 0, 0x100, vcc_lo
	s_delay_alu instid0(VALU_DEP_1) | instskip(SKIP_1) | instid1(VALU_DEP_2)
	v_ldexp_f64 v[8:9], v[8:9], v1
	v_cndmask_b32_e64 v1, 0, 0xffffff80, vcc_lo
	v_rsq_f64_e32 v[54:55], v[8:9]
	v_cmp_class_f64_e64 vcc_lo, v[8:9], 0x260
	s_delay_alu instid0(TRANS32_DEP_1) | instskip(SKIP_1) | instid1(VALU_DEP_1)
	v_mul_f64_e32 v[56:57], v[8:9], v[54:55]
	v_mul_f64_e32 v[54:55], 0.5, v[54:55]
	v_fma_f64 v[62:63], -v[54:55], v[56:57], 0.5
	s_delay_alu instid0(VALU_DEP_1) | instskip(SKIP_1) | instid1(VALU_DEP_2)
	v_fmac_f64_e32 v[56:57], v[56:57], v[62:63]
	v_fmac_f64_e32 v[54:55], v[54:55], v[62:63]
	v_fma_f64 v[62:63], -v[56:57], v[56:57], v[8:9]
	s_delay_alu instid0(VALU_DEP_1) | instskip(NEXT) | instid1(VALU_DEP_1)
	v_fmac_f64_e32 v[56:57], v[62:63], v[54:55]
	v_fma_f64 v[62:63], -v[56:57], v[56:57], v[8:9]
	s_delay_alu instid0(VALU_DEP_1) | instskip(NEXT) | instid1(VALU_DEP_1)
	v_fmac_f64_e32 v[56:57], v[62:63], v[54:55]
	v_ldexp_f64 v[54:55], v[56:57], v1
	s_delay_alu instid0(VALU_DEP_1) | instskip(NEXT) | instid1(VALU_DEP_1)
	v_dual_cndmask_b32 v9, v55, v9 :: v_dual_cndmask_b32 v8, v54, v8
	v_add_f64_e32 v[52:53], v[52:53], v[8:9]
	s_delay_alu instid0(VALU_DEP_1) | instskip(SKIP_2) | instid1(VALU_DEP_3)
	v_add_f64_e32 v[8:9], 1.0, v[52:53]
	v_cmp_neq_f64_e64 s3, 0x7ff00000, v[52:53]
	v_cmp_ngt_f64_e64 s4, -1.0, v[52:53]
	v_frexp_mant_f64_e32 v[54:55], v[8:9]
	v_frexp_exp_i32_f64_e32 v1, v[8:9]
	v_add_f64_e32 v[56:57], -1.0, v[8:9]
	s_delay_alu instid0(VALU_DEP_3) | instskip(NEXT) | instid1(VALU_DEP_2)
	v_cmp_gt_f64_e32 vcc_lo, s[14:15], v[54:55]
	v_add_f64_e64 v[54:55], v[56:57], -v[8:9]
	v_add_f64_e64 v[56:57], v[52:53], -v[56:57]
	v_subrev_co_ci_u32_e64 v1, null, 0, v1, vcc_lo
	s_delay_alu instid0(VALU_DEP_3) | instskip(SKIP_1) | instid1(VALU_DEP_3)
	v_add_f64_e32 v[54:55], 1.0, v[54:55]
	v_cmp_nge_f64_e32 vcc_lo, -1.0, v[52:53]
	v_sub_nc_u32_e32 v61, 0, v1
	s_delay_alu instid0(VALU_DEP_1) | instskip(NEXT) | instid1(VALU_DEP_4)
	v_ldexp_f64 v[8:9], v[8:9], v61
	v_add_f64_e32 v[54:55], v[56:57], v[54:55]
	s_and_b32 vcc_lo, vcc_lo, s3
	s_delay_alu instid0(VALU_DEP_2) | instskip(SKIP_1) | instid1(VALU_DEP_3)
	v_add_f64_e32 v[62:63], 1.0, v[8:9]
	v_add_f64_e32 v[68:69], -1.0, v[8:9]
	v_ldexp_f64 v[54:55], v[54:55], v61
	s_delay_alu instid0(VALU_DEP_3) | instskip(NEXT) | instid1(VALU_DEP_3)
	v_add_f64_e32 v[56:57], -1.0, v[62:63]
	v_add_f64_e32 v[70:71], 1.0, v[68:69]
	s_delay_alu instid0(VALU_DEP_2) | instskip(NEXT) | instid1(VALU_DEP_2)
	v_add_f64_e64 v[56:57], v[8:9], -v[56:57]
	v_add_f64_e64 v[8:9], v[8:9], -v[70:71]
	s_delay_alu instid0(VALU_DEP_2) | instskip(NEXT) | instid1(VALU_DEP_2)
	v_add_f64_e32 v[56:57], v[54:55], v[56:57]
	v_add_f64_e32 v[8:9], v[54:55], v[8:9]
	s_delay_alu instid0(VALU_DEP_2) | instskip(NEXT) | instid1(VALU_DEP_2)
	v_add_f64_e32 v[64:65], v[62:63], v[56:57]
	v_add_f64_e32 v[70:71], v[68:69], v[8:9]
	s_delay_alu instid0(VALU_DEP_2) | instskip(SKIP_1) | instid1(VALU_DEP_2)
	v_rcp_f64_e32 v[66:67], v[64:65]
	v_add_f64_e64 v[62:63], v[64:65], -v[62:63]
	v_add_f64_e64 v[68:69], v[70:71], -v[68:69]
	s_delay_alu instid0(VALU_DEP_2) | instskip(NEXT) | instid1(VALU_DEP_2)
	v_add_f64_e64 v[56:57], v[56:57], -v[62:63]
	v_add_f64_e64 v[8:9], v[8:9], -v[68:69]
	s_delay_alu instid0(TRANS32_DEP_1) | instskip(NEXT) | instid1(VALU_DEP_1)
	v_fma_f64 v[72:73], -v[64:65], v[66:67], 1.0
	v_fmac_f64_e32 v[66:67], v[72:73], v[66:67]
	s_delay_alu instid0(VALU_DEP_1) | instskip(NEXT) | instid1(VALU_DEP_1)
	v_fma_f64 v[54:55], -v[64:65], v[66:67], 1.0
	v_fmac_f64_e32 v[66:67], v[54:55], v[66:67]
	s_delay_alu instid0(VALU_DEP_1) | instskip(NEXT) | instid1(VALU_DEP_1)
	v_mul_f64_e32 v[54:55], v[70:71], v[66:67]
	v_mul_f64_e32 v[72:73], v[64:65], v[54:55]
	s_delay_alu instid0(VALU_DEP_1) | instskip(NEXT) | instid1(VALU_DEP_1)
	v_fma_f64 v[62:63], v[54:55], v[64:65], -v[72:73]
	v_fmac_f64_e32 v[62:63], v[54:55], v[56:57]
	s_delay_alu instid0(VALU_DEP_1) | instskip(NEXT) | instid1(VALU_DEP_1)
	v_add_f64_e32 v[74:75], v[72:73], v[62:63]
	v_add_f64_e64 v[76:77], v[70:71], -v[74:75]
	v_add_f64_e64 v[68:69], v[74:75], -v[72:73]
	s_delay_alu instid0(VALU_DEP_2) | instskip(NEXT) | instid1(VALU_DEP_2)
	v_add_f64_e64 v[70:71], v[70:71], -v[76:77]
	v_add_f64_e64 v[62:63], v[68:69], -v[62:63]
	s_delay_alu instid0(VALU_DEP_2) | instskip(NEXT) | instid1(VALU_DEP_1)
	v_add_f64_e64 v[70:71], v[70:71], -v[74:75]
	v_add_f64_e32 v[8:9], v[8:9], v[70:71]
	s_delay_alu instid0(VALU_DEP_1) | instskip(NEXT) | instid1(VALU_DEP_1)
	v_add_f64_e32 v[8:9], v[62:63], v[8:9]
	v_add_f64_e32 v[62:63], v[76:77], v[8:9]
	s_delay_alu instid0(VALU_DEP_1) | instskip(SKIP_1) | instid1(VALU_DEP_2)
	v_mul_f64_e32 v[68:69], v[66:67], v[62:63]
	v_add_f64_e64 v[74:75], v[76:77], -v[62:63]
	v_mul_f64_e32 v[70:71], v[64:65], v[68:69]
	s_delay_alu instid0(VALU_DEP_2) | instskip(NEXT) | instid1(VALU_DEP_2)
	v_add_f64_e32 v[8:9], v[8:9], v[74:75]
	v_fma_f64 v[64:65], v[68:69], v[64:65], -v[70:71]
	s_delay_alu instid0(VALU_DEP_1) | instskip(NEXT) | instid1(VALU_DEP_1)
	v_fmac_f64_e32 v[64:65], v[68:69], v[56:57]
	v_add_f64_e32 v[56:57], v[70:71], v[64:65]
	s_delay_alu instid0(VALU_DEP_1) | instskip(SKIP_1) | instid1(VALU_DEP_2)
	v_add_f64_e64 v[72:73], v[62:63], -v[56:57]
	v_add_f64_e64 v[70:71], v[56:57], -v[70:71]
	;; [unrolled: 1-line block ×3, first 2 shown]
	s_delay_alu instid0(VALU_DEP_1) | instskip(NEXT) | instid1(VALU_DEP_3)
	v_add_f64_e64 v[56:57], v[62:63], -v[56:57]
	v_add_f64_e64 v[62:63], v[70:71], -v[64:65]
	s_delay_alu instid0(VALU_DEP_2) | instskip(SKIP_1) | instid1(VALU_DEP_2)
	v_add_f64_e32 v[8:9], v[8:9], v[56:57]
	v_add_f64_e32 v[56:57], v[54:55], v[68:69]
	v_add_f64_e32 v[8:9], v[62:63], v[8:9]
	s_delay_alu instid0(VALU_DEP_2) | instskip(NEXT) | instid1(VALU_DEP_2)
	v_add_f64_e64 v[54:55], v[56:57], -v[54:55]
	v_add_f64_e32 v[8:9], v[72:73], v[8:9]
	s_delay_alu instid0(VALU_DEP_2) | instskip(NEXT) | instid1(VALU_DEP_2)
	v_add_f64_e64 v[54:55], v[68:69], -v[54:55]
	v_mul_f64_e32 v[8:9], v[66:67], v[8:9]
	s_delay_alu instid0(VALU_DEP_1) | instskip(NEXT) | instid1(VALU_DEP_1)
	v_add_f64_e32 v[8:9], v[54:55], v[8:9]
	v_add_f64_e32 v[54:55], v[56:57], v[8:9]
	s_delay_alu instid0(VALU_DEP_1) | instskip(NEXT) | instid1(VALU_DEP_1)
	v_mul_f64_e32 v[62:63], v[54:55], v[54:55]
	v_fmamk_f64 v[64:65], v[62:63], 0x3fc3ab76bf559e2b, v[28:29]
	v_mul_f64_e32 v[66:67], v[54:55], v[62:63]
	s_delay_alu instid0(VALU_DEP_2) | instskip(NEXT) | instid1(VALU_DEP_1)
	v_fmaak_f64 v[64:65], v[62:63], v[64:65], 0x3fc7474dd7f4df2e
	v_fmaak_f64 v[64:65], v[62:63], v[64:65], 0x3fcc71c016291751
	s_delay_alu instid0(VALU_DEP_1) | instskip(NEXT) | instid1(VALU_DEP_1)
	v_fmaak_f64 v[64:65], v[62:63], v[64:65], 0x3fd249249b27acf1
	v_fmaak_f64 v[64:65], v[62:63], v[64:65], 0x3fd99999998ef7b6
	s_delay_alu instid0(VALU_DEP_1) | instskip(SKIP_2) | instid1(VALU_DEP_3)
	v_fmaak_f64 v[62:63], v[62:63], v[64:65], 0x3fe5555555555780
	v_ldexp_f64 v[64:65], v[54:55], 1
	v_add_f64_e64 v[54:55], v[54:55], -v[56:57]
	v_mul_f64_e32 v[62:63], v[66:67], v[62:63]
	v_cvt_f64_i32_e32 v[66:67], v1
	s_delay_alu instid0(VALU_DEP_3) | instskip(NEXT) | instid1(VALU_DEP_3)
	v_add_f64_e64 v[8:9], v[8:9], -v[54:55]
	v_add_f64_e32 v[56:57], v[64:65], v[62:63]
	s_delay_alu instid0(VALU_DEP_3) | instskip(NEXT) | instid1(VALU_DEP_3)
	v_mul_f64_e32 v[68:69], 0x3fe62e42fefa39ef, v[66:67]
	v_ldexp_f64 v[8:9], v[8:9], 1
	s_delay_alu instid0(VALU_DEP_3) | instskip(NEXT) | instid1(VALU_DEP_3)
	v_add_f64_e64 v[54:55], v[56:57], -v[64:65]
	v_fma_f64 v[64:65], v[66:67], s[16:17], -v[68:69]
	s_delay_alu instid0(VALU_DEP_2) | instskip(NEXT) | instid1(VALU_DEP_2)
	v_add_f64_e64 v[54:55], v[62:63], -v[54:55]
	v_fmac_f64_e32 v[64:65], 0x3c7abc9e3b39803f, v[66:67]
	s_delay_alu instid0(VALU_DEP_2) | instskip(NEXT) | instid1(VALU_DEP_2)
	v_add_f64_e32 v[8:9], v[8:9], v[54:55]
	v_add_f64_e32 v[54:55], v[68:69], v[64:65]
	s_delay_alu instid0(VALU_DEP_2) | instskip(NEXT) | instid1(VALU_DEP_2)
	v_add_f64_e32 v[62:63], v[56:57], v[8:9]
	v_add_f64_e64 v[68:69], v[54:55], -v[68:69]
	s_delay_alu instid0(VALU_DEP_2) | instskip(SKIP_1) | instid1(VALU_DEP_3)
	v_add_f64_e32 v[66:67], v[54:55], v[62:63]
	v_add_f64_e64 v[56:57], v[62:63], -v[56:57]
	v_add_f64_e64 v[64:65], v[64:65], -v[68:69]
	s_delay_alu instid0(VALU_DEP_3) | instskip(NEXT) | instid1(VALU_DEP_3)
	v_add_f64_e64 v[70:71], v[66:67], -v[54:55]
	v_add_f64_e64 v[8:9], v[8:9], -v[56:57]
	s_delay_alu instid0(VALU_DEP_2) | instskip(SKIP_1) | instid1(VALU_DEP_3)
	v_add_f64_e64 v[72:73], v[66:67], -v[70:71]
	v_add_f64_e64 v[56:57], v[62:63], -v[70:71]
	v_add_f64_e32 v[62:63], v[64:65], v[8:9]
	s_delay_alu instid0(VALU_DEP_3) | instskip(NEXT) | instid1(VALU_DEP_1)
	v_add_f64_e64 v[54:55], v[54:55], -v[72:73]
	v_add_f64_e32 v[54:55], v[56:57], v[54:55]
	s_delay_alu instid0(VALU_DEP_3) | instskip(NEXT) | instid1(VALU_DEP_2)
	v_add_f64_e64 v[56:57], v[62:63], -v[64:65]
	v_add_f64_e32 v[54:55], v[62:63], v[54:55]
	s_delay_alu instid0(VALU_DEP_2) | instskip(SKIP_1) | instid1(VALU_DEP_3)
	v_add_f64_e64 v[62:63], v[62:63], -v[56:57]
	v_add_f64_e64 v[8:9], v[8:9], -v[56:57]
	v_add_f64_e32 v[68:69], v[66:67], v[54:55]
	s_delay_alu instid0(VALU_DEP_3) | instskip(NEXT) | instid1(VALU_DEP_2)
	v_add_f64_e64 v[62:63], v[64:65], -v[62:63]
	v_add_f64_e64 v[56:57], v[68:69], -v[66:67]
	s_delay_alu instid0(VALU_DEP_2) | instskip(NEXT) | instid1(VALU_DEP_2)
	v_add_f64_e32 v[8:9], v[8:9], v[62:63]
	v_add_f64_e64 v[54:55], v[54:55], -v[56:57]
	s_delay_alu instid0(VALU_DEP_1) | instskip(NEXT) | instid1(VALU_DEP_1)
	v_add_f64_e32 v[8:9], v[8:9], v[54:55]
	v_add_f64_e32 v[8:9], v[68:69], v[8:9]
	s_delay_alu instid0(VALU_DEP_1) | instskip(SKIP_1) | instid1(VALU_DEP_3)
	v_cndmask_b32_e32 v8, 0, v8, vcc_lo
	v_cmp_neq_f64_e32 vcc_lo, -1.0, v[52:53]
	v_cndmask_b32_e64 v1, 0x7ff00000, v9, s3
	s_delay_alu instid0(VALU_DEP_1) | instskip(NEXT) | instid1(VALU_DEP_1)
	v_cndmask_b32_e64 v1, 0x7ff80000, v1, s4
	v_cndmask_b32_e32 v9, 0xfff00000, v1, vcc_lo
.LBB42_23:                              ;   in Loop: Header=BB42_5 Depth=1
	s_and_not1_saveexec_b32 s45, s45
	s_cbranch_execz .LBB42_29
; %bb.24:                               ;   in Loop: Header=BB42_5 Depth=1
                                        ; implicit-def: $vgpr8_vgpr9
	s_mov_b32 s4, exec_lo
	v_cmpx_nlt_f64_e64 |v[14:15]|, 1.0
	s_xor_b32 s46, exec_lo, s4
	s_cbranch_execz .LBB42_26
; %bb.25:                               ;   in Loop: Header=BB42_5 Depth=1
	v_mul_f64_e32 v[8:9], v[6:7], v[44:45]
	s_delay_alu instid0(VALU_DEP_1) | instskip(SKIP_1) | instid1(VALU_DEP_1)
	v_cmp_gt_f64_e32 vcc_lo, 0x10000000, v[8:9]
	v_cndmask_b32_e64 v1, 0, 0x100, vcc_lo
	v_ldexp_f64 v[8:9], v[8:9], v1
	v_cndmask_b32_e64 v1, 0, 0xffffff80, vcc_lo
	s_delay_alu instid0(VALU_DEP_2) | instskip(SKIP_1) | instid1(TRANS32_DEP_1)
	v_rsq_f64_e32 v[52:53], v[8:9]
	v_cmp_class_f64_e64 vcc_lo, v[8:9], 0x260
	v_mul_f64_e32 v[54:55], v[8:9], v[52:53]
	v_mul_f64_e32 v[52:53], 0.5, v[52:53]
	s_delay_alu instid0(VALU_DEP_1) | instskip(NEXT) | instid1(VALU_DEP_1)
	v_fma_f64 v[56:57], -v[52:53], v[54:55], 0.5
	v_fmac_f64_e32 v[54:55], v[54:55], v[56:57]
	v_fmac_f64_e32 v[52:53], v[52:53], v[56:57]
	s_delay_alu instid0(VALU_DEP_2) | instskip(NEXT) | instid1(VALU_DEP_1)
	v_fma_f64 v[56:57], -v[54:55], v[54:55], v[8:9]
	v_fmac_f64_e32 v[54:55], v[56:57], v[52:53]
	s_delay_alu instid0(VALU_DEP_1) | instskip(NEXT) | instid1(VALU_DEP_1)
	v_fma_f64 v[56:57], -v[54:55], v[54:55], v[8:9]
	v_fmac_f64_e32 v[54:55], v[56:57], v[52:53]
	s_delay_alu instid0(VALU_DEP_1) | instskip(NEXT) | instid1(VALU_DEP_1)
	v_ldexp_f64 v[52:53], v[54:55], v1
	v_dual_cndmask_b32 v9, v53, v9 :: v_dual_cndmask_b32 v8, v52, v8
	s_delay_alu instid0(VALU_DEP_1) | instskip(NEXT) | instid1(VALU_DEP_1)
	v_add_f64_e32 v[52:53], v[6:7], v[8:9]
	v_add_f64_e32 v[8:9], 1.0, v[52:53]
	v_cmp_neq_f64_e64 s3, 0x7ff00000, v[52:53]
	v_cmp_ngt_f64_e64 s4, -1.0, v[52:53]
	s_delay_alu instid0(VALU_DEP_3) | instskip(SKIP_2) | instid1(VALU_DEP_3)
	v_frexp_mant_f64_e32 v[54:55], v[8:9]
	v_add_f64_e32 v[56:57], -1.0, v[8:9]
	v_frexp_exp_i32_f64_e32 v1, v[8:9]
	v_cmp_gt_f64_e32 vcc_lo, s[14:15], v[54:55]
	s_delay_alu instid0(VALU_DEP_3) | instskip(SKIP_1) | instid1(VALU_DEP_4)
	v_add_f64_e64 v[54:55], v[56:57], -v[8:9]
	v_add_f64_e64 v[56:57], v[52:53], -v[56:57]
	v_subrev_co_ci_u32_e64 v1, null, 0, v1, vcc_lo
	v_cmp_nge_f64_e32 vcc_lo, -1.0, v[52:53]
	s_delay_alu instid0(VALU_DEP_2) | instskip(NEXT) | instid1(VALU_DEP_1)
	v_dual_add_f64 v[54:55], 1.0, v[54:55] :: v_dual_sub_nc_u32 v61, 0, v1
	v_ldexp_f64 v[8:9], v[8:9], v61
	s_and_b32 vcc_lo, vcc_lo, s3
	s_delay_alu instid0(VALU_DEP_2) | instskip(NEXT) | instid1(VALU_DEP_2)
	v_add_f64_e32 v[54:55], v[56:57], v[54:55]
	v_add_f64_e32 v[62:63], 1.0, v[8:9]
	v_add_f64_e32 v[68:69], -1.0, v[8:9]
	s_delay_alu instid0(VALU_DEP_3) | instskip(NEXT) | instid1(VALU_DEP_3)
	v_ldexp_f64 v[54:55], v[54:55], v61
	v_add_f64_e32 v[56:57], -1.0, v[62:63]
	s_delay_alu instid0(VALU_DEP_3) | instskip(NEXT) | instid1(VALU_DEP_2)
	v_add_f64_e32 v[70:71], 1.0, v[68:69]
	v_add_f64_e64 v[56:57], v[8:9], -v[56:57]
	s_delay_alu instid0(VALU_DEP_2) | instskip(NEXT) | instid1(VALU_DEP_2)
	v_add_f64_e64 v[8:9], v[8:9], -v[70:71]
	v_add_f64_e32 v[56:57], v[54:55], v[56:57]
	s_delay_alu instid0(VALU_DEP_2) | instskip(NEXT) | instid1(VALU_DEP_2)
	v_add_f64_e32 v[8:9], v[54:55], v[8:9]
	v_add_f64_e32 v[64:65], v[62:63], v[56:57]
	s_delay_alu instid0(VALU_DEP_2) | instskip(NEXT) | instid1(VALU_DEP_2)
	v_add_f64_e32 v[70:71], v[68:69], v[8:9]
	v_rcp_f64_e32 v[66:67], v[64:65]
	v_add_f64_e64 v[62:63], v[64:65], -v[62:63]
	s_delay_alu instid0(VALU_DEP_2) | instskip(NEXT) | instid1(VALU_DEP_2)
	v_add_f64_e64 v[68:69], v[70:71], -v[68:69]
	v_add_f64_e64 v[56:57], v[56:57], -v[62:63]
	s_delay_alu instid0(VALU_DEP_2) | instskip(NEXT) | instid1(TRANS32_DEP_1)
	v_add_f64_e64 v[8:9], v[8:9], -v[68:69]
	v_fma_f64 v[72:73], -v[64:65], v[66:67], 1.0
	s_delay_alu instid0(VALU_DEP_1) | instskip(NEXT) | instid1(VALU_DEP_1)
	v_fmac_f64_e32 v[66:67], v[72:73], v[66:67]
	v_fma_f64 v[54:55], -v[64:65], v[66:67], 1.0
	s_delay_alu instid0(VALU_DEP_1) | instskip(NEXT) | instid1(VALU_DEP_1)
	v_fmac_f64_e32 v[66:67], v[54:55], v[66:67]
	v_mul_f64_e32 v[54:55], v[70:71], v[66:67]
	s_delay_alu instid0(VALU_DEP_1) | instskip(NEXT) | instid1(VALU_DEP_1)
	v_mul_f64_e32 v[72:73], v[64:65], v[54:55]
	v_fma_f64 v[62:63], v[54:55], v[64:65], -v[72:73]
	s_delay_alu instid0(VALU_DEP_1) | instskip(NEXT) | instid1(VALU_DEP_1)
	v_fmac_f64_e32 v[62:63], v[54:55], v[56:57]
	v_add_f64_e32 v[74:75], v[72:73], v[62:63]
	s_delay_alu instid0(VALU_DEP_1) | instskip(SKIP_1) | instid1(VALU_DEP_2)
	v_add_f64_e64 v[76:77], v[70:71], -v[74:75]
	v_add_f64_e64 v[68:69], v[74:75], -v[72:73]
	;; [unrolled: 1-line block ×3, first 2 shown]
	s_delay_alu instid0(VALU_DEP_2) | instskip(NEXT) | instid1(VALU_DEP_2)
	v_add_f64_e64 v[62:63], v[68:69], -v[62:63]
	v_add_f64_e64 v[70:71], v[70:71], -v[74:75]
	s_delay_alu instid0(VALU_DEP_1) | instskip(NEXT) | instid1(VALU_DEP_1)
	v_add_f64_e32 v[8:9], v[8:9], v[70:71]
	v_add_f64_e32 v[8:9], v[62:63], v[8:9]
	s_delay_alu instid0(VALU_DEP_1) | instskip(NEXT) | instid1(VALU_DEP_1)
	v_add_f64_e32 v[62:63], v[76:77], v[8:9]
	v_mul_f64_e32 v[68:69], v[66:67], v[62:63]
	v_add_f64_e64 v[74:75], v[76:77], -v[62:63]
	s_delay_alu instid0(VALU_DEP_2) | instskip(NEXT) | instid1(VALU_DEP_2)
	v_mul_f64_e32 v[70:71], v[64:65], v[68:69]
	v_add_f64_e32 v[8:9], v[8:9], v[74:75]
	s_delay_alu instid0(VALU_DEP_2) | instskip(NEXT) | instid1(VALU_DEP_1)
	v_fma_f64 v[64:65], v[68:69], v[64:65], -v[70:71]
	v_fmac_f64_e32 v[64:65], v[68:69], v[56:57]
	s_delay_alu instid0(VALU_DEP_1) | instskip(NEXT) | instid1(VALU_DEP_1)
	v_add_f64_e32 v[56:57], v[70:71], v[64:65]
	v_add_f64_e64 v[72:73], v[62:63], -v[56:57]
	v_add_f64_e64 v[70:71], v[56:57], -v[70:71]
	s_delay_alu instid0(VALU_DEP_2) | instskip(NEXT) | instid1(VALU_DEP_1)
	v_add_f64_e64 v[62:63], v[62:63], -v[72:73]
	v_add_f64_e64 v[56:57], v[62:63], -v[56:57]
	s_delay_alu instid0(VALU_DEP_3) | instskip(NEXT) | instid1(VALU_DEP_2)
	v_add_f64_e64 v[62:63], v[70:71], -v[64:65]
	v_add_f64_e32 v[8:9], v[8:9], v[56:57]
	v_add_f64_e32 v[56:57], v[54:55], v[68:69]
	s_delay_alu instid0(VALU_DEP_2) | instskip(NEXT) | instid1(VALU_DEP_2)
	v_add_f64_e32 v[8:9], v[62:63], v[8:9]
	v_add_f64_e64 v[54:55], v[56:57], -v[54:55]
	s_delay_alu instid0(VALU_DEP_2) | instskip(NEXT) | instid1(VALU_DEP_2)
	v_add_f64_e32 v[8:9], v[72:73], v[8:9]
	v_add_f64_e64 v[54:55], v[68:69], -v[54:55]
	s_delay_alu instid0(VALU_DEP_2) | instskip(NEXT) | instid1(VALU_DEP_1)
	v_mul_f64_e32 v[8:9], v[66:67], v[8:9]
	v_add_f64_e32 v[8:9], v[54:55], v[8:9]
	s_delay_alu instid0(VALU_DEP_1) | instskip(NEXT) | instid1(VALU_DEP_1)
	v_add_f64_e32 v[54:55], v[56:57], v[8:9]
	v_mul_f64_e32 v[62:63], v[54:55], v[54:55]
	s_delay_alu instid0(VALU_DEP_1) | instskip(SKIP_1) | instid1(VALU_DEP_2)
	v_fmamk_f64 v[64:65], v[62:63], 0x3fc3ab76bf559e2b, v[28:29]
	v_mul_f64_e32 v[66:67], v[54:55], v[62:63]
	v_fmaak_f64 v[64:65], v[62:63], v[64:65], 0x3fc7474dd7f4df2e
	s_delay_alu instid0(VALU_DEP_1) | instskip(NEXT) | instid1(VALU_DEP_1)
	v_fmaak_f64 v[64:65], v[62:63], v[64:65], 0x3fcc71c016291751
	v_fmaak_f64 v[64:65], v[62:63], v[64:65], 0x3fd249249b27acf1
	s_delay_alu instid0(VALU_DEP_1) | instskip(NEXT) | instid1(VALU_DEP_1)
	v_fmaak_f64 v[64:65], v[62:63], v[64:65], 0x3fd99999998ef7b6
	v_fmaak_f64 v[62:63], v[62:63], v[64:65], 0x3fe5555555555780
	v_ldexp_f64 v[64:65], v[54:55], 1
	v_add_f64_e64 v[54:55], v[54:55], -v[56:57]
	s_delay_alu instid0(VALU_DEP_3) | instskip(SKIP_1) | instid1(VALU_DEP_3)
	v_mul_f64_e32 v[62:63], v[66:67], v[62:63]
	v_cvt_f64_i32_e32 v[66:67], v1
	v_add_f64_e64 v[8:9], v[8:9], -v[54:55]
	s_delay_alu instid0(VALU_DEP_3) | instskip(NEXT) | instid1(VALU_DEP_3)
	v_add_f64_e32 v[56:57], v[64:65], v[62:63]
	v_mul_f64_e32 v[68:69], 0x3fe62e42fefa39ef, v[66:67]
	s_delay_alu instid0(VALU_DEP_3) | instskip(NEXT) | instid1(VALU_DEP_3)
	v_ldexp_f64 v[8:9], v[8:9], 1
	v_add_f64_e64 v[54:55], v[56:57], -v[64:65]
	s_delay_alu instid0(VALU_DEP_3) | instskip(NEXT) | instid1(VALU_DEP_2)
	v_fma_f64 v[64:65], v[66:67], s[16:17], -v[68:69]
	v_add_f64_e64 v[54:55], v[62:63], -v[54:55]
	s_delay_alu instid0(VALU_DEP_2) | instskip(NEXT) | instid1(VALU_DEP_2)
	v_fmac_f64_e32 v[64:65], 0x3c7abc9e3b39803f, v[66:67]
	v_add_f64_e32 v[8:9], v[8:9], v[54:55]
	s_delay_alu instid0(VALU_DEP_2) | instskip(NEXT) | instid1(VALU_DEP_2)
	v_add_f64_e32 v[54:55], v[68:69], v[64:65]
	v_add_f64_e32 v[62:63], v[56:57], v[8:9]
	s_delay_alu instid0(VALU_DEP_2) | instskip(NEXT) | instid1(VALU_DEP_2)
	v_add_f64_e64 v[68:69], v[54:55], -v[68:69]
	v_add_f64_e32 v[66:67], v[54:55], v[62:63]
	v_add_f64_e64 v[56:57], v[62:63], -v[56:57]
	s_delay_alu instid0(VALU_DEP_3) | instskip(NEXT) | instid1(VALU_DEP_3)
	v_add_f64_e64 v[64:65], v[64:65], -v[68:69]
	v_add_f64_e64 v[70:71], v[66:67], -v[54:55]
	s_delay_alu instid0(VALU_DEP_3) | instskip(NEXT) | instid1(VALU_DEP_2)
	v_add_f64_e64 v[8:9], v[8:9], -v[56:57]
	v_add_f64_e64 v[72:73], v[66:67], -v[70:71]
	;; [unrolled: 1-line block ×3, first 2 shown]
	s_delay_alu instid0(VALU_DEP_3) | instskip(NEXT) | instid1(VALU_DEP_3)
	v_add_f64_e32 v[62:63], v[64:65], v[8:9]
	v_add_f64_e64 v[54:55], v[54:55], -v[72:73]
	s_delay_alu instid0(VALU_DEP_1) | instskip(NEXT) | instid1(VALU_DEP_3)
	v_add_f64_e32 v[54:55], v[56:57], v[54:55]
	v_add_f64_e64 v[56:57], v[62:63], -v[64:65]
	s_delay_alu instid0(VALU_DEP_2) | instskip(NEXT) | instid1(VALU_DEP_2)
	v_add_f64_e32 v[54:55], v[62:63], v[54:55]
	v_add_f64_e64 v[62:63], v[62:63], -v[56:57]
	v_add_f64_e64 v[8:9], v[8:9], -v[56:57]
	s_delay_alu instid0(VALU_DEP_3) | instskip(NEXT) | instid1(VALU_DEP_3)
	v_add_f64_e32 v[68:69], v[66:67], v[54:55]
	v_add_f64_e64 v[62:63], v[64:65], -v[62:63]
	s_delay_alu instid0(VALU_DEP_2) | instskip(NEXT) | instid1(VALU_DEP_2)
	v_add_f64_e64 v[56:57], v[68:69], -v[66:67]
	v_add_f64_e32 v[8:9], v[8:9], v[62:63]
	s_delay_alu instid0(VALU_DEP_2) | instskip(NEXT) | instid1(VALU_DEP_1)
	v_add_f64_e64 v[54:55], v[54:55], -v[56:57]
	v_add_f64_e32 v[8:9], v[8:9], v[54:55]
	s_delay_alu instid0(VALU_DEP_1) | instskip(NEXT) | instid1(VALU_DEP_1)
	v_add_f64_e32 v[8:9], v[68:69], v[8:9]
	v_cndmask_b32_e32 v8, 0, v8, vcc_lo
	v_cmp_neq_f64_e32 vcc_lo, -1.0, v[52:53]
	s_delay_alu instid0(VALU_DEP_3) | instskip(NEXT) | instid1(VALU_DEP_1)
	v_cndmask_b32_e64 v1, 0x7ff00000, v9, s3
	v_cndmask_b32_e64 v1, 0x7ff80000, v1, s4
	s_delay_alu instid0(VALU_DEP_1)
	v_cndmask_b32_e32 v9, 0xfff00000, v1, vcc_lo
.LBB42_26:                              ;   in Loop: Header=BB42_5 Depth=1
	s_and_not1_saveexec_b32 s3, s46
	s_cbranch_execz .LBB42_28
; %bb.27:                               ;   in Loop: Header=BB42_5 Depth=1
	v_add_f64_e64 v[8:9], -|v[14:15]|, 1.0
	s_delay_alu instid0(VALU_DEP_1) | instskip(NEXT) | instid1(VALU_DEP_1)
	v_mul_f64_e32 v[8:9], v[8:9], v[44:45]
	v_cmp_gt_f64_e32 vcc_lo, 0x10000000, v[8:9]
	v_cndmask_b32_e64 v1, 0, 0x100, vcc_lo
	s_delay_alu instid0(VALU_DEP_1) | instskip(SKIP_1) | instid1(VALU_DEP_2)
	v_ldexp_f64 v[8:9], v[8:9], v1
	v_cndmask_b32_e64 v1, 0, 0xffffff80, vcc_lo
	v_rsq_f64_e32 v[52:53], v[8:9]
	v_cmp_class_f64_e64 vcc_lo, v[8:9], 0x260
	s_delay_alu instid0(TRANS32_DEP_1) | instskip(SKIP_1) | instid1(VALU_DEP_1)
	v_mul_f64_e32 v[54:55], v[8:9], v[52:53]
	v_mul_f64_e32 v[52:53], 0.5, v[52:53]
	v_fma_f64 v[56:57], -v[52:53], v[54:55], 0.5
	s_delay_alu instid0(VALU_DEP_1) | instskip(SKIP_1) | instid1(VALU_DEP_2)
	v_fmac_f64_e32 v[54:55], v[54:55], v[56:57]
	v_fmac_f64_e32 v[52:53], v[52:53], v[56:57]
	v_fma_f64 v[56:57], -v[54:55], v[54:55], v[8:9]
	s_delay_alu instid0(VALU_DEP_1) | instskip(NEXT) | instid1(VALU_DEP_1)
	v_fmac_f64_e32 v[54:55], v[56:57], v[52:53]
	v_fma_f64 v[56:57], -v[54:55], v[54:55], v[8:9]
	s_delay_alu instid0(VALU_DEP_1) | instskip(NEXT) | instid1(VALU_DEP_1)
	v_fmac_f64_e32 v[54:55], v[56:57], v[52:53]
	v_ldexp_f64 v[52:53], v[54:55], v1
	v_dual_mov_b32 v54, v16 :: v_dual_mov_b32 v55, v51
	s_delay_alu instid0(VALU_DEP_2) | instskip(NEXT) | instid1(VALU_DEP_1)
	v_dual_cndmask_b32 v9, v53, v9 :: v_dual_cndmask_b32 v8, v52, v8
	v_div_scale_f64 v[52:53], null, v[8:9], v[8:9], v[54:55]
	v_div_scale_f64 v[54:55], vcc_lo, v[54:55], v[8:9], v[54:55]
	s_delay_alu instid0(VALU_DEP_2) | instskip(SKIP_1) | instid1(TRANS32_DEP_1)
	v_rcp_f64_e32 v[56:57], v[52:53]
	v_nop
	v_fma_f64 v[62:63], -v[52:53], v[56:57], 1.0
	s_delay_alu instid0(VALU_DEP_1) | instskip(NEXT) | instid1(VALU_DEP_1)
	v_fmac_f64_e32 v[56:57], v[56:57], v[62:63]
	v_fma_f64 v[62:63], -v[52:53], v[56:57], 1.0
	s_delay_alu instid0(VALU_DEP_1) | instskip(NEXT) | instid1(VALU_DEP_1)
	v_fmac_f64_e32 v[56:57], v[56:57], v[62:63]
	v_mul_f64_e32 v[62:63], v[54:55], v[56:57]
	s_delay_alu instid0(VALU_DEP_1) | instskip(NEXT) | instid1(VALU_DEP_1)
	v_fma_f64 v[52:53], -v[52:53], v[62:63], v[54:55]
	v_div_fmas_f64 v[52:53], v[52:53], v[56:57], v[62:63]
	s_delay_alu instid0(VALU_DEP_1)
	v_div_fixup_f64 v[8:9], v[52:53], v[8:9], |v[16:17]|
.LBB42_28:                              ;   in Loop: Header=BB42_5 Depth=1
	s_or_b32 exec_lo, exec_lo, s3
.LBB42_29:                              ;   in Loop: Header=BB42_5 Depth=1
	s_delay_alu instid0(SALU_CYCLE_1)
	s_or_b32 exec_lo, exec_lo, s45
.LBB42_30:                              ;   in Loop: Header=BB42_5 Depth=1
	s_and_not1_saveexec_b32 s3, s44
	s_cbranch_execz .LBB42_32
; %bb.31:                               ;   in Loop: Header=BB42_5 Depth=1
	v_cmp_gt_f64_e64 s4, 0x10000000, |v[16:17]|
	s_delay_alu instid0(VALU_DEP_1) | instskip(NEXT) | instid1(VALU_DEP_1)
	v_cndmask_b32_e64 v1, 0, 0x100, s4
	v_ldexp_f64 v[8:9], |v[16:17]|, v1
	v_cndmask_b32_e64 v1, 0, 0xffffff80, s4
	s_delay_alu instid0(VALU_DEP_2) | instskip(SKIP_1) | instid1(TRANS32_DEP_1)
	v_rsq_f64_e32 v[52:53], v[8:9]
	v_cmp_class_f64_e64 vcc_lo, v[8:9], 0x260
	v_mul_f64_e32 v[54:55], v[8:9], v[52:53]
	v_mul_f64_e32 v[52:53], 0.5, v[52:53]
	s_delay_alu instid0(VALU_DEP_1) | instskip(NEXT) | instid1(VALU_DEP_1)
	v_fma_f64 v[56:57], -v[52:53], v[54:55], 0.5
	v_fmac_f64_e32 v[54:55], v[54:55], v[56:57]
	v_fmac_f64_e32 v[52:53], v[52:53], v[56:57]
	s_delay_alu instid0(VALU_DEP_2) | instskip(NEXT) | instid1(VALU_DEP_1)
	v_fma_f64 v[56:57], -v[54:55], v[54:55], v[8:9]
	v_fmac_f64_e32 v[54:55], v[56:57], v[52:53]
	s_delay_alu instid0(VALU_DEP_1) | instskip(NEXT) | instid1(VALU_DEP_1)
	v_fma_f64 v[56:57], -v[54:55], v[54:55], v[8:9]
	v_fmac_f64_e32 v[54:55], v[56:57], v[52:53]
	s_delay_alu instid0(VALU_DEP_1) | instskip(NEXT) | instid1(VALU_DEP_1)
	v_ldexp_f64 v[52:53], v[54:55], v1
	v_dual_cndmask_b32 v9, v53, v9 :: v_dual_cndmask_b32 v8, v52, v8
.LBB42_32:                              ;   in Loop: Header=BB42_5 Depth=1
	s_or_b32 exec_lo, exec_lo, s3
.LBB42_33:                              ;   in Loop: Header=BB42_5 Depth=1
	s_delay_alu instid0(SALU_CYCLE_1) | instskip(SKIP_2) | instid1(SALU_CYCLE_1)
	s_or_b32 exec_lo, exec_lo, s43
	v_cmp_ngt_f64_e64 s4, 0x20200000, |v[14:15]|
                                        ; implicit-def: $sgpr3
                                        ; implicit-def: $vgpr52_vgpr53
                                        ; implicit-def: $vgpr56_vgpr57
                                        ; implicit-def: $vgpr54_vgpr55
	s_and_saveexec_b32 s43, s4
	s_xor_b32 s4, exec_lo, s43
	s_cbranch_execz .LBB42_57
; %bb.34:                               ;   in Loop: Header=BB42_5 Depth=1
	v_and_b32_e32 v55, 0x7fffffff, v15
	v_mov_b32_e32 v54, v14
	s_mov_b32 s3, 0
	s_mov_b32 s43, exec_lo
	s_delay_alu instid0(VALU_DEP_1) | instskip(NEXT) | instid1(VALU_DEP_1)
	v_div_scale_f64 v[52:53], null, v[42:43], v[42:43], v[54:55]
	v_rcp_f64_e32 v[56:57], v[52:53]
	v_nop
	s_delay_alu instid0(TRANS32_DEP_1) | instskip(NEXT) | instid1(VALU_DEP_1)
	v_fma_f64 v[62:63], -v[52:53], v[56:57], 1.0
	v_fmac_f64_e32 v[56:57], v[56:57], v[62:63]
	s_delay_alu instid0(VALU_DEP_1) | instskip(NEXT) | instid1(VALU_DEP_1)
	v_fma_f64 v[62:63], -v[52:53], v[56:57], 1.0
	v_fmac_f64_e32 v[56:57], v[56:57], v[62:63]
	v_div_scale_f64 v[62:63], vcc_lo, v[54:55], v[42:43], v[54:55]
	s_delay_alu instid0(VALU_DEP_1) | instskip(NEXT) | instid1(VALU_DEP_1)
	v_mul_f64_e32 v[64:65], v[62:63], v[56:57]
	v_fma_f64 v[52:53], -v[52:53], v[64:65], v[62:63]
	s_delay_alu instid0(VALU_DEP_1) | instskip(NEXT) | instid1(VALU_DEP_1)
	v_div_fmas_f64 v[52:53], v[52:53], v[56:57], v[64:65]
                                        ; implicit-def: $vgpr56_vgpr57
	v_div_fixup_f64 v[52:53], v[52:53], v[42:43], |v[14:15]|
	s_delay_alu instid0(VALU_DEP_1)
	v_cmpx_lt_f64_e32 s[18:19], v[52:53]
	s_cbranch_execz .LBB42_56
; %bb.35:                               ;   in Loop: Header=BB42_5 Depth=1
	v_cmp_neq_f64_e64 s3, |v[14:15]|, 1.0
	v_cmp_ngt_f64_e64 s44, 0x3c400000, |v[16:17]|
                                        ; implicit-def: $vgpr56_vgpr57
	s_or_b32 s3, s3, s44
	s_delay_alu instid0(SALU_CYCLE_1) | instskip(NEXT) | instid1(SALU_CYCLE_1)
	s_and_saveexec_b32 s44, s3
	s_xor_b32 s3, exec_lo, s44
	s_cbranch_execz .LBB42_53
; %bb.36:                               ;   in Loop: Header=BB42_5 Depth=1
	v_ldexp_f64 v[56:57], |v[6:7]|, 0xffffffcc
	s_delay_alu instid0(VALU_DEP_1) | instskip(SKIP_1) | instid1(SALU_CYCLE_1)
	v_cmp_ge_f64_e64 s44, |v[16:17]|, v[56:57]
                                        ; implicit-def: $vgpr56_vgpr57
	s_and_saveexec_b32 s45, s44
	s_xor_b32 s44, exec_lo, s45
	s_cbranch_execz .LBB42_46
; %bb.37:                               ;   in Loop: Header=BB42_5 Depth=1
	v_mov_b64_e32 v[56:57], v[50:51]
	s_mov_b32 s45, exec_lo
	v_cmpx_neq_f64_e32 0, v[44:45]
	s_cbranch_execz .LBB42_39
; %bb.38:                               ;   in Loop: Header=BB42_5 Depth=1
	v_mul_f64_e32 v[56:57], v[16:17], v[16:17]
	v_add_f64_e32 v[44:45], v[44:45], v[48:49]
	s_delay_alu instid0(VALU_DEP_1) | instskip(NEXT) | instid1(VALU_DEP_1)
	v_div_scale_f64 v[48:49], null, v[44:45], v[44:45], v[56:57]
	v_rcp_f64_e32 v[62:63], v[48:49]
	v_nop
	s_delay_alu instid0(TRANS32_DEP_1) | instskip(NEXT) | instid1(VALU_DEP_1)
	v_fma_f64 v[64:65], -v[48:49], v[62:63], 1.0
	v_fmac_f64_e32 v[62:63], v[62:63], v[64:65]
	s_delay_alu instid0(VALU_DEP_1) | instskip(NEXT) | instid1(VALU_DEP_1)
	v_fma_f64 v[64:65], -v[48:49], v[62:63], 1.0
	v_fmac_f64_e32 v[62:63], v[62:63], v[64:65]
	v_div_scale_f64 v[64:65], vcc_lo, v[56:57], v[44:45], v[56:57]
	s_delay_alu instid0(VALU_DEP_1) | instskip(NEXT) | instid1(VALU_DEP_1)
	v_mul_f64_e32 v[66:67], v[64:65], v[62:63]
	v_fma_f64 v[48:49], -v[48:49], v[66:67], v[64:65]
	s_delay_alu instid0(VALU_DEP_1) | instskip(NEXT) | instid1(VALU_DEP_1)
	v_div_fmas_f64 v[48:49], v[48:49], v[62:63], v[66:67]
	v_div_fixup_f64 v[56:57], v[48:49], v[44:45], v[56:57]
.LBB42_39:                              ;   in Loop: Header=BB42_5 Depth=1
	s_or_b32 exec_lo, exec_lo, s45
	s_delay_alu instid0(SALU_CYCLE_1)
	s_mov_b32 s45, exec_lo
	v_cmpx_ngt_f64_e32 0, v[6:7]
	s_xor_b32 s45, exec_lo, s45
	s_cbranch_execz .LBB42_43
; %bb.40:                               ;   in Loop: Header=BB42_5 Depth=1
	s_mov_b32 s46, exec_lo
	v_cmpx_neq_f64_e32 0, v[6:7]
	s_cbranch_execz .LBB42_42
; %bb.41:                               ;   in Loop: Header=BB42_5 Depth=1
	v_mul_f64_e32 v[44:45], v[16:17], v[16:17]
	v_add_f64_e32 v[6:7], v[6:7], v[46:47]
	s_delay_alu instid0(VALU_DEP_1) | instskip(NEXT) | instid1(VALU_DEP_1)
	v_div_scale_f64 v[46:47], null, v[6:7], v[6:7], v[44:45]
	v_rcp_f64_e32 v[48:49], v[46:47]
	v_nop
	s_delay_alu instid0(TRANS32_DEP_1) | instskip(NEXT) | instid1(VALU_DEP_1)
	v_fma_f64 v[50:51], -v[46:47], v[48:49], 1.0
	v_fmac_f64_e32 v[48:49], v[48:49], v[50:51]
	s_delay_alu instid0(VALU_DEP_1) | instskip(NEXT) | instid1(VALU_DEP_1)
	v_fma_f64 v[50:51], -v[46:47], v[48:49], 1.0
	v_fmac_f64_e32 v[48:49], v[48:49], v[50:51]
	v_div_scale_f64 v[50:51], vcc_lo, v[44:45], v[6:7], v[44:45]
	s_delay_alu instid0(VALU_DEP_1) | instskip(NEXT) | instid1(VALU_DEP_1)
	v_mul_f64_e32 v[62:63], v[50:51], v[48:49]
	v_fma_f64 v[46:47], -v[46:47], v[62:63], v[50:51]
	s_delay_alu instid0(VALU_DEP_1) | instskip(NEXT) | instid1(VALU_DEP_1)
	v_div_fmas_f64 v[46:47], v[46:47], v[48:49], v[62:63]
	v_div_fixup_f64 v[50:51], v[46:47], v[6:7], v[44:45]
.LBB42_42:                              ;   in Loop: Header=BB42_5 Depth=1
	s_or_b32 exec_lo, exec_lo, s46
                                        ; implicit-def: $vgpr6_vgpr7
                                        ; implicit-def: $vgpr46_vgpr47
.LBB42_43:                              ;   in Loop: Header=BB42_5 Depth=1
	s_and_not1_saveexec_b32 s45, s45
; %bb.44:                               ;   in Loop: Header=BB42_5 Depth=1
	v_add_f64_e64 v[50:51], v[46:47], -v[6:7]
; %bb.45:                               ;   in Loop: Header=BB42_5 Depth=1
	s_or_b32 exec_lo, exec_lo, s45
	s_delay_alu instid0(VALU_DEP_1) | instskip(SKIP_1) | instid1(VALU_DEP_2)
	v_mul_f64_e32 v[6:7], 0.5, v[50:51]
	v_add_f64_e64 v[42:43], |v[14:15]|, v[42:43]
	v_fmac_f64_e32 v[6:7], 0.5, v[56:57]
	s_delay_alu instid0(VALU_DEP_1) | instskip(NEXT) | instid1(VALU_DEP_1)
	v_mul_f64_e32 v[6:7], v[42:43], v[6:7]
	v_cmp_gt_f64_e32 vcc_lo, 0x10000000, v[6:7]
	v_cndmask_b32_e64 v1, 0, 0x100, vcc_lo
	s_delay_alu instid0(VALU_DEP_1) | instskip(SKIP_1) | instid1(VALU_DEP_2)
	v_ldexp_f64 v[6:7], v[6:7], v1
	v_cndmask_b32_e64 v1, 0, 0xffffff80, vcc_lo
	v_rsq_f64_e32 v[42:43], v[6:7]
	v_cmp_class_f64_e64 vcc_lo, v[6:7], 0x260
	s_delay_alu instid0(TRANS32_DEP_1) | instskip(SKIP_1) | instid1(VALU_DEP_1)
	v_mul_f64_e32 v[44:45], v[6:7], v[42:43]
	v_mul_f64_e32 v[42:43], 0.5, v[42:43]
	v_fma_f64 v[46:47], -v[42:43], v[44:45], 0.5
	s_delay_alu instid0(VALU_DEP_1) | instskip(SKIP_1) | instid1(VALU_DEP_2)
	v_fmac_f64_e32 v[44:45], v[44:45], v[46:47]
	v_fmac_f64_e32 v[42:43], v[42:43], v[46:47]
	v_fma_f64 v[46:47], -v[44:45], v[44:45], v[6:7]
	s_delay_alu instid0(VALU_DEP_1) | instskip(NEXT) | instid1(VALU_DEP_1)
	v_fmac_f64_e32 v[44:45], v[46:47], v[42:43]
	v_fma_f64 v[46:47], -v[44:45], v[44:45], v[6:7]
	s_delay_alu instid0(VALU_DEP_1) | instskip(NEXT) | instid1(VALU_DEP_1)
	v_fmac_f64_e32 v[44:45], v[46:47], v[42:43]
	v_ldexp_f64 v[42:43], v[44:45], v1
                                        ; implicit-def: $vgpr44_vgpr45
	s_delay_alu instid0(VALU_DEP_1)
	v_dual_cndmask_b32 v57, v43, v7 :: v_dual_cndmask_b32 v56, v42, v6
                                        ; implicit-def: $vgpr6_vgpr7
.LBB42_46:                              ;   in Loop: Header=BB42_5 Depth=1
	s_and_not1_saveexec_b32 s44, s44
	s_cbranch_execz .LBB42_52
; %bb.47:                               ;   in Loop: Header=BB42_5 Depth=1
	v_cmp_ngt_f64_e64 s45, |v[14:15]|, 1.0
                                        ; implicit-def: $vgpr56_vgpr57
	s_and_saveexec_b32 s46, s45
	s_delay_alu instid0(SALU_CYCLE_1)
	s_xor_b32 s45, exec_lo, s46
	s_cbranch_execz .LBB42_49
; %bb.48:                               ;   in Loop: Header=BB42_5 Depth=1
	v_add_f64_e64 v[6:7], -|v[14:15]|, 1.0
	s_delay_alu instid0(VALU_DEP_1) | instskip(NEXT) | instid1(VALU_DEP_1)
	v_mul_f64_e32 v[6:7], v[6:7], v[44:45]
	v_cmp_gt_f64_e32 vcc_lo, 0x10000000, v[6:7]
	v_cndmask_b32_e64 v1, 0, 0x100, vcc_lo
	s_delay_alu instid0(VALU_DEP_1) | instskip(SKIP_1) | instid1(VALU_DEP_2)
	v_ldexp_f64 v[6:7], v[6:7], v1
	v_cndmask_b32_e64 v1, 0, 0xffffff80, vcc_lo
	v_rsq_f64_e32 v[42:43], v[6:7]
	v_cmp_class_f64_e64 vcc_lo, v[6:7], 0x260
	s_delay_alu instid0(TRANS32_DEP_1) | instskip(SKIP_1) | instid1(VALU_DEP_1)
	v_mul_f64_e32 v[44:45], v[6:7], v[42:43]
	v_mul_f64_e32 v[42:43], 0.5, v[42:43]
	v_fma_f64 v[46:47], -v[42:43], v[44:45], 0.5
	s_delay_alu instid0(VALU_DEP_1) | instskip(SKIP_1) | instid1(VALU_DEP_2)
	v_fmac_f64_e32 v[44:45], v[44:45], v[46:47]
	v_fmac_f64_e32 v[42:43], v[42:43], v[46:47]
	v_fma_f64 v[46:47], -v[44:45], v[44:45], v[6:7]
	s_delay_alu instid0(VALU_DEP_1) | instskip(NEXT) | instid1(VALU_DEP_1)
	v_fmac_f64_e32 v[44:45], v[46:47], v[42:43]
	v_fma_f64 v[46:47], -v[44:45], v[44:45], v[6:7]
	s_delay_alu instid0(VALU_DEP_1) | instskip(NEXT) | instid1(VALU_DEP_1)
	v_fmac_f64_e32 v[44:45], v[46:47], v[42:43]
	v_ldexp_f64 v[42:43], v[44:45], v1
                                        ; implicit-def: $vgpr44_vgpr45
	s_delay_alu instid0(VALU_DEP_1)
	v_dual_cndmask_b32 v57, v43, v7 :: v_dual_cndmask_b32 v56, v42, v6
                                        ; implicit-def: $vgpr6_vgpr7
.LBB42_49:                              ;   in Loop: Header=BB42_5 Depth=1
	s_and_not1_saveexec_b32 s45, s45
	s_cbranch_execz .LBB42_51
; %bb.50:                               ;   in Loop: Header=BB42_5 Depth=1
	v_mul_f64_e32 v[6:7], v[44:45], v[6:7]
	v_ldexp_f64 v[54:55], |v[14:15]|, 0x6a
	s_delay_alu instid0(VALU_DEP_2) | instskip(SKIP_1) | instid1(VALU_DEP_1)
	v_cmp_gt_f64_e32 vcc_lo, 0x10000000, v[6:7]
	v_cndmask_b32_e64 v1, 0, 0x100, vcc_lo
	v_ldexp_f64 v[6:7], v[6:7], v1
	v_cndmask_b32_e64 v1, 0, 0xffffff80, vcc_lo
	s_delay_alu instid0(VALU_DEP_2) | instskip(SKIP_1) | instid1(TRANS32_DEP_1)
	v_rsq_f64_e32 v[42:43], v[6:7]
	v_cmp_class_f64_e64 vcc_lo, v[6:7], 0x260
	v_mul_f64_e32 v[44:45], v[6:7], v[42:43]
	v_mul_f64_e32 v[42:43], 0.5, v[42:43]
	s_delay_alu instid0(VALU_DEP_1) | instskip(NEXT) | instid1(VALU_DEP_1)
	v_fma_f64 v[46:47], -v[42:43], v[44:45], 0.5
	v_fmac_f64_e32 v[44:45], v[44:45], v[46:47]
	v_fmac_f64_e32 v[42:43], v[42:43], v[46:47]
	s_delay_alu instid0(VALU_DEP_2) | instskip(NEXT) | instid1(VALU_DEP_1)
	v_fma_f64 v[46:47], -v[44:45], v[44:45], v[6:7]
	v_fmac_f64_e32 v[44:45], v[46:47], v[42:43]
	s_delay_alu instid0(VALU_DEP_1) | instskip(NEXT) | instid1(VALU_DEP_1)
	v_fma_f64 v[46:47], -v[44:45], v[44:45], v[6:7]
	v_fmac_f64_e32 v[44:45], v[46:47], v[42:43]
	v_ldexp_f64 v[42:43], |v[16:17]|, 0x6a
	s_delay_alu instid0(VALU_DEP_2) | instskip(NEXT) | instid1(VALU_DEP_2)
	v_ldexp_f64 v[44:45], v[44:45], v1
	v_mul_f64_e64 v[42:43], |v[14:15]|, v[42:43]
	s_delay_alu instid0(VALU_DEP_2) | instskip(NEXT) | instid1(VALU_DEP_1)
	v_dual_cndmask_b32 v7, v45, v7 :: v_dual_cndmask_b32 v6, v44, v6
	v_div_scale_f64 v[44:45], null, v[6:7], v[6:7], v[42:43]
	v_div_scale_f64 v[50:51], vcc_lo, v[42:43], v[6:7], v[42:43]
	s_delay_alu instid0(VALU_DEP_2) | instskip(SKIP_1) | instid1(TRANS32_DEP_1)
	v_rcp_f64_e32 v[46:47], v[44:45]
	v_nop
	v_fma_f64 v[48:49], -v[44:45], v[46:47], 1.0
	s_delay_alu instid0(VALU_DEP_1) | instskip(NEXT) | instid1(VALU_DEP_1)
	v_fmac_f64_e32 v[46:47], v[46:47], v[48:49]
	v_fma_f64 v[48:49], -v[44:45], v[46:47], 1.0
	s_delay_alu instid0(VALU_DEP_1) | instskip(NEXT) | instid1(VALU_DEP_1)
	v_fmac_f64_e32 v[46:47], v[46:47], v[48:49]
	v_mul_f64_e32 v[48:49], v[50:51], v[46:47]
	s_delay_alu instid0(VALU_DEP_1) | instskip(NEXT) | instid1(VALU_DEP_1)
	v_fma_f64 v[44:45], -v[44:45], v[48:49], v[50:51]
	v_div_fmas_f64 v[44:45], v[44:45], v[46:47], v[48:49]
	s_delay_alu instid0(VALU_DEP_1)
	v_div_fixup_f64 v[56:57], v[44:45], v[6:7], v[42:43]
.LBB42_51:                              ;   in Loop: Header=BB42_5 Depth=1
	s_or_b32 exec_lo, exec_lo, s45
.LBB42_52:                              ;   in Loop: Header=BB42_5 Depth=1
	s_delay_alu instid0(SALU_CYCLE_1)
	s_or_b32 exec_lo, exec_lo, s44
                                        ; implicit-def: $vgpr42_vgpr43
.LBB42_53:                              ;   in Loop: Header=BB42_5 Depth=1
	s_and_not1_saveexec_b32 s44, s3
	s_cbranch_execz .LBB42_55
; %bb.54:                               ;   in Loop: Header=BB42_5 Depth=1
	v_cmp_gt_f64_e64 s3, 0x10000000, |v[16:17]|
	s_delay_alu instid0(VALU_DEP_1) | instskip(NEXT) | instid1(VALU_DEP_1)
	v_cndmask_b32_e64 v1, 0, 0x100, s3
	v_ldexp_f64 v[16:17], |v[16:17]|, v1
	v_add_f64_e32 v[6:7], 1.0, v[42:43]
	v_cndmask_b32_e64 v1, 0, 0xffffff80, s3
	s_delay_alu instid0(VALU_DEP_2) | instskip(NEXT) | instid1(VALU_DEP_1)
	v_mul_f64_e32 v[6:7], 0.5, v[6:7]
	v_cmp_gt_f64_e32 vcc_lo, 0x10000000, v[6:7]
	v_cndmask_b32_e64 v42, 0, 0x100, vcc_lo
	s_delay_alu instid0(VALU_DEP_1) | instskip(SKIP_1) | instid1(VALU_DEP_1)
	v_ldexp_f64 v[6:7], v[6:7], v42
	v_rsq_f64_e32 v[42:43], v[16:17]
	v_rsq_f64_e32 v[44:45], v[6:7]
	v_cmp_class_f64_e64 s3, v[6:7], 0x260
	s_delay_alu instid0(TRANS32_DEP_2) | instskip(SKIP_1) | instid1(TRANS32_DEP_1)
	v_mul_f64_e32 v[46:47], v[16:17], v[42:43]
	v_mul_f64_e32 v[42:43], 0.5, v[42:43]
	v_mul_f64_e32 v[48:49], v[6:7], v[44:45]
	v_mul_f64_e32 v[44:45], 0.5, v[44:45]
	s_delay_alu instid0(VALU_DEP_3) | instskip(NEXT) | instid1(VALU_DEP_2)
	v_fma_f64 v[50:51], -v[42:43], v[46:47], 0.5
	v_fma_f64 v[54:55], -v[44:45], v[48:49], 0.5
	s_delay_alu instid0(VALU_DEP_2) | instskip(SKIP_1) | instid1(VALU_DEP_3)
	v_fmac_f64_e32 v[46:47], v[46:47], v[50:51]
	v_fmac_f64_e32 v[42:43], v[42:43], v[50:51]
	v_fmac_f64_e32 v[48:49], v[48:49], v[54:55]
	s_delay_alu instid0(VALU_DEP_3) | instskip(SKIP_1) | instid1(VALU_DEP_3)
	v_fma_f64 v[50:51], -v[46:47], v[46:47], v[16:17]
	v_fmac_f64_e32 v[44:45], v[44:45], v[54:55]
	v_fma_f64 v[54:55], -v[48:49], v[48:49], v[6:7]
	s_delay_alu instid0(VALU_DEP_3) | instskip(NEXT) | instid1(VALU_DEP_2)
	v_fmac_f64_e32 v[46:47], v[50:51], v[42:43]
	v_fmac_f64_e32 v[48:49], v[54:55], v[44:45]
	s_delay_alu instid0(VALU_DEP_2) | instskip(NEXT) | instid1(VALU_DEP_2)
	v_fma_f64 v[50:51], -v[46:47], v[46:47], v[16:17]
	v_fma_f64 v[54:55], -v[48:49], v[48:49], v[6:7]
	s_delay_alu instid0(VALU_DEP_2) | instskip(NEXT) | instid1(VALU_DEP_2)
	v_fmac_f64_e32 v[46:47], v[50:51], v[42:43]
	v_fmac_f64_e32 v[48:49], v[54:55], v[44:45]
	v_cndmask_b32_e64 v44, 0, 0xffffff80, vcc_lo
	s_delay_alu instid0(VALU_DEP_3) | instskip(SKIP_2) | instid1(VALU_DEP_4)
	v_ldexp_f64 v[42:43], v[46:47], v1
	v_cmp_class_f64_e64 vcc_lo, v[16:17], 0x260
	v_mov_b64_e32 v[54:55], 1.0
	v_ldexp_f64 v[44:45], v[48:49], v44
	s_delay_alu instid0(VALU_DEP_4) | instskip(NEXT) | instid1(VALU_DEP_2)
	v_dual_cndmask_b32 v17, v43, v17 :: v_dual_cndmask_b32 v16, v42, v16
	v_dual_cndmask_b32 v7, v45, v7, s3 :: v_dual_cndmask_b32 v6, v44, v6, s3
	s_delay_alu instid0(VALU_DEP_1)
	v_mul_f64_e32 v[56:57], v[16:17], v[6:7]
.LBB42_55:                              ;   in Loop: Header=BB42_5 Depth=1
	s_or_b32 exec_lo, exec_lo, s44
	s_delay_alu instid0(SALU_CYCLE_1)
	s_mov_b32 s3, exec_lo
.LBB42_56:                              ;   in Loop: Header=BB42_5 Depth=1
	s_or_b32 exec_lo, exec_lo, s43
                                        ; implicit-def: $vgpr42_vgpr43
.LBB42_57:                              ;   in Loop: Header=BB42_5 Depth=1
	s_and_not1_saveexec_b32 s4, s4
	s_cbranch_execz .LBB42_59
; %bb.58:                               ;   in Loop: Header=BB42_5 Depth=1
	v_ldexp_f64 v[56:57], v[42:43], 53
	v_ldexp_f64 v[54:55], |v[14:15]|, 53
	s_or_b32 s3, s3, exec_lo
                                        ; implicit-def: $vgpr52_vgpr53
.LBB42_59:                              ;   in Loop: Header=BB42_5 Depth=1
	s_or_b32 exec_lo, exec_lo, s4
	s_xor_b32 s3, s3, -1
	v_cmp_lt_i64_e32 vcc_lo, -1, v[14:15]
	s_and_saveexec_b32 s4, s3
	s_delay_alu instid0(SALU_CYCLE_1)
	s_xor_b32 s4, exec_lo, s4
	s_cbranch_execz .LBB42_69
; %bb.60:                               ;   in Loop: Header=BB42_5 Depth=1
	s_and_saveexec_b32 s3, vcc_lo
	s_delay_alu instid0(SALU_CYCLE_1)
	s_xor_b32 s43, exec_lo, s3
	s_cbranch_execz .LBB42_64
; %bb.61:                               ;   in Loop: Header=BB42_5 Depth=1
	v_fma_f64 v[16:17], |v[52:53]|, -0.5, 0.5
	v_mul_f64_e32 v[6:7], v[52:53], v[52:53]
	v_cmp_ge_f64_e64 s3, |v[52:53]|, 0.5
	s_delay_alu instid0(VALU_DEP_1) | instskip(NEXT) | instid1(VALU_DEP_1)
	v_dual_cndmask_b32 v7, v7, v17, s3 :: v_dual_cndmask_b32 v6, v6, v16, s3
	v_fmamk_f64 v[14:15], v[6:7], 0x3fa059859fea6a70, v[32:33]
	s_delay_alu instid0(VALU_DEP_1) | instskip(NEXT) | instid1(VALU_DEP_1)
	v_fmaak_f64 v[14:15], v[6:7], v[14:15], 0x3f94052137024d6a
	v_fmaak_f64 v[14:15], v[6:7], v[14:15], 0x3f7ab3a098a70509
	s_delay_alu instid0(VALU_DEP_1) | instskip(NEXT) | instid1(VALU_DEP_1)
	v_fmaak_f64 v[14:15], v[6:7], v[14:15], 0x3f88ed60a300c8d2
	v_fmaak_f64 v[14:15], v[6:7], v[14:15], 0x3f8c6fa84b77012b
	;; [unrolled: 3-line block ×5, first 2 shown]
	s_delay_alu instid0(VALU_DEP_1) | instskip(NEXT) | instid1(VALU_DEP_1)
	v_mul_f64_e32 v[14:15], v[6:7], v[14:15]
	v_fma_f64 v[6:7], v[52:53], v[14:15], v[52:53]
	s_delay_alu instid0(VALU_DEP_1)
	v_fma_f64 v[6:7], s[22:23], s[20:21], -v[6:7]
	s_and_saveexec_b32 s44, s3
	s_cbranch_execz .LBB42_63
; %bb.62:                               ;   in Loop: Header=BB42_5 Depth=1
	v_rsq_f64_e32 v[6:7], v[16:17]
	v_cmp_eq_f64_e64 s3, 0, v[16:17]
	s_delay_alu instid0(TRANS32_DEP_1) | instskip(SKIP_1) | instid1(VALU_DEP_1)
	v_mul_f64_e32 v[42:43], v[16:17], v[6:7]
	v_mul_f64_e32 v[6:7], 0.5, v[6:7]
	v_fma_f64 v[44:45], -v[6:7], v[42:43], 0.5
	s_delay_alu instid0(VALU_DEP_1) | instskip(SKIP_1) | instid1(VALU_DEP_2)
	v_fmac_f64_e32 v[42:43], v[42:43], v[44:45]
	v_fmac_f64_e32 v[6:7], v[6:7], v[44:45]
	v_fma_f64 v[44:45], -v[42:43], v[42:43], v[16:17]
	s_delay_alu instid0(VALU_DEP_1) | instskip(NEXT) | instid1(VALU_DEP_1)
	v_fmac_f64_e32 v[42:43], v[44:45], v[6:7]
	v_dual_cndmask_b32 v7, v43, v17, s3 :: v_dual_cndmask_b32 v6, v42, v16, s3
	s_delay_alu instid0(VALU_DEP_1) | instskip(SKIP_1) | instid1(VALU_DEP_2)
	v_add_f64_e32 v[42:43], v[6:7], v[6:7]
	v_mul_f64_e32 v[44:45], v[6:7], v[6:7]
	v_rcp_f64_e32 v[46:47], v[42:43]
	s_delay_alu instid0(VALU_DEP_1) | instskip(SKIP_1) | instid1(VALU_DEP_2)
	v_add_f64_e64 v[48:49], v[16:17], -v[44:45]
	v_fma_f64 v[54:55], v[6:7], v[6:7], -v[44:45]
	v_add_f64_e64 v[16:17], v[16:17], -v[48:49]
	s_delay_alu instid0(TRANS32_DEP_1) | instskip(NEXT) | instid1(VALU_DEP_2)
	v_fma_f64 v[50:51], -v[42:43], v[46:47], 1.0
	v_add_f64_e64 v[16:17], v[16:17], -v[44:45]
	s_delay_alu instid0(VALU_DEP_2) | instskip(NEXT) | instid1(VALU_DEP_2)
	v_fmac_f64_e32 v[46:47], v[50:51], v[46:47]
	v_add_f64_e64 v[16:17], v[16:17], -v[54:55]
	s_delay_alu instid0(VALU_DEP_2) | instskip(NEXT) | instid1(VALU_DEP_2)
	v_fma_f64 v[44:45], -v[42:43], v[46:47], 1.0
	v_add_f64_e32 v[16:17], v[48:49], v[16:17]
	s_delay_alu instid0(VALU_DEP_2) | instskip(NEXT) | instid1(VALU_DEP_1)
	v_fmac_f64_e32 v[46:47], v[44:45], v[46:47]
	v_mul_f64_e32 v[44:45], v[16:17], v[46:47]
	s_delay_alu instid0(VALU_DEP_1) | instskip(NEXT) | instid1(VALU_DEP_1)
	v_fma_f64 v[16:17], -v[42:43], v[44:45], v[16:17]
	v_fmac_f64_e32 v[44:45], v[16:17], v[46:47]
	s_delay_alu instid0(VALU_DEP_1) | instskip(NEXT) | instid1(VALU_DEP_2)
	v_cndmask_b32_e64 v17, v45, 0, s3
	v_cndmask_b32_e64 v16, v44, 0, s3
	v_cmp_neq_f64_e64 s3, 1.0, v[52:53]
	s_delay_alu instid0(VALU_DEP_2) | instskip(NEXT) | instid1(VALU_DEP_1)
	v_add_f64_e32 v[42:43], v[6:7], v[16:17]
	v_add_f64_e64 v[6:7], v[42:43], -v[6:7]
	s_delay_alu instid0(VALU_DEP_1) | instskip(NEXT) | instid1(VALU_DEP_1)
	v_add_f64_e64 v[6:7], v[16:17], -v[6:7]
	v_fmac_f64_e32 v[6:7], v[42:43], v[14:15]
	s_delay_alu instid0(VALU_DEP_1) | instskip(NEXT) | instid1(VALU_DEP_1)
	v_add_f64_e32 v[6:7], v[42:43], v[6:7]
	v_add_f64_e32 v[6:7], v[6:7], v[6:7]
	s_delay_alu instid0(VALU_DEP_1)
	v_dual_cndmask_b32 v7, 0, v7, s3 :: v_dual_cndmask_b32 v6, 0, v6, s3
.LBB42_63:                              ;   in Loop: Header=BB42_5 Depth=1
	s_or_b32 exec_lo, exec_lo, s44
                                        ; implicit-def: $vgpr52_vgpr53
.LBB42_64:                              ;   in Loop: Header=BB42_5 Depth=1
	s_and_not1_saveexec_b32 s43, s43
	s_cbranch_execz .LBB42_68
; %bb.65:                               ;   in Loop: Header=BB42_5 Depth=1
	v_fma_f64 v[16:17], |v[52:53]|, -0.5, 0.5
	v_mul_f64_e32 v[6:7], v[52:53], v[52:53]
	v_cmp_ge_f64_e64 s3, |v[52:53]|, 0.5
	s_delay_alu instid0(VALU_DEP_1) | instskip(NEXT) | instid1(VALU_DEP_1)
	v_dual_cndmask_b32 v7, v7, v17, s3 :: v_dual_cndmask_b32 v6, v6, v16, s3
	v_fmamk_f64 v[14:15], v[6:7], 0x3fa059859fea6a70, v[32:33]
	s_delay_alu instid0(VALU_DEP_1) | instskip(NEXT) | instid1(VALU_DEP_1)
	v_fmaak_f64 v[14:15], v[6:7], v[14:15], 0x3f94052137024d6a
	v_fmaak_f64 v[14:15], v[6:7], v[14:15], 0x3f7ab3a098a70509
	s_delay_alu instid0(VALU_DEP_1) | instskip(NEXT) | instid1(VALU_DEP_1)
	v_fmaak_f64 v[14:15], v[6:7], v[14:15], 0x3f88ed60a300c8d2
	v_fmaak_f64 v[14:15], v[6:7], v[14:15], 0x3f8c6fa84b77012b
	;; [unrolled: 3-line block ×5, first 2 shown]
	s_delay_alu instid0(VALU_DEP_1) | instskip(NEXT) | instid1(VALU_DEP_1)
	v_mul_f64_e32 v[14:15], v[6:7], v[14:15]
	v_fma_f64 v[6:7], -v[52:53], v[14:15], -v[52:53]
	s_delay_alu instid0(VALU_DEP_1)
	v_fma_f64 v[6:7], s[22:23], s[20:21], -v[6:7]
	s_and_saveexec_b32 s44, s3
	s_cbranch_execz .LBB42_67
; %bb.66:                               ;   in Loop: Header=BB42_5 Depth=1
	v_rsq_f64_e32 v[6:7], v[16:17]
	v_cmp_eq_f64_e64 s3, 0, v[16:17]
	s_delay_alu instid0(TRANS32_DEP_1) | instskip(SKIP_1) | instid1(VALU_DEP_1)
	v_mul_f64_e32 v[42:43], v[16:17], v[6:7]
	v_mul_f64_e32 v[6:7], 0.5, v[6:7]
	v_fma_f64 v[44:45], -v[6:7], v[42:43], 0.5
	s_delay_alu instid0(VALU_DEP_1) | instskip(SKIP_1) | instid1(VALU_DEP_2)
	v_fmac_f64_e32 v[42:43], v[42:43], v[44:45]
	v_fmac_f64_e32 v[6:7], v[6:7], v[44:45]
	v_fma_f64 v[44:45], -v[42:43], v[42:43], v[16:17]
	s_delay_alu instid0(VALU_DEP_1) | instskip(NEXT) | instid1(VALU_DEP_1)
	v_fmac_f64_e32 v[42:43], v[44:45], v[6:7]
	v_dual_cndmask_b32 v7, v43, v17, s3 :: v_dual_cndmask_b32 v6, v42, v16, s3
	s_delay_alu instid0(VALU_DEP_1) | instskip(SKIP_1) | instid1(VALU_DEP_2)
	v_add_f64_e32 v[42:43], v[6:7], v[6:7]
	v_mul_f64_e32 v[44:45], v[6:7], v[6:7]
	v_rcp_f64_e32 v[46:47], v[42:43]
	s_delay_alu instid0(VALU_DEP_1) | instskip(SKIP_1) | instid1(VALU_DEP_2)
	v_add_f64_e64 v[48:49], v[16:17], -v[44:45]
	v_fma_f64 v[54:55], v[6:7], v[6:7], -v[44:45]
	v_add_f64_e64 v[16:17], v[16:17], -v[48:49]
	s_delay_alu instid0(TRANS32_DEP_1) | instskip(NEXT) | instid1(VALU_DEP_2)
	v_fma_f64 v[50:51], -v[42:43], v[46:47], 1.0
	v_add_f64_e64 v[16:17], v[16:17], -v[44:45]
	s_delay_alu instid0(VALU_DEP_2) | instskip(NEXT) | instid1(VALU_DEP_2)
	v_fmac_f64_e32 v[46:47], v[50:51], v[46:47]
	v_add_f64_e64 v[16:17], v[16:17], -v[54:55]
	s_delay_alu instid0(VALU_DEP_2) | instskip(NEXT) | instid1(VALU_DEP_2)
	v_fma_f64 v[44:45], -v[42:43], v[46:47], 1.0
	v_add_f64_e32 v[16:17], v[48:49], v[16:17]
	s_delay_alu instid0(VALU_DEP_2) | instskip(NEXT) | instid1(VALU_DEP_1)
	v_fmac_f64_e32 v[46:47], v[44:45], v[46:47]
	v_mul_f64_e32 v[44:45], v[16:17], v[46:47]
	s_delay_alu instid0(VALU_DEP_1) | instskip(NEXT) | instid1(VALU_DEP_1)
	v_fma_f64 v[16:17], -v[42:43], v[44:45], v[16:17]
	v_fmac_f64_e32 v[44:45], v[16:17], v[46:47]
	s_delay_alu instid0(VALU_DEP_1) | instskip(NEXT) | instid1(VALU_DEP_2)
	v_cndmask_b32_e64 v17, v45, 0, s3
	v_cndmask_b32_e64 v16, v44, 0, s3
	v_cmp_lt_f64_e64 s3, 0, v[52:53]
	s_delay_alu instid0(VALU_DEP_2) | instskip(NEXT) | instid1(VALU_DEP_1)
	v_add_f64_e32 v[42:43], v[6:7], v[16:17]
	v_add_f64_e64 v[6:7], v[42:43], -v[6:7]
	s_delay_alu instid0(VALU_DEP_1) | instskip(SKIP_1) | instid1(VALU_DEP_2)
	v_add_f64_e64 v[6:7], v[16:17], -v[6:7]
	v_fma_f64 v[16:17], v[42:43], v[14:15], v[42:43]
	v_fmac_f64_e32 v[6:7], v[42:43], v[14:15]
	s_delay_alu instid0(VALU_DEP_2) | instskip(NEXT) | instid1(VALU_DEP_2)
	v_mul_f64_e32 v[14:15], -2.0, v[16:17]
	v_add_f64_e32 v[6:7], v[42:43], v[6:7]
	s_delay_alu instid0(VALU_DEP_2) | instskip(NEXT) | instid1(VALU_DEP_2)
	v_fmac_f64_e64 v[14:15], s[24:25], s[20:21]
	v_add_f64_e32 v[6:7], v[6:7], v[6:7]
	s_delay_alu instid0(VALU_DEP_1) | instskip(SKIP_1) | instid1(VALU_DEP_1)
	v_dual_cndmask_b32 v1, v6, v14, s3 :: v_dual_cndmask_b32 v6, v7, v15, s3
	v_cmp_neq_f64_e64 s3, 1.0, v[52:53]
	v_cndmask_b32_e64 v7, 0x400921fb, v6, s3
	s_delay_alu instid0(VALU_DEP_3)
	v_cndmask_b32_e64 v6, 0x54442d18, v1, s3
.LBB42_67:                              ;   in Loop: Header=BB42_5 Depth=1
	s_or_b32 exec_lo, exec_lo, s44
.LBB42_68:                              ;   in Loop: Header=BB42_5 Depth=1
	s_delay_alu instid0(SALU_CYCLE_1)
	s_or_b32 exec_lo, exec_lo, s43
                                        ; implicit-def: $vgpr54_vgpr55
                                        ; implicit-def: $vgpr56_vgpr57
.LBB42_69:                              ;   in Loop: Header=BB42_5 Depth=1
	s_and_not1_saveexec_b32 s43, s4
	s_cbranch_execz .LBB42_75
; %bb.70:                               ;   in Loop: Header=BB42_5 Depth=1
	s_and_saveexec_b32 s3, vcc_lo
	s_delay_alu instid0(SALU_CYCLE_1)
	s_xor_b32 s44, exec_lo, s3
	s_cbranch_execz .LBB42_72
; %bb.71:                               ;   in Loop: Header=BB42_5 Depth=1
	s_delay_alu instid0(VALU_DEP_2) | instskip(NEXT) | instid1(VALU_DEP_3)
	v_max_num_f64_e64 v[6:7], |v[56:57]|, |v[56:57]|
	v_max_num_f64_e32 v[14:15], v[54:55], v[54:55]
	v_cmp_eq_f64_e64 s3, 0, v[56:57]
	v_cmp_class_f64_e64 s45, v[56:57], 0x204
	v_cmp_eq_f64_e64 s4, 0x7ff00000, v[54:55]
	v_ashrrev_i32_e32 v1, 31, v55
	v_max_num_f64_e32 v[16:17], v[14:15], v[6:7]
	v_min_num_f64_e32 v[6:7], v[14:15], v[6:7]
	s_delay_alu instid0(VALU_DEP_1) | instskip(SKIP_1) | instid1(VALU_DEP_2)
	v_div_scale_f64 v[14:15], null, v[16:17], v[16:17], v[6:7]
	v_div_scale_f64 v[46:47], vcc_lo, v[6:7], v[16:17], v[6:7]
	v_rcp_f64_e32 v[42:43], v[14:15]
	v_nop
	s_delay_alu instid0(TRANS32_DEP_1) | instskip(NEXT) | instid1(VALU_DEP_1)
	v_fma_f64 v[44:45], -v[14:15], v[42:43], 1.0
	v_fmac_f64_e32 v[42:43], v[42:43], v[44:45]
	s_delay_alu instid0(VALU_DEP_1) | instskip(NEXT) | instid1(VALU_DEP_1)
	v_fma_f64 v[44:45], -v[14:15], v[42:43], 1.0
	v_fmac_f64_e32 v[42:43], v[42:43], v[44:45]
	s_delay_alu instid0(VALU_DEP_1) | instskip(NEXT) | instid1(VALU_DEP_1)
	v_mul_f64_e32 v[44:45], v[46:47], v[42:43]
	v_fma_f64 v[14:15], -v[14:15], v[44:45], v[46:47]
	s_delay_alu instid0(VALU_DEP_1) | instskip(SKIP_1) | instid1(VALU_DEP_2)
	v_div_fmas_f64 v[14:15], v[14:15], v[42:43], v[44:45]
	v_cmp_lt_f64_e64 vcc_lo, v[54:55], |v[56:57]|
	v_div_fixup_f64 v[6:7], v[14:15], v[16:17], v[6:7]
	s_delay_alu instid0(VALU_DEP_1) | instskip(NEXT) | instid1(VALU_DEP_1)
	v_mul_f64_e32 v[14:15], v[6:7], v[6:7]
	v_fmamk_f64 v[16:17], v[14:15], 0x3eeba404b5e68a13, v[36:37]
	s_delay_alu instid0(VALU_DEP_1) | instskip(NEXT) | instid1(VALU_DEP_1)
	v_fmaak_f64 v[16:17], v[14:15], v[16:17], 0x3f4b2bb069efb384
	v_fmaak_f64 v[16:17], v[14:15], v[16:17], 0xbf67952daf56de9b
	s_delay_alu instid0(VALU_DEP_1) | instskip(NEXT) | instid1(VALU_DEP_1)
	v_fmaak_f64 v[16:17], v[14:15], v[16:17], 0x3f7d6d43a595c56f
	v_fmaak_f64 v[16:17], v[14:15], v[16:17], 0xbf8c6ea4a57d9582
	;; [unrolled: 3-line block ×9, first 2 shown]
	s_delay_alu instid0(VALU_DEP_1) | instskip(SKIP_2) | instid1(VALU_DEP_3)
	v_mul_f64_e32 v[14:15], v[14:15], v[16:17]
	v_and_b32_e32 v17, 0x54442d18, v1
	v_and_b32_e32 v1, 0x400921fb, v1
	v_fmac_f64_e32 v[6:7], v[6:7], v[14:15]
	s_delay_alu instid0(VALU_DEP_1) | instskip(NEXT) | instid1(VALU_DEP_1)
	v_add_f64_e64 v[14:15], -v[6:7], s[26:27]
	v_dual_cndmask_b32 v7, v7, v15 :: v_dual_cndmask_b32 v6, v6, v14
	v_cmp_gt_i32_e32 vcc_lo, 0, v55
                                        ; implicit-def: $vgpr54_vgpr55
	s_delay_alu instid0(VALU_DEP_2) | instskip(SKIP_1) | instid1(VALU_DEP_2)
	v_add_f64_e64 v[14:15], -v[6:7], s[28:29]
	v_cndmask_b32_e32 v16, 0x54442d18, v59, vcc_lo
	v_dual_cndmask_b32 v6, v6, v14 :: v_dual_cndmask_b32 v7, v7, v15
	v_cndmask_b32_e32 v14, 0x3fe921fb, v60, vcc_lo
	s_and_b32 vcc_lo, s4, s45
	s_delay_alu instid0(VALU_DEP_2) | instskip(NEXT) | instid1(VALU_DEP_1)
	v_cndmask_b32_e64 v1, v7, v1, s3
	v_dual_cndmask_b32 v6, v6, v17, s3 :: v_dual_cndmask_b32 v1, v1, v14, vcc_lo
	s_delay_alu instid0(VALU_DEP_1) | instskip(SKIP_1) | instid1(VALU_DEP_3)
	v_cndmask_b32_e32 v6, v6, v16, vcc_lo
	v_cmp_o_f64_e32 vcc_lo, v[56:57], v[56:57]
	v_cndmask_b32_e32 v1, 0x7ff80000, v1, vcc_lo
	s_delay_alu instid0(VALU_DEP_3) | instskip(NEXT) | instid1(VALU_DEP_2)
	v_cndmask_b32_e32 v6, 0, v6, vcc_lo
	v_bfi_b32 v7, 0x7fffffff, v1, v57
                                        ; implicit-def: $vgpr56_vgpr57
.LBB42_72:                              ;   in Loop: Header=BB42_5 Depth=1
	s_and_not1_saveexec_b32 s44, s44
	s_cbranch_execz .LBB42_74
; %bb.73:                               ;   in Loop: Header=BB42_5 Depth=1
	s_delay_alu instid0(VALU_DEP_2) | instskip(NEXT) | instid1(VALU_DEP_3)
	v_max_num_f64_e64 v[6:7], |v[56:57]|, |v[56:57]|
	v_xor_b32_e32 v1, 0x80000000, v55
	s_delay_alu instid0(VALU_DEP_4) | instskip(SKIP_3) | instid1(VALU_DEP_4)
	v_max_num_f64_e32 v[14:15], v[54:55], v[54:55]
	v_cmp_eq_f64_e64 s3, 0, v[56:57]
	v_cmp_class_f64_e64 s45, v[56:57], 0x204
	v_cmp_eq_f64_e64 s4, 0x7ff00000, v[54:55]
	v_max_num_f64_e32 v[16:17], v[14:15], v[6:7]
	v_min_num_f64_e32 v[6:7], v[14:15], v[6:7]
	s_delay_alu instid0(VALU_DEP_1) | instskip(SKIP_1) | instid1(VALU_DEP_2)
	v_div_scale_f64 v[14:15], null, v[16:17], v[16:17], v[6:7]
	v_div_scale_f64 v[46:47], vcc_lo, v[6:7], v[16:17], v[6:7]
	v_rcp_f64_e32 v[42:43], v[14:15]
	v_nop
	s_delay_alu instid0(TRANS32_DEP_1) | instskip(NEXT) | instid1(VALU_DEP_1)
	v_fma_f64 v[44:45], -v[14:15], v[42:43], 1.0
	v_fmac_f64_e32 v[42:43], v[42:43], v[44:45]
	s_delay_alu instid0(VALU_DEP_1) | instskip(NEXT) | instid1(VALU_DEP_1)
	v_fma_f64 v[44:45], -v[14:15], v[42:43], 1.0
	v_fmac_f64_e32 v[42:43], v[42:43], v[44:45]
	s_delay_alu instid0(VALU_DEP_1) | instskip(NEXT) | instid1(VALU_DEP_1)
	v_mul_f64_e32 v[44:45], v[46:47], v[42:43]
	v_fma_f64 v[14:15], -v[14:15], v[44:45], v[46:47]
	s_delay_alu instid0(VALU_DEP_1) | instskip(SKIP_1) | instid1(VALU_DEP_2)
	v_div_fmas_f64 v[14:15], v[14:15], v[42:43], v[44:45]
	v_cmp_lt_f64_e64 vcc_lo, v[54:55], |v[56:57]|
	v_div_fixup_f64 v[6:7], v[14:15], v[16:17], v[6:7]
	s_delay_alu instid0(VALU_DEP_1) | instskip(NEXT) | instid1(VALU_DEP_1)
	v_mul_f64_e32 v[14:15], v[6:7], v[6:7]
	v_fmamk_f64 v[16:17], v[14:15], 0x3eeba404b5e68a13, v[36:37]
	s_delay_alu instid0(VALU_DEP_1) | instskip(NEXT) | instid1(VALU_DEP_1)
	v_fmaak_f64 v[16:17], v[14:15], v[16:17], 0x3f4b2bb069efb384
	v_fmaak_f64 v[16:17], v[14:15], v[16:17], 0xbf67952daf56de9b
	s_delay_alu instid0(VALU_DEP_1) | instskip(NEXT) | instid1(VALU_DEP_1)
	v_fmaak_f64 v[16:17], v[14:15], v[16:17], 0x3f7d6d43a595c56f
	v_fmaak_f64 v[16:17], v[14:15], v[16:17], 0xbf8c6ea4a57d9582
	;; [unrolled: 3-line block ×9, first 2 shown]
	s_delay_alu instid0(VALU_DEP_1) | instskip(SKIP_1) | instid1(VALU_DEP_1)
	v_mul_f64_e32 v[14:15], v[14:15], v[16:17]
	v_ashrrev_i32_e32 v16, 31, v1
	v_and_b32_e32 v17, 0x54442d18, v16
	s_delay_alu instid0(VALU_DEP_3) | instskip(NEXT) | instid1(VALU_DEP_1)
	v_fmac_f64_e32 v[6:7], v[6:7], v[14:15]
	v_add_f64_e64 v[14:15], -v[6:7], s[26:27]
	s_delay_alu instid0(VALU_DEP_1) | instskip(SKIP_1) | instid1(VALU_DEP_2)
	v_dual_cndmask_b32 v7, v7, v15 :: v_dual_cndmask_b32 v6, v6, v14
	v_cmp_gt_i32_e32 vcc_lo, 0, v1
	v_add_f64_e64 v[14:15], -v[6:7], s[28:29]
	v_cndmask_b32_e32 v1, 0x54442d18, v59, vcc_lo
	s_delay_alu instid0(VALU_DEP_2) | instskip(SKIP_3) | instid1(VALU_DEP_2)
	v_dual_cndmask_b32 v6, v6, v14 :: v_dual_cndmask_b32 v7, v7, v15
	v_and_b32_e32 v14, 0x400921fb, v16
	v_cndmask_b32_e32 v15, 0x3fe921fb, v60, vcc_lo
	s_and_b32 vcc_lo, s4, s45
	v_dual_cndmask_b32 v6, v6, v17, s3 :: v_dual_cndmask_b32 v7, v7, v14, s3
	s_delay_alu instid0(VALU_DEP_1) | instskip(SKIP_1) | instid1(VALU_DEP_2)
	v_dual_cndmask_b32 v1, v6, v1, vcc_lo :: v_dual_cndmask_b32 v7, v7, v15, vcc_lo
	v_cmp_o_f64_e32 vcc_lo, v[56:57], v[56:57]
	v_cndmask_b32_e32 v6, 0, v1, vcc_lo
	s_delay_alu instid0(VALU_DEP_3) | instskip(NEXT) | instid1(VALU_DEP_1)
	v_cndmask_b32_e32 v1, 0x7ff80000, v7, vcc_lo
	v_bfi_b32 v7, 0x7fffffff, v1, v57
.LBB42_74:                              ;   in Loop: Header=BB42_5 Depth=1
	s_or_b32 exec_lo, exec_lo, s44
.LBB42_75:                              ;   in Loop: Header=BB42_5 Depth=1
	s_delay_alu instid0(SALU_CYCLE_1) | instskip(SKIP_1) | instid1(VALU_DEP_1)
	s_or_b32 exec_lo, exec_lo, s43
	v_xor_b32_e32 v1, 0x80000000, v9
                                        ; implicit-def: $vgpr14_vgpr15
	v_cndmask_b32_e64 v9, v1, v9, s2
.LBB42_76:                              ;   in Loop: Header=BB42_5 Depth=1
	s_and_not1_saveexec_b32 s3, s42
	s_cbranch_execz .LBB42_78
; %bb.77:                               ;   in Loop: Header=BB42_5 Depth=1
	flat_load_b64 v[6:7], v[26:27] scope:SCOPE_SYS
	s_wait_loadcnt_dscnt 0x0
	v_add_f64_e64 v[6:7], v[6:7], -v[14:15]
	s_delay_alu instid0(VALU_DEP_1)
	v_add_f64_e32 v[6:7], 0x3ff921fb54442d18, v[6:7]
.LBB42_78:                              ;   in Loop: Header=BB42_5 Depth=1
	s_or_b32 exec_lo, exec_lo, s3
.LBB42_79:                              ;   in Loop: Header=BB42_5 Depth=1
	s_and_not1_saveexec_b32 s3, s41
; %bb.80:                               ;   in Loop: Header=BB42_5 Depth=1
	v_mov_b64_e32 v[6:7], 0
; %bb.81:                               ;   in Loop: Header=BB42_5 Depth=1
	s_or_b32 exec_lo, exec_lo, s3
                                        ; implicit-def: $vgpr14_vgpr15
                                        ; implicit-def: $vgpr44_vgpr45
                                        ; implicit-def: $vgpr46_vgpr47
                                        ; implicit-def: $vgpr42_vgpr43
.LBB42_82:                              ;   in Loop: Header=BB42_5 Depth=1
	s_and_not1_saveexec_b32 s40, s40
	s_cbranch_execz .LBB42_92
; %bb.83:                               ;   in Loop: Header=BB42_5 Depth=1
	v_cmp_lt_f64_e64 s3, |v[14:15]|, |v[16:17]|
	s_wait_dscnt 0x0
	v_and_b32_e32 v1, 0x7fffffff, v15
	v_and_b32_e32 v50, 0x7fffffff, v17
                                        ; implicit-def: $sgpr41
                                        ; implicit-def: $vgpr8_vgpr9
                                        ; implicit-def: $vgpr6_vgpr7
	s_mov_b32 s4, exec_lo
	s_delay_alu instid0(VALU_DEP_1) | instskip(NEXT) | instid1(VALU_DEP_1)
	v_dual_cndmask_b32 v49, v1, v50, s3 :: v_dual_cndmask_b32 v48, v14, v16, s3
	v_cmpx_nlt_f64_e32 s[30:31], v[48:49]
	s_xor_b32 s42, exec_lo, s4
	s_cbranch_execz .LBB42_89
; %bb.84:                               ;   in Loop: Header=BB42_5 Depth=1
	v_dual_cndmask_b32 v51, v50, v1, s3 :: v_dual_cndmask_b32 v50, v16, v14, s3
	v_cmp_nlt_f64_e32 vcc_lo, 0x20200000, v[48:49]
                                        ; implicit-def: $sgpr41
                                        ; implicit-def: $vgpr8_vgpr9
                                        ; implicit-def: $vgpr6_vgpr7
	s_delay_alu instid0(VALU_DEP_2) | instskip(SKIP_1) | instid1(SALU_CYCLE_1)
	v_cmp_ngt_f64_e64 s4, 0x20000000, v[50:51]
	s_and_b32 s4, vcc_lo, s4
	s_and_saveexec_b32 s43, s4
	s_delay_alu instid0(SALU_CYCLE_1)
	s_xor_b32 s4, exec_lo, s43
	s_cbranch_execz .LBB42_86
; %bb.85:                               ;   in Loop: Header=BB42_5 Depth=1
	v_mul_f64_e32 v[8:9], v[50:51], v[50:51]
	v_min_num_f64_e32 v[44:45], v[44:45], v[46:47]
	v_cmp_class_f64_e64 s41, v[16:17], 0x204
	v_cmp_class_f64_e64 s43, v[14:15], 0x204
	s_delay_alu instid0(VALU_DEP_4) | instskip(SKIP_1) | instid1(VALU_DEP_1)
	v_fmac_f64_e32 v[8:9], v[48:49], v[48:49]
	s_and_b32 s41, s43, s41
	v_frexp_mant_f64_e32 v[6:7], v[8:9]
	s_delay_alu instid0(VALU_DEP_1) | instskip(SKIP_1) | instid1(VALU_DEP_1)
	v_cmp_gt_f64_e32 vcc_lo, s[14:15], v[6:7]
	v_cndmask_b32_e64 v1, 0, 1, vcc_lo
	v_ldexp_f64 v[6:7], v[6:7], v1
	v_frexp_exp_i32_f64_e32 v1, v[8:9]
	s_delay_alu instid0(VALU_DEP_2) | instskip(SKIP_1) | instid1(VALU_DEP_3)
	v_add_f64_e32 v[48:49], 1.0, v[6:7]
	v_add_f64_e32 v[54:55], -1.0, v[6:7]
	v_subrev_co_ci_u32_e64 v1, null, 0, v1, vcc_lo
	v_div_scale_f64 v[68:69], vcc_lo, v[44:45], v[42:43], v[44:45]
	s_delay_alu instid0(VALU_DEP_4) | instskip(SKIP_1) | instid1(VALU_DEP_1)
	v_rcp_f64_e32 v[50:51], v[48:49]
	v_add_f64_e32 v[56:57], -1.0, v[48:49]
	v_add_f64_e64 v[6:7], v[6:7], -v[56:57]
	s_delay_alu instid0(TRANS32_DEP_1) | instskip(NEXT) | instid1(VALU_DEP_1)
	v_fma_f64 v[52:53], -v[48:49], v[50:51], 1.0
	v_fmac_f64_e32 v[50:51], v[52:53], v[50:51]
	s_delay_alu instid0(VALU_DEP_1) | instskip(NEXT) | instid1(VALU_DEP_1)
	v_fma_f64 v[52:53], -v[48:49], v[50:51], 1.0
	v_fmac_f64_e32 v[50:51], v[52:53], v[50:51]
	s_delay_alu instid0(VALU_DEP_1) | instskip(NEXT) | instid1(VALU_DEP_1)
	v_mul_f64_e32 v[52:53], v[54:55], v[50:51]
	v_mul_f64_e32 v[62:63], v[48:49], v[52:53]
	s_delay_alu instid0(VALU_DEP_1) | instskip(NEXT) | instid1(VALU_DEP_1)
	v_fma_f64 v[48:49], v[52:53], v[48:49], -v[62:63]
	v_fmac_f64_e32 v[48:49], v[52:53], v[6:7]
	s_delay_alu instid0(VALU_DEP_1) | instskip(NEXT) | instid1(VALU_DEP_1)
	v_add_f64_e32 v[6:7], v[62:63], v[48:49]
	v_add_f64_e64 v[56:57], v[54:55], -v[6:7]
	v_add_f64_e64 v[62:63], v[6:7], -v[62:63]
	s_delay_alu instid0(VALU_DEP_2) | instskip(NEXT) | instid1(VALU_DEP_2)
	v_add_f64_e64 v[54:55], v[54:55], -v[56:57]
	v_add_f64_e64 v[48:49], v[62:63], -v[48:49]
	s_delay_alu instid0(VALU_DEP_2) | instskip(NEXT) | instid1(VALU_DEP_1)
	v_add_f64_e64 v[6:7], v[54:55], -v[6:7]
	v_add_f64_e32 v[6:7], v[48:49], v[6:7]
	s_delay_alu instid0(VALU_DEP_1) | instskip(NEXT) | instid1(VALU_DEP_1)
	v_add_f64_e32 v[6:7], v[56:57], v[6:7]
	v_mul_f64_e32 v[6:7], v[50:51], v[6:7]
	s_delay_alu instid0(VALU_DEP_1) | instskip(NEXT) | instid1(VALU_DEP_1)
	v_add_f64_e32 v[48:49], v[52:53], v[6:7]
	v_mul_f64_e32 v[50:51], v[48:49], v[48:49]
	v_ldexp_f64 v[46:47], v[48:49], 1
	s_delay_alu instid0(VALU_DEP_2) | instskip(SKIP_2) | instid1(VALU_DEP_3)
	v_fmamk_f64 v[54:55], v[50:51], 0x3fc3ab76bf559e2b, v[28:29]
	v_mul_f64_e32 v[56:57], v[48:49], v[50:51]
	v_add_f64_e64 v[48:49], v[48:49], -v[52:53]
	v_fmaak_f64 v[54:55], v[50:51], v[54:55], 0x3fc7474dd7f4df2e
	s_delay_alu instid0(VALU_DEP_1) | instskip(NEXT) | instid1(VALU_DEP_1)
	v_fmaak_f64 v[54:55], v[50:51], v[54:55], 0x3fcc71c016291751
	v_fmaak_f64 v[54:55], v[50:51], v[54:55], 0x3fd249249b27acf1
	s_delay_alu instid0(VALU_DEP_1) | instskip(SKIP_1) | instid1(VALU_DEP_2)
	v_fmaak_f64 v[54:55], v[50:51], v[54:55], 0x3fd99999998ef7b6
	v_add_f64_e64 v[6:7], v[6:7], -v[48:49]
	v_fmaak_f64 v[50:51], v[50:51], v[54:55], 0x3fe5555555555780
	v_div_scale_f64 v[54:55], null, v[42:43], v[42:43], v[44:45]
	s_delay_alu instid0(VALU_DEP_2) | instskip(SKIP_2) | instid1(VALU_DEP_4)
	v_mul_f64_e32 v[50:51], v[56:57], v[50:51]
	v_cvt_f64_i32_e32 v[56:57], v1
	v_ldexp_f64 v[6:7], v[6:7], 1
	v_rcp_f64_e32 v[62:63], v[54:55]
	s_delay_alu instid0(VALU_DEP_3) | instskip(NEXT) | instid1(VALU_DEP_3)
	v_add_f64_e32 v[52:53], v[46:47], v[50:51]
	v_mul_f64_e32 v[64:65], 0x3fe62e42fefa39ef, v[56:57]
	s_delay_alu instid0(VALU_DEP_2) | instskip(NEXT) | instid1(VALU_DEP_2)
	v_add_f64_e64 v[46:47], v[52:53], -v[46:47]
	v_fma_f64 v[48:49], v[56:57], s[16:17], -v[64:65]
	s_delay_alu instid0(VALU_DEP_2) | instskip(NEXT) | instid1(TRANS32_DEP_1)
	v_add_f64_e64 v[46:47], v[50:51], -v[46:47]
	v_fma_f64 v[50:51], -v[54:55], v[62:63], 1.0
	s_delay_alu instid0(VALU_DEP_3) | instskip(NEXT) | instid1(VALU_DEP_3)
	v_fmac_f64_e32 v[48:49], 0x3c7abc9e3b39803f, v[56:57]
	v_add_f64_e32 v[6:7], v[6:7], v[46:47]
	s_delay_alu instid0(VALU_DEP_3) | instskip(NEXT) | instid1(VALU_DEP_3)
	v_fmac_f64_e32 v[62:63], v[62:63], v[50:51]
	v_add_f64_e32 v[46:47], v[64:65], v[48:49]
	s_delay_alu instid0(VALU_DEP_3) | instskip(NEXT) | instid1(VALU_DEP_3)
	v_add_f64_e32 v[50:51], v[52:53], v[6:7]
	v_fma_f64 v[56:57], -v[54:55], v[62:63], 1.0
	s_delay_alu instid0(VALU_DEP_3) | instskip(NEXT) | instid1(VALU_DEP_3)
	v_add_f64_e64 v[64:65], v[46:47], -v[64:65]
	v_add_f64_e32 v[66:67], v[46:47], v[50:51]
	s_delay_alu instid0(VALU_DEP_3) | instskip(SKIP_1) | instid1(VALU_DEP_4)
	v_fmac_f64_e32 v[62:63], v[62:63], v[56:57]
	v_add_f64_e64 v[52:53], v[50:51], -v[52:53]
	v_add_f64_e64 v[48:49], v[48:49], -v[64:65]
	s_delay_alu instid0(VALU_DEP_4) | instskip(NEXT) | instid1(VALU_DEP_4)
	v_add_f64_e64 v[56:57], v[66:67], -v[46:47]
	v_mul_f64_e32 v[70:71], v[68:69], v[62:63]
	s_delay_alu instid0(VALU_DEP_4) | instskip(NEXT) | instid1(VALU_DEP_3)
	v_add_f64_e64 v[52:53], v[6:7], -v[52:53]
	v_add_f64_e64 v[72:73], v[66:67], -v[56:57]
	s_delay_alu instid0(VALU_DEP_3) | instskip(SKIP_1) | instid1(VALU_DEP_3)
	v_fma_f64 v[54:55], -v[54:55], v[70:71], v[68:69]
	v_add_f64_e64 v[6:7], v[50:51], -v[56:57]
	v_add_f64_e64 v[46:47], v[46:47], -v[72:73]
	s_delay_alu instid0(VALU_DEP_3) | instskip(SKIP_2) | instid1(VALU_DEP_4)
	v_div_fmas_f64 v[50:51], v[54:55], v[62:63], v[70:71]
	v_add_f64_e32 v[54:55], v[48:49], v[52:53]
	v_cmp_class_f64_e64 vcc_lo, v[8:9], 0x204
	v_add_f64_e32 v[46:47], v[6:7], v[46:47]
	s_delay_alu instid0(VALU_DEP_4) | instskip(NEXT) | instid1(VALU_DEP_4)
	v_div_fixup_f64 v[6:7], v[50:51], v[42:43], v[44:45]
	v_add_f64_e64 v[42:43], v[54:55], -v[48:49]
	s_delay_alu instid0(VALU_DEP_3) | instskip(NEXT) | instid1(VALU_DEP_3)
	v_add_f64_e32 v[44:45], v[54:55], v[46:47]
	v_mul_f64_e32 v[46:47], v[6:7], v[6:7]
	s_delay_alu instid0(VALU_DEP_3) | instskip(SKIP_1) | instid1(VALU_DEP_4)
	v_add_f64_e64 v[50:51], v[54:55], -v[42:43]
	v_add_f64_e64 v[42:43], v[52:53], -v[42:43]
	v_add_f64_e32 v[54:55], v[66:67], v[44:45]
	s_delay_alu instid0(VALU_DEP_4) | instskip(NEXT) | instid1(VALU_DEP_4)
	v_fmamk_f64 v[56:57], v[46:47], 0x3eeba404b5e68a13, v[36:37]
	v_add_f64_e64 v[48:49], v[48:49], -v[50:51]
	s_delay_alu instid0(VALU_DEP_2) | instskip(NEXT) | instid1(VALU_DEP_1)
	v_fmaak_f64 v[56:57], v[46:47], v[56:57], 0x3f4b2bb069efb384
	v_fmaak_f64 v[56:57], v[46:47], v[56:57], 0xbf67952daf56de9b
	s_delay_alu instid0(VALU_DEP_1) | instskip(NEXT) | instid1(VALU_DEP_1)
	v_fmaak_f64 v[56:57], v[46:47], v[56:57], 0x3f7d6d43a595c56f
	v_fmaak_f64 v[52:53], v[46:47], v[56:57], 0xbf8c6ea4a57d9582
	v_add_f64_e64 v[50:51], v[54:55], -v[66:67]
	v_add_f64_e32 v[42:43], v[42:43], v[48:49]
	s_delay_alu instid0(VALU_DEP_3) | instskip(NEXT) | instid1(VALU_DEP_1)
	v_fmaak_f64 v[52:53], v[46:47], v[52:53], 0x3f967e295f08b19f
	v_fmaak_f64 v[52:53], v[46:47], v[52:53], 0xbf9e9ae6fc27006a
	s_delay_alu instid0(VALU_DEP_1) | instskip(NEXT) | instid1(VALU_DEP_1)
	v_fmaak_f64 v[52:53], v[46:47], v[52:53], 0x3fa2c15b5711927a
	v_fmaak_f64 v[52:53], v[46:47], v[52:53], 0xbfa59976e82d3ff0
	s_delay_alu instid0(VALU_DEP_1) | instskip(SKIP_1) | instid1(VALU_DEP_2)
	v_fmaak_f64 v[48:49], v[46:47], v[52:53], 0x3fa82d5d6ef28734
	v_add_f64_e64 v[44:45], v[44:45], -v[50:51]
	v_fmaak_f64 v[48:49], v[46:47], v[48:49], 0xbfaae5ce6a214619
	s_delay_alu instid0(VALU_DEP_1) | instskip(NEXT) | instid1(VALU_DEP_1)
	v_fmaak_f64 v[48:49], v[46:47], v[48:49], 0x3fae1bb48427b883
	v_fmaak_f64 v[48:49], v[46:47], v[48:49], 0xbfb110e48b207f05
	s_delay_alu instid0(VALU_DEP_4) | instskip(NEXT) | instid1(VALU_DEP_2)
	v_add_f64_e32 v[42:43], v[42:43], v[44:45]
	v_fmaak_f64 v[44:45], v[46:47], v[48:49], 0x3fb3b13657b87036
	s_delay_alu instid0(VALU_DEP_1) | instskip(NEXT) | instid1(VALU_DEP_1)
	v_fmaak_f64 v[44:45], v[46:47], v[44:45], 0xbfb745d119378e4f
	v_fmaak_f64 v[44:45], v[46:47], v[44:45], 0x3fbc71c717e1913c
	s_delay_alu instid0(VALU_DEP_1) | instskip(NEXT) | instid1(VALU_DEP_1)
	v_fmaak_f64 v[44:45], v[46:47], v[44:45], 0xbfc2492492376b7d
	v_fmaak_f64 v[44:45], v[46:47], v[44:45], 0x3fc99999999952cc
	v_add_f64_e32 v[42:43], v[54:55], v[42:43]
	s_delay_alu instid0(VALU_DEP_2) | instskip(NEXT) | instid1(VALU_DEP_1)
	v_fmaak_f64 v[44:45], v[46:47], v[44:45], 0xbfd5555555555523
	v_mul_f64_e32 v[44:45], v[46:47], v[44:45]
                                        ; implicit-def: $vgpr46_vgpr47
	s_delay_alu instid0(VALU_DEP_3) | instskip(SKIP_1) | instid1(VALU_DEP_2)
	v_dual_cndmask_b32 v43, v43, v9 :: v_dual_cndmask_b32 v42, v42, v8
	v_cmp_neq_f64_e32 vcc_lo, 0, v[8:9]
	v_mul_f64_e32 v[42:43], 0.5, v[42:43]
	s_delay_alu instid0(VALU_DEP_4) | instskip(NEXT) | instid1(VALU_DEP_2)
	v_fmac_f64_e32 v[6:7], v[6:7], v[44:45]
                                        ; implicit-def: $vgpr44_vgpr45
	v_cndmask_b32_e32 v9, 0xfff00000, v43, vcc_lo
	s_delay_alu instid0(VALU_DEP_3)
	v_cndmask_b32_e32 v8, 0, v42, vcc_lo
                                        ; implicit-def: $vgpr42_vgpr43
.LBB42_86:                              ;   in Loop: Header=BB42_5 Depth=1
	s_and_not1_saveexec_b32 s4, s4
	s_cbranch_execz .LBB42_88
; %bb.87:                               ;   in Loop: Header=BB42_5 Depth=1
	v_frexp_exp_i32_f64_e32 v1, v[42:43]
	v_cmp_class_f64_e64 s43, v[14:15], 0x204
	v_cmp_class_f64_e64 s44, v[16:17], 0x204
	v_min_num_f64_e32 v[44:45], v[44:45], v[46:47]
	s_and_not1_b32 s41, s41, exec_lo
	v_sub_nc_u32_e32 v8, 0, v1
	s_or_b32 s45, s43, s44
	s_and_b32 s43, s43, s44
	s_delay_alu instid0(SALU_CYCLE_1) | instskip(NEXT) | instid1(VALU_DEP_1)
	s_and_b32 s43, s43, exec_lo
	v_ldexp_f64 v[6:7], |v[16:17]|, v8
	s_or_b32 s41, s41, s43
	s_delay_alu instid0(VALU_DEP_1) | instskip(SKIP_1) | instid1(VALU_DEP_1)
	v_mul_f64_e32 v[6:7], v[6:7], v[6:7]
	v_ldexp_f64 v[8:9], |v[14:15]|, v8
	v_fmac_f64_e32 v[6:7], v[8:9], v[8:9]
	s_delay_alu instid0(VALU_DEP_1) | instskip(SKIP_1) | instid1(TRANS32_DEP_1)
	v_rsq_f64_e32 v[8:9], v[6:7]
	v_cmp_eq_f64_e32 vcc_lo, 0, v[6:7]
	v_mul_f64_e32 v[48:49], v[6:7], v[8:9]
	v_mul_f64_e32 v[8:9], 0.5, v[8:9]
	s_delay_alu instid0(VALU_DEP_1) | instskip(NEXT) | instid1(VALU_DEP_1)
	v_fma_f64 v[50:51], -v[8:9], v[48:49], 0.5
	v_fmac_f64_e32 v[48:49], v[48:49], v[50:51]
	v_fmac_f64_e32 v[8:9], v[8:9], v[50:51]
	s_delay_alu instid0(VALU_DEP_2) | instskip(NEXT) | instid1(VALU_DEP_1)
	v_fma_f64 v[50:51], -v[48:49], v[48:49], v[6:7]
	v_fmac_f64_e32 v[48:49], v[50:51], v[8:9]
	s_delay_alu instid0(VALU_DEP_1) | instskip(NEXT) | instid1(VALU_DEP_1)
	v_dual_cndmask_b32 v7, v49, v7 :: v_dual_cndmask_b32 v6, v48, v6
	v_ldexp_f64 v[6:7], v[6:7], v1
	s_delay_alu instid0(VALU_DEP_1) | instskip(NEXT) | instid1(VALU_DEP_2)
	v_cndmask_b32_e64 v49, v7, 0x7ff00000, s45
	v_cndmask_b32_e64 v48, v6, 0, s45
	s_delay_alu instid0(VALU_DEP_1) | instskip(NEXT) | instid1(VALU_DEP_1)
	v_frexp_mant_f64_e32 v[6:7], v[48:49]
	v_cmp_gt_f64_e32 vcc_lo, s[14:15], v[6:7]
	v_cndmask_b32_e64 v1, 0, 1, vcc_lo
	s_delay_alu instid0(VALU_DEP_1) | instskip(SKIP_1) | instid1(VALU_DEP_2)
	v_ldexp_f64 v[6:7], v[6:7], v1
	v_frexp_exp_i32_f64_e32 v1, v[48:49]
	v_add_f64_e32 v[8:9], 1.0, v[6:7]
	v_add_f64_e32 v[54:55], -1.0, v[6:7]
	s_delay_alu instid0(VALU_DEP_3) | instskip(NEXT) | instid1(VALU_DEP_3)
	v_subrev_co_ci_u32_e64 v1, null, 0, v1, vcc_lo
	v_rcp_f64_e32 v[50:51], v[8:9]
	v_add_f64_e32 v[56:57], -1.0, v[8:9]
	s_delay_alu instid0(VALU_DEP_1) | instskip(NEXT) | instid1(TRANS32_DEP_1)
	v_add_f64_e64 v[6:7], v[6:7], -v[56:57]
	v_fma_f64 v[52:53], -v[8:9], v[50:51], 1.0
	s_delay_alu instid0(VALU_DEP_1) | instskip(NEXT) | instid1(VALU_DEP_1)
	v_fmac_f64_e32 v[50:51], v[52:53], v[50:51]
	v_fma_f64 v[52:53], -v[8:9], v[50:51], 1.0
	s_delay_alu instid0(VALU_DEP_1) | instskip(NEXT) | instid1(VALU_DEP_1)
	v_fmac_f64_e32 v[50:51], v[52:53], v[50:51]
	v_mul_f64_e32 v[52:53], v[54:55], v[50:51]
	s_delay_alu instid0(VALU_DEP_1) | instskip(NEXT) | instid1(VALU_DEP_1)
	v_mul_f64_e32 v[62:63], v[8:9], v[52:53]
	v_fma_f64 v[8:9], v[52:53], v[8:9], -v[62:63]
	s_delay_alu instid0(VALU_DEP_1) | instskip(NEXT) | instid1(VALU_DEP_1)
	v_fmac_f64_e32 v[8:9], v[52:53], v[6:7]
	v_add_f64_e32 v[6:7], v[62:63], v[8:9]
	s_delay_alu instid0(VALU_DEP_1) | instskip(SKIP_1) | instid1(VALU_DEP_2)
	v_add_f64_e64 v[56:57], v[54:55], -v[6:7]
	v_add_f64_e64 v[62:63], v[6:7], -v[62:63]
	;; [unrolled: 1-line block ×3, first 2 shown]
	s_delay_alu instid0(VALU_DEP_2) | instskip(NEXT) | instid1(VALU_DEP_2)
	v_add_f64_e64 v[8:9], v[62:63], -v[8:9]
	v_add_f64_e64 v[6:7], v[54:55], -v[6:7]
	s_delay_alu instid0(VALU_DEP_1) | instskip(NEXT) | instid1(VALU_DEP_1)
	v_add_f64_e32 v[6:7], v[8:9], v[6:7]
	v_add_f64_e32 v[6:7], v[56:57], v[6:7]
	s_delay_alu instid0(VALU_DEP_1) | instskip(NEXT) | instid1(VALU_DEP_1)
	v_mul_f64_e32 v[6:7], v[50:51], v[6:7]
	v_add_f64_e32 v[8:9], v[52:53], v[6:7]
	s_delay_alu instid0(VALU_DEP_1) | instskip(NEXT) | instid1(VALU_DEP_1)
	v_mul_f64_e32 v[50:51], v[8:9], v[8:9]
	v_fmamk_f64 v[54:55], v[50:51], 0x3fc3ab76bf559e2b, v[28:29]
	v_mul_f64_e32 v[56:57], v[8:9], v[50:51]
	s_delay_alu instid0(VALU_DEP_2) | instskip(NEXT) | instid1(VALU_DEP_1)
	v_fmaak_f64 v[54:55], v[50:51], v[54:55], 0x3fc7474dd7f4df2e
	v_fmaak_f64 v[46:47], v[50:51], v[54:55], 0x3fcc71c016291751
	v_div_scale_f64 v[54:55], null, v[42:43], v[42:43], v[44:45]
	s_delay_alu instid0(VALU_DEP_2) | instskip(NEXT) | instid1(VALU_DEP_1)
	v_fmaak_f64 v[46:47], v[50:51], v[46:47], 0x3fd249249b27acf1
	v_fmaak_f64 v[46:47], v[50:51], v[46:47], 0x3fd99999998ef7b6
	s_delay_alu instid0(VALU_DEP_1) | instskip(SKIP_2) | instid1(VALU_DEP_3)
	v_fmaak_f64 v[46:47], v[50:51], v[46:47], 0x3fe5555555555780
	v_ldexp_f64 v[50:51], v[8:9], 1
	v_add_f64_e64 v[8:9], v[8:9], -v[52:53]
	v_mul_f64_e32 v[46:47], v[56:57], v[46:47]
	v_cvt_f64_i32_e32 v[56:57], v1
	v_rcp_f64_e32 v[62:63], v[54:55]
	s_delay_alu instid0(VALU_DEP_3) | instskip(NEXT) | instid1(VALU_DEP_3)
	v_add_f64_e64 v[6:7], v[6:7], -v[8:9]
	v_add_f64_e32 v[52:53], v[50:51], v[46:47]
	s_delay_alu instid0(VALU_DEP_3) | instskip(NEXT) | instid1(VALU_DEP_3)
	v_mul_f64_e32 v[64:65], 0x3fe62e42fefa39ef, v[56:57]
	v_ldexp_f64 v[6:7], v[6:7], 1
	s_delay_alu instid0(VALU_DEP_3) | instskip(NEXT) | instid1(TRANS32_DEP_1)
	v_add_f64_e64 v[8:9], v[52:53], -v[50:51]
	v_fma_f64 v[50:51], -v[54:55], v[62:63], 1.0
	s_delay_alu instid0(VALU_DEP_4) | instskip(NEXT) | instid1(VALU_DEP_3)
	v_fma_f64 v[66:67], v[56:57], s[16:17], -v[64:65]
	v_add_f64_e64 v[8:9], v[46:47], -v[8:9]
	s_delay_alu instid0(VALU_DEP_3) | instskip(NEXT) | instid1(VALU_DEP_3)
	v_fmac_f64_e32 v[62:63], v[62:63], v[50:51]
	v_fmac_f64_e32 v[66:67], 0x3c7abc9e3b39803f, v[56:57]
	v_div_scale_f64 v[56:57], vcc_lo, v[44:45], v[42:43], v[44:45]
	s_delay_alu instid0(VALU_DEP_4) | instskip(NEXT) | instid1(VALU_DEP_4)
	v_add_f64_e32 v[6:7], v[6:7], v[8:9]
	v_fma_f64 v[8:9], -v[54:55], v[62:63], 1.0
	s_delay_alu instid0(VALU_DEP_4) | instskip(NEXT) | instid1(VALU_DEP_3)
	v_add_f64_e32 v[46:47], v[64:65], v[66:67]
	v_add_f64_e32 v[50:51], v[52:53], v[6:7]
	s_delay_alu instid0(VALU_DEP_3) | instskip(NEXT) | instid1(VALU_DEP_2)
	v_fmac_f64_e32 v[62:63], v[62:63], v[8:9]
	v_add_f64_e32 v[8:9], v[46:47], v[50:51]
	s_delay_alu instid0(VALU_DEP_2) | instskip(SKIP_1) | instid1(VALU_DEP_3)
	v_mul_f64_e32 v[68:69], v[56:57], v[62:63]
	v_add_f64_e64 v[52:53], v[50:51], -v[52:53]
	v_add_f64_e64 v[70:71], v[8:9], -v[46:47]
	s_delay_alu instid0(VALU_DEP_3) | instskip(SKIP_1) | instid1(VALU_DEP_4)
	v_fma_f64 v[54:55], -v[54:55], v[68:69], v[56:57]
	v_add_f64_e64 v[56:57], v[46:47], -v[64:65]
	v_add_f64_e64 v[52:53], v[6:7], -v[52:53]
	s_delay_alu instid0(VALU_DEP_4) | instskip(NEXT) | instid1(VALU_DEP_4)
	v_add_f64_e64 v[64:65], v[8:9], -v[70:71]
	v_div_fmas_f64 v[54:55], v[54:55], v[62:63], v[68:69]
	s_delay_alu instid0(VALU_DEP_4)
	v_add_f64_e64 v[56:57], v[66:67], -v[56:57]
	v_add_f64_e64 v[50:51], v[50:51], -v[70:71]
	v_cmp_class_f64_e64 vcc_lo, v[48:49], 0x204
	v_add_f64_e64 v[46:47], v[46:47], -v[64:65]
	v_div_fixup_f64 v[6:7], v[54:55], v[42:43], v[44:45]
	v_add_f64_e32 v[42:43], v[56:57], v[52:53]
	s_delay_alu instid0(VALU_DEP_3) | instskip(NEXT) | instid1(VALU_DEP_3)
	v_add_f64_e32 v[44:45], v[50:51], v[46:47]
	v_mul_f64_e32 v[46:47], v[6:7], v[6:7]
	s_delay_alu instid0(VALU_DEP_3) | instskip(NEXT) | instid1(VALU_DEP_3)
	v_add_f64_e64 v[50:51], v[42:43], -v[56:57]
	v_add_f64_e32 v[44:45], v[42:43], v[44:45]
	s_delay_alu instid0(VALU_DEP_3) | instskip(NEXT) | instid1(VALU_DEP_3)
	v_fmamk_f64 v[54:55], v[46:47], 0x3eeba404b5e68a13, v[36:37]
	v_add_f64_e64 v[42:43], v[42:43], -v[50:51]
	v_add_f64_e64 v[50:51], v[52:53], -v[50:51]
	s_delay_alu instid0(VALU_DEP_3) | instskip(NEXT) | instid1(VALU_DEP_1)
	v_fmaak_f64 v[54:55], v[46:47], v[54:55], 0x3f4b2bb069efb384
	v_fmaak_f64 v[54:55], v[46:47], v[54:55], 0xbf67952daf56de9b
	s_delay_alu instid0(VALU_DEP_1) | instskip(NEXT) | instid1(VALU_DEP_1)
	v_fmaak_f64 v[54:55], v[46:47], v[54:55], 0x3f7d6d43a595c56f
	v_fmaak_f64 v[54:55], v[46:47], v[54:55], 0xbf8c6ea4a57d9582
	v_add_f64_e32 v[62:63], v[8:9], v[44:45]
	v_add_f64_e64 v[42:43], v[56:57], -v[42:43]
	s_delay_alu instid0(VALU_DEP_3) | instskip(NEXT) | instid1(VALU_DEP_1)
	v_fmaak_f64 v[54:55], v[46:47], v[54:55], 0x3f967e295f08b19f
	v_fmaak_f64 v[54:55], v[46:47], v[54:55], 0xbf9e9ae6fc27006a
	s_delay_alu instid0(VALU_DEP_1) | instskip(NEXT) | instid1(VALU_DEP_1)
	v_fmaak_f64 v[54:55], v[46:47], v[54:55], 0x3fa2c15b5711927a
	v_fmaak_f64 v[52:53], v[46:47], v[54:55], 0xbfa59976e82d3ff0
	s_delay_alu instid0(VALU_DEP_1) | instskip(SKIP_2) | instid1(VALU_DEP_3)
	v_fmaak_f64 v[52:53], v[46:47], v[52:53], 0x3fa82d5d6ef28734
	v_add_f64_e64 v[8:9], v[62:63], -v[8:9]
	v_add_f64_e32 v[42:43], v[50:51], v[42:43]
	v_fmaak_f64 v[52:53], v[46:47], v[52:53], 0xbfaae5ce6a214619
	s_delay_alu instid0(VALU_DEP_1) | instskip(NEXT) | instid1(VALU_DEP_1)
	v_fmaak_f64 v[52:53], v[46:47], v[52:53], 0x3fae1bb48427b883
	v_fmaak_f64 v[52:53], v[46:47], v[52:53], 0xbfb110e48b207f05
	v_add_f64_e64 v[8:9], v[44:45], -v[8:9]
	s_delay_alu instid0(VALU_DEP_2) | instskip(NEXT) | instid1(VALU_DEP_1)
	v_fmaak_f64 v[44:45], v[46:47], v[52:53], 0x3fb3b13657b87036
	v_fmaak_f64 v[44:45], v[46:47], v[44:45], 0xbfb745d119378e4f
	s_delay_alu instid0(VALU_DEP_1) | instskip(NEXT) | instid1(VALU_DEP_1)
	v_fmaak_f64 v[44:45], v[46:47], v[44:45], 0x3fbc71c717e1913c
	v_fmaak_f64 v[44:45], v[46:47], v[44:45], 0xbfc2492492376b7d
	v_add_f64_e32 v[8:9], v[42:43], v[8:9]
	s_delay_alu instid0(VALU_DEP_2) | instskip(NEXT) | instid1(VALU_DEP_1)
	v_fmaak_f64 v[42:43], v[46:47], v[44:45], 0x3fc99999999952cc
	v_fmaak_f64 v[42:43], v[46:47], v[42:43], 0xbfd5555555555523
	s_delay_alu instid0(VALU_DEP_1) | instskip(NEXT) | instid1(VALU_DEP_4)
	v_mul_f64_e32 v[42:43], v[46:47], v[42:43]
	v_add_f64_e32 v[8:9], v[62:63], v[8:9]
	s_delay_alu instid0(VALU_DEP_2) | instskip(NEXT) | instid1(VALU_DEP_2)
	v_fmac_f64_e32 v[6:7], v[6:7], v[42:43]
	v_dual_cndmask_b32 v1, v8, v48 :: v_dual_cndmask_b32 v8, v9, v49
	v_cmp_ngt_f64_e32 vcc_lo, 0, v[48:49]
	s_delay_alu instid0(VALU_DEP_2) | instskip(SKIP_1) | instid1(VALU_DEP_4)
	v_cndmask_b32_e32 v9, 0x7ff80000, v8, vcc_lo
	v_cmp_nge_f64_e32 vcc_lo, 0, v[48:49]
	v_cndmask_b32_e32 v8, 0, v1, vcc_lo
	v_cmp_neq_f64_e32 vcc_lo, 0, v[48:49]
	s_delay_alu instid0(VALU_DEP_4)
	v_cndmask_b32_e32 v9, 0xfff00000, v9, vcc_lo
.LBB42_88:                              ;   in Loop: Header=BB42_5 Depth=1
	s_or_b32 exec_lo, exec_lo, s4
                                        ; implicit-def: $vgpr44_vgpr45
                                        ; implicit-def: $vgpr46_vgpr47
                                        ; implicit-def: $vgpr42_vgpr43
.LBB42_89:                              ;   in Loop: Header=BB42_5 Depth=1
	s_and_not1_saveexec_b32 s42, s42
	s_cbranch_execz .LBB42_91
; %bb.90:                               ;   in Loop: Header=BB42_5 Depth=1
	v_div_scale_f64 v[6:7], null, s[34:35], s[34:35], v[14:15]
	v_div_scale_f64 v[8:9], null, s[34:35], s[34:35], v[16:17]
	v_div_scale_f64 v[56:57], vcc_lo, v[14:15], s[34:35], v[14:15]
	v_min_num_f64_e32 v[44:45], v[44:45], v[46:47]
	s_and_not1_b32 s41, s41, exec_lo
	s_delay_alu instid0(VALU_DEP_4) | instskip(NEXT) | instid1(VALU_DEP_3)
	v_rcp_f64_e32 v[48:49], v[6:7]
	v_rcp_f64_e32 v[50:51], v[8:9]
	s_delay_alu instid0(TRANS32_DEP_2) | instskip(NEXT) | instid1(TRANS32_DEP_1)
	v_fma_f64 v[52:53], -v[6:7], v[48:49], 1.0
	v_fma_f64 v[54:55], -v[8:9], v[50:51], 1.0
	s_delay_alu instid0(VALU_DEP_2) | instskip(NEXT) | instid1(VALU_DEP_2)
	v_fmac_f64_e32 v[48:49], v[48:49], v[52:53]
	v_fmac_f64_e32 v[50:51], v[50:51], v[54:55]
	s_delay_alu instid0(VALU_DEP_2) | instskip(NEXT) | instid1(VALU_DEP_2)
	v_fma_f64 v[52:53], -v[6:7], v[48:49], 1.0
	v_fma_f64 v[54:55], -v[8:9], v[50:51], 1.0
	s_delay_alu instid0(VALU_DEP_2) | instskip(SKIP_1) | instid1(VALU_DEP_3)
	v_fmac_f64_e32 v[48:49], v[48:49], v[52:53]
	v_div_scale_f64 v[52:53], s4, v[16:17], s[34:35], v[16:17]
	v_fmac_f64_e32 v[50:51], v[50:51], v[54:55]
	s_delay_alu instid0(VALU_DEP_3) | instskip(NEXT) | instid1(VALU_DEP_2)
	v_mul_f64_e32 v[54:55], v[56:57], v[48:49]
	v_mul_f64_e32 v[62:63], v[52:53], v[50:51]
	s_delay_alu instid0(VALU_DEP_2) | instskip(NEXT) | instid1(VALU_DEP_2)
	v_fma_f64 v[6:7], -v[6:7], v[54:55], v[56:57]
	v_fma_f64 v[8:9], -v[8:9], v[62:63], v[52:53]
	s_delay_alu instid0(VALU_DEP_2) | instskip(SKIP_1) | instid1(VALU_DEP_2)
	v_div_fmas_f64 v[6:7], v[6:7], v[48:49], v[54:55]
	s_mov_b32 vcc_lo, s4
	v_div_fmas_f64 v[8:9], v[8:9], v[50:51], v[62:63]
	s_delay_alu instid0(VALU_DEP_2) | instskip(NEXT) | instid1(VALU_DEP_2)
	v_div_fixup_f64 v[6:7], v[6:7], s[34:35], v[14:15]
	v_div_fixup_f64 v[8:9], v[8:9], s[34:35], v[16:17]
	s_delay_alu instid0(VALU_DEP_2) | instskip(NEXT) | instid1(VALU_DEP_2)
	v_cmp_class_f64_e64 s4, v[6:7], 0x204
	v_max_num_f64_e64 v[48:49], |v[6:7]|, |v[8:9]|
	v_cmp_class_f64_e64 s43, v[8:9], 0x204
	s_delay_alu instid0(VALU_DEP_2) | instskip(SKIP_2) | instid1(VALU_DEP_2)
	v_frexp_exp_i32_f64_e32 v1, v[48:49]
	s_or_b32 s4, s4, s43
	v_cmp_class_f64_e64 s43, v[14:15], 0x204
	v_sub_nc_u32_e32 v50, 0, v1
	s_delay_alu instid0(VALU_DEP_1) | instskip(SKIP_1) | instid1(VALU_DEP_2)
	v_ldexp_f64 v[48:49], |v[8:9]|, v50
	v_ldexp_f64 v[50:51], |v[6:7]|, v50
	v_mul_f64_e32 v[48:49], v[48:49], v[48:49]
	s_delay_alu instid0(VALU_DEP_1) | instskip(NEXT) | instid1(VALU_DEP_1)
	v_fmac_f64_e32 v[48:49], v[50:51], v[50:51]
	v_rsq_f64_e32 v[50:51], v[48:49]
	v_cmp_eq_f64_e32 vcc_lo, 0, v[48:49]
	s_delay_alu instid0(TRANS32_DEP_1) | instskip(SKIP_1) | instid1(VALU_DEP_1)
	v_mul_f64_e32 v[52:53], v[48:49], v[50:51]
	v_mul_f64_e32 v[50:51], 0.5, v[50:51]
	v_fma_f64 v[54:55], -v[50:51], v[52:53], 0.5
	s_delay_alu instid0(VALU_DEP_1) | instskip(SKIP_1) | instid1(VALU_DEP_2)
	v_fmac_f64_e32 v[52:53], v[52:53], v[54:55]
	v_fmac_f64_e32 v[50:51], v[50:51], v[54:55]
	v_fma_f64 v[54:55], -v[52:53], v[52:53], v[48:49]
	s_delay_alu instid0(VALU_DEP_1) | instskip(NEXT) | instid1(VALU_DEP_1)
	v_fmac_f64_e32 v[52:53], v[54:55], v[50:51]
	v_dual_cndmask_b32 v49, v53, v49 :: v_dual_cndmask_b32 v48, v52, v48
	s_delay_alu instid0(VALU_DEP_1) | instskip(NEXT) | instid1(VALU_DEP_1)
	v_ldexp_f64 v[6:7], v[48:49], v1
	v_cndmask_b32_e64 v49, v7, 0x7ff00000, s4
	s_delay_alu instid0(VALU_DEP_2) | instskip(SKIP_1) | instid1(VALU_DEP_2)
	v_cndmask_b32_e64 v48, v6, 0, s4
	v_cmp_class_f64_e64 s4, v[16:17], 0x204
	v_frexp_mant_f64_e32 v[6:7], v[48:49]
	s_and_b32 s4, s43, s4
	s_delay_alu instid0(SALU_CYCLE_1) | instskip(NEXT) | instid1(VALU_DEP_1)
	s_and_b32 s4, s4, exec_lo
	v_cmp_gt_f64_e32 vcc_lo, s[14:15], v[6:7]
	s_or_b32 s41, s41, s4
	v_cndmask_b32_e64 v1, 0, 1, vcc_lo
	s_delay_alu instid0(VALU_DEP_1) | instskip(SKIP_1) | instid1(VALU_DEP_2)
	v_ldexp_f64 v[6:7], v[6:7], v1
	v_frexp_exp_i32_f64_e32 v1, v[48:49]
	v_add_f64_e32 v[8:9], 1.0, v[6:7]
	v_add_f64_e32 v[54:55], -1.0, v[6:7]
	s_delay_alu instid0(VALU_DEP_3) | instskip(SKIP_1) | instid1(VALU_DEP_2)
	v_subrev_co_ci_u32_e64 v1, null, 0, v1, vcc_lo
	v_div_scale_f64 v[68:69], vcc_lo, v[44:45], v[42:43], v[44:45]
	v_cvt_f64_i32_e32 v[46:47], v1
	v_rcp_f64_e32 v[50:51], v[8:9]
	v_add_f64_e32 v[56:57], -1.0, v[8:9]
	s_delay_alu instid0(VALU_DEP_1) | instskip(NEXT) | instid1(TRANS32_DEP_1)
	v_add_f64_e64 v[6:7], v[6:7], -v[56:57]
	v_fma_f64 v[52:53], -v[8:9], v[50:51], 1.0
	s_delay_alu instid0(VALU_DEP_1) | instskip(NEXT) | instid1(VALU_DEP_1)
	v_fmac_f64_e32 v[50:51], v[52:53], v[50:51]
	v_fma_f64 v[52:53], -v[8:9], v[50:51], 1.0
	s_delay_alu instid0(VALU_DEP_1) | instskip(NEXT) | instid1(VALU_DEP_1)
	v_fmac_f64_e32 v[50:51], v[52:53], v[50:51]
	v_mul_f64_e32 v[52:53], v[54:55], v[50:51]
	s_delay_alu instid0(VALU_DEP_1) | instskip(NEXT) | instid1(VALU_DEP_1)
	v_mul_f64_e32 v[62:63], v[8:9], v[52:53]
	v_fma_f64 v[8:9], v[52:53], v[8:9], -v[62:63]
	s_delay_alu instid0(VALU_DEP_1) | instskip(NEXT) | instid1(VALU_DEP_1)
	v_fmac_f64_e32 v[8:9], v[52:53], v[6:7]
	v_add_f64_e32 v[6:7], v[62:63], v[8:9]
	s_delay_alu instid0(VALU_DEP_1) | instskip(SKIP_1) | instid1(VALU_DEP_2)
	v_add_f64_e64 v[56:57], v[54:55], -v[6:7]
	v_add_f64_e64 v[62:63], v[6:7], -v[62:63]
	;; [unrolled: 1-line block ×3, first 2 shown]
	s_delay_alu instid0(VALU_DEP_2) | instskip(SKIP_1) | instid1(VALU_DEP_3)
	v_add_f64_e64 v[8:9], v[62:63], -v[8:9]
	v_mul_f64_e32 v[62:63], 0x3fe62e42fefa39ef, v[46:47]
	v_add_f64_e64 v[6:7], v[54:55], -v[6:7]
	s_delay_alu instid0(VALU_DEP_2) | instskip(NEXT) | instid1(VALU_DEP_2)
	v_fma_f64 v[64:65], v[46:47], s[16:17], -v[62:63]
	v_add_f64_e32 v[6:7], v[8:9], v[6:7]
	s_delay_alu instid0(VALU_DEP_2) | instskip(NEXT) | instid1(VALU_DEP_2)
	v_fmac_f64_e32 v[64:65], 0x3c7abc9e3b39803f, v[46:47]
	v_add_f64_e32 v[6:7], v[56:57], v[6:7]
	s_delay_alu instid0(VALU_DEP_1) | instskip(NEXT) | instid1(VALU_DEP_1)
	v_mul_f64_e32 v[6:7], v[50:51], v[6:7]
	v_add_f64_e32 v[8:9], v[52:53], v[6:7]
	s_delay_alu instid0(VALU_DEP_1) | instskip(NEXT) | instid1(VALU_DEP_1)
	v_mul_f64_e32 v[50:51], v[8:9], v[8:9]
	v_fmamk_f64 v[54:55], v[50:51], 0x3fc3ab76bf559e2b, v[28:29]
	v_mul_f64_e32 v[56:57], v[8:9], v[50:51]
	s_delay_alu instid0(VALU_DEP_2) | instskip(NEXT) | instid1(VALU_DEP_1)
	v_fmaak_f64 v[54:55], v[50:51], v[54:55], 0x3fc7474dd7f4df2e
	v_fmaak_f64 v[54:55], v[50:51], v[54:55], 0x3fcc71c016291751
	s_delay_alu instid0(VALU_DEP_1) | instskip(NEXT) | instid1(VALU_DEP_1)
	v_fmaak_f64 v[54:55], v[50:51], v[54:55], 0x3fd249249b27acf1
	v_fmaak_f64 v[54:55], v[50:51], v[54:55], 0x3fd99999998ef7b6
	s_delay_alu instid0(VALU_DEP_1) | instskip(SKIP_2) | instid1(VALU_DEP_3)
	v_fmaak_f64 v[50:51], v[50:51], v[54:55], 0x3fe5555555555780
	v_ldexp_f64 v[54:55], v[8:9], 1
	v_add_f64_e64 v[8:9], v[8:9], -v[52:53]
	v_mul_f64_e32 v[50:51], v[56:57], v[50:51]
	v_div_scale_f64 v[56:57], null, v[42:43], v[42:43], v[44:45]
	s_delay_alu instid0(VALU_DEP_3) | instskip(NEXT) | instid1(VALU_DEP_3)
	v_add_f64_e64 v[6:7], v[6:7], -v[8:9]
	v_add_f64_e32 v[52:53], v[54:55], v[50:51]
	s_delay_alu instid0(VALU_DEP_2) | instskip(NEXT) | instid1(VALU_DEP_2)
	v_ldexp_f64 v[6:7], v[6:7], 1
	v_add_f64_e64 v[8:9], v[52:53], -v[54:55]
	v_rcp_f64_e32 v[54:55], v[56:57]
	s_delay_alu instid0(VALU_DEP_1) | instskip(NEXT) | instid1(TRANS32_DEP_1)
	v_add_f64_e64 v[8:9], v[50:51], -v[8:9]
	v_fma_f64 v[50:51], -v[56:57], v[54:55], 1.0
	s_delay_alu instid0(VALU_DEP_2) | instskip(SKIP_1) | instid1(VALU_DEP_3)
	v_add_f64_e32 v[6:7], v[6:7], v[8:9]
	v_add_f64_e32 v[8:9], v[62:63], v[64:65]
	v_fmac_f64_e32 v[54:55], v[54:55], v[50:51]
	s_delay_alu instid0(VALU_DEP_3) | instskip(NEXT) | instid1(VALU_DEP_3)
	v_add_f64_e32 v[46:47], v[52:53], v[6:7]
	v_add_f64_e64 v[62:63], v[8:9], -v[62:63]
	s_delay_alu instid0(VALU_DEP_3) | instskip(NEXT) | instid1(VALU_DEP_3)
	v_fma_f64 v[50:51], -v[56:57], v[54:55], 1.0
	v_add_f64_e32 v[66:67], v[8:9], v[46:47]
	v_add_f64_e64 v[52:53], v[46:47], -v[52:53]
	s_delay_alu instid0(VALU_DEP_4) | instskip(NEXT) | instid1(VALU_DEP_4)
	v_add_f64_e64 v[62:63], v[64:65], -v[62:63]
	v_fmac_f64_e32 v[54:55], v[54:55], v[50:51]
	s_delay_alu instid0(VALU_DEP_4) | instskip(NEXT) | instid1(VALU_DEP_4)
	v_add_f64_e64 v[50:51], v[66:67], -v[8:9]
	v_add_f64_e64 v[52:53], v[6:7], -v[52:53]
	s_delay_alu instid0(VALU_DEP_3) | instskip(NEXT) | instid1(VALU_DEP_3)
	v_mul_f64_e32 v[70:71], v[68:69], v[54:55]
	v_add_f64_e64 v[72:73], v[66:67], -v[50:51]
	v_add_f64_e64 v[6:7], v[46:47], -v[50:51]
	s_delay_alu instid0(VALU_DEP_4) | instskip(NEXT) | instid1(VALU_DEP_4)
	v_add_f64_e32 v[50:51], v[62:63], v[52:53]
	v_fma_f64 v[56:57], -v[56:57], v[70:71], v[68:69]
	s_delay_alu instid0(VALU_DEP_4) | instskip(NEXT) | instid1(VALU_DEP_2)
	v_add_f64_e64 v[8:9], v[8:9], -v[72:73]
	v_div_fmas_f64 v[46:47], v[56:57], v[54:55], v[70:71]
	v_cmp_class_f64_e64 vcc_lo, v[48:49], 0x204
	s_delay_alu instid0(VALU_DEP_3) | instskip(NEXT) | instid1(VALU_DEP_3)
	v_add_f64_e32 v[8:9], v[6:7], v[8:9]
	v_div_fixup_f64 v[6:7], v[46:47], v[42:43], v[44:45]
	v_add_f64_e64 v[42:43], v[50:51], -v[62:63]
	s_delay_alu instid0(VALU_DEP_3) | instskip(NEXT) | instid1(VALU_DEP_3)
	v_add_f64_e32 v[8:9], v[50:51], v[8:9]
	v_mul_f64_e32 v[44:45], v[6:7], v[6:7]
	s_delay_alu instid0(VALU_DEP_3) | instskip(SKIP_1) | instid1(VALU_DEP_4)
	v_add_f64_e64 v[46:47], v[50:51], -v[42:43]
	v_add_f64_e64 v[42:43], v[52:53], -v[42:43]
	v_add_f64_e32 v[50:51], v[66:67], v[8:9]
	s_delay_alu instid0(VALU_DEP_4) | instskip(NEXT) | instid1(VALU_DEP_4)
	v_fmamk_f64 v[54:55], v[44:45], 0x3eeba404b5e68a13, v[36:37]
	v_add_f64_e64 v[46:47], v[62:63], -v[46:47]
	s_delay_alu instid0(VALU_DEP_2) | instskip(NEXT) | instid1(VALU_DEP_1)
	v_fmaak_f64 v[54:55], v[44:45], v[54:55], 0x3f4b2bb069efb384
	v_fmaak_f64 v[54:55], v[44:45], v[54:55], 0xbf67952daf56de9b
	s_delay_alu instid0(VALU_DEP_1) | instskip(SKIP_1) | instid1(VALU_DEP_2)
	v_fmaak_f64 v[54:55], v[44:45], v[54:55], 0x3f7d6d43a595c56f
	v_add_f64_e64 v[52:53], v[50:51], -v[66:67]
	v_fmaak_f64 v[54:55], v[44:45], v[54:55], 0xbf8c6ea4a57d9582
	v_add_f64_e32 v[42:43], v[42:43], v[46:47]
	s_delay_alu instid0(VALU_DEP_2) | instskip(NEXT) | instid1(VALU_DEP_1)
	v_fmaak_f64 v[54:55], v[44:45], v[54:55], 0x3f967e295f08b19f
	v_fmaak_f64 v[54:55], v[44:45], v[54:55], 0xbf9e9ae6fc27006a
	s_delay_alu instid0(VALU_DEP_1) | instskip(NEXT) | instid1(VALU_DEP_1)
	v_fmaak_f64 v[54:55], v[44:45], v[54:55], 0x3fa2c15b5711927a
	v_fmaak_f64 v[46:47], v[44:45], v[54:55], 0xbfa59976e82d3ff0
	v_add_f64_e64 v[8:9], v[8:9], -v[52:53]
	s_delay_alu instid0(VALU_DEP_2) | instskip(NEXT) | instid1(VALU_DEP_1)
	v_fmaak_f64 v[46:47], v[44:45], v[46:47], 0x3fa82d5d6ef28734
	v_fmaak_f64 v[46:47], v[44:45], v[46:47], 0xbfaae5ce6a214619
	s_delay_alu instid0(VALU_DEP_1) | instskip(NEXT) | instid1(VALU_DEP_1)
	v_fmaak_f64 v[46:47], v[44:45], v[46:47], 0x3fae1bb48427b883
	v_fmaak_f64 v[46:47], v[44:45], v[46:47], 0xbfb110e48b207f05
	v_add_f64_e32 v[8:9], v[42:43], v[8:9]
	s_delay_alu instid0(VALU_DEP_2) | instskip(NEXT) | instid1(VALU_DEP_1)
	v_fmaak_f64 v[42:43], v[44:45], v[46:47], 0x3fb3b13657b87036
	v_fmaak_f64 v[42:43], v[44:45], v[42:43], 0xbfb745d119378e4f
	s_delay_alu instid0(VALU_DEP_1) | instskip(NEXT) | instid1(VALU_DEP_1)
	v_fmaak_f64 v[42:43], v[44:45], v[42:43], 0x3fbc71c717e1913c
	v_fmaak_f64 v[42:43], v[44:45], v[42:43], 0xbfc2492492376b7d
	s_delay_alu instid0(VALU_DEP_1) | instskip(SKIP_1) | instid1(VALU_DEP_2)
	v_fmaak_f64 v[42:43], v[44:45], v[42:43], 0x3fc99999999952cc
	v_add_f64_e32 v[8:9], v[50:51], v[8:9]
	v_fmaak_f64 v[42:43], v[44:45], v[42:43], 0xbfd5555555555523
	s_delay_alu instid0(VALU_DEP_1) | instskip(NEXT) | instid1(VALU_DEP_3)
	v_mul_f64_e32 v[42:43], v[44:45], v[42:43]
	v_dual_cndmask_b32 v9, v9, v49 :: v_dual_cndmask_b32 v8, v8, v48
	v_cmp_ngt_f64_e32 vcc_lo, 0, v[48:49]
	s_delay_alu instid0(VALU_DEP_2) | instskip(NEXT) | instid1(VALU_DEP_4)
	v_add_f64_e32 v[8:9], 1.0, v[8:9]
	v_fmac_f64_e32 v[6:7], v[6:7], v[42:43]
	s_delay_alu instid0(VALU_DEP_2) | instskip(SKIP_1) | instid1(VALU_DEP_4)
	v_cndmask_b32_e32 v1, 0x7ff80000, v9, vcc_lo
	v_cmp_nge_f64_e32 vcc_lo, 0, v[48:49]
	v_cndmask_b32_e32 v8, 0, v8, vcc_lo
	v_cmp_neq_f64_e32 vcc_lo, 0, v[48:49]
	s_delay_alu instid0(VALU_DEP_4)
	v_cndmask_b32_e32 v9, 0xfff00000, v1, vcc_lo
.LBB42_91:                              ;   in Loop: Header=BB42_5 Depth=1
	s_or_b32 exec_lo, exec_lo, s42
	s_delay_alu instid0(VALU_DEP_3) | instskip(NEXT) | instid1(VALU_DEP_2)
	v_add_f64_e64 v[42:43], -v[6:7], s[26:27]
	v_add_f64_e32 v[8:9], 0x3fe62e42fefa39ef, v[8:9]
	v_cmp_gt_i32_e32 vcc_lo, 0, v15
	v_cndmask_b32_e32 v14, 0x54442d18, v59, vcc_lo
	s_delay_alu instid0(VALU_DEP_4) | instskip(SKIP_2) | instid1(VALU_DEP_3)
	v_dual_cndmask_b32 v7, v7, v43, s3 :: v_dual_cndmask_b32 v6, v6, v42, s3
	v_cmp_eq_f64_e64 s3, 0, v[16:17]
	v_cndmask_b32_e32 v16, 0x3fe921fb, v60, vcc_lo
	v_add_f64_e64 v[42:43], -v[6:7], s[28:29]
	v_ashrrev_i32_e32 v1, 31, v15
	s_delay_alu instid0(VALU_DEP_3) | instskip(NEXT) | instid1(VALU_DEP_3)
	v_bfi_b32 v16, 0x7fffffff, v16, v17
	v_cndmask_b32_e32 v6, v6, v42, vcc_lo
	s_delay_alu instid0(VALU_DEP_3) | instskip(SKIP_2) | instid1(VALU_DEP_3)
	v_and_b32_e32 v15, 0x54442d18, v1
	v_and_b32_e32 v1, 0x400921fb, v1
	v_cndmask_b32_e32 v7, v7, v43, vcc_lo
	v_cndmask_b32_e64 v6, v6, v15, s3
	v_xor_b32_e32 v15, 0x80000000, v9
	s_delay_alu instid0(VALU_DEP_2) | instskip(NEXT) | instid1(VALU_DEP_1)
	v_dual_cndmask_b32 v1, v7, v1, s3 :: v_dual_cndmask_b32 v6, v6, v14, s41
	v_dual_cndmask_b32 v9, v15, v9, s2 :: v_dual_cndmask_b32 v1, v1, v16, s41
	s_delay_alu instid0(VALU_DEP_1)
	v_and_b32_e32 v7, 0x7fffffff, v1
.LBB42_92:                              ;   in Loop: Header=BB42_5 Depth=1
	s_or_b32 exec_lo, exec_lo, s40
                                        ; implicit-def: $vgpr16_vgpr17
.LBB42_93:                              ;   in Loop: Header=BB42_5 Depth=1
	s_and_not1_saveexec_b32 s2, s39
	s_cbranch_execz .LBB42_107
; %bb.94:                               ;   in Loop: Header=BB42_5 Depth=1
	v_cmp_neq_f64_e64 s3, 0x7ff00000, |v[14:15]|
                                        ; implicit-def: $vgpr8_vgpr9
	s_and_saveexec_b32 s4, s3
	s_delay_alu instid0(SALU_CYCLE_1)
	s_xor_b32 s3, exec_lo, s4
	s_cbranch_execz .LBB42_104
; %bb.95:                               ;   in Loop: Header=BB42_5 Depth=1
	v_cmp_neq_f64_e64 s4, 0x7ff00000, |v[16:17]|
	v_xor_b32_e32 v9, 0x80000000, v17
	v_mov_b32_e32 v8, v16
	s_and_saveexec_b32 s39, s4
	s_delay_alu instid0(SALU_CYCLE_1)
	s_xor_b32 s4, exec_lo, s39
	s_cbranch_execz .LBB42_101
; %bb.96:                               ;   in Loop: Header=BB42_5 Depth=1
	s_mov_b32 s39, exec_lo
                                        ; implicit-def: $vgpr8_vgpr9
	v_cmpx_neq_f64_e32 0, v[14:15]
	s_xor_b32 s39, exec_lo, s39
	s_cbranch_execz .LBB42_98
; %bb.97:                               ;   in Loop: Header=BB42_5 Depth=1
	v_add_f64_e32 v[6:7], 0, v[16:17]
                                        ; implicit-def: $vgpr16_vgpr17
	s_delay_alu instid0(VALU_DEP_1)
	v_add_f64_e32 v[8:9], v[14:15], v[6:7]
.LBB42_98:                              ;   in Loop: Header=BB42_5 Depth=1
	s_or_saveexec_b32 s39, s39
	s_delay_alu instid0(VALU_DEP_1)
	v_mov_b64_e32 v[6:7], v[8:9]
	s_xor_b32 exec_lo, exec_lo, s39
	s_cbranch_execz .LBB42_100
; %bb.99:                               ;   in Loop: Header=BB42_5 Depth=1
	flat_load_b64 v[6:7], v[26:27] scope:SCOPE_SYS
	s_wait_loadcnt 0x0
	v_add_f64_e32 v[8:9], v[16:17], v[16:17]
	s_wait_dscnt 0x0
	v_add_f64_e32 v[6:7], 0x3ff921fb54442d18, v[6:7]
.LBB42_100:                             ;   in Loop: Header=BB42_5 Depth=1
	s_wait_xcnt 0x0
	s_or_b32 exec_lo, exec_lo, s39
                                        ; implicit-def: $vgpr14_vgpr15
.LBB42_101:                             ;   in Loop: Header=BB42_5 Depth=1
	s_and_not1_saveexec_b32 s4, s4
; %bb.102:                              ;   in Loop: Header=BB42_5 Depth=1
	v_add_f64_e32 v[6:7], v[14:15], v[14:15]
; %bb.103:                              ;   in Loop: Header=BB42_5 Depth=1
	s_or_b32 exec_lo, exec_lo, s4
                                        ; implicit-def: $vgpr16_vgpr17
.LBB42_104:                             ;   in Loop: Header=BB42_5 Depth=1
	s_and_not1_saveexec_b32 s3, s3
	s_cbranch_execz .LBB42_106
; %bb.105:                              ;   in Loop: Header=BB42_5 Depth=1
	v_add_f64_e32 v[6:7], v[16:17], v[16:17]
	v_mov_b64_e32 v[8:9], 0xfff0000000000000
.LBB42_106:                             ;   in Loop: Header=BB42_5 Depth=1
	s_or_b32 exec_lo, exec_lo, s3
.LBB42_107:                             ;   in Loop: Header=BB42_5 Depth=1
	s_delay_alu instid0(SALU_CYCLE_1)
	s_or_b32 exec_lo, exec_lo, s2
	flat_store_b64 v[26:27], v[24:25] scope:SCOPE_SYS
	s_wait_storecnt 0x0
                                        ; implicit-def: $vgpr16_vgpr17
	s_mov_b32 s2, exec_lo
	s_wait_loadcnt 0x2
	s_wait_xcnt 0x0
	v_cmpx_o_f64_e32 v[18:19], v[20:21]
	s_xor_b32 s39, exec_lo, s2
	s_cbranch_execz .LBB42_195
; %bb.108:                              ;   in Loop: Header=BB42_5 Depth=1
	v_max_num_f64_e64 v[46:47], |v[20:21]|, |v[20:21]|
	v_max_num_f64_e64 v[44:45], |v[18:19]|, |v[18:19]|
	v_cmp_gt_i64_e64 s2, 0, v[20:21]
                                        ; implicit-def: $vgpr16_vgpr17
	s_mov_b32 s3, exec_lo
	v_max_num_f64_e32 v[42:43], v[44:45], v[46:47]
	s_delay_alu instid0(VALU_DEP_1)
	v_cmpx_nlt_f64_e32 0x43300000, v[42:43]
	s_xor_b32 s40, exec_lo, s3
	s_cbranch_execz .LBB42_184
; %bb.109:                              ;   in Loop: Header=BB42_5 Depth=1
	v_cmp_neq_f64_e32 vcc_lo, 1.0, v[18:19]
	v_cmp_neq_f64_e64 s3, 0, v[20:21]
	v_xor_b32_e32 v17, 0x80000000, v21
	v_mov_b32_e32 v16, v20
	s_or_b32 s3, vcc_lo, s3
	s_delay_alu instid0(SALU_CYCLE_1) | instskip(NEXT) | instid1(SALU_CYCLE_1)
	s_and_saveexec_b32 s4, s3
	s_xor_b32 s41, exec_lo, s4
	s_cbranch_execz .LBB42_181
; %bb.110:                              ;   in Loop: Header=BB42_5 Depth=1
	flat_store_b32 v[30:31], v58 scope:SCOPE_SYS
	s_wait_storecnt_dscnt 0x2
	flat_load_b32 v1, v[30:31] scope:SCOPE_SYS
	s_wait_loadcnt 0x0
	v_cmp_nlt_f64_e64 s3, |v[18:19]|, s[12:13]
	v_cmp_nlt_f64_e64 s4, |v[20:21]|, s[12:13]
	v_mov_b32_e32 v16, v20
	s_or_b32 s3, s3, s4
	s_wait_dscnt 0x0
	v_add_f32_e32 v1, 1.0, v1
	flat_store_b32 v[34:35], v1 scope:SCOPE_SYS
	s_wait_storecnt 0x0
	flat_load_b32 v1, v[34:35] scope:SCOPE_SYS
	s_wait_loadcnt 0x0
	s_wait_xcnt 0x0
	s_and_saveexec_b32 s4, s3
	s_delay_alu instid0(SALU_CYCLE_1)
	s_xor_b32 s42, exec_lo, s4
	s_cbranch_execz .LBB42_178
; %bb.111:                              ;   in Loop: Header=BB42_5 Depth=1
	v_add_f64_e64 v[14:15], |v[18:19]|, -1.0
	v_add_f64_e64 v[44:45], |v[18:19]|, 1.0
	s_delay_alu instid0(VALU_DEP_2) | instskip(NEXT) | instid1(VALU_DEP_1)
	v_max_num_f64_e64 v[42:43], v[46:47], |v[14:15]|
	v_frexp_exp_i32_f64_e32 v61, v[42:43]
	s_delay_alu instid0(VALU_DEP_1) | instskip(NEXT) | instid1(VALU_DEP_1)
	v_sub_nc_u32_e32 v48, 0, v61
	v_ldexp_f64 v[42:43], |v[14:15]|, v48
	s_delay_alu instid0(VALU_DEP_1) | instskip(SKIP_1) | instid1(VALU_DEP_1)
	v_mul_f64_e32 v[42:43], v[42:43], v[42:43]
	v_ldexp_f64 v[48:49], |v[20:21]|, v48
	v_fmac_f64_e32 v[42:43], v[48:49], v[48:49]
	s_delay_alu instid0(VALU_DEP_1) | instskip(SKIP_1) | instid1(TRANS32_DEP_1)
	v_rsq_f64_e32 v[48:49], v[42:43]
	v_cmp_eq_f64_e64 s3, 0, v[42:43]
	v_mul_f64_e32 v[52:53], v[42:43], v[48:49]
	v_mul_f64_e32 v[48:49], 0.5, v[48:49]
	s_delay_alu instid0(VALU_DEP_1) | instskip(NEXT) | instid1(VALU_DEP_1)
	v_fma_f64 v[56:57], -v[48:49], v[52:53], 0.5
	v_fmac_f64_e32 v[52:53], v[52:53], v[56:57]
	v_fmac_f64_e32 v[48:49], v[48:49], v[56:57]
	s_delay_alu instid0(VALU_DEP_2) | instskip(NEXT) | instid1(VALU_DEP_1)
	v_fma_f64 v[56:57], -v[52:53], v[52:53], v[42:43]
	v_fmac_f64_e32 v[52:53], v[56:57], v[48:49]
	s_delay_alu instid0(VALU_DEP_1) | instskip(SKIP_1) | instid1(VALU_DEP_1)
	v_dual_max_num_f64 v[16:17], v[46:47], v[44:45] :: v_dual_cndmask_b32 v43, v53, v43, s3
	s_wait_dscnt 0x0
	v_frexp_exp_i32_f64_e32 v1, v[16:17]
	s_delay_alu instid0(VALU_DEP_3) | instskip(SKIP_1) | instid1(VALU_DEP_2)
	v_cndmask_b32_e64 v42, v52, v42, s3
	v_cmp_neq_f64_e64 s3, 0x7ff00000, |v[14:15]|
	v_ldexp_f64 v[42:43], v[42:43], v61
	s_delay_alu instid0(VALU_DEP_4) | instskip(NEXT) | instid1(VALU_DEP_1)
	v_sub_nc_u32_e32 v46, 0, v1
	v_ldexp_f64 v[16:17], v[44:45], v46
	v_ldexp_f64 v[46:47], |v[20:21]|, v46
	s_delay_alu instid0(VALU_DEP_2) | instskip(NEXT) | instid1(VALU_DEP_1)
	v_mul_f64_e32 v[16:17], v[16:17], v[16:17]
	v_fmac_f64_e32 v[16:17], v[46:47], v[46:47]
	s_delay_alu instid0(VALU_DEP_1) | instskip(SKIP_1) | instid1(TRANS32_DEP_1)
	v_rsq_f64_e32 v[46:47], v[16:17]
	v_cmp_eq_f64_e32 vcc_lo, 0, v[16:17]
	v_mul_f64_e32 v[50:51], v[16:17], v[46:47]
	v_mul_f64_e32 v[46:47], 0.5, v[46:47]
	s_delay_alu instid0(VALU_DEP_1) | instskip(NEXT) | instid1(VALU_DEP_1)
	v_fma_f64 v[54:55], -v[46:47], v[50:51], 0.5
	v_fmac_f64_e32 v[50:51], v[50:51], v[54:55]
	v_fmac_f64_e32 v[46:47], v[46:47], v[54:55]
	s_delay_alu instid0(VALU_DEP_2) | instskip(NEXT) | instid1(VALU_DEP_1)
	v_fma_f64 v[54:55], -v[50:51], v[50:51], v[16:17]
	v_fmac_f64_e32 v[50:51], v[54:55], v[46:47]
	v_cndmask_b32_e64 v47, 0x7ff00000, v43, s3
	v_cndmask_b32_e64 v46, 0, v42, s3
	s_mov_b32 s3, exec_lo
	s_delay_alu instid0(VALU_DEP_3) | instskip(SKIP_1) | instid1(VALU_DEP_2)
	v_dual_cndmask_b32 v17, v51, v17 :: v_dual_cndmask_b32 v16, v50, v16
	v_cmp_neq_f64_e32 vcc_lo, 0x7ff00000, v[44:45]
	v_ldexp_f64 v[16:17], v[16:17], v1
	s_delay_alu instid0(VALU_DEP_1) | instskip(NEXT) | instid1(VALU_DEP_2)
	v_cndmask_b32_e32 v49, 0x7ff00000, v17, vcc_lo
	v_cndmask_b32_e32 v48, 0, v16, vcc_lo
	s_delay_alu instid0(VALU_DEP_1) | instskip(NEXT) | instid1(VALU_DEP_1)
	v_add_f64_e32 v[16:17], v[48:49], v[46:47]
	v_mul_f64_e32 v[16:17], 0.5, v[16:17]
	s_delay_alu instid0(VALU_DEP_1) | instskip(SKIP_2) | instid1(VALU_DEP_1)
	v_cmp_ngt_f64_e32 vcc_lo, 1.0, v[16:17]
	v_cndmask_b32_e32 v43, 0x3ff00000, v17, vcc_lo
	v_cndmask_b32_e32 v42, 0, v16, vcc_lo
                                        ; implicit-def: $vgpr16_vgpr17
	v_cmpx_ngt_f64_e32 0x40240000, v[42:43]
	s_xor_b32 s3, exec_lo, s3
	s_cbranch_execz .LBB42_113
; %bb.112:                              ;   in Loop: Header=BB42_5 Depth=1
	v_fma_f64 v[16:17], v[42:43], v[42:43], -1.0
	s_delay_alu instid0(VALU_DEP_1) | instskip(SKIP_1) | instid1(VALU_DEP_1)
	v_cmp_gt_f64_e32 vcc_lo, 0x10000000, v[16:17]
	v_cndmask_b32_e64 v1, 0, 0x100, vcc_lo
	v_ldexp_f64 v[16:17], v[16:17], v1
	v_cndmask_b32_e64 v1, 0, 0xffffff80, vcc_lo
	s_delay_alu instid0(VALU_DEP_2) | instskip(SKIP_1) | instid1(TRANS32_DEP_1)
	v_rsq_f64_e32 v[50:51], v[16:17]
	v_cmp_class_f64_e64 vcc_lo, v[16:17], 0x260
	v_mul_f64_e32 v[52:53], v[16:17], v[50:51]
	v_mul_f64_e32 v[50:51], 0.5, v[50:51]
	s_delay_alu instid0(VALU_DEP_1) | instskip(NEXT) | instid1(VALU_DEP_1)
	v_fma_f64 v[54:55], -v[50:51], v[52:53], 0.5
	v_fmac_f64_e32 v[52:53], v[52:53], v[54:55]
	v_fmac_f64_e32 v[50:51], v[50:51], v[54:55]
	s_delay_alu instid0(VALU_DEP_2) | instskip(NEXT) | instid1(VALU_DEP_1)
	v_fma_f64 v[54:55], -v[52:53], v[52:53], v[16:17]
	v_fmac_f64_e32 v[52:53], v[54:55], v[50:51]
	s_delay_alu instid0(VALU_DEP_1) | instskip(NEXT) | instid1(VALU_DEP_1)
	v_fma_f64 v[54:55], -v[52:53], v[52:53], v[16:17]
	v_fmac_f64_e32 v[52:53], v[54:55], v[50:51]
	s_delay_alu instid0(VALU_DEP_1) | instskip(NEXT) | instid1(VALU_DEP_1)
	v_ldexp_f64 v[50:51], v[52:53], v1
	v_dual_cndmask_b32 v17, v51, v17 :: v_dual_cndmask_b32 v16, v50, v16
	s_delay_alu instid0(VALU_DEP_1) | instskip(NEXT) | instid1(VALU_DEP_1)
	v_add_f64_e32 v[16:17], v[42:43], v[16:17]
	v_frexp_mant_f64_e32 v[50:51], v[16:17]
	s_delay_alu instid0(VALU_DEP_1) | instskip(SKIP_1) | instid1(VALU_DEP_1)
	v_cmp_gt_f64_e32 vcc_lo, s[14:15], v[50:51]
	v_cndmask_b32_e64 v1, 0, 1, vcc_lo
	v_ldexp_f64 v[50:51], v[50:51], v1
	v_frexp_exp_i32_f64_e32 v1, v[16:17]
	s_delay_alu instid0(VALU_DEP_2) | instskip(NEXT) | instid1(VALU_DEP_2)
	v_add_f64_e32 v[52:53], 1.0, v[50:51]
	v_subrev_co_ci_u32_e64 v1, null, 0, v1, vcc_lo
	v_cmp_class_f64_e64 vcc_lo, v[16:17], 0x204
	v_add_f64_e32 v[62:63], -1.0, v[50:51]
	s_delay_alu instid0(VALU_DEP_4) | instskip(SKIP_1) | instid1(VALU_DEP_1)
	v_rcp_f64_e32 v[54:55], v[52:53]
	v_add_f64_e32 v[64:65], -1.0, v[52:53]
	v_add_f64_e64 v[50:51], v[50:51], -v[64:65]
	s_delay_alu instid0(TRANS32_DEP_1) | instskip(NEXT) | instid1(VALU_DEP_1)
	v_fma_f64 v[56:57], -v[52:53], v[54:55], 1.0
	v_fmac_f64_e32 v[54:55], v[56:57], v[54:55]
	s_delay_alu instid0(VALU_DEP_1) | instskip(NEXT) | instid1(VALU_DEP_1)
	v_fma_f64 v[56:57], -v[52:53], v[54:55], 1.0
	v_fmac_f64_e32 v[54:55], v[56:57], v[54:55]
	s_delay_alu instid0(VALU_DEP_1) | instskip(NEXT) | instid1(VALU_DEP_1)
	v_mul_f64_e32 v[56:57], v[62:63], v[54:55]
	v_mul_f64_e32 v[66:67], v[52:53], v[56:57]
	s_delay_alu instid0(VALU_DEP_1) | instskip(NEXT) | instid1(VALU_DEP_1)
	v_fma_f64 v[52:53], v[56:57], v[52:53], -v[66:67]
	v_fmac_f64_e32 v[52:53], v[56:57], v[50:51]
	s_delay_alu instid0(VALU_DEP_1) | instskip(NEXT) | instid1(VALU_DEP_1)
	v_add_f64_e32 v[50:51], v[66:67], v[52:53]
	v_add_f64_e64 v[64:65], v[62:63], -v[50:51]
	v_add_f64_e64 v[66:67], v[50:51], -v[66:67]
	s_delay_alu instid0(VALU_DEP_2) | instskip(NEXT) | instid1(VALU_DEP_2)
	v_add_f64_e64 v[62:63], v[62:63], -v[64:65]
	v_add_f64_e64 v[52:53], v[66:67], -v[52:53]
	s_delay_alu instid0(VALU_DEP_2) | instskip(NEXT) | instid1(VALU_DEP_1)
	v_add_f64_e64 v[50:51], v[62:63], -v[50:51]
	v_add_f64_e32 v[50:51], v[52:53], v[50:51]
	s_delay_alu instid0(VALU_DEP_1) | instskip(NEXT) | instid1(VALU_DEP_1)
	v_add_f64_e32 v[50:51], v[64:65], v[50:51]
	v_mul_f64_e32 v[50:51], v[54:55], v[50:51]
	s_delay_alu instid0(VALU_DEP_1) | instskip(NEXT) | instid1(VALU_DEP_1)
	v_add_f64_e32 v[52:53], v[56:57], v[50:51]
	v_mul_f64_e32 v[54:55], v[52:53], v[52:53]
	s_delay_alu instid0(VALU_DEP_1) | instskip(SKIP_1) | instid1(VALU_DEP_2)
	v_fmamk_f64 v[62:63], v[54:55], 0x3fc3ab76bf559e2b, v[28:29]
	v_mul_f64_e32 v[64:65], v[52:53], v[54:55]
	v_fmaak_f64 v[62:63], v[54:55], v[62:63], 0x3fc7474dd7f4df2e
	s_delay_alu instid0(VALU_DEP_1) | instskip(NEXT) | instid1(VALU_DEP_1)
	v_fmaak_f64 v[62:63], v[54:55], v[62:63], 0x3fcc71c016291751
	v_fmaak_f64 v[62:63], v[54:55], v[62:63], 0x3fd249249b27acf1
	s_delay_alu instid0(VALU_DEP_1) | instskip(NEXT) | instid1(VALU_DEP_1)
	v_fmaak_f64 v[62:63], v[54:55], v[62:63], 0x3fd99999998ef7b6
	v_fmaak_f64 v[54:55], v[54:55], v[62:63], 0x3fe5555555555780
	v_ldexp_f64 v[62:63], v[52:53], 1
	v_add_f64_e64 v[52:53], v[52:53], -v[56:57]
	s_delay_alu instid0(VALU_DEP_3) | instskip(SKIP_1) | instid1(VALU_DEP_3)
	v_mul_f64_e32 v[54:55], v[64:65], v[54:55]
	v_cvt_f64_i32_e32 v[64:65], v1
	v_add_f64_e64 v[50:51], v[50:51], -v[52:53]
	s_delay_alu instid0(VALU_DEP_3) | instskip(NEXT) | instid1(VALU_DEP_3)
	v_add_f64_e32 v[56:57], v[62:63], v[54:55]
	v_mul_f64_e32 v[66:67], 0x3fe62e42fefa39ef, v[64:65]
	s_delay_alu instid0(VALU_DEP_3) | instskip(NEXT) | instid1(VALU_DEP_3)
	v_ldexp_f64 v[50:51], v[50:51], 1
	v_add_f64_e64 v[52:53], v[56:57], -v[62:63]
	s_delay_alu instid0(VALU_DEP_3) | instskip(NEXT) | instid1(VALU_DEP_2)
	v_fma_f64 v[62:63], v[64:65], s[16:17], -v[66:67]
	v_add_f64_e64 v[52:53], v[54:55], -v[52:53]
	s_delay_alu instid0(VALU_DEP_2) | instskip(NEXT) | instid1(VALU_DEP_2)
	v_fmac_f64_e32 v[62:63], 0x3c7abc9e3b39803f, v[64:65]
	v_add_f64_e32 v[50:51], v[50:51], v[52:53]
	s_delay_alu instid0(VALU_DEP_2) | instskip(NEXT) | instid1(VALU_DEP_2)
	v_add_f64_e32 v[52:53], v[66:67], v[62:63]
	v_add_f64_e32 v[54:55], v[56:57], v[50:51]
	s_delay_alu instid0(VALU_DEP_2) | instskip(NEXT) | instid1(VALU_DEP_2)
	v_add_f64_e64 v[66:67], v[52:53], -v[66:67]
	v_add_f64_e32 v[64:65], v[52:53], v[54:55]
	v_add_f64_e64 v[56:57], v[54:55], -v[56:57]
	s_delay_alu instid0(VALU_DEP_3) | instskip(NEXT) | instid1(VALU_DEP_3)
	v_add_f64_e64 v[62:63], v[62:63], -v[66:67]
	v_add_f64_e64 v[68:69], v[64:65], -v[52:53]
	s_delay_alu instid0(VALU_DEP_3) | instskip(NEXT) | instid1(VALU_DEP_2)
	v_add_f64_e64 v[50:51], v[50:51], -v[56:57]
	v_add_f64_e64 v[70:71], v[64:65], -v[68:69]
	;; [unrolled: 1-line block ×3, first 2 shown]
	s_delay_alu instid0(VALU_DEP_3) | instskip(NEXT) | instid1(VALU_DEP_3)
	v_add_f64_e32 v[56:57], v[62:63], v[50:51]
	v_add_f64_e64 v[52:53], v[52:53], -v[70:71]
	s_delay_alu instid0(VALU_DEP_1) | instskip(NEXT) | instid1(VALU_DEP_3)
	v_add_f64_e32 v[52:53], v[54:55], v[52:53]
	v_add_f64_e64 v[54:55], v[56:57], -v[62:63]
	s_delay_alu instid0(VALU_DEP_2) | instskip(NEXT) | instid1(VALU_DEP_2)
	v_add_f64_e32 v[52:53], v[56:57], v[52:53]
	v_add_f64_e64 v[56:57], v[56:57], -v[54:55]
	v_add_f64_e64 v[50:51], v[50:51], -v[54:55]
	s_delay_alu instid0(VALU_DEP_3) | instskip(NEXT) | instid1(VALU_DEP_3)
	v_add_f64_e32 v[66:67], v[64:65], v[52:53]
	v_add_f64_e64 v[54:55], v[62:63], -v[56:57]
	s_delay_alu instid0(VALU_DEP_2) | instskip(NEXT) | instid1(VALU_DEP_2)
	v_add_f64_e64 v[56:57], v[66:67], -v[64:65]
	v_add_f64_e32 v[50:51], v[50:51], v[54:55]
	s_delay_alu instid0(VALU_DEP_2) | instskip(NEXT) | instid1(VALU_DEP_1)
	v_add_f64_e64 v[52:53], v[52:53], -v[56:57]
	v_add_f64_e32 v[50:51], v[50:51], v[52:53]
	s_delay_alu instid0(VALU_DEP_1) | instskip(NEXT) | instid1(VALU_DEP_1)
	v_add_f64_e32 v[50:51], v[66:67], v[50:51]
	v_dual_cndmask_b32 v1, v50, v16 :: v_dual_cndmask_b32 v50, v51, v17
	v_cmp_neq_f64_e32 vcc_lo, 0, v[16:17]
	s_delay_alu instid0(VALU_DEP_2) | instskip(NEXT) | instid1(VALU_DEP_3)
	v_cndmask_b32_e32 v17, 0xfff00000, v50, vcc_lo
	v_cndmask_b32_e32 v16, 0, v1, vcc_lo
.LBB42_113:                             ;   in Loop: Header=BB42_5 Depth=1
	s_or_saveexec_b32 s43, s3
	v_and_b32_e32 v51, 0x7fffffff, v21
	v_mov_b32_e32 v50, v20
	s_xor_b32 exec_lo, exec_lo, s43
	s_cbranch_execz .LBB42_135
; %bb.114:                              ;   in Loop: Header=BB42_5 Depth=1
	v_cmp_neq_f64_e64 s3, |v[18:19]|, 1.0
	v_cmp_ngt_f64_e64 s4, 0x39000000, |v[20:21]|
                                        ; implicit-def: $vgpr16_vgpr17
	s_or_b32 s3, s3, s4
	s_delay_alu instid0(SALU_CYCLE_1) | instskip(NEXT) | instid1(SALU_CYCLE_1)
	s_and_saveexec_b32 s4, s3
	s_xor_b32 s44, exec_lo, s4
	s_cbranch_execz .LBB42_132
; %bb.115:                              ;   in Loop: Header=BB42_5 Depth=1
	v_ldexp_f64 v[16:17], |v[14:15]|, 0xffffffcc
	s_delay_alu instid0(VALU_DEP_1) | instskip(SKIP_1) | instid1(SALU_CYCLE_1)
	v_cmp_ge_f64_e64 s3, |v[20:21]|, v[16:17]
                                        ; implicit-def: $vgpr16_vgpr17
	s_and_saveexec_b32 s4, s3
	s_xor_b32 s45, exec_lo, s4
	s_cbranch_execz .LBB42_125
; %bb.116:                              ;   in Loop: Header=BB42_5 Depth=1
	v_mov_b64_e32 v[16:17], v[50:51]
	s_mov_b32 s3, exec_lo
	v_cmpx_neq_f64_e32 0, v[44:45]
	s_cbranch_execz .LBB42_118
; %bb.117:                              ;   in Loop: Header=BB42_5 Depth=1
	v_mul_f64_e32 v[16:17], v[20:21], v[20:21]
	v_add_f64_e32 v[52:53], v[44:45], v[48:49]
	s_delay_alu instid0(VALU_DEP_1) | instskip(NEXT) | instid1(VALU_DEP_1)
	v_div_scale_f64 v[54:55], null, v[52:53], v[52:53], v[16:17]
	v_rcp_f64_e32 v[56:57], v[54:55]
	v_nop
	s_delay_alu instid0(TRANS32_DEP_1) | instskip(NEXT) | instid1(VALU_DEP_1)
	v_fma_f64 v[62:63], -v[54:55], v[56:57], 1.0
	v_fmac_f64_e32 v[56:57], v[56:57], v[62:63]
	s_delay_alu instid0(VALU_DEP_1) | instskip(NEXT) | instid1(VALU_DEP_1)
	v_fma_f64 v[62:63], -v[54:55], v[56:57], 1.0
	v_fmac_f64_e32 v[56:57], v[56:57], v[62:63]
	v_div_scale_f64 v[62:63], vcc_lo, v[16:17], v[52:53], v[16:17]
	s_delay_alu instid0(VALU_DEP_1) | instskip(NEXT) | instid1(VALU_DEP_1)
	v_mul_f64_e32 v[64:65], v[62:63], v[56:57]
	v_fma_f64 v[54:55], -v[54:55], v[64:65], v[62:63]
	s_delay_alu instid0(VALU_DEP_1) | instskip(NEXT) | instid1(VALU_DEP_1)
	v_div_fmas_f64 v[54:55], v[54:55], v[56:57], v[64:65]
	v_div_fixup_f64 v[16:17], v[54:55], v[52:53], v[16:17]
.LBB42_118:                             ;   in Loop: Header=BB42_5 Depth=1
	s_or_b32 exec_lo, exec_lo, s3
	v_add_f64_e64 v[54:55], -|v[18:19]|, 1.0
	s_mov_b32 s3, exec_lo
                                        ; implicit-def: $vgpr52_vgpr53
	s_delay_alu instid0(VALU_DEP_1)
	v_cmpx_ngt_f64_e32 0, v[54:55]
	s_xor_b32 s3, exec_lo, s3
	s_cbranch_execz .LBB42_122
; %bb.119:                              ;   in Loop: Header=BB42_5 Depth=1
	v_mov_b64_e32 v[52:53], v[50:51]
	s_mov_b32 s4, exec_lo
	v_cmpx_neq_f64_e32 0, v[54:55]
	s_cbranch_execz .LBB42_121
; %bb.120:                              ;   in Loop: Header=BB42_5 Depth=1
	v_mul_f64_e32 v[52:53], v[20:21], v[20:21]
	v_add_f64_e32 v[54:55], v[54:55], v[46:47]
	s_delay_alu instid0(VALU_DEP_1) | instskip(NEXT) | instid1(VALU_DEP_1)
	v_div_scale_f64 v[56:57], null, v[54:55], v[54:55], v[52:53]
	v_rcp_f64_e32 v[62:63], v[56:57]
	v_nop
	s_delay_alu instid0(TRANS32_DEP_1) | instskip(NEXT) | instid1(VALU_DEP_1)
	v_fma_f64 v[64:65], -v[56:57], v[62:63], 1.0
	v_fmac_f64_e32 v[62:63], v[62:63], v[64:65]
	s_delay_alu instid0(VALU_DEP_1) | instskip(NEXT) | instid1(VALU_DEP_1)
	v_fma_f64 v[64:65], -v[56:57], v[62:63], 1.0
	v_fmac_f64_e32 v[62:63], v[62:63], v[64:65]
	v_div_scale_f64 v[64:65], vcc_lo, v[52:53], v[54:55], v[52:53]
	s_delay_alu instid0(VALU_DEP_1) | instskip(NEXT) | instid1(VALU_DEP_1)
	v_mul_f64_e32 v[66:67], v[64:65], v[62:63]
	v_fma_f64 v[56:57], -v[56:57], v[66:67], v[64:65]
	s_delay_alu instid0(VALU_DEP_1) | instskip(NEXT) | instid1(VALU_DEP_1)
	v_div_fmas_f64 v[56:57], v[56:57], v[62:63], v[66:67]
	v_div_fixup_f64 v[52:53], v[56:57], v[54:55], v[52:53]
.LBB42_121:                             ;   in Loop: Header=BB42_5 Depth=1
	s_or_b32 exec_lo, exec_lo, s4
                                        ; implicit-def: $vgpr54_vgpr55
.LBB42_122:                             ;   in Loop: Header=BB42_5 Depth=1
	s_and_not1_saveexec_b32 s3, s3
; %bb.123:                              ;   in Loop: Header=BB42_5 Depth=1
	v_add_f64_e64 v[52:53], v[46:47], -v[54:55]
; %bb.124:                              ;   in Loop: Header=BB42_5 Depth=1
	s_or_b32 exec_lo, exec_lo, s3
	s_delay_alu instid0(VALU_DEP_1) | instskip(SKIP_1) | instid1(VALU_DEP_2)
	v_mul_f64_e32 v[52:53], 0.5, v[52:53]
	v_add_f64_e32 v[54:55], 1.0, v[42:43]
	v_fmac_f64_e32 v[52:53], 0.5, v[16:17]
	s_delay_alu instid0(VALU_DEP_1) | instskip(NEXT) | instid1(VALU_DEP_1)
	v_mul_f64_e32 v[16:17], v[54:55], v[52:53]
	v_cmp_gt_f64_e32 vcc_lo, 0x10000000, v[16:17]
	v_cndmask_b32_e64 v1, 0, 0x100, vcc_lo
	s_delay_alu instid0(VALU_DEP_1) | instskip(SKIP_1) | instid1(VALU_DEP_2)
	v_ldexp_f64 v[16:17], v[16:17], v1
	v_cndmask_b32_e64 v1, 0, 0xffffff80, vcc_lo
	v_rsq_f64_e32 v[54:55], v[16:17]
	v_cmp_class_f64_e64 vcc_lo, v[16:17], 0x260
	s_delay_alu instid0(TRANS32_DEP_1) | instskip(SKIP_1) | instid1(VALU_DEP_1)
	v_mul_f64_e32 v[56:57], v[16:17], v[54:55]
	v_mul_f64_e32 v[54:55], 0.5, v[54:55]
	v_fma_f64 v[62:63], -v[54:55], v[56:57], 0.5
	s_delay_alu instid0(VALU_DEP_1) | instskip(SKIP_1) | instid1(VALU_DEP_2)
	v_fmac_f64_e32 v[56:57], v[56:57], v[62:63]
	v_fmac_f64_e32 v[54:55], v[54:55], v[62:63]
	v_fma_f64 v[62:63], -v[56:57], v[56:57], v[16:17]
	s_delay_alu instid0(VALU_DEP_1) | instskip(NEXT) | instid1(VALU_DEP_1)
	v_fmac_f64_e32 v[56:57], v[62:63], v[54:55]
	v_fma_f64 v[62:63], -v[56:57], v[56:57], v[16:17]
	s_delay_alu instid0(VALU_DEP_1) | instskip(NEXT) | instid1(VALU_DEP_1)
	v_fmac_f64_e32 v[56:57], v[62:63], v[54:55]
	v_ldexp_f64 v[54:55], v[56:57], v1
	s_delay_alu instid0(VALU_DEP_1) | instskip(NEXT) | instid1(VALU_DEP_1)
	v_dual_cndmask_b32 v17, v55, v17 :: v_dual_cndmask_b32 v16, v54, v16
	v_add_f64_e32 v[52:53], v[52:53], v[16:17]
	s_delay_alu instid0(VALU_DEP_1) | instskip(SKIP_2) | instid1(VALU_DEP_3)
	v_add_f64_e32 v[16:17], 1.0, v[52:53]
	v_cmp_neq_f64_e64 s3, 0x7ff00000, v[52:53]
	v_cmp_ngt_f64_e64 s4, -1.0, v[52:53]
	v_frexp_mant_f64_e32 v[54:55], v[16:17]
	v_frexp_exp_i32_f64_e32 v1, v[16:17]
	v_add_f64_e32 v[56:57], -1.0, v[16:17]
	s_delay_alu instid0(VALU_DEP_3) | instskip(NEXT) | instid1(VALU_DEP_2)
	v_cmp_gt_f64_e32 vcc_lo, s[14:15], v[54:55]
	v_add_f64_e64 v[54:55], v[56:57], -v[16:17]
	v_add_f64_e64 v[56:57], v[52:53], -v[56:57]
	v_subrev_co_ci_u32_e64 v1, null, 0, v1, vcc_lo
	s_delay_alu instid0(VALU_DEP_3) | instskip(SKIP_1) | instid1(VALU_DEP_3)
	v_add_f64_e32 v[54:55], 1.0, v[54:55]
	v_cmp_nge_f64_e32 vcc_lo, -1.0, v[52:53]
	v_sub_nc_u32_e32 v61, 0, v1
	s_delay_alu instid0(VALU_DEP_1) | instskip(NEXT) | instid1(VALU_DEP_4)
	v_ldexp_f64 v[16:17], v[16:17], v61
	v_add_f64_e32 v[54:55], v[56:57], v[54:55]
	s_and_b32 vcc_lo, vcc_lo, s3
	s_delay_alu instid0(VALU_DEP_2) | instskip(SKIP_1) | instid1(VALU_DEP_3)
	v_add_f64_e32 v[62:63], 1.0, v[16:17]
	v_add_f64_e32 v[68:69], -1.0, v[16:17]
	v_ldexp_f64 v[54:55], v[54:55], v61
	s_delay_alu instid0(VALU_DEP_3) | instskip(NEXT) | instid1(VALU_DEP_3)
	v_add_f64_e32 v[56:57], -1.0, v[62:63]
	v_add_f64_e32 v[70:71], 1.0, v[68:69]
	s_delay_alu instid0(VALU_DEP_2) | instskip(NEXT) | instid1(VALU_DEP_2)
	v_add_f64_e64 v[56:57], v[16:17], -v[56:57]
	v_add_f64_e64 v[16:17], v[16:17], -v[70:71]
	s_delay_alu instid0(VALU_DEP_2) | instskip(NEXT) | instid1(VALU_DEP_2)
	v_add_f64_e32 v[56:57], v[54:55], v[56:57]
	v_add_f64_e32 v[16:17], v[54:55], v[16:17]
	s_delay_alu instid0(VALU_DEP_2) | instskip(NEXT) | instid1(VALU_DEP_2)
	v_add_f64_e32 v[64:65], v[62:63], v[56:57]
	v_add_f64_e32 v[70:71], v[68:69], v[16:17]
	s_delay_alu instid0(VALU_DEP_2) | instskip(SKIP_1) | instid1(VALU_DEP_2)
	v_rcp_f64_e32 v[66:67], v[64:65]
	v_add_f64_e64 v[62:63], v[64:65], -v[62:63]
	v_add_f64_e64 v[68:69], v[70:71], -v[68:69]
	s_delay_alu instid0(VALU_DEP_2) | instskip(NEXT) | instid1(VALU_DEP_2)
	v_add_f64_e64 v[56:57], v[56:57], -v[62:63]
	v_add_f64_e64 v[16:17], v[16:17], -v[68:69]
	s_delay_alu instid0(TRANS32_DEP_1) | instskip(NEXT) | instid1(VALU_DEP_1)
	v_fma_f64 v[72:73], -v[64:65], v[66:67], 1.0
	v_fmac_f64_e32 v[66:67], v[72:73], v[66:67]
	s_delay_alu instid0(VALU_DEP_1) | instskip(NEXT) | instid1(VALU_DEP_1)
	v_fma_f64 v[54:55], -v[64:65], v[66:67], 1.0
	v_fmac_f64_e32 v[66:67], v[54:55], v[66:67]
	s_delay_alu instid0(VALU_DEP_1) | instskip(NEXT) | instid1(VALU_DEP_1)
	v_mul_f64_e32 v[54:55], v[70:71], v[66:67]
	v_mul_f64_e32 v[72:73], v[64:65], v[54:55]
	s_delay_alu instid0(VALU_DEP_1) | instskip(NEXT) | instid1(VALU_DEP_1)
	v_fma_f64 v[62:63], v[54:55], v[64:65], -v[72:73]
	v_fmac_f64_e32 v[62:63], v[54:55], v[56:57]
	s_delay_alu instid0(VALU_DEP_1) | instskip(NEXT) | instid1(VALU_DEP_1)
	v_add_f64_e32 v[74:75], v[72:73], v[62:63]
	v_add_f64_e64 v[76:77], v[70:71], -v[74:75]
	v_add_f64_e64 v[68:69], v[74:75], -v[72:73]
	s_delay_alu instid0(VALU_DEP_2) | instskip(NEXT) | instid1(VALU_DEP_2)
	v_add_f64_e64 v[70:71], v[70:71], -v[76:77]
	v_add_f64_e64 v[62:63], v[68:69], -v[62:63]
	s_delay_alu instid0(VALU_DEP_2) | instskip(NEXT) | instid1(VALU_DEP_1)
	v_add_f64_e64 v[70:71], v[70:71], -v[74:75]
	v_add_f64_e32 v[16:17], v[16:17], v[70:71]
	s_delay_alu instid0(VALU_DEP_1) | instskip(NEXT) | instid1(VALU_DEP_1)
	v_add_f64_e32 v[16:17], v[62:63], v[16:17]
	v_add_f64_e32 v[62:63], v[76:77], v[16:17]
	s_delay_alu instid0(VALU_DEP_1) | instskip(SKIP_1) | instid1(VALU_DEP_2)
	v_mul_f64_e32 v[68:69], v[66:67], v[62:63]
	v_add_f64_e64 v[74:75], v[76:77], -v[62:63]
	v_mul_f64_e32 v[70:71], v[64:65], v[68:69]
	s_delay_alu instid0(VALU_DEP_2) | instskip(NEXT) | instid1(VALU_DEP_2)
	v_add_f64_e32 v[16:17], v[16:17], v[74:75]
	v_fma_f64 v[64:65], v[68:69], v[64:65], -v[70:71]
	s_delay_alu instid0(VALU_DEP_1) | instskip(NEXT) | instid1(VALU_DEP_1)
	v_fmac_f64_e32 v[64:65], v[68:69], v[56:57]
	v_add_f64_e32 v[56:57], v[70:71], v[64:65]
	s_delay_alu instid0(VALU_DEP_1) | instskip(SKIP_1) | instid1(VALU_DEP_2)
	v_add_f64_e64 v[72:73], v[62:63], -v[56:57]
	v_add_f64_e64 v[70:71], v[56:57], -v[70:71]
	;; [unrolled: 1-line block ×3, first 2 shown]
	s_delay_alu instid0(VALU_DEP_1) | instskip(NEXT) | instid1(VALU_DEP_3)
	v_add_f64_e64 v[56:57], v[62:63], -v[56:57]
	v_add_f64_e64 v[62:63], v[70:71], -v[64:65]
	s_delay_alu instid0(VALU_DEP_2) | instskip(SKIP_1) | instid1(VALU_DEP_2)
	v_add_f64_e32 v[16:17], v[16:17], v[56:57]
	v_add_f64_e32 v[56:57], v[54:55], v[68:69]
	;; [unrolled: 1-line block ×3, first 2 shown]
	s_delay_alu instid0(VALU_DEP_2) | instskip(NEXT) | instid1(VALU_DEP_2)
	v_add_f64_e64 v[54:55], v[56:57], -v[54:55]
	v_add_f64_e32 v[16:17], v[72:73], v[16:17]
	s_delay_alu instid0(VALU_DEP_2) | instskip(NEXT) | instid1(VALU_DEP_2)
	v_add_f64_e64 v[54:55], v[68:69], -v[54:55]
	v_mul_f64_e32 v[16:17], v[66:67], v[16:17]
	s_delay_alu instid0(VALU_DEP_1) | instskip(NEXT) | instid1(VALU_DEP_1)
	v_add_f64_e32 v[16:17], v[54:55], v[16:17]
	v_add_f64_e32 v[54:55], v[56:57], v[16:17]
	s_delay_alu instid0(VALU_DEP_1) | instskip(NEXT) | instid1(VALU_DEP_1)
	v_mul_f64_e32 v[62:63], v[54:55], v[54:55]
	v_fmamk_f64 v[64:65], v[62:63], 0x3fc3ab76bf559e2b, v[28:29]
	v_mul_f64_e32 v[66:67], v[54:55], v[62:63]
	s_delay_alu instid0(VALU_DEP_2) | instskip(NEXT) | instid1(VALU_DEP_1)
	v_fmaak_f64 v[64:65], v[62:63], v[64:65], 0x3fc7474dd7f4df2e
	v_fmaak_f64 v[64:65], v[62:63], v[64:65], 0x3fcc71c016291751
	s_delay_alu instid0(VALU_DEP_1) | instskip(NEXT) | instid1(VALU_DEP_1)
	v_fmaak_f64 v[64:65], v[62:63], v[64:65], 0x3fd249249b27acf1
	v_fmaak_f64 v[64:65], v[62:63], v[64:65], 0x3fd99999998ef7b6
	s_delay_alu instid0(VALU_DEP_1) | instskip(SKIP_2) | instid1(VALU_DEP_3)
	v_fmaak_f64 v[62:63], v[62:63], v[64:65], 0x3fe5555555555780
	v_ldexp_f64 v[64:65], v[54:55], 1
	v_add_f64_e64 v[54:55], v[54:55], -v[56:57]
	v_mul_f64_e32 v[62:63], v[66:67], v[62:63]
	v_cvt_f64_i32_e32 v[66:67], v1
	s_delay_alu instid0(VALU_DEP_3) | instskip(NEXT) | instid1(VALU_DEP_3)
	v_add_f64_e64 v[16:17], v[16:17], -v[54:55]
	v_add_f64_e32 v[56:57], v[64:65], v[62:63]
	s_delay_alu instid0(VALU_DEP_3) | instskip(NEXT) | instid1(VALU_DEP_3)
	v_mul_f64_e32 v[68:69], 0x3fe62e42fefa39ef, v[66:67]
	v_ldexp_f64 v[16:17], v[16:17], 1
	s_delay_alu instid0(VALU_DEP_3) | instskip(NEXT) | instid1(VALU_DEP_3)
	v_add_f64_e64 v[54:55], v[56:57], -v[64:65]
	v_fma_f64 v[64:65], v[66:67], s[16:17], -v[68:69]
	s_delay_alu instid0(VALU_DEP_2) | instskip(NEXT) | instid1(VALU_DEP_2)
	v_add_f64_e64 v[54:55], v[62:63], -v[54:55]
	v_fmac_f64_e32 v[64:65], 0x3c7abc9e3b39803f, v[66:67]
	s_delay_alu instid0(VALU_DEP_2) | instskip(NEXT) | instid1(VALU_DEP_2)
	v_add_f64_e32 v[16:17], v[16:17], v[54:55]
	v_add_f64_e32 v[54:55], v[68:69], v[64:65]
	s_delay_alu instid0(VALU_DEP_2) | instskip(NEXT) | instid1(VALU_DEP_2)
	v_add_f64_e32 v[62:63], v[56:57], v[16:17]
	v_add_f64_e64 v[68:69], v[54:55], -v[68:69]
	s_delay_alu instid0(VALU_DEP_2) | instskip(SKIP_1) | instid1(VALU_DEP_3)
	v_add_f64_e32 v[66:67], v[54:55], v[62:63]
	v_add_f64_e64 v[56:57], v[62:63], -v[56:57]
	v_add_f64_e64 v[64:65], v[64:65], -v[68:69]
	s_delay_alu instid0(VALU_DEP_3) | instskip(NEXT) | instid1(VALU_DEP_3)
	v_add_f64_e64 v[70:71], v[66:67], -v[54:55]
	v_add_f64_e64 v[16:17], v[16:17], -v[56:57]
	s_delay_alu instid0(VALU_DEP_2) | instskip(SKIP_1) | instid1(VALU_DEP_3)
	v_add_f64_e64 v[72:73], v[66:67], -v[70:71]
	v_add_f64_e64 v[56:57], v[62:63], -v[70:71]
	v_add_f64_e32 v[62:63], v[64:65], v[16:17]
	s_delay_alu instid0(VALU_DEP_3) | instskip(NEXT) | instid1(VALU_DEP_1)
	v_add_f64_e64 v[54:55], v[54:55], -v[72:73]
	v_add_f64_e32 v[54:55], v[56:57], v[54:55]
	s_delay_alu instid0(VALU_DEP_3) | instskip(NEXT) | instid1(VALU_DEP_2)
	v_add_f64_e64 v[56:57], v[62:63], -v[64:65]
	v_add_f64_e32 v[54:55], v[62:63], v[54:55]
	s_delay_alu instid0(VALU_DEP_2) | instskip(SKIP_1) | instid1(VALU_DEP_3)
	v_add_f64_e64 v[62:63], v[62:63], -v[56:57]
	v_add_f64_e64 v[16:17], v[16:17], -v[56:57]
	v_add_f64_e32 v[68:69], v[66:67], v[54:55]
	s_delay_alu instid0(VALU_DEP_3) | instskip(NEXT) | instid1(VALU_DEP_2)
	v_add_f64_e64 v[62:63], v[64:65], -v[62:63]
	v_add_f64_e64 v[56:57], v[68:69], -v[66:67]
	s_delay_alu instid0(VALU_DEP_2) | instskip(NEXT) | instid1(VALU_DEP_2)
	v_add_f64_e32 v[16:17], v[16:17], v[62:63]
	v_add_f64_e64 v[54:55], v[54:55], -v[56:57]
	s_delay_alu instid0(VALU_DEP_1) | instskip(NEXT) | instid1(VALU_DEP_1)
	v_add_f64_e32 v[16:17], v[16:17], v[54:55]
	v_add_f64_e32 v[16:17], v[68:69], v[16:17]
	s_delay_alu instid0(VALU_DEP_1) | instskip(SKIP_1) | instid1(VALU_DEP_3)
	v_cndmask_b32_e32 v16, 0, v16, vcc_lo
	v_cmp_neq_f64_e32 vcc_lo, -1.0, v[52:53]
	v_cndmask_b32_e64 v1, 0x7ff00000, v17, s3
	s_delay_alu instid0(VALU_DEP_1) | instskip(NEXT) | instid1(VALU_DEP_1)
	v_cndmask_b32_e64 v1, 0x7ff80000, v1, s4
	v_cndmask_b32_e32 v17, 0xfff00000, v1, vcc_lo
.LBB42_125:                             ;   in Loop: Header=BB42_5 Depth=1
	s_and_not1_saveexec_b32 s45, s45
	s_cbranch_execz .LBB42_131
; %bb.126:                              ;   in Loop: Header=BB42_5 Depth=1
                                        ; implicit-def: $vgpr16_vgpr17
	s_mov_b32 s4, exec_lo
	v_cmpx_nlt_f64_e64 |v[18:19]|, 1.0
	s_xor_b32 s46, exec_lo, s4
	s_cbranch_execz .LBB42_128
; %bb.127:                              ;   in Loop: Header=BB42_5 Depth=1
	v_mul_f64_e32 v[16:17], v[14:15], v[44:45]
	s_delay_alu instid0(VALU_DEP_1) | instskip(SKIP_1) | instid1(VALU_DEP_1)
	v_cmp_gt_f64_e32 vcc_lo, 0x10000000, v[16:17]
	v_cndmask_b32_e64 v1, 0, 0x100, vcc_lo
	v_ldexp_f64 v[16:17], v[16:17], v1
	v_cndmask_b32_e64 v1, 0, 0xffffff80, vcc_lo
	s_delay_alu instid0(VALU_DEP_2) | instskip(SKIP_1) | instid1(TRANS32_DEP_1)
	v_rsq_f64_e32 v[52:53], v[16:17]
	v_cmp_class_f64_e64 vcc_lo, v[16:17], 0x260
	v_mul_f64_e32 v[54:55], v[16:17], v[52:53]
	v_mul_f64_e32 v[52:53], 0.5, v[52:53]
	s_delay_alu instid0(VALU_DEP_1) | instskip(NEXT) | instid1(VALU_DEP_1)
	v_fma_f64 v[56:57], -v[52:53], v[54:55], 0.5
	v_fmac_f64_e32 v[54:55], v[54:55], v[56:57]
	v_fmac_f64_e32 v[52:53], v[52:53], v[56:57]
	s_delay_alu instid0(VALU_DEP_2) | instskip(NEXT) | instid1(VALU_DEP_1)
	v_fma_f64 v[56:57], -v[54:55], v[54:55], v[16:17]
	v_fmac_f64_e32 v[54:55], v[56:57], v[52:53]
	s_delay_alu instid0(VALU_DEP_1) | instskip(NEXT) | instid1(VALU_DEP_1)
	v_fma_f64 v[56:57], -v[54:55], v[54:55], v[16:17]
	v_fmac_f64_e32 v[54:55], v[56:57], v[52:53]
	s_delay_alu instid0(VALU_DEP_1) | instskip(NEXT) | instid1(VALU_DEP_1)
	v_ldexp_f64 v[52:53], v[54:55], v1
	v_dual_cndmask_b32 v17, v53, v17 :: v_dual_cndmask_b32 v16, v52, v16
	s_delay_alu instid0(VALU_DEP_1) | instskip(NEXT) | instid1(VALU_DEP_1)
	v_add_f64_e32 v[52:53], v[14:15], v[16:17]
	v_add_f64_e32 v[16:17], 1.0, v[52:53]
	v_cmp_neq_f64_e64 s3, 0x7ff00000, v[52:53]
	v_cmp_ngt_f64_e64 s4, -1.0, v[52:53]
	s_delay_alu instid0(VALU_DEP_3) | instskip(SKIP_2) | instid1(VALU_DEP_3)
	v_frexp_mant_f64_e32 v[54:55], v[16:17]
	v_add_f64_e32 v[56:57], -1.0, v[16:17]
	v_frexp_exp_i32_f64_e32 v1, v[16:17]
	v_cmp_gt_f64_e32 vcc_lo, s[14:15], v[54:55]
	s_delay_alu instid0(VALU_DEP_3) | instskip(SKIP_1) | instid1(VALU_DEP_4)
	v_add_f64_e64 v[54:55], v[56:57], -v[16:17]
	v_add_f64_e64 v[56:57], v[52:53], -v[56:57]
	v_subrev_co_ci_u32_e64 v1, null, 0, v1, vcc_lo
	v_cmp_nge_f64_e32 vcc_lo, -1.0, v[52:53]
	s_delay_alu instid0(VALU_DEP_2) | instskip(NEXT) | instid1(VALU_DEP_1)
	v_dual_add_f64 v[54:55], 1.0, v[54:55] :: v_dual_sub_nc_u32 v61, 0, v1
	v_ldexp_f64 v[16:17], v[16:17], v61
	s_and_b32 vcc_lo, vcc_lo, s3
	s_delay_alu instid0(VALU_DEP_2) | instskip(NEXT) | instid1(VALU_DEP_2)
	v_add_f64_e32 v[54:55], v[56:57], v[54:55]
	v_add_f64_e32 v[62:63], 1.0, v[16:17]
	v_add_f64_e32 v[68:69], -1.0, v[16:17]
	s_delay_alu instid0(VALU_DEP_3) | instskip(NEXT) | instid1(VALU_DEP_3)
	v_ldexp_f64 v[54:55], v[54:55], v61
	v_add_f64_e32 v[56:57], -1.0, v[62:63]
	s_delay_alu instid0(VALU_DEP_3) | instskip(NEXT) | instid1(VALU_DEP_2)
	v_add_f64_e32 v[70:71], 1.0, v[68:69]
	v_add_f64_e64 v[56:57], v[16:17], -v[56:57]
	s_delay_alu instid0(VALU_DEP_2) | instskip(NEXT) | instid1(VALU_DEP_2)
	v_add_f64_e64 v[16:17], v[16:17], -v[70:71]
	v_add_f64_e32 v[56:57], v[54:55], v[56:57]
	s_delay_alu instid0(VALU_DEP_2) | instskip(NEXT) | instid1(VALU_DEP_2)
	v_add_f64_e32 v[16:17], v[54:55], v[16:17]
	v_add_f64_e32 v[64:65], v[62:63], v[56:57]
	s_delay_alu instid0(VALU_DEP_2) | instskip(NEXT) | instid1(VALU_DEP_2)
	v_add_f64_e32 v[70:71], v[68:69], v[16:17]
	v_rcp_f64_e32 v[66:67], v[64:65]
	v_add_f64_e64 v[62:63], v[64:65], -v[62:63]
	s_delay_alu instid0(VALU_DEP_2) | instskip(NEXT) | instid1(VALU_DEP_2)
	v_add_f64_e64 v[68:69], v[70:71], -v[68:69]
	v_add_f64_e64 v[56:57], v[56:57], -v[62:63]
	s_delay_alu instid0(VALU_DEP_2) | instskip(NEXT) | instid1(TRANS32_DEP_1)
	v_add_f64_e64 v[16:17], v[16:17], -v[68:69]
	v_fma_f64 v[72:73], -v[64:65], v[66:67], 1.0
	s_delay_alu instid0(VALU_DEP_1) | instskip(NEXT) | instid1(VALU_DEP_1)
	v_fmac_f64_e32 v[66:67], v[72:73], v[66:67]
	v_fma_f64 v[54:55], -v[64:65], v[66:67], 1.0
	s_delay_alu instid0(VALU_DEP_1) | instskip(NEXT) | instid1(VALU_DEP_1)
	v_fmac_f64_e32 v[66:67], v[54:55], v[66:67]
	v_mul_f64_e32 v[54:55], v[70:71], v[66:67]
	s_delay_alu instid0(VALU_DEP_1) | instskip(NEXT) | instid1(VALU_DEP_1)
	v_mul_f64_e32 v[72:73], v[64:65], v[54:55]
	v_fma_f64 v[62:63], v[54:55], v[64:65], -v[72:73]
	s_delay_alu instid0(VALU_DEP_1) | instskip(NEXT) | instid1(VALU_DEP_1)
	v_fmac_f64_e32 v[62:63], v[54:55], v[56:57]
	v_add_f64_e32 v[74:75], v[72:73], v[62:63]
	s_delay_alu instid0(VALU_DEP_1) | instskip(SKIP_1) | instid1(VALU_DEP_2)
	v_add_f64_e64 v[76:77], v[70:71], -v[74:75]
	v_add_f64_e64 v[68:69], v[74:75], -v[72:73]
	v_add_f64_e64 v[70:71], v[70:71], -v[76:77]
	s_delay_alu instid0(VALU_DEP_2) | instskip(NEXT) | instid1(VALU_DEP_2)
	v_add_f64_e64 v[62:63], v[68:69], -v[62:63]
	v_add_f64_e64 v[70:71], v[70:71], -v[74:75]
	s_delay_alu instid0(VALU_DEP_1) | instskip(NEXT) | instid1(VALU_DEP_1)
	v_add_f64_e32 v[16:17], v[16:17], v[70:71]
	v_add_f64_e32 v[16:17], v[62:63], v[16:17]
	s_delay_alu instid0(VALU_DEP_1) | instskip(NEXT) | instid1(VALU_DEP_1)
	v_add_f64_e32 v[62:63], v[76:77], v[16:17]
	v_mul_f64_e32 v[68:69], v[66:67], v[62:63]
	v_add_f64_e64 v[74:75], v[76:77], -v[62:63]
	s_delay_alu instid0(VALU_DEP_2) | instskip(NEXT) | instid1(VALU_DEP_2)
	v_mul_f64_e32 v[70:71], v[64:65], v[68:69]
	v_add_f64_e32 v[16:17], v[16:17], v[74:75]
	s_delay_alu instid0(VALU_DEP_2) | instskip(NEXT) | instid1(VALU_DEP_1)
	v_fma_f64 v[64:65], v[68:69], v[64:65], -v[70:71]
	v_fmac_f64_e32 v[64:65], v[68:69], v[56:57]
	s_delay_alu instid0(VALU_DEP_1) | instskip(NEXT) | instid1(VALU_DEP_1)
	v_add_f64_e32 v[56:57], v[70:71], v[64:65]
	v_add_f64_e64 v[72:73], v[62:63], -v[56:57]
	v_add_f64_e64 v[70:71], v[56:57], -v[70:71]
	s_delay_alu instid0(VALU_DEP_2) | instskip(NEXT) | instid1(VALU_DEP_1)
	v_add_f64_e64 v[62:63], v[62:63], -v[72:73]
	v_add_f64_e64 v[56:57], v[62:63], -v[56:57]
	s_delay_alu instid0(VALU_DEP_3) | instskip(NEXT) | instid1(VALU_DEP_2)
	v_add_f64_e64 v[62:63], v[70:71], -v[64:65]
	v_add_f64_e32 v[16:17], v[16:17], v[56:57]
	v_add_f64_e32 v[56:57], v[54:55], v[68:69]
	s_delay_alu instid0(VALU_DEP_2) | instskip(NEXT) | instid1(VALU_DEP_2)
	v_add_f64_e32 v[16:17], v[62:63], v[16:17]
	v_add_f64_e64 v[54:55], v[56:57], -v[54:55]
	s_delay_alu instid0(VALU_DEP_2) | instskip(NEXT) | instid1(VALU_DEP_2)
	v_add_f64_e32 v[16:17], v[72:73], v[16:17]
	v_add_f64_e64 v[54:55], v[68:69], -v[54:55]
	s_delay_alu instid0(VALU_DEP_2) | instskip(NEXT) | instid1(VALU_DEP_1)
	v_mul_f64_e32 v[16:17], v[66:67], v[16:17]
	v_add_f64_e32 v[16:17], v[54:55], v[16:17]
	s_delay_alu instid0(VALU_DEP_1) | instskip(NEXT) | instid1(VALU_DEP_1)
	v_add_f64_e32 v[54:55], v[56:57], v[16:17]
	v_mul_f64_e32 v[62:63], v[54:55], v[54:55]
	s_delay_alu instid0(VALU_DEP_1) | instskip(SKIP_1) | instid1(VALU_DEP_2)
	v_fmamk_f64 v[64:65], v[62:63], 0x3fc3ab76bf559e2b, v[28:29]
	v_mul_f64_e32 v[66:67], v[54:55], v[62:63]
	v_fmaak_f64 v[64:65], v[62:63], v[64:65], 0x3fc7474dd7f4df2e
	s_delay_alu instid0(VALU_DEP_1) | instskip(NEXT) | instid1(VALU_DEP_1)
	v_fmaak_f64 v[64:65], v[62:63], v[64:65], 0x3fcc71c016291751
	v_fmaak_f64 v[64:65], v[62:63], v[64:65], 0x3fd249249b27acf1
	s_delay_alu instid0(VALU_DEP_1) | instskip(NEXT) | instid1(VALU_DEP_1)
	v_fmaak_f64 v[64:65], v[62:63], v[64:65], 0x3fd99999998ef7b6
	v_fmaak_f64 v[62:63], v[62:63], v[64:65], 0x3fe5555555555780
	v_ldexp_f64 v[64:65], v[54:55], 1
	v_add_f64_e64 v[54:55], v[54:55], -v[56:57]
	s_delay_alu instid0(VALU_DEP_3) | instskip(SKIP_1) | instid1(VALU_DEP_3)
	v_mul_f64_e32 v[62:63], v[66:67], v[62:63]
	v_cvt_f64_i32_e32 v[66:67], v1
	v_add_f64_e64 v[16:17], v[16:17], -v[54:55]
	s_delay_alu instid0(VALU_DEP_3) | instskip(NEXT) | instid1(VALU_DEP_3)
	v_add_f64_e32 v[56:57], v[64:65], v[62:63]
	v_mul_f64_e32 v[68:69], 0x3fe62e42fefa39ef, v[66:67]
	s_delay_alu instid0(VALU_DEP_3) | instskip(NEXT) | instid1(VALU_DEP_3)
	v_ldexp_f64 v[16:17], v[16:17], 1
	v_add_f64_e64 v[54:55], v[56:57], -v[64:65]
	s_delay_alu instid0(VALU_DEP_3) | instskip(NEXT) | instid1(VALU_DEP_2)
	v_fma_f64 v[64:65], v[66:67], s[16:17], -v[68:69]
	v_add_f64_e64 v[54:55], v[62:63], -v[54:55]
	s_delay_alu instid0(VALU_DEP_2) | instskip(NEXT) | instid1(VALU_DEP_2)
	v_fmac_f64_e32 v[64:65], 0x3c7abc9e3b39803f, v[66:67]
	v_add_f64_e32 v[16:17], v[16:17], v[54:55]
	s_delay_alu instid0(VALU_DEP_2) | instskip(NEXT) | instid1(VALU_DEP_2)
	v_add_f64_e32 v[54:55], v[68:69], v[64:65]
	v_add_f64_e32 v[62:63], v[56:57], v[16:17]
	s_delay_alu instid0(VALU_DEP_2) | instskip(NEXT) | instid1(VALU_DEP_2)
	v_add_f64_e64 v[68:69], v[54:55], -v[68:69]
	v_add_f64_e32 v[66:67], v[54:55], v[62:63]
	v_add_f64_e64 v[56:57], v[62:63], -v[56:57]
	s_delay_alu instid0(VALU_DEP_3) | instskip(NEXT) | instid1(VALU_DEP_3)
	v_add_f64_e64 v[64:65], v[64:65], -v[68:69]
	v_add_f64_e64 v[70:71], v[66:67], -v[54:55]
	s_delay_alu instid0(VALU_DEP_3) | instskip(NEXT) | instid1(VALU_DEP_2)
	v_add_f64_e64 v[16:17], v[16:17], -v[56:57]
	v_add_f64_e64 v[72:73], v[66:67], -v[70:71]
	;; [unrolled: 1-line block ×3, first 2 shown]
	s_delay_alu instid0(VALU_DEP_3) | instskip(NEXT) | instid1(VALU_DEP_3)
	v_add_f64_e32 v[62:63], v[64:65], v[16:17]
	v_add_f64_e64 v[54:55], v[54:55], -v[72:73]
	s_delay_alu instid0(VALU_DEP_1) | instskip(NEXT) | instid1(VALU_DEP_3)
	v_add_f64_e32 v[54:55], v[56:57], v[54:55]
	v_add_f64_e64 v[56:57], v[62:63], -v[64:65]
	s_delay_alu instid0(VALU_DEP_2) | instskip(NEXT) | instid1(VALU_DEP_2)
	v_add_f64_e32 v[54:55], v[62:63], v[54:55]
	v_add_f64_e64 v[62:63], v[62:63], -v[56:57]
	v_add_f64_e64 v[16:17], v[16:17], -v[56:57]
	s_delay_alu instid0(VALU_DEP_3) | instskip(NEXT) | instid1(VALU_DEP_3)
	v_add_f64_e32 v[68:69], v[66:67], v[54:55]
	v_add_f64_e64 v[62:63], v[64:65], -v[62:63]
	s_delay_alu instid0(VALU_DEP_2) | instskip(NEXT) | instid1(VALU_DEP_2)
	v_add_f64_e64 v[56:57], v[68:69], -v[66:67]
	v_add_f64_e32 v[16:17], v[16:17], v[62:63]
	s_delay_alu instid0(VALU_DEP_2) | instskip(NEXT) | instid1(VALU_DEP_1)
	v_add_f64_e64 v[54:55], v[54:55], -v[56:57]
	v_add_f64_e32 v[16:17], v[16:17], v[54:55]
	s_delay_alu instid0(VALU_DEP_1) | instskip(NEXT) | instid1(VALU_DEP_1)
	v_add_f64_e32 v[16:17], v[68:69], v[16:17]
	v_cndmask_b32_e32 v16, 0, v16, vcc_lo
	v_cmp_neq_f64_e32 vcc_lo, -1.0, v[52:53]
	s_delay_alu instid0(VALU_DEP_3) | instskip(NEXT) | instid1(VALU_DEP_1)
	v_cndmask_b32_e64 v1, 0x7ff00000, v17, s3
	v_cndmask_b32_e64 v1, 0x7ff80000, v1, s4
	s_delay_alu instid0(VALU_DEP_1)
	v_cndmask_b32_e32 v17, 0xfff00000, v1, vcc_lo
.LBB42_128:                             ;   in Loop: Header=BB42_5 Depth=1
	s_and_not1_saveexec_b32 s3, s46
	s_cbranch_execz .LBB42_130
; %bb.129:                              ;   in Loop: Header=BB42_5 Depth=1
	v_add_f64_e64 v[16:17], -|v[18:19]|, 1.0
	s_delay_alu instid0(VALU_DEP_1) | instskip(NEXT) | instid1(VALU_DEP_1)
	v_mul_f64_e32 v[16:17], v[16:17], v[44:45]
	v_cmp_gt_f64_e32 vcc_lo, 0x10000000, v[16:17]
	v_cndmask_b32_e64 v1, 0, 0x100, vcc_lo
	s_delay_alu instid0(VALU_DEP_1) | instskip(SKIP_1) | instid1(VALU_DEP_2)
	v_ldexp_f64 v[16:17], v[16:17], v1
	v_cndmask_b32_e64 v1, 0, 0xffffff80, vcc_lo
	v_rsq_f64_e32 v[52:53], v[16:17]
	v_cmp_class_f64_e64 vcc_lo, v[16:17], 0x260
	s_delay_alu instid0(TRANS32_DEP_1) | instskip(SKIP_1) | instid1(VALU_DEP_1)
	v_mul_f64_e32 v[54:55], v[16:17], v[52:53]
	v_mul_f64_e32 v[52:53], 0.5, v[52:53]
	v_fma_f64 v[56:57], -v[52:53], v[54:55], 0.5
	s_delay_alu instid0(VALU_DEP_1) | instskip(SKIP_1) | instid1(VALU_DEP_2)
	v_fmac_f64_e32 v[54:55], v[54:55], v[56:57]
	v_fmac_f64_e32 v[52:53], v[52:53], v[56:57]
	v_fma_f64 v[56:57], -v[54:55], v[54:55], v[16:17]
	s_delay_alu instid0(VALU_DEP_1) | instskip(NEXT) | instid1(VALU_DEP_1)
	v_fmac_f64_e32 v[54:55], v[56:57], v[52:53]
	v_fma_f64 v[56:57], -v[54:55], v[54:55], v[16:17]
	s_delay_alu instid0(VALU_DEP_1) | instskip(NEXT) | instid1(VALU_DEP_1)
	v_fmac_f64_e32 v[54:55], v[56:57], v[52:53]
	v_ldexp_f64 v[52:53], v[54:55], v1
	v_dual_mov_b32 v54, v20 :: v_dual_mov_b32 v55, v51
	s_delay_alu instid0(VALU_DEP_2) | instskip(NEXT) | instid1(VALU_DEP_1)
	v_dual_cndmask_b32 v17, v53, v17 :: v_dual_cndmask_b32 v16, v52, v16
	v_div_scale_f64 v[52:53], null, v[16:17], v[16:17], v[54:55]
	v_div_scale_f64 v[54:55], vcc_lo, v[54:55], v[16:17], v[54:55]
	s_delay_alu instid0(VALU_DEP_2) | instskip(SKIP_1) | instid1(TRANS32_DEP_1)
	v_rcp_f64_e32 v[56:57], v[52:53]
	v_nop
	v_fma_f64 v[62:63], -v[52:53], v[56:57], 1.0
	s_delay_alu instid0(VALU_DEP_1) | instskip(NEXT) | instid1(VALU_DEP_1)
	v_fmac_f64_e32 v[56:57], v[56:57], v[62:63]
	v_fma_f64 v[62:63], -v[52:53], v[56:57], 1.0
	s_delay_alu instid0(VALU_DEP_1) | instskip(NEXT) | instid1(VALU_DEP_1)
	v_fmac_f64_e32 v[56:57], v[56:57], v[62:63]
	v_mul_f64_e32 v[62:63], v[54:55], v[56:57]
	s_delay_alu instid0(VALU_DEP_1) | instskip(NEXT) | instid1(VALU_DEP_1)
	v_fma_f64 v[52:53], -v[52:53], v[62:63], v[54:55]
	v_div_fmas_f64 v[52:53], v[52:53], v[56:57], v[62:63]
	s_delay_alu instid0(VALU_DEP_1)
	v_div_fixup_f64 v[16:17], v[52:53], v[16:17], |v[20:21]|
.LBB42_130:                             ;   in Loop: Header=BB42_5 Depth=1
	s_or_b32 exec_lo, exec_lo, s3
.LBB42_131:                             ;   in Loop: Header=BB42_5 Depth=1
	s_delay_alu instid0(SALU_CYCLE_1)
	s_or_b32 exec_lo, exec_lo, s45
.LBB42_132:                             ;   in Loop: Header=BB42_5 Depth=1
	s_and_not1_saveexec_b32 s3, s44
	s_cbranch_execz .LBB42_134
; %bb.133:                              ;   in Loop: Header=BB42_5 Depth=1
	v_cmp_gt_f64_e64 s4, 0x10000000, |v[20:21]|
	s_delay_alu instid0(VALU_DEP_1) | instskip(NEXT) | instid1(VALU_DEP_1)
	v_cndmask_b32_e64 v1, 0, 0x100, s4
	v_ldexp_f64 v[16:17], |v[20:21]|, v1
	v_cndmask_b32_e64 v1, 0, 0xffffff80, s4
	s_delay_alu instid0(VALU_DEP_2) | instskip(SKIP_1) | instid1(TRANS32_DEP_1)
	v_rsq_f64_e32 v[52:53], v[16:17]
	v_cmp_class_f64_e64 vcc_lo, v[16:17], 0x260
	v_mul_f64_e32 v[54:55], v[16:17], v[52:53]
	v_mul_f64_e32 v[52:53], 0.5, v[52:53]
	s_delay_alu instid0(VALU_DEP_1) | instskip(NEXT) | instid1(VALU_DEP_1)
	v_fma_f64 v[56:57], -v[52:53], v[54:55], 0.5
	v_fmac_f64_e32 v[54:55], v[54:55], v[56:57]
	v_fmac_f64_e32 v[52:53], v[52:53], v[56:57]
	s_delay_alu instid0(VALU_DEP_2) | instskip(NEXT) | instid1(VALU_DEP_1)
	v_fma_f64 v[56:57], -v[54:55], v[54:55], v[16:17]
	v_fmac_f64_e32 v[54:55], v[56:57], v[52:53]
	s_delay_alu instid0(VALU_DEP_1) | instskip(NEXT) | instid1(VALU_DEP_1)
	v_fma_f64 v[56:57], -v[54:55], v[54:55], v[16:17]
	v_fmac_f64_e32 v[54:55], v[56:57], v[52:53]
	s_delay_alu instid0(VALU_DEP_1) | instskip(NEXT) | instid1(VALU_DEP_1)
	v_ldexp_f64 v[52:53], v[54:55], v1
	v_dual_cndmask_b32 v17, v53, v17 :: v_dual_cndmask_b32 v16, v52, v16
.LBB42_134:                             ;   in Loop: Header=BB42_5 Depth=1
	s_or_b32 exec_lo, exec_lo, s3
.LBB42_135:                             ;   in Loop: Header=BB42_5 Depth=1
	s_delay_alu instid0(SALU_CYCLE_1) | instskip(SKIP_2) | instid1(SALU_CYCLE_1)
	s_or_b32 exec_lo, exec_lo, s43
	v_cmp_ngt_f64_e64 s4, 0x20200000, |v[18:19]|
                                        ; implicit-def: $sgpr3
                                        ; implicit-def: $vgpr52_vgpr53
                                        ; implicit-def: $vgpr56_vgpr57
                                        ; implicit-def: $vgpr54_vgpr55
	s_and_saveexec_b32 s43, s4
	s_xor_b32 s4, exec_lo, s43
	s_cbranch_execz .LBB42_159
; %bb.136:                              ;   in Loop: Header=BB42_5 Depth=1
	v_and_b32_e32 v55, 0x7fffffff, v19
	v_mov_b32_e32 v54, v18
	s_mov_b32 s3, 0
	s_mov_b32 s43, exec_lo
	s_delay_alu instid0(VALU_DEP_1) | instskip(NEXT) | instid1(VALU_DEP_1)
	v_div_scale_f64 v[52:53], null, v[42:43], v[42:43], v[54:55]
	v_rcp_f64_e32 v[56:57], v[52:53]
	v_nop
	s_delay_alu instid0(TRANS32_DEP_1) | instskip(NEXT) | instid1(VALU_DEP_1)
	v_fma_f64 v[62:63], -v[52:53], v[56:57], 1.0
	v_fmac_f64_e32 v[56:57], v[56:57], v[62:63]
	s_delay_alu instid0(VALU_DEP_1) | instskip(NEXT) | instid1(VALU_DEP_1)
	v_fma_f64 v[62:63], -v[52:53], v[56:57], 1.0
	v_fmac_f64_e32 v[56:57], v[56:57], v[62:63]
	v_div_scale_f64 v[62:63], vcc_lo, v[54:55], v[42:43], v[54:55]
	s_delay_alu instid0(VALU_DEP_1) | instskip(NEXT) | instid1(VALU_DEP_1)
	v_mul_f64_e32 v[64:65], v[62:63], v[56:57]
	v_fma_f64 v[52:53], -v[52:53], v[64:65], v[62:63]
	s_delay_alu instid0(VALU_DEP_1) | instskip(NEXT) | instid1(VALU_DEP_1)
	v_div_fmas_f64 v[52:53], v[52:53], v[56:57], v[64:65]
                                        ; implicit-def: $vgpr56_vgpr57
	v_div_fixup_f64 v[52:53], v[52:53], v[42:43], |v[18:19]|
	s_delay_alu instid0(VALU_DEP_1)
	v_cmpx_lt_f64_e32 s[18:19], v[52:53]
	s_cbranch_execz .LBB42_158
; %bb.137:                              ;   in Loop: Header=BB42_5 Depth=1
	v_cmp_neq_f64_e64 s3, |v[18:19]|, 1.0
	v_cmp_ngt_f64_e64 s44, 0x3c400000, |v[20:21]|
                                        ; implicit-def: $vgpr56_vgpr57
	s_or_b32 s3, s3, s44
	s_delay_alu instid0(SALU_CYCLE_1) | instskip(NEXT) | instid1(SALU_CYCLE_1)
	s_and_saveexec_b32 s44, s3
	s_xor_b32 s3, exec_lo, s44
	s_cbranch_execz .LBB42_155
; %bb.138:                              ;   in Loop: Header=BB42_5 Depth=1
	v_ldexp_f64 v[56:57], |v[14:15]|, 0xffffffcc
	s_delay_alu instid0(VALU_DEP_1) | instskip(SKIP_1) | instid1(SALU_CYCLE_1)
	v_cmp_ge_f64_e64 s44, |v[20:21]|, v[56:57]
                                        ; implicit-def: $vgpr56_vgpr57
	s_and_saveexec_b32 s45, s44
	s_xor_b32 s44, exec_lo, s45
	s_cbranch_execz .LBB42_148
; %bb.139:                              ;   in Loop: Header=BB42_5 Depth=1
	v_mov_b64_e32 v[56:57], v[50:51]
	s_mov_b32 s45, exec_lo
	v_cmpx_neq_f64_e32 0, v[44:45]
	s_cbranch_execz .LBB42_141
; %bb.140:                              ;   in Loop: Header=BB42_5 Depth=1
	v_mul_f64_e32 v[56:57], v[20:21], v[20:21]
	v_add_f64_e32 v[44:45], v[44:45], v[48:49]
	s_delay_alu instid0(VALU_DEP_1) | instskip(NEXT) | instid1(VALU_DEP_1)
	v_div_scale_f64 v[48:49], null, v[44:45], v[44:45], v[56:57]
	v_rcp_f64_e32 v[62:63], v[48:49]
	v_nop
	s_delay_alu instid0(TRANS32_DEP_1) | instskip(NEXT) | instid1(VALU_DEP_1)
	v_fma_f64 v[64:65], -v[48:49], v[62:63], 1.0
	v_fmac_f64_e32 v[62:63], v[62:63], v[64:65]
	s_delay_alu instid0(VALU_DEP_1) | instskip(NEXT) | instid1(VALU_DEP_1)
	v_fma_f64 v[64:65], -v[48:49], v[62:63], 1.0
	v_fmac_f64_e32 v[62:63], v[62:63], v[64:65]
	v_div_scale_f64 v[64:65], vcc_lo, v[56:57], v[44:45], v[56:57]
	s_delay_alu instid0(VALU_DEP_1) | instskip(NEXT) | instid1(VALU_DEP_1)
	v_mul_f64_e32 v[66:67], v[64:65], v[62:63]
	v_fma_f64 v[48:49], -v[48:49], v[66:67], v[64:65]
	s_delay_alu instid0(VALU_DEP_1) | instskip(NEXT) | instid1(VALU_DEP_1)
	v_div_fmas_f64 v[48:49], v[48:49], v[62:63], v[66:67]
	v_div_fixup_f64 v[56:57], v[48:49], v[44:45], v[56:57]
.LBB42_141:                             ;   in Loop: Header=BB42_5 Depth=1
	s_or_b32 exec_lo, exec_lo, s45
	s_delay_alu instid0(SALU_CYCLE_1)
	s_mov_b32 s45, exec_lo
	v_cmpx_ngt_f64_e32 0, v[14:15]
	s_xor_b32 s45, exec_lo, s45
	s_cbranch_execz .LBB42_145
; %bb.142:                              ;   in Loop: Header=BB42_5 Depth=1
	s_mov_b32 s46, exec_lo
	v_cmpx_neq_f64_e32 0, v[14:15]
	s_cbranch_execz .LBB42_144
; %bb.143:                              ;   in Loop: Header=BB42_5 Depth=1
	v_mul_f64_e32 v[44:45], v[20:21], v[20:21]
	v_add_f64_e32 v[14:15], v[14:15], v[46:47]
	s_delay_alu instid0(VALU_DEP_1) | instskip(NEXT) | instid1(VALU_DEP_1)
	v_div_scale_f64 v[46:47], null, v[14:15], v[14:15], v[44:45]
	v_rcp_f64_e32 v[48:49], v[46:47]
	v_nop
	s_delay_alu instid0(TRANS32_DEP_1) | instskip(NEXT) | instid1(VALU_DEP_1)
	v_fma_f64 v[50:51], -v[46:47], v[48:49], 1.0
	v_fmac_f64_e32 v[48:49], v[48:49], v[50:51]
	s_delay_alu instid0(VALU_DEP_1) | instskip(NEXT) | instid1(VALU_DEP_1)
	v_fma_f64 v[50:51], -v[46:47], v[48:49], 1.0
	v_fmac_f64_e32 v[48:49], v[48:49], v[50:51]
	v_div_scale_f64 v[50:51], vcc_lo, v[44:45], v[14:15], v[44:45]
	s_delay_alu instid0(VALU_DEP_1) | instskip(NEXT) | instid1(VALU_DEP_1)
	v_mul_f64_e32 v[62:63], v[50:51], v[48:49]
	v_fma_f64 v[46:47], -v[46:47], v[62:63], v[50:51]
	s_delay_alu instid0(VALU_DEP_1) | instskip(NEXT) | instid1(VALU_DEP_1)
	v_div_fmas_f64 v[46:47], v[46:47], v[48:49], v[62:63]
	v_div_fixup_f64 v[50:51], v[46:47], v[14:15], v[44:45]
.LBB42_144:                             ;   in Loop: Header=BB42_5 Depth=1
	s_or_b32 exec_lo, exec_lo, s46
                                        ; implicit-def: $vgpr14_vgpr15
                                        ; implicit-def: $vgpr46_vgpr47
.LBB42_145:                             ;   in Loop: Header=BB42_5 Depth=1
	s_and_not1_saveexec_b32 s45, s45
; %bb.146:                              ;   in Loop: Header=BB42_5 Depth=1
	v_add_f64_e64 v[50:51], v[46:47], -v[14:15]
; %bb.147:                              ;   in Loop: Header=BB42_5 Depth=1
	s_or_b32 exec_lo, exec_lo, s45
	s_delay_alu instid0(VALU_DEP_1) | instskip(SKIP_1) | instid1(VALU_DEP_2)
	v_mul_f64_e32 v[14:15], 0.5, v[50:51]
	v_add_f64_e64 v[42:43], |v[18:19]|, v[42:43]
	v_fmac_f64_e32 v[14:15], 0.5, v[56:57]
	s_delay_alu instid0(VALU_DEP_1) | instskip(NEXT) | instid1(VALU_DEP_1)
	v_mul_f64_e32 v[14:15], v[42:43], v[14:15]
	v_cmp_gt_f64_e32 vcc_lo, 0x10000000, v[14:15]
	v_cndmask_b32_e64 v1, 0, 0x100, vcc_lo
	s_delay_alu instid0(VALU_DEP_1) | instskip(SKIP_1) | instid1(VALU_DEP_2)
	v_ldexp_f64 v[14:15], v[14:15], v1
	v_cndmask_b32_e64 v1, 0, 0xffffff80, vcc_lo
	v_rsq_f64_e32 v[42:43], v[14:15]
	v_cmp_class_f64_e64 vcc_lo, v[14:15], 0x260
	s_delay_alu instid0(TRANS32_DEP_1) | instskip(SKIP_1) | instid1(VALU_DEP_1)
	v_mul_f64_e32 v[44:45], v[14:15], v[42:43]
	v_mul_f64_e32 v[42:43], 0.5, v[42:43]
	v_fma_f64 v[46:47], -v[42:43], v[44:45], 0.5
	s_delay_alu instid0(VALU_DEP_1) | instskip(SKIP_1) | instid1(VALU_DEP_2)
	v_fmac_f64_e32 v[44:45], v[44:45], v[46:47]
	v_fmac_f64_e32 v[42:43], v[42:43], v[46:47]
	v_fma_f64 v[46:47], -v[44:45], v[44:45], v[14:15]
	s_delay_alu instid0(VALU_DEP_1) | instskip(NEXT) | instid1(VALU_DEP_1)
	v_fmac_f64_e32 v[44:45], v[46:47], v[42:43]
	v_fma_f64 v[46:47], -v[44:45], v[44:45], v[14:15]
	s_delay_alu instid0(VALU_DEP_1) | instskip(NEXT) | instid1(VALU_DEP_1)
	v_fmac_f64_e32 v[44:45], v[46:47], v[42:43]
	v_ldexp_f64 v[42:43], v[44:45], v1
                                        ; implicit-def: $vgpr44_vgpr45
	s_delay_alu instid0(VALU_DEP_1)
	v_dual_cndmask_b32 v57, v43, v15 :: v_dual_cndmask_b32 v56, v42, v14
                                        ; implicit-def: $vgpr14_vgpr15
.LBB42_148:                             ;   in Loop: Header=BB42_5 Depth=1
	s_and_not1_saveexec_b32 s44, s44
	s_cbranch_execz .LBB42_154
; %bb.149:                              ;   in Loop: Header=BB42_5 Depth=1
	v_cmp_ngt_f64_e64 s45, |v[18:19]|, 1.0
                                        ; implicit-def: $vgpr56_vgpr57
	s_and_saveexec_b32 s46, s45
	s_delay_alu instid0(SALU_CYCLE_1)
	s_xor_b32 s45, exec_lo, s46
	s_cbranch_execz .LBB42_151
; %bb.150:                              ;   in Loop: Header=BB42_5 Depth=1
	v_add_f64_e64 v[14:15], -|v[18:19]|, 1.0
	s_delay_alu instid0(VALU_DEP_1) | instskip(NEXT) | instid1(VALU_DEP_1)
	v_mul_f64_e32 v[14:15], v[14:15], v[44:45]
	v_cmp_gt_f64_e32 vcc_lo, 0x10000000, v[14:15]
	v_cndmask_b32_e64 v1, 0, 0x100, vcc_lo
	s_delay_alu instid0(VALU_DEP_1) | instskip(SKIP_1) | instid1(VALU_DEP_2)
	v_ldexp_f64 v[14:15], v[14:15], v1
	v_cndmask_b32_e64 v1, 0, 0xffffff80, vcc_lo
	v_rsq_f64_e32 v[42:43], v[14:15]
	v_cmp_class_f64_e64 vcc_lo, v[14:15], 0x260
	s_delay_alu instid0(TRANS32_DEP_1) | instskip(SKIP_1) | instid1(VALU_DEP_1)
	v_mul_f64_e32 v[44:45], v[14:15], v[42:43]
	v_mul_f64_e32 v[42:43], 0.5, v[42:43]
	v_fma_f64 v[46:47], -v[42:43], v[44:45], 0.5
	s_delay_alu instid0(VALU_DEP_1) | instskip(SKIP_1) | instid1(VALU_DEP_2)
	v_fmac_f64_e32 v[44:45], v[44:45], v[46:47]
	v_fmac_f64_e32 v[42:43], v[42:43], v[46:47]
	v_fma_f64 v[46:47], -v[44:45], v[44:45], v[14:15]
	s_delay_alu instid0(VALU_DEP_1) | instskip(NEXT) | instid1(VALU_DEP_1)
	v_fmac_f64_e32 v[44:45], v[46:47], v[42:43]
	v_fma_f64 v[46:47], -v[44:45], v[44:45], v[14:15]
	s_delay_alu instid0(VALU_DEP_1) | instskip(NEXT) | instid1(VALU_DEP_1)
	v_fmac_f64_e32 v[44:45], v[46:47], v[42:43]
	v_ldexp_f64 v[42:43], v[44:45], v1
                                        ; implicit-def: $vgpr44_vgpr45
	s_delay_alu instid0(VALU_DEP_1)
	v_dual_cndmask_b32 v57, v43, v15 :: v_dual_cndmask_b32 v56, v42, v14
                                        ; implicit-def: $vgpr14_vgpr15
.LBB42_151:                             ;   in Loop: Header=BB42_5 Depth=1
	s_and_not1_saveexec_b32 s45, s45
	s_cbranch_execz .LBB42_153
; %bb.152:                              ;   in Loop: Header=BB42_5 Depth=1
	v_mul_f64_e32 v[14:15], v[44:45], v[14:15]
	v_ldexp_f64 v[54:55], |v[18:19]|, 0x6a
	s_delay_alu instid0(VALU_DEP_2) | instskip(SKIP_1) | instid1(VALU_DEP_1)
	v_cmp_gt_f64_e32 vcc_lo, 0x10000000, v[14:15]
	v_cndmask_b32_e64 v1, 0, 0x100, vcc_lo
	v_ldexp_f64 v[14:15], v[14:15], v1
	v_cndmask_b32_e64 v1, 0, 0xffffff80, vcc_lo
	s_delay_alu instid0(VALU_DEP_2) | instskip(SKIP_1) | instid1(TRANS32_DEP_1)
	v_rsq_f64_e32 v[42:43], v[14:15]
	v_cmp_class_f64_e64 vcc_lo, v[14:15], 0x260
	v_mul_f64_e32 v[44:45], v[14:15], v[42:43]
	v_mul_f64_e32 v[42:43], 0.5, v[42:43]
	s_delay_alu instid0(VALU_DEP_1) | instskip(NEXT) | instid1(VALU_DEP_1)
	v_fma_f64 v[46:47], -v[42:43], v[44:45], 0.5
	v_fmac_f64_e32 v[44:45], v[44:45], v[46:47]
	v_fmac_f64_e32 v[42:43], v[42:43], v[46:47]
	s_delay_alu instid0(VALU_DEP_2) | instskip(NEXT) | instid1(VALU_DEP_1)
	v_fma_f64 v[46:47], -v[44:45], v[44:45], v[14:15]
	v_fmac_f64_e32 v[44:45], v[46:47], v[42:43]
	s_delay_alu instid0(VALU_DEP_1) | instskip(NEXT) | instid1(VALU_DEP_1)
	v_fma_f64 v[46:47], -v[44:45], v[44:45], v[14:15]
	v_fmac_f64_e32 v[44:45], v[46:47], v[42:43]
	v_ldexp_f64 v[42:43], |v[20:21]|, 0x6a
	s_delay_alu instid0(VALU_DEP_2) | instskip(NEXT) | instid1(VALU_DEP_2)
	v_ldexp_f64 v[44:45], v[44:45], v1
	v_mul_f64_e64 v[42:43], |v[18:19]|, v[42:43]
	s_delay_alu instid0(VALU_DEP_2) | instskip(NEXT) | instid1(VALU_DEP_1)
	v_dual_cndmask_b32 v15, v45, v15 :: v_dual_cndmask_b32 v14, v44, v14
	v_div_scale_f64 v[44:45], null, v[14:15], v[14:15], v[42:43]
	v_div_scale_f64 v[50:51], vcc_lo, v[42:43], v[14:15], v[42:43]
	s_delay_alu instid0(VALU_DEP_2) | instskip(SKIP_1) | instid1(TRANS32_DEP_1)
	v_rcp_f64_e32 v[46:47], v[44:45]
	v_nop
	v_fma_f64 v[48:49], -v[44:45], v[46:47], 1.0
	s_delay_alu instid0(VALU_DEP_1) | instskip(NEXT) | instid1(VALU_DEP_1)
	v_fmac_f64_e32 v[46:47], v[46:47], v[48:49]
	v_fma_f64 v[48:49], -v[44:45], v[46:47], 1.0
	s_delay_alu instid0(VALU_DEP_1) | instskip(NEXT) | instid1(VALU_DEP_1)
	v_fmac_f64_e32 v[46:47], v[46:47], v[48:49]
	v_mul_f64_e32 v[48:49], v[50:51], v[46:47]
	s_delay_alu instid0(VALU_DEP_1) | instskip(NEXT) | instid1(VALU_DEP_1)
	v_fma_f64 v[44:45], -v[44:45], v[48:49], v[50:51]
	v_div_fmas_f64 v[44:45], v[44:45], v[46:47], v[48:49]
	s_delay_alu instid0(VALU_DEP_1)
	v_div_fixup_f64 v[56:57], v[44:45], v[14:15], v[42:43]
.LBB42_153:                             ;   in Loop: Header=BB42_5 Depth=1
	s_or_b32 exec_lo, exec_lo, s45
.LBB42_154:                             ;   in Loop: Header=BB42_5 Depth=1
	s_delay_alu instid0(SALU_CYCLE_1)
	s_or_b32 exec_lo, exec_lo, s44
                                        ; implicit-def: $vgpr42_vgpr43
.LBB42_155:                             ;   in Loop: Header=BB42_5 Depth=1
	s_and_not1_saveexec_b32 s44, s3
	s_cbranch_execz .LBB42_157
; %bb.156:                              ;   in Loop: Header=BB42_5 Depth=1
	v_cmp_gt_f64_e64 s3, 0x10000000, |v[20:21]|
	s_delay_alu instid0(VALU_DEP_1) | instskip(NEXT) | instid1(VALU_DEP_1)
	v_cndmask_b32_e64 v1, 0, 0x100, s3
	v_ldexp_f64 v[20:21], |v[20:21]|, v1
	v_add_f64_e32 v[14:15], 1.0, v[42:43]
	v_cndmask_b32_e64 v1, 0, 0xffffff80, s3
	s_delay_alu instid0(VALU_DEP_2) | instskip(NEXT) | instid1(VALU_DEP_1)
	v_mul_f64_e32 v[14:15], 0.5, v[14:15]
	v_cmp_gt_f64_e32 vcc_lo, 0x10000000, v[14:15]
	v_cndmask_b32_e64 v42, 0, 0x100, vcc_lo
	s_delay_alu instid0(VALU_DEP_1) | instskip(SKIP_1) | instid1(VALU_DEP_1)
	v_ldexp_f64 v[14:15], v[14:15], v42
	v_rsq_f64_e32 v[42:43], v[20:21]
	v_rsq_f64_e32 v[44:45], v[14:15]
	v_cmp_class_f64_e64 s3, v[14:15], 0x260
	s_delay_alu instid0(TRANS32_DEP_2) | instskip(SKIP_1) | instid1(TRANS32_DEP_1)
	v_mul_f64_e32 v[46:47], v[20:21], v[42:43]
	v_mul_f64_e32 v[42:43], 0.5, v[42:43]
	v_mul_f64_e32 v[48:49], v[14:15], v[44:45]
	v_mul_f64_e32 v[44:45], 0.5, v[44:45]
	s_delay_alu instid0(VALU_DEP_3) | instskip(NEXT) | instid1(VALU_DEP_2)
	v_fma_f64 v[50:51], -v[42:43], v[46:47], 0.5
	v_fma_f64 v[54:55], -v[44:45], v[48:49], 0.5
	s_delay_alu instid0(VALU_DEP_2) | instskip(SKIP_1) | instid1(VALU_DEP_3)
	v_fmac_f64_e32 v[46:47], v[46:47], v[50:51]
	v_fmac_f64_e32 v[42:43], v[42:43], v[50:51]
	;; [unrolled: 1-line block ×3, first 2 shown]
	s_delay_alu instid0(VALU_DEP_3) | instskip(SKIP_1) | instid1(VALU_DEP_3)
	v_fma_f64 v[50:51], -v[46:47], v[46:47], v[20:21]
	v_fmac_f64_e32 v[44:45], v[44:45], v[54:55]
	v_fma_f64 v[54:55], -v[48:49], v[48:49], v[14:15]
	s_delay_alu instid0(VALU_DEP_3) | instskip(NEXT) | instid1(VALU_DEP_2)
	v_fmac_f64_e32 v[46:47], v[50:51], v[42:43]
	v_fmac_f64_e32 v[48:49], v[54:55], v[44:45]
	s_delay_alu instid0(VALU_DEP_2) | instskip(NEXT) | instid1(VALU_DEP_2)
	v_fma_f64 v[50:51], -v[46:47], v[46:47], v[20:21]
	v_fma_f64 v[54:55], -v[48:49], v[48:49], v[14:15]
	s_delay_alu instid0(VALU_DEP_2) | instskip(NEXT) | instid1(VALU_DEP_2)
	v_fmac_f64_e32 v[46:47], v[50:51], v[42:43]
	v_fmac_f64_e32 v[48:49], v[54:55], v[44:45]
	v_cndmask_b32_e64 v44, 0, 0xffffff80, vcc_lo
	s_delay_alu instid0(VALU_DEP_3) | instskip(SKIP_2) | instid1(VALU_DEP_4)
	v_ldexp_f64 v[42:43], v[46:47], v1
	v_cmp_class_f64_e64 vcc_lo, v[20:21], 0x260
	v_mov_b64_e32 v[54:55], 1.0
	v_ldexp_f64 v[44:45], v[48:49], v44
	s_delay_alu instid0(VALU_DEP_4) | instskip(NEXT) | instid1(VALU_DEP_2)
	v_dual_cndmask_b32 v21, v43, v21 :: v_dual_cndmask_b32 v20, v42, v20
	v_dual_cndmask_b32 v15, v45, v15, s3 :: v_dual_cndmask_b32 v14, v44, v14, s3
	s_delay_alu instid0(VALU_DEP_1)
	v_mul_f64_e32 v[56:57], v[20:21], v[14:15]
.LBB42_157:                             ;   in Loop: Header=BB42_5 Depth=1
	s_or_b32 exec_lo, exec_lo, s44
	s_delay_alu instid0(SALU_CYCLE_1)
	s_mov_b32 s3, exec_lo
.LBB42_158:                             ;   in Loop: Header=BB42_5 Depth=1
	s_or_b32 exec_lo, exec_lo, s43
                                        ; implicit-def: $vgpr42_vgpr43
.LBB42_159:                             ;   in Loop: Header=BB42_5 Depth=1
	s_and_not1_saveexec_b32 s4, s4
	s_cbranch_execz .LBB42_161
; %bb.160:                              ;   in Loop: Header=BB42_5 Depth=1
	v_ldexp_f64 v[56:57], v[42:43], 53
	v_ldexp_f64 v[54:55], |v[18:19]|, 53
	s_or_b32 s3, s3, exec_lo
                                        ; implicit-def: $vgpr52_vgpr53
.LBB42_161:                             ;   in Loop: Header=BB42_5 Depth=1
	s_or_b32 exec_lo, exec_lo, s4
	s_xor_b32 s3, s3, -1
	v_cmp_lt_i64_e32 vcc_lo, -1, v[18:19]
	s_and_saveexec_b32 s4, s3
	s_delay_alu instid0(SALU_CYCLE_1)
	s_xor_b32 s4, exec_lo, s4
	s_cbranch_execz .LBB42_171
; %bb.162:                              ;   in Loop: Header=BB42_5 Depth=1
	s_and_saveexec_b32 s3, vcc_lo
	s_delay_alu instid0(SALU_CYCLE_1)
	s_xor_b32 s43, exec_lo, s3
	s_cbranch_execz .LBB42_166
; %bb.163:                              ;   in Loop: Header=BB42_5 Depth=1
	v_fma_f64 v[20:21], |v[52:53]|, -0.5, 0.5
	v_mul_f64_e32 v[14:15], v[52:53], v[52:53]
	v_cmp_ge_f64_e64 s3, |v[52:53]|, 0.5
	s_delay_alu instid0(VALU_DEP_1) | instskip(NEXT) | instid1(VALU_DEP_1)
	v_dual_cndmask_b32 v15, v15, v21, s3 :: v_dual_cndmask_b32 v14, v14, v20, s3
	v_fmamk_f64 v[18:19], v[14:15], 0x3fa059859fea6a70, v[32:33]
	s_delay_alu instid0(VALU_DEP_1) | instskip(NEXT) | instid1(VALU_DEP_1)
	v_fmaak_f64 v[18:19], v[14:15], v[18:19], 0x3f94052137024d6a
	v_fmaak_f64 v[18:19], v[14:15], v[18:19], 0x3f7ab3a098a70509
	s_delay_alu instid0(VALU_DEP_1) | instskip(NEXT) | instid1(VALU_DEP_1)
	v_fmaak_f64 v[18:19], v[14:15], v[18:19], 0x3f88ed60a300c8d2
	v_fmaak_f64 v[18:19], v[14:15], v[18:19], 0x3f8c6fa84b77012b
	;; [unrolled: 3-line block ×5, first 2 shown]
	s_delay_alu instid0(VALU_DEP_1) | instskip(NEXT) | instid1(VALU_DEP_1)
	v_mul_f64_e32 v[18:19], v[14:15], v[18:19]
	v_fma_f64 v[14:15], v[52:53], v[18:19], v[52:53]
	s_delay_alu instid0(VALU_DEP_1)
	v_fma_f64 v[14:15], s[22:23], s[20:21], -v[14:15]
	s_and_saveexec_b32 s44, s3
	s_cbranch_execz .LBB42_165
; %bb.164:                              ;   in Loop: Header=BB42_5 Depth=1
	v_rsq_f64_e32 v[14:15], v[20:21]
	v_cmp_eq_f64_e64 s3, 0, v[20:21]
	s_delay_alu instid0(TRANS32_DEP_1) | instskip(SKIP_1) | instid1(VALU_DEP_1)
	v_mul_f64_e32 v[42:43], v[20:21], v[14:15]
	v_mul_f64_e32 v[14:15], 0.5, v[14:15]
	v_fma_f64 v[44:45], -v[14:15], v[42:43], 0.5
	s_delay_alu instid0(VALU_DEP_1) | instskip(SKIP_1) | instid1(VALU_DEP_2)
	v_fmac_f64_e32 v[42:43], v[42:43], v[44:45]
	v_fmac_f64_e32 v[14:15], v[14:15], v[44:45]
	v_fma_f64 v[44:45], -v[42:43], v[42:43], v[20:21]
	s_delay_alu instid0(VALU_DEP_1) | instskip(NEXT) | instid1(VALU_DEP_1)
	v_fmac_f64_e32 v[42:43], v[44:45], v[14:15]
	v_dual_cndmask_b32 v15, v43, v21, s3 :: v_dual_cndmask_b32 v14, v42, v20, s3
	s_delay_alu instid0(VALU_DEP_1) | instskip(SKIP_1) | instid1(VALU_DEP_2)
	v_add_f64_e32 v[42:43], v[14:15], v[14:15]
	v_mul_f64_e32 v[44:45], v[14:15], v[14:15]
	v_rcp_f64_e32 v[46:47], v[42:43]
	s_delay_alu instid0(VALU_DEP_1) | instskip(SKIP_1) | instid1(VALU_DEP_2)
	v_add_f64_e64 v[48:49], v[20:21], -v[44:45]
	v_fma_f64 v[54:55], v[14:15], v[14:15], -v[44:45]
	v_add_f64_e64 v[20:21], v[20:21], -v[48:49]
	s_delay_alu instid0(TRANS32_DEP_1) | instskip(NEXT) | instid1(VALU_DEP_2)
	v_fma_f64 v[50:51], -v[42:43], v[46:47], 1.0
	v_add_f64_e64 v[20:21], v[20:21], -v[44:45]
	s_delay_alu instid0(VALU_DEP_2) | instskip(NEXT) | instid1(VALU_DEP_2)
	v_fmac_f64_e32 v[46:47], v[50:51], v[46:47]
	v_add_f64_e64 v[20:21], v[20:21], -v[54:55]
	s_delay_alu instid0(VALU_DEP_2) | instskip(NEXT) | instid1(VALU_DEP_2)
	v_fma_f64 v[44:45], -v[42:43], v[46:47], 1.0
	v_add_f64_e32 v[20:21], v[48:49], v[20:21]
	s_delay_alu instid0(VALU_DEP_2) | instskip(NEXT) | instid1(VALU_DEP_1)
	v_fmac_f64_e32 v[46:47], v[44:45], v[46:47]
	v_mul_f64_e32 v[44:45], v[20:21], v[46:47]
	s_delay_alu instid0(VALU_DEP_1) | instskip(NEXT) | instid1(VALU_DEP_1)
	v_fma_f64 v[20:21], -v[42:43], v[44:45], v[20:21]
	v_fmac_f64_e32 v[44:45], v[20:21], v[46:47]
	s_delay_alu instid0(VALU_DEP_1) | instskip(NEXT) | instid1(VALU_DEP_2)
	v_cndmask_b32_e64 v21, v45, 0, s3
	v_cndmask_b32_e64 v20, v44, 0, s3
	v_cmp_neq_f64_e64 s3, 1.0, v[52:53]
	s_delay_alu instid0(VALU_DEP_2) | instskip(NEXT) | instid1(VALU_DEP_1)
	v_add_f64_e32 v[42:43], v[14:15], v[20:21]
	v_add_f64_e64 v[14:15], v[42:43], -v[14:15]
	s_delay_alu instid0(VALU_DEP_1) | instskip(NEXT) | instid1(VALU_DEP_1)
	v_add_f64_e64 v[14:15], v[20:21], -v[14:15]
	v_fmac_f64_e32 v[14:15], v[42:43], v[18:19]
	s_delay_alu instid0(VALU_DEP_1) | instskip(NEXT) | instid1(VALU_DEP_1)
	v_add_f64_e32 v[14:15], v[42:43], v[14:15]
	v_add_f64_e32 v[14:15], v[14:15], v[14:15]
	s_delay_alu instid0(VALU_DEP_1)
	v_dual_cndmask_b32 v15, 0, v15, s3 :: v_dual_cndmask_b32 v14, 0, v14, s3
.LBB42_165:                             ;   in Loop: Header=BB42_5 Depth=1
	s_or_b32 exec_lo, exec_lo, s44
                                        ; implicit-def: $vgpr52_vgpr53
.LBB42_166:                             ;   in Loop: Header=BB42_5 Depth=1
	s_and_not1_saveexec_b32 s43, s43
	s_cbranch_execz .LBB42_170
; %bb.167:                              ;   in Loop: Header=BB42_5 Depth=1
	v_fma_f64 v[20:21], |v[52:53]|, -0.5, 0.5
	v_mul_f64_e32 v[14:15], v[52:53], v[52:53]
	v_cmp_ge_f64_e64 s3, |v[52:53]|, 0.5
	s_delay_alu instid0(VALU_DEP_1) | instskip(NEXT) | instid1(VALU_DEP_1)
	v_dual_cndmask_b32 v15, v15, v21, s3 :: v_dual_cndmask_b32 v14, v14, v20, s3
	v_fmamk_f64 v[18:19], v[14:15], 0x3fa059859fea6a70, v[32:33]
	s_delay_alu instid0(VALU_DEP_1) | instskip(NEXT) | instid1(VALU_DEP_1)
	v_fmaak_f64 v[18:19], v[14:15], v[18:19], 0x3f94052137024d6a
	v_fmaak_f64 v[18:19], v[14:15], v[18:19], 0x3f7ab3a098a70509
	s_delay_alu instid0(VALU_DEP_1) | instskip(NEXT) | instid1(VALU_DEP_1)
	v_fmaak_f64 v[18:19], v[14:15], v[18:19], 0x3f88ed60a300c8d2
	v_fmaak_f64 v[18:19], v[14:15], v[18:19], 0x3f8c6fa84b77012b
	;; [unrolled: 3-line block ×5, first 2 shown]
	s_delay_alu instid0(VALU_DEP_1) | instskip(NEXT) | instid1(VALU_DEP_1)
	v_mul_f64_e32 v[18:19], v[14:15], v[18:19]
	v_fma_f64 v[14:15], -v[52:53], v[18:19], -v[52:53]
	s_delay_alu instid0(VALU_DEP_1)
	v_fma_f64 v[14:15], s[22:23], s[20:21], -v[14:15]
	s_and_saveexec_b32 s44, s3
	s_cbranch_execz .LBB42_169
; %bb.168:                              ;   in Loop: Header=BB42_5 Depth=1
	v_rsq_f64_e32 v[14:15], v[20:21]
	v_cmp_eq_f64_e64 s3, 0, v[20:21]
	s_delay_alu instid0(TRANS32_DEP_1) | instskip(SKIP_1) | instid1(VALU_DEP_1)
	v_mul_f64_e32 v[42:43], v[20:21], v[14:15]
	v_mul_f64_e32 v[14:15], 0.5, v[14:15]
	v_fma_f64 v[44:45], -v[14:15], v[42:43], 0.5
	s_delay_alu instid0(VALU_DEP_1) | instskip(SKIP_1) | instid1(VALU_DEP_2)
	v_fmac_f64_e32 v[42:43], v[42:43], v[44:45]
	v_fmac_f64_e32 v[14:15], v[14:15], v[44:45]
	v_fma_f64 v[44:45], -v[42:43], v[42:43], v[20:21]
	s_delay_alu instid0(VALU_DEP_1) | instskip(NEXT) | instid1(VALU_DEP_1)
	v_fmac_f64_e32 v[42:43], v[44:45], v[14:15]
	v_dual_cndmask_b32 v15, v43, v21, s3 :: v_dual_cndmask_b32 v14, v42, v20, s3
	s_delay_alu instid0(VALU_DEP_1) | instskip(SKIP_1) | instid1(VALU_DEP_2)
	v_add_f64_e32 v[42:43], v[14:15], v[14:15]
	v_mul_f64_e32 v[44:45], v[14:15], v[14:15]
	v_rcp_f64_e32 v[46:47], v[42:43]
	s_delay_alu instid0(VALU_DEP_1) | instskip(SKIP_1) | instid1(VALU_DEP_2)
	v_add_f64_e64 v[48:49], v[20:21], -v[44:45]
	v_fma_f64 v[54:55], v[14:15], v[14:15], -v[44:45]
	v_add_f64_e64 v[20:21], v[20:21], -v[48:49]
	s_delay_alu instid0(TRANS32_DEP_1) | instskip(NEXT) | instid1(VALU_DEP_2)
	v_fma_f64 v[50:51], -v[42:43], v[46:47], 1.0
	v_add_f64_e64 v[20:21], v[20:21], -v[44:45]
	s_delay_alu instid0(VALU_DEP_2) | instskip(NEXT) | instid1(VALU_DEP_2)
	v_fmac_f64_e32 v[46:47], v[50:51], v[46:47]
	v_add_f64_e64 v[20:21], v[20:21], -v[54:55]
	s_delay_alu instid0(VALU_DEP_2) | instskip(NEXT) | instid1(VALU_DEP_2)
	v_fma_f64 v[44:45], -v[42:43], v[46:47], 1.0
	v_add_f64_e32 v[20:21], v[48:49], v[20:21]
	s_delay_alu instid0(VALU_DEP_2) | instskip(NEXT) | instid1(VALU_DEP_1)
	v_fmac_f64_e32 v[46:47], v[44:45], v[46:47]
	v_mul_f64_e32 v[44:45], v[20:21], v[46:47]
	s_delay_alu instid0(VALU_DEP_1) | instskip(NEXT) | instid1(VALU_DEP_1)
	v_fma_f64 v[20:21], -v[42:43], v[44:45], v[20:21]
	v_fmac_f64_e32 v[44:45], v[20:21], v[46:47]
	s_delay_alu instid0(VALU_DEP_1) | instskip(NEXT) | instid1(VALU_DEP_2)
	v_cndmask_b32_e64 v21, v45, 0, s3
	v_cndmask_b32_e64 v20, v44, 0, s3
	v_cmp_lt_f64_e64 s3, 0, v[52:53]
	s_delay_alu instid0(VALU_DEP_2) | instskip(NEXT) | instid1(VALU_DEP_1)
	v_add_f64_e32 v[42:43], v[14:15], v[20:21]
	v_add_f64_e64 v[14:15], v[42:43], -v[14:15]
	s_delay_alu instid0(VALU_DEP_1) | instskip(SKIP_1) | instid1(VALU_DEP_2)
	v_add_f64_e64 v[14:15], v[20:21], -v[14:15]
	v_fma_f64 v[20:21], v[42:43], v[18:19], v[42:43]
	v_fmac_f64_e32 v[14:15], v[42:43], v[18:19]
	s_delay_alu instid0(VALU_DEP_2) | instskip(NEXT) | instid1(VALU_DEP_2)
	v_mul_f64_e32 v[18:19], -2.0, v[20:21]
	v_add_f64_e32 v[14:15], v[42:43], v[14:15]
	s_delay_alu instid0(VALU_DEP_2) | instskip(NEXT) | instid1(VALU_DEP_2)
	v_fmac_f64_e64 v[18:19], s[24:25], s[20:21]
	v_add_f64_e32 v[14:15], v[14:15], v[14:15]
	s_delay_alu instid0(VALU_DEP_1) | instskip(SKIP_1) | instid1(VALU_DEP_1)
	v_dual_cndmask_b32 v1, v14, v18, s3 :: v_dual_cndmask_b32 v14, v15, v19, s3
	v_cmp_neq_f64_e64 s3, 1.0, v[52:53]
	v_cndmask_b32_e64 v15, 0x400921fb, v14, s3
	s_delay_alu instid0(VALU_DEP_3)
	v_cndmask_b32_e64 v14, 0x54442d18, v1, s3
.LBB42_169:                             ;   in Loop: Header=BB42_5 Depth=1
	s_or_b32 exec_lo, exec_lo, s44
.LBB42_170:                             ;   in Loop: Header=BB42_5 Depth=1
	s_delay_alu instid0(SALU_CYCLE_1)
	s_or_b32 exec_lo, exec_lo, s43
                                        ; implicit-def: $vgpr54_vgpr55
                                        ; implicit-def: $vgpr56_vgpr57
.LBB42_171:                             ;   in Loop: Header=BB42_5 Depth=1
	s_and_not1_saveexec_b32 s43, s4
	s_cbranch_execz .LBB42_177
; %bb.172:                              ;   in Loop: Header=BB42_5 Depth=1
	s_and_saveexec_b32 s3, vcc_lo
	s_delay_alu instid0(SALU_CYCLE_1)
	s_xor_b32 s44, exec_lo, s3
	s_cbranch_execz .LBB42_174
; %bb.173:                              ;   in Loop: Header=BB42_5 Depth=1
	s_delay_alu instid0(VALU_DEP_2) | instskip(NEXT) | instid1(VALU_DEP_3)
	v_max_num_f64_e64 v[14:15], |v[56:57]|, |v[56:57]|
	v_max_num_f64_e32 v[18:19], v[54:55], v[54:55]
	v_cmp_eq_f64_e64 s3, 0, v[56:57]
	v_cmp_class_f64_e64 s45, v[56:57], 0x204
	v_cmp_eq_f64_e64 s4, 0x7ff00000, v[54:55]
	v_ashrrev_i32_e32 v1, 31, v55
	v_max_num_f64_e32 v[20:21], v[18:19], v[14:15]
	v_min_num_f64_e32 v[14:15], v[18:19], v[14:15]
	s_delay_alu instid0(VALU_DEP_1) | instskip(SKIP_1) | instid1(VALU_DEP_2)
	v_div_scale_f64 v[18:19], null, v[20:21], v[20:21], v[14:15]
	v_div_scale_f64 v[46:47], vcc_lo, v[14:15], v[20:21], v[14:15]
	v_rcp_f64_e32 v[42:43], v[18:19]
	v_nop
	s_delay_alu instid0(TRANS32_DEP_1) | instskip(NEXT) | instid1(VALU_DEP_1)
	v_fma_f64 v[44:45], -v[18:19], v[42:43], 1.0
	v_fmac_f64_e32 v[42:43], v[42:43], v[44:45]
	s_delay_alu instid0(VALU_DEP_1) | instskip(NEXT) | instid1(VALU_DEP_1)
	v_fma_f64 v[44:45], -v[18:19], v[42:43], 1.0
	v_fmac_f64_e32 v[42:43], v[42:43], v[44:45]
	s_delay_alu instid0(VALU_DEP_1) | instskip(NEXT) | instid1(VALU_DEP_1)
	v_mul_f64_e32 v[44:45], v[46:47], v[42:43]
	v_fma_f64 v[18:19], -v[18:19], v[44:45], v[46:47]
	s_delay_alu instid0(VALU_DEP_1) | instskip(SKIP_1) | instid1(VALU_DEP_2)
	v_div_fmas_f64 v[18:19], v[18:19], v[42:43], v[44:45]
	v_cmp_lt_f64_e64 vcc_lo, v[54:55], |v[56:57]|
	v_div_fixup_f64 v[14:15], v[18:19], v[20:21], v[14:15]
	s_delay_alu instid0(VALU_DEP_1) | instskip(NEXT) | instid1(VALU_DEP_1)
	v_mul_f64_e32 v[18:19], v[14:15], v[14:15]
	v_fmamk_f64 v[20:21], v[18:19], 0x3eeba404b5e68a13, v[36:37]
	s_delay_alu instid0(VALU_DEP_1) | instskip(NEXT) | instid1(VALU_DEP_1)
	v_fmaak_f64 v[20:21], v[18:19], v[20:21], 0x3f4b2bb069efb384
	v_fmaak_f64 v[20:21], v[18:19], v[20:21], 0xbf67952daf56de9b
	s_delay_alu instid0(VALU_DEP_1) | instskip(NEXT) | instid1(VALU_DEP_1)
	v_fmaak_f64 v[20:21], v[18:19], v[20:21], 0x3f7d6d43a595c56f
	v_fmaak_f64 v[20:21], v[18:19], v[20:21], 0xbf8c6ea4a57d9582
	;; [unrolled: 3-line block ×9, first 2 shown]
	s_delay_alu instid0(VALU_DEP_1) | instskip(SKIP_2) | instid1(VALU_DEP_3)
	v_mul_f64_e32 v[18:19], v[18:19], v[20:21]
	v_and_b32_e32 v21, 0x54442d18, v1
	v_and_b32_e32 v1, 0x400921fb, v1
	v_fmac_f64_e32 v[14:15], v[14:15], v[18:19]
	s_delay_alu instid0(VALU_DEP_1) | instskip(NEXT) | instid1(VALU_DEP_1)
	v_add_f64_e64 v[18:19], -v[14:15], s[26:27]
	v_dual_cndmask_b32 v15, v15, v19 :: v_dual_cndmask_b32 v14, v14, v18
	v_cmp_gt_i32_e32 vcc_lo, 0, v55
                                        ; implicit-def: $vgpr54_vgpr55
	s_delay_alu instid0(VALU_DEP_2) | instskip(SKIP_1) | instid1(VALU_DEP_2)
	v_add_f64_e64 v[18:19], -v[14:15], s[28:29]
	v_cndmask_b32_e32 v20, 0x54442d18, v59, vcc_lo
	v_dual_cndmask_b32 v14, v14, v18 :: v_dual_cndmask_b32 v15, v15, v19
	v_cndmask_b32_e32 v18, 0x3fe921fb, v60, vcc_lo
	s_and_b32 vcc_lo, s4, s45
	s_delay_alu instid0(VALU_DEP_2) | instskip(NEXT) | instid1(VALU_DEP_1)
	v_cndmask_b32_e64 v1, v15, v1, s3
	v_dual_cndmask_b32 v14, v14, v21, s3 :: v_dual_cndmask_b32 v1, v1, v18, vcc_lo
	s_delay_alu instid0(VALU_DEP_1) | instskip(SKIP_1) | instid1(VALU_DEP_3)
	v_cndmask_b32_e32 v14, v14, v20, vcc_lo
	v_cmp_o_f64_e32 vcc_lo, v[56:57], v[56:57]
	v_cndmask_b32_e32 v1, 0x7ff80000, v1, vcc_lo
	s_delay_alu instid0(VALU_DEP_3) | instskip(NEXT) | instid1(VALU_DEP_2)
	v_cndmask_b32_e32 v14, 0, v14, vcc_lo
	v_bfi_b32 v15, 0x7fffffff, v1, v57
                                        ; implicit-def: $vgpr56_vgpr57
.LBB42_174:                             ;   in Loop: Header=BB42_5 Depth=1
	s_and_not1_saveexec_b32 s44, s44
	s_cbranch_execz .LBB42_176
; %bb.175:                              ;   in Loop: Header=BB42_5 Depth=1
	s_delay_alu instid0(VALU_DEP_2) | instskip(NEXT) | instid1(VALU_DEP_3)
	v_max_num_f64_e64 v[14:15], |v[56:57]|, |v[56:57]|
	v_xor_b32_e32 v1, 0x80000000, v55
	s_delay_alu instid0(VALU_DEP_4) | instskip(SKIP_3) | instid1(VALU_DEP_4)
	v_max_num_f64_e32 v[18:19], v[54:55], v[54:55]
	v_cmp_eq_f64_e64 s3, 0, v[56:57]
	v_cmp_class_f64_e64 s45, v[56:57], 0x204
	v_cmp_eq_f64_e64 s4, 0x7ff00000, v[54:55]
	v_max_num_f64_e32 v[20:21], v[18:19], v[14:15]
	v_min_num_f64_e32 v[14:15], v[18:19], v[14:15]
	s_delay_alu instid0(VALU_DEP_1) | instskip(SKIP_1) | instid1(VALU_DEP_2)
	v_div_scale_f64 v[18:19], null, v[20:21], v[20:21], v[14:15]
	v_div_scale_f64 v[46:47], vcc_lo, v[14:15], v[20:21], v[14:15]
	v_rcp_f64_e32 v[42:43], v[18:19]
	v_nop
	s_delay_alu instid0(TRANS32_DEP_1) | instskip(NEXT) | instid1(VALU_DEP_1)
	v_fma_f64 v[44:45], -v[18:19], v[42:43], 1.0
	v_fmac_f64_e32 v[42:43], v[42:43], v[44:45]
	s_delay_alu instid0(VALU_DEP_1) | instskip(NEXT) | instid1(VALU_DEP_1)
	v_fma_f64 v[44:45], -v[18:19], v[42:43], 1.0
	v_fmac_f64_e32 v[42:43], v[42:43], v[44:45]
	s_delay_alu instid0(VALU_DEP_1) | instskip(NEXT) | instid1(VALU_DEP_1)
	v_mul_f64_e32 v[44:45], v[46:47], v[42:43]
	v_fma_f64 v[18:19], -v[18:19], v[44:45], v[46:47]
	s_delay_alu instid0(VALU_DEP_1) | instskip(SKIP_1) | instid1(VALU_DEP_2)
	v_div_fmas_f64 v[18:19], v[18:19], v[42:43], v[44:45]
	v_cmp_lt_f64_e64 vcc_lo, v[54:55], |v[56:57]|
	v_div_fixup_f64 v[14:15], v[18:19], v[20:21], v[14:15]
	s_delay_alu instid0(VALU_DEP_1) | instskip(NEXT) | instid1(VALU_DEP_1)
	v_mul_f64_e32 v[18:19], v[14:15], v[14:15]
	v_fmamk_f64 v[20:21], v[18:19], 0x3eeba404b5e68a13, v[36:37]
	s_delay_alu instid0(VALU_DEP_1) | instskip(NEXT) | instid1(VALU_DEP_1)
	v_fmaak_f64 v[20:21], v[18:19], v[20:21], 0x3f4b2bb069efb384
	v_fmaak_f64 v[20:21], v[18:19], v[20:21], 0xbf67952daf56de9b
	s_delay_alu instid0(VALU_DEP_1) | instskip(NEXT) | instid1(VALU_DEP_1)
	v_fmaak_f64 v[20:21], v[18:19], v[20:21], 0x3f7d6d43a595c56f
	v_fmaak_f64 v[20:21], v[18:19], v[20:21], 0xbf8c6ea4a57d9582
	;; [unrolled: 3-line block ×9, first 2 shown]
	s_delay_alu instid0(VALU_DEP_1) | instskip(SKIP_1) | instid1(VALU_DEP_1)
	v_mul_f64_e32 v[18:19], v[18:19], v[20:21]
	v_ashrrev_i32_e32 v20, 31, v1
	v_and_b32_e32 v21, 0x54442d18, v20
	s_delay_alu instid0(VALU_DEP_3) | instskip(NEXT) | instid1(VALU_DEP_1)
	v_fmac_f64_e32 v[14:15], v[14:15], v[18:19]
	v_add_f64_e64 v[18:19], -v[14:15], s[26:27]
	s_delay_alu instid0(VALU_DEP_1) | instskip(SKIP_1) | instid1(VALU_DEP_2)
	v_dual_cndmask_b32 v15, v15, v19 :: v_dual_cndmask_b32 v14, v14, v18
	v_cmp_gt_i32_e32 vcc_lo, 0, v1
	v_add_f64_e64 v[18:19], -v[14:15], s[28:29]
	v_cndmask_b32_e32 v1, 0x54442d18, v59, vcc_lo
	s_delay_alu instid0(VALU_DEP_2) | instskip(SKIP_3) | instid1(VALU_DEP_2)
	v_dual_cndmask_b32 v14, v14, v18 :: v_dual_cndmask_b32 v15, v15, v19
	v_and_b32_e32 v18, 0x400921fb, v20
	v_cndmask_b32_e32 v19, 0x3fe921fb, v60, vcc_lo
	s_and_b32 vcc_lo, s4, s45
	v_dual_cndmask_b32 v14, v14, v21, s3 :: v_dual_cndmask_b32 v15, v15, v18, s3
	s_delay_alu instid0(VALU_DEP_1) | instskip(SKIP_1) | instid1(VALU_DEP_2)
	v_dual_cndmask_b32 v1, v14, v1, vcc_lo :: v_dual_cndmask_b32 v15, v15, v19, vcc_lo
	v_cmp_o_f64_e32 vcc_lo, v[56:57], v[56:57]
	v_cndmask_b32_e32 v14, 0, v1, vcc_lo
	s_delay_alu instid0(VALU_DEP_3) | instskip(NEXT) | instid1(VALU_DEP_1)
	v_cndmask_b32_e32 v1, 0x7ff80000, v15, vcc_lo
	v_bfi_b32 v15, 0x7fffffff, v1, v57
.LBB42_176:                             ;   in Loop: Header=BB42_5 Depth=1
	s_or_b32 exec_lo, exec_lo, s44
.LBB42_177:                             ;   in Loop: Header=BB42_5 Depth=1
	s_delay_alu instid0(SALU_CYCLE_1) | instskip(SKIP_1) | instid1(VALU_DEP_1)
	s_or_b32 exec_lo, exec_lo, s43
	v_xor_b32_e32 v1, 0x80000000, v17
                                        ; implicit-def: $vgpr18_vgpr19
	v_cndmask_b32_e64 v17, v1, v17, s2
.LBB42_178:                             ;   in Loop: Header=BB42_5 Depth=1
	s_and_not1_saveexec_b32 s3, s42
	s_cbranch_execz .LBB42_180
; %bb.179:                              ;   in Loop: Header=BB42_5 Depth=1
	flat_load_b64 v[14:15], v[26:27] scope:SCOPE_SYS
	s_wait_loadcnt_dscnt 0x0
	v_add_f64_e64 v[14:15], v[14:15], -v[18:19]
	s_delay_alu instid0(VALU_DEP_1)
	v_add_f64_e32 v[14:15], 0x3ff921fb54442d18, v[14:15]
.LBB42_180:                             ;   in Loop: Header=BB42_5 Depth=1
	s_or_b32 exec_lo, exec_lo, s3
.LBB42_181:                             ;   in Loop: Header=BB42_5 Depth=1
	s_and_not1_saveexec_b32 s3, s41
; %bb.182:                              ;   in Loop: Header=BB42_5 Depth=1
	v_mov_b64_e32 v[14:15], 0
; %bb.183:                              ;   in Loop: Header=BB42_5 Depth=1
	s_or_b32 exec_lo, exec_lo, s3
                                        ; implicit-def: $vgpr18_vgpr19
                                        ; implicit-def: $vgpr44_vgpr45
                                        ; implicit-def: $vgpr46_vgpr47
                                        ; implicit-def: $vgpr42_vgpr43
.LBB42_184:                             ;   in Loop: Header=BB42_5 Depth=1
	s_and_not1_saveexec_b32 s40, s40
	s_cbranch_execz .LBB42_194
; %bb.185:                              ;   in Loop: Header=BB42_5 Depth=1
	v_cmp_lt_f64_e64 s3, |v[18:19]|, |v[20:21]|
	s_wait_dscnt 0x0
	v_and_b32_e32 v1, 0x7fffffff, v19
	v_and_b32_e32 v50, 0x7fffffff, v21
                                        ; implicit-def: $sgpr41
                                        ; implicit-def: $vgpr16_vgpr17
                                        ; implicit-def: $vgpr14_vgpr15
	s_mov_b32 s4, exec_lo
	s_delay_alu instid0(VALU_DEP_1) | instskip(NEXT) | instid1(VALU_DEP_1)
	v_dual_cndmask_b32 v49, v1, v50, s3 :: v_dual_cndmask_b32 v48, v18, v20, s3
	v_cmpx_nlt_f64_e32 s[30:31], v[48:49]
	s_xor_b32 s42, exec_lo, s4
	s_cbranch_execz .LBB42_191
; %bb.186:                              ;   in Loop: Header=BB42_5 Depth=1
	v_dual_cndmask_b32 v51, v50, v1, s3 :: v_dual_cndmask_b32 v50, v20, v18, s3
	v_cmp_nlt_f64_e32 vcc_lo, 0x20200000, v[48:49]
                                        ; implicit-def: $sgpr41
                                        ; implicit-def: $vgpr16_vgpr17
                                        ; implicit-def: $vgpr14_vgpr15
	s_delay_alu instid0(VALU_DEP_2) | instskip(SKIP_1) | instid1(SALU_CYCLE_1)
	v_cmp_ngt_f64_e64 s4, 0x20000000, v[50:51]
	s_and_b32 s4, vcc_lo, s4
	s_and_saveexec_b32 s43, s4
	s_delay_alu instid0(SALU_CYCLE_1)
	s_xor_b32 s4, exec_lo, s43
	s_cbranch_execz .LBB42_188
; %bb.187:                              ;   in Loop: Header=BB42_5 Depth=1
	v_mul_f64_e32 v[16:17], v[50:51], v[50:51]
	v_min_num_f64_e32 v[44:45], v[44:45], v[46:47]
	v_cmp_class_f64_e64 s41, v[20:21], 0x204
	v_cmp_class_f64_e64 s43, v[18:19], 0x204
	s_delay_alu instid0(VALU_DEP_4) | instskip(SKIP_1) | instid1(VALU_DEP_1)
	v_fmac_f64_e32 v[16:17], v[48:49], v[48:49]
	s_and_b32 s41, s43, s41
	v_frexp_mant_f64_e32 v[14:15], v[16:17]
	s_delay_alu instid0(VALU_DEP_1) | instskip(SKIP_1) | instid1(VALU_DEP_1)
	v_cmp_gt_f64_e32 vcc_lo, s[14:15], v[14:15]
	v_cndmask_b32_e64 v1, 0, 1, vcc_lo
	v_ldexp_f64 v[14:15], v[14:15], v1
	v_frexp_exp_i32_f64_e32 v1, v[16:17]
	s_delay_alu instid0(VALU_DEP_2) | instskip(SKIP_1) | instid1(VALU_DEP_3)
	v_add_f64_e32 v[48:49], 1.0, v[14:15]
	v_add_f64_e32 v[54:55], -1.0, v[14:15]
	v_subrev_co_ci_u32_e64 v1, null, 0, v1, vcc_lo
	v_div_scale_f64 v[68:69], vcc_lo, v[44:45], v[42:43], v[44:45]
	s_delay_alu instid0(VALU_DEP_4) | instskip(SKIP_1) | instid1(VALU_DEP_1)
	v_rcp_f64_e32 v[50:51], v[48:49]
	v_add_f64_e32 v[56:57], -1.0, v[48:49]
	v_add_f64_e64 v[14:15], v[14:15], -v[56:57]
	s_delay_alu instid0(TRANS32_DEP_1) | instskip(NEXT) | instid1(VALU_DEP_1)
	v_fma_f64 v[52:53], -v[48:49], v[50:51], 1.0
	v_fmac_f64_e32 v[50:51], v[52:53], v[50:51]
	s_delay_alu instid0(VALU_DEP_1) | instskip(NEXT) | instid1(VALU_DEP_1)
	v_fma_f64 v[52:53], -v[48:49], v[50:51], 1.0
	v_fmac_f64_e32 v[50:51], v[52:53], v[50:51]
	s_delay_alu instid0(VALU_DEP_1) | instskip(NEXT) | instid1(VALU_DEP_1)
	v_mul_f64_e32 v[52:53], v[54:55], v[50:51]
	v_mul_f64_e32 v[62:63], v[48:49], v[52:53]
	s_delay_alu instid0(VALU_DEP_1) | instskip(NEXT) | instid1(VALU_DEP_1)
	v_fma_f64 v[48:49], v[52:53], v[48:49], -v[62:63]
	v_fmac_f64_e32 v[48:49], v[52:53], v[14:15]
	s_delay_alu instid0(VALU_DEP_1) | instskip(NEXT) | instid1(VALU_DEP_1)
	v_add_f64_e32 v[14:15], v[62:63], v[48:49]
	v_add_f64_e64 v[56:57], v[54:55], -v[14:15]
	v_add_f64_e64 v[62:63], v[14:15], -v[62:63]
	s_delay_alu instid0(VALU_DEP_2) | instskip(NEXT) | instid1(VALU_DEP_2)
	v_add_f64_e64 v[54:55], v[54:55], -v[56:57]
	v_add_f64_e64 v[48:49], v[62:63], -v[48:49]
	s_delay_alu instid0(VALU_DEP_2) | instskip(NEXT) | instid1(VALU_DEP_1)
	v_add_f64_e64 v[14:15], v[54:55], -v[14:15]
	v_add_f64_e32 v[14:15], v[48:49], v[14:15]
	s_delay_alu instid0(VALU_DEP_1) | instskip(NEXT) | instid1(VALU_DEP_1)
	v_add_f64_e32 v[14:15], v[56:57], v[14:15]
	v_mul_f64_e32 v[14:15], v[50:51], v[14:15]
	s_delay_alu instid0(VALU_DEP_1) | instskip(NEXT) | instid1(VALU_DEP_1)
	v_add_f64_e32 v[48:49], v[52:53], v[14:15]
	v_mul_f64_e32 v[50:51], v[48:49], v[48:49]
	v_ldexp_f64 v[46:47], v[48:49], 1
	s_delay_alu instid0(VALU_DEP_2) | instskip(SKIP_2) | instid1(VALU_DEP_3)
	v_fmamk_f64 v[54:55], v[50:51], 0x3fc3ab76bf559e2b, v[28:29]
	v_mul_f64_e32 v[56:57], v[48:49], v[50:51]
	v_add_f64_e64 v[48:49], v[48:49], -v[52:53]
	v_fmaak_f64 v[54:55], v[50:51], v[54:55], 0x3fc7474dd7f4df2e
	s_delay_alu instid0(VALU_DEP_1) | instskip(NEXT) | instid1(VALU_DEP_1)
	v_fmaak_f64 v[54:55], v[50:51], v[54:55], 0x3fcc71c016291751
	v_fmaak_f64 v[54:55], v[50:51], v[54:55], 0x3fd249249b27acf1
	s_delay_alu instid0(VALU_DEP_1) | instskip(SKIP_1) | instid1(VALU_DEP_2)
	v_fmaak_f64 v[54:55], v[50:51], v[54:55], 0x3fd99999998ef7b6
	v_add_f64_e64 v[14:15], v[14:15], -v[48:49]
	v_fmaak_f64 v[50:51], v[50:51], v[54:55], 0x3fe5555555555780
	v_div_scale_f64 v[54:55], null, v[42:43], v[42:43], v[44:45]
	s_delay_alu instid0(VALU_DEP_2) | instskip(SKIP_2) | instid1(VALU_DEP_4)
	v_mul_f64_e32 v[50:51], v[56:57], v[50:51]
	v_cvt_f64_i32_e32 v[56:57], v1
	v_ldexp_f64 v[14:15], v[14:15], 1
	v_rcp_f64_e32 v[62:63], v[54:55]
	s_delay_alu instid0(VALU_DEP_3) | instskip(NEXT) | instid1(VALU_DEP_3)
	v_add_f64_e32 v[52:53], v[46:47], v[50:51]
	v_mul_f64_e32 v[64:65], 0x3fe62e42fefa39ef, v[56:57]
	s_delay_alu instid0(VALU_DEP_2) | instskip(NEXT) | instid1(VALU_DEP_2)
	v_add_f64_e64 v[46:47], v[52:53], -v[46:47]
	v_fma_f64 v[48:49], v[56:57], s[16:17], -v[64:65]
	s_delay_alu instid0(VALU_DEP_2) | instskip(NEXT) | instid1(TRANS32_DEP_1)
	v_add_f64_e64 v[46:47], v[50:51], -v[46:47]
	v_fma_f64 v[50:51], -v[54:55], v[62:63], 1.0
	s_delay_alu instid0(VALU_DEP_3) | instskip(NEXT) | instid1(VALU_DEP_3)
	v_fmac_f64_e32 v[48:49], 0x3c7abc9e3b39803f, v[56:57]
	v_add_f64_e32 v[14:15], v[14:15], v[46:47]
	s_delay_alu instid0(VALU_DEP_3) | instskip(NEXT) | instid1(VALU_DEP_3)
	v_fmac_f64_e32 v[62:63], v[62:63], v[50:51]
	v_add_f64_e32 v[46:47], v[64:65], v[48:49]
	s_delay_alu instid0(VALU_DEP_3) | instskip(NEXT) | instid1(VALU_DEP_3)
	v_add_f64_e32 v[50:51], v[52:53], v[14:15]
	v_fma_f64 v[56:57], -v[54:55], v[62:63], 1.0
	s_delay_alu instid0(VALU_DEP_3) | instskip(NEXT) | instid1(VALU_DEP_3)
	v_add_f64_e64 v[64:65], v[46:47], -v[64:65]
	v_add_f64_e32 v[66:67], v[46:47], v[50:51]
	s_delay_alu instid0(VALU_DEP_3) | instskip(SKIP_1) | instid1(VALU_DEP_4)
	v_fmac_f64_e32 v[62:63], v[62:63], v[56:57]
	v_add_f64_e64 v[52:53], v[50:51], -v[52:53]
	v_add_f64_e64 v[48:49], v[48:49], -v[64:65]
	s_delay_alu instid0(VALU_DEP_4) | instskip(NEXT) | instid1(VALU_DEP_4)
	v_add_f64_e64 v[56:57], v[66:67], -v[46:47]
	v_mul_f64_e32 v[70:71], v[68:69], v[62:63]
	s_delay_alu instid0(VALU_DEP_4) | instskip(NEXT) | instid1(VALU_DEP_3)
	v_add_f64_e64 v[52:53], v[14:15], -v[52:53]
	v_add_f64_e64 v[72:73], v[66:67], -v[56:57]
	s_delay_alu instid0(VALU_DEP_3) | instskip(SKIP_1) | instid1(VALU_DEP_3)
	v_fma_f64 v[54:55], -v[54:55], v[70:71], v[68:69]
	v_add_f64_e64 v[14:15], v[50:51], -v[56:57]
	v_add_f64_e64 v[46:47], v[46:47], -v[72:73]
	s_delay_alu instid0(VALU_DEP_3) | instskip(SKIP_2) | instid1(VALU_DEP_4)
	v_div_fmas_f64 v[50:51], v[54:55], v[62:63], v[70:71]
	v_add_f64_e32 v[54:55], v[48:49], v[52:53]
	v_cmp_class_f64_e64 vcc_lo, v[16:17], 0x204
	v_add_f64_e32 v[46:47], v[14:15], v[46:47]
	s_delay_alu instid0(VALU_DEP_4) | instskip(NEXT) | instid1(VALU_DEP_4)
	v_div_fixup_f64 v[14:15], v[50:51], v[42:43], v[44:45]
	v_add_f64_e64 v[42:43], v[54:55], -v[48:49]
	s_delay_alu instid0(VALU_DEP_3) | instskip(NEXT) | instid1(VALU_DEP_3)
	v_add_f64_e32 v[44:45], v[54:55], v[46:47]
	v_mul_f64_e32 v[46:47], v[14:15], v[14:15]
	s_delay_alu instid0(VALU_DEP_3) | instskip(SKIP_1) | instid1(VALU_DEP_4)
	v_add_f64_e64 v[50:51], v[54:55], -v[42:43]
	v_add_f64_e64 v[42:43], v[52:53], -v[42:43]
	v_add_f64_e32 v[54:55], v[66:67], v[44:45]
	s_delay_alu instid0(VALU_DEP_4) | instskip(NEXT) | instid1(VALU_DEP_4)
	v_fmamk_f64 v[56:57], v[46:47], 0x3eeba404b5e68a13, v[36:37]
	v_add_f64_e64 v[48:49], v[48:49], -v[50:51]
	s_delay_alu instid0(VALU_DEP_2) | instskip(NEXT) | instid1(VALU_DEP_1)
	v_fmaak_f64 v[56:57], v[46:47], v[56:57], 0x3f4b2bb069efb384
	v_fmaak_f64 v[56:57], v[46:47], v[56:57], 0xbf67952daf56de9b
	s_delay_alu instid0(VALU_DEP_1) | instskip(NEXT) | instid1(VALU_DEP_1)
	v_fmaak_f64 v[56:57], v[46:47], v[56:57], 0x3f7d6d43a595c56f
	v_fmaak_f64 v[52:53], v[46:47], v[56:57], 0xbf8c6ea4a57d9582
	v_add_f64_e64 v[50:51], v[54:55], -v[66:67]
	v_add_f64_e32 v[42:43], v[42:43], v[48:49]
	s_delay_alu instid0(VALU_DEP_3) | instskip(NEXT) | instid1(VALU_DEP_1)
	v_fmaak_f64 v[52:53], v[46:47], v[52:53], 0x3f967e295f08b19f
	v_fmaak_f64 v[52:53], v[46:47], v[52:53], 0xbf9e9ae6fc27006a
	s_delay_alu instid0(VALU_DEP_1) | instskip(NEXT) | instid1(VALU_DEP_1)
	v_fmaak_f64 v[52:53], v[46:47], v[52:53], 0x3fa2c15b5711927a
	v_fmaak_f64 v[52:53], v[46:47], v[52:53], 0xbfa59976e82d3ff0
	s_delay_alu instid0(VALU_DEP_1) | instskip(SKIP_1) | instid1(VALU_DEP_2)
	v_fmaak_f64 v[48:49], v[46:47], v[52:53], 0x3fa82d5d6ef28734
	v_add_f64_e64 v[44:45], v[44:45], -v[50:51]
	v_fmaak_f64 v[48:49], v[46:47], v[48:49], 0xbfaae5ce6a214619
	s_delay_alu instid0(VALU_DEP_1) | instskip(NEXT) | instid1(VALU_DEP_1)
	v_fmaak_f64 v[48:49], v[46:47], v[48:49], 0x3fae1bb48427b883
	v_fmaak_f64 v[48:49], v[46:47], v[48:49], 0xbfb110e48b207f05
	s_delay_alu instid0(VALU_DEP_4) | instskip(NEXT) | instid1(VALU_DEP_2)
	v_add_f64_e32 v[42:43], v[42:43], v[44:45]
	v_fmaak_f64 v[44:45], v[46:47], v[48:49], 0x3fb3b13657b87036
	s_delay_alu instid0(VALU_DEP_1) | instskip(NEXT) | instid1(VALU_DEP_1)
	v_fmaak_f64 v[44:45], v[46:47], v[44:45], 0xbfb745d119378e4f
	v_fmaak_f64 v[44:45], v[46:47], v[44:45], 0x3fbc71c717e1913c
	s_delay_alu instid0(VALU_DEP_1) | instskip(NEXT) | instid1(VALU_DEP_1)
	v_fmaak_f64 v[44:45], v[46:47], v[44:45], 0xbfc2492492376b7d
	v_fmaak_f64 v[44:45], v[46:47], v[44:45], 0x3fc99999999952cc
	v_add_f64_e32 v[42:43], v[54:55], v[42:43]
	s_delay_alu instid0(VALU_DEP_2) | instskip(NEXT) | instid1(VALU_DEP_1)
	v_fmaak_f64 v[44:45], v[46:47], v[44:45], 0xbfd5555555555523
	v_mul_f64_e32 v[44:45], v[46:47], v[44:45]
                                        ; implicit-def: $vgpr46_vgpr47
	s_delay_alu instid0(VALU_DEP_3) | instskip(SKIP_1) | instid1(VALU_DEP_2)
	v_dual_cndmask_b32 v43, v43, v17 :: v_dual_cndmask_b32 v42, v42, v16
	v_cmp_neq_f64_e32 vcc_lo, 0, v[16:17]
	v_mul_f64_e32 v[42:43], 0.5, v[42:43]
	s_delay_alu instid0(VALU_DEP_4) | instskip(NEXT) | instid1(VALU_DEP_2)
	v_fmac_f64_e32 v[14:15], v[14:15], v[44:45]
                                        ; implicit-def: $vgpr44_vgpr45
	v_cndmask_b32_e32 v17, 0xfff00000, v43, vcc_lo
	s_delay_alu instid0(VALU_DEP_3)
	v_cndmask_b32_e32 v16, 0, v42, vcc_lo
                                        ; implicit-def: $vgpr42_vgpr43
.LBB42_188:                             ;   in Loop: Header=BB42_5 Depth=1
	s_and_not1_saveexec_b32 s4, s4
	s_cbranch_execz .LBB42_190
; %bb.189:                              ;   in Loop: Header=BB42_5 Depth=1
	v_frexp_exp_i32_f64_e32 v1, v[42:43]
	v_cmp_class_f64_e64 s43, v[18:19], 0x204
	v_cmp_class_f64_e64 s44, v[20:21], 0x204
	v_min_num_f64_e32 v[44:45], v[44:45], v[46:47]
	s_and_not1_b32 s41, s41, exec_lo
	v_sub_nc_u32_e32 v16, 0, v1
	s_or_b32 s45, s43, s44
	s_and_b32 s43, s43, s44
	s_delay_alu instid0(SALU_CYCLE_1) | instskip(NEXT) | instid1(VALU_DEP_1)
	s_and_b32 s43, s43, exec_lo
	v_ldexp_f64 v[14:15], |v[20:21]|, v16
	s_or_b32 s41, s41, s43
	s_delay_alu instid0(VALU_DEP_1) | instskip(SKIP_1) | instid1(VALU_DEP_1)
	v_mul_f64_e32 v[14:15], v[14:15], v[14:15]
	v_ldexp_f64 v[16:17], |v[18:19]|, v16
	v_fmac_f64_e32 v[14:15], v[16:17], v[16:17]
	s_delay_alu instid0(VALU_DEP_1) | instskip(SKIP_1) | instid1(TRANS32_DEP_1)
	v_rsq_f64_e32 v[16:17], v[14:15]
	v_cmp_eq_f64_e32 vcc_lo, 0, v[14:15]
	v_mul_f64_e32 v[48:49], v[14:15], v[16:17]
	v_mul_f64_e32 v[16:17], 0.5, v[16:17]
	s_delay_alu instid0(VALU_DEP_1) | instskip(NEXT) | instid1(VALU_DEP_1)
	v_fma_f64 v[50:51], -v[16:17], v[48:49], 0.5
	v_fmac_f64_e32 v[48:49], v[48:49], v[50:51]
	v_fmac_f64_e32 v[16:17], v[16:17], v[50:51]
	s_delay_alu instid0(VALU_DEP_2) | instskip(NEXT) | instid1(VALU_DEP_1)
	v_fma_f64 v[50:51], -v[48:49], v[48:49], v[14:15]
	v_fmac_f64_e32 v[48:49], v[50:51], v[16:17]
	s_delay_alu instid0(VALU_DEP_1) | instskip(NEXT) | instid1(VALU_DEP_1)
	v_dual_cndmask_b32 v15, v49, v15 :: v_dual_cndmask_b32 v14, v48, v14
	v_ldexp_f64 v[14:15], v[14:15], v1
	s_delay_alu instid0(VALU_DEP_1) | instskip(NEXT) | instid1(VALU_DEP_2)
	v_cndmask_b32_e64 v49, v15, 0x7ff00000, s45
	v_cndmask_b32_e64 v48, v14, 0, s45
	s_delay_alu instid0(VALU_DEP_1) | instskip(NEXT) | instid1(VALU_DEP_1)
	v_frexp_mant_f64_e32 v[14:15], v[48:49]
	v_cmp_gt_f64_e32 vcc_lo, s[14:15], v[14:15]
	v_cndmask_b32_e64 v1, 0, 1, vcc_lo
	s_delay_alu instid0(VALU_DEP_1) | instskip(SKIP_1) | instid1(VALU_DEP_2)
	v_ldexp_f64 v[14:15], v[14:15], v1
	v_frexp_exp_i32_f64_e32 v1, v[48:49]
	v_add_f64_e32 v[16:17], 1.0, v[14:15]
	v_add_f64_e32 v[54:55], -1.0, v[14:15]
	s_delay_alu instid0(VALU_DEP_3) | instskip(NEXT) | instid1(VALU_DEP_3)
	v_subrev_co_ci_u32_e64 v1, null, 0, v1, vcc_lo
	v_rcp_f64_e32 v[50:51], v[16:17]
	v_add_f64_e32 v[56:57], -1.0, v[16:17]
	s_delay_alu instid0(VALU_DEP_1) | instskip(NEXT) | instid1(TRANS32_DEP_1)
	v_add_f64_e64 v[14:15], v[14:15], -v[56:57]
	v_fma_f64 v[52:53], -v[16:17], v[50:51], 1.0
	s_delay_alu instid0(VALU_DEP_1) | instskip(NEXT) | instid1(VALU_DEP_1)
	v_fmac_f64_e32 v[50:51], v[52:53], v[50:51]
	v_fma_f64 v[52:53], -v[16:17], v[50:51], 1.0
	s_delay_alu instid0(VALU_DEP_1) | instskip(NEXT) | instid1(VALU_DEP_1)
	v_fmac_f64_e32 v[50:51], v[52:53], v[50:51]
	v_mul_f64_e32 v[52:53], v[54:55], v[50:51]
	s_delay_alu instid0(VALU_DEP_1) | instskip(NEXT) | instid1(VALU_DEP_1)
	v_mul_f64_e32 v[62:63], v[16:17], v[52:53]
	v_fma_f64 v[16:17], v[52:53], v[16:17], -v[62:63]
	s_delay_alu instid0(VALU_DEP_1) | instskip(NEXT) | instid1(VALU_DEP_1)
	v_fmac_f64_e32 v[16:17], v[52:53], v[14:15]
	v_add_f64_e32 v[14:15], v[62:63], v[16:17]
	s_delay_alu instid0(VALU_DEP_1) | instskip(SKIP_1) | instid1(VALU_DEP_2)
	v_add_f64_e64 v[56:57], v[54:55], -v[14:15]
	v_add_f64_e64 v[62:63], v[14:15], -v[62:63]
	;; [unrolled: 1-line block ×3, first 2 shown]
	s_delay_alu instid0(VALU_DEP_2) | instskip(NEXT) | instid1(VALU_DEP_2)
	v_add_f64_e64 v[16:17], v[62:63], -v[16:17]
	v_add_f64_e64 v[14:15], v[54:55], -v[14:15]
	s_delay_alu instid0(VALU_DEP_1) | instskip(NEXT) | instid1(VALU_DEP_1)
	v_add_f64_e32 v[14:15], v[16:17], v[14:15]
	v_add_f64_e32 v[14:15], v[56:57], v[14:15]
	s_delay_alu instid0(VALU_DEP_1) | instskip(NEXT) | instid1(VALU_DEP_1)
	v_mul_f64_e32 v[14:15], v[50:51], v[14:15]
	v_add_f64_e32 v[16:17], v[52:53], v[14:15]
	s_delay_alu instid0(VALU_DEP_1) | instskip(NEXT) | instid1(VALU_DEP_1)
	v_mul_f64_e32 v[50:51], v[16:17], v[16:17]
	v_fmamk_f64 v[54:55], v[50:51], 0x3fc3ab76bf559e2b, v[28:29]
	v_mul_f64_e32 v[56:57], v[16:17], v[50:51]
	s_delay_alu instid0(VALU_DEP_2) | instskip(NEXT) | instid1(VALU_DEP_1)
	v_fmaak_f64 v[54:55], v[50:51], v[54:55], 0x3fc7474dd7f4df2e
	v_fmaak_f64 v[46:47], v[50:51], v[54:55], 0x3fcc71c016291751
	v_div_scale_f64 v[54:55], null, v[42:43], v[42:43], v[44:45]
	s_delay_alu instid0(VALU_DEP_2) | instskip(NEXT) | instid1(VALU_DEP_1)
	v_fmaak_f64 v[46:47], v[50:51], v[46:47], 0x3fd249249b27acf1
	v_fmaak_f64 v[46:47], v[50:51], v[46:47], 0x3fd99999998ef7b6
	s_delay_alu instid0(VALU_DEP_1) | instskip(SKIP_2) | instid1(VALU_DEP_3)
	v_fmaak_f64 v[46:47], v[50:51], v[46:47], 0x3fe5555555555780
	v_ldexp_f64 v[50:51], v[16:17], 1
	v_add_f64_e64 v[16:17], v[16:17], -v[52:53]
	v_mul_f64_e32 v[46:47], v[56:57], v[46:47]
	v_cvt_f64_i32_e32 v[56:57], v1
	v_rcp_f64_e32 v[62:63], v[54:55]
	s_delay_alu instid0(VALU_DEP_3) | instskip(NEXT) | instid1(VALU_DEP_3)
	v_add_f64_e64 v[14:15], v[14:15], -v[16:17]
	v_add_f64_e32 v[52:53], v[50:51], v[46:47]
	s_delay_alu instid0(VALU_DEP_3) | instskip(NEXT) | instid1(VALU_DEP_3)
	v_mul_f64_e32 v[64:65], 0x3fe62e42fefa39ef, v[56:57]
	v_ldexp_f64 v[14:15], v[14:15], 1
	s_delay_alu instid0(VALU_DEP_3) | instskip(NEXT) | instid1(TRANS32_DEP_1)
	v_add_f64_e64 v[16:17], v[52:53], -v[50:51]
	v_fma_f64 v[50:51], -v[54:55], v[62:63], 1.0
	s_delay_alu instid0(VALU_DEP_4) | instskip(NEXT) | instid1(VALU_DEP_3)
	v_fma_f64 v[66:67], v[56:57], s[16:17], -v[64:65]
	v_add_f64_e64 v[16:17], v[46:47], -v[16:17]
	s_delay_alu instid0(VALU_DEP_3) | instskip(NEXT) | instid1(VALU_DEP_3)
	v_fmac_f64_e32 v[62:63], v[62:63], v[50:51]
	v_fmac_f64_e32 v[66:67], 0x3c7abc9e3b39803f, v[56:57]
	v_div_scale_f64 v[56:57], vcc_lo, v[44:45], v[42:43], v[44:45]
	s_delay_alu instid0(VALU_DEP_4) | instskip(NEXT) | instid1(VALU_DEP_4)
	v_add_f64_e32 v[14:15], v[14:15], v[16:17]
	v_fma_f64 v[16:17], -v[54:55], v[62:63], 1.0
	s_delay_alu instid0(VALU_DEP_4) | instskip(NEXT) | instid1(VALU_DEP_3)
	v_add_f64_e32 v[46:47], v[64:65], v[66:67]
	v_add_f64_e32 v[50:51], v[52:53], v[14:15]
	s_delay_alu instid0(VALU_DEP_3) | instskip(NEXT) | instid1(VALU_DEP_2)
	v_fmac_f64_e32 v[62:63], v[62:63], v[16:17]
	v_add_f64_e32 v[16:17], v[46:47], v[50:51]
	s_delay_alu instid0(VALU_DEP_2) | instskip(SKIP_1) | instid1(VALU_DEP_3)
	v_mul_f64_e32 v[68:69], v[56:57], v[62:63]
	v_add_f64_e64 v[52:53], v[50:51], -v[52:53]
	v_add_f64_e64 v[70:71], v[16:17], -v[46:47]
	s_delay_alu instid0(VALU_DEP_3) | instskip(SKIP_1) | instid1(VALU_DEP_4)
	v_fma_f64 v[54:55], -v[54:55], v[68:69], v[56:57]
	v_add_f64_e64 v[56:57], v[46:47], -v[64:65]
	v_add_f64_e64 v[52:53], v[14:15], -v[52:53]
	s_delay_alu instid0(VALU_DEP_4) | instskip(NEXT) | instid1(VALU_DEP_4)
	v_add_f64_e64 v[64:65], v[16:17], -v[70:71]
	v_div_fmas_f64 v[54:55], v[54:55], v[62:63], v[68:69]
	s_delay_alu instid0(VALU_DEP_4)
	v_add_f64_e64 v[56:57], v[66:67], -v[56:57]
	v_add_f64_e64 v[50:51], v[50:51], -v[70:71]
	v_cmp_class_f64_e64 vcc_lo, v[48:49], 0x204
	v_add_f64_e64 v[46:47], v[46:47], -v[64:65]
	v_div_fixup_f64 v[14:15], v[54:55], v[42:43], v[44:45]
	v_add_f64_e32 v[42:43], v[56:57], v[52:53]
	s_delay_alu instid0(VALU_DEP_3) | instskip(NEXT) | instid1(VALU_DEP_3)
	v_add_f64_e32 v[44:45], v[50:51], v[46:47]
	v_mul_f64_e32 v[46:47], v[14:15], v[14:15]
	s_delay_alu instid0(VALU_DEP_3) | instskip(NEXT) | instid1(VALU_DEP_3)
	v_add_f64_e64 v[50:51], v[42:43], -v[56:57]
	v_add_f64_e32 v[44:45], v[42:43], v[44:45]
	s_delay_alu instid0(VALU_DEP_3) | instskip(NEXT) | instid1(VALU_DEP_3)
	v_fmamk_f64 v[54:55], v[46:47], 0x3eeba404b5e68a13, v[36:37]
	v_add_f64_e64 v[42:43], v[42:43], -v[50:51]
	v_add_f64_e64 v[50:51], v[52:53], -v[50:51]
	s_delay_alu instid0(VALU_DEP_3) | instskip(NEXT) | instid1(VALU_DEP_1)
	v_fmaak_f64 v[54:55], v[46:47], v[54:55], 0x3f4b2bb069efb384
	v_fmaak_f64 v[54:55], v[46:47], v[54:55], 0xbf67952daf56de9b
	s_delay_alu instid0(VALU_DEP_1) | instskip(NEXT) | instid1(VALU_DEP_1)
	v_fmaak_f64 v[54:55], v[46:47], v[54:55], 0x3f7d6d43a595c56f
	v_fmaak_f64 v[54:55], v[46:47], v[54:55], 0xbf8c6ea4a57d9582
	v_add_f64_e32 v[62:63], v[16:17], v[44:45]
	v_add_f64_e64 v[42:43], v[56:57], -v[42:43]
	s_delay_alu instid0(VALU_DEP_3) | instskip(NEXT) | instid1(VALU_DEP_1)
	v_fmaak_f64 v[54:55], v[46:47], v[54:55], 0x3f967e295f08b19f
	v_fmaak_f64 v[54:55], v[46:47], v[54:55], 0xbf9e9ae6fc27006a
	s_delay_alu instid0(VALU_DEP_1) | instskip(NEXT) | instid1(VALU_DEP_1)
	v_fmaak_f64 v[54:55], v[46:47], v[54:55], 0x3fa2c15b5711927a
	v_fmaak_f64 v[52:53], v[46:47], v[54:55], 0xbfa59976e82d3ff0
	s_delay_alu instid0(VALU_DEP_1) | instskip(SKIP_2) | instid1(VALU_DEP_3)
	v_fmaak_f64 v[52:53], v[46:47], v[52:53], 0x3fa82d5d6ef28734
	v_add_f64_e64 v[16:17], v[62:63], -v[16:17]
	v_add_f64_e32 v[42:43], v[50:51], v[42:43]
	v_fmaak_f64 v[52:53], v[46:47], v[52:53], 0xbfaae5ce6a214619
	s_delay_alu instid0(VALU_DEP_1) | instskip(NEXT) | instid1(VALU_DEP_1)
	v_fmaak_f64 v[52:53], v[46:47], v[52:53], 0x3fae1bb48427b883
	v_fmaak_f64 v[52:53], v[46:47], v[52:53], 0xbfb110e48b207f05
	v_add_f64_e64 v[16:17], v[44:45], -v[16:17]
	s_delay_alu instid0(VALU_DEP_2) | instskip(NEXT) | instid1(VALU_DEP_1)
	v_fmaak_f64 v[44:45], v[46:47], v[52:53], 0x3fb3b13657b87036
	v_fmaak_f64 v[44:45], v[46:47], v[44:45], 0xbfb745d119378e4f
	s_delay_alu instid0(VALU_DEP_1) | instskip(NEXT) | instid1(VALU_DEP_1)
	v_fmaak_f64 v[44:45], v[46:47], v[44:45], 0x3fbc71c717e1913c
	v_fmaak_f64 v[44:45], v[46:47], v[44:45], 0xbfc2492492376b7d
	v_add_f64_e32 v[16:17], v[42:43], v[16:17]
	s_delay_alu instid0(VALU_DEP_2) | instskip(NEXT) | instid1(VALU_DEP_1)
	v_fmaak_f64 v[42:43], v[46:47], v[44:45], 0x3fc99999999952cc
	v_fmaak_f64 v[42:43], v[46:47], v[42:43], 0xbfd5555555555523
	s_delay_alu instid0(VALU_DEP_1) | instskip(NEXT) | instid1(VALU_DEP_4)
	v_mul_f64_e32 v[42:43], v[46:47], v[42:43]
	v_add_f64_e32 v[16:17], v[62:63], v[16:17]
	s_delay_alu instid0(VALU_DEP_2) | instskip(NEXT) | instid1(VALU_DEP_2)
	v_fmac_f64_e32 v[14:15], v[14:15], v[42:43]
	v_dual_cndmask_b32 v1, v16, v48 :: v_dual_cndmask_b32 v16, v17, v49
	v_cmp_ngt_f64_e32 vcc_lo, 0, v[48:49]
	s_delay_alu instid0(VALU_DEP_2) | instskip(SKIP_1) | instid1(VALU_DEP_4)
	v_cndmask_b32_e32 v17, 0x7ff80000, v16, vcc_lo
	v_cmp_nge_f64_e32 vcc_lo, 0, v[48:49]
	v_cndmask_b32_e32 v16, 0, v1, vcc_lo
	v_cmp_neq_f64_e32 vcc_lo, 0, v[48:49]
	s_delay_alu instid0(VALU_DEP_4)
	v_cndmask_b32_e32 v17, 0xfff00000, v17, vcc_lo
.LBB42_190:                             ;   in Loop: Header=BB42_5 Depth=1
	s_or_b32 exec_lo, exec_lo, s4
                                        ; implicit-def: $vgpr44_vgpr45
                                        ; implicit-def: $vgpr46_vgpr47
                                        ; implicit-def: $vgpr42_vgpr43
.LBB42_191:                             ;   in Loop: Header=BB42_5 Depth=1
	s_and_not1_saveexec_b32 s42, s42
	s_cbranch_execz .LBB42_193
; %bb.192:                              ;   in Loop: Header=BB42_5 Depth=1
	v_div_scale_f64 v[14:15], null, s[34:35], s[34:35], v[18:19]
	v_div_scale_f64 v[16:17], null, s[34:35], s[34:35], v[20:21]
	v_div_scale_f64 v[56:57], vcc_lo, v[18:19], s[34:35], v[18:19]
	v_min_num_f64_e32 v[44:45], v[44:45], v[46:47]
	s_and_not1_b32 s41, s41, exec_lo
	s_delay_alu instid0(VALU_DEP_4) | instskip(NEXT) | instid1(VALU_DEP_3)
	v_rcp_f64_e32 v[48:49], v[14:15]
	v_rcp_f64_e32 v[50:51], v[16:17]
	s_delay_alu instid0(TRANS32_DEP_2) | instskip(NEXT) | instid1(TRANS32_DEP_1)
	v_fma_f64 v[52:53], -v[14:15], v[48:49], 1.0
	v_fma_f64 v[54:55], -v[16:17], v[50:51], 1.0
	s_delay_alu instid0(VALU_DEP_2) | instskip(NEXT) | instid1(VALU_DEP_2)
	v_fmac_f64_e32 v[48:49], v[48:49], v[52:53]
	v_fmac_f64_e32 v[50:51], v[50:51], v[54:55]
	s_delay_alu instid0(VALU_DEP_2) | instskip(NEXT) | instid1(VALU_DEP_2)
	v_fma_f64 v[52:53], -v[14:15], v[48:49], 1.0
	v_fma_f64 v[54:55], -v[16:17], v[50:51], 1.0
	s_delay_alu instid0(VALU_DEP_2) | instskip(SKIP_1) | instid1(VALU_DEP_3)
	v_fmac_f64_e32 v[48:49], v[48:49], v[52:53]
	v_div_scale_f64 v[52:53], s4, v[20:21], s[34:35], v[20:21]
	v_fmac_f64_e32 v[50:51], v[50:51], v[54:55]
	s_delay_alu instid0(VALU_DEP_3) | instskip(NEXT) | instid1(VALU_DEP_2)
	v_mul_f64_e32 v[54:55], v[56:57], v[48:49]
	v_mul_f64_e32 v[62:63], v[52:53], v[50:51]
	s_delay_alu instid0(VALU_DEP_2) | instskip(NEXT) | instid1(VALU_DEP_2)
	v_fma_f64 v[14:15], -v[14:15], v[54:55], v[56:57]
	v_fma_f64 v[16:17], -v[16:17], v[62:63], v[52:53]
	s_delay_alu instid0(VALU_DEP_2) | instskip(SKIP_1) | instid1(VALU_DEP_2)
	v_div_fmas_f64 v[14:15], v[14:15], v[48:49], v[54:55]
	s_mov_b32 vcc_lo, s4
	v_div_fmas_f64 v[16:17], v[16:17], v[50:51], v[62:63]
	s_delay_alu instid0(VALU_DEP_2) | instskip(NEXT) | instid1(VALU_DEP_2)
	v_div_fixup_f64 v[14:15], v[14:15], s[34:35], v[18:19]
	v_div_fixup_f64 v[16:17], v[16:17], s[34:35], v[20:21]
	s_delay_alu instid0(VALU_DEP_2) | instskip(NEXT) | instid1(VALU_DEP_2)
	v_cmp_class_f64_e64 s4, v[14:15], 0x204
	v_max_num_f64_e64 v[48:49], |v[14:15]|, |v[16:17]|
	v_cmp_class_f64_e64 s43, v[16:17], 0x204
	s_delay_alu instid0(VALU_DEP_2) | instskip(SKIP_2) | instid1(VALU_DEP_2)
	v_frexp_exp_i32_f64_e32 v1, v[48:49]
	s_or_b32 s4, s4, s43
	v_cmp_class_f64_e64 s43, v[18:19], 0x204
	v_sub_nc_u32_e32 v50, 0, v1
	s_delay_alu instid0(VALU_DEP_1) | instskip(SKIP_1) | instid1(VALU_DEP_2)
	v_ldexp_f64 v[48:49], |v[16:17]|, v50
	v_ldexp_f64 v[50:51], |v[14:15]|, v50
	v_mul_f64_e32 v[48:49], v[48:49], v[48:49]
	s_delay_alu instid0(VALU_DEP_1) | instskip(NEXT) | instid1(VALU_DEP_1)
	v_fmac_f64_e32 v[48:49], v[50:51], v[50:51]
	v_rsq_f64_e32 v[50:51], v[48:49]
	v_cmp_eq_f64_e32 vcc_lo, 0, v[48:49]
	s_delay_alu instid0(TRANS32_DEP_1) | instskip(SKIP_1) | instid1(VALU_DEP_1)
	v_mul_f64_e32 v[52:53], v[48:49], v[50:51]
	v_mul_f64_e32 v[50:51], 0.5, v[50:51]
	v_fma_f64 v[54:55], -v[50:51], v[52:53], 0.5
	s_delay_alu instid0(VALU_DEP_1) | instskip(SKIP_1) | instid1(VALU_DEP_2)
	v_fmac_f64_e32 v[52:53], v[52:53], v[54:55]
	v_fmac_f64_e32 v[50:51], v[50:51], v[54:55]
	v_fma_f64 v[54:55], -v[52:53], v[52:53], v[48:49]
	s_delay_alu instid0(VALU_DEP_1) | instskip(NEXT) | instid1(VALU_DEP_1)
	v_fmac_f64_e32 v[52:53], v[54:55], v[50:51]
	v_dual_cndmask_b32 v49, v53, v49 :: v_dual_cndmask_b32 v48, v52, v48
	s_delay_alu instid0(VALU_DEP_1) | instskip(NEXT) | instid1(VALU_DEP_1)
	v_ldexp_f64 v[14:15], v[48:49], v1
	v_cndmask_b32_e64 v49, v15, 0x7ff00000, s4
	s_delay_alu instid0(VALU_DEP_2) | instskip(SKIP_1) | instid1(VALU_DEP_2)
	v_cndmask_b32_e64 v48, v14, 0, s4
	v_cmp_class_f64_e64 s4, v[20:21], 0x204
	v_frexp_mant_f64_e32 v[14:15], v[48:49]
	s_and_b32 s4, s43, s4
	s_delay_alu instid0(SALU_CYCLE_1) | instskip(NEXT) | instid1(VALU_DEP_1)
	s_and_b32 s4, s4, exec_lo
	v_cmp_gt_f64_e32 vcc_lo, s[14:15], v[14:15]
	s_or_b32 s41, s41, s4
	v_cndmask_b32_e64 v1, 0, 1, vcc_lo
	s_delay_alu instid0(VALU_DEP_1) | instskip(SKIP_1) | instid1(VALU_DEP_2)
	v_ldexp_f64 v[14:15], v[14:15], v1
	v_frexp_exp_i32_f64_e32 v1, v[48:49]
	v_add_f64_e32 v[16:17], 1.0, v[14:15]
	v_add_f64_e32 v[54:55], -1.0, v[14:15]
	s_delay_alu instid0(VALU_DEP_3) | instskip(SKIP_1) | instid1(VALU_DEP_2)
	v_subrev_co_ci_u32_e64 v1, null, 0, v1, vcc_lo
	v_div_scale_f64 v[68:69], vcc_lo, v[44:45], v[42:43], v[44:45]
	v_cvt_f64_i32_e32 v[46:47], v1
	v_rcp_f64_e32 v[50:51], v[16:17]
	v_add_f64_e32 v[56:57], -1.0, v[16:17]
	s_delay_alu instid0(VALU_DEP_1) | instskip(NEXT) | instid1(TRANS32_DEP_1)
	v_add_f64_e64 v[14:15], v[14:15], -v[56:57]
	v_fma_f64 v[52:53], -v[16:17], v[50:51], 1.0
	s_delay_alu instid0(VALU_DEP_1) | instskip(NEXT) | instid1(VALU_DEP_1)
	v_fmac_f64_e32 v[50:51], v[52:53], v[50:51]
	v_fma_f64 v[52:53], -v[16:17], v[50:51], 1.0
	s_delay_alu instid0(VALU_DEP_1) | instskip(NEXT) | instid1(VALU_DEP_1)
	v_fmac_f64_e32 v[50:51], v[52:53], v[50:51]
	v_mul_f64_e32 v[52:53], v[54:55], v[50:51]
	s_delay_alu instid0(VALU_DEP_1) | instskip(NEXT) | instid1(VALU_DEP_1)
	v_mul_f64_e32 v[62:63], v[16:17], v[52:53]
	v_fma_f64 v[16:17], v[52:53], v[16:17], -v[62:63]
	s_delay_alu instid0(VALU_DEP_1) | instskip(NEXT) | instid1(VALU_DEP_1)
	v_fmac_f64_e32 v[16:17], v[52:53], v[14:15]
	v_add_f64_e32 v[14:15], v[62:63], v[16:17]
	s_delay_alu instid0(VALU_DEP_1) | instskip(SKIP_1) | instid1(VALU_DEP_2)
	v_add_f64_e64 v[56:57], v[54:55], -v[14:15]
	v_add_f64_e64 v[62:63], v[14:15], -v[62:63]
	;; [unrolled: 1-line block ×3, first 2 shown]
	s_delay_alu instid0(VALU_DEP_2) | instskip(SKIP_1) | instid1(VALU_DEP_3)
	v_add_f64_e64 v[16:17], v[62:63], -v[16:17]
	v_mul_f64_e32 v[62:63], 0x3fe62e42fefa39ef, v[46:47]
	v_add_f64_e64 v[14:15], v[54:55], -v[14:15]
	s_delay_alu instid0(VALU_DEP_2) | instskip(NEXT) | instid1(VALU_DEP_2)
	v_fma_f64 v[64:65], v[46:47], s[16:17], -v[62:63]
	v_add_f64_e32 v[14:15], v[16:17], v[14:15]
	s_delay_alu instid0(VALU_DEP_2) | instskip(NEXT) | instid1(VALU_DEP_2)
	v_fmac_f64_e32 v[64:65], 0x3c7abc9e3b39803f, v[46:47]
	v_add_f64_e32 v[14:15], v[56:57], v[14:15]
	s_delay_alu instid0(VALU_DEP_1) | instskip(NEXT) | instid1(VALU_DEP_1)
	v_mul_f64_e32 v[14:15], v[50:51], v[14:15]
	v_add_f64_e32 v[16:17], v[52:53], v[14:15]
	s_delay_alu instid0(VALU_DEP_1) | instskip(NEXT) | instid1(VALU_DEP_1)
	v_mul_f64_e32 v[50:51], v[16:17], v[16:17]
	v_fmamk_f64 v[54:55], v[50:51], 0x3fc3ab76bf559e2b, v[28:29]
	v_mul_f64_e32 v[56:57], v[16:17], v[50:51]
	s_delay_alu instid0(VALU_DEP_2) | instskip(NEXT) | instid1(VALU_DEP_1)
	v_fmaak_f64 v[54:55], v[50:51], v[54:55], 0x3fc7474dd7f4df2e
	v_fmaak_f64 v[54:55], v[50:51], v[54:55], 0x3fcc71c016291751
	s_delay_alu instid0(VALU_DEP_1) | instskip(NEXT) | instid1(VALU_DEP_1)
	v_fmaak_f64 v[54:55], v[50:51], v[54:55], 0x3fd249249b27acf1
	v_fmaak_f64 v[54:55], v[50:51], v[54:55], 0x3fd99999998ef7b6
	s_delay_alu instid0(VALU_DEP_1) | instskip(SKIP_2) | instid1(VALU_DEP_3)
	v_fmaak_f64 v[50:51], v[50:51], v[54:55], 0x3fe5555555555780
	v_ldexp_f64 v[54:55], v[16:17], 1
	v_add_f64_e64 v[16:17], v[16:17], -v[52:53]
	v_mul_f64_e32 v[50:51], v[56:57], v[50:51]
	v_div_scale_f64 v[56:57], null, v[42:43], v[42:43], v[44:45]
	s_delay_alu instid0(VALU_DEP_3) | instskip(NEXT) | instid1(VALU_DEP_3)
	v_add_f64_e64 v[14:15], v[14:15], -v[16:17]
	v_add_f64_e32 v[52:53], v[54:55], v[50:51]
	s_delay_alu instid0(VALU_DEP_2) | instskip(NEXT) | instid1(VALU_DEP_2)
	v_ldexp_f64 v[14:15], v[14:15], 1
	v_add_f64_e64 v[16:17], v[52:53], -v[54:55]
	v_rcp_f64_e32 v[54:55], v[56:57]
	s_delay_alu instid0(VALU_DEP_1) | instskip(NEXT) | instid1(TRANS32_DEP_1)
	v_add_f64_e64 v[16:17], v[50:51], -v[16:17]
	v_fma_f64 v[50:51], -v[56:57], v[54:55], 1.0
	s_delay_alu instid0(VALU_DEP_2) | instskip(SKIP_1) | instid1(VALU_DEP_3)
	v_add_f64_e32 v[14:15], v[14:15], v[16:17]
	v_add_f64_e32 v[16:17], v[62:63], v[64:65]
	v_fmac_f64_e32 v[54:55], v[54:55], v[50:51]
	s_delay_alu instid0(VALU_DEP_3) | instskip(NEXT) | instid1(VALU_DEP_3)
	v_add_f64_e32 v[46:47], v[52:53], v[14:15]
	v_add_f64_e64 v[62:63], v[16:17], -v[62:63]
	s_delay_alu instid0(VALU_DEP_3) | instskip(NEXT) | instid1(VALU_DEP_3)
	v_fma_f64 v[50:51], -v[56:57], v[54:55], 1.0
	v_add_f64_e32 v[66:67], v[16:17], v[46:47]
	v_add_f64_e64 v[52:53], v[46:47], -v[52:53]
	s_delay_alu instid0(VALU_DEP_4) | instskip(NEXT) | instid1(VALU_DEP_4)
	v_add_f64_e64 v[62:63], v[64:65], -v[62:63]
	v_fmac_f64_e32 v[54:55], v[54:55], v[50:51]
	s_delay_alu instid0(VALU_DEP_4) | instskip(NEXT) | instid1(VALU_DEP_4)
	v_add_f64_e64 v[50:51], v[66:67], -v[16:17]
	v_add_f64_e64 v[52:53], v[14:15], -v[52:53]
	s_delay_alu instid0(VALU_DEP_3) | instskip(NEXT) | instid1(VALU_DEP_3)
	v_mul_f64_e32 v[70:71], v[68:69], v[54:55]
	v_add_f64_e64 v[72:73], v[66:67], -v[50:51]
	v_add_f64_e64 v[14:15], v[46:47], -v[50:51]
	s_delay_alu instid0(VALU_DEP_4) | instskip(NEXT) | instid1(VALU_DEP_4)
	v_add_f64_e32 v[50:51], v[62:63], v[52:53]
	v_fma_f64 v[56:57], -v[56:57], v[70:71], v[68:69]
	s_delay_alu instid0(VALU_DEP_4) | instskip(NEXT) | instid1(VALU_DEP_2)
	v_add_f64_e64 v[16:17], v[16:17], -v[72:73]
	v_div_fmas_f64 v[46:47], v[56:57], v[54:55], v[70:71]
	v_cmp_class_f64_e64 vcc_lo, v[48:49], 0x204
	s_delay_alu instid0(VALU_DEP_3) | instskip(NEXT) | instid1(VALU_DEP_3)
	v_add_f64_e32 v[16:17], v[14:15], v[16:17]
	v_div_fixup_f64 v[14:15], v[46:47], v[42:43], v[44:45]
	v_add_f64_e64 v[42:43], v[50:51], -v[62:63]
	s_delay_alu instid0(VALU_DEP_3) | instskip(NEXT) | instid1(VALU_DEP_3)
	v_add_f64_e32 v[16:17], v[50:51], v[16:17]
	v_mul_f64_e32 v[44:45], v[14:15], v[14:15]
	s_delay_alu instid0(VALU_DEP_3) | instskip(SKIP_1) | instid1(VALU_DEP_4)
	v_add_f64_e64 v[46:47], v[50:51], -v[42:43]
	v_add_f64_e64 v[42:43], v[52:53], -v[42:43]
	v_add_f64_e32 v[50:51], v[66:67], v[16:17]
	s_delay_alu instid0(VALU_DEP_4) | instskip(NEXT) | instid1(VALU_DEP_4)
	v_fmamk_f64 v[54:55], v[44:45], 0x3eeba404b5e68a13, v[36:37]
	v_add_f64_e64 v[46:47], v[62:63], -v[46:47]
	s_delay_alu instid0(VALU_DEP_2) | instskip(NEXT) | instid1(VALU_DEP_1)
	v_fmaak_f64 v[54:55], v[44:45], v[54:55], 0x3f4b2bb069efb384
	v_fmaak_f64 v[54:55], v[44:45], v[54:55], 0xbf67952daf56de9b
	s_delay_alu instid0(VALU_DEP_1) | instskip(SKIP_1) | instid1(VALU_DEP_2)
	v_fmaak_f64 v[54:55], v[44:45], v[54:55], 0x3f7d6d43a595c56f
	v_add_f64_e64 v[52:53], v[50:51], -v[66:67]
	v_fmaak_f64 v[54:55], v[44:45], v[54:55], 0xbf8c6ea4a57d9582
	v_add_f64_e32 v[42:43], v[42:43], v[46:47]
	s_delay_alu instid0(VALU_DEP_2) | instskip(NEXT) | instid1(VALU_DEP_1)
	v_fmaak_f64 v[54:55], v[44:45], v[54:55], 0x3f967e295f08b19f
	v_fmaak_f64 v[54:55], v[44:45], v[54:55], 0xbf9e9ae6fc27006a
	s_delay_alu instid0(VALU_DEP_1) | instskip(NEXT) | instid1(VALU_DEP_1)
	v_fmaak_f64 v[54:55], v[44:45], v[54:55], 0x3fa2c15b5711927a
	v_fmaak_f64 v[46:47], v[44:45], v[54:55], 0xbfa59976e82d3ff0
	v_add_f64_e64 v[16:17], v[16:17], -v[52:53]
	s_delay_alu instid0(VALU_DEP_2) | instskip(NEXT) | instid1(VALU_DEP_1)
	v_fmaak_f64 v[46:47], v[44:45], v[46:47], 0x3fa82d5d6ef28734
	v_fmaak_f64 v[46:47], v[44:45], v[46:47], 0xbfaae5ce6a214619
	s_delay_alu instid0(VALU_DEP_1) | instskip(NEXT) | instid1(VALU_DEP_1)
	v_fmaak_f64 v[46:47], v[44:45], v[46:47], 0x3fae1bb48427b883
	v_fmaak_f64 v[46:47], v[44:45], v[46:47], 0xbfb110e48b207f05
	v_add_f64_e32 v[16:17], v[42:43], v[16:17]
	s_delay_alu instid0(VALU_DEP_2) | instskip(NEXT) | instid1(VALU_DEP_1)
	v_fmaak_f64 v[42:43], v[44:45], v[46:47], 0x3fb3b13657b87036
	v_fmaak_f64 v[42:43], v[44:45], v[42:43], 0xbfb745d119378e4f
	s_delay_alu instid0(VALU_DEP_1) | instskip(NEXT) | instid1(VALU_DEP_1)
	v_fmaak_f64 v[42:43], v[44:45], v[42:43], 0x3fbc71c717e1913c
	v_fmaak_f64 v[42:43], v[44:45], v[42:43], 0xbfc2492492376b7d
	s_delay_alu instid0(VALU_DEP_1) | instskip(SKIP_1) | instid1(VALU_DEP_2)
	v_fmaak_f64 v[42:43], v[44:45], v[42:43], 0x3fc99999999952cc
	v_add_f64_e32 v[16:17], v[50:51], v[16:17]
	v_fmaak_f64 v[42:43], v[44:45], v[42:43], 0xbfd5555555555523
	s_delay_alu instid0(VALU_DEP_1) | instskip(NEXT) | instid1(VALU_DEP_3)
	v_mul_f64_e32 v[42:43], v[44:45], v[42:43]
	v_dual_cndmask_b32 v17, v17, v49 :: v_dual_cndmask_b32 v16, v16, v48
	v_cmp_ngt_f64_e32 vcc_lo, 0, v[48:49]
	s_delay_alu instid0(VALU_DEP_2) | instskip(NEXT) | instid1(VALU_DEP_4)
	v_add_f64_e32 v[16:17], 1.0, v[16:17]
	v_fmac_f64_e32 v[14:15], v[14:15], v[42:43]
	s_delay_alu instid0(VALU_DEP_2) | instskip(SKIP_1) | instid1(VALU_DEP_4)
	v_cndmask_b32_e32 v1, 0x7ff80000, v17, vcc_lo
	v_cmp_nge_f64_e32 vcc_lo, 0, v[48:49]
	v_cndmask_b32_e32 v16, 0, v16, vcc_lo
	v_cmp_neq_f64_e32 vcc_lo, 0, v[48:49]
	s_delay_alu instid0(VALU_DEP_4)
	v_cndmask_b32_e32 v17, 0xfff00000, v1, vcc_lo
.LBB42_193:                             ;   in Loop: Header=BB42_5 Depth=1
	s_or_b32 exec_lo, exec_lo, s42
	s_delay_alu instid0(VALU_DEP_3) | instskip(NEXT) | instid1(VALU_DEP_2)
	v_add_f64_e64 v[42:43], -v[14:15], s[26:27]
	v_add_f64_e32 v[16:17], 0x3fe62e42fefa39ef, v[16:17]
	v_cmp_gt_i32_e32 vcc_lo, 0, v19
	v_cndmask_b32_e32 v18, 0x54442d18, v59, vcc_lo
	s_delay_alu instid0(VALU_DEP_4) | instskip(SKIP_2) | instid1(VALU_DEP_3)
	v_dual_cndmask_b32 v15, v15, v43, s3 :: v_dual_cndmask_b32 v14, v14, v42, s3
	v_cmp_eq_f64_e64 s3, 0, v[20:21]
	v_cndmask_b32_e32 v20, 0x3fe921fb, v60, vcc_lo
	v_add_f64_e64 v[42:43], -v[14:15], s[28:29]
	v_ashrrev_i32_e32 v1, 31, v19
	s_delay_alu instid0(VALU_DEP_3) | instskip(NEXT) | instid1(VALU_DEP_3)
	v_bfi_b32 v20, 0x7fffffff, v20, v21
	v_cndmask_b32_e32 v14, v14, v42, vcc_lo
	s_delay_alu instid0(VALU_DEP_3) | instskip(SKIP_2) | instid1(VALU_DEP_3)
	v_and_b32_e32 v19, 0x54442d18, v1
	v_and_b32_e32 v1, 0x400921fb, v1
	v_cndmask_b32_e32 v15, v15, v43, vcc_lo
	v_cndmask_b32_e64 v14, v14, v19, s3
	v_xor_b32_e32 v19, 0x80000000, v17
	s_delay_alu instid0(VALU_DEP_2) | instskip(NEXT) | instid1(VALU_DEP_1)
	v_dual_cndmask_b32 v1, v15, v1, s3 :: v_dual_cndmask_b32 v14, v14, v18, s41
	v_dual_cndmask_b32 v17, v19, v17, s2 :: v_dual_cndmask_b32 v1, v1, v20, s41
	s_delay_alu instid0(VALU_DEP_1)
	v_and_b32_e32 v15, 0x7fffffff, v1
.LBB42_194:                             ;   in Loop: Header=BB42_5 Depth=1
	s_or_b32 exec_lo, exec_lo, s40
                                        ; implicit-def: $vgpr20_vgpr21
.LBB42_195:                             ;   in Loop: Header=BB42_5 Depth=1
	s_and_not1_saveexec_b32 s2, s39
	s_cbranch_execz .LBB42_209
; %bb.196:                              ;   in Loop: Header=BB42_5 Depth=1
	v_cmp_neq_f64_e64 s3, 0x7ff00000, |v[18:19]|
                                        ; implicit-def: $vgpr16_vgpr17
	s_and_saveexec_b32 s4, s3
	s_delay_alu instid0(SALU_CYCLE_1)
	s_xor_b32 s3, exec_lo, s4
	s_cbranch_execz .LBB42_206
; %bb.197:                              ;   in Loop: Header=BB42_5 Depth=1
	v_cmp_neq_f64_e64 s4, 0x7ff00000, |v[20:21]|
	v_xor_b32_e32 v17, 0x80000000, v21
	v_mov_b32_e32 v16, v20
	s_and_saveexec_b32 s39, s4
	s_delay_alu instid0(SALU_CYCLE_1)
	s_xor_b32 s4, exec_lo, s39
	s_cbranch_execz .LBB42_203
; %bb.198:                              ;   in Loop: Header=BB42_5 Depth=1
	s_mov_b32 s39, exec_lo
                                        ; implicit-def: $vgpr16_vgpr17
	v_cmpx_neq_f64_e32 0, v[18:19]
	s_xor_b32 s39, exec_lo, s39
	s_cbranch_execz .LBB42_200
; %bb.199:                              ;   in Loop: Header=BB42_5 Depth=1
	v_add_f64_e32 v[14:15], 0, v[20:21]
                                        ; implicit-def: $vgpr20_vgpr21
	s_delay_alu instid0(VALU_DEP_1)
	v_add_f64_e32 v[16:17], v[18:19], v[14:15]
.LBB42_200:                             ;   in Loop: Header=BB42_5 Depth=1
	s_or_saveexec_b32 s39, s39
	s_delay_alu instid0(VALU_DEP_1)
	v_mov_b64_e32 v[14:15], v[16:17]
	s_xor_b32 exec_lo, exec_lo, s39
	s_cbranch_execz .LBB42_202
; %bb.201:                              ;   in Loop: Header=BB42_5 Depth=1
	flat_load_b64 v[14:15], v[26:27] scope:SCOPE_SYS
	s_wait_loadcnt 0x0
	v_add_f64_e32 v[16:17], v[20:21], v[20:21]
	s_wait_dscnt 0x0
	v_add_f64_e32 v[14:15], 0x3ff921fb54442d18, v[14:15]
.LBB42_202:                             ;   in Loop: Header=BB42_5 Depth=1
	s_wait_xcnt 0x0
	s_or_b32 exec_lo, exec_lo, s39
                                        ; implicit-def: $vgpr18_vgpr19
.LBB42_203:                             ;   in Loop: Header=BB42_5 Depth=1
	s_and_not1_saveexec_b32 s4, s4
; %bb.204:                              ;   in Loop: Header=BB42_5 Depth=1
	v_add_f64_e32 v[14:15], v[18:19], v[18:19]
; %bb.205:                              ;   in Loop: Header=BB42_5 Depth=1
	s_or_b32 exec_lo, exec_lo, s4
                                        ; implicit-def: $vgpr20_vgpr21
.LBB42_206:                             ;   in Loop: Header=BB42_5 Depth=1
	s_and_not1_saveexec_b32 s3, s3
	s_cbranch_execz .LBB42_208
; %bb.207:                              ;   in Loop: Header=BB42_5 Depth=1
	v_add_f64_e32 v[14:15], v[20:21], v[20:21]
	v_mov_b64_e32 v[16:17], 0xfff0000000000000
.LBB42_208:                             ;   in Loop: Header=BB42_5 Depth=1
	s_or_b32 exec_lo, exec_lo, s3
.LBB42_209:                             ;   in Loop: Header=BB42_5 Depth=1
	s_delay_alu instid0(SALU_CYCLE_1)
	s_or_b32 exec_lo, exec_lo, s2
	flat_store_b64 v[26:27], v[24:25] scope:SCOPE_SYS
	s_wait_storecnt 0x0
                                        ; implicit-def: $vgpr20_vgpr21
	s_mov_b32 s2, exec_lo
	s_wait_loadcnt 0x0
	v_cmpx_o_f64_e32 v[10:11], v[12:13]
	s_xor_b32 s39, exec_lo, s2
	s_cbranch_execz .LBB42_297
; %bb.210:                              ;   in Loop: Header=BB42_5 Depth=1
	v_max_num_f64_e64 v[46:47], |v[12:13]|, |v[12:13]|
	v_max_num_f64_e64 v[44:45], |v[10:11]|, |v[10:11]|
	v_cmp_gt_i64_e64 s2, 0, v[12:13]
                                        ; implicit-def: $vgpr20_vgpr21
	s_mov_b32 s3, exec_lo
	v_max_num_f64_e32 v[42:43], v[44:45], v[46:47]
	s_delay_alu instid0(VALU_DEP_1)
	v_cmpx_nlt_f64_e32 0x43300000, v[42:43]
	s_xor_b32 s40, exec_lo, s3
	s_cbranch_execz .LBB42_286
; %bb.211:                              ;   in Loop: Header=BB42_5 Depth=1
	v_cmp_neq_f64_e32 vcc_lo, 1.0, v[10:11]
	v_cmp_neq_f64_e64 s3, 0, v[12:13]
	v_xor_b32_e32 v21, 0x80000000, v13
	v_mov_b32_e32 v20, v12
	s_or_b32 s3, vcc_lo, s3
	s_delay_alu instid0(SALU_CYCLE_1) | instskip(NEXT) | instid1(SALU_CYCLE_1)
	s_and_saveexec_b32 s4, s3
	s_xor_b32 s41, exec_lo, s4
	s_cbranch_execz .LBB42_283
; %bb.212:                              ;   in Loop: Header=BB42_5 Depth=1
	flat_store_b32 v[30:31], v58 scope:SCOPE_SYS
	s_wait_storecnt_dscnt 0x2
	flat_load_b32 v1, v[30:31] scope:SCOPE_SYS
	s_wait_loadcnt 0x0
	v_cmp_nlt_f64_e64 s3, |v[10:11]|, s[12:13]
	v_cmp_nlt_f64_e64 s4, |v[12:13]|, s[12:13]
	v_mov_b32_e32 v20, v12
	s_or_b32 s3, s3, s4
	s_wait_dscnt 0x0
	v_add_f32_e32 v1, 1.0, v1
	flat_store_b32 v[34:35], v1 scope:SCOPE_SYS
	s_wait_storecnt 0x0
	flat_load_b32 v1, v[34:35] scope:SCOPE_SYS
	s_wait_loadcnt 0x0
	s_wait_xcnt 0x0
	s_and_saveexec_b32 s4, s3
	s_delay_alu instid0(SALU_CYCLE_1)
	s_xor_b32 s42, exec_lo, s4
	s_cbranch_execz .LBB42_280
; %bb.213:                              ;   in Loop: Header=BB42_5 Depth=1
	v_add_f64_e64 v[18:19], |v[10:11]|, -1.0
	v_add_f64_e64 v[44:45], |v[10:11]|, 1.0
	s_delay_alu instid0(VALU_DEP_2) | instskip(NEXT) | instid1(VALU_DEP_1)
	v_max_num_f64_e64 v[42:43], v[46:47], |v[18:19]|
	v_frexp_exp_i32_f64_e32 v61, v[42:43]
	s_delay_alu instid0(VALU_DEP_1) | instskip(NEXT) | instid1(VALU_DEP_1)
	v_sub_nc_u32_e32 v48, 0, v61
	v_ldexp_f64 v[42:43], |v[18:19]|, v48
	s_delay_alu instid0(VALU_DEP_1) | instskip(SKIP_1) | instid1(VALU_DEP_1)
	v_mul_f64_e32 v[42:43], v[42:43], v[42:43]
	v_ldexp_f64 v[48:49], |v[12:13]|, v48
	v_fmac_f64_e32 v[42:43], v[48:49], v[48:49]
	s_delay_alu instid0(VALU_DEP_1) | instskip(SKIP_1) | instid1(TRANS32_DEP_1)
	v_rsq_f64_e32 v[48:49], v[42:43]
	v_cmp_eq_f64_e64 s3, 0, v[42:43]
	v_mul_f64_e32 v[52:53], v[42:43], v[48:49]
	v_mul_f64_e32 v[48:49], 0.5, v[48:49]
	s_delay_alu instid0(VALU_DEP_1) | instskip(NEXT) | instid1(VALU_DEP_1)
	v_fma_f64 v[56:57], -v[48:49], v[52:53], 0.5
	v_fmac_f64_e32 v[52:53], v[52:53], v[56:57]
	v_fmac_f64_e32 v[48:49], v[48:49], v[56:57]
	s_delay_alu instid0(VALU_DEP_2) | instskip(NEXT) | instid1(VALU_DEP_1)
	v_fma_f64 v[56:57], -v[52:53], v[52:53], v[42:43]
	v_fmac_f64_e32 v[52:53], v[56:57], v[48:49]
	s_delay_alu instid0(VALU_DEP_1) | instskip(SKIP_1) | instid1(VALU_DEP_1)
	v_dual_max_num_f64 v[20:21], v[46:47], v[44:45] :: v_dual_cndmask_b32 v43, v53, v43, s3
	s_wait_dscnt 0x0
	v_frexp_exp_i32_f64_e32 v1, v[20:21]
	s_delay_alu instid0(VALU_DEP_3) | instskip(SKIP_1) | instid1(VALU_DEP_2)
	v_cndmask_b32_e64 v42, v52, v42, s3
	v_cmp_neq_f64_e64 s3, 0x7ff00000, |v[18:19]|
	v_ldexp_f64 v[42:43], v[42:43], v61
	s_delay_alu instid0(VALU_DEP_4) | instskip(NEXT) | instid1(VALU_DEP_1)
	v_sub_nc_u32_e32 v46, 0, v1
	v_ldexp_f64 v[20:21], v[44:45], v46
	v_ldexp_f64 v[46:47], |v[12:13]|, v46
	s_delay_alu instid0(VALU_DEP_2) | instskip(NEXT) | instid1(VALU_DEP_1)
	v_mul_f64_e32 v[20:21], v[20:21], v[20:21]
	v_fmac_f64_e32 v[20:21], v[46:47], v[46:47]
	s_delay_alu instid0(VALU_DEP_1) | instskip(SKIP_1) | instid1(TRANS32_DEP_1)
	v_rsq_f64_e32 v[46:47], v[20:21]
	v_cmp_eq_f64_e32 vcc_lo, 0, v[20:21]
	v_mul_f64_e32 v[50:51], v[20:21], v[46:47]
	v_mul_f64_e32 v[46:47], 0.5, v[46:47]
	s_delay_alu instid0(VALU_DEP_1) | instskip(NEXT) | instid1(VALU_DEP_1)
	v_fma_f64 v[54:55], -v[46:47], v[50:51], 0.5
	v_fmac_f64_e32 v[50:51], v[50:51], v[54:55]
	v_fmac_f64_e32 v[46:47], v[46:47], v[54:55]
	s_delay_alu instid0(VALU_DEP_2) | instskip(NEXT) | instid1(VALU_DEP_1)
	v_fma_f64 v[54:55], -v[50:51], v[50:51], v[20:21]
	v_fmac_f64_e32 v[50:51], v[54:55], v[46:47]
	v_cndmask_b32_e64 v47, 0x7ff00000, v43, s3
	v_cndmask_b32_e64 v46, 0, v42, s3
	s_mov_b32 s3, exec_lo
	s_delay_alu instid0(VALU_DEP_3) | instskip(SKIP_1) | instid1(VALU_DEP_2)
	v_dual_cndmask_b32 v21, v51, v21 :: v_dual_cndmask_b32 v20, v50, v20
	v_cmp_neq_f64_e32 vcc_lo, 0x7ff00000, v[44:45]
	v_ldexp_f64 v[20:21], v[20:21], v1
	s_delay_alu instid0(VALU_DEP_1) | instskip(NEXT) | instid1(VALU_DEP_2)
	v_cndmask_b32_e32 v49, 0x7ff00000, v21, vcc_lo
	v_cndmask_b32_e32 v48, 0, v20, vcc_lo
	s_delay_alu instid0(VALU_DEP_1) | instskip(NEXT) | instid1(VALU_DEP_1)
	v_add_f64_e32 v[20:21], v[48:49], v[46:47]
	v_mul_f64_e32 v[20:21], 0.5, v[20:21]
	s_delay_alu instid0(VALU_DEP_1) | instskip(SKIP_2) | instid1(VALU_DEP_1)
	v_cmp_ngt_f64_e32 vcc_lo, 1.0, v[20:21]
	v_cndmask_b32_e32 v43, 0x3ff00000, v21, vcc_lo
	v_cndmask_b32_e32 v42, 0, v20, vcc_lo
                                        ; implicit-def: $vgpr20_vgpr21
	v_cmpx_ngt_f64_e32 0x40240000, v[42:43]
	s_xor_b32 s3, exec_lo, s3
	s_cbranch_execz .LBB42_215
; %bb.214:                              ;   in Loop: Header=BB42_5 Depth=1
	v_fma_f64 v[20:21], v[42:43], v[42:43], -1.0
	s_delay_alu instid0(VALU_DEP_1) | instskip(SKIP_1) | instid1(VALU_DEP_1)
	v_cmp_gt_f64_e32 vcc_lo, 0x10000000, v[20:21]
	v_cndmask_b32_e64 v1, 0, 0x100, vcc_lo
	v_ldexp_f64 v[20:21], v[20:21], v1
	v_cndmask_b32_e64 v1, 0, 0xffffff80, vcc_lo
	s_delay_alu instid0(VALU_DEP_2) | instskip(SKIP_1) | instid1(TRANS32_DEP_1)
	v_rsq_f64_e32 v[50:51], v[20:21]
	v_cmp_class_f64_e64 vcc_lo, v[20:21], 0x260
	v_mul_f64_e32 v[52:53], v[20:21], v[50:51]
	v_mul_f64_e32 v[50:51], 0.5, v[50:51]
	s_delay_alu instid0(VALU_DEP_1) | instskip(NEXT) | instid1(VALU_DEP_1)
	v_fma_f64 v[54:55], -v[50:51], v[52:53], 0.5
	v_fmac_f64_e32 v[52:53], v[52:53], v[54:55]
	v_fmac_f64_e32 v[50:51], v[50:51], v[54:55]
	s_delay_alu instid0(VALU_DEP_2) | instskip(NEXT) | instid1(VALU_DEP_1)
	v_fma_f64 v[54:55], -v[52:53], v[52:53], v[20:21]
	v_fmac_f64_e32 v[52:53], v[54:55], v[50:51]
	s_delay_alu instid0(VALU_DEP_1) | instskip(NEXT) | instid1(VALU_DEP_1)
	v_fma_f64 v[54:55], -v[52:53], v[52:53], v[20:21]
	v_fmac_f64_e32 v[52:53], v[54:55], v[50:51]
	s_delay_alu instid0(VALU_DEP_1) | instskip(NEXT) | instid1(VALU_DEP_1)
	v_ldexp_f64 v[50:51], v[52:53], v1
	v_dual_cndmask_b32 v21, v51, v21 :: v_dual_cndmask_b32 v20, v50, v20
	s_delay_alu instid0(VALU_DEP_1) | instskip(NEXT) | instid1(VALU_DEP_1)
	v_add_f64_e32 v[20:21], v[42:43], v[20:21]
	v_frexp_mant_f64_e32 v[50:51], v[20:21]
	s_delay_alu instid0(VALU_DEP_1) | instskip(SKIP_1) | instid1(VALU_DEP_1)
	v_cmp_gt_f64_e32 vcc_lo, s[14:15], v[50:51]
	v_cndmask_b32_e64 v1, 0, 1, vcc_lo
	v_ldexp_f64 v[50:51], v[50:51], v1
	v_frexp_exp_i32_f64_e32 v1, v[20:21]
	s_delay_alu instid0(VALU_DEP_2) | instskip(NEXT) | instid1(VALU_DEP_2)
	v_add_f64_e32 v[52:53], 1.0, v[50:51]
	v_subrev_co_ci_u32_e64 v1, null, 0, v1, vcc_lo
	v_cmp_class_f64_e64 vcc_lo, v[20:21], 0x204
	v_add_f64_e32 v[62:63], -1.0, v[50:51]
	s_delay_alu instid0(VALU_DEP_4) | instskip(SKIP_1) | instid1(VALU_DEP_1)
	v_rcp_f64_e32 v[54:55], v[52:53]
	v_add_f64_e32 v[64:65], -1.0, v[52:53]
	v_add_f64_e64 v[50:51], v[50:51], -v[64:65]
	s_delay_alu instid0(TRANS32_DEP_1) | instskip(NEXT) | instid1(VALU_DEP_1)
	v_fma_f64 v[56:57], -v[52:53], v[54:55], 1.0
	v_fmac_f64_e32 v[54:55], v[56:57], v[54:55]
	s_delay_alu instid0(VALU_DEP_1) | instskip(NEXT) | instid1(VALU_DEP_1)
	v_fma_f64 v[56:57], -v[52:53], v[54:55], 1.0
	v_fmac_f64_e32 v[54:55], v[56:57], v[54:55]
	s_delay_alu instid0(VALU_DEP_1) | instskip(NEXT) | instid1(VALU_DEP_1)
	v_mul_f64_e32 v[56:57], v[62:63], v[54:55]
	v_mul_f64_e32 v[66:67], v[52:53], v[56:57]
	s_delay_alu instid0(VALU_DEP_1) | instskip(NEXT) | instid1(VALU_DEP_1)
	v_fma_f64 v[52:53], v[56:57], v[52:53], -v[66:67]
	v_fmac_f64_e32 v[52:53], v[56:57], v[50:51]
	s_delay_alu instid0(VALU_DEP_1) | instskip(NEXT) | instid1(VALU_DEP_1)
	v_add_f64_e32 v[50:51], v[66:67], v[52:53]
	v_add_f64_e64 v[64:65], v[62:63], -v[50:51]
	v_add_f64_e64 v[66:67], v[50:51], -v[66:67]
	s_delay_alu instid0(VALU_DEP_2) | instskip(NEXT) | instid1(VALU_DEP_2)
	v_add_f64_e64 v[62:63], v[62:63], -v[64:65]
	v_add_f64_e64 v[52:53], v[66:67], -v[52:53]
	s_delay_alu instid0(VALU_DEP_2) | instskip(NEXT) | instid1(VALU_DEP_1)
	v_add_f64_e64 v[50:51], v[62:63], -v[50:51]
	v_add_f64_e32 v[50:51], v[52:53], v[50:51]
	s_delay_alu instid0(VALU_DEP_1) | instskip(NEXT) | instid1(VALU_DEP_1)
	v_add_f64_e32 v[50:51], v[64:65], v[50:51]
	v_mul_f64_e32 v[50:51], v[54:55], v[50:51]
	s_delay_alu instid0(VALU_DEP_1) | instskip(NEXT) | instid1(VALU_DEP_1)
	v_add_f64_e32 v[52:53], v[56:57], v[50:51]
	v_mul_f64_e32 v[54:55], v[52:53], v[52:53]
	s_delay_alu instid0(VALU_DEP_1) | instskip(SKIP_1) | instid1(VALU_DEP_2)
	v_fmamk_f64 v[62:63], v[54:55], 0x3fc3ab76bf559e2b, v[28:29]
	v_mul_f64_e32 v[64:65], v[52:53], v[54:55]
	v_fmaak_f64 v[62:63], v[54:55], v[62:63], 0x3fc7474dd7f4df2e
	s_delay_alu instid0(VALU_DEP_1) | instskip(NEXT) | instid1(VALU_DEP_1)
	v_fmaak_f64 v[62:63], v[54:55], v[62:63], 0x3fcc71c016291751
	v_fmaak_f64 v[62:63], v[54:55], v[62:63], 0x3fd249249b27acf1
	s_delay_alu instid0(VALU_DEP_1) | instskip(NEXT) | instid1(VALU_DEP_1)
	v_fmaak_f64 v[62:63], v[54:55], v[62:63], 0x3fd99999998ef7b6
	v_fmaak_f64 v[54:55], v[54:55], v[62:63], 0x3fe5555555555780
	v_ldexp_f64 v[62:63], v[52:53], 1
	v_add_f64_e64 v[52:53], v[52:53], -v[56:57]
	s_delay_alu instid0(VALU_DEP_3) | instskip(SKIP_1) | instid1(VALU_DEP_3)
	v_mul_f64_e32 v[54:55], v[64:65], v[54:55]
	v_cvt_f64_i32_e32 v[64:65], v1
	v_add_f64_e64 v[50:51], v[50:51], -v[52:53]
	s_delay_alu instid0(VALU_DEP_3) | instskip(NEXT) | instid1(VALU_DEP_3)
	v_add_f64_e32 v[56:57], v[62:63], v[54:55]
	v_mul_f64_e32 v[66:67], 0x3fe62e42fefa39ef, v[64:65]
	s_delay_alu instid0(VALU_DEP_3) | instskip(NEXT) | instid1(VALU_DEP_3)
	v_ldexp_f64 v[50:51], v[50:51], 1
	v_add_f64_e64 v[52:53], v[56:57], -v[62:63]
	s_delay_alu instid0(VALU_DEP_3) | instskip(NEXT) | instid1(VALU_DEP_2)
	v_fma_f64 v[62:63], v[64:65], s[16:17], -v[66:67]
	v_add_f64_e64 v[52:53], v[54:55], -v[52:53]
	s_delay_alu instid0(VALU_DEP_2) | instskip(NEXT) | instid1(VALU_DEP_2)
	v_fmac_f64_e32 v[62:63], 0x3c7abc9e3b39803f, v[64:65]
	v_add_f64_e32 v[50:51], v[50:51], v[52:53]
	s_delay_alu instid0(VALU_DEP_2) | instskip(NEXT) | instid1(VALU_DEP_2)
	v_add_f64_e32 v[52:53], v[66:67], v[62:63]
	v_add_f64_e32 v[54:55], v[56:57], v[50:51]
	s_delay_alu instid0(VALU_DEP_2) | instskip(NEXT) | instid1(VALU_DEP_2)
	v_add_f64_e64 v[66:67], v[52:53], -v[66:67]
	v_add_f64_e32 v[64:65], v[52:53], v[54:55]
	v_add_f64_e64 v[56:57], v[54:55], -v[56:57]
	s_delay_alu instid0(VALU_DEP_3) | instskip(NEXT) | instid1(VALU_DEP_3)
	v_add_f64_e64 v[62:63], v[62:63], -v[66:67]
	v_add_f64_e64 v[68:69], v[64:65], -v[52:53]
	s_delay_alu instid0(VALU_DEP_3) | instskip(NEXT) | instid1(VALU_DEP_2)
	v_add_f64_e64 v[50:51], v[50:51], -v[56:57]
	v_add_f64_e64 v[70:71], v[64:65], -v[68:69]
	;; [unrolled: 1-line block ×3, first 2 shown]
	s_delay_alu instid0(VALU_DEP_3) | instskip(NEXT) | instid1(VALU_DEP_3)
	v_add_f64_e32 v[56:57], v[62:63], v[50:51]
	v_add_f64_e64 v[52:53], v[52:53], -v[70:71]
	s_delay_alu instid0(VALU_DEP_1) | instskip(NEXT) | instid1(VALU_DEP_3)
	v_add_f64_e32 v[52:53], v[54:55], v[52:53]
	v_add_f64_e64 v[54:55], v[56:57], -v[62:63]
	s_delay_alu instid0(VALU_DEP_2) | instskip(NEXT) | instid1(VALU_DEP_2)
	v_add_f64_e32 v[52:53], v[56:57], v[52:53]
	v_add_f64_e64 v[56:57], v[56:57], -v[54:55]
	v_add_f64_e64 v[50:51], v[50:51], -v[54:55]
	s_delay_alu instid0(VALU_DEP_3) | instskip(NEXT) | instid1(VALU_DEP_3)
	v_add_f64_e32 v[66:67], v[64:65], v[52:53]
	v_add_f64_e64 v[54:55], v[62:63], -v[56:57]
	s_delay_alu instid0(VALU_DEP_2) | instskip(NEXT) | instid1(VALU_DEP_2)
	v_add_f64_e64 v[56:57], v[66:67], -v[64:65]
	v_add_f64_e32 v[50:51], v[50:51], v[54:55]
	s_delay_alu instid0(VALU_DEP_2) | instskip(NEXT) | instid1(VALU_DEP_1)
	v_add_f64_e64 v[52:53], v[52:53], -v[56:57]
	v_add_f64_e32 v[50:51], v[50:51], v[52:53]
	s_delay_alu instid0(VALU_DEP_1) | instskip(NEXT) | instid1(VALU_DEP_1)
	v_add_f64_e32 v[50:51], v[66:67], v[50:51]
	v_dual_cndmask_b32 v1, v50, v20 :: v_dual_cndmask_b32 v50, v51, v21
	v_cmp_neq_f64_e32 vcc_lo, 0, v[20:21]
	s_delay_alu instid0(VALU_DEP_2) | instskip(NEXT) | instid1(VALU_DEP_3)
	v_cndmask_b32_e32 v21, 0xfff00000, v50, vcc_lo
	v_cndmask_b32_e32 v20, 0, v1, vcc_lo
.LBB42_215:                             ;   in Loop: Header=BB42_5 Depth=1
	s_or_saveexec_b32 s43, s3
	v_and_b32_e32 v51, 0x7fffffff, v13
	v_mov_b32_e32 v50, v12
	s_xor_b32 exec_lo, exec_lo, s43
	s_cbranch_execz .LBB42_237
; %bb.216:                              ;   in Loop: Header=BB42_5 Depth=1
	v_cmp_neq_f64_e64 s3, |v[10:11]|, 1.0
	v_cmp_ngt_f64_e64 s4, 0x39000000, |v[12:13]|
                                        ; implicit-def: $vgpr20_vgpr21
	s_or_b32 s3, s3, s4
	s_delay_alu instid0(SALU_CYCLE_1) | instskip(NEXT) | instid1(SALU_CYCLE_1)
	s_and_saveexec_b32 s4, s3
	s_xor_b32 s44, exec_lo, s4
	s_cbranch_execz .LBB42_234
; %bb.217:                              ;   in Loop: Header=BB42_5 Depth=1
	v_ldexp_f64 v[20:21], |v[18:19]|, 0xffffffcc
	s_delay_alu instid0(VALU_DEP_1) | instskip(SKIP_1) | instid1(SALU_CYCLE_1)
	v_cmp_ge_f64_e64 s3, |v[12:13]|, v[20:21]
                                        ; implicit-def: $vgpr20_vgpr21
	s_and_saveexec_b32 s4, s3
	s_xor_b32 s45, exec_lo, s4
	s_cbranch_execz .LBB42_227
; %bb.218:                              ;   in Loop: Header=BB42_5 Depth=1
	v_mov_b64_e32 v[20:21], v[50:51]
	s_mov_b32 s3, exec_lo
	v_cmpx_neq_f64_e32 0, v[44:45]
	s_cbranch_execz .LBB42_220
; %bb.219:                              ;   in Loop: Header=BB42_5 Depth=1
	v_mul_f64_e32 v[20:21], v[12:13], v[12:13]
	v_add_f64_e32 v[52:53], v[44:45], v[48:49]
	s_delay_alu instid0(VALU_DEP_1) | instskip(NEXT) | instid1(VALU_DEP_1)
	v_div_scale_f64 v[54:55], null, v[52:53], v[52:53], v[20:21]
	v_rcp_f64_e32 v[56:57], v[54:55]
	v_nop
	s_delay_alu instid0(TRANS32_DEP_1) | instskip(NEXT) | instid1(VALU_DEP_1)
	v_fma_f64 v[62:63], -v[54:55], v[56:57], 1.0
	v_fmac_f64_e32 v[56:57], v[56:57], v[62:63]
	s_delay_alu instid0(VALU_DEP_1) | instskip(NEXT) | instid1(VALU_DEP_1)
	v_fma_f64 v[62:63], -v[54:55], v[56:57], 1.0
	v_fmac_f64_e32 v[56:57], v[56:57], v[62:63]
	v_div_scale_f64 v[62:63], vcc_lo, v[20:21], v[52:53], v[20:21]
	s_delay_alu instid0(VALU_DEP_1) | instskip(NEXT) | instid1(VALU_DEP_1)
	v_mul_f64_e32 v[64:65], v[62:63], v[56:57]
	v_fma_f64 v[54:55], -v[54:55], v[64:65], v[62:63]
	s_delay_alu instid0(VALU_DEP_1) | instskip(NEXT) | instid1(VALU_DEP_1)
	v_div_fmas_f64 v[54:55], v[54:55], v[56:57], v[64:65]
	v_div_fixup_f64 v[20:21], v[54:55], v[52:53], v[20:21]
.LBB42_220:                             ;   in Loop: Header=BB42_5 Depth=1
	s_or_b32 exec_lo, exec_lo, s3
	v_add_f64_e64 v[54:55], -|v[10:11]|, 1.0
	s_mov_b32 s3, exec_lo
                                        ; implicit-def: $vgpr52_vgpr53
	s_delay_alu instid0(VALU_DEP_1)
	v_cmpx_ngt_f64_e32 0, v[54:55]
	s_xor_b32 s3, exec_lo, s3
	s_cbranch_execz .LBB42_224
; %bb.221:                              ;   in Loop: Header=BB42_5 Depth=1
	v_mov_b64_e32 v[52:53], v[50:51]
	s_mov_b32 s4, exec_lo
	v_cmpx_neq_f64_e32 0, v[54:55]
	s_cbranch_execz .LBB42_223
; %bb.222:                              ;   in Loop: Header=BB42_5 Depth=1
	v_mul_f64_e32 v[52:53], v[12:13], v[12:13]
	v_add_f64_e32 v[54:55], v[54:55], v[46:47]
	s_delay_alu instid0(VALU_DEP_1) | instskip(NEXT) | instid1(VALU_DEP_1)
	v_div_scale_f64 v[56:57], null, v[54:55], v[54:55], v[52:53]
	v_rcp_f64_e32 v[62:63], v[56:57]
	v_nop
	s_delay_alu instid0(TRANS32_DEP_1) | instskip(NEXT) | instid1(VALU_DEP_1)
	v_fma_f64 v[64:65], -v[56:57], v[62:63], 1.0
	v_fmac_f64_e32 v[62:63], v[62:63], v[64:65]
	s_delay_alu instid0(VALU_DEP_1) | instskip(NEXT) | instid1(VALU_DEP_1)
	v_fma_f64 v[64:65], -v[56:57], v[62:63], 1.0
	v_fmac_f64_e32 v[62:63], v[62:63], v[64:65]
	v_div_scale_f64 v[64:65], vcc_lo, v[52:53], v[54:55], v[52:53]
	s_delay_alu instid0(VALU_DEP_1) | instskip(NEXT) | instid1(VALU_DEP_1)
	v_mul_f64_e32 v[66:67], v[64:65], v[62:63]
	v_fma_f64 v[56:57], -v[56:57], v[66:67], v[64:65]
	s_delay_alu instid0(VALU_DEP_1) | instskip(NEXT) | instid1(VALU_DEP_1)
	v_div_fmas_f64 v[56:57], v[56:57], v[62:63], v[66:67]
	v_div_fixup_f64 v[52:53], v[56:57], v[54:55], v[52:53]
.LBB42_223:                             ;   in Loop: Header=BB42_5 Depth=1
	s_or_b32 exec_lo, exec_lo, s4
                                        ; implicit-def: $vgpr54_vgpr55
.LBB42_224:                             ;   in Loop: Header=BB42_5 Depth=1
	s_and_not1_saveexec_b32 s3, s3
; %bb.225:                              ;   in Loop: Header=BB42_5 Depth=1
	v_add_f64_e64 v[52:53], v[46:47], -v[54:55]
; %bb.226:                              ;   in Loop: Header=BB42_5 Depth=1
	s_or_b32 exec_lo, exec_lo, s3
	s_delay_alu instid0(VALU_DEP_1) | instskip(SKIP_1) | instid1(VALU_DEP_2)
	v_mul_f64_e32 v[52:53], 0.5, v[52:53]
	v_add_f64_e32 v[54:55], 1.0, v[42:43]
	v_fmac_f64_e32 v[52:53], 0.5, v[20:21]
	s_delay_alu instid0(VALU_DEP_1) | instskip(NEXT) | instid1(VALU_DEP_1)
	v_mul_f64_e32 v[20:21], v[54:55], v[52:53]
	v_cmp_gt_f64_e32 vcc_lo, 0x10000000, v[20:21]
	v_cndmask_b32_e64 v1, 0, 0x100, vcc_lo
	s_delay_alu instid0(VALU_DEP_1) | instskip(SKIP_1) | instid1(VALU_DEP_2)
	v_ldexp_f64 v[20:21], v[20:21], v1
	v_cndmask_b32_e64 v1, 0, 0xffffff80, vcc_lo
	v_rsq_f64_e32 v[54:55], v[20:21]
	v_cmp_class_f64_e64 vcc_lo, v[20:21], 0x260
	s_delay_alu instid0(TRANS32_DEP_1) | instskip(SKIP_1) | instid1(VALU_DEP_1)
	v_mul_f64_e32 v[56:57], v[20:21], v[54:55]
	v_mul_f64_e32 v[54:55], 0.5, v[54:55]
	v_fma_f64 v[62:63], -v[54:55], v[56:57], 0.5
	s_delay_alu instid0(VALU_DEP_1) | instskip(SKIP_1) | instid1(VALU_DEP_2)
	v_fmac_f64_e32 v[56:57], v[56:57], v[62:63]
	v_fmac_f64_e32 v[54:55], v[54:55], v[62:63]
	v_fma_f64 v[62:63], -v[56:57], v[56:57], v[20:21]
	s_delay_alu instid0(VALU_DEP_1) | instskip(NEXT) | instid1(VALU_DEP_1)
	v_fmac_f64_e32 v[56:57], v[62:63], v[54:55]
	v_fma_f64 v[62:63], -v[56:57], v[56:57], v[20:21]
	s_delay_alu instid0(VALU_DEP_1) | instskip(NEXT) | instid1(VALU_DEP_1)
	v_fmac_f64_e32 v[56:57], v[62:63], v[54:55]
	v_ldexp_f64 v[54:55], v[56:57], v1
	s_delay_alu instid0(VALU_DEP_1) | instskip(NEXT) | instid1(VALU_DEP_1)
	v_dual_cndmask_b32 v21, v55, v21 :: v_dual_cndmask_b32 v20, v54, v20
	v_add_f64_e32 v[52:53], v[52:53], v[20:21]
	s_delay_alu instid0(VALU_DEP_1) | instskip(SKIP_2) | instid1(VALU_DEP_3)
	v_add_f64_e32 v[20:21], 1.0, v[52:53]
	v_cmp_neq_f64_e64 s3, 0x7ff00000, v[52:53]
	v_cmp_ngt_f64_e64 s4, -1.0, v[52:53]
	v_frexp_mant_f64_e32 v[54:55], v[20:21]
	v_frexp_exp_i32_f64_e32 v1, v[20:21]
	v_add_f64_e32 v[56:57], -1.0, v[20:21]
	s_delay_alu instid0(VALU_DEP_3) | instskip(NEXT) | instid1(VALU_DEP_2)
	v_cmp_gt_f64_e32 vcc_lo, s[14:15], v[54:55]
	v_add_f64_e64 v[54:55], v[56:57], -v[20:21]
	v_add_f64_e64 v[56:57], v[52:53], -v[56:57]
	v_subrev_co_ci_u32_e64 v1, null, 0, v1, vcc_lo
	s_delay_alu instid0(VALU_DEP_3) | instskip(SKIP_1) | instid1(VALU_DEP_3)
	v_add_f64_e32 v[54:55], 1.0, v[54:55]
	v_cmp_nge_f64_e32 vcc_lo, -1.0, v[52:53]
	v_sub_nc_u32_e32 v61, 0, v1
	s_delay_alu instid0(VALU_DEP_1) | instskip(NEXT) | instid1(VALU_DEP_4)
	v_ldexp_f64 v[20:21], v[20:21], v61
	v_add_f64_e32 v[54:55], v[56:57], v[54:55]
	s_and_b32 vcc_lo, vcc_lo, s3
	s_delay_alu instid0(VALU_DEP_2) | instskip(SKIP_1) | instid1(VALU_DEP_3)
	v_add_f64_e32 v[62:63], 1.0, v[20:21]
	v_add_f64_e32 v[68:69], -1.0, v[20:21]
	v_ldexp_f64 v[54:55], v[54:55], v61
	s_delay_alu instid0(VALU_DEP_3) | instskip(NEXT) | instid1(VALU_DEP_3)
	v_add_f64_e32 v[56:57], -1.0, v[62:63]
	v_add_f64_e32 v[70:71], 1.0, v[68:69]
	s_delay_alu instid0(VALU_DEP_2) | instskip(NEXT) | instid1(VALU_DEP_2)
	v_add_f64_e64 v[56:57], v[20:21], -v[56:57]
	v_add_f64_e64 v[20:21], v[20:21], -v[70:71]
	s_delay_alu instid0(VALU_DEP_2) | instskip(NEXT) | instid1(VALU_DEP_2)
	v_add_f64_e32 v[56:57], v[54:55], v[56:57]
	v_add_f64_e32 v[20:21], v[54:55], v[20:21]
	s_delay_alu instid0(VALU_DEP_2) | instskip(NEXT) | instid1(VALU_DEP_2)
	v_add_f64_e32 v[64:65], v[62:63], v[56:57]
	v_add_f64_e32 v[70:71], v[68:69], v[20:21]
	s_delay_alu instid0(VALU_DEP_2) | instskip(SKIP_1) | instid1(VALU_DEP_2)
	v_rcp_f64_e32 v[66:67], v[64:65]
	v_add_f64_e64 v[62:63], v[64:65], -v[62:63]
	v_add_f64_e64 v[68:69], v[70:71], -v[68:69]
	s_delay_alu instid0(VALU_DEP_2) | instskip(NEXT) | instid1(VALU_DEP_2)
	v_add_f64_e64 v[56:57], v[56:57], -v[62:63]
	v_add_f64_e64 v[20:21], v[20:21], -v[68:69]
	s_delay_alu instid0(TRANS32_DEP_1) | instskip(NEXT) | instid1(VALU_DEP_1)
	v_fma_f64 v[72:73], -v[64:65], v[66:67], 1.0
	v_fmac_f64_e32 v[66:67], v[72:73], v[66:67]
	s_delay_alu instid0(VALU_DEP_1) | instskip(NEXT) | instid1(VALU_DEP_1)
	v_fma_f64 v[54:55], -v[64:65], v[66:67], 1.0
	v_fmac_f64_e32 v[66:67], v[54:55], v[66:67]
	s_delay_alu instid0(VALU_DEP_1) | instskip(NEXT) | instid1(VALU_DEP_1)
	v_mul_f64_e32 v[54:55], v[70:71], v[66:67]
	v_mul_f64_e32 v[72:73], v[64:65], v[54:55]
	s_delay_alu instid0(VALU_DEP_1) | instskip(NEXT) | instid1(VALU_DEP_1)
	v_fma_f64 v[62:63], v[54:55], v[64:65], -v[72:73]
	v_fmac_f64_e32 v[62:63], v[54:55], v[56:57]
	s_delay_alu instid0(VALU_DEP_1) | instskip(NEXT) | instid1(VALU_DEP_1)
	v_add_f64_e32 v[74:75], v[72:73], v[62:63]
	v_add_f64_e64 v[76:77], v[70:71], -v[74:75]
	v_add_f64_e64 v[68:69], v[74:75], -v[72:73]
	s_delay_alu instid0(VALU_DEP_2) | instskip(NEXT) | instid1(VALU_DEP_2)
	v_add_f64_e64 v[70:71], v[70:71], -v[76:77]
	v_add_f64_e64 v[62:63], v[68:69], -v[62:63]
	s_delay_alu instid0(VALU_DEP_2) | instskip(NEXT) | instid1(VALU_DEP_1)
	v_add_f64_e64 v[70:71], v[70:71], -v[74:75]
	v_add_f64_e32 v[20:21], v[20:21], v[70:71]
	s_delay_alu instid0(VALU_DEP_1) | instskip(NEXT) | instid1(VALU_DEP_1)
	v_add_f64_e32 v[20:21], v[62:63], v[20:21]
	v_add_f64_e32 v[62:63], v[76:77], v[20:21]
	s_delay_alu instid0(VALU_DEP_1) | instskip(SKIP_1) | instid1(VALU_DEP_2)
	v_mul_f64_e32 v[68:69], v[66:67], v[62:63]
	v_add_f64_e64 v[74:75], v[76:77], -v[62:63]
	v_mul_f64_e32 v[70:71], v[64:65], v[68:69]
	s_delay_alu instid0(VALU_DEP_2) | instskip(NEXT) | instid1(VALU_DEP_2)
	v_add_f64_e32 v[20:21], v[20:21], v[74:75]
	v_fma_f64 v[64:65], v[68:69], v[64:65], -v[70:71]
	s_delay_alu instid0(VALU_DEP_1) | instskip(NEXT) | instid1(VALU_DEP_1)
	v_fmac_f64_e32 v[64:65], v[68:69], v[56:57]
	v_add_f64_e32 v[56:57], v[70:71], v[64:65]
	s_delay_alu instid0(VALU_DEP_1) | instskip(SKIP_1) | instid1(VALU_DEP_2)
	v_add_f64_e64 v[72:73], v[62:63], -v[56:57]
	v_add_f64_e64 v[70:71], v[56:57], -v[70:71]
	;; [unrolled: 1-line block ×3, first 2 shown]
	s_delay_alu instid0(VALU_DEP_1) | instskip(NEXT) | instid1(VALU_DEP_3)
	v_add_f64_e64 v[56:57], v[62:63], -v[56:57]
	v_add_f64_e64 v[62:63], v[70:71], -v[64:65]
	s_delay_alu instid0(VALU_DEP_2) | instskip(SKIP_1) | instid1(VALU_DEP_2)
	v_add_f64_e32 v[20:21], v[20:21], v[56:57]
	v_add_f64_e32 v[56:57], v[54:55], v[68:69]
	;; [unrolled: 1-line block ×3, first 2 shown]
	s_delay_alu instid0(VALU_DEP_2) | instskip(NEXT) | instid1(VALU_DEP_2)
	v_add_f64_e64 v[54:55], v[56:57], -v[54:55]
	v_add_f64_e32 v[20:21], v[72:73], v[20:21]
	s_delay_alu instid0(VALU_DEP_2) | instskip(NEXT) | instid1(VALU_DEP_2)
	v_add_f64_e64 v[54:55], v[68:69], -v[54:55]
	v_mul_f64_e32 v[20:21], v[66:67], v[20:21]
	s_delay_alu instid0(VALU_DEP_1) | instskip(NEXT) | instid1(VALU_DEP_1)
	v_add_f64_e32 v[20:21], v[54:55], v[20:21]
	v_add_f64_e32 v[54:55], v[56:57], v[20:21]
	s_delay_alu instid0(VALU_DEP_1) | instskip(NEXT) | instid1(VALU_DEP_1)
	v_mul_f64_e32 v[62:63], v[54:55], v[54:55]
	v_fmamk_f64 v[64:65], v[62:63], 0x3fc3ab76bf559e2b, v[28:29]
	v_mul_f64_e32 v[66:67], v[54:55], v[62:63]
	s_delay_alu instid0(VALU_DEP_2) | instskip(NEXT) | instid1(VALU_DEP_1)
	v_fmaak_f64 v[64:65], v[62:63], v[64:65], 0x3fc7474dd7f4df2e
	v_fmaak_f64 v[64:65], v[62:63], v[64:65], 0x3fcc71c016291751
	s_delay_alu instid0(VALU_DEP_1) | instskip(NEXT) | instid1(VALU_DEP_1)
	v_fmaak_f64 v[64:65], v[62:63], v[64:65], 0x3fd249249b27acf1
	v_fmaak_f64 v[64:65], v[62:63], v[64:65], 0x3fd99999998ef7b6
	s_delay_alu instid0(VALU_DEP_1) | instskip(SKIP_2) | instid1(VALU_DEP_3)
	v_fmaak_f64 v[62:63], v[62:63], v[64:65], 0x3fe5555555555780
	v_ldexp_f64 v[64:65], v[54:55], 1
	v_add_f64_e64 v[54:55], v[54:55], -v[56:57]
	v_mul_f64_e32 v[62:63], v[66:67], v[62:63]
	v_cvt_f64_i32_e32 v[66:67], v1
	s_delay_alu instid0(VALU_DEP_3) | instskip(NEXT) | instid1(VALU_DEP_3)
	v_add_f64_e64 v[20:21], v[20:21], -v[54:55]
	v_add_f64_e32 v[56:57], v[64:65], v[62:63]
	s_delay_alu instid0(VALU_DEP_3) | instskip(NEXT) | instid1(VALU_DEP_3)
	v_mul_f64_e32 v[68:69], 0x3fe62e42fefa39ef, v[66:67]
	v_ldexp_f64 v[20:21], v[20:21], 1
	s_delay_alu instid0(VALU_DEP_3) | instskip(NEXT) | instid1(VALU_DEP_3)
	v_add_f64_e64 v[54:55], v[56:57], -v[64:65]
	v_fma_f64 v[64:65], v[66:67], s[16:17], -v[68:69]
	s_delay_alu instid0(VALU_DEP_2) | instskip(NEXT) | instid1(VALU_DEP_2)
	v_add_f64_e64 v[54:55], v[62:63], -v[54:55]
	v_fmac_f64_e32 v[64:65], 0x3c7abc9e3b39803f, v[66:67]
	s_delay_alu instid0(VALU_DEP_2) | instskip(NEXT) | instid1(VALU_DEP_2)
	v_add_f64_e32 v[20:21], v[20:21], v[54:55]
	v_add_f64_e32 v[54:55], v[68:69], v[64:65]
	s_delay_alu instid0(VALU_DEP_2) | instskip(NEXT) | instid1(VALU_DEP_2)
	v_add_f64_e32 v[62:63], v[56:57], v[20:21]
	v_add_f64_e64 v[68:69], v[54:55], -v[68:69]
	s_delay_alu instid0(VALU_DEP_2) | instskip(SKIP_1) | instid1(VALU_DEP_3)
	v_add_f64_e32 v[66:67], v[54:55], v[62:63]
	v_add_f64_e64 v[56:57], v[62:63], -v[56:57]
	v_add_f64_e64 v[64:65], v[64:65], -v[68:69]
	s_delay_alu instid0(VALU_DEP_3) | instskip(NEXT) | instid1(VALU_DEP_3)
	v_add_f64_e64 v[70:71], v[66:67], -v[54:55]
	v_add_f64_e64 v[20:21], v[20:21], -v[56:57]
	s_delay_alu instid0(VALU_DEP_2) | instskip(SKIP_1) | instid1(VALU_DEP_3)
	v_add_f64_e64 v[72:73], v[66:67], -v[70:71]
	v_add_f64_e64 v[56:57], v[62:63], -v[70:71]
	v_add_f64_e32 v[62:63], v[64:65], v[20:21]
	s_delay_alu instid0(VALU_DEP_3) | instskip(NEXT) | instid1(VALU_DEP_1)
	v_add_f64_e64 v[54:55], v[54:55], -v[72:73]
	v_add_f64_e32 v[54:55], v[56:57], v[54:55]
	s_delay_alu instid0(VALU_DEP_3) | instskip(NEXT) | instid1(VALU_DEP_2)
	v_add_f64_e64 v[56:57], v[62:63], -v[64:65]
	v_add_f64_e32 v[54:55], v[62:63], v[54:55]
	s_delay_alu instid0(VALU_DEP_2) | instskip(SKIP_1) | instid1(VALU_DEP_3)
	v_add_f64_e64 v[62:63], v[62:63], -v[56:57]
	v_add_f64_e64 v[20:21], v[20:21], -v[56:57]
	v_add_f64_e32 v[68:69], v[66:67], v[54:55]
	s_delay_alu instid0(VALU_DEP_3) | instskip(NEXT) | instid1(VALU_DEP_2)
	v_add_f64_e64 v[62:63], v[64:65], -v[62:63]
	v_add_f64_e64 v[56:57], v[68:69], -v[66:67]
	s_delay_alu instid0(VALU_DEP_2) | instskip(NEXT) | instid1(VALU_DEP_2)
	v_add_f64_e32 v[20:21], v[20:21], v[62:63]
	v_add_f64_e64 v[54:55], v[54:55], -v[56:57]
	s_delay_alu instid0(VALU_DEP_1) | instskip(NEXT) | instid1(VALU_DEP_1)
	v_add_f64_e32 v[20:21], v[20:21], v[54:55]
	v_add_f64_e32 v[20:21], v[68:69], v[20:21]
	s_delay_alu instid0(VALU_DEP_1) | instskip(SKIP_1) | instid1(VALU_DEP_3)
	v_cndmask_b32_e32 v20, 0, v20, vcc_lo
	v_cmp_neq_f64_e32 vcc_lo, -1.0, v[52:53]
	v_cndmask_b32_e64 v1, 0x7ff00000, v21, s3
	s_delay_alu instid0(VALU_DEP_1) | instskip(NEXT) | instid1(VALU_DEP_1)
	v_cndmask_b32_e64 v1, 0x7ff80000, v1, s4
	v_cndmask_b32_e32 v21, 0xfff00000, v1, vcc_lo
.LBB42_227:                             ;   in Loop: Header=BB42_5 Depth=1
	s_and_not1_saveexec_b32 s45, s45
	s_cbranch_execz .LBB42_233
; %bb.228:                              ;   in Loop: Header=BB42_5 Depth=1
                                        ; implicit-def: $vgpr20_vgpr21
	s_mov_b32 s4, exec_lo
	v_cmpx_nlt_f64_e64 |v[10:11]|, 1.0
	s_xor_b32 s46, exec_lo, s4
	s_cbranch_execz .LBB42_230
; %bb.229:                              ;   in Loop: Header=BB42_5 Depth=1
	v_mul_f64_e32 v[20:21], v[18:19], v[44:45]
	s_delay_alu instid0(VALU_DEP_1) | instskip(SKIP_1) | instid1(VALU_DEP_1)
	v_cmp_gt_f64_e32 vcc_lo, 0x10000000, v[20:21]
	v_cndmask_b32_e64 v1, 0, 0x100, vcc_lo
	v_ldexp_f64 v[20:21], v[20:21], v1
	v_cndmask_b32_e64 v1, 0, 0xffffff80, vcc_lo
	s_delay_alu instid0(VALU_DEP_2) | instskip(SKIP_1) | instid1(TRANS32_DEP_1)
	v_rsq_f64_e32 v[52:53], v[20:21]
	v_cmp_class_f64_e64 vcc_lo, v[20:21], 0x260
	v_mul_f64_e32 v[54:55], v[20:21], v[52:53]
	v_mul_f64_e32 v[52:53], 0.5, v[52:53]
	s_delay_alu instid0(VALU_DEP_1) | instskip(NEXT) | instid1(VALU_DEP_1)
	v_fma_f64 v[56:57], -v[52:53], v[54:55], 0.5
	v_fmac_f64_e32 v[54:55], v[54:55], v[56:57]
	v_fmac_f64_e32 v[52:53], v[52:53], v[56:57]
	s_delay_alu instid0(VALU_DEP_2) | instskip(NEXT) | instid1(VALU_DEP_1)
	v_fma_f64 v[56:57], -v[54:55], v[54:55], v[20:21]
	v_fmac_f64_e32 v[54:55], v[56:57], v[52:53]
	s_delay_alu instid0(VALU_DEP_1) | instskip(NEXT) | instid1(VALU_DEP_1)
	v_fma_f64 v[56:57], -v[54:55], v[54:55], v[20:21]
	v_fmac_f64_e32 v[54:55], v[56:57], v[52:53]
	s_delay_alu instid0(VALU_DEP_1) | instskip(NEXT) | instid1(VALU_DEP_1)
	v_ldexp_f64 v[52:53], v[54:55], v1
	v_dual_cndmask_b32 v21, v53, v21 :: v_dual_cndmask_b32 v20, v52, v20
	s_delay_alu instid0(VALU_DEP_1) | instskip(NEXT) | instid1(VALU_DEP_1)
	v_add_f64_e32 v[52:53], v[18:19], v[20:21]
	v_add_f64_e32 v[20:21], 1.0, v[52:53]
	v_cmp_neq_f64_e64 s3, 0x7ff00000, v[52:53]
	v_cmp_ngt_f64_e64 s4, -1.0, v[52:53]
	s_delay_alu instid0(VALU_DEP_3) | instskip(SKIP_2) | instid1(VALU_DEP_3)
	v_frexp_mant_f64_e32 v[54:55], v[20:21]
	v_add_f64_e32 v[56:57], -1.0, v[20:21]
	v_frexp_exp_i32_f64_e32 v1, v[20:21]
	v_cmp_gt_f64_e32 vcc_lo, s[14:15], v[54:55]
	s_delay_alu instid0(VALU_DEP_3) | instskip(SKIP_1) | instid1(VALU_DEP_4)
	v_add_f64_e64 v[54:55], v[56:57], -v[20:21]
	v_add_f64_e64 v[56:57], v[52:53], -v[56:57]
	v_subrev_co_ci_u32_e64 v1, null, 0, v1, vcc_lo
	v_cmp_nge_f64_e32 vcc_lo, -1.0, v[52:53]
	s_delay_alu instid0(VALU_DEP_2) | instskip(NEXT) | instid1(VALU_DEP_1)
	v_dual_add_f64 v[54:55], 1.0, v[54:55] :: v_dual_sub_nc_u32 v61, 0, v1
	v_ldexp_f64 v[20:21], v[20:21], v61
	s_and_b32 vcc_lo, vcc_lo, s3
	s_delay_alu instid0(VALU_DEP_2) | instskip(NEXT) | instid1(VALU_DEP_2)
	v_add_f64_e32 v[54:55], v[56:57], v[54:55]
	v_add_f64_e32 v[62:63], 1.0, v[20:21]
	v_add_f64_e32 v[68:69], -1.0, v[20:21]
	s_delay_alu instid0(VALU_DEP_3) | instskip(NEXT) | instid1(VALU_DEP_3)
	v_ldexp_f64 v[54:55], v[54:55], v61
	v_add_f64_e32 v[56:57], -1.0, v[62:63]
	s_delay_alu instid0(VALU_DEP_3) | instskip(NEXT) | instid1(VALU_DEP_2)
	v_add_f64_e32 v[70:71], 1.0, v[68:69]
	v_add_f64_e64 v[56:57], v[20:21], -v[56:57]
	s_delay_alu instid0(VALU_DEP_2) | instskip(NEXT) | instid1(VALU_DEP_2)
	v_add_f64_e64 v[20:21], v[20:21], -v[70:71]
	v_add_f64_e32 v[56:57], v[54:55], v[56:57]
	s_delay_alu instid0(VALU_DEP_2) | instskip(NEXT) | instid1(VALU_DEP_2)
	v_add_f64_e32 v[20:21], v[54:55], v[20:21]
	v_add_f64_e32 v[64:65], v[62:63], v[56:57]
	s_delay_alu instid0(VALU_DEP_2) | instskip(NEXT) | instid1(VALU_DEP_2)
	v_add_f64_e32 v[70:71], v[68:69], v[20:21]
	v_rcp_f64_e32 v[66:67], v[64:65]
	v_add_f64_e64 v[62:63], v[64:65], -v[62:63]
	s_delay_alu instid0(VALU_DEP_2) | instskip(NEXT) | instid1(VALU_DEP_2)
	v_add_f64_e64 v[68:69], v[70:71], -v[68:69]
	v_add_f64_e64 v[56:57], v[56:57], -v[62:63]
	s_delay_alu instid0(VALU_DEP_2) | instskip(NEXT) | instid1(TRANS32_DEP_1)
	v_add_f64_e64 v[20:21], v[20:21], -v[68:69]
	v_fma_f64 v[72:73], -v[64:65], v[66:67], 1.0
	s_delay_alu instid0(VALU_DEP_1) | instskip(NEXT) | instid1(VALU_DEP_1)
	v_fmac_f64_e32 v[66:67], v[72:73], v[66:67]
	v_fma_f64 v[54:55], -v[64:65], v[66:67], 1.0
	s_delay_alu instid0(VALU_DEP_1) | instskip(NEXT) | instid1(VALU_DEP_1)
	v_fmac_f64_e32 v[66:67], v[54:55], v[66:67]
	v_mul_f64_e32 v[54:55], v[70:71], v[66:67]
	s_delay_alu instid0(VALU_DEP_1) | instskip(NEXT) | instid1(VALU_DEP_1)
	v_mul_f64_e32 v[72:73], v[64:65], v[54:55]
	v_fma_f64 v[62:63], v[54:55], v[64:65], -v[72:73]
	s_delay_alu instid0(VALU_DEP_1) | instskip(NEXT) | instid1(VALU_DEP_1)
	v_fmac_f64_e32 v[62:63], v[54:55], v[56:57]
	v_add_f64_e32 v[74:75], v[72:73], v[62:63]
	s_delay_alu instid0(VALU_DEP_1) | instskip(SKIP_1) | instid1(VALU_DEP_2)
	v_add_f64_e64 v[76:77], v[70:71], -v[74:75]
	v_add_f64_e64 v[68:69], v[74:75], -v[72:73]
	;; [unrolled: 1-line block ×3, first 2 shown]
	s_delay_alu instid0(VALU_DEP_2) | instskip(NEXT) | instid1(VALU_DEP_2)
	v_add_f64_e64 v[62:63], v[68:69], -v[62:63]
	v_add_f64_e64 v[70:71], v[70:71], -v[74:75]
	s_delay_alu instid0(VALU_DEP_1) | instskip(NEXT) | instid1(VALU_DEP_1)
	v_add_f64_e32 v[20:21], v[20:21], v[70:71]
	v_add_f64_e32 v[20:21], v[62:63], v[20:21]
	s_delay_alu instid0(VALU_DEP_1) | instskip(NEXT) | instid1(VALU_DEP_1)
	v_add_f64_e32 v[62:63], v[76:77], v[20:21]
	v_mul_f64_e32 v[68:69], v[66:67], v[62:63]
	v_add_f64_e64 v[74:75], v[76:77], -v[62:63]
	s_delay_alu instid0(VALU_DEP_2) | instskip(NEXT) | instid1(VALU_DEP_2)
	v_mul_f64_e32 v[70:71], v[64:65], v[68:69]
	v_add_f64_e32 v[20:21], v[20:21], v[74:75]
	s_delay_alu instid0(VALU_DEP_2) | instskip(NEXT) | instid1(VALU_DEP_1)
	v_fma_f64 v[64:65], v[68:69], v[64:65], -v[70:71]
	v_fmac_f64_e32 v[64:65], v[68:69], v[56:57]
	s_delay_alu instid0(VALU_DEP_1) | instskip(NEXT) | instid1(VALU_DEP_1)
	v_add_f64_e32 v[56:57], v[70:71], v[64:65]
	v_add_f64_e64 v[72:73], v[62:63], -v[56:57]
	v_add_f64_e64 v[70:71], v[56:57], -v[70:71]
	s_delay_alu instid0(VALU_DEP_2) | instskip(NEXT) | instid1(VALU_DEP_1)
	v_add_f64_e64 v[62:63], v[62:63], -v[72:73]
	v_add_f64_e64 v[56:57], v[62:63], -v[56:57]
	s_delay_alu instid0(VALU_DEP_3) | instskip(NEXT) | instid1(VALU_DEP_2)
	v_add_f64_e64 v[62:63], v[70:71], -v[64:65]
	v_add_f64_e32 v[20:21], v[20:21], v[56:57]
	v_add_f64_e32 v[56:57], v[54:55], v[68:69]
	s_delay_alu instid0(VALU_DEP_2) | instskip(NEXT) | instid1(VALU_DEP_2)
	v_add_f64_e32 v[20:21], v[62:63], v[20:21]
	v_add_f64_e64 v[54:55], v[56:57], -v[54:55]
	s_delay_alu instid0(VALU_DEP_2) | instskip(NEXT) | instid1(VALU_DEP_2)
	v_add_f64_e32 v[20:21], v[72:73], v[20:21]
	v_add_f64_e64 v[54:55], v[68:69], -v[54:55]
	s_delay_alu instid0(VALU_DEP_2) | instskip(NEXT) | instid1(VALU_DEP_1)
	v_mul_f64_e32 v[20:21], v[66:67], v[20:21]
	v_add_f64_e32 v[20:21], v[54:55], v[20:21]
	s_delay_alu instid0(VALU_DEP_1) | instskip(NEXT) | instid1(VALU_DEP_1)
	v_add_f64_e32 v[54:55], v[56:57], v[20:21]
	v_mul_f64_e32 v[62:63], v[54:55], v[54:55]
	s_delay_alu instid0(VALU_DEP_1) | instskip(SKIP_1) | instid1(VALU_DEP_2)
	v_fmamk_f64 v[64:65], v[62:63], 0x3fc3ab76bf559e2b, v[28:29]
	v_mul_f64_e32 v[66:67], v[54:55], v[62:63]
	v_fmaak_f64 v[64:65], v[62:63], v[64:65], 0x3fc7474dd7f4df2e
	s_delay_alu instid0(VALU_DEP_1) | instskip(NEXT) | instid1(VALU_DEP_1)
	v_fmaak_f64 v[64:65], v[62:63], v[64:65], 0x3fcc71c016291751
	v_fmaak_f64 v[64:65], v[62:63], v[64:65], 0x3fd249249b27acf1
	s_delay_alu instid0(VALU_DEP_1) | instskip(NEXT) | instid1(VALU_DEP_1)
	v_fmaak_f64 v[64:65], v[62:63], v[64:65], 0x3fd99999998ef7b6
	v_fmaak_f64 v[62:63], v[62:63], v[64:65], 0x3fe5555555555780
	v_ldexp_f64 v[64:65], v[54:55], 1
	v_add_f64_e64 v[54:55], v[54:55], -v[56:57]
	s_delay_alu instid0(VALU_DEP_3) | instskip(SKIP_1) | instid1(VALU_DEP_3)
	v_mul_f64_e32 v[62:63], v[66:67], v[62:63]
	v_cvt_f64_i32_e32 v[66:67], v1
	v_add_f64_e64 v[20:21], v[20:21], -v[54:55]
	s_delay_alu instid0(VALU_DEP_3) | instskip(NEXT) | instid1(VALU_DEP_3)
	v_add_f64_e32 v[56:57], v[64:65], v[62:63]
	v_mul_f64_e32 v[68:69], 0x3fe62e42fefa39ef, v[66:67]
	s_delay_alu instid0(VALU_DEP_3) | instskip(NEXT) | instid1(VALU_DEP_3)
	v_ldexp_f64 v[20:21], v[20:21], 1
	v_add_f64_e64 v[54:55], v[56:57], -v[64:65]
	s_delay_alu instid0(VALU_DEP_3) | instskip(NEXT) | instid1(VALU_DEP_2)
	v_fma_f64 v[64:65], v[66:67], s[16:17], -v[68:69]
	v_add_f64_e64 v[54:55], v[62:63], -v[54:55]
	s_delay_alu instid0(VALU_DEP_2) | instskip(NEXT) | instid1(VALU_DEP_2)
	v_fmac_f64_e32 v[64:65], 0x3c7abc9e3b39803f, v[66:67]
	v_add_f64_e32 v[20:21], v[20:21], v[54:55]
	s_delay_alu instid0(VALU_DEP_2) | instskip(NEXT) | instid1(VALU_DEP_2)
	v_add_f64_e32 v[54:55], v[68:69], v[64:65]
	v_add_f64_e32 v[62:63], v[56:57], v[20:21]
	s_delay_alu instid0(VALU_DEP_2) | instskip(NEXT) | instid1(VALU_DEP_2)
	v_add_f64_e64 v[68:69], v[54:55], -v[68:69]
	v_add_f64_e32 v[66:67], v[54:55], v[62:63]
	v_add_f64_e64 v[56:57], v[62:63], -v[56:57]
	s_delay_alu instid0(VALU_DEP_3) | instskip(NEXT) | instid1(VALU_DEP_3)
	v_add_f64_e64 v[64:65], v[64:65], -v[68:69]
	v_add_f64_e64 v[70:71], v[66:67], -v[54:55]
	s_delay_alu instid0(VALU_DEP_3) | instskip(NEXT) | instid1(VALU_DEP_2)
	v_add_f64_e64 v[20:21], v[20:21], -v[56:57]
	v_add_f64_e64 v[72:73], v[66:67], -v[70:71]
	;; [unrolled: 1-line block ×3, first 2 shown]
	s_delay_alu instid0(VALU_DEP_3) | instskip(NEXT) | instid1(VALU_DEP_3)
	v_add_f64_e32 v[62:63], v[64:65], v[20:21]
	v_add_f64_e64 v[54:55], v[54:55], -v[72:73]
	s_delay_alu instid0(VALU_DEP_1) | instskip(NEXT) | instid1(VALU_DEP_3)
	v_add_f64_e32 v[54:55], v[56:57], v[54:55]
	v_add_f64_e64 v[56:57], v[62:63], -v[64:65]
	s_delay_alu instid0(VALU_DEP_2) | instskip(NEXT) | instid1(VALU_DEP_2)
	v_add_f64_e32 v[54:55], v[62:63], v[54:55]
	v_add_f64_e64 v[62:63], v[62:63], -v[56:57]
	v_add_f64_e64 v[20:21], v[20:21], -v[56:57]
	s_delay_alu instid0(VALU_DEP_3) | instskip(NEXT) | instid1(VALU_DEP_3)
	v_add_f64_e32 v[68:69], v[66:67], v[54:55]
	v_add_f64_e64 v[62:63], v[64:65], -v[62:63]
	s_delay_alu instid0(VALU_DEP_2) | instskip(NEXT) | instid1(VALU_DEP_2)
	v_add_f64_e64 v[56:57], v[68:69], -v[66:67]
	v_add_f64_e32 v[20:21], v[20:21], v[62:63]
	s_delay_alu instid0(VALU_DEP_2) | instskip(NEXT) | instid1(VALU_DEP_1)
	v_add_f64_e64 v[54:55], v[54:55], -v[56:57]
	v_add_f64_e32 v[20:21], v[20:21], v[54:55]
	s_delay_alu instid0(VALU_DEP_1) | instskip(NEXT) | instid1(VALU_DEP_1)
	v_add_f64_e32 v[20:21], v[68:69], v[20:21]
	v_cndmask_b32_e32 v20, 0, v20, vcc_lo
	v_cmp_neq_f64_e32 vcc_lo, -1.0, v[52:53]
	s_delay_alu instid0(VALU_DEP_3) | instskip(NEXT) | instid1(VALU_DEP_1)
	v_cndmask_b32_e64 v1, 0x7ff00000, v21, s3
	v_cndmask_b32_e64 v1, 0x7ff80000, v1, s4
	s_delay_alu instid0(VALU_DEP_1)
	v_cndmask_b32_e32 v21, 0xfff00000, v1, vcc_lo
.LBB42_230:                             ;   in Loop: Header=BB42_5 Depth=1
	s_and_not1_saveexec_b32 s3, s46
	s_cbranch_execz .LBB42_232
; %bb.231:                              ;   in Loop: Header=BB42_5 Depth=1
	v_add_f64_e64 v[20:21], -|v[10:11]|, 1.0
	s_delay_alu instid0(VALU_DEP_1) | instskip(NEXT) | instid1(VALU_DEP_1)
	v_mul_f64_e32 v[20:21], v[20:21], v[44:45]
	v_cmp_gt_f64_e32 vcc_lo, 0x10000000, v[20:21]
	v_cndmask_b32_e64 v1, 0, 0x100, vcc_lo
	s_delay_alu instid0(VALU_DEP_1) | instskip(SKIP_1) | instid1(VALU_DEP_2)
	v_ldexp_f64 v[20:21], v[20:21], v1
	v_cndmask_b32_e64 v1, 0, 0xffffff80, vcc_lo
	v_rsq_f64_e32 v[52:53], v[20:21]
	v_cmp_class_f64_e64 vcc_lo, v[20:21], 0x260
	s_delay_alu instid0(TRANS32_DEP_1) | instskip(SKIP_1) | instid1(VALU_DEP_1)
	v_mul_f64_e32 v[54:55], v[20:21], v[52:53]
	v_mul_f64_e32 v[52:53], 0.5, v[52:53]
	v_fma_f64 v[56:57], -v[52:53], v[54:55], 0.5
	s_delay_alu instid0(VALU_DEP_1) | instskip(SKIP_1) | instid1(VALU_DEP_2)
	v_fmac_f64_e32 v[54:55], v[54:55], v[56:57]
	v_fmac_f64_e32 v[52:53], v[52:53], v[56:57]
	v_fma_f64 v[56:57], -v[54:55], v[54:55], v[20:21]
	s_delay_alu instid0(VALU_DEP_1) | instskip(NEXT) | instid1(VALU_DEP_1)
	v_fmac_f64_e32 v[54:55], v[56:57], v[52:53]
	v_fma_f64 v[56:57], -v[54:55], v[54:55], v[20:21]
	s_delay_alu instid0(VALU_DEP_1) | instskip(NEXT) | instid1(VALU_DEP_1)
	v_fmac_f64_e32 v[54:55], v[56:57], v[52:53]
	v_ldexp_f64 v[52:53], v[54:55], v1
	v_dual_mov_b32 v54, v12 :: v_dual_mov_b32 v55, v51
	s_delay_alu instid0(VALU_DEP_2) | instskip(NEXT) | instid1(VALU_DEP_1)
	v_dual_cndmask_b32 v21, v53, v21 :: v_dual_cndmask_b32 v20, v52, v20
	v_div_scale_f64 v[52:53], null, v[20:21], v[20:21], v[54:55]
	v_div_scale_f64 v[54:55], vcc_lo, v[54:55], v[20:21], v[54:55]
	s_delay_alu instid0(VALU_DEP_2) | instskip(SKIP_1) | instid1(TRANS32_DEP_1)
	v_rcp_f64_e32 v[56:57], v[52:53]
	v_nop
	v_fma_f64 v[62:63], -v[52:53], v[56:57], 1.0
	s_delay_alu instid0(VALU_DEP_1) | instskip(NEXT) | instid1(VALU_DEP_1)
	v_fmac_f64_e32 v[56:57], v[56:57], v[62:63]
	v_fma_f64 v[62:63], -v[52:53], v[56:57], 1.0
	s_delay_alu instid0(VALU_DEP_1) | instskip(NEXT) | instid1(VALU_DEP_1)
	v_fmac_f64_e32 v[56:57], v[56:57], v[62:63]
	v_mul_f64_e32 v[62:63], v[54:55], v[56:57]
	s_delay_alu instid0(VALU_DEP_1) | instskip(NEXT) | instid1(VALU_DEP_1)
	v_fma_f64 v[52:53], -v[52:53], v[62:63], v[54:55]
	v_div_fmas_f64 v[52:53], v[52:53], v[56:57], v[62:63]
	s_delay_alu instid0(VALU_DEP_1)
	v_div_fixup_f64 v[20:21], v[52:53], v[20:21], |v[12:13]|
.LBB42_232:                             ;   in Loop: Header=BB42_5 Depth=1
	s_or_b32 exec_lo, exec_lo, s3
.LBB42_233:                             ;   in Loop: Header=BB42_5 Depth=1
	s_delay_alu instid0(SALU_CYCLE_1)
	s_or_b32 exec_lo, exec_lo, s45
.LBB42_234:                             ;   in Loop: Header=BB42_5 Depth=1
	s_and_not1_saveexec_b32 s3, s44
	s_cbranch_execz .LBB42_236
; %bb.235:                              ;   in Loop: Header=BB42_5 Depth=1
	v_cmp_gt_f64_e64 s4, 0x10000000, |v[12:13]|
	s_delay_alu instid0(VALU_DEP_1) | instskip(NEXT) | instid1(VALU_DEP_1)
	v_cndmask_b32_e64 v1, 0, 0x100, s4
	v_ldexp_f64 v[20:21], |v[12:13]|, v1
	v_cndmask_b32_e64 v1, 0, 0xffffff80, s4
	s_delay_alu instid0(VALU_DEP_2) | instskip(SKIP_1) | instid1(TRANS32_DEP_1)
	v_rsq_f64_e32 v[52:53], v[20:21]
	v_cmp_class_f64_e64 vcc_lo, v[20:21], 0x260
	v_mul_f64_e32 v[54:55], v[20:21], v[52:53]
	v_mul_f64_e32 v[52:53], 0.5, v[52:53]
	s_delay_alu instid0(VALU_DEP_1) | instskip(NEXT) | instid1(VALU_DEP_1)
	v_fma_f64 v[56:57], -v[52:53], v[54:55], 0.5
	v_fmac_f64_e32 v[54:55], v[54:55], v[56:57]
	v_fmac_f64_e32 v[52:53], v[52:53], v[56:57]
	s_delay_alu instid0(VALU_DEP_2) | instskip(NEXT) | instid1(VALU_DEP_1)
	v_fma_f64 v[56:57], -v[54:55], v[54:55], v[20:21]
	v_fmac_f64_e32 v[54:55], v[56:57], v[52:53]
	s_delay_alu instid0(VALU_DEP_1) | instskip(NEXT) | instid1(VALU_DEP_1)
	v_fma_f64 v[56:57], -v[54:55], v[54:55], v[20:21]
	v_fmac_f64_e32 v[54:55], v[56:57], v[52:53]
	s_delay_alu instid0(VALU_DEP_1) | instskip(NEXT) | instid1(VALU_DEP_1)
	v_ldexp_f64 v[52:53], v[54:55], v1
	v_dual_cndmask_b32 v21, v53, v21 :: v_dual_cndmask_b32 v20, v52, v20
.LBB42_236:                             ;   in Loop: Header=BB42_5 Depth=1
	s_or_b32 exec_lo, exec_lo, s3
.LBB42_237:                             ;   in Loop: Header=BB42_5 Depth=1
	s_delay_alu instid0(SALU_CYCLE_1) | instskip(SKIP_2) | instid1(SALU_CYCLE_1)
	s_or_b32 exec_lo, exec_lo, s43
	v_cmp_ngt_f64_e64 s4, 0x20200000, |v[10:11]|
                                        ; implicit-def: $sgpr3
                                        ; implicit-def: $vgpr52_vgpr53
                                        ; implicit-def: $vgpr56_vgpr57
                                        ; implicit-def: $vgpr54_vgpr55
	s_and_saveexec_b32 s43, s4
	s_xor_b32 s4, exec_lo, s43
	s_cbranch_execz .LBB42_261
; %bb.238:                              ;   in Loop: Header=BB42_5 Depth=1
	v_and_b32_e32 v55, 0x7fffffff, v11
	v_mov_b32_e32 v54, v10
	s_mov_b32 s3, 0
	s_mov_b32 s43, exec_lo
	s_delay_alu instid0(VALU_DEP_1) | instskip(NEXT) | instid1(VALU_DEP_1)
	v_div_scale_f64 v[52:53], null, v[42:43], v[42:43], v[54:55]
	v_rcp_f64_e32 v[56:57], v[52:53]
	v_nop
	s_delay_alu instid0(TRANS32_DEP_1) | instskip(NEXT) | instid1(VALU_DEP_1)
	v_fma_f64 v[62:63], -v[52:53], v[56:57], 1.0
	v_fmac_f64_e32 v[56:57], v[56:57], v[62:63]
	s_delay_alu instid0(VALU_DEP_1) | instskip(NEXT) | instid1(VALU_DEP_1)
	v_fma_f64 v[62:63], -v[52:53], v[56:57], 1.0
	v_fmac_f64_e32 v[56:57], v[56:57], v[62:63]
	v_div_scale_f64 v[62:63], vcc_lo, v[54:55], v[42:43], v[54:55]
	s_delay_alu instid0(VALU_DEP_1) | instskip(NEXT) | instid1(VALU_DEP_1)
	v_mul_f64_e32 v[64:65], v[62:63], v[56:57]
	v_fma_f64 v[52:53], -v[52:53], v[64:65], v[62:63]
	s_delay_alu instid0(VALU_DEP_1) | instskip(NEXT) | instid1(VALU_DEP_1)
	v_div_fmas_f64 v[52:53], v[52:53], v[56:57], v[64:65]
                                        ; implicit-def: $vgpr56_vgpr57
	v_div_fixup_f64 v[52:53], v[52:53], v[42:43], |v[10:11]|
	s_delay_alu instid0(VALU_DEP_1)
	v_cmpx_lt_f64_e32 s[18:19], v[52:53]
	s_cbranch_execz .LBB42_260
; %bb.239:                              ;   in Loop: Header=BB42_5 Depth=1
	v_cmp_neq_f64_e64 s3, |v[10:11]|, 1.0
	v_cmp_ngt_f64_e64 s44, 0x3c400000, |v[12:13]|
                                        ; implicit-def: $vgpr56_vgpr57
	s_or_b32 s3, s3, s44
	s_delay_alu instid0(SALU_CYCLE_1) | instskip(NEXT) | instid1(SALU_CYCLE_1)
	s_and_saveexec_b32 s44, s3
	s_xor_b32 s3, exec_lo, s44
	s_cbranch_execz .LBB42_257
; %bb.240:                              ;   in Loop: Header=BB42_5 Depth=1
	v_ldexp_f64 v[56:57], |v[18:19]|, 0xffffffcc
	s_delay_alu instid0(VALU_DEP_1) | instskip(SKIP_1) | instid1(SALU_CYCLE_1)
	v_cmp_ge_f64_e64 s44, |v[12:13]|, v[56:57]
                                        ; implicit-def: $vgpr56_vgpr57
	s_and_saveexec_b32 s45, s44
	s_xor_b32 s44, exec_lo, s45
	s_cbranch_execz .LBB42_250
; %bb.241:                              ;   in Loop: Header=BB42_5 Depth=1
	v_mov_b64_e32 v[56:57], v[50:51]
	s_mov_b32 s45, exec_lo
	v_cmpx_neq_f64_e32 0, v[44:45]
	s_cbranch_execz .LBB42_243
; %bb.242:                              ;   in Loop: Header=BB42_5 Depth=1
	v_mul_f64_e32 v[56:57], v[12:13], v[12:13]
	v_add_f64_e32 v[44:45], v[44:45], v[48:49]
	s_delay_alu instid0(VALU_DEP_1) | instskip(NEXT) | instid1(VALU_DEP_1)
	v_div_scale_f64 v[48:49], null, v[44:45], v[44:45], v[56:57]
	v_rcp_f64_e32 v[62:63], v[48:49]
	v_nop
	s_delay_alu instid0(TRANS32_DEP_1) | instskip(NEXT) | instid1(VALU_DEP_1)
	v_fma_f64 v[64:65], -v[48:49], v[62:63], 1.0
	v_fmac_f64_e32 v[62:63], v[62:63], v[64:65]
	s_delay_alu instid0(VALU_DEP_1) | instskip(NEXT) | instid1(VALU_DEP_1)
	v_fma_f64 v[64:65], -v[48:49], v[62:63], 1.0
	v_fmac_f64_e32 v[62:63], v[62:63], v[64:65]
	v_div_scale_f64 v[64:65], vcc_lo, v[56:57], v[44:45], v[56:57]
	s_delay_alu instid0(VALU_DEP_1) | instskip(NEXT) | instid1(VALU_DEP_1)
	v_mul_f64_e32 v[66:67], v[64:65], v[62:63]
	v_fma_f64 v[48:49], -v[48:49], v[66:67], v[64:65]
	s_delay_alu instid0(VALU_DEP_1) | instskip(NEXT) | instid1(VALU_DEP_1)
	v_div_fmas_f64 v[48:49], v[48:49], v[62:63], v[66:67]
	v_div_fixup_f64 v[56:57], v[48:49], v[44:45], v[56:57]
.LBB42_243:                             ;   in Loop: Header=BB42_5 Depth=1
	s_or_b32 exec_lo, exec_lo, s45
	s_delay_alu instid0(SALU_CYCLE_1)
	s_mov_b32 s45, exec_lo
	v_cmpx_ngt_f64_e32 0, v[18:19]
	s_xor_b32 s45, exec_lo, s45
	s_cbranch_execz .LBB42_247
; %bb.244:                              ;   in Loop: Header=BB42_5 Depth=1
	s_mov_b32 s46, exec_lo
	v_cmpx_neq_f64_e32 0, v[18:19]
	s_cbranch_execz .LBB42_246
; %bb.245:                              ;   in Loop: Header=BB42_5 Depth=1
	v_mul_f64_e32 v[44:45], v[12:13], v[12:13]
	v_add_f64_e32 v[18:19], v[18:19], v[46:47]
	s_delay_alu instid0(VALU_DEP_1) | instskip(NEXT) | instid1(VALU_DEP_1)
	v_div_scale_f64 v[46:47], null, v[18:19], v[18:19], v[44:45]
	v_rcp_f64_e32 v[48:49], v[46:47]
	v_nop
	s_delay_alu instid0(TRANS32_DEP_1) | instskip(NEXT) | instid1(VALU_DEP_1)
	v_fma_f64 v[50:51], -v[46:47], v[48:49], 1.0
	v_fmac_f64_e32 v[48:49], v[48:49], v[50:51]
	s_delay_alu instid0(VALU_DEP_1) | instskip(NEXT) | instid1(VALU_DEP_1)
	v_fma_f64 v[50:51], -v[46:47], v[48:49], 1.0
	v_fmac_f64_e32 v[48:49], v[48:49], v[50:51]
	v_div_scale_f64 v[50:51], vcc_lo, v[44:45], v[18:19], v[44:45]
	s_delay_alu instid0(VALU_DEP_1) | instskip(NEXT) | instid1(VALU_DEP_1)
	v_mul_f64_e32 v[62:63], v[50:51], v[48:49]
	v_fma_f64 v[46:47], -v[46:47], v[62:63], v[50:51]
	s_delay_alu instid0(VALU_DEP_1) | instskip(NEXT) | instid1(VALU_DEP_1)
	v_div_fmas_f64 v[46:47], v[46:47], v[48:49], v[62:63]
	v_div_fixup_f64 v[50:51], v[46:47], v[18:19], v[44:45]
.LBB42_246:                             ;   in Loop: Header=BB42_5 Depth=1
	s_or_b32 exec_lo, exec_lo, s46
                                        ; implicit-def: $vgpr18_vgpr19
                                        ; implicit-def: $vgpr46_vgpr47
.LBB42_247:                             ;   in Loop: Header=BB42_5 Depth=1
	s_and_not1_saveexec_b32 s45, s45
; %bb.248:                              ;   in Loop: Header=BB42_5 Depth=1
	v_add_f64_e64 v[50:51], v[46:47], -v[18:19]
; %bb.249:                              ;   in Loop: Header=BB42_5 Depth=1
	s_or_b32 exec_lo, exec_lo, s45
	s_delay_alu instid0(VALU_DEP_1) | instskip(SKIP_1) | instid1(VALU_DEP_2)
	v_mul_f64_e32 v[18:19], 0.5, v[50:51]
	v_add_f64_e64 v[42:43], |v[10:11]|, v[42:43]
	v_fmac_f64_e32 v[18:19], 0.5, v[56:57]
	s_delay_alu instid0(VALU_DEP_1) | instskip(NEXT) | instid1(VALU_DEP_1)
	v_mul_f64_e32 v[18:19], v[42:43], v[18:19]
	v_cmp_gt_f64_e32 vcc_lo, 0x10000000, v[18:19]
	v_cndmask_b32_e64 v1, 0, 0x100, vcc_lo
	s_delay_alu instid0(VALU_DEP_1) | instskip(SKIP_1) | instid1(VALU_DEP_2)
	v_ldexp_f64 v[18:19], v[18:19], v1
	v_cndmask_b32_e64 v1, 0, 0xffffff80, vcc_lo
	v_rsq_f64_e32 v[42:43], v[18:19]
	v_cmp_class_f64_e64 vcc_lo, v[18:19], 0x260
	s_delay_alu instid0(TRANS32_DEP_1) | instskip(SKIP_1) | instid1(VALU_DEP_1)
	v_mul_f64_e32 v[44:45], v[18:19], v[42:43]
	v_mul_f64_e32 v[42:43], 0.5, v[42:43]
	v_fma_f64 v[46:47], -v[42:43], v[44:45], 0.5
	s_delay_alu instid0(VALU_DEP_1) | instskip(SKIP_1) | instid1(VALU_DEP_2)
	v_fmac_f64_e32 v[44:45], v[44:45], v[46:47]
	v_fmac_f64_e32 v[42:43], v[42:43], v[46:47]
	v_fma_f64 v[46:47], -v[44:45], v[44:45], v[18:19]
	s_delay_alu instid0(VALU_DEP_1) | instskip(NEXT) | instid1(VALU_DEP_1)
	v_fmac_f64_e32 v[44:45], v[46:47], v[42:43]
	v_fma_f64 v[46:47], -v[44:45], v[44:45], v[18:19]
	s_delay_alu instid0(VALU_DEP_1) | instskip(NEXT) | instid1(VALU_DEP_1)
	v_fmac_f64_e32 v[44:45], v[46:47], v[42:43]
	v_ldexp_f64 v[42:43], v[44:45], v1
                                        ; implicit-def: $vgpr44_vgpr45
	s_delay_alu instid0(VALU_DEP_1)
	v_dual_cndmask_b32 v57, v43, v19 :: v_dual_cndmask_b32 v56, v42, v18
                                        ; implicit-def: $vgpr18_vgpr19
.LBB42_250:                             ;   in Loop: Header=BB42_5 Depth=1
	s_and_not1_saveexec_b32 s44, s44
	s_cbranch_execz .LBB42_256
; %bb.251:                              ;   in Loop: Header=BB42_5 Depth=1
	v_cmp_ngt_f64_e64 s45, |v[10:11]|, 1.0
                                        ; implicit-def: $vgpr56_vgpr57
	s_and_saveexec_b32 s46, s45
	s_delay_alu instid0(SALU_CYCLE_1)
	s_xor_b32 s45, exec_lo, s46
	s_cbranch_execz .LBB42_253
; %bb.252:                              ;   in Loop: Header=BB42_5 Depth=1
	v_add_f64_e64 v[18:19], -|v[10:11]|, 1.0
	s_delay_alu instid0(VALU_DEP_1) | instskip(NEXT) | instid1(VALU_DEP_1)
	v_mul_f64_e32 v[18:19], v[18:19], v[44:45]
	v_cmp_gt_f64_e32 vcc_lo, 0x10000000, v[18:19]
	v_cndmask_b32_e64 v1, 0, 0x100, vcc_lo
	s_delay_alu instid0(VALU_DEP_1) | instskip(SKIP_1) | instid1(VALU_DEP_2)
	v_ldexp_f64 v[18:19], v[18:19], v1
	v_cndmask_b32_e64 v1, 0, 0xffffff80, vcc_lo
	v_rsq_f64_e32 v[42:43], v[18:19]
	v_cmp_class_f64_e64 vcc_lo, v[18:19], 0x260
	s_delay_alu instid0(TRANS32_DEP_1) | instskip(SKIP_1) | instid1(VALU_DEP_1)
	v_mul_f64_e32 v[44:45], v[18:19], v[42:43]
	v_mul_f64_e32 v[42:43], 0.5, v[42:43]
	v_fma_f64 v[46:47], -v[42:43], v[44:45], 0.5
	s_delay_alu instid0(VALU_DEP_1) | instskip(SKIP_1) | instid1(VALU_DEP_2)
	v_fmac_f64_e32 v[44:45], v[44:45], v[46:47]
	v_fmac_f64_e32 v[42:43], v[42:43], v[46:47]
	v_fma_f64 v[46:47], -v[44:45], v[44:45], v[18:19]
	s_delay_alu instid0(VALU_DEP_1) | instskip(NEXT) | instid1(VALU_DEP_1)
	v_fmac_f64_e32 v[44:45], v[46:47], v[42:43]
	v_fma_f64 v[46:47], -v[44:45], v[44:45], v[18:19]
	s_delay_alu instid0(VALU_DEP_1) | instskip(NEXT) | instid1(VALU_DEP_1)
	v_fmac_f64_e32 v[44:45], v[46:47], v[42:43]
	v_ldexp_f64 v[42:43], v[44:45], v1
                                        ; implicit-def: $vgpr44_vgpr45
	s_delay_alu instid0(VALU_DEP_1)
	v_dual_cndmask_b32 v57, v43, v19 :: v_dual_cndmask_b32 v56, v42, v18
                                        ; implicit-def: $vgpr18_vgpr19
.LBB42_253:                             ;   in Loop: Header=BB42_5 Depth=1
	s_and_not1_saveexec_b32 s45, s45
	s_cbranch_execz .LBB42_255
; %bb.254:                              ;   in Loop: Header=BB42_5 Depth=1
	v_mul_f64_e32 v[18:19], v[44:45], v[18:19]
	v_ldexp_f64 v[54:55], |v[10:11]|, 0x6a
	s_delay_alu instid0(VALU_DEP_2) | instskip(SKIP_1) | instid1(VALU_DEP_1)
	v_cmp_gt_f64_e32 vcc_lo, 0x10000000, v[18:19]
	v_cndmask_b32_e64 v1, 0, 0x100, vcc_lo
	v_ldexp_f64 v[18:19], v[18:19], v1
	v_cndmask_b32_e64 v1, 0, 0xffffff80, vcc_lo
	s_delay_alu instid0(VALU_DEP_2) | instskip(SKIP_1) | instid1(TRANS32_DEP_1)
	v_rsq_f64_e32 v[42:43], v[18:19]
	v_cmp_class_f64_e64 vcc_lo, v[18:19], 0x260
	v_mul_f64_e32 v[44:45], v[18:19], v[42:43]
	v_mul_f64_e32 v[42:43], 0.5, v[42:43]
	s_delay_alu instid0(VALU_DEP_1) | instskip(NEXT) | instid1(VALU_DEP_1)
	v_fma_f64 v[46:47], -v[42:43], v[44:45], 0.5
	v_fmac_f64_e32 v[44:45], v[44:45], v[46:47]
	v_fmac_f64_e32 v[42:43], v[42:43], v[46:47]
	s_delay_alu instid0(VALU_DEP_2) | instskip(NEXT) | instid1(VALU_DEP_1)
	v_fma_f64 v[46:47], -v[44:45], v[44:45], v[18:19]
	v_fmac_f64_e32 v[44:45], v[46:47], v[42:43]
	s_delay_alu instid0(VALU_DEP_1) | instskip(NEXT) | instid1(VALU_DEP_1)
	v_fma_f64 v[46:47], -v[44:45], v[44:45], v[18:19]
	v_fmac_f64_e32 v[44:45], v[46:47], v[42:43]
	v_ldexp_f64 v[42:43], |v[12:13]|, 0x6a
	s_delay_alu instid0(VALU_DEP_2) | instskip(NEXT) | instid1(VALU_DEP_2)
	v_ldexp_f64 v[44:45], v[44:45], v1
	v_mul_f64_e64 v[42:43], |v[10:11]|, v[42:43]
	s_delay_alu instid0(VALU_DEP_2) | instskip(NEXT) | instid1(VALU_DEP_1)
	v_dual_cndmask_b32 v19, v45, v19 :: v_dual_cndmask_b32 v18, v44, v18
	v_div_scale_f64 v[44:45], null, v[18:19], v[18:19], v[42:43]
	v_div_scale_f64 v[50:51], vcc_lo, v[42:43], v[18:19], v[42:43]
	s_delay_alu instid0(VALU_DEP_2) | instskip(SKIP_1) | instid1(TRANS32_DEP_1)
	v_rcp_f64_e32 v[46:47], v[44:45]
	v_nop
	v_fma_f64 v[48:49], -v[44:45], v[46:47], 1.0
	s_delay_alu instid0(VALU_DEP_1) | instskip(NEXT) | instid1(VALU_DEP_1)
	v_fmac_f64_e32 v[46:47], v[46:47], v[48:49]
	v_fma_f64 v[48:49], -v[44:45], v[46:47], 1.0
	s_delay_alu instid0(VALU_DEP_1) | instskip(NEXT) | instid1(VALU_DEP_1)
	v_fmac_f64_e32 v[46:47], v[46:47], v[48:49]
	v_mul_f64_e32 v[48:49], v[50:51], v[46:47]
	s_delay_alu instid0(VALU_DEP_1) | instskip(NEXT) | instid1(VALU_DEP_1)
	v_fma_f64 v[44:45], -v[44:45], v[48:49], v[50:51]
	v_div_fmas_f64 v[44:45], v[44:45], v[46:47], v[48:49]
	s_delay_alu instid0(VALU_DEP_1)
	v_div_fixup_f64 v[56:57], v[44:45], v[18:19], v[42:43]
.LBB42_255:                             ;   in Loop: Header=BB42_5 Depth=1
	s_or_b32 exec_lo, exec_lo, s45
.LBB42_256:                             ;   in Loop: Header=BB42_5 Depth=1
	s_delay_alu instid0(SALU_CYCLE_1)
	s_or_b32 exec_lo, exec_lo, s44
                                        ; implicit-def: $vgpr42_vgpr43
.LBB42_257:                             ;   in Loop: Header=BB42_5 Depth=1
	s_and_not1_saveexec_b32 s44, s3
	s_cbranch_execz .LBB42_259
; %bb.258:                              ;   in Loop: Header=BB42_5 Depth=1
	v_cmp_gt_f64_e64 s3, 0x10000000, |v[12:13]|
	s_delay_alu instid0(VALU_DEP_1) | instskip(NEXT) | instid1(VALU_DEP_1)
	v_cndmask_b32_e64 v1, 0, 0x100, s3
	v_ldexp_f64 v[12:13], |v[12:13]|, v1
	v_add_f64_e32 v[18:19], 1.0, v[42:43]
	v_cndmask_b32_e64 v1, 0, 0xffffff80, s3
	s_delay_alu instid0(VALU_DEP_2) | instskip(NEXT) | instid1(VALU_DEP_1)
	v_mul_f64_e32 v[18:19], 0.5, v[18:19]
	v_cmp_gt_f64_e32 vcc_lo, 0x10000000, v[18:19]
	v_cndmask_b32_e64 v42, 0, 0x100, vcc_lo
	s_delay_alu instid0(VALU_DEP_1) | instskip(SKIP_1) | instid1(VALU_DEP_1)
	v_ldexp_f64 v[18:19], v[18:19], v42
	v_rsq_f64_e32 v[42:43], v[12:13]
	v_rsq_f64_e32 v[44:45], v[18:19]
	v_cmp_class_f64_e64 s3, v[18:19], 0x260
	s_delay_alu instid0(TRANS32_DEP_2) | instskip(SKIP_1) | instid1(TRANS32_DEP_1)
	v_mul_f64_e32 v[46:47], v[12:13], v[42:43]
	v_mul_f64_e32 v[42:43], 0.5, v[42:43]
	v_mul_f64_e32 v[48:49], v[18:19], v[44:45]
	v_mul_f64_e32 v[44:45], 0.5, v[44:45]
	s_delay_alu instid0(VALU_DEP_3) | instskip(NEXT) | instid1(VALU_DEP_2)
	v_fma_f64 v[50:51], -v[42:43], v[46:47], 0.5
	v_fma_f64 v[54:55], -v[44:45], v[48:49], 0.5
	s_delay_alu instid0(VALU_DEP_2) | instskip(SKIP_1) | instid1(VALU_DEP_3)
	v_fmac_f64_e32 v[46:47], v[46:47], v[50:51]
	v_fmac_f64_e32 v[42:43], v[42:43], v[50:51]
	;; [unrolled: 1-line block ×3, first 2 shown]
	s_delay_alu instid0(VALU_DEP_3) | instskip(SKIP_1) | instid1(VALU_DEP_3)
	v_fma_f64 v[50:51], -v[46:47], v[46:47], v[12:13]
	v_fmac_f64_e32 v[44:45], v[44:45], v[54:55]
	v_fma_f64 v[54:55], -v[48:49], v[48:49], v[18:19]
	s_delay_alu instid0(VALU_DEP_3) | instskip(NEXT) | instid1(VALU_DEP_2)
	v_fmac_f64_e32 v[46:47], v[50:51], v[42:43]
	v_fmac_f64_e32 v[48:49], v[54:55], v[44:45]
	s_delay_alu instid0(VALU_DEP_2) | instskip(NEXT) | instid1(VALU_DEP_2)
	v_fma_f64 v[50:51], -v[46:47], v[46:47], v[12:13]
	v_fma_f64 v[54:55], -v[48:49], v[48:49], v[18:19]
	s_delay_alu instid0(VALU_DEP_2) | instskip(NEXT) | instid1(VALU_DEP_2)
	v_fmac_f64_e32 v[46:47], v[50:51], v[42:43]
	v_fmac_f64_e32 v[48:49], v[54:55], v[44:45]
	v_cndmask_b32_e64 v44, 0, 0xffffff80, vcc_lo
	s_delay_alu instid0(VALU_DEP_3) | instskip(SKIP_2) | instid1(VALU_DEP_4)
	v_ldexp_f64 v[42:43], v[46:47], v1
	v_cmp_class_f64_e64 vcc_lo, v[12:13], 0x260
	v_mov_b64_e32 v[54:55], 1.0
	v_ldexp_f64 v[44:45], v[48:49], v44
	s_delay_alu instid0(VALU_DEP_4) | instskip(NEXT) | instid1(VALU_DEP_2)
	v_dual_cndmask_b32 v13, v43, v13 :: v_dual_cndmask_b32 v12, v42, v12
	v_dual_cndmask_b32 v19, v45, v19, s3 :: v_dual_cndmask_b32 v18, v44, v18, s3
	s_delay_alu instid0(VALU_DEP_1)
	v_mul_f64_e32 v[56:57], v[12:13], v[18:19]
.LBB42_259:                             ;   in Loop: Header=BB42_5 Depth=1
	s_or_b32 exec_lo, exec_lo, s44
	s_delay_alu instid0(SALU_CYCLE_1)
	s_mov_b32 s3, exec_lo
.LBB42_260:                             ;   in Loop: Header=BB42_5 Depth=1
	s_or_b32 exec_lo, exec_lo, s43
                                        ; implicit-def: $vgpr42_vgpr43
.LBB42_261:                             ;   in Loop: Header=BB42_5 Depth=1
	s_and_not1_saveexec_b32 s4, s4
	s_cbranch_execz .LBB42_263
; %bb.262:                              ;   in Loop: Header=BB42_5 Depth=1
	v_ldexp_f64 v[56:57], v[42:43], 53
	v_ldexp_f64 v[54:55], |v[10:11]|, 53
	s_or_b32 s3, s3, exec_lo
                                        ; implicit-def: $vgpr52_vgpr53
.LBB42_263:                             ;   in Loop: Header=BB42_5 Depth=1
	s_or_b32 exec_lo, exec_lo, s4
	s_xor_b32 s3, s3, -1
	v_cmp_lt_i64_e32 vcc_lo, -1, v[10:11]
	s_and_saveexec_b32 s4, s3
	s_delay_alu instid0(SALU_CYCLE_1)
	s_xor_b32 s4, exec_lo, s4
	s_cbranch_execz .LBB42_273
; %bb.264:                              ;   in Loop: Header=BB42_5 Depth=1
	s_and_saveexec_b32 s3, vcc_lo
	s_delay_alu instid0(SALU_CYCLE_1)
	s_xor_b32 s43, exec_lo, s3
	s_cbranch_execz .LBB42_268
; %bb.265:                              ;   in Loop: Header=BB42_5 Depth=1
	v_fma_f64 v[12:13], |v[52:53]|, -0.5, 0.5
	v_mul_f64_e32 v[10:11], v[52:53], v[52:53]
	v_cmp_ge_f64_e64 s3, |v[52:53]|, 0.5
	s_delay_alu instid0(VALU_DEP_1) | instskip(NEXT) | instid1(VALU_DEP_1)
	v_dual_cndmask_b32 v11, v11, v13, s3 :: v_dual_cndmask_b32 v10, v10, v12, s3
	v_fmamk_f64 v[18:19], v[10:11], 0x3fa059859fea6a70, v[32:33]
	s_delay_alu instid0(VALU_DEP_1) | instskip(NEXT) | instid1(VALU_DEP_1)
	v_fmaak_f64 v[18:19], v[10:11], v[18:19], 0x3f94052137024d6a
	v_fmaak_f64 v[18:19], v[10:11], v[18:19], 0x3f7ab3a098a70509
	s_delay_alu instid0(VALU_DEP_1) | instskip(NEXT) | instid1(VALU_DEP_1)
	v_fmaak_f64 v[18:19], v[10:11], v[18:19], 0x3f88ed60a300c8d2
	v_fmaak_f64 v[18:19], v[10:11], v[18:19], 0x3f8c6fa84b77012b
	;; [unrolled: 3-line block ×5, first 2 shown]
	s_delay_alu instid0(VALU_DEP_1) | instskip(NEXT) | instid1(VALU_DEP_1)
	v_mul_f64_e32 v[10:11], v[10:11], v[18:19]
	v_fma_f64 v[18:19], v[52:53], v[10:11], v[52:53]
	s_delay_alu instid0(VALU_DEP_1)
	v_fma_f64 v[18:19], s[22:23], s[20:21], -v[18:19]
	s_and_saveexec_b32 s44, s3
	s_cbranch_execz .LBB42_267
; %bb.266:                              ;   in Loop: Header=BB42_5 Depth=1
	v_rsq_f64_e32 v[18:19], v[12:13]
	v_cmp_eq_f64_e64 s3, 0, v[12:13]
	s_delay_alu instid0(TRANS32_DEP_1) | instskip(SKIP_1) | instid1(VALU_DEP_1)
	v_mul_f64_e32 v[42:43], v[12:13], v[18:19]
	v_mul_f64_e32 v[18:19], 0.5, v[18:19]
	v_fma_f64 v[44:45], -v[18:19], v[42:43], 0.5
	s_delay_alu instid0(VALU_DEP_1) | instskip(SKIP_1) | instid1(VALU_DEP_2)
	v_fmac_f64_e32 v[42:43], v[42:43], v[44:45]
	v_fmac_f64_e32 v[18:19], v[18:19], v[44:45]
	v_fma_f64 v[44:45], -v[42:43], v[42:43], v[12:13]
	s_delay_alu instid0(VALU_DEP_1) | instskip(NEXT) | instid1(VALU_DEP_1)
	v_fmac_f64_e32 v[42:43], v[44:45], v[18:19]
	v_dual_cndmask_b32 v19, v43, v13, s3 :: v_dual_cndmask_b32 v18, v42, v12, s3
	s_delay_alu instid0(VALU_DEP_1) | instskip(SKIP_1) | instid1(VALU_DEP_2)
	v_add_f64_e32 v[42:43], v[18:19], v[18:19]
	v_mul_f64_e32 v[44:45], v[18:19], v[18:19]
	v_rcp_f64_e32 v[46:47], v[42:43]
	s_delay_alu instid0(VALU_DEP_1) | instskip(SKIP_1) | instid1(VALU_DEP_2)
	v_add_f64_e64 v[48:49], v[12:13], -v[44:45]
	v_fma_f64 v[54:55], v[18:19], v[18:19], -v[44:45]
	v_add_f64_e64 v[12:13], v[12:13], -v[48:49]
	s_delay_alu instid0(TRANS32_DEP_1) | instskip(NEXT) | instid1(VALU_DEP_2)
	v_fma_f64 v[50:51], -v[42:43], v[46:47], 1.0
	v_add_f64_e64 v[12:13], v[12:13], -v[44:45]
	s_delay_alu instid0(VALU_DEP_2) | instskip(NEXT) | instid1(VALU_DEP_2)
	v_fmac_f64_e32 v[46:47], v[50:51], v[46:47]
	v_add_f64_e64 v[12:13], v[12:13], -v[54:55]
	s_delay_alu instid0(VALU_DEP_2) | instskip(NEXT) | instid1(VALU_DEP_2)
	v_fma_f64 v[44:45], -v[42:43], v[46:47], 1.0
	v_add_f64_e32 v[12:13], v[48:49], v[12:13]
	s_delay_alu instid0(VALU_DEP_2) | instskip(NEXT) | instid1(VALU_DEP_1)
	v_fmac_f64_e32 v[46:47], v[44:45], v[46:47]
	v_mul_f64_e32 v[44:45], v[12:13], v[46:47]
	s_delay_alu instid0(VALU_DEP_1) | instskip(NEXT) | instid1(VALU_DEP_1)
	v_fma_f64 v[12:13], -v[42:43], v[44:45], v[12:13]
	v_fmac_f64_e32 v[44:45], v[12:13], v[46:47]
	s_delay_alu instid0(VALU_DEP_1) | instskip(NEXT) | instid1(VALU_DEP_2)
	v_cndmask_b32_e64 v13, v45, 0, s3
	v_cndmask_b32_e64 v12, v44, 0, s3
	v_cmp_neq_f64_e64 s3, 1.0, v[52:53]
	s_delay_alu instid0(VALU_DEP_2) | instskip(NEXT) | instid1(VALU_DEP_1)
	v_add_f64_e32 v[42:43], v[18:19], v[12:13]
	v_add_f64_e64 v[18:19], v[42:43], -v[18:19]
	s_delay_alu instid0(VALU_DEP_1) | instskip(NEXT) | instid1(VALU_DEP_1)
	v_add_f64_e64 v[12:13], v[12:13], -v[18:19]
	v_fmac_f64_e32 v[12:13], v[42:43], v[10:11]
	s_delay_alu instid0(VALU_DEP_1) | instskip(NEXT) | instid1(VALU_DEP_1)
	v_add_f64_e32 v[10:11], v[42:43], v[12:13]
	v_add_f64_e32 v[10:11], v[10:11], v[10:11]
	s_delay_alu instid0(VALU_DEP_1)
	v_dual_cndmask_b32 v19, 0, v11, s3 :: v_dual_cndmask_b32 v18, 0, v10, s3
.LBB42_267:                             ;   in Loop: Header=BB42_5 Depth=1
	s_or_b32 exec_lo, exec_lo, s44
                                        ; implicit-def: $vgpr52_vgpr53
.LBB42_268:                             ;   in Loop: Header=BB42_5 Depth=1
	s_and_not1_saveexec_b32 s43, s43
	s_cbranch_execz .LBB42_272
; %bb.269:                              ;   in Loop: Header=BB42_5 Depth=1
	v_fma_f64 v[12:13], |v[52:53]|, -0.5, 0.5
	v_mul_f64_e32 v[10:11], v[52:53], v[52:53]
	v_cmp_ge_f64_e64 s3, |v[52:53]|, 0.5
	s_delay_alu instid0(VALU_DEP_1) | instskip(NEXT) | instid1(VALU_DEP_1)
	v_dual_cndmask_b32 v11, v11, v13, s3 :: v_dual_cndmask_b32 v10, v10, v12, s3
	v_fmamk_f64 v[18:19], v[10:11], 0x3fa059859fea6a70, v[32:33]
	s_delay_alu instid0(VALU_DEP_1) | instskip(NEXT) | instid1(VALU_DEP_1)
	v_fmaak_f64 v[18:19], v[10:11], v[18:19], 0x3f94052137024d6a
	v_fmaak_f64 v[18:19], v[10:11], v[18:19], 0x3f7ab3a098a70509
	s_delay_alu instid0(VALU_DEP_1) | instskip(NEXT) | instid1(VALU_DEP_1)
	v_fmaak_f64 v[18:19], v[10:11], v[18:19], 0x3f88ed60a300c8d2
	v_fmaak_f64 v[18:19], v[10:11], v[18:19], 0x3f8c6fa84b77012b
	;; [unrolled: 3-line block ×5, first 2 shown]
	s_delay_alu instid0(VALU_DEP_1) | instskip(NEXT) | instid1(VALU_DEP_1)
	v_mul_f64_e32 v[10:11], v[10:11], v[18:19]
	v_fma_f64 v[18:19], -v[52:53], v[10:11], -v[52:53]
	s_delay_alu instid0(VALU_DEP_1)
	v_fma_f64 v[18:19], s[22:23], s[20:21], -v[18:19]
	s_and_saveexec_b32 s44, s3
	s_cbranch_execz .LBB42_271
; %bb.270:                              ;   in Loop: Header=BB42_5 Depth=1
	v_rsq_f64_e32 v[18:19], v[12:13]
	v_cmp_eq_f64_e64 s3, 0, v[12:13]
	s_delay_alu instid0(TRANS32_DEP_1) | instskip(SKIP_1) | instid1(VALU_DEP_1)
	v_mul_f64_e32 v[42:43], v[12:13], v[18:19]
	v_mul_f64_e32 v[18:19], 0.5, v[18:19]
	v_fma_f64 v[44:45], -v[18:19], v[42:43], 0.5
	s_delay_alu instid0(VALU_DEP_1) | instskip(SKIP_1) | instid1(VALU_DEP_2)
	v_fmac_f64_e32 v[42:43], v[42:43], v[44:45]
	v_fmac_f64_e32 v[18:19], v[18:19], v[44:45]
	v_fma_f64 v[44:45], -v[42:43], v[42:43], v[12:13]
	s_delay_alu instid0(VALU_DEP_1) | instskip(NEXT) | instid1(VALU_DEP_1)
	v_fmac_f64_e32 v[42:43], v[44:45], v[18:19]
	v_dual_cndmask_b32 v19, v43, v13, s3 :: v_dual_cndmask_b32 v18, v42, v12, s3
	s_delay_alu instid0(VALU_DEP_1) | instskip(SKIP_1) | instid1(VALU_DEP_2)
	v_add_f64_e32 v[42:43], v[18:19], v[18:19]
	v_mul_f64_e32 v[44:45], v[18:19], v[18:19]
	v_rcp_f64_e32 v[46:47], v[42:43]
	s_delay_alu instid0(VALU_DEP_1) | instskip(SKIP_1) | instid1(VALU_DEP_2)
	v_add_f64_e64 v[48:49], v[12:13], -v[44:45]
	v_fma_f64 v[54:55], v[18:19], v[18:19], -v[44:45]
	v_add_f64_e64 v[12:13], v[12:13], -v[48:49]
	s_delay_alu instid0(TRANS32_DEP_1) | instskip(NEXT) | instid1(VALU_DEP_2)
	v_fma_f64 v[50:51], -v[42:43], v[46:47], 1.0
	v_add_f64_e64 v[12:13], v[12:13], -v[44:45]
	s_delay_alu instid0(VALU_DEP_2) | instskip(NEXT) | instid1(VALU_DEP_2)
	v_fmac_f64_e32 v[46:47], v[50:51], v[46:47]
	v_add_f64_e64 v[12:13], v[12:13], -v[54:55]
	s_delay_alu instid0(VALU_DEP_2) | instskip(NEXT) | instid1(VALU_DEP_2)
	v_fma_f64 v[44:45], -v[42:43], v[46:47], 1.0
	v_add_f64_e32 v[12:13], v[48:49], v[12:13]
	s_delay_alu instid0(VALU_DEP_2) | instskip(NEXT) | instid1(VALU_DEP_1)
	v_fmac_f64_e32 v[46:47], v[44:45], v[46:47]
	v_mul_f64_e32 v[44:45], v[12:13], v[46:47]
	s_delay_alu instid0(VALU_DEP_1) | instskip(NEXT) | instid1(VALU_DEP_1)
	v_fma_f64 v[12:13], -v[42:43], v[44:45], v[12:13]
	v_fmac_f64_e32 v[44:45], v[12:13], v[46:47]
	s_delay_alu instid0(VALU_DEP_1) | instskip(NEXT) | instid1(VALU_DEP_2)
	v_cndmask_b32_e64 v13, v45, 0, s3
	v_cndmask_b32_e64 v12, v44, 0, s3
	v_cmp_lt_f64_e64 s3, 0, v[52:53]
	s_delay_alu instid0(VALU_DEP_2) | instskip(NEXT) | instid1(VALU_DEP_1)
	v_add_f64_e32 v[42:43], v[18:19], v[12:13]
	v_add_f64_e64 v[18:19], v[42:43], -v[18:19]
	s_delay_alu instid0(VALU_DEP_1) | instskip(SKIP_1) | instid1(VALU_DEP_2)
	v_add_f64_e64 v[12:13], v[12:13], -v[18:19]
	v_fma_f64 v[18:19], v[42:43], v[10:11], v[42:43]
	v_fmac_f64_e32 v[12:13], v[42:43], v[10:11]
	s_delay_alu instid0(VALU_DEP_2) | instskip(NEXT) | instid1(VALU_DEP_2)
	v_mul_f64_e32 v[10:11], -2.0, v[18:19]
	v_add_f64_e32 v[12:13], v[42:43], v[12:13]
	s_delay_alu instid0(VALU_DEP_2) | instskip(NEXT) | instid1(VALU_DEP_2)
	v_fmac_f64_e64 v[10:11], s[24:25], s[20:21]
	v_add_f64_e32 v[12:13], v[12:13], v[12:13]
	s_delay_alu instid0(VALU_DEP_1) | instskip(SKIP_1) | instid1(VALU_DEP_1)
	v_dual_cndmask_b32 v1, v12, v10, s3 :: v_dual_cndmask_b32 v10, v13, v11, s3
	v_cmp_neq_f64_e64 s3, 1.0, v[52:53]
	v_cndmask_b32_e64 v19, 0x400921fb, v10, s3
	s_delay_alu instid0(VALU_DEP_3)
	v_cndmask_b32_e64 v18, 0x54442d18, v1, s3
.LBB42_271:                             ;   in Loop: Header=BB42_5 Depth=1
	s_or_b32 exec_lo, exec_lo, s44
.LBB42_272:                             ;   in Loop: Header=BB42_5 Depth=1
	s_delay_alu instid0(SALU_CYCLE_1)
	s_or_b32 exec_lo, exec_lo, s43
                                        ; implicit-def: $vgpr54_vgpr55
                                        ; implicit-def: $vgpr56_vgpr57
.LBB42_273:                             ;   in Loop: Header=BB42_5 Depth=1
	s_and_not1_saveexec_b32 s43, s4
	s_cbranch_execz .LBB42_279
; %bb.274:                              ;   in Loop: Header=BB42_5 Depth=1
	s_and_saveexec_b32 s3, vcc_lo
	s_delay_alu instid0(SALU_CYCLE_1)
	s_xor_b32 s44, exec_lo, s3
	s_cbranch_execz .LBB42_276
; %bb.275:                              ;   in Loop: Header=BB42_5 Depth=1
	s_delay_alu instid0(VALU_DEP_2) | instskip(NEXT) | instid1(VALU_DEP_3)
	v_max_num_f64_e64 v[10:11], |v[56:57]|, |v[56:57]|
	v_max_num_f64_e32 v[12:13], v[54:55], v[54:55]
	v_cmp_eq_f64_e64 s3, 0, v[56:57]
	v_cmp_class_f64_e64 s45, v[56:57], 0x204
	v_cmp_eq_f64_e64 s4, 0x7ff00000, v[54:55]
	v_ashrrev_i32_e32 v1, 31, v55
	v_max_num_f64_e32 v[18:19], v[12:13], v[10:11]
	v_min_num_f64_e32 v[10:11], v[12:13], v[10:11]
	s_delay_alu instid0(VALU_DEP_1) | instskip(SKIP_1) | instid1(VALU_DEP_2)
	v_div_scale_f64 v[12:13], null, v[18:19], v[18:19], v[10:11]
	v_div_scale_f64 v[46:47], vcc_lo, v[10:11], v[18:19], v[10:11]
	v_rcp_f64_e32 v[42:43], v[12:13]
	v_nop
	s_delay_alu instid0(TRANS32_DEP_1) | instskip(NEXT) | instid1(VALU_DEP_1)
	v_fma_f64 v[44:45], -v[12:13], v[42:43], 1.0
	v_fmac_f64_e32 v[42:43], v[42:43], v[44:45]
	s_delay_alu instid0(VALU_DEP_1) | instskip(NEXT) | instid1(VALU_DEP_1)
	v_fma_f64 v[44:45], -v[12:13], v[42:43], 1.0
	v_fmac_f64_e32 v[42:43], v[42:43], v[44:45]
	s_delay_alu instid0(VALU_DEP_1) | instskip(NEXT) | instid1(VALU_DEP_1)
	v_mul_f64_e32 v[44:45], v[46:47], v[42:43]
	v_fma_f64 v[12:13], -v[12:13], v[44:45], v[46:47]
	s_delay_alu instid0(VALU_DEP_1) | instskip(SKIP_1) | instid1(VALU_DEP_2)
	v_div_fmas_f64 v[12:13], v[12:13], v[42:43], v[44:45]
	v_cmp_lt_f64_e64 vcc_lo, v[54:55], |v[56:57]|
	v_div_fixup_f64 v[10:11], v[12:13], v[18:19], v[10:11]
	s_delay_alu instid0(VALU_DEP_1) | instskip(NEXT) | instid1(VALU_DEP_1)
	v_mul_f64_e32 v[12:13], v[10:11], v[10:11]
	v_fmamk_f64 v[18:19], v[12:13], 0x3eeba404b5e68a13, v[36:37]
	s_delay_alu instid0(VALU_DEP_1) | instskip(NEXT) | instid1(VALU_DEP_1)
	v_fmaak_f64 v[18:19], v[12:13], v[18:19], 0x3f4b2bb069efb384
	v_fmaak_f64 v[18:19], v[12:13], v[18:19], 0xbf67952daf56de9b
	s_delay_alu instid0(VALU_DEP_1) | instskip(NEXT) | instid1(VALU_DEP_1)
	v_fmaak_f64 v[18:19], v[12:13], v[18:19], 0x3f7d6d43a595c56f
	v_fmaak_f64 v[18:19], v[12:13], v[18:19], 0xbf8c6ea4a57d9582
	;; [unrolled: 3-line block ×9, first 2 shown]
	s_delay_alu instid0(VALU_DEP_1) | instskip(SKIP_2) | instid1(VALU_DEP_3)
	v_mul_f64_e32 v[12:13], v[12:13], v[18:19]
	v_and_b32_e32 v19, 0x54442d18, v1
	v_and_b32_e32 v1, 0x400921fb, v1
	v_fmac_f64_e32 v[10:11], v[10:11], v[12:13]
	s_delay_alu instid0(VALU_DEP_1) | instskip(NEXT) | instid1(VALU_DEP_1)
	v_add_f64_e64 v[12:13], -v[10:11], s[26:27]
	v_dual_cndmask_b32 v11, v11, v13 :: v_dual_cndmask_b32 v10, v10, v12
	v_cmp_gt_i32_e32 vcc_lo, 0, v55
                                        ; implicit-def: $vgpr54_vgpr55
	s_delay_alu instid0(VALU_DEP_2) | instskip(SKIP_1) | instid1(VALU_DEP_2)
	v_add_f64_e64 v[12:13], -v[10:11], s[28:29]
	v_cndmask_b32_e32 v18, 0x54442d18, v59, vcc_lo
	v_dual_cndmask_b32 v11, v11, v13 :: v_dual_cndmask_b32 v10, v10, v12
	v_cndmask_b32_e32 v12, 0x3fe921fb, v60, vcc_lo
	s_and_b32 vcc_lo, s4, s45
	s_delay_alu instid0(VALU_DEP_2) | instskip(NEXT) | instid1(VALU_DEP_1)
	v_dual_cndmask_b32 v1, v11, v1, s3 :: v_dual_cndmask_b32 v10, v10, v19, s3
	v_dual_cndmask_b32 v1, v1, v12 :: v_dual_cndmask_b32 v10, v10, v18
	v_cmp_o_f64_e32 vcc_lo, v[56:57], v[56:57]
	s_delay_alu instid0(VALU_DEP_2) | instskip(NEXT) | instid1(VALU_DEP_3)
	v_cndmask_b32_e32 v1, 0x7ff80000, v1, vcc_lo
	v_cndmask_b32_e32 v18, 0, v10, vcc_lo
	s_delay_alu instid0(VALU_DEP_2)
	v_bfi_b32 v19, 0x7fffffff, v1, v57
                                        ; implicit-def: $vgpr56_vgpr57
.LBB42_276:                             ;   in Loop: Header=BB42_5 Depth=1
	s_and_not1_saveexec_b32 s44, s44
	s_cbranch_execz .LBB42_278
; %bb.277:                              ;   in Loop: Header=BB42_5 Depth=1
	s_delay_alu instid0(VALU_DEP_2) | instskip(NEXT) | instid1(VALU_DEP_3)
	v_max_num_f64_e64 v[10:11], |v[56:57]|, |v[56:57]|
	v_xor_b32_e32 v1, 0x80000000, v55
	s_delay_alu instid0(VALU_DEP_4) | instskip(SKIP_3) | instid1(VALU_DEP_4)
	v_max_num_f64_e32 v[12:13], v[54:55], v[54:55]
	v_cmp_eq_f64_e64 s3, 0, v[56:57]
	v_cmp_class_f64_e64 s45, v[56:57], 0x204
	v_cmp_eq_f64_e64 s4, 0x7ff00000, v[54:55]
	v_max_num_f64_e32 v[18:19], v[12:13], v[10:11]
	v_min_num_f64_e32 v[10:11], v[12:13], v[10:11]
	s_delay_alu instid0(VALU_DEP_1) | instskip(SKIP_1) | instid1(VALU_DEP_2)
	v_div_scale_f64 v[12:13], null, v[18:19], v[18:19], v[10:11]
	v_div_scale_f64 v[46:47], vcc_lo, v[10:11], v[18:19], v[10:11]
	v_rcp_f64_e32 v[42:43], v[12:13]
	v_nop
	s_delay_alu instid0(TRANS32_DEP_1) | instskip(NEXT) | instid1(VALU_DEP_1)
	v_fma_f64 v[44:45], -v[12:13], v[42:43], 1.0
	v_fmac_f64_e32 v[42:43], v[42:43], v[44:45]
	s_delay_alu instid0(VALU_DEP_1) | instskip(NEXT) | instid1(VALU_DEP_1)
	v_fma_f64 v[44:45], -v[12:13], v[42:43], 1.0
	v_fmac_f64_e32 v[42:43], v[42:43], v[44:45]
	s_delay_alu instid0(VALU_DEP_1) | instskip(NEXT) | instid1(VALU_DEP_1)
	v_mul_f64_e32 v[44:45], v[46:47], v[42:43]
	v_fma_f64 v[12:13], -v[12:13], v[44:45], v[46:47]
	s_delay_alu instid0(VALU_DEP_1) | instskip(SKIP_1) | instid1(VALU_DEP_2)
	v_div_fmas_f64 v[12:13], v[12:13], v[42:43], v[44:45]
	v_cmp_lt_f64_e64 vcc_lo, v[54:55], |v[56:57]|
	v_div_fixup_f64 v[10:11], v[12:13], v[18:19], v[10:11]
	s_delay_alu instid0(VALU_DEP_1) | instskip(NEXT) | instid1(VALU_DEP_1)
	v_mul_f64_e32 v[12:13], v[10:11], v[10:11]
	v_fmamk_f64 v[18:19], v[12:13], 0x3eeba404b5e68a13, v[36:37]
	s_delay_alu instid0(VALU_DEP_1) | instskip(NEXT) | instid1(VALU_DEP_1)
	v_fmaak_f64 v[18:19], v[12:13], v[18:19], 0x3f4b2bb069efb384
	v_fmaak_f64 v[18:19], v[12:13], v[18:19], 0xbf67952daf56de9b
	s_delay_alu instid0(VALU_DEP_1) | instskip(NEXT) | instid1(VALU_DEP_1)
	v_fmaak_f64 v[18:19], v[12:13], v[18:19], 0x3f7d6d43a595c56f
	v_fmaak_f64 v[18:19], v[12:13], v[18:19], 0xbf8c6ea4a57d9582
	;; [unrolled: 3-line block ×9, first 2 shown]
	s_delay_alu instid0(VALU_DEP_1) | instskip(NEXT) | instid1(VALU_DEP_1)
	v_dual_mul_f64 v[12:13], v[12:13], v[18:19] :: v_dual_ashrrev_i32 v18, 31, v1
	v_and_b32_e32 v19, 0x54442d18, v18
	s_delay_alu instid0(VALU_DEP_2) | instskip(NEXT) | instid1(VALU_DEP_1)
	v_fmac_f64_e32 v[10:11], v[10:11], v[12:13]
	v_add_f64_e64 v[12:13], -v[10:11], s[26:27]
	s_delay_alu instid0(VALU_DEP_1) | instskip(SKIP_1) | instid1(VALU_DEP_2)
	v_dual_cndmask_b32 v11, v11, v13 :: v_dual_cndmask_b32 v10, v10, v12
	v_cmp_gt_i32_e32 vcc_lo, 0, v1
	v_add_f64_e64 v[12:13], -v[10:11], s[28:29]
	v_cndmask_b32_e32 v1, 0x54442d18, v59, vcc_lo
	s_delay_alu instid0(VALU_DEP_2) | instskip(SKIP_3) | instid1(VALU_DEP_2)
	v_dual_cndmask_b32 v11, v11, v13 :: v_dual_cndmask_b32 v10, v10, v12
	v_and_b32_e32 v12, 0x400921fb, v18
	v_cndmask_b32_e32 v13, 0x3fe921fb, v60, vcc_lo
	s_and_b32 vcc_lo, s4, s45
	v_dual_cndmask_b32 v11, v11, v12, s3 :: v_dual_cndmask_b32 v10, v10, v19, s3
	s_delay_alu instid0(VALU_DEP_1) | instskip(NEXT) | instid1(VALU_DEP_2)
	v_cndmask_b32_e32 v11, v11, v13, vcc_lo
	v_cndmask_b32_e32 v1, v10, v1, vcc_lo
	v_cmp_o_f64_e32 vcc_lo, v[56:57], v[56:57]
	s_delay_alu instid0(VALU_DEP_2) | instskip(NEXT) | instid1(VALU_DEP_4)
	v_cndmask_b32_e32 v18, 0, v1, vcc_lo
	v_cndmask_b32_e32 v1, 0x7ff80000, v11, vcc_lo
	s_delay_alu instid0(VALU_DEP_1)
	v_bfi_b32 v19, 0x7fffffff, v1, v57
.LBB42_278:                             ;   in Loop: Header=BB42_5 Depth=1
	s_or_b32 exec_lo, exec_lo, s44
.LBB42_279:                             ;   in Loop: Header=BB42_5 Depth=1
	s_delay_alu instid0(SALU_CYCLE_1) | instskip(SKIP_1) | instid1(VALU_DEP_1)
	s_or_b32 exec_lo, exec_lo, s43
	v_xor_b32_e32 v1, 0x80000000, v21
                                        ; implicit-def: $vgpr10_vgpr11
	v_cndmask_b32_e64 v21, v1, v21, s2
.LBB42_280:                             ;   in Loop: Header=BB42_5 Depth=1
	s_and_not1_saveexec_b32 s3, s42
	s_cbranch_execz .LBB42_282
; %bb.281:                              ;   in Loop: Header=BB42_5 Depth=1
	flat_load_b64 v[12:13], v[26:27] scope:SCOPE_SYS
	s_wait_loadcnt_dscnt 0x0
	v_add_f64_e64 v[10:11], v[12:13], -v[10:11]
	s_delay_alu instid0(VALU_DEP_1)
	v_add_f64_e32 v[18:19], 0x3ff921fb54442d18, v[10:11]
.LBB42_282:                             ;   in Loop: Header=BB42_5 Depth=1
	s_or_b32 exec_lo, exec_lo, s3
.LBB42_283:                             ;   in Loop: Header=BB42_5 Depth=1
	s_and_not1_saveexec_b32 s3, s41
; %bb.284:                              ;   in Loop: Header=BB42_5 Depth=1
	v_mov_b64_e32 v[18:19], 0
; %bb.285:                              ;   in Loop: Header=BB42_5 Depth=1
	s_or_b32 exec_lo, exec_lo, s3
                                        ; implicit-def: $vgpr10_vgpr11
                                        ; implicit-def: $vgpr44_vgpr45
                                        ; implicit-def: $vgpr46_vgpr47
                                        ; implicit-def: $vgpr42_vgpr43
.LBB42_286:                             ;   in Loop: Header=BB42_5 Depth=1
	s_and_not1_saveexec_b32 s40, s40
	s_cbranch_execz .LBB42_296
; %bb.287:                              ;   in Loop: Header=BB42_5 Depth=1
	v_cmp_lt_f64_e64 s3, |v[10:11]|, |v[12:13]|
	s_wait_dscnt 0x0
	v_and_b32_e32 v1, 0x7fffffff, v11
	v_and_b32_e32 v50, 0x7fffffff, v13
                                        ; implicit-def: $sgpr41
                                        ; implicit-def: $vgpr20_vgpr21
                                        ; implicit-def: $vgpr18_vgpr19
	s_mov_b32 s4, exec_lo
	s_delay_alu instid0(VALU_DEP_1) | instskip(NEXT) | instid1(VALU_DEP_1)
	v_dual_cndmask_b32 v49, v1, v50, s3 :: v_dual_cndmask_b32 v48, v10, v12, s3
	v_cmpx_nlt_f64_e32 s[30:31], v[48:49]
	s_xor_b32 s42, exec_lo, s4
	s_cbranch_execz .LBB42_293
; %bb.288:                              ;   in Loop: Header=BB42_5 Depth=1
	v_dual_cndmask_b32 v51, v50, v1, s3 :: v_dual_cndmask_b32 v50, v12, v10, s3
	v_cmp_nlt_f64_e32 vcc_lo, 0x20200000, v[48:49]
                                        ; implicit-def: $sgpr41
                                        ; implicit-def: $vgpr20_vgpr21
                                        ; implicit-def: $vgpr18_vgpr19
	s_delay_alu instid0(VALU_DEP_2) | instskip(SKIP_1) | instid1(SALU_CYCLE_1)
	v_cmp_ngt_f64_e64 s4, 0x20000000, v[50:51]
	s_and_b32 s4, vcc_lo, s4
	s_and_saveexec_b32 s43, s4
	s_delay_alu instid0(SALU_CYCLE_1)
	s_xor_b32 s4, exec_lo, s43
	s_cbranch_execz .LBB42_290
; %bb.289:                              ;   in Loop: Header=BB42_5 Depth=1
	v_mul_f64_e32 v[20:21], v[50:51], v[50:51]
	v_min_num_f64_e32 v[44:45], v[44:45], v[46:47]
	v_cmp_class_f64_e64 s41, v[12:13], 0x204
	v_cmp_class_f64_e64 s43, v[10:11], 0x204
	s_delay_alu instid0(VALU_DEP_4) | instskip(SKIP_1) | instid1(VALU_DEP_1)
	v_fmac_f64_e32 v[20:21], v[48:49], v[48:49]
	s_and_b32 s41, s43, s41
	v_frexp_mant_f64_e32 v[18:19], v[20:21]
	s_delay_alu instid0(VALU_DEP_1) | instskip(SKIP_1) | instid1(VALU_DEP_1)
	v_cmp_gt_f64_e32 vcc_lo, s[14:15], v[18:19]
	v_cndmask_b32_e64 v1, 0, 1, vcc_lo
	v_ldexp_f64 v[18:19], v[18:19], v1
	v_frexp_exp_i32_f64_e32 v1, v[20:21]
	s_delay_alu instid0(VALU_DEP_2) | instskip(SKIP_1) | instid1(VALU_DEP_3)
	v_add_f64_e32 v[48:49], 1.0, v[18:19]
	v_add_f64_e32 v[54:55], -1.0, v[18:19]
	v_subrev_co_ci_u32_e64 v1, null, 0, v1, vcc_lo
	v_div_scale_f64 v[68:69], vcc_lo, v[44:45], v[42:43], v[44:45]
	s_delay_alu instid0(VALU_DEP_4) | instskip(SKIP_1) | instid1(VALU_DEP_1)
	v_rcp_f64_e32 v[50:51], v[48:49]
	v_add_f64_e32 v[56:57], -1.0, v[48:49]
	v_add_f64_e64 v[18:19], v[18:19], -v[56:57]
	s_delay_alu instid0(TRANS32_DEP_1) | instskip(NEXT) | instid1(VALU_DEP_1)
	v_fma_f64 v[52:53], -v[48:49], v[50:51], 1.0
	v_fmac_f64_e32 v[50:51], v[52:53], v[50:51]
	s_delay_alu instid0(VALU_DEP_1) | instskip(NEXT) | instid1(VALU_DEP_1)
	v_fma_f64 v[52:53], -v[48:49], v[50:51], 1.0
	v_fmac_f64_e32 v[50:51], v[52:53], v[50:51]
	s_delay_alu instid0(VALU_DEP_1) | instskip(NEXT) | instid1(VALU_DEP_1)
	v_mul_f64_e32 v[52:53], v[54:55], v[50:51]
	v_mul_f64_e32 v[62:63], v[48:49], v[52:53]
	s_delay_alu instid0(VALU_DEP_1) | instskip(NEXT) | instid1(VALU_DEP_1)
	v_fma_f64 v[48:49], v[52:53], v[48:49], -v[62:63]
	v_fmac_f64_e32 v[48:49], v[52:53], v[18:19]
	s_delay_alu instid0(VALU_DEP_1) | instskip(NEXT) | instid1(VALU_DEP_1)
	v_add_f64_e32 v[18:19], v[62:63], v[48:49]
	v_add_f64_e64 v[56:57], v[54:55], -v[18:19]
	v_add_f64_e64 v[62:63], v[18:19], -v[62:63]
	s_delay_alu instid0(VALU_DEP_2) | instskip(NEXT) | instid1(VALU_DEP_2)
	v_add_f64_e64 v[54:55], v[54:55], -v[56:57]
	v_add_f64_e64 v[48:49], v[62:63], -v[48:49]
	s_delay_alu instid0(VALU_DEP_2) | instskip(NEXT) | instid1(VALU_DEP_1)
	v_add_f64_e64 v[18:19], v[54:55], -v[18:19]
	v_add_f64_e32 v[18:19], v[48:49], v[18:19]
	s_delay_alu instid0(VALU_DEP_1) | instskip(NEXT) | instid1(VALU_DEP_1)
	v_add_f64_e32 v[18:19], v[56:57], v[18:19]
	v_mul_f64_e32 v[18:19], v[50:51], v[18:19]
	s_delay_alu instid0(VALU_DEP_1) | instskip(NEXT) | instid1(VALU_DEP_1)
	v_add_f64_e32 v[48:49], v[52:53], v[18:19]
	v_mul_f64_e32 v[50:51], v[48:49], v[48:49]
	v_ldexp_f64 v[46:47], v[48:49], 1
	s_delay_alu instid0(VALU_DEP_2) | instskip(SKIP_2) | instid1(VALU_DEP_3)
	v_fmamk_f64 v[54:55], v[50:51], 0x3fc3ab76bf559e2b, v[28:29]
	v_mul_f64_e32 v[56:57], v[48:49], v[50:51]
	v_add_f64_e64 v[48:49], v[48:49], -v[52:53]
	v_fmaak_f64 v[54:55], v[50:51], v[54:55], 0x3fc7474dd7f4df2e
	s_delay_alu instid0(VALU_DEP_1) | instskip(NEXT) | instid1(VALU_DEP_1)
	v_fmaak_f64 v[54:55], v[50:51], v[54:55], 0x3fcc71c016291751
	v_fmaak_f64 v[54:55], v[50:51], v[54:55], 0x3fd249249b27acf1
	s_delay_alu instid0(VALU_DEP_1) | instskip(SKIP_1) | instid1(VALU_DEP_2)
	v_fmaak_f64 v[54:55], v[50:51], v[54:55], 0x3fd99999998ef7b6
	v_add_f64_e64 v[18:19], v[18:19], -v[48:49]
	v_fmaak_f64 v[50:51], v[50:51], v[54:55], 0x3fe5555555555780
	v_div_scale_f64 v[54:55], null, v[42:43], v[42:43], v[44:45]
	s_delay_alu instid0(VALU_DEP_2) | instskip(SKIP_2) | instid1(VALU_DEP_4)
	v_mul_f64_e32 v[50:51], v[56:57], v[50:51]
	v_cvt_f64_i32_e32 v[56:57], v1
	v_ldexp_f64 v[18:19], v[18:19], 1
	v_rcp_f64_e32 v[62:63], v[54:55]
	s_delay_alu instid0(VALU_DEP_3) | instskip(NEXT) | instid1(VALU_DEP_3)
	v_add_f64_e32 v[52:53], v[46:47], v[50:51]
	v_mul_f64_e32 v[64:65], 0x3fe62e42fefa39ef, v[56:57]
	s_delay_alu instid0(VALU_DEP_2) | instskip(NEXT) | instid1(VALU_DEP_2)
	v_add_f64_e64 v[46:47], v[52:53], -v[46:47]
	v_fma_f64 v[48:49], v[56:57], s[16:17], -v[64:65]
	s_delay_alu instid0(VALU_DEP_2) | instskip(NEXT) | instid1(TRANS32_DEP_1)
	v_add_f64_e64 v[46:47], v[50:51], -v[46:47]
	v_fma_f64 v[50:51], -v[54:55], v[62:63], 1.0
	s_delay_alu instid0(VALU_DEP_3) | instskip(NEXT) | instid1(VALU_DEP_3)
	v_fmac_f64_e32 v[48:49], 0x3c7abc9e3b39803f, v[56:57]
	v_add_f64_e32 v[18:19], v[18:19], v[46:47]
	s_delay_alu instid0(VALU_DEP_3) | instskip(NEXT) | instid1(VALU_DEP_3)
	v_fmac_f64_e32 v[62:63], v[62:63], v[50:51]
	v_add_f64_e32 v[46:47], v[64:65], v[48:49]
	s_delay_alu instid0(VALU_DEP_3) | instskip(NEXT) | instid1(VALU_DEP_3)
	v_add_f64_e32 v[50:51], v[52:53], v[18:19]
	v_fma_f64 v[56:57], -v[54:55], v[62:63], 1.0
	s_delay_alu instid0(VALU_DEP_3) | instskip(NEXT) | instid1(VALU_DEP_3)
	v_add_f64_e64 v[64:65], v[46:47], -v[64:65]
	v_add_f64_e32 v[66:67], v[46:47], v[50:51]
	s_delay_alu instid0(VALU_DEP_3) | instskip(SKIP_1) | instid1(VALU_DEP_4)
	v_fmac_f64_e32 v[62:63], v[62:63], v[56:57]
	v_add_f64_e64 v[52:53], v[50:51], -v[52:53]
	v_add_f64_e64 v[48:49], v[48:49], -v[64:65]
	s_delay_alu instid0(VALU_DEP_4) | instskip(NEXT) | instid1(VALU_DEP_4)
	v_add_f64_e64 v[56:57], v[66:67], -v[46:47]
	v_mul_f64_e32 v[70:71], v[68:69], v[62:63]
	s_delay_alu instid0(VALU_DEP_4) | instskip(NEXT) | instid1(VALU_DEP_3)
	v_add_f64_e64 v[52:53], v[18:19], -v[52:53]
	v_add_f64_e64 v[72:73], v[66:67], -v[56:57]
	s_delay_alu instid0(VALU_DEP_3) | instskip(SKIP_1) | instid1(VALU_DEP_3)
	v_fma_f64 v[54:55], -v[54:55], v[70:71], v[68:69]
	v_add_f64_e64 v[18:19], v[50:51], -v[56:57]
	v_add_f64_e64 v[46:47], v[46:47], -v[72:73]
	s_delay_alu instid0(VALU_DEP_3) | instskip(SKIP_2) | instid1(VALU_DEP_4)
	v_div_fmas_f64 v[50:51], v[54:55], v[62:63], v[70:71]
	v_add_f64_e32 v[54:55], v[48:49], v[52:53]
	v_cmp_class_f64_e64 vcc_lo, v[20:21], 0x204
	v_add_f64_e32 v[46:47], v[18:19], v[46:47]
	s_delay_alu instid0(VALU_DEP_4) | instskip(NEXT) | instid1(VALU_DEP_4)
	v_div_fixup_f64 v[18:19], v[50:51], v[42:43], v[44:45]
	v_add_f64_e64 v[42:43], v[54:55], -v[48:49]
	s_delay_alu instid0(VALU_DEP_3) | instskip(NEXT) | instid1(VALU_DEP_3)
	v_add_f64_e32 v[44:45], v[54:55], v[46:47]
	v_mul_f64_e32 v[46:47], v[18:19], v[18:19]
	s_delay_alu instid0(VALU_DEP_3) | instskip(SKIP_1) | instid1(VALU_DEP_4)
	v_add_f64_e64 v[50:51], v[54:55], -v[42:43]
	v_add_f64_e64 v[42:43], v[52:53], -v[42:43]
	v_add_f64_e32 v[54:55], v[66:67], v[44:45]
	s_delay_alu instid0(VALU_DEP_4) | instskip(NEXT) | instid1(VALU_DEP_4)
	v_fmamk_f64 v[56:57], v[46:47], 0x3eeba404b5e68a13, v[36:37]
	v_add_f64_e64 v[48:49], v[48:49], -v[50:51]
	s_delay_alu instid0(VALU_DEP_2) | instskip(NEXT) | instid1(VALU_DEP_1)
	v_fmaak_f64 v[56:57], v[46:47], v[56:57], 0x3f4b2bb069efb384
	v_fmaak_f64 v[56:57], v[46:47], v[56:57], 0xbf67952daf56de9b
	s_delay_alu instid0(VALU_DEP_1) | instskip(NEXT) | instid1(VALU_DEP_1)
	v_fmaak_f64 v[56:57], v[46:47], v[56:57], 0x3f7d6d43a595c56f
	v_fmaak_f64 v[52:53], v[46:47], v[56:57], 0xbf8c6ea4a57d9582
	v_add_f64_e64 v[50:51], v[54:55], -v[66:67]
	v_add_f64_e32 v[42:43], v[42:43], v[48:49]
	s_delay_alu instid0(VALU_DEP_3) | instskip(NEXT) | instid1(VALU_DEP_1)
	v_fmaak_f64 v[52:53], v[46:47], v[52:53], 0x3f967e295f08b19f
	v_fmaak_f64 v[52:53], v[46:47], v[52:53], 0xbf9e9ae6fc27006a
	s_delay_alu instid0(VALU_DEP_1) | instskip(NEXT) | instid1(VALU_DEP_1)
	v_fmaak_f64 v[52:53], v[46:47], v[52:53], 0x3fa2c15b5711927a
	v_fmaak_f64 v[52:53], v[46:47], v[52:53], 0xbfa59976e82d3ff0
	s_delay_alu instid0(VALU_DEP_1) | instskip(SKIP_1) | instid1(VALU_DEP_2)
	v_fmaak_f64 v[48:49], v[46:47], v[52:53], 0x3fa82d5d6ef28734
	v_add_f64_e64 v[44:45], v[44:45], -v[50:51]
	v_fmaak_f64 v[48:49], v[46:47], v[48:49], 0xbfaae5ce6a214619
	s_delay_alu instid0(VALU_DEP_1) | instskip(NEXT) | instid1(VALU_DEP_1)
	v_fmaak_f64 v[48:49], v[46:47], v[48:49], 0x3fae1bb48427b883
	v_fmaak_f64 v[48:49], v[46:47], v[48:49], 0xbfb110e48b207f05
	s_delay_alu instid0(VALU_DEP_4) | instskip(NEXT) | instid1(VALU_DEP_2)
	v_add_f64_e32 v[42:43], v[42:43], v[44:45]
	v_fmaak_f64 v[44:45], v[46:47], v[48:49], 0x3fb3b13657b87036
	s_delay_alu instid0(VALU_DEP_1) | instskip(NEXT) | instid1(VALU_DEP_1)
	v_fmaak_f64 v[44:45], v[46:47], v[44:45], 0xbfb745d119378e4f
	v_fmaak_f64 v[44:45], v[46:47], v[44:45], 0x3fbc71c717e1913c
	s_delay_alu instid0(VALU_DEP_1) | instskip(NEXT) | instid1(VALU_DEP_1)
	v_fmaak_f64 v[44:45], v[46:47], v[44:45], 0xbfc2492492376b7d
	v_fmaak_f64 v[44:45], v[46:47], v[44:45], 0x3fc99999999952cc
	v_add_f64_e32 v[42:43], v[54:55], v[42:43]
	s_delay_alu instid0(VALU_DEP_2) | instskip(NEXT) | instid1(VALU_DEP_1)
	v_fmaak_f64 v[44:45], v[46:47], v[44:45], 0xbfd5555555555523
	v_mul_f64_e32 v[44:45], v[46:47], v[44:45]
                                        ; implicit-def: $vgpr46_vgpr47
	s_delay_alu instid0(VALU_DEP_3) | instskip(SKIP_1) | instid1(VALU_DEP_2)
	v_dual_cndmask_b32 v43, v43, v21 :: v_dual_cndmask_b32 v42, v42, v20
	v_cmp_neq_f64_e32 vcc_lo, 0, v[20:21]
	v_mul_f64_e32 v[42:43], 0.5, v[42:43]
	s_delay_alu instid0(VALU_DEP_4) | instskip(NEXT) | instid1(VALU_DEP_2)
	v_fmac_f64_e32 v[18:19], v[18:19], v[44:45]
                                        ; implicit-def: $vgpr44_vgpr45
	v_cndmask_b32_e32 v21, 0xfff00000, v43, vcc_lo
	s_delay_alu instid0(VALU_DEP_3)
	v_cndmask_b32_e32 v20, 0, v42, vcc_lo
                                        ; implicit-def: $vgpr42_vgpr43
.LBB42_290:                             ;   in Loop: Header=BB42_5 Depth=1
	s_and_not1_saveexec_b32 s4, s4
	s_cbranch_execz .LBB42_292
; %bb.291:                              ;   in Loop: Header=BB42_5 Depth=1
	v_frexp_exp_i32_f64_e32 v1, v[42:43]
	v_cmp_class_f64_e64 s43, v[10:11], 0x204
	v_cmp_class_f64_e64 s44, v[12:13], 0x204
	v_min_num_f64_e32 v[44:45], v[44:45], v[46:47]
	s_and_not1_b32 s41, s41, exec_lo
	v_sub_nc_u32_e32 v20, 0, v1
	s_or_b32 s45, s43, s44
	s_and_b32 s43, s43, s44
	s_delay_alu instid0(SALU_CYCLE_1) | instskip(NEXT) | instid1(VALU_DEP_1)
	s_and_b32 s43, s43, exec_lo
	v_ldexp_f64 v[18:19], |v[12:13]|, v20
	s_or_b32 s41, s41, s43
	s_delay_alu instid0(VALU_DEP_1) | instskip(SKIP_1) | instid1(VALU_DEP_1)
	v_mul_f64_e32 v[18:19], v[18:19], v[18:19]
	v_ldexp_f64 v[20:21], |v[10:11]|, v20
	v_fmac_f64_e32 v[18:19], v[20:21], v[20:21]
	s_delay_alu instid0(VALU_DEP_1) | instskip(SKIP_1) | instid1(TRANS32_DEP_1)
	v_rsq_f64_e32 v[20:21], v[18:19]
	v_cmp_eq_f64_e32 vcc_lo, 0, v[18:19]
	v_mul_f64_e32 v[48:49], v[18:19], v[20:21]
	v_mul_f64_e32 v[20:21], 0.5, v[20:21]
	s_delay_alu instid0(VALU_DEP_1) | instskip(NEXT) | instid1(VALU_DEP_1)
	v_fma_f64 v[50:51], -v[20:21], v[48:49], 0.5
	v_fmac_f64_e32 v[48:49], v[48:49], v[50:51]
	v_fmac_f64_e32 v[20:21], v[20:21], v[50:51]
	s_delay_alu instid0(VALU_DEP_2) | instskip(NEXT) | instid1(VALU_DEP_1)
	v_fma_f64 v[50:51], -v[48:49], v[48:49], v[18:19]
	v_fmac_f64_e32 v[48:49], v[50:51], v[20:21]
	s_delay_alu instid0(VALU_DEP_1) | instskip(NEXT) | instid1(VALU_DEP_1)
	v_dual_cndmask_b32 v19, v49, v19 :: v_dual_cndmask_b32 v18, v48, v18
	v_ldexp_f64 v[18:19], v[18:19], v1
	s_delay_alu instid0(VALU_DEP_1) | instskip(NEXT) | instid1(VALU_DEP_2)
	v_cndmask_b32_e64 v49, v19, 0x7ff00000, s45
	v_cndmask_b32_e64 v48, v18, 0, s45
	s_delay_alu instid0(VALU_DEP_1) | instskip(NEXT) | instid1(VALU_DEP_1)
	v_frexp_mant_f64_e32 v[18:19], v[48:49]
	v_cmp_gt_f64_e32 vcc_lo, s[14:15], v[18:19]
	v_cndmask_b32_e64 v1, 0, 1, vcc_lo
	s_delay_alu instid0(VALU_DEP_1) | instskip(SKIP_1) | instid1(VALU_DEP_2)
	v_ldexp_f64 v[18:19], v[18:19], v1
	v_frexp_exp_i32_f64_e32 v1, v[48:49]
	v_add_f64_e32 v[20:21], 1.0, v[18:19]
	v_add_f64_e32 v[54:55], -1.0, v[18:19]
	s_delay_alu instid0(VALU_DEP_3) | instskip(NEXT) | instid1(VALU_DEP_3)
	v_subrev_co_ci_u32_e64 v1, null, 0, v1, vcc_lo
	v_rcp_f64_e32 v[50:51], v[20:21]
	v_add_f64_e32 v[56:57], -1.0, v[20:21]
	s_delay_alu instid0(VALU_DEP_1) | instskip(NEXT) | instid1(TRANS32_DEP_1)
	v_add_f64_e64 v[18:19], v[18:19], -v[56:57]
	v_fma_f64 v[52:53], -v[20:21], v[50:51], 1.0
	s_delay_alu instid0(VALU_DEP_1) | instskip(NEXT) | instid1(VALU_DEP_1)
	v_fmac_f64_e32 v[50:51], v[52:53], v[50:51]
	v_fma_f64 v[52:53], -v[20:21], v[50:51], 1.0
	s_delay_alu instid0(VALU_DEP_1) | instskip(NEXT) | instid1(VALU_DEP_1)
	v_fmac_f64_e32 v[50:51], v[52:53], v[50:51]
	v_mul_f64_e32 v[52:53], v[54:55], v[50:51]
	s_delay_alu instid0(VALU_DEP_1) | instskip(NEXT) | instid1(VALU_DEP_1)
	v_mul_f64_e32 v[62:63], v[20:21], v[52:53]
	v_fma_f64 v[20:21], v[52:53], v[20:21], -v[62:63]
	s_delay_alu instid0(VALU_DEP_1) | instskip(NEXT) | instid1(VALU_DEP_1)
	v_fmac_f64_e32 v[20:21], v[52:53], v[18:19]
	v_add_f64_e32 v[18:19], v[62:63], v[20:21]
	s_delay_alu instid0(VALU_DEP_1) | instskip(SKIP_1) | instid1(VALU_DEP_2)
	v_add_f64_e64 v[56:57], v[54:55], -v[18:19]
	v_add_f64_e64 v[62:63], v[18:19], -v[62:63]
	;; [unrolled: 1-line block ×3, first 2 shown]
	s_delay_alu instid0(VALU_DEP_2) | instskip(NEXT) | instid1(VALU_DEP_2)
	v_add_f64_e64 v[20:21], v[62:63], -v[20:21]
	v_add_f64_e64 v[18:19], v[54:55], -v[18:19]
	s_delay_alu instid0(VALU_DEP_1) | instskip(NEXT) | instid1(VALU_DEP_1)
	v_add_f64_e32 v[18:19], v[20:21], v[18:19]
	v_add_f64_e32 v[18:19], v[56:57], v[18:19]
	s_delay_alu instid0(VALU_DEP_1) | instskip(NEXT) | instid1(VALU_DEP_1)
	v_mul_f64_e32 v[18:19], v[50:51], v[18:19]
	v_add_f64_e32 v[20:21], v[52:53], v[18:19]
	s_delay_alu instid0(VALU_DEP_1) | instskip(NEXT) | instid1(VALU_DEP_1)
	v_mul_f64_e32 v[50:51], v[20:21], v[20:21]
	v_fmamk_f64 v[54:55], v[50:51], 0x3fc3ab76bf559e2b, v[28:29]
	v_mul_f64_e32 v[56:57], v[20:21], v[50:51]
	s_delay_alu instid0(VALU_DEP_2) | instskip(NEXT) | instid1(VALU_DEP_1)
	v_fmaak_f64 v[54:55], v[50:51], v[54:55], 0x3fc7474dd7f4df2e
	v_fmaak_f64 v[46:47], v[50:51], v[54:55], 0x3fcc71c016291751
	v_div_scale_f64 v[54:55], null, v[42:43], v[42:43], v[44:45]
	s_delay_alu instid0(VALU_DEP_2) | instskip(NEXT) | instid1(VALU_DEP_1)
	v_fmaak_f64 v[46:47], v[50:51], v[46:47], 0x3fd249249b27acf1
	v_fmaak_f64 v[46:47], v[50:51], v[46:47], 0x3fd99999998ef7b6
	s_delay_alu instid0(VALU_DEP_1) | instskip(SKIP_2) | instid1(VALU_DEP_3)
	v_fmaak_f64 v[46:47], v[50:51], v[46:47], 0x3fe5555555555780
	v_ldexp_f64 v[50:51], v[20:21], 1
	v_add_f64_e64 v[20:21], v[20:21], -v[52:53]
	v_mul_f64_e32 v[46:47], v[56:57], v[46:47]
	v_cvt_f64_i32_e32 v[56:57], v1
	v_rcp_f64_e32 v[62:63], v[54:55]
	s_delay_alu instid0(VALU_DEP_3) | instskip(NEXT) | instid1(VALU_DEP_3)
	v_add_f64_e64 v[18:19], v[18:19], -v[20:21]
	v_add_f64_e32 v[52:53], v[50:51], v[46:47]
	s_delay_alu instid0(VALU_DEP_3) | instskip(NEXT) | instid1(VALU_DEP_3)
	v_mul_f64_e32 v[64:65], 0x3fe62e42fefa39ef, v[56:57]
	v_ldexp_f64 v[18:19], v[18:19], 1
	s_delay_alu instid0(VALU_DEP_3) | instskip(NEXT) | instid1(TRANS32_DEP_1)
	v_add_f64_e64 v[20:21], v[52:53], -v[50:51]
	v_fma_f64 v[50:51], -v[54:55], v[62:63], 1.0
	s_delay_alu instid0(VALU_DEP_4) | instskip(NEXT) | instid1(VALU_DEP_3)
	v_fma_f64 v[66:67], v[56:57], s[16:17], -v[64:65]
	v_add_f64_e64 v[20:21], v[46:47], -v[20:21]
	s_delay_alu instid0(VALU_DEP_3) | instskip(NEXT) | instid1(VALU_DEP_3)
	v_fmac_f64_e32 v[62:63], v[62:63], v[50:51]
	v_fmac_f64_e32 v[66:67], 0x3c7abc9e3b39803f, v[56:57]
	v_div_scale_f64 v[56:57], vcc_lo, v[44:45], v[42:43], v[44:45]
	s_delay_alu instid0(VALU_DEP_4) | instskip(NEXT) | instid1(VALU_DEP_4)
	v_add_f64_e32 v[18:19], v[18:19], v[20:21]
	v_fma_f64 v[20:21], -v[54:55], v[62:63], 1.0
	s_delay_alu instid0(VALU_DEP_4) | instskip(NEXT) | instid1(VALU_DEP_3)
	v_add_f64_e32 v[46:47], v[64:65], v[66:67]
	v_add_f64_e32 v[50:51], v[52:53], v[18:19]
	s_delay_alu instid0(VALU_DEP_3) | instskip(NEXT) | instid1(VALU_DEP_2)
	v_fmac_f64_e32 v[62:63], v[62:63], v[20:21]
	v_add_f64_e32 v[20:21], v[46:47], v[50:51]
	s_delay_alu instid0(VALU_DEP_2) | instskip(SKIP_1) | instid1(VALU_DEP_3)
	v_mul_f64_e32 v[68:69], v[56:57], v[62:63]
	v_add_f64_e64 v[52:53], v[50:51], -v[52:53]
	v_add_f64_e64 v[70:71], v[20:21], -v[46:47]
	s_delay_alu instid0(VALU_DEP_3) | instskip(SKIP_1) | instid1(VALU_DEP_4)
	v_fma_f64 v[54:55], -v[54:55], v[68:69], v[56:57]
	v_add_f64_e64 v[56:57], v[46:47], -v[64:65]
	v_add_f64_e64 v[52:53], v[18:19], -v[52:53]
	s_delay_alu instid0(VALU_DEP_4) | instskip(NEXT) | instid1(VALU_DEP_4)
	v_add_f64_e64 v[64:65], v[20:21], -v[70:71]
	v_div_fmas_f64 v[54:55], v[54:55], v[62:63], v[68:69]
	s_delay_alu instid0(VALU_DEP_4)
	v_add_f64_e64 v[56:57], v[66:67], -v[56:57]
	v_add_f64_e64 v[50:51], v[50:51], -v[70:71]
	v_cmp_class_f64_e64 vcc_lo, v[48:49], 0x204
	v_add_f64_e64 v[46:47], v[46:47], -v[64:65]
	v_div_fixup_f64 v[18:19], v[54:55], v[42:43], v[44:45]
	v_add_f64_e32 v[42:43], v[56:57], v[52:53]
	s_delay_alu instid0(VALU_DEP_3) | instskip(NEXT) | instid1(VALU_DEP_3)
	v_add_f64_e32 v[44:45], v[50:51], v[46:47]
	v_mul_f64_e32 v[46:47], v[18:19], v[18:19]
	s_delay_alu instid0(VALU_DEP_3) | instskip(NEXT) | instid1(VALU_DEP_3)
	v_add_f64_e64 v[50:51], v[42:43], -v[56:57]
	v_add_f64_e32 v[44:45], v[42:43], v[44:45]
	s_delay_alu instid0(VALU_DEP_3) | instskip(NEXT) | instid1(VALU_DEP_3)
	v_fmamk_f64 v[54:55], v[46:47], 0x3eeba404b5e68a13, v[36:37]
	v_add_f64_e64 v[42:43], v[42:43], -v[50:51]
	v_add_f64_e64 v[50:51], v[52:53], -v[50:51]
	s_delay_alu instid0(VALU_DEP_3) | instskip(NEXT) | instid1(VALU_DEP_1)
	v_fmaak_f64 v[54:55], v[46:47], v[54:55], 0x3f4b2bb069efb384
	v_fmaak_f64 v[54:55], v[46:47], v[54:55], 0xbf67952daf56de9b
	s_delay_alu instid0(VALU_DEP_1) | instskip(NEXT) | instid1(VALU_DEP_1)
	v_fmaak_f64 v[54:55], v[46:47], v[54:55], 0x3f7d6d43a595c56f
	v_fmaak_f64 v[54:55], v[46:47], v[54:55], 0xbf8c6ea4a57d9582
	v_add_f64_e32 v[62:63], v[20:21], v[44:45]
	v_add_f64_e64 v[42:43], v[56:57], -v[42:43]
	s_delay_alu instid0(VALU_DEP_3) | instskip(NEXT) | instid1(VALU_DEP_1)
	v_fmaak_f64 v[54:55], v[46:47], v[54:55], 0x3f967e295f08b19f
	v_fmaak_f64 v[54:55], v[46:47], v[54:55], 0xbf9e9ae6fc27006a
	s_delay_alu instid0(VALU_DEP_1) | instskip(NEXT) | instid1(VALU_DEP_1)
	v_fmaak_f64 v[54:55], v[46:47], v[54:55], 0x3fa2c15b5711927a
	v_fmaak_f64 v[52:53], v[46:47], v[54:55], 0xbfa59976e82d3ff0
	s_delay_alu instid0(VALU_DEP_1) | instskip(SKIP_2) | instid1(VALU_DEP_3)
	v_fmaak_f64 v[52:53], v[46:47], v[52:53], 0x3fa82d5d6ef28734
	v_add_f64_e64 v[20:21], v[62:63], -v[20:21]
	v_add_f64_e32 v[42:43], v[50:51], v[42:43]
	v_fmaak_f64 v[52:53], v[46:47], v[52:53], 0xbfaae5ce6a214619
	s_delay_alu instid0(VALU_DEP_1) | instskip(NEXT) | instid1(VALU_DEP_1)
	v_fmaak_f64 v[52:53], v[46:47], v[52:53], 0x3fae1bb48427b883
	v_fmaak_f64 v[52:53], v[46:47], v[52:53], 0xbfb110e48b207f05
	v_add_f64_e64 v[20:21], v[44:45], -v[20:21]
	s_delay_alu instid0(VALU_DEP_2) | instskip(NEXT) | instid1(VALU_DEP_1)
	v_fmaak_f64 v[44:45], v[46:47], v[52:53], 0x3fb3b13657b87036
	v_fmaak_f64 v[44:45], v[46:47], v[44:45], 0xbfb745d119378e4f
	s_delay_alu instid0(VALU_DEP_1) | instskip(NEXT) | instid1(VALU_DEP_1)
	v_fmaak_f64 v[44:45], v[46:47], v[44:45], 0x3fbc71c717e1913c
	v_fmaak_f64 v[44:45], v[46:47], v[44:45], 0xbfc2492492376b7d
	v_add_f64_e32 v[20:21], v[42:43], v[20:21]
	s_delay_alu instid0(VALU_DEP_2) | instskip(NEXT) | instid1(VALU_DEP_1)
	v_fmaak_f64 v[42:43], v[46:47], v[44:45], 0x3fc99999999952cc
	v_fmaak_f64 v[42:43], v[46:47], v[42:43], 0xbfd5555555555523
	s_delay_alu instid0(VALU_DEP_1) | instskip(NEXT) | instid1(VALU_DEP_4)
	v_mul_f64_e32 v[42:43], v[46:47], v[42:43]
	v_add_f64_e32 v[20:21], v[62:63], v[20:21]
	s_delay_alu instid0(VALU_DEP_2) | instskip(NEXT) | instid1(VALU_DEP_2)
	v_fmac_f64_e32 v[18:19], v[18:19], v[42:43]
	v_dual_cndmask_b32 v1, v20, v48 :: v_dual_cndmask_b32 v20, v21, v49
	v_cmp_ngt_f64_e32 vcc_lo, 0, v[48:49]
	s_delay_alu instid0(VALU_DEP_2) | instskip(SKIP_1) | instid1(VALU_DEP_4)
	v_cndmask_b32_e32 v21, 0x7ff80000, v20, vcc_lo
	v_cmp_nge_f64_e32 vcc_lo, 0, v[48:49]
	v_cndmask_b32_e32 v20, 0, v1, vcc_lo
	v_cmp_neq_f64_e32 vcc_lo, 0, v[48:49]
	s_delay_alu instid0(VALU_DEP_4)
	v_cndmask_b32_e32 v21, 0xfff00000, v21, vcc_lo
.LBB42_292:                             ;   in Loop: Header=BB42_5 Depth=1
	s_or_b32 exec_lo, exec_lo, s4
                                        ; implicit-def: $vgpr44_vgpr45
                                        ; implicit-def: $vgpr46_vgpr47
                                        ; implicit-def: $vgpr42_vgpr43
.LBB42_293:                             ;   in Loop: Header=BB42_5 Depth=1
	s_and_not1_saveexec_b32 s42, s42
	s_cbranch_execz .LBB42_295
; %bb.294:                              ;   in Loop: Header=BB42_5 Depth=1
	v_div_scale_f64 v[18:19], null, s[34:35], s[34:35], v[10:11]
	v_div_scale_f64 v[20:21], null, s[34:35], s[34:35], v[12:13]
	v_div_scale_f64 v[56:57], vcc_lo, v[10:11], s[34:35], v[10:11]
	v_min_num_f64_e32 v[44:45], v[44:45], v[46:47]
	s_and_not1_b32 s41, s41, exec_lo
	s_delay_alu instid0(VALU_DEP_4) | instskip(NEXT) | instid1(VALU_DEP_3)
	v_rcp_f64_e32 v[48:49], v[18:19]
	v_rcp_f64_e32 v[50:51], v[20:21]
	s_delay_alu instid0(TRANS32_DEP_2) | instskip(NEXT) | instid1(TRANS32_DEP_1)
	v_fma_f64 v[52:53], -v[18:19], v[48:49], 1.0
	v_fma_f64 v[54:55], -v[20:21], v[50:51], 1.0
	s_delay_alu instid0(VALU_DEP_2) | instskip(NEXT) | instid1(VALU_DEP_2)
	v_fmac_f64_e32 v[48:49], v[48:49], v[52:53]
	v_fmac_f64_e32 v[50:51], v[50:51], v[54:55]
	s_delay_alu instid0(VALU_DEP_2) | instskip(NEXT) | instid1(VALU_DEP_2)
	v_fma_f64 v[52:53], -v[18:19], v[48:49], 1.0
	v_fma_f64 v[54:55], -v[20:21], v[50:51], 1.0
	s_delay_alu instid0(VALU_DEP_2) | instskip(SKIP_1) | instid1(VALU_DEP_3)
	v_fmac_f64_e32 v[48:49], v[48:49], v[52:53]
	v_div_scale_f64 v[52:53], s4, v[12:13], s[34:35], v[12:13]
	v_fmac_f64_e32 v[50:51], v[50:51], v[54:55]
	s_delay_alu instid0(VALU_DEP_3) | instskip(NEXT) | instid1(VALU_DEP_2)
	v_mul_f64_e32 v[54:55], v[56:57], v[48:49]
	v_mul_f64_e32 v[62:63], v[52:53], v[50:51]
	s_delay_alu instid0(VALU_DEP_2) | instskip(NEXT) | instid1(VALU_DEP_2)
	v_fma_f64 v[18:19], -v[18:19], v[54:55], v[56:57]
	v_fma_f64 v[20:21], -v[20:21], v[62:63], v[52:53]
	s_delay_alu instid0(VALU_DEP_2) | instskip(SKIP_1) | instid1(VALU_DEP_2)
	v_div_fmas_f64 v[18:19], v[18:19], v[48:49], v[54:55]
	s_mov_b32 vcc_lo, s4
	v_div_fmas_f64 v[20:21], v[20:21], v[50:51], v[62:63]
	s_delay_alu instid0(VALU_DEP_2) | instskip(NEXT) | instid1(VALU_DEP_2)
	v_div_fixup_f64 v[18:19], v[18:19], s[34:35], v[10:11]
	v_div_fixup_f64 v[20:21], v[20:21], s[34:35], v[12:13]
	s_delay_alu instid0(VALU_DEP_2) | instskip(NEXT) | instid1(VALU_DEP_2)
	v_cmp_class_f64_e64 s4, v[18:19], 0x204
	v_max_num_f64_e64 v[48:49], |v[18:19]|, |v[20:21]|
	v_cmp_class_f64_e64 s43, v[20:21], 0x204
	s_delay_alu instid0(VALU_DEP_2) | instskip(SKIP_2) | instid1(VALU_DEP_2)
	v_frexp_exp_i32_f64_e32 v1, v[48:49]
	s_or_b32 s4, s4, s43
	v_cmp_class_f64_e64 s43, v[10:11], 0x204
	v_sub_nc_u32_e32 v50, 0, v1
	s_delay_alu instid0(VALU_DEP_1) | instskip(SKIP_1) | instid1(VALU_DEP_2)
	v_ldexp_f64 v[48:49], |v[20:21]|, v50
	v_ldexp_f64 v[50:51], |v[18:19]|, v50
	v_mul_f64_e32 v[48:49], v[48:49], v[48:49]
	s_delay_alu instid0(VALU_DEP_1) | instskip(NEXT) | instid1(VALU_DEP_1)
	v_fmac_f64_e32 v[48:49], v[50:51], v[50:51]
	v_rsq_f64_e32 v[50:51], v[48:49]
	v_cmp_eq_f64_e32 vcc_lo, 0, v[48:49]
	s_delay_alu instid0(TRANS32_DEP_1) | instskip(SKIP_1) | instid1(VALU_DEP_1)
	v_mul_f64_e32 v[52:53], v[48:49], v[50:51]
	v_mul_f64_e32 v[50:51], 0.5, v[50:51]
	v_fma_f64 v[54:55], -v[50:51], v[52:53], 0.5
	s_delay_alu instid0(VALU_DEP_1) | instskip(SKIP_1) | instid1(VALU_DEP_2)
	v_fmac_f64_e32 v[52:53], v[52:53], v[54:55]
	v_fmac_f64_e32 v[50:51], v[50:51], v[54:55]
	v_fma_f64 v[54:55], -v[52:53], v[52:53], v[48:49]
	s_delay_alu instid0(VALU_DEP_1) | instskip(NEXT) | instid1(VALU_DEP_1)
	v_fmac_f64_e32 v[52:53], v[54:55], v[50:51]
	v_dual_cndmask_b32 v49, v53, v49 :: v_dual_cndmask_b32 v48, v52, v48
	s_delay_alu instid0(VALU_DEP_1) | instskip(NEXT) | instid1(VALU_DEP_1)
	v_ldexp_f64 v[18:19], v[48:49], v1
	v_cndmask_b32_e64 v49, v19, 0x7ff00000, s4
	s_delay_alu instid0(VALU_DEP_2) | instskip(SKIP_1) | instid1(VALU_DEP_2)
	v_cndmask_b32_e64 v48, v18, 0, s4
	v_cmp_class_f64_e64 s4, v[12:13], 0x204
	v_frexp_mant_f64_e32 v[18:19], v[48:49]
	s_and_b32 s4, s43, s4
	s_delay_alu instid0(SALU_CYCLE_1) | instskip(NEXT) | instid1(VALU_DEP_1)
	s_and_b32 s4, s4, exec_lo
	v_cmp_gt_f64_e32 vcc_lo, s[14:15], v[18:19]
	s_or_b32 s41, s41, s4
	v_cndmask_b32_e64 v1, 0, 1, vcc_lo
	s_delay_alu instid0(VALU_DEP_1) | instskip(SKIP_1) | instid1(VALU_DEP_2)
	v_ldexp_f64 v[18:19], v[18:19], v1
	v_frexp_exp_i32_f64_e32 v1, v[48:49]
	v_add_f64_e32 v[20:21], 1.0, v[18:19]
	v_add_f64_e32 v[54:55], -1.0, v[18:19]
	s_delay_alu instid0(VALU_DEP_3) | instskip(SKIP_1) | instid1(VALU_DEP_2)
	v_subrev_co_ci_u32_e64 v1, null, 0, v1, vcc_lo
	v_div_scale_f64 v[68:69], vcc_lo, v[44:45], v[42:43], v[44:45]
	v_cvt_f64_i32_e32 v[46:47], v1
	v_rcp_f64_e32 v[50:51], v[20:21]
	v_add_f64_e32 v[56:57], -1.0, v[20:21]
	s_delay_alu instid0(VALU_DEP_1) | instskip(NEXT) | instid1(TRANS32_DEP_1)
	v_add_f64_e64 v[18:19], v[18:19], -v[56:57]
	v_fma_f64 v[52:53], -v[20:21], v[50:51], 1.0
	s_delay_alu instid0(VALU_DEP_1) | instskip(NEXT) | instid1(VALU_DEP_1)
	v_fmac_f64_e32 v[50:51], v[52:53], v[50:51]
	v_fma_f64 v[52:53], -v[20:21], v[50:51], 1.0
	s_delay_alu instid0(VALU_DEP_1) | instskip(NEXT) | instid1(VALU_DEP_1)
	v_fmac_f64_e32 v[50:51], v[52:53], v[50:51]
	v_mul_f64_e32 v[52:53], v[54:55], v[50:51]
	s_delay_alu instid0(VALU_DEP_1) | instskip(NEXT) | instid1(VALU_DEP_1)
	v_mul_f64_e32 v[62:63], v[20:21], v[52:53]
	v_fma_f64 v[20:21], v[52:53], v[20:21], -v[62:63]
	s_delay_alu instid0(VALU_DEP_1) | instskip(NEXT) | instid1(VALU_DEP_1)
	v_fmac_f64_e32 v[20:21], v[52:53], v[18:19]
	v_add_f64_e32 v[18:19], v[62:63], v[20:21]
	s_delay_alu instid0(VALU_DEP_1) | instskip(SKIP_1) | instid1(VALU_DEP_2)
	v_add_f64_e64 v[56:57], v[54:55], -v[18:19]
	v_add_f64_e64 v[62:63], v[18:19], -v[62:63]
	;; [unrolled: 1-line block ×3, first 2 shown]
	s_delay_alu instid0(VALU_DEP_2) | instskip(SKIP_1) | instid1(VALU_DEP_3)
	v_add_f64_e64 v[20:21], v[62:63], -v[20:21]
	v_mul_f64_e32 v[62:63], 0x3fe62e42fefa39ef, v[46:47]
	v_add_f64_e64 v[18:19], v[54:55], -v[18:19]
	s_delay_alu instid0(VALU_DEP_2) | instskip(NEXT) | instid1(VALU_DEP_2)
	v_fma_f64 v[64:65], v[46:47], s[16:17], -v[62:63]
	v_add_f64_e32 v[18:19], v[20:21], v[18:19]
	s_delay_alu instid0(VALU_DEP_2) | instskip(NEXT) | instid1(VALU_DEP_2)
	v_fmac_f64_e32 v[64:65], 0x3c7abc9e3b39803f, v[46:47]
	v_add_f64_e32 v[18:19], v[56:57], v[18:19]
	s_delay_alu instid0(VALU_DEP_1) | instskip(NEXT) | instid1(VALU_DEP_1)
	v_mul_f64_e32 v[18:19], v[50:51], v[18:19]
	v_add_f64_e32 v[20:21], v[52:53], v[18:19]
	s_delay_alu instid0(VALU_DEP_1) | instskip(NEXT) | instid1(VALU_DEP_1)
	v_mul_f64_e32 v[50:51], v[20:21], v[20:21]
	v_fmamk_f64 v[54:55], v[50:51], 0x3fc3ab76bf559e2b, v[28:29]
	v_mul_f64_e32 v[56:57], v[20:21], v[50:51]
	s_delay_alu instid0(VALU_DEP_2) | instskip(NEXT) | instid1(VALU_DEP_1)
	v_fmaak_f64 v[54:55], v[50:51], v[54:55], 0x3fc7474dd7f4df2e
	v_fmaak_f64 v[54:55], v[50:51], v[54:55], 0x3fcc71c016291751
	s_delay_alu instid0(VALU_DEP_1) | instskip(NEXT) | instid1(VALU_DEP_1)
	v_fmaak_f64 v[54:55], v[50:51], v[54:55], 0x3fd249249b27acf1
	v_fmaak_f64 v[54:55], v[50:51], v[54:55], 0x3fd99999998ef7b6
	s_delay_alu instid0(VALU_DEP_1) | instskip(SKIP_2) | instid1(VALU_DEP_3)
	v_fmaak_f64 v[50:51], v[50:51], v[54:55], 0x3fe5555555555780
	v_ldexp_f64 v[54:55], v[20:21], 1
	v_add_f64_e64 v[20:21], v[20:21], -v[52:53]
	v_mul_f64_e32 v[50:51], v[56:57], v[50:51]
	v_div_scale_f64 v[56:57], null, v[42:43], v[42:43], v[44:45]
	s_delay_alu instid0(VALU_DEP_3) | instskip(NEXT) | instid1(VALU_DEP_3)
	v_add_f64_e64 v[18:19], v[18:19], -v[20:21]
	v_add_f64_e32 v[52:53], v[54:55], v[50:51]
	s_delay_alu instid0(VALU_DEP_2) | instskip(NEXT) | instid1(VALU_DEP_2)
	v_ldexp_f64 v[18:19], v[18:19], 1
	v_add_f64_e64 v[20:21], v[52:53], -v[54:55]
	v_rcp_f64_e32 v[54:55], v[56:57]
	s_delay_alu instid0(VALU_DEP_1) | instskip(NEXT) | instid1(TRANS32_DEP_1)
	v_add_f64_e64 v[20:21], v[50:51], -v[20:21]
	v_fma_f64 v[50:51], -v[56:57], v[54:55], 1.0
	s_delay_alu instid0(VALU_DEP_2) | instskip(SKIP_1) | instid1(VALU_DEP_3)
	v_add_f64_e32 v[18:19], v[18:19], v[20:21]
	v_add_f64_e32 v[20:21], v[62:63], v[64:65]
	v_fmac_f64_e32 v[54:55], v[54:55], v[50:51]
	s_delay_alu instid0(VALU_DEP_3) | instskip(NEXT) | instid1(VALU_DEP_3)
	v_add_f64_e32 v[46:47], v[52:53], v[18:19]
	v_add_f64_e64 v[62:63], v[20:21], -v[62:63]
	s_delay_alu instid0(VALU_DEP_3) | instskip(NEXT) | instid1(VALU_DEP_3)
	v_fma_f64 v[50:51], -v[56:57], v[54:55], 1.0
	v_add_f64_e32 v[66:67], v[20:21], v[46:47]
	v_add_f64_e64 v[52:53], v[46:47], -v[52:53]
	s_delay_alu instid0(VALU_DEP_4) | instskip(NEXT) | instid1(VALU_DEP_4)
	v_add_f64_e64 v[62:63], v[64:65], -v[62:63]
	v_fmac_f64_e32 v[54:55], v[54:55], v[50:51]
	s_delay_alu instid0(VALU_DEP_4) | instskip(NEXT) | instid1(VALU_DEP_4)
	v_add_f64_e64 v[50:51], v[66:67], -v[20:21]
	v_add_f64_e64 v[52:53], v[18:19], -v[52:53]
	s_delay_alu instid0(VALU_DEP_3) | instskip(NEXT) | instid1(VALU_DEP_3)
	v_mul_f64_e32 v[70:71], v[68:69], v[54:55]
	v_add_f64_e64 v[72:73], v[66:67], -v[50:51]
	v_add_f64_e64 v[18:19], v[46:47], -v[50:51]
	s_delay_alu instid0(VALU_DEP_4) | instskip(NEXT) | instid1(VALU_DEP_4)
	v_add_f64_e32 v[50:51], v[62:63], v[52:53]
	v_fma_f64 v[56:57], -v[56:57], v[70:71], v[68:69]
	s_delay_alu instid0(VALU_DEP_4) | instskip(NEXT) | instid1(VALU_DEP_2)
	v_add_f64_e64 v[20:21], v[20:21], -v[72:73]
	v_div_fmas_f64 v[46:47], v[56:57], v[54:55], v[70:71]
	v_cmp_class_f64_e64 vcc_lo, v[48:49], 0x204
	s_delay_alu instid0(VALU_DEP_3) | instskip(NEXT) | instid1(VALU_DEP_3)
	v_add_f64_e32 v[20:21], v[18:19], v[20:21]
	v_div_fixup_f64 v[18:19], v[46:47], v[42:43], v[44:45]
	v_add_f64_e64 v[42:43], v[50:51], -v[62:63]
	s_delay_alu instid0(VALU_DEP_3) | instskip(NEXT) | instid1(VALU_DEP_3)
	v_add_f64_e32 v[20:21], v[50:51], v[20:21]
	v_mul_f64_e32 v[44:45], v[18:19], v[18:19]
	s_delay_alu instid0(VALU_DEP_3) | instskip(SKIP_1) | instid1(VALU_DEP_4)
	v_add_f64_e64 v[46:47], v[50:51], -v[42:43]
	v_add_f64_e64 v[42:43], v[52:53], -v[42:43]
	v_add_f64_e32 v[50:51], v[66:67], v[20:21]
	s_delay_alu instid0(VALU_DEP_4) | instskip(NEXT) | instid1(VALU_DEP_4)
	v_fmamk_f64 v[54:55], v[44:45], 0x3eeba404b5e68a13, v[36:37]
	v_add_f64_e64 v[46:47], v[62:63], -v[46:47]
	s_delay_alu instid0(VALU_DEP_2) | instskip(NEXT) | instid1(VALU_DEP_1)
	v_fmaak_f64 v[54:55], v[44:45], v[54:55], 0x3f4b2bb069efb384
	v_fmaak_f64 v[54:55], v[44:45], v[54:55], 0xbf67952daf56de9b
	s_delay_alu instid0(VALU_DEP_1) | instskip(SKIP_1) | instid1(VALU_DEP_2)
	v_fmaak_f64 v[54:55], v[44:45], v[54:55], 0x3f7d6d43a595c56f
	v_add_f64_e64 v[52:53], v[50:51], -v[66:67]
	v_fmaak_f64 v[54:55], v[44:45], v[54:55], 0xbf8c6ea4a57d9582
	v_add_f64_e32 v[42:43], v[42:43], v[46:47]
	s_delay_alu instid0(VALU_DEP_2) | instskip(NEXT) | instid1(VALU_DEP_1)
	v_fmaak_f64 v[54:55], v[44:45], v[54:55], 0x3f967e295f08b19f
	v_fmaak_f64 v[54:55], v[44:45], v[54:55], 0xbf9e9ae6fc27006a
	s_delay_alu instid0(VALU_DEP_1) | instskip(NEXT) | instid1(VALU_DEP_1)
	v_fmaak_f64 v[54:55], v[44:45], v[54:55], 0x3fa2c15b5711927a
	v_fmaak_f64 v[46:47], v[44:45], v[54:55], 0xbfa59976e82d3ff0
	v_add_f64_e64 v[20:21], v[20:21], -v[52:53]
	s_delay_alu instid0(VALU_DEP_2) | instskip(NEXT) | instid1(VALU_DEP_1)
	v_fmaak_f64 v[46:47], v[44:45], v[46:47], 0x3fa82d5d6ef28734
	v_fmaak_f64 v[46:47], v[44:45], v[46:47], 0xbfaae5ce6a214619
	s_delay_alu instid0(VALU_DEP_1) | instskip(NEXT) | instid1(VALU_DEP_1)
	v_fmaak_f64 v[46:47], v[44:45], v[46:47], 0x3fae1bb48427b883
	v_fmaak_f64 v[46:47], v[44:45], v[46:47], 0xbfb110e48b207f05
	v_add_f64_e32 v[20:21], v[42:43], v[20:21]
	s_delay_alu instid0(VALU_DEP_2) | instskip(NEXT) | instid1(VALU_DEP_1)
	v_fmaak_f64 v[42:43], v[44:45], v[46:47], 0x3fb3b13657b87036
	v_fmaak_f64 v[42:43], v[44:45], v[42:43], 0xbfb745d119378e4f
	s_delay_alu instid0(VALU_DEP_1) | instskip(NEXT) | instid1(VALU_DEP_1)
	v_fmaak_f64 v[42:43], v[44:45], v[42:43], 0x3fbc71c717e1913c
	v_fmaak_f64 v[42:43], v[44:45], v[42:43], 0xbfc2492492376b7d
	s_delay_alu instid0(VALU_DEP_1) | instskip(SKIP_1) | instid1(VALU_DEP_2)
	v_fmaak_f64 v[42:43], v[44:45], v[42:43], 0x3fc99999999952cc
	v_add_f64_e32 v[20:21], v[50:51], v[20:21]
	v_fmaak_f64 v[42:43], v[44:45], v[42:43], 0xbfd5555555555523
	s_delay_alu instid0(VALU_DEP_1) | instskip(NEXT) | instid1(VALU_DEP_3)
	v_mul_f64_e32 v[42:43], v[44:45], v[42:43]
	v_dual_cndmask_b32 v21, v21, v49 :: v_dual_cndmask_b32 v20, v20, v48
	v_cmp_ngt_f64_e32 vcc_lo, 0, v[48:49]
	s_delay_alu instid0(VALU_DEP_2) | instskip(NEXT) | instid1(VALU_DEP_4)
	v_add_f64_e32 v[20:21], 1.0, v[20:21]
	v_fmac_f64_e32 v[18:19], v[18:19], v[42:43]
	s_delay_alu instid0(VALU_DEP_2) | instskip(SKIP_1) | instid1(VALU_DEP_4)
	v_cndmask_b32_e32 v1, 0x7ff80000, v21, vcc_lo
	v_cmp_nge_f64_e32 vcc_lo, 0, v[48:49]
	v_cndmask_b32_e32 v20, 0, v20, vcc_lo
	v_cmp_neq_f64_e32 vcc_lo, 0, v[48:49]
	s_delay_alu instid0(VALU_DEP_4)
	v_cndmask_b32_e32 v21, 0xfff00000, v1, vcc_lo
.LBB42_295:                             ;   in Loop: Header=BB42_5 Depth=1
	s_or_b32 exec_lo, exec_lo, s42
	s_delay_alu instid0(VALU_DEP_3) | instskip(NEXT) | instid1(VALU_DEP_2)
	v_add_f64_e64 v[42:43], -v[18:19], s[26:27]
	v_add_f64_e32 v[20:21], 0x3fe62e42fefa39ef, v[20:21]
	v_cmp_gt_i32_e32 vcc_lo, 0, v11
	v_cndmask_b32_e32 v10, 0x54442d18, v59, vcc_lo
	s_delay_alu instid0(VALU_DEP_4) | instskip(SKIP_2) | instid1(VALU_DEP_3)
	v_dual_cndmask_b32 v19, v19, v43, s3 :: v_dual_cndmask_b32 v18, v18, v42, s3
	v_cmp_eq_f64_e64 s3, 0, v[12:13]
	v_cndmask_b32_e32 v12, 0x3fe921fb, v60, vcc_lo
	v_add_f64_e64 v[42:43], -v[18:19], s[28:29]
	v_ashrrev_i32_e32 v1, 31, v11
	s_delay_alu instid0(VALU_DEP_3) | instskip(NEXT) | instid1(VALU_DEP_3)
	v_bfi_b32 v12, 0x7fffffff, v12, v13
	v_cndmask_b32_e32 v18, v18, v42, vcc_lo
	s_delay_alu instid0(VALU_DEP_3) | instskip(SKIP_2) | instid1(VALU_DEP_1)
	v_and_b32_e32 v11, 0x54442d18, v1
	v_and_b32_e32 v1, 0x400921fb, v1
	v_cndmask_b32_e32 v19, v19, v43, vcc_lo
	v_dual_cndmask_b32 v11, v18, v11, s3 :: v_dual_cndmask_b32 v1, v19, v1, s3
	s_delay_alu instid0(VALU_DEP_1) | instskip(SKIP_1) | instid1(VALU_DEP_3)
	v_cndmask_b32_e64 v1, v1, v12, s41
	v_xor_b32_e32 v12, 0x80000000, v21
	v_cndmask_b32_e64 v18, v11, v10, s41
	s_delay_alu instid0(VALU_DEP_3) | instskip(NEXT) | instid1(VALU_DEP_3)
	v_and_b32_e32 v19, 0x7fffffff, v1
	v_cndmask_b32_e64 v21, v12, v21, s2
.LBB42_296:                             ;   in Loop: Header=BB42_5 Depth=1
	s_or_b32 exec_lo, exec_lo, s40
                                        ; implicit-def: $vgpr12_vgpr13
.LBB42_297:                             ;   in Loop: Header=BB42_5 Depth=1
	s_and_not1_saveexec_b32 s2, s39
	s_cbranch_execz .LBB42_311
; %bb.298:                              ;   in Loop: Header=BB42_5 Depth=1
	v_cmp_neq_f64_e64 s3, 0x7ff00000, |v[10:11]|
                                        ; implicit-def: $vgpr20_vgpr21
	s_and_saveexec_b32 s4, s3
	s_delay_alu instid0(SALU_CYCLE_1)
	s_xor_b32 s3, exec_lo, s4
	s_cbranch_execz .LBB42_308
; %bb.299:                              ;   in Loop: Header=BB42_5 Depth=1
	v_cmp_neq_f64_e64 s4, 0x7ff00000, |v[12:13]|
	v_xor_b32_e32 v21, 0x80000000, v13
	v_mov_b32_e32 v20, v12
	s_and_saveexec_b32 s39, s4
	s_delay_alu instid0(SALU_CYCLE_1)
	s_xor_b32 s4, exec_lo, s39
	s_cbranch_execz .LBB42_305
; %bb.300:                              ;   in Loop: Header=BB42_5 Depth=1
	s_mov_b32 s39, exec_lo
                                        ; implicit-def: $vgpr20_vgpr21
	v_cmpx_neq_f64_e32 0, v[10:11]
	s_xor_b32 s39, exec_lo, s39
	s_cbranch_execz .LBB42_302
; %bb.301:                              ;   in Loop: Header=BB42_5 Depth=1
	v_add_f64_e32 v[12:13], 0, v[12:13]
	s_delay_alu instid0(VALU_DEP_1)
	v_add_f64_e32 v[20:21], v[10:11], v[12:13]
                                        ; implicit-def: $vgpr12_vgpr13
.LBB42_302:                             ;   in Loop: Header=BB42_5 Depth=1
	s_or_saveexec_b32 s39, s39
	s_delay_alu instid0(VALU_DEP_1)
	v_mov_b64_e32 v[18:19], v[20:21]
	s_xor_b32 exec_lo, exec_lo, s39
	s_cbranch_execz .LBB42_304
; %bb.303:                              ;   in Loop: Header=BB42_5 Depth=1
	flat_load_b64 v[10:11], v[26:27] scope:SCOPE_SYS
	s_wait_loadcnt 0x0
	v_add_f64_e32 v[20:21], v[12:13], v[12:13]
	s_wait_dscnt 0x0
	v_add_f64_e32 v[18:19], 0x3ff921fb54442d18, v[10:11]
.LBB42_304:                             ;   in Loop: Header=BB42_5 Depth=1
	s_wait_xcnt 0x0
	s_or_b32 exec_lo, exec_lo, s39
                                        ; implicit-def: $vgpr10_vgpr11
.LBB42_305:                             ;   in Loop: Header=BB42_5 Depth=1
	s_and_not1_saveexec_b32 s4, s4
; %bb.306:                              ;   in Loop: Header=BB42_5 Depth=1
	v_add_f64_e32 v[18:19], v[10:11], v[10:11]
; %bb.307:                              ;   in Loop: Header=BB42_5 Depth=1
	s_or_b32 exec_lo, exec_lo, s4
                                        ; implicit-def: $vgpr12_vgpr13
.LBB42_308:                             ;   in Loop: Header=BB42_5 Depth=1
	s_and_not1_saveexec_b32 s3, s3
	s_cbranch_execz .LBB42_310
; %bb.309:                              ;   in Loop: Header=BB42_5 Depth=1
	v_add_f64_e32 v[18:19], v[12:13], v[12:13]
	v_mov_b64_e32 v[20:21], 0xfff0000000000000
.LBB42_310:                             ;   in Loop: Header=BB42_5 Depth=1
	s_or_b32 exec_lo, exec_lo, s3
.LBB42_311:                             ;   in Loop: Header=BB42_5 Depth=1
	s_delay_alu instid0(SALU_CYCLE_1)
	s_or_b32 exec_lo, exec_lo, s2
	flat_store_b64 v[26:27], v[24:25] scope:SCOPE_SYS
	s_wait_storecnt 0x0
                                        ; implicit-def: $vgpr12_vgpr13
	s_mov_b32 s2, exec_lo
	s_wait_xcnt 0x0
	v_cmpx_o_f64_e32 v[2:3], v[4:5]
	s_xor_b32 s39, exec_lo, s2
	s_cbranch_execz .LBB42_399
; %bb.312:                              ;   in Loop: Header=BB42_5 Depth=1
	v_max_num_f64_e64 v[46:47], |v[4:5]|, |v[4:5]|
	v_max_num_f64_e64 v[44:45], |v[2:3]|, |v[2:3]|
	v_cmp_gt_i64_e64 s2, 0, v[4:5]
                                        ; implicit-def: $vgpr12_vgpr13
	s_mov_b32 s3, exec_lo
	v_max_num_f64_e32 v[42:43], v[44:45], v[46:47]
	s_delay_alu instid0(VALU_DEP_1)
	v_cmpx_nlt_f64_e32 0x43300000, v[42:43]
	s_xor_b32 s40, exec_lo, s3
	s_cbranch_execz .LBB42_388
; %bb.313:                              ;   in Loop: Header=BB42_5 Depth=1
	v_cmp_neq_f64_e32 vcc_lo, 1.0, v[2:3]
	v_cmp_neq_f64_e64 s3, 0, v[4:5]
	v_xor_b32_e32 v13, 0x80000000, v5
	v_mov_b32_e32 v12, v4
	s_or_b32 s3, vcc_lo, s3
	s_delay_alu instid0(SALU_CYCLE_1) | instskip(NEXT) | instid1(SALU_CYCLE_1)
	s_and_saveexec_b32 s4, s3
	s_xor_b32 s41, exec_lo, s4
	s_cbranch_execz .LBB42_385
; %bb.314:                              ;   in Loop: Header=BB42_5 Depth=1
	flat_store_b32 v[30:31], v58 scope:SCOPE_SYS
	s_wait_storecnt_dscnt 0x2
	flat_load_b32 v1, v[30:31] scope:SCOPE_SYS
	s_wait_loadcnt 0x0
	v_cmp_nlt_f64_e64 s3, |v[2:3]|, s[12:13]
	v_cmp_nlt_f64_e64 s4, |v[4:5]|, s[12:13]
	v_mov_b32_e32 v12, v4
	s_or_b32 s3, s3, s4
	s_wait_dscnt 0x0
	v_add_f32_e32 v1, 1.0, v1
	flat_store_b32 v[34:35], v1 scope:SCOPE_SYS
	s_wait_storecnt 0x0
	flat_load_b32 v1, v[34:35] scope:SCOPE_SYS
	s_wait_loadcnt 0x0
	s_wait_xcnt 0x0
	s_and_saveexec_b32 s4, s3
	s_delay_alu instid0(SALU_CYCLE_1)
	s_xor_b32 s42, exec_lo, s4
	s_cbranch_execz .LBB42_382
; %bb.315:                              ;   in Loop: Header=BB42_5 Depth=1
	v_add_f64_e64 v[10:11], |v[2:3]|, -1.0
	v_add_f64_e64 v[44:45], |v[2:3]|, 1.0
	s_delay_alu instid0(VALU_DEP_2) | instskip(NEXT) | instid1(VALU_DEP_1)
	v_max_num_f64_e64 v[42:43], v[46:47], |v[10:11]|
	v_frexp_exp_i32_f64_e32 v61, v[42:43]
	s_delay_alu instid0(VALU_DEP_1) | instskip(NEXT) | instid1(VALU_DEP_1)
	v_sub_nc_u32_e32 v48, 0, v61
	v_ldexp_f64 v[42:43], |v[10:11]|, v48
	s_delay_alu instid0(VALU_DEP_1) | instskip(SKIP_1) | instid1(VALU_DEP_1)
	v_mul_f64_e32 v[42:43], v[42:43], v[42:43]
	v_ldexp_f64 v[48:49], |v[4:5]|, v48
	v_fmac_f64_e32 v[42:43], v[48:49], v[48:49]
	s_delay_alu instid0(VALU_DEP_1) | instskip(SKIP_1) | instid1(TRANS32_DEP_1)
	v_rsq_f64_e32 v[48:49], v[42:43]
	v_cmp_eq_f64_e64 s3, 0, v[42:43]
	v_mul_f64_e32 v[52:53], v[42:43], v[48:49]
	v_mul_f64_e32 v[48:49], 0.5, v[48:49]
	s_delay_alu instid0(VALU_DEP_1) | instskip(NEXT) | instid1(VALU_DEP_1)
	v_fma_f64 v[56:57], -v[48:49], v[52:53], 0.5
	v_fmac_f64_e32 v[52:53], v[52:53], v[56:57]
	v_fmac_f64_e32 v[48:49], v[48:49], v[56:57]
	s_delay_alu instid0(VALU_DEP_2) | instskip(NEXT) | instid1(VALU_DEP_1)
	v_fma_f64 v[56:57], -v[52:53], v[52:53], v[42:43]
	v_fmac_f64_e32 v[52:53], v[56:57], v[48:49]
	s_delay_alu instid0(VALU_DEP_1) | instskip(SKIP_1) | instid1(VALU_DEP_1)
	v_dual_max_num_f64 v[12:13], v[46:47], v[44:45] :: v_dual_cndmask_b32 v43, v53, v43, s3
	s_wait_dscnt 0x0
	v_frexp_exp_i32_f64_e32 v1, v[12:13]
	s_delay_alu instid0(VALU_DEP_3) | instskip(SKIP_1) | instid1(VALU_DEP_2)
	v_cndmask_b32_e64 v42, v52, v42, s3
	v_cmp_neq_f64_e64 s3, 0x7ff00000, |v[10:11]|
	v_ldexp_f64 v[42:43], v[42:43], v61
	s_delay_alu instid0(VALU_DEP_4) | instskip(NEXT) | instid1(VALU_DEP_1)
	v_sub_nc_u32_e32 v46, 0, v1
	v_ldexp_f64 v[12:13], v[44:45], v46
	v_ldexp_f64 v[46:47], |v[4:5]|, v46
	s_delay_alu instid0(VALU_DEP_2) | instskip(NEXT) | instid1(VALU_DEP_1)
	v_mul_f64_e32 v[12:13], v[12:13], v[12:13]
	v_fmac_f64_e32 v[12:13], v[46:47], v[46:47]
	s_delay_alu instid0(VALU_DEP_1) | instskip(SKIP_1) | instid1(TRANS32_DEP_1)
	v_rsq_f64_e32 v[46:47], v[12:13]
	v_cmp_eq_f64_e32 vcc_lo, 0, v[12:13]
	v_mul_f64_e32 v[50:51], v[12:13], v[46:47]
	v_mul_f64_e32 v[46:47], 0.5, v[46:47]
	s_delay_alu instid0(VALU_DEP_1) | instskip(NEXT) | instid1(VALU_DEP_1)
	v_fma_f64 v[54:55], -v[46:47], v[50:51], 0.5
	v_fmac_f64_e32 v[50:51], v[50:51], v[54:55]
	v_fmac_f64_e32 v[46:47], v[46:47], v[54:55]
	s_delay_alu instid0(VALU_DEP_2) | instskip(NEXT) | instid1(VALU_DEP_1)
	v_fma_f64 v[54:55], -v[50:51], v[50:51], v[12:13]
	v_fmac_f64_e32 v[50:51], v[54:55], v[46:47]
	v_cndmask_b32_e64 v47, 0x7ff00000, v43, s3
	v_cndmask_b32_e64 v46, 0, v42, s3
	s_mov_b32 s3, exec_lo
	s_delay_alu instid0(VALU_DEP_3) | instskip(SKIP_1) | instid1(VALU_DEP_2)
	v_dual_cndmask_b32 v13, v51, v13 :: v_dual_cndmask_b32 v12, v50, v12
	v_cmp_neq_f64_e32 vcc_lo, 0x7ff00000, v[44:45]
	v_ldexp_f64 v[12:13], v[12:13], v1
	s_delay_alu instid0(VALU_DEP_1) | instskip(NEXT) | instid1(VALU_DEP_2)
	v_cndmask_b32_e32 v49, 0x7ff00000, v13, vcc_lo
	v_cndmask_b32_e32 v48, 0, v12, vcc_lo
	s_delay_alu instid0(VALU_DEP_1) | instskip(NEXT) | instid1(VALU_DEP_1)
	v_add_f64_e32 v[12:13], v[48:49], v[46:47]
	v_mul_f64_e32 v[12:13], 0.5, v[12:13]
	s_delay_alu instid0(VALU_DEP_1) | instskip(SKIP_2) | instid1(VALU_DEP_1)
	v_cmp_ngt_f64_e32 vcc_lo, 1.0, v[12:13]
	v_cndmask_b32_e32 v43, 0x3ff00000, v13, vcc_lo
	v_cndmask_b32_e32 v42, 0, v12, vcc_lo
                                        ; implicit-def: $vgpr12_vgpr13
	v_cmpx_ngt_f64_e32 0x40240000, v[42:43]
	s_xor_b32 s3, exec_lo, s3
	s_cbranch_execz .LBB42_317
; %bb.316:                              ;   in Loop: Header=BB42_5 Depth=1
	v_fma_f64 v[12:13], v[42:43], v[42:43], -1.0
	s_delay_alu instid0(VALU_DEP_1) | instskip(SKIP_1) | instid1(VALU_DEP_1)
	v_cmp_gt_f64_e32 vcc_lo, 0x10000000, v[12:13]
	v_cndmask_b32_e64 v1, 0, 0x100, vcc_lo
	v_ldexp_f64 v[12:13], v[12:13], v1
	v_cndmask_b32_e64 v1, 0, 0xffffff80, vcc_lo
	s_delay_alu instid0(VALU_DEP_2) | instskip(SKIP_1) | instid1(TRANS32_DEP_1)
	v_rsq_f64_e32 v[50:51], v[12:13]
	v_cmp_class_f64_e64 vcc_lo, v[12:13], 0x260
	v_mul_f64_e32 v[52:53], v[12:13], v[50:51]
	v_mul_f64_e32 v[50:51], 0.5, v[50:51]
	s_delay_alu instid0(VALU_DEP_1) | instskip(NEXT) | instid1(VALU_DEP_1)
	v_fma_f64 v[54:55], -v[50:51], v[52:53], 0.5
	v_fmac_f64_e32 v[52:53], v[52:53], v[54:55]
	v_fmac_f64_e32 v[50:51], v[50:51], v[54:55]
	s_delay_alu instid0(VALU_DEP_2) | instskip(NEXT) | instid1(VALU_DEP_1)
	v_fma_f64 v[54:55], -v[52:53], v[52:53], v[12:13]
	v_fmac_f64_e32 v[52:53], v[54:55], v[50:51]
	s_delay_alu instid0(VALU_DEP_1) | instskip(NEXT) | instid1(VALU_DEP_1)
	v_fma_f64 v[54:55], -v[52:53], v[52:53], v[12:13]
	v_fmac_f64_e32 v[52:53], v[54:55], v[50:51]
	s_delay_alu instid0(VALU_DEP_1) | instskip(NEXT) | instid1(VALU_DEP_1)
	v_ldexp_f64 v[50:51], v[52:53], v1
	v_dual_cndmask_b32 v13, v51, v13 :: v_dual_cndmask_b32 v12, v50, v12
	s_delay_alu instid0(VALU_DEP_1) | instskip(NEXT) | instid1(VALU_DEP_1)
	v_add_f64_e32 v[12:13], v[42:43], v[12:13]
	v_frexp_mant_f64_e32 v[50:51], v[12:13]
	s_delay_alu instid0(VALU_DEP_1) | instskip(SKIP_1) | instid1(VALU_DEP_1)
	v_cmp_gt_f64_e32 vcc_lo, s[14:15], v[50:51]
	v_cndmask_b32_e64 v1, 0, 1, vcc_lo
	v_ldexp_f64 v[50:51], v[50:51], v1
	v_frexp_exp_i32_f64_e32 v1, v[12:13]
	s_delay_alu instid0(VALU_DEP_2) | instskip(NEXT) | instid1(VALU_DEP_2)
	v_add_f64_e32 v[52:53], 1.0, v[50:51]
	v_subrev_co_ci_u32_e64 v1, null, 0, v1, vcc_lo
	v_cmp_class_f64_e64 vcc_lo, v[12:13], 0x204
	v_add_f64_e32 v[62:63], -1.0, v[50:51]
	s_delay_alu instid0(VALU_DEP_4) | instskip(SKIP_1) | instid1(VALU_DEP_1)
	v_rcp_f64_e32 v[54:55], v[52:53]
	v_add_f64_e32 v[64:65], -1.0, v[52:53]
	v_add_f64_e64 v[50:51], v[50:51], -v[64:65]
	s_delay_alu instid0(TRANS32_DEP_1) | instskip(NEXT) | instid1(VALU_DEP_1)
	v_fma_f64 v[56:57], -v[52:53], v[54:55], 1.0
	v_fmac_f64_e32 v[54:55], v[56:57], v[54:55]
	s_delay_alu instid0(VALU_DEP_1) | instskip(NEXT) | instid1(VALU_DEP_1)
	v_fma_f64 v[56:57], -v[52:53], v[54:55], 1.0
	v_fmac_f64_e32 v[54:55], v[56:57], v[54:55]
	s_delay_alu instid0(VALU_DEP_1) | instskip(NEXT) | instid1(VALU_DEP_1)
	v_mul_f64_e32 v[56:57], v[62:63], v[54:55]
	v_mul_f64_e32 v[66:67], v[52:53], v[56:57]
	s_delay_alu instid0(VALU_DEP_1) | instskip(NEXT) | instid1(VALU_DEP_1)
	v_fma_f64 v[52:53], v[56:57], v[52:53], -v[66:67]
	v_fmac_f64_e32 v[52:53], v[56:57], v[50:51]
	s_delay_alu instid0(VALU_DEP_1) | instskip(NEXT) | instid1(VALU_DEP_1)
	v_add_f64_e32 v[50:51], v[66:67], v[52:53]
	v_add_f64_e64 v[64:65], v[62:63], -v[50:51]
	v_add_f64_e64 v[66:67], v[50:51], -v[66:67]
	s_delay_alu instid0(VALU_DEP_2) | instskip(NEXT) | instid1(VALU_DEP_2)
	v_add_f64_e64 v[62:63], v[62:63], -v[64:65]
	v_add_f64_e64 v[52:53], v[66:67], -v[52:53]
	s_delay_alu instid0(VALU_DEP_2) | instskip(NEXT) | instid1(VALU_DEP_1)
	v_add_f64_e64 v[50:51], v[62:63], -v[50:51]
	v_add_f64_e32 v[50:51], v[52:53], v[50:51]
	s_delay_alu instid0(VALU_DEP_1) | instskip(NEXT) | instid1(VALU_DEP_1)
	v_add_f64_e32 v[50:51], v[64:65], v[50:51]
	v_mul_f64_e32 v[50:51], v[54:55], v[50:51]
	s_delay_alu instid0(VALU_DEP_1) | instskip(NEXT) | instid1(VALU_DEP_1)
	v_add_f64_e32 v[52:53], v[56:57], v[50:51]
	v_mul_f64_e32 v[54:55], v[52:53], v[52:53]
	s_delay_alu instid0(VALU_DEP_1) | instskip(SKIP_1) | instid1(VALU_DEP_2)
	v_fmamk_f64 v[62:63], v[54:55], 0x3fc3ab76bf559e2b, v[28:29]
	v_mul_f64_e32 v[64:65], v[52:53], v[54:55]
	v_fmaak_f64 v[62:63], v[54:55], v[62:63], 0x3fc7474dd7f4df2e
	s_delay_alu instid0(VALU_DEP_1) | instskip(NEXT) | instid1(VALU_DEP_1)
	v_fmaak_f64 v[62:63], v[54:55], v[62:63], 0x3fcc71c016291751
	v_fmaak_f64 v[62:63], v[54:55], v[62:63], 0x3fd249249b27acf1
	s_delay_alu instid0(VALU_DEP_1) | instskip(NEXT) | instid1(VALU_DEP_1)
	v_fmaak_f64 v[62:63], v[54:55], v[62:63], 0x3fd99999998ef7b6
	v_fmaak_f64 v[54:55], v[54:55], v[62:63], 0x3fe5555555555780
	v_ldexp_f64 v[62:63], v[52:53], 1
	v_add_f64_e64 v[52:53], v[52:53], -v[56:57]
	s_delay_alu instid0(VALU_DEP_3) | instskip(SKIP_1) | instid1(VALU_DEP_3)
	v_mul_f64_e32 v[54:55], v[64:65], v[54:55]
	v_cvt_f64_i32_e32 v[64:65], v1
	v_add_f64_e64 v[50:51], v[50:51], -v[52:53]
	s_delay_alu instid0(VALU_DEP_3) | instskip(NEXT) | instid1(VALU_DEP_3)
	v_add_f64_e32 v[56:57], v[62:63], v[54:55]
	v_mul_f64_e32 v[66:67], 0x3fe62e42fefa39ef, v[64:65]
	s_delay_alu instid0(VALU_DEP_3) | instskip(NEXT) | instid1(VALU_DEP_3)
	v_ldexp_f64 v[50:51], v[50:51], 1
	v_add_f64_e64 v[52:53], v[56:57], -v[62:63]
	s_delay_alu instid0(VALU_DEP_3) | instskip(NEXT) | instid1(VALU_DEP_2)
	v_fma_f64 v[62:63], v[64:65], s[16:17], -v[66:67]
	v_add_f64_e64 v[52:53], v[54:55], -v[52:53]
	s_delay_alu instid0(VALU_DEP_2) | instskip(NEXT) | instid1(VALU_DEP_2)
	v_fmac_f64_e32 v[62:63], 0x3c7abc9e3b39803f, v[64:65]
	v_add_f64_e32 v[50:51], v[50:51], v[52:53]
	s_delay_alu instid0(VALU_DEP_2) | instskip(NEXT) | instid1(VALU_DEP_2)
	v_add_f64_e32 v[52:53], v[66:67], v[62:63]
	v_add_f64_e32 v[54:55], v[56:57], v[50:51]
	s_delay_alu instid0(VALU_DEP_2) | instskip(NEXT) | instid1(VALU_DEP_2)
	v_add_f64_e64 v[66:67], v[52:53], -v[66:67]
	v_add_f64_e32 v[64:65], v[52:53], v[54:55]
	v_add_f64_e64 v[56:57], v[54:55], -v[56:57]
	s_delay_alu instid0(VALU_DEP_3) | instskip(NEXT) | instid1(VALU_DEP_3)
	v_add_f64_e64 v[62:63], v[62:63], -v[66:67]
	v_add_f64_e64 v[68:69], v[64:65], -v[52:53]
	s_delay_alu instid0(VALU_DEP_3) | instskip(NEXT) | instid1(VALU_DEP_2)
	v_add_f64_e64 v[50:51], v[50:51], -v[56:57]
	v_add_f64_e64 v[70:71], v[64:65], -v[68:69]
	v_add_f64_e64 v[54:55], v[54:55], -v[68:69]
	s_delay_alu instid0(VALU_DEP_3) | instskip(NEXT) | instid1(VALU_DEP_3)
	v_add_f64_e32 v[56:57], v[62:63], v[50:51]
	v_add_f64_e64 v[52:53], v[52:53], -v[70:71]
	s_delay_alu instid0(VALU_DEP_1) | instskip(NEXT) | instid1(VALU_DEP_3)
	v_add_f64_e32 v[52:53], v[54:55], v[52:53]
	v_add_f64_e64 v[54:55], v[56:57], -v[62:63]
	s_delay_alu instid0(VALU_DEP_2) | instskip(NEXT) | instid1(VALU_DEP_2)
	v_add_f64_e32 v[52:53], v[56:57], v[52:53]
	v_add_f64_e64 v[56:57], v[56:57], -v[54:55]
	v_add_f64_e64 v[50:51], v[50:51], -v[54:55]
	s_delay_alu instid0(VALU_DEP_3) | instskip(NEXT) | instid1(VALU_DEP_3)
	v_add_f64_e32 v[66:67], v[64:65], v[52:53]
	v_add_f64_e64 v[54:55], v[62:63], -v[56:57]
	s_delay_alu instid0(VALU_DEP_2) | instskip(NEXT) | instid1(VALU_DEP_2)
	v_add_f64_e64 v[56:57], v[66:67], -v[64:65]
	v_add_f64_e32 v[50:51], v[50:51], v[54:55]
	s_delay_alu instid0(VALU_DEP_2) | instskip(NEXT) | instid1(VALU_DEP_1)
	v_add_f64_e64 v[52:53], v[52:53], -v[56:57]
	v_add_f64_e32 v[50:51], v[50:51], v[52:53]
	s_delay_alu instid0(VALU_DEP_1) | instskip(NEXT) | instid1(VALU_DEP_1)
	v_add_f64_e32 v[50:51], v[66:67], v[50:51]
	v_dual_cndmask_b32 v1, v50, v12 :: v_dual_cndmask_b32 v50, v51, v13
	v_cmp_neq_f64_e32 vcc_lo, 0, v[12:13]
	s_delay_alu instid0(VALU_DEP_2) | instskip(NEXT) | instid1(VALU_DEP_3)
	v_cndmask_b32_e32 v13, 0xfff00000, v50, vcc_lo
	v_cndmask_b32_e32 v12, 0, v1, vcc_lo
.LBB42_317:                             ;   in Loop: Header=BB42_5 Depth=1
	s_or_saveexec_b32 s43, s3
	v_and_b32_e32 v51, 0x7fffffff, v5
	v_mov_b32_e32 v50, v4
	s_xor_b32 exec_lo, exec_lo, s43
	s_cbranch_execz .LBB42_339
; %bb.318:                              ;   in Loop: Header=BB42_5 Depth=1
	v_cmp_neq_f64_e64 s3, |v[2:3]|, 1.0
	v_cmp_ngt_f64_e64 s4, 0x39000000, |v[4:5]|
                                        ; implicit-def: $vgpr12_vgpr13
	s_or_b32 s3, s3, s4
	s_delay_alu instid0(SALU_CYCLE_1) | instskip(NEXT) | instid1(SALU_CYCLE_1)
	s_and_saveexec_b32 s4, s3
	s_xor_b32 s44, exec_lo, s4
	s_cbranch_execz .LBB42_336
; %bb.319:                              ;   in Loop: Header=BB42_5 Depth=1
	v_ldexp_f64 v[12:13], |v[10:11]|, 0xffffffcc
	s_delay_alu instid0(VALU_DEP_1) | instskip(SKIP_1) | instid1(SALU_CYCLE_1)
	v_cmp_ge_f64_e64 s3, |v[4:5]|, v[12:13]
                                        ; implicit-def: $vgpr12_vgpr13
	s_and_saveexec_b32 s4, s3
	s_xor_b32 s45, exec_lo, s4
	s_cbranch_execz .LBB42_329
; %bb.320:                              ;   in Loop: Header=BB42_5 Depth=1
	v_mov_b64_e32 v[12:13], v[50:51]
	s_mov_b32 s3, exec_lo
	v_cmpx_neq_f64_e32 0, v[44:45]
	s_cbranch_execz .LBB42_322
; %bb.321:                              ;   in Loop: Header=BB42_5 Depth=1
	v_mul_f64_e32 v[12:13], v[4:5], v[4:5]
	v_add_f64_e32 v[52:53], v[44:45], v[48:49]
	s_delay_alu instid0(VALU_DEP_1) | instskip(NEXT) | instid1(VALU_DEP_1)
	v_div_scale_f64 v[54:55], null, v[52:53], v[52:53], v[12:13]
	v_rcp_f64_e32 v[56:57], v[54:55]
	v_nop
	s_delay_alu instid0(TRANS32_DEP_1) | instskip(NEXT) | instid1(VALU_DEP_1)
	v_fma_f64 v[62:63], -v[54:55], v[56:57], 1.0
	v_fmac_f64_e32 v[56:57], v[56:57], v[62:63]
	s_delay_alu instid0(VALU_DEP_1) | instskip(NEXT) | instid1(VALU_DEP_1)
	v_fma_f64 v[62:63], -v[54:55], v[56:57], 1.0
	v_fmac_f64_e32 v[56:57], v[56:57], v[62:63]
	v_div_scale_f64 v[62:63], vcc_lo, v[12:13], v[52:53], v[12:13]
	s_delay_alu instid0(VALU_DEP_1) | instskip(NEXT) | instid1(VALU_DEP_1)
	v_mul_f64_e32 v[64:65], v[62:63], v[56:57]
	v_fma_f64 v[54:55], -v[54:55], v[64:65], v[62:63]
	s_delay_alu instid0(VALU_DEP_1) | instskip(NEXT) | instid1(VALU_DEP_1)
	v_div_fmas_f64 v[54:55], v[54:55], v[56:57], v[64:65]
	v_div_fixup_f64 v[12:13], v[54:55], v[52:53], v[12:13]
.LBB42_322:                             ;   in Loop: Header=BB42_5 Depth=1
	s_or_b32 exec_lo, exec_lo, s3
	v_add_f64_e64 v[54:55], -|v[2:3]|, 1.0
	s_mov_b32 s3, exec_lo
                                        ; implicit-def: $vgpr52_vgpr53
	s_delay_alu instid0(VALU_DEP_1)
	v_cmpx_ngt_f64_e32 0, v[54:55]
	s_xor_b32 s3, exec_lo, s3
	s_cbranch_execz .LBB42_326
; %bb.323:                              ;   in Loop: Header=BB42_5 Depth=1
	v_mov_b64_e32 v[52:53], v[50:51]
	s_mov_b32 s4, exec_lo
	v_cmpx_neq_f64_e32 0, v[54:55]
	s_cbranch_execz .LBB42_325
; %bb.324:                              ;   in Loop: Header=BB42_5 Depth=1
	v_mul_f64_e32 v[52:53], v[4:5], v[4:5]
	v_add_f64_e32 v[54:55], v[54:55], v[46:47]
	s_delay_alu instid0(VALU_DEP_1) | instskip(NEXT) | instid1(VALU_DEP_1)
	v_div_scale_f64 v[56:57], null, v[54:55], v[54:55], v[52:53]
	v_rcp_f64_e32 v[62:63], v[56:57]
	v_nop
	s_delay_alu instid0(TRANS32_DEP_1) | instskip(NEXT) | instid1(VALU_DEP_1)
	v_fma_f64 v[64:65], -v[56:57], v[62:63], 1.0
	v_fmac_f64_e32 v[62:63], v[62:63], v[64:65]
	s_delay_alu instid0(VALU_DEP_1) | instskip(NEXT) | instid1(VALU_DEP_1)
	v_fma_f64 v[64:65], -v[56:57], v[62:63], 1.0
	v_fmac_f64_e32 v[62:63], v[62:63], v[64:65]
	v_div_scale_f64 v[64:65], vcc_lo, v[52:53], v[54:55], v[52:53]
	s_delay_alu instid0(VALU_DEP_1) | instskip(NEXT) | instid1(VALU_DEP_1)
	v_mul_f64_e32 v[66:67], v[64:65], v[62:63]
	v_fma_f64 v[56:57], -v[56:57], v[66:67], v[64:65]
	s_delay_alu instid0(VALU_DEP_1) | instskip(NEXT) | instid1(VALU_DEP_1)
	v_div_fmas_f64 v[56:57], v[56:57], v[62:63], v[66:67]
	v_div_fixup_f64 v[52:53], v[56:57], v[54:55], v[52:53]
.LBB42_325:                             ;   in Loop: Header=BB42_5 Depth=1
	s_or_b32 exec_lo, exec_lo, s4
                                        ; implicit-def: $vgpr54_vgpr55
.LBB42_326:                             ;   in Loop: Header=BB42_5 Depth=1
	s_and_not1_saveexec_b32 s3, s3
; %bb.327:                              ;   in Loop: Header=BB42_5 Depth=1
	v_add_f64_e64 v[52:53], v[46:47], -v[54:55]
; %bb.328:                              ;   in Loop: Header=BB42_5 Depth=1
	s_or_b32 exec_lo, exec_lo, s3
	s_delay_alu instid0(VALU_DEP_1) | instskip(SKIP_1) | instid1(VALU_DEP_2)
	v_mul_f64_e32 v[52:53], 0.5, v[52:53]
	v_add_f64_e32 v[54:55], 1.0, v[42:43]
	v_fmac_f64_e32 v[52:53], 0.5, v[12:13]
	s_delay_alu instid0(VALU_DEP_1) | instskip(NEXT) | instid1(VALU_DEP_1)
	v_mul_f64_e32 v[12:13], v[54:55], v[52:53]
	v_cmp_gt_f64_e32 vcc_lo, 0x10000000, v[12:13]
	v_cndmask_b32_e64 v1, 0, 0x100, vcc_lo
	s_delay_alu instid0(VALU_DEP_1) | instskip(SKIP_1) | instid1(VALU_DEP_2)
	v_ldexp_f64 v[12:13], v[12:13], v1
	v_cndmask_b32_e64 v1, 0, 0xffffff80, vcc_lo
	v_rsq_f64_e32 v[54:55], v[12:13]
	v_cmp_class_f64_e64 vcc_lo, v[12:13], 0x260
	s_delay_alu instid0(TRANS32_DEP_1) | instskip(SKIP_1) | instid1(VALU_DEP_1)
	v_mul_f64_e32 v[56:57], v[12:13], v[54:55]
	v_mul_f64_e32 v[54:55], 0.5, v[54:55]
	v_fma_f64 v[62:63], -v[54:55], v[56:57], 0.5
	s_delay_alu instid0(VALU_DEP_1) | instskip(SKIP_1) | instid1(VALU_DEP_2)
	v_fmac_f64_e32 v[56:57], v[56:57], v[62:63]
	v_fmac_f64_e32 v[54:55], v[54:55], v[62:63]
	v_fma_f64 v[62:63], -v[56:57], v[56:57], v[12:13]
	s_delay_alu instid0(VALU_DEP_1) | instskip(NEXT) | instid1(VALU_DEP_1)
	v_fmac_f64_e32 v[56:57], v[62:63], v[54:55]
	v_fma_f64 v[62:63], -v[56:57], v[56:57], v[12:13]
	s_delay_alu instid0(VALU_DEP_1) | instskip(NEXT) | instid1(VALU_DEP_1)
	v_fmac_f64_e32 v[56:57], v[62:63], v[54:55]
	v_ldexp_f64 v[54:55], v[56:57], v1
	s_delay_alu instid0(VALU_DEP_1) | instskip(NEXT) | instid1(VALU_DEP_1)
	v_dual_cndmask_b32 v13, v55, v13 :: v_dual_cndmask_b32 v12, v54, v12
	v_add_f64_e32 v[52:53], v[52:53], v[12:13]
	s_delay_alu instid0(VALU_DEP_1) | instskip(SKIP_2) | instid1(VALU_DEP_3)
	v_add_f64_e32 v[12:13], 1.0, v[52:53]
	v_cmp_neq_f64_e64 s3, 0x7ff00000, v[52:53]
	v_cmp_ngt_f64_e64 s4, -1.0, v[52:53]
	v_frexp_mant_f64_e32 v[54:55], v[12:13]
	v_frexp_exp_i32_f64_e32 v1, v[12:13]
	v_add_f64_e32 v[56:57], -1.0, v[12:13]
	s_delay_alu instid0(VALU_DEP_3) | instskip(NEXT) | instid1(VALU_DEP_2)
	v_cmp_gt_f64_e32 vcc_lo, s[14:15], v[54:55]
	v_add_f64_e64 v[54:55], v[56:57], -v[12:13]
	v_add_f64_e64 v[56:57], v[52:53], -v[56:57]
	v_subrev_co_ci_u32_e64 v1, null, 0, v1, vcc_lo
	s_delay_alu instid0(VALU_DEP_3) | instskip(SKIP_1) | instid1(VALU_DEP_3)
	v_add_f64_e32 v[54:55], 1.0, v[54:55]
	v_cmp_nge_f64_e32 vcc_lo, -1.0, v[52:53]
	v_sub_nc_u32_e32 v61, 0, v1
	s_delay_alu instid0(VALU_DEP_1) | instskip(NEXT) | instid1(VALU_DEP_4)
	v_ldexp_f64 v[12:13], v[12:13], v61
	v_add_f64_e32 v[54:55], v[56:57], v[54:55]
	s_and_b32 vcc_lo, vcc_lo, s3
	s_delay_alu instid0(VALU_DEP_2) | instskip(SKIP_1) | instid1(VALU_DEP_3)
	v_add_f64_e32 v[62:63], 1.0, v[12:13]
	v_add_f64_e32 v[68:69], -1.0, v[12:13]
	v_ldexp_f64 v[54:55], v[54:55], v61
	s_delay_alu instid0(VALU_DEP_3) | instskip(NEXT) | instid1(VALU_DEP_3)
	v_add_f64_e32 v[56:57], -1.0, v[62:63]
	v_add_f64_e32 v[70:71], 1.0, v[68:69]
	s_delay_alu instid0(VALU_DEP_2) | instskip(NEXT) | instid1(VALU_DEP_2)
	v_add_f64_e64 v[56:57], v[12:13], -v[56:57]
	v_add_f64_e64 v[12:13], v[12:13], -v[70:71]
	s_delay_alu instid0(VALU_DEP_2) | instskip(NEXT) | instid1(VALU_DEP_2)
	v_add_f64_e32 v[56:57], v[54:55], v[56:57]
	v_add_f64_e32 v[12:13], v[54:55], v[12:13]
	s_delay_alu instid0(VALU_DEP_2) | instskip(NEXT) | instid1(VALU_DEP_2)
	v_add_f64_e32 v[64:65], v[62:63], v[56:57]
	v_add_f64_e32 v[70:71], v[68:69], v[12:13]
	s_delay_alu instid0(VALU_DEP_2) | instskip(SKIP_1) | instid1(VALU_DEP_2)
	v_rcp_f64_e32 v[66:67], v[64:65]
	v_add_f64_e64 v[62:63], v[64:65], -v[62:63]
	v_add_f64_e64 v[68:69], v[70:71], -v[68:69]
	s_delay_alu instid0(VALU_DEP_2) | instskip(NEXT) | instid1(VALU_DEP_2)
	v_add_f64_e64 v[56:57], v[56:57], -v[62:63]
	v_add_f64_e64 v[12:13], v[12:13], -v[68:69]
	s_delay_alu instid0(TRANS32_DEP_1) | instskip(NEXT) | instid1(VALU_DEP_1)
	v_fma_f64 v[72:73], -v[64:65], v[66:67], 1.0
	v_fmac_f64_e32 v[66:67], v[72:73], v[66:67]
	s_delay_alu instid0(VALU_DEP_1) | instskip(NEXT) | instid1(VALU_DEP_1)
	v_fma_f64 v[54:55], -v[64:65], v[66:67], 1.0
	v_fmac_f64_e32 v[66:67], v[54:55], v[66:67]
	s_delay_alu instid0(VALU_DEP_1) | instskip(NEXT) | instid1(VALU_DEP_1)
	v_mul_f64_e32 v[54:55], v[70:71], v[66:67]
	v_mul_f64_e32 v[72:73], v[64:65], v[54:55]
	s_delay_alu instid0(VALU_DEP_1) | instskip(NEXT) | instid1(VALU_DEP_1)
	v_fma_f64 v[62:63], v[54:55], v[64:65], -v[72:73]
	v_fmac_f64_e32 v[62:63], v[54:55], v[56:57]
	s_delay_alu instid0(VALU_DEP_1) | instskip(NEXT) | instid1(VALU_DEP_1)
	v_add_f64_e32 v[74:75], v[72:73], v[62:63]
	v_add_f64_e64 v[76:77], v[70:71], -v[74:75]
	v_add_f64_e64 v[68:69], v[74:75], -v[72:73]
	s_delay_alu instid0(VALU_DEP_2) | instskip(NEXT) | instid1(VALU_DEP_2)
	v_add_f64_e64 v[70:71], v[70:71], -v[76:77]
	v_add_f64_e64 v[62:63], v[68:69], -v[62:63]
	s_delay_alu instid0(VALU_DEP_2) | instskip(NEXT) | instid1(VALU_DEP_1)
	v_add_f64_e64 v[70:71], v[70:71], -v[74:75]
	v_add_f64_e32 v[12:13], v[12:13], v[70:71]
	s_delay_alu instid0(VALU_DEP_1) | instskip(NEXT) | instid1(VALU_DEP_1)
	v_add_f64_e32 v[12:13], v[62:63], v[12:13]
	v_add_f64_e32 v[62:63], v[76:77], v[12:13]
	s_delay_alu instid0(VALU_DEP_1) | instskip(SKIP_1) | instid1(VALU_DEP_2)
	v_mul_f64_e32 v[68:69], v[66:67], v[62:63]
	v_add_f64_e64 v[74:75], v[76:77], -v[62:63]
	v_mul_f64_e32 v[70:71], v[64:65], v[68:69]
	s_delay_alu instid0(VALU_DEP_2) | instskip(NEXT) | instid1(VALU_DEP_2)
	v_add_f64_e32 v[12:13], v[12:13], v[74:75]
	v_fma_f64 v[64:65], v[68:69], v[64:65], -v[70:71]
	s_delay_alu instid0(VALU_DEP_1) | instskip(NEXT) | instid1(VALU_DEP_1)
	v_fmac_f64_e32 v[64:65], v[68:69], v[56:57]
	v_add_f64_e32 v[56:57], v[70:71], v[64:65]
	s_delay_alu instid0(VALU_DEP_1) | instskip(SKIP_1) | instid1(VALU_DEP_2)
	v_add_f64_e64 v[72:73], v[62:63], -v[56:57]
	v_add_f64_e64 v[70:71], v[56:57], -v[70:71]
	;; [unrolled: 1-line block ×3, first 2 shown]
	s_delay_alu instid0(VALU_DEP_1) | instskip(NEXT) | instid1(VALU_DEP_3)
	v_add_f64_e64 v[56:57], v[62:63], -v[56:57]
	v_add_f64_e64 v[62:63], v[70:71], -v[64:65]
	s_delay_alu instid0(VALU_DEP_2) | instskip(SKIP_1) | instid1(VALU_DEP_2)
	v_add_f64_e32 v[12:13], v[12:13], v[56:57]
	v_add_f64_e32 v[56:57], v[54:55], v[68:69]
	;; [unrolled: 1-line block ×3, first 2 shown]
	s_delay_alu instid0(VALU_DEP_2) | instskip(NEXT) | instid1(VALU_DEP_2)
	v_add_f64_e64 v[54:55], v[56:57], -v[54:55]
	v_add_f64_e32 v[12:13], v[72:73], v[12:13]
	s_delay_alu instid0(VALU_DEP_2) | instskip(NEXT) | instid1(VALU_DEP_2)
	v_add_f64_e64 v[54:55], v[68:69], -v[54:55]
	v_mul_f64_e32 v[12:13], v[66:67], v[12:13]
	s_delay_alu instid0(VALU_DEP_1) | instskip(NEXT) | instid1(VALU_DEP_1)
	v_add_f64_e32 v[12:13], v[54:55], v[12:13]
	v_add_f64_e32 v[54:55], v[56:57], v[12:13]
	s_delay_alu instid0(VALU_DEP_1) | instskip(NEXT) | instid1(VALU_DEP_1)
	v_mul_f64_e32 v[62:63], v[54:55], v[54:55]
	v_fmamk_f64 v[64:65], v[62:63], 0x3fc3ab76bf559e2b, v[28:29]
	v_mul_f64_e32 v[66:67], v[54:55], v[62:63]
	s_delay_alu instid0(VALU_DEP_2) | instskip(NEXT) | instid1(VALU_DEP_1)
	v_fmaak_f64 v[64:65], v[62:63], v[64:65], 0x3fc7474dd7f4df2e
	v_fmaak_f64 v[64:65], v[62:63], v[64:65], 0x3fcc71c016291751
	s_delay_alu instid0(VALU_DEP_1) | instskip(NEXT) | instid1(VALU_DEP_1)
	v_fmaak_f64 v[64:65], v[62:63], v[64:65], 0x3fd249249b27acf1
	v_fmaak_f64 v[64:65], v[62:63], v[64:65], 0x3fd99999998ef7b6
	s_delay_alu instid0(VALU_DEP_1) | instskip(SKIP_2) | instid1(VALU_DEP_3)
	v_fmaak_f64 v[62:63], v[62:63], v[64:65], 0x3fe5555555555780
	v_ldexp_f64 v[64:65], v[54:55], 1
	v_add_f64_e64 v[54:55], v[54:55], -v[56:57]
	v_mul_f64_e32 v[62:63], v[66:67], v[62:63]
	v_cvt_f64_i32_e32 v[66:67], v1
	s_delay_alu instid0(VALU_DEP_3) | instskip(NEXT) | instid1(VALU_DEP_3)
	v_add_f64_e64 v[12:13], v[12:13], -v[54:55]
	v_add_f64_e32 v[56:57], v[64:65], v[62:63]
	s_delay_alu instid0(VALU_DEP_3) | instskip(NEXT) | instid1(VALU_DEP_3)
	v_mul_f64_e32 v[68:69], 0x3fe62e42fefa39ef, v[66:67]
	v_ldexp_f64 v[12:13], v[12:13], 1
	s_delay_alu instid0(VALU_DEP_3) | instskip(NEXT) | instid1(VALU_DEP_3)
	v_add_f64_e64 v[54:55], v[56:57], -v[64:65]
	v_fma_f64 v[64:65], v[66:67], s[16:17], -v[68:69]
	s_delay_alu instid0(VALU_DEP_2) | instskip(NEXT) | instid1(VALU_DEP_2)
	v_add_f64_e64 v[54:55], v[62:63], -v[54:55]
	v_fmac_f64_e32 v[64:65], 0x3c7abc9e3b39803f, v[66:67]
	s_delay_alu instid0(VALU_DEP_2) | instskip(NEXT) | instid1(VALU_DEP_2)
	v_add_f64_e32 v[12:13], v[12:13], v[54:55]
	v_add_f64_e32 v[54:55], v[68:69], v[64:65]
	s_delay_alu instid0(VALU_DEP_2) | instskip(NEXT) | instid1(VALU_DEP_2)
	v_add_f64_e32 v[62:63], v[56:57], v[12:13]
	v_add_f64_e64 v[68:69], v[54:55], -v[68:69]
	s_delay_alu instid0(VALU_DEP_2) | instskip(SKIP_1) | instid1(VALU_DEP_3)
	v_add_f64_e32 v[66:67], v[54:55], v[62:63]
	v_add_f64_e64 v[56:57], v[62:63], -v[56:57]
	v_add_f64_e64 v[64:65], v[64:65], -v[68:69]
	s_delay_alu instid0(VALU_DEP_3) | instskip(NEXT) | instid1(VALU_DEP_3)
	v_add_f64_e64 v[70:71], v[66:67], -v[54:55]
	v_add_f64_e64 v[12:13], v[12:13], -v[56:57]
	s_delay_alu instid0(VALU_DEP_2) | instskip(SKIP_1) | instid1(VALU_DEP_3)
	v_add_f64_e64 v[72:73], v[66:67], -v[70:71]
	v_add_f64_e64 v[56:57], v[62:63], -v[70:71]
	v_add_f64_e32 v[62:63], v[64:65], v[12:13]
	s_delay_alu instid0(VALU_DEP_3) | instskip(NEXT) | instid1(VALU_DEP_1)
	v_add_f64_e64 v[54:55], v[54:55], -v[72:73]
	v_add_f64_e32 v[54:55], v[56:57], v[54:55]
	s_delay_alu instid0(VALU_DEP_3) | instskip(NEXT) | instid1(VALU_DEP_2)
	v_add_f64_e64 v[56:57], v[62:63], -v[64:65]
	v_add_f64_e32 v[54:55], v[62:63], v[54:55]
	s_delay_alu instid0(VALU_DEP_2) | instskip(SKIP_1) | instid1(VALU_DEP_3)
	v_add_f64_e64 v[62:63], v[62:63], -v[56:57]
	v_add_f64_e64 v[12:13], v[12:13], -v[56:57]
	v_add_f64_e32 v[68:69], v[66:67], v[54:55]
	s_delay_alu instid0(VALU_DEP_3) | instskip(NEXT) | instid1(VALU_DEP_2)
	v_add_f64_e64 v[62:63], v[64:65], -v[62:63]
	v_add_f64_e64 v[56:57], v[68:69], -v[66:67]
	s_delay_alu instid0(VALU_DEP_2) | instskip(NEXT) | instid1(VALU_DEP_2)
	v_add_f64_e32 v[12:13], v[12:13], v[62:63]
	v_add_f64_e64 v[54:55], v[54:55], -v[56:57]
	s_delay_alu instid0(VALU_DEP_1) | instskip(NEXT) | instid1(VALU_DEP_1)
	v_add_f64_e32 v[12:13], v[12:13], v[54:55]
	v_add_f64_e32 v[12:13], v[68:69], v[12:13]
	s_delay_alu instid0(VALU_DEP_1) | instskip(SKIP_1) | instid1(VALU_DEP_3)
	v_cndmask_b32_e32 v12, 0, v12, vcc_lo
	v_cmp_neq_f64_e32 vcc_lo, -1.0, v[52:53]
	v_cndmask_b32_e64 v1, 0x7ff00000, v13, s3
	s_delay_alu instid0(VALU_DEP_1) | instskip(NEXT) | instid1(VALU_DEP_1)
	v_cndmask_b32_e64 v1, 0x7ff80000, v1, s4
	v_cndmask_b32_e32 v13, 0xfff00000, v1, vcc_lo
.LBB42_329:                             ;   in Loop: Header=BB42_5 Depth=1
	s_and_not1_saveexec_b32 s45, s45
	s_cbranch_execz .LBB42_335
; %bb.330:                              ;   in Loop: Header=BB42_5 Depth=1
                                        ; implicit-def: $vgpr12_vgpr13
	s_mov_b32 s4, exec_lo
	v_cmpx_nlt_f64_e64 |v[2:3]|, 1.0
	s_xor_b32 s46, exec_lo, s4
	s_cbranch_execz .LBB42_332
; %bb.331:                              ;   in Loop: Header=BB42_5 Depth=1
	v_mul_f64_e32 v[12:13], v[10:11], v[44:45]
	s_delay_alu instid0(VALU_DEP_1) | instskip(SKIP_1) | instid1(VALU_DEP_1)
	v_cmp_gt_f64_e32 vcc_lo, 0x10000000, v[12:13]
	v_cndmask_b32_e64 v1, 0, 0x100, vcc_lo
	v_ldexp_f64 v[12:13], v[12:13], v1
	v_cndmask_b32_e64 v1, 0, 0xffffff80, vcc_lo
	s_delay_alu instid0(VALU_DEP_2) | instskip(SKIP_1) | instid1(TRANS32_DEP_1)
	v_rsq_f64_e32 v[52:53], v[12:13]
	v_cmp_class_f64_e64 vcc_lo, v[12:13], 0x260
	v_mul_f64_e32 v[54:55], v[12:13], v[52:53]
	v_mul_f64_e32 v[52:53], 0.5, v[52:53]
	s_delay_alu instid0(VALU_DEP_1) | instskip(NEXT) | instid1(VALU_DEP_1)
	v_fma_f64 v[56:57], -v[52:53], v[54:55], 0.5
	v_fmac_f64_e32 v[54:55], v[54:55], v[56:57]
	v_fmac_f64_e32 v[52:53], v[52:53], v[56:57]
	s_delay_alu instid0(VALU_DEP_2) | instskip(NEXT) | instid1(VALU_DEP_1)
	v_fma_f64 v[56:57], -v[54:55], v[54:55], v[12:13]
	v_fmac_f64_e32 v[54:55], v[56:57], v[52:53]
	s_delay_alu instid0(VALU_DEP_1) | instskip(NEXT) | instid1(VALU_DEP_1)
	v_fma_f64 v[56:57], -v[54:55], v[54:55], v[12:13]
	v_fmac_f64_e32 v[54:55], v[56:57], v[52:53]
	s_delay_alu instid0(VALU_DEP_1) | instskip(NEXT) | instid1(VALU_DEP_1)
	v_ldexp_f64 v[52:53], v[54:55], v1
	v_dual_cndmask_b32 v13, v53, v13 :: v_dual_cndmask_b32 v12, v52, v12
	s_delay_alu instid0(VALU_DEP_1) | instskip(NEXT) | instid1(VALU_DEP_1)
	v_add_f64_e32 v[52:53], v[10:11], v[12:13]
	v_add_f64_e32 v[12:13], 1.0, v[52:53]
	v_cmp_neq_f64_e64 s3, 0x7ff00000, v[52:53]
	v_cmp_ngt_f64_e64 s4, -1.0, v[52:53]
	s_delay_alu instid0(VALU_DEP_3) | instskip(SKIP_2) | instid1(VALU_DEP_3)
	v_frexp_mant_f64_e32 v[54:55], v[12:13]
	v_add_f64_e32 v[56:57], -1.0, v[12:13]
	v_frexp_exp_i32_f64_e32 v1, v[12:13]
	v_cmp_gt_f64_e32 vcc_lo, s[14:15], v[54:55]
	s_delay_alu instid0(VALU_DEP_3) | instskip(SKIP_1) | instid1(VALU_DEP_4)
	v_add_f64_e64 v[54:55], v[56:57], -v[12:13]
	v_add_f64_e64 v[56:57], v[52:53], -v[56:57]
	v_subrev_co_ci_u32_e64 v1, null, 0, v1, vcc_lo
	v_cmp_nge_f64_e32 vcc_lo, -1.0, v[52:53]
	s_delay_alu instid0(VALU_DEP_2) | instskip(NEXT) | instid1(VALU_DEP_1)
	v_dual_add_f64 v[54:55], 1.0, v[54:55] :: v_dual_sub_nc_u32 v61, 0, v1
	v_ldexp_f64 v[12:13], v[12:13], v61
	s_and_b32 vcc_lo, vcc_lo, s3
	s_delay_alu instid0(VALU_DEP_2) | instskip(NEXT) | instid1(VALU_DEP_2)
	v_add_f64_e32 v[54:55], v[56:57], v[54:55]
	v_add_f64_e32 v[62:63], 1.0, v[12:13]
	v_add_f64_e32 v[68:69], -1.0, v[12:13]
	s_delay_alu instid0(VALU_DEP_3) | instskip(NEXT) | instid1(VALU_DEP_3)
	v_ldexp_f64 v[54:55], v[54:55], v61
	v_add_f64_e32 v[56:57], -1.0, v[62:63]
	s_delay_alu instid0(VALU_DEP_3) | instskip(NEXT) | instid1(VALU_DEP_2)
	v_add_f64_e32 v[70:71], 1.0, v[68:69]
	v_add_f64_e64 v[56:57], v[12:13], -v[56:57]
	s_delay_alu instid0(VALU_DEP_2) | instskip(NEXT) | instid1(VALU_DEP_2)
	v_add_f64_e64 v[12:13], v[12:13], -v[70:71]
	v_add_f64_e32 v[56:57], v[54:55], v[56:57]
	s_delay_alu instid0(VALU_DEP_2) | instskip(NEXT) | instid1(VALU_DEP_2)
	v_add_f64_e32 v[12:13], v[54:55], v[12:13]
	v_add_f64_e32 v[64:65], v[62:63], v[56:57]
	s_delay_alu instid0(VALU_DEP_2) | instskip(NEXT) | instid1(VALU_DEP_2)
	v_add_f64_e32 v[70:71], v[68:69], v[12:13]
	v_rcp_f64_e32 v[66:67], v[64:65]
	v_add_f64_e64 v[62:63], v[64:65], -v[62:63]
	s_delay_alu instid0(VALU_DEP_2) | instskip(NEXT) | instid1(VALU_DEP_2)
	v_add_f64_e64 v[68:69], v[70:71], -v[68:69]
	v_add_f64_e64 v[56:57], v[56:57], -v[62:63]
	s_delay_alu instid0(VALU_DEP_2) | instskip(NEXT) | instid1(TRANS32_DEP_1)
	v_add_f64_e64 v[12:13], v[12:13], -v[68:69]
	v_fma_f64 v[72:73], -v[64:65], v[66:67], 1.0
	s_delay_alu instid0(VALU_DEP_1) | instskip(NEXT) | instid1(VALU_DEP_1)
	v_fmac_f64_e32 v[66:67], v[72:73], v[66:67]
	v_fma_f64 v[54:55], -v[64:65], v[66:67], 1.0
	s_delay_alu instid0(VALU_DEP_1) | instskip(NEXT) | instid1(VALU_DEP_1)
	v_fmac_f64_e32 v[66:67], v[54:55], v[66:67]
	v_mul_f64_e32 v[54:55], v[70:71], v[66:67]
	s_delay_alu instid0(VALU_DEP_1) | instskip(NEXT) | instid1(VALU_DEP_1)
	v_mul_f64_e32 v[72:73], v[64:65], v[54:55]
	v_fma_f64 v[62:63], v[54:55], v[64:65], -v[72:73]
	s_delay_alu instid0(VALU_DEP_1) | instskip(NEXT) | instid1(VALU_DEP_1)
	v_fmac_f64_e32 v[62:63], v[54:55], v[56:57]
	v_add_f64_e32 v[74:75], v[72:73], v[62:63]
	s_delay_alu instid0(VALU_DEP_1) | instskip(SKIP_1) | instid1(VALU_DEP_2)
	v_add_f64_e64 v[76:77], v[70:71], -v[74:75]
	v_add_f64_e64 v[68:69], v[74:75], -v[72:73]
	;; [unrolled: 1-line block ×3, first 2 shown]
	s_delay_alu instid0(VALU_DEP_2) | instskip(NEXT) | instid1(VALU_DEP_2)
	v_add_f64_e64 v[62:63], v[68:69], -v[62:63]
	v_add_f64_e64 v[70:71], v[70:71], -v[74:75]
	s_delay_alu instid0(VALU_DEP_1) | instskip(NEXT) | instid1(VALU_DEP_1)
	v_add_f64_e32 v[12:13], v[12:13], v[70:71]
	v_add_f64_e32 v[12:13], v[62:63], v[12:13]
	s_delay_alu instid0(VALU_DEP_1) | instskip(NEXT) | instid1(VALU_DEP_1)
	v_add_f64_e32 v[62:63], v[76:77], v[12:13]
	v_mul_f64_e32 v[68:69], v[66:67], v[62:63]
	v_add_f64_e64 v[74:75], v[76:77], -v[62:63]
	s_delay_alu instid0(VALU_DEP_2) | instskip(NEXT) | instid1(VALU_DEP_2)
	v_mul_f64_e32 v[70:71], v[64:65], v[68:69]
	v_add_f64_e32 v[12:13], v[12:13], v[74:75]
	s_delay_alu instid0(VALU_DEP_2) | instskip(NEXT) | instid1(VALU_DEP_1)
	v_fma_f64 v[64:65], v[68:69], v[64:65], -v[70:71]
	v_fmac_f64_e32 v[64:65], v[68:69], v[56:57]
	s_delay_alu instid0(VALU_DEP_1) | instskip(NEXT) | instid1(VALU_DEP_1)
	v_add_f64_e32 v[56:57], v[70:71], v[64:65]
	v_add_f64_e64 v[72:73], v[62:63], -v[56:57]
	v_add_f64_e64 v[70:71], v[56:57], -v[70:71]
	s_delay_alu instid0(VALU_DEP_2) | instskip(NEXT) | instid1(VALU_DEP_1)
	v_add_f64_e64 v[62:63], v[62:63], -v[72:73]
	v_add_f64_e64 v[56:57], v[62:63], -v[56:57]
	s_delay_alu instid0(VALU_DEP_3) | instskip(NEXT) | instid1(VALU_DEP_2)
	v_add_f64_e64 v[62:63], v[70:71], -v[64:65]
	v_add_f64_e32 v[12:13], v[12:13], v[56:57]
	v_add_f64_e32 v[56:57], v[54:55], v[68:69]
	s_delay_alu instid0(VALU_DEP_2) | instskip(NEXT) | instid1(VALU_DEP_2)
	v_add_f64_e32 v[12:13], v[62:63], v[12:13]
	v_add_f64_e64 v[54:55], v[56:57], -v[54:55]
	s_delay_alu instid0(VALU_DEP_2) | instskip(NEXT) | instid1(VALU_DEP_2)
	v_add_f64_e32 v[12:13], v[72:73], v[12:13]
	v_add_f64_e64 v[54:55], v[68:69], -v[54:55]
	s_delay_alu instid0(VALU_DEP_2) | instskip(NEXT) | instid1(VALU_DEP_1)
	v_mul_f64_e32 v[12:13], v[66:67], v[12:13]
	v_add_f64_e32 v[12:13], v[54:55], v[12:13]
	s_delay_alu instid0(VALU_DEP_1) | instskip(NEXT) | instid1(VALU_DEP_1)
	v_add_f64_e32 v[54:55], v[56:57], v[12:13]
	v_mul_f64_e32 v[62:63], v[54:55], v[54:55]
	s_delay_alu instid0(VALU_DEP_1) | instskip(SKIP_1) | instid1(VALU_DEP_2)
	v_fmamk_f64 v[64:65], v[62:63], 0x3fc3ab76bf559e2b, v[28:29]
	v_mul_f64_e32 v[66:67], v[54:55], v[62:63]
	v_fmaak_f64 v[64:65], v[62:63], v[64:65], 0x3fc7474dd7f4df2e
	s_delay_alu instid0(VALU_DEP_1) | instskip(NEXT) | instid1(VALU_DEP_1)
	v_fmaak_f64 v[64:65], v[62:63], v[64:65], 0x3fcc71c016291751
	v_fmaak_f64 v[64:65], v[62:63], v[64:65], 0x3fd249249b27acf1
	s_delay_alu instid0(VALU_DEP_1) | instskip(NEXT) | instid1(VALU_DEP_1)
	v_fmaak_f64 v[64:65], v[62:63], v[64:65], 0x3fd99999998ef7b6
	v_fmaak_f64 v[62:63], v[62:63], v[64:65], 0x3fe5555555555780
	v_ldexp_f64 v[64:65], v[54:55], 1
	v_add_f64_e64 v[54:55], v[54:55], -v[56:57]
	s_delay_alu instid0(VALU_DEP_3) | instskip(SKIP_1) | instid1(VALU_DEP_3)
	v_mul_f64_e32 v[62:63], v[66:67], v[62:63]
	v_cvt_f64_i32_e32 v[66:67], v1
	v_add_f64_e64 v[12:13], v[12:13], -v[54:55]
	s_delay_alu instid0(VALU_DEP_3) | instskip(NEXT) | instid1(VALU_DEP_3)
	v_add_f64_e32 v[56:57], v[64:65], v[62:63]
	v_mul_f64_e32 v[68:69], 0x3fe62e42fefa39ef, v[66:67]
	s_delay_alu instid0(VALU_DEP_3) | instskip(NEXT) | instid1(VALU_DEP_3)
	v_ldexp_f64 v[12:13], v[12:13], 1
	v_add_f64_e64 v[54:55], v[56:57], -v[64:65]
	s_delay_alu instid0(VALU_DEP_3) | instskip(NEXT) | instid1(VALU_DEP_2)
	v_fma_f64 v[64:65], v[66:67], s[16:17], -v[68:69]
	v_add_f64_e64 v[54:55], v[62:63], -v[54:55]
	s_delay_alu instid0(VALU_DEP_2) | instskip(NEXT) | instid1(VALU_DEP_2)
	v_fmac_f64_e32 v[64:65], 0x3c7abc9e3b39803f, v[66:67]
	v_add_f64_e32 v[12:13], v[12:13], v[54:55]
	s_delay_alu instid0(VALU_DEP_2) | instskip(NEXT) | instid1(VALU_DEP_2)
	v_add_f64_e32 v[54:55], v[68:69], v[64:65]
	v_add_f64_e32 v[62:63], v[56:57], v[12:13]
	s_delay_alu instid0(VALU_DEP_2) | instskip(NEXT) | instid1(VALU_DEP_2)
	v_add_f64_e64 v[68:69], v[54:55], -v[68:69]
	v_add_f64_e32 v[66:67], v[54:55], v[62:63]
	v_add_f64_e64 v[56:57], v[62:63], -v[56:57]
	s_delay_alu instid0(VALU_DEP_3) | instskip(NEXT) | instid1(VALU_DEP_3)
	v_add_f64_e64 v[64:65], v[64:65], -v[68:69]
	v_add_f64_e64 v[70:71], v[66:67], -v[54:55]
	s_delay_alu instid0(VALU_DEP_3) | instskip(NEXT) | instid1(VALU_DEP_2)
	v_add_f64_e64 v[12:13], v[12:13], -v[56:57]
	v_add_f64_e64 v[72:73], v[66:67], -v[70:71]
	v_add_f64_e64 v[56:57], v[62:63], -v[70:71]
	s_delay_alu instid0(VALU_DEP_3) | instskip(NEXT) | instid1(VALU_DEP_3)
	v_add_f64_e32 v[62:63], v[64:65], v[12:13]
	v_add_f64_e64 v[54:55], v[54:55], -v[72:73]
	s_delay_alu instid0(VALU_DEP_1) | instskip(NEXT) | instid1(VALU_DEP_3)
	v_add_f64_e32 v[54:55], v[56:57], v[54:55]
	v_add_f64_e64 v[56:57], v[62:63], -v[64:65]
	s_delay_alu instid0(VALU_DEP_2) | instskip(NEXT) | instid1(VALU_DEP_2)
	v_add_f64_e32 v[54:55], v[62:63], v[54:55]
	v_add_f64_e64 v[62:63], v[62:63], -v[56:57]
	v_add_f64_e64 v[12:13], v[12:13], -v[56:57]
	s_delay_alu instid0(VALU_DEP_3) | instskip(NEXT) | instid1(VALU_DEP_3)
	v_add_f64_e32 v[68:69], v[66:67], v[54:55]
	v_add_f64_e64 v[62:63], v[64:65], -v[62:63]
	s_delay_alu instid0(VALU_DEP_2) | instskip(NEXT) | instid1(VALU_DEP_2)
	v_add_f64_e64 v[56:57], v[68:69], -v[66:67]
	v_add_f64_e32 v[12:13], v[12:13], v[62:63]
	s_delay_alu instid0(VALU_DEP_2) | instskip(NEXT) | instid1(VALU_DEP_1)
	v_add_f64_e64 v[54:55], v[54:55], -v[56:57]
	v_add_f64_e32 v[12:13], v[12:13], v[54:55]
	s_delay_alu instid0(VALU_DEP_1) | instskip(NEXT) | instid1(VALU_DEP_1)
	v_add_f64_e32 v[12:13], v[68:69], v[12:13]
	v_cndmask_b32_e32 v12, 0, v12, vcc_lo
	v_cmp_neq_f64_e32 vcc_lo, -1.0, v[52:53]
	s_delay_alu instid0(VALU_DEP_3) | instskip(NEXT) | instid1(VALU_DEP_1)
	v_cndmask_b32_e64 v1, 0x7ff00000, v13, s3
	v_cndmask_b32_e64 v1, 0x7ff80000, v1, s4
	s_delay_alu instid0(VALU_DEP_1)
	v_cndmask_b32_e32 v13, 0xfff00000, v1, vcc_lo
.LBB42_332:                             ;   in Loop: Header=BB42_5 Depth=1
	s_and_not1_saveexec_b32 s3, s46
	s_cbranch_execz .LBB42_334
; %bb.333:                              ;   in Loop: Header=BB42_5 Depth=1
	v_add_f64_e64 v[12:13], -|v[2:3]|, 1.0
	s_delay_alu instid0(VALU_DEP_1) | instskip(NEXT) | instid1(VALU_DEP_1)
	v_mul_f64_e32 v[12:13], v[12:13], v[44:45]
	v_cmp_gt_f64_e32 vcc_lo, 0x10000000, v[12:13]
	v_cndmask_b32_e64 v1, 0, 0x100, vcc_lo
	s_delay_alu instid0(VALU_DEP_1) | instskip(SKIP_1) | instid1(VALU_DEP_2)
	v_ldexp_f64 v[12:13], v[12:13], v1
	v_cndmask_b32_e64 v1, 0, 0xffffff80, vcc_lo
	v_rsq_f64_e32 v[52:53], v[12:13]
	v_cmp_class_f64_e64 vcc_lo, v[12:13], 0x260
	s_delay_alu instid0(TRANS32_DEP_1) | instskip(SKIP_1) | instid1(VALU_DEP_1)
	v_mul_f64_e32 v[54:55], v[12:13], v[52:53]
	v_mul_f64_e32 v[52:53], 0.5, v[52:53]
	v_fma_f64 v[56:57], -v[52:53], v[54:55], 0.5
	s_delay_alu instid0(VALU_DEP_1) | instskip(SKIP_1) | instid1(VALU_DEP_2)
	v_fmac_f64_e32 v[54:55], v[54:55], v[56:57]
	v_fmac_f64_e32 v[52:53], v[52:53], v[56:57]
	v_fma_f64 v[56:57], -v[54:55], v[54:55], v[12:13]
	s_delay_alu instid0(VALU_DEP_1) | instskip(NEXT) | instid1(VALU_DEP_1)
	v_fmac_f64_e32 v[54:55], v[56:57], v[52:53]
	v_fma_f64 v[56:57], -v[54:55], v[54:55], v[12:13]
	s_delay_alu instid0(VALU_DEP_1) | instskip(NEXT) | instid1(VALU_DEP_1)
	v_fmac_f64_e32 v[54:55], v[56:57], v[52:53]
	v_ldexp_f64 v[52:53], v[54:55], v1
	v_dual_mov_b32 v54, v4 :: v_dual_mov_b32 v55, v51
	s_delay_alu instid0(VALU_DEP_2) | instskip(NEXT) | instid1(VALU_DEP_1)
	v_dual_cndmask_b32 v13, v53, v13 :: v_dual_cndmask_b32 v12, v52, v12
	v_div_scale_f64 v[52:53], null, v[12:13], v[12:13], v[54:55]
	v_div_scale_f64 v[54:55], vcc_lo, v[54:55], v[12:13], v[54:55]
	s_delay_alu instid0(VALU_DEP_2) | instskip(SKIP_1) | instid1(TRANS32_DEP_1)
	v_rcp_f64_e32 v[56:57], v[52:53]
	v_nop
	v_fma_f64 v[62:63], -v[52:53], v[56:57], 1.0
	s_delay_alu instid0(VALU_DEP_1) | instskip(NEXT) | instid1(VALU_DEP_1)
	v_fmac_f64_e32 v[56:57], v[56:57], v[62:63]
	v_fma_f64 v[62:63], -v[52:53], v[56:57], 1.0
	s_delay_alu instid0(VALU_DEP_1) | instskip(NEXT) | instid1(VALU_DEP_1)
	v_fmac_f64_e32 v[56:57], v[56:57], v[62:63]
	v_mul_f64_e32 v[62:63], v[54:55], v[56:57]
	s_delay_alu instid0(VALU_DEP_1) | instskip(NEXT) | instid1(VALU_DEP_1)
	v_fma_f64 v[52:53], -v[52:53], v[62:63], v[54:55]
	v_div_fmas_f64 v[52:53], v[52:53], v[56:57], v[62:63]
	s_delay_alu instid0(VALU_DEP_1)
	v_div_fixup_f64 v[12:13], v[52:53], v[12:13], |v[4:5]|
.LBB42_334:                             ;   in Loop: Header=BB42_5 Depth=1
	s_or_b32 exec_lo, exec_lo, s3
.LBB42_335:                             ;   in Loop: Header=BB42_5 Depth=1
	s_delay_alu instid0(SALU_CYCLE_1)
	s_or_b32 exec_lo, exec_lo, s45
.LBB42_336:                             ;   in Loop: Header=BB42_5 Depth=1
	s_and_not1_saveexec_b32 s3, s44
	s_cbranch_execz .LBB42_338
; %bb.337:                              ;   in Loop: Header=BB42_5 Depth=1
	v_cmp_gt_f64_e64 s4, 0x10000000, |v[4:5]|
	s_delay_alu instid0(VALU_DEP_1) | instskip(NEXT) | instid1(VALU_DEP_1)
	v_cndmask_b32_e64 v1, 0, 0x100, s4
	v_ldexp_f64 v[12:13], |v[4:5]|, v1
	v_cndmask_b32_e64 v1, 0, 0xffffff80, s4
	s_delay_alu instid0(VALU_DEP_2) | instskip(SKIP_1) | instid1(TRANS32_DEP_1)
	v_rsq_f64_e32 v[52:53], v[12:13]
	v_cmp_class_f64_e64 vcc_lo, v[12:13], 0x260
	v_mul_f64_e32 v[54:55], v[12:13], v[52:53]
	v_mul_f64_e32 v[52:53], 0.5, v[52:53]
	s_delay_alu instid0(VALU_DEP_1) | instskip(NEXT) | instid1(VALU_DEP_1)
	v_fma_f64 v[56:57], -v[52:53], v[54:55], 0.5
	v_fmac_f64_e32 v[54:55], v[54:55], v[56:57]
	v_fmac_f64_e32 v[52:53], v[52:53], v[56:57]
	s_delay_alu instid0(VALU_DEP_2) | instskip(NEXT) | instid1(VALU_DEP_1)
	v_fma_f64 v[56:57], -v[54:55], v[54:55], v[12:13]
	v_fmac_f64_e32 v[54:55], v[56:57], v[52:53]
	s_delay_alu instid0(VALU_DEP_1) | instskip(NEXT) | instid1(VALU_DEP_1)
	v_fma_f64 v[56:57], -v[54:55], v[54:55], v[12:13]
	v_fmac_f64_e32 v[54:55], v[56:57], v[52:53]
	s_delay_alu instid0(VALU_DEP_1) | instskip(NEXT) | instid1(VALU_DEP_1)
	v_ldexp_f64 v[52:53], v[54:55], v1
	v_dual_cndmask_b32 v13, v53, v13 :: v_dual_cndmask_b32 v12, v52, v12
.LBB42_338:                             ;   in Loop: Header=BB42_5 Depth=1
	s_or_b32 exec_lo, exec_lo, s3
.LBB42_339:                             ;   in Loop: Header=BB42_5 Depth=1
	s_delay_alu instid0(SALU_CYCLE_1) | instskip(SKIP_2) | instid1(SALU_CYCLE_1)
	s_or_b32 exec_lo, exec_lo, s43
	v_cmp_ngt_f64_e64 s4, 0x20200000, |v[2:3]|
                                        ; implicit-def: $sgpr3
                                        ; implicit-def: $vgpr52_vgpr53
                                        ; implicit-def: $vgpr56_vgpr57
                                        ; implicit-def: $vgpr54_vgpr55
	s_and_saveexec_b32 s43, s4
	s_xor_b32 s4, exec_lo, s43
	s_cbranch_execz .LBB42_363
; %bb.340:                              ;   in Loop: Header=BB42_5 Depth=1
	v_and_b32_e32 v55, 0x7fffffff, v3
	v_mov_b32_e32 v54, v2
	s_mov_b32 s3, 0
	s_mov_b32 s43, exec_lo
	s_delay_alu instid0(VALU_DEP_1) | instskip(NEXT) | instid1(VALU_DEP_1)
	v_div_scale_f64 v[52:53], null, v[42:43], v[42:43], v[54:55]
	v_rcp_f64_e32 v[56:57], v[52:53]
	v_nop
	s_delay_alu instid0(TRANS32_DEP_1) | instskip(NEXT) | instid1(VALU_DEP_1)
	v_fma_f64 v[62:63], -v[52:53], v[56:57], 1.0
	v_fmac_f64_e32 v[56:57], v[56:57], v[62:63]
	s_delay_alu instid0(VALU_DEP_1) | instskip(NEXT) | instid1(VALU_DEP_1)
	v_fma_f64 v[62:63], -v[52:53], v[56:57], 1.0
	v_fmac_f64_e32 v[56:57], v[56:57], v[62:63]
	v_div_scale_f64 v[62:63], vcc_lo, v[54:55], v[42:43], v[54:55]
	s_delay_alu instid0(VALU_DEP_1) | instskip(NEXT) | instid1(VALU_DEP_1)
	v_mul_f64_e32 v[64:65], v[62:63], v[56:57]
	v_fma_f64 v[52:53], -v[52:53], v[64:65], v[62:63]
	s_delay_alu instid0(VALU_DEP_1) | instskip(NEXT) | instid1(VALU_DEP_1)
	v_div_fmas_f64 v[52:53], v[52:53], v[56:57], v[64:65]
                                        ; implicit-def: $vgpr56_vgpr57
	v_div_fixup_f64 v[52:53], v[52:53], v[42:43], |v[2:3]|
	s_delay_alu instid0(VALU_DEP_1)
	v_cmpx_lt_f64_e32 s[18:19], v[52:53]
	s_cbranch_execz .LBB42_362
; %bb.341:                              ;   in Loop: Header=BB42_5 Depth=1
	v_cmp_neq_f64_e64 s3, |v[2:3]|, 1.0
	v_cmp_ngt_f64_e64 s44, 0x3c400000, |v[4:5]|
                                        ; implicit-def: $vgpr56_vgpr57
	s_or_b32 s3, s3, s44
	s_delay_alu instid0(SALU_CYCLE_1) | instskip(NEXT) | instid1(SALU_CYCLE_1)
	s_and_saveexec_b32 s44, s3
	s_xor_b32 s3, exec_lo, s44
	s_cbranch_execz .LBB42_359
; %bb.342:                              ;   in Loop: Header=BB42_5 Depth=1
	v_ldexp_f64 v[56:57], |v[10:11]|, 0xffffffcc
	s_delay_alu instid0(VALU_DEP_1) | instskip(SKIP_1) | instid1(SALU_CYCLE_1)
	v_cmp_ge_f64_e64 s44, |v[4:5]|, v[56:57]
                                        ; implicit-def: $vgpr56_vgpr57
	s_and_saveexec_b32 s45, s44
	s_xor_b32 s44, exec_lo, s45
	s_cbranch_execz .LBB42_352
; %bb.343:                              ;   in Loop: Header=BB42_5 Depth=1
	v_mov_b64_e32 v[56:57], v[50:51]
	s_mov_b32 s45, exec_lo
	v_cmpx_neq_f64_e32 0, v[44:45]
	s_cbranch_execz .LBB42_345
; %bb.344:                              ;   in Loop: Header=BB42_5 Depth=1
	v_mul_f64_e32 v[56:57], v[4:5], v[4:5]
	v_add_f64_e32 v[44:45], v[44:45], v[48:49]
	s_delay_alu instid0(VALU_DEP_1) | instskip(NEXT) | instid1(VALU_DEP_1)
	v_div_scale_f64 v[48:49], null, v[44:45], v[44:45], v[56:57]
	v_rcp_f64_e32 v[62:63], v[48:49]
	v_nop
	s_delay_alu instid0(TRANS32_DEP_1) | instskip(NEXT) | instid1(VALU_DEP_1)
	v_fma_f64 v[64:65], -v[48:49], v[62:63], 1.0
	v_fmac_f64_e32 v[62:63], v[62:63], v[64:65]
	s_delay_alu instid0(VALU_DEP_1) | instskip(NEXT) | instid1(VALU_DEP_1)
	v_fma_f64 v[64:65], -v[48:49], v[62:63], 1.0
	v_fmac_f64_e32 v[62:63], v[62:63], v[64:65]
	v_div_scale_f64 v[64:65], vcc_lo, v[56:57], v[44:45], v[56:57]
	s_delay_alu instid0(VALU_DEP_1) | instskip(NEXT) | instid1(VALU_DEP_1)
	v_mul_f64_e32 v[66:67], v[64:65], v[62:63]
	v_fma_f64 v[48:49], -v[48:49], v[66:67], v[64:65]
	s_delay_alu instid0(VALU_DEP_1) | instskip(NEXT) | instid1(VALU_DEP_1)
	v_div_fmas_f64 v[48:49], v[48:49], v[62:63], v[66:67]
	v_div_fixup_f64 v[56:57], v[48:49], v[44:45], v[56:57]
.LBB42_345:                             ;   in Loop: Header=BB42_5 Depth=1
	s_or_b32 exec_lo, exec_lo, s45
	s_delay_alu instid0(SALU_CYCLE_1)
	s_mov_b32 s45, exec_lo
	v_cmpx_ngt_f64_e32 0, v[10:11]
	s_xor_b32 s45, exec_lo, s45
	s_cbranch_execz .LBB42_349
; %bb.346:                              ;   in Loop: Header=BB42_5 Depth=1
	s_mov_b32 s46, exec_lo
	v_cmpx_neq_f64_e32 0, v[10:11]
	s_cbranch_execz .LBB42_348
; %bb.347:                              ;   in Loop: Header=BB42_5 Depth=1
	v_mul_f64_e32 v[44:45], v[4:5], v[4:5]
	v_add_f64_e32 v[10:11], v[10:11], v[46:47]
	s_delay_alu instid0(VALU_DEP_1) | instskip(NEXT) | instid1(VALU_DEP_1)
	v_div_scale_f64 v[46:47], null, v[10:11], v[10:11], v[44:45]
	v_rcp_f64_e32 v[48:49], v[46:47]
	v_nop
	s_delay_alu instid0(TRANS32_DEP_1) | instskip(NEXT) | instid1(VALU_DEP_1)
	v_fma_f64 v[50:51], -v[46:47], v[48:49], 1.0
	v_fmac_f64_e32 v[48:49], v[48:49], v[50:51]
	s_delay_alu instid0(VALU_DEP_1) | instskip(NEXT) | instid1(VALU_DEP_1)
	v_fma_f64 v[50:51], -v[46:47], v[48:49], 1.0
	v_fmac_f64_e32 v[48:49], v[48:49], v[50:51]
	v_div_scale_f64 v[50:51], vcc_lo, v[44:45], v[10:11], v[44:45]
	s_delay_alu instid0(VALU_DEP_1) | instskip(NEXT) | instid1(VALU_DEP_1)
	v_mul_f64_e32 v[62:63], v[50:51], v[48:49]
	v_fma_f64 v[46:47], -v[46:47], v[62:63], v[50:51]
	s_delay_alu instid0(VALU_DEP_1) | instskip(NEXT) | instid1(VALU_DEP_1)
	v_div_fmas_f64 v[46:47], v[46:47], v[48:49], v[62:63]
	v_div_fixup_f64 v[50:51], v[46:47], v[10:11], v[44:45]
.LBB42_348:                             ;   in Loop: Header=BB42_5 Depth=1
	s_or_b32 exec_lo, exec_lo, s46
                                        ; implicit-def: $vgpr10_vgpr11
                                        ; implicit-def: $vgpr46_vgpr47
.LBB42_349:                             ;   in Loop: Header=BB42_5 Depth=1
	s_and_not1_saveexec_b32 s45, s45
; %bb.350:                              ;   in Loop: Header=BB42_5 Depth=1
	v_add_f64_e64 v[50:51], v[46:47], -v[10:11]
; %bb.351:                              ;   in Loop: Header=BB42_5 Depth=1
	s_or_b32 exec_lo, exec_lo, s45
	s_delay_alu instid0(VALU_DEP_1) | instskip(SKIP_1) | instid1(VALU_DEP_2)
	v_mul_f64_e32 v[10:11], 0.5, v[50:51]
	v_add_f64_e64 v[42:43], |v[2:3]|, v[42:43]
	v_fmac_f64_e32 v[10:11], 0.5, v[56:57]
	s_delay_alu instid0(VALU_DEP_1) | instskip(NEXT) | instid1(VALU_DEP_1)
	v_mul_f64_e32 v[10:11], v[42:43], v[10:11]
	v_cmp_gt_f64_e32 vcc_lo, 0x10000000, v[10:11]
	v_cndmask_b32_e64 v1, 0, 0x100, vcc_lo
	s_delay_alu instid0(VALU_DEP_1) | instskip(SKIP_1) | instid1(VALU_DEP_2)
	v_ldexp_f64 v[10:11], v[10:11], v1
	v_cndmask_b32_e64 v1, 0, 0xffffff80, vcc_lo
	v_rsq_f64_e32 v[42:43], v[10:11]
	v_cmp_class_f64_e64 vcc_lo, v[10:11], 0x260
	s_delay_alu instid0(TRANS32_DEP_1) | instskip(SKIP_1) | instid1(VALU_DEP_1)
	v_mul_f64_e32 v[44:45], v[10:11], v[42:43]
	v_mul_f64_e32 v[42:43], 0.5, v[42:43]
	v_fma_f64 v[46:47], -v[42:43], v[44:45], 0.5
	s_delay_alu instid0(VALU_DEP_1) | instskip(SKIP_1) | instid1(VALU_DEP_2)
	v_fmac_f64_e32 v[44:45], v[44:45], v[46:47]
	v_fmac_f64_e32 v[42:43], v[42:43], v[46:47]
	v_fma_f64 v[46:47], -v[44:45], v[44:45], v[10:11]
	s_delay_alu instid0(VALU_DEP_1) | instskip(NEXT) | instid1(VALU_DEP_1)
	v_fmac_f64_e32 v[44:45], v[46:47], v[42:43]
	v_fma_f64 v[46:47], -v[44:45], v[44:45], v[10:11]
	s_delay_alu instid0(VALU_DEP_1) | instskip(NEXT) | instid1(VALU_DEP_1)
	v_fmac_f64_e32 v[44:45], v[46:47], v[42:43]
	v_ldexp_f64 v[42:43], v[44:45], v1
                                        ; implicit-def: $vgpr44_vgpr45
	s_delay_alu instid0(VALU_DEP_1)
	v_dual_cndmask_b32 v57, v43, v11 :: v_dual_cndmask_b32 v56, v42, v10
                                        ; implicit-def: $vgpr10_vgpr11
.LBB42_352:                             ;   in Loop: Header=BB42_5 Depth=1
	s_and_not1_saveexec_b32 s44, s44
	s_cbranch_execz .LBB42_358
; %bb.353:                              ;   in Loop: Header=BB42_5 Depth=1
	v_cmp_ngt_f64_e64 s45, |v[2:3]|, 1.0
                                        ; implicit-def: $vgpr56_vgpr57
	s_and_saveexec_b32 s46, s45
	s_delay_alu instid0(SALU_CYCLE_1)
	s_xor_b32 s45, exec_lo, s46
	s_cbranch_execz .LBB42_355
; %bb.354:                              ;   in Loop: Header=BB42_5 Depth=1
	v_add_f64_e64 v[10:11], -|v[2:3]|, 1.0
	s_delay_alu instid0(VALU_DEP_1) | instskip(NEXT) | instid1(VALU_DEP_1)
	v_mul_f64_e32 v[10:11], v[10:11], v[44:45]
	v_cmp_gt_f64_e32 vcc_lo, 0x10000000, v[10:11]
	v_cndmask_b32_e64 v1, 0, 0x100, vcc_lo
	s_delay_alu instid0(VALU_DEP_1) | instskip(SKIP_1) | instid1(VALU_DEP_2)
	v_ldexp_f64 v[10:11], v[10:11], v1
	v_cndmask_b32_e64 v1, 0, 0xffffff80, vcc_lo
	v_rsq_f64_e32 v[42:43], v[10:11]
	v_cmp_class_f64_e64 vcc_lo, v[10:11], 0x260
	s_delay_alu instid0(TRANS32_DEP_1) | instskip(SKIP_1) | instid1(VALU_DEP_1)
	v_mul_f64_e32 v[44:45], v[10:11], v[42:43]
	v_mul_f64_e32 v[42:43], 0.5, v[42:43]
	v_fma_f64 v[46:47], -v[42:43], v[44:45], 0.5
	s_delay_alu instid0(VALU_DEP_1) | instskip(SKIP_1) | instid1(VALU_DEP_2)
	v_fmac_f64_e32 v[44:45], v[44:45], v[46:47]
	v_fmac_f64_e32 v[42:43], v[42:43], v[46:47]
	v_fma_f64 v[46:47], -v[44:45], v[44:45], v[10:11]
	s_delay_alu instid0(VALU_DEP_1) | instskip(NEXT) | instid1(VALU_DEP_1)
	v_fmac_f64_e32 v[44:45], v[46:47], v[42:43]
	v_fma_f64 v[46:47], -v[44:45], v[44:45], v[10:11]
	s_delay_alu instid0(VALU_DEP_1) | instskip(NEXT) | instid1(VALU_DEP_1)
	v_fmac_f64_e32 v[44:45], v[46:47], v[42:43]
	v_ldexp_f64 v[42:43], v[44:45], v1
                                        ; implicit-def: $vgpr44_vgpr45
	s_delay_alu instid0(VALU_DEP_1)
	v_dual_cndmask_b32 v57, v43, v11 :: v_dual_cndmask_b32 v56, v42, v10
                                        ; implicit-def: $vgpr10_vgpr11
.LBB42_355:                             ;   in Loop: Header=BB42_5 Depth=1
	s_and_not1_saveexec_b32 s45, s45
	s_cbranch_execz .LBB42_357
; %bb.356:                              ;   in Loop: Header=BB42_5 Depth=1
	v_mul_f64_e32 v[10:11], v[44:45], v[10:11]
	v_ldexp_f64 v[54:55], |v[2:3]|, 0x6a
	s_delay_alu instid0(VALU_DEP_2) | instskip(SKIP_1) | instid1(VALU_DEP_1)
	v_cmp_gt_f64_e32 vcc_lo, 0x10000000, v[10:11]
	v_cndmask_b32_e64 v1, 0, 0x100, vcc_lo
	v_ldexp_f64 v[10:11], v[10:11], v1
	v_cndmask_b32_e64 v1, 0, 0xffffff80, vcc_lo
	s_delay_alu instid0(VALU_DEP_2) | instskip(SKIP_1) | instid1(TRANS32_DEP_1)
	v_rsq_f64_e32 v[42:43], v[10:11]
	v_cmp_class_f64_e64 vcc_lo, v[10:11], 0x260
	v_mul_f64_e32 v[44:45], v[10:11], v[42:43]
	v_mul_f64_e32 v[42:43], 0.5, v[42:43]
	s_delay_alu instid0(VALU_DEP_1) | instskip(NEXT) | instid1(VALU_DEP_1)
	v_fma_f64 v[46:47], -v[42:43], v[44:45], 0.5
	v_fmac_f64_e32 v[44:45], v[44:45], v[46:47]
	v_fmac_f64_e32 v[42:43], v[42:43], v[46:47]
	s_delay_alu instid0(VALU_DEP_2) | instskip(NEXT) | instid1(VALU_DEP_1)
	v_fma_f64 v[46:47], -v[44:45], v[44:45], v[10:11]
	v_fmac_f64_e32 v[44:45], v[46:47], v[42:43]
	s_delay_alu instid0(VALU_DEP_1) | instskip(NEXT) | instid1(VALU_DEP_1)
	v_fma_f64 v[46:47], -v[44:45], v[44:45], v[10:11]
	v_fmac_f64_e32 v[44:45], v[46:47], v[42:43]
	v_ldexp_f64 v[42:43], |v[4:5]|, 0x6a
	s_delay_alu instid0(VALU_DEP_2) | instskip(NEXT) | instid1(VALU_DEP_2)
	v_ldexp_f64 v[44:45], v[44:45], v1
	v_mul_f64_e64 v[42:43], |v[2:3]|, v[42:43]
	s_delay_alu instid0(VALU_DEP_2) | instskip(NEXT) | instid1(VALU_DEP_1)
	v_dual_cndmask_b32 v11, v45, v11 :: v_dual_cndmask_b32 v10, v44, v10
	v_div_scale_f64 v[44:45], null, v[10:11], v[10:11], v[42:43]
	v_div_scale_f64 v[50:51], vcc_lo, v[42:43], v[10:11], v[42:43]
	s_delay_alu instid0(VALU_DEP_2) | instskip(SKIP_1) | instid1(TRANS32_DEP_1)
	v_rcp_f64_e32 v[46:47], v[44:45]
	v_nop
	v_fma_f64 v[48:49], -v[44:45], v[46:47], 1.0
	s_delay_alu instid0(VALU_DEP_1) | instskip(NEXT) | instid1(VALU_DEP_1)
	v_fmac_f64_e32 v[46:47], v[46:47], v[48:49]
	v_fma_f64 v[48:49], -v[44:45], v[46:47], 1.0
	s_delay_alu instid0(VALU_DEP_1) | instskip(NEXT) | instid1(VALU_DEP_1)
	v_fmac_f64_e32 v[46:47], v[46:47], v[48:49]
	v_mul_f64_e32 v[48:49], v[50:51], v[46:47]
	s_delay_alu instid0(VALU_DEP_1) | instskip(NEXT) | instid1(VALU_DEP_1)
	v_fma_f64 v[44:45], -v[44:45], v[48:49], v[50:51]
	v_div_fmas_f64 v[44:45], v[44:45], v[46:47], v[48:49]
	s_delay_alu instid0(VALU_DEP_1)
	v_div_fixup_f64 v[56:57], v[44:45], v[10:11], v[42:43]
.LBB42_357:                             ;   in Loop: Header=BB42_5 Depth=1
	s_or_b32 exec_lo, exec_lo, s45
.LBB42_358:                             ;   in Loop: Header=BB42_5 Depth=1
	s_delay_alu instid0(SALU_CYCLE_1)
	s_or_b32 exec_lo, exec_lo, s44
                                        ; implicit-def: $vgpr42_vgpr43
.LBB42_359:                             ;   in Loop: Header=BB42_5 Depth=1
	s_and_not1_saveexec_b32 s44, s3
	s_cbranch_execz .LBB42_361
; %bb.360:                              ;   in Loop: Header=BB42_5 Depth=1
	v_cmp_gt_f64_e64 s3, 0x10000000, |v[4:5]|
	s_delay_alu instid0(VALU_DEP_1) | instskip(NEXT) | instid1(VALU_DEP_1)
	v_cndmask_b32_e64 v1, 0, 0x100, s3
	v_ldexp_f64 v[4:5], |v[4:5]|, v1
	v_add_f64_e32 v[10:11], 1.0, v[42:43]
	v_cndmask_b32_e64 v1, 0, 0xffffff80, s3
	s_delay_alu instid0(VALU_DEP_2) | instskip(NEXT) | instid1(VALU_DEP_1)
	v_mul_f64_e32 v[10:11], 0.5, v[10:11]
	v_cmp_gt_f64_e32 vcc_lo, 0x10000000, v[10:11]
	v_cndmask_b32_e64 v42, 0, 0x100, vcc_lo
	s_delay_alu instid0(VALU_DEP_1) | instskip(SKIP_1) | instid1(VALU_DEP_1)
	v_ldexp_f64 v[10:11], v[10:11], v42
	v_rsq_f64_e32 v[42:43], v[4:5]
	v_rsq_f64_e32 v[44:45], v[10:11]
	v_cmp_class_f64_e64 s3, v[10:11], 0x260
	s_delay_alu instid0(TRANS32_DEP_2) | instskip(SKIP_1) | instid1(TRANS32_DEP_1)
	v_mul_f64_e32 v[46:47], v[4:5], v[42:43]
	v_mul_f64_e32 v[42:43], 0.5, v[42:43]
	v_mul_f64_e32 v[48:49], v[10:11], v[44:45]
	v_mul_f64_e32 v[44:45], 0.5, v[44:45]
	s_delay_alu instid0(VALU_DEP_3) | instskip(NEXT) | instid1(VALU_DEP_2)
	v_fma_f64 v[50:51], -v[42:43], v[46:47], 0.5
	v_fma_f64 v[54:55], -v[44:45], v[48:49], 0.5
	s_delay_alu instid0(VALU_DEP_2) | instskip(SKIP_1) | instid1(VALU_DEP_3)
	v_fmac_f64_e32 v[46:47], v[46:47], v[50:51]
	v_fmac_f64_e32 v[42:43], v[42:43], v[50:51]
	;; [unrolled: 1-line block ×3, first 2 shown]
	s_delay_alu instid0(VALU_DEP_3) | instskip(SKIP_1) | instid1(VALU_DEP_3)
	v_fma_f64 v[50:51], -v[46:47], v[46:47], v[4:5]
	v_fmac_f64_e32 v[44:45], v[44:45], v[54:55]
	v_fma_f64 v[54:55], -v[48:49], v[48:49], v[10:11]
	s_delay_alu instid0(VALU_DEP_3) | instskip(NEXT) | instid1(VALU_DEP_2)
	v_fmac_f64_e32 v[46:47], v[50:51], v[42:43]
	v_fmac_f64_e32 v[48:49], v[54:55], v[44:45]
	s_delay_alu instid0(VALU_DEP_2) | instskip(NEXT) | instid1(VALU_DEP_2)
	v_fma_f64 v[50:51], -v[46:47], v[46:47], v[4:5]
	v_fma_f64 v[54:55], -v[48:49], v[48:49], v[10:11]
	s_delay_alu instid0(VALU_DEP_2) | instskip(NEXT) | instid1(VALU_DEP_2)
	v_fmac_f64_e32 v[46:47], v[50:51], v[42:43]
	v_fmac_f64_e32 v[48:49], v[54:55], v[44:45]
	v_cndmask_b32_e64 v44, 0, 0xffffff80, vcc_lo
	s_delay_alu instid0(VALU_DEP_3) | instskip(SKIP_2) | instid1(VALU_DEP_4)
	v_ldexp_f64 v[42:43], v[46:47], v1
	v_cmp_class_f64_e64 vcc_lo, v[4:5], 0x260
	v_mov_b64_e32 v[54:55], 1.0
	v_ldexp_f64 v[44:45], v[48:49], v44
	s_delay_alu instid0(VALU_DEP_4) | instskip(NEXT) | instid1(VALU_DEP_2)
	v_dual_cndmask_b32 v5, v43, v5 :: v_dual_cndmask_b32 v4, v42, v4
	v_dual_cndmask_b32 v11, v45, v11, s3 :: v_dual_cndmask_b32 v10, v44, v10, s3
	s_delay_alu instid0(VALU_DEP_1)
	v_mul_f64_e32 v[56:57], v[4:5], v[10:11]
.LBB42_361:                             ;   in Loop: Header=BB42_5 Depth=1
	s_or_b32 exec_lo, exec_lo, s44
	s_delay_alu instid0(SALU_CYCLE_1)
	s_mov_b32 s3, exec_lo
.LBB42_362:                             ;   in Loop: Header=BB42_5 Depth=1
	s_or_b32 exec_lo, exec_lo, s43
                                        ; implicit-def: $vgpr42_vgpr43
.LBB42_363:                             ;   in Loop: Header=BB42_5 Depth=1
	s_and_not1_saveexec_b32 s4, s4
	s_cbranch_execz .LBB42_365
; %bb.364:                              ;   in Loop: Header=BB42_5 Depth=1
	v_ldexp_f64 v[56:57], v[42:43], 53
	v_ldexp_f64 v[54:55], |v[2:3]|, 53
	s_or_b32 s3, s3, exec_lo
                                        ; implicit-def: $vgpr52_vgpr53
.LBB42_365:                             ;   in Loop: Header=BB42_5 Depth=1
	s_or_b32 exec_lo, exec_lo, s4
	s_xor_b32 s3, s3, -1
	v_cmp_lt_i64_e32 vcc_lo, -1, v[2:3]
	s_and_saveexec_b32 s4, s3
	s_delay_alu instid0(SALU_CYCLE_1)
	s_xor_b32 s4, exec_lo, s4
	s_cbranch_execz .LBB42_375
; %bb.366:                              ;   in Loop: Header=BB42_5 Depth=1
	s_and_saveexec_b32 s3, vcc_lo
	s_delay_alu instid0(SALU_CYCLE_1)
	s_xor_b32 s43, exec_lo, s3
	s_cbranch_execz .LBB42_370
; %bb.367:                              ;   in Loop: Header=BB42_5 Depth=1
	v_fma_f64 v[4:5], |v[52:53]|, -0.5, 0.5
	v_mul_f64_e32 v[2:3], v[52:53], v[52:53]
	v_cmp_ge_f64_e64 s3, |v[52:53]|, 0.5
	s_delay_alu instid0(VALU_DEP_1) | instskip(NEXT) | instid1(VALU_DEP_1)
	v_dual_cndmask_b32 v3, v3, v5, s3 :: v_dual_cndmask_b32 v2, v2, v4, s3
	v_fmamk_f64 v[10:11], v[2:3], 0x3fa059859fea6a70, v[32:33]
	s_delay_alu instid0(VALU_DEP_1) | instskip(NEXT) | instid1(VALU_DEP_1)
	v_fmaak_f64 v[10:11], v[2:3], v[10:11], 0x3f94052137024d6a
	v_fmaak_f64 v[10:11], v[2:3], v[10:11], 0x3f7ab3a098a70509
	s_delay_alu instid0(VALU_DEP_1) | instskip(NEXT) | instid1(VALU_DEP_1)
	v_fmaak_f64 v[10:11], v[2:3], v[10:11], 0x3f88ed60a300c8d2
	v_fmaak_f64 v[10:11], v[2:3], v[10:11], 0x3f8c6fa84b77012b
	;; [unrolled: 3-line block ×5, first 2 shown]
	s_delay_alu instid0(VALU_DEP_1) | instskip(NEXT) | instid1(VALU_DEP_1)
	v_mul_f64_e32 v[2:3], v[2:3], v[10:11]
	v_fma_f64 v[10:11], v[52:53], v[2:3], v[52:53]
	s_delay_alu instid0(VALU_DEP_1)
	v_fma_f64 v[10:11], s[22:23], s[20:21], -v[10:11]
	s_and_saveexec_b32 s44, s3
	s_cbranch_execz .LBB42_369
; %bb.368:                              ;   in Loop: Header=BB42_5 Depth=1
	v_rsq_f64_e32 v[10:11], v[4:5]
	v_cmp_eq_f64_e64 s3, 0, v[4:5]
	s_delay_alu instid0(TRANS32_DEP_1) | instskip(SKIP_1) | instid1(VALU_DEP_1)
	v_mul_f64_e32 v[42:43], v[4:5], v[10:11]
	v_mul_f64_e32 v[10:11], 0.5, v[10:11]
	v_fma_f64 v[44:45], -v[10:11], v[42:43], 0.5
	s_delay_alu instid0(VALU_DEP_1) | instskip(SKIP_1) | instid1(VALU_DEP_2)
	v_fmac_f64_e32 v[42:43], v[42:43], v[44:45]
	v_fmac_f64_e32 v[10:11], v[10:11], v[44:45]
	v_fma_f64 v[44:45], -v[42:43], v[42:43], v[4:5]
	s_delay_alu instid0(VALU_DEP_1) | instskip(NEXT) | instid1(VALU_DEP_1)
	v_fmac_f64_e32 v[42:43], v[44:45], v[10:11]
	v_dual_cndmask_b32 v11, v43, v5, s3 :: v_dual_cndmask_b32 v10, v42, v4, s3
	s_delay_alu instid0(VALU_DEP_1) | instskip(SKIP_1) | instid1(VALU_DEP_2)
	v_add_f64_e32 v[42:43], v[10:11], v[10:11]
	v_mul_f64_e32 v[44:45], v[10:11], v[10:11]
	v_rcp_f64_e32 v[46:47], v[42:43]
	s_delay_alu instid0(VALU_DEP_1) | instskip(SKIP_1) | instid1(VALU_DEP_2)
	v_add_f64_e64 v[48:49], v[4:5], -v[44:45]
	v_fma_f64 v[54:55], v[10:11], v[10:11], -v[44:45]
	v_add_f64_e64 v[4:5], v[4:5], -v[48:49]
	s_delay_alu instid0(TRANS32_DEP_1) | instskip(NEXT) | instid1(VALU_DEP_2)
	v_fma_f64 v[50:51], -v[42:43], v[46:47], 1.0
	v_add_f64_e64 v[4:5], v[4:5], -v[44:45]
	s_delay_alu instid0(VALU_DEP_2) | instskip(NEXT) | instid1(VALU_DEP_2)
	v_fmac_f64_e32 v[46:47], v[50:51], v[46:47]
	v_add_f64_e64 v[4:5], v[4:5], -v[54:55]
	s_delay_alu instid0(VALU_DEP_2) | instskip(NEXT) | instid1(VALU_DEP_2)
	v_fma_f64 v[44:45], -v[42:43], v[46:47], 1.0
	v_add_f64_e32 v[4:5], v[48:49], v[4:5]
	s_delay_alu instid0(VALU_DEP_2) | instskip(NEXT) | instid1(VALU_DEP_1)
	v_fmac_f64_e32 v[46:47], v[44:45], v[46:47]
	v_mul_f64_e32 v[44:45], v[4:5], v[46:47]
	s_delay_alu instid0(VALU_DEP_1) | instskip(NEXT) | instid1(VALU_DEP_1)
	v_fma_f64 v[4:5], -v[42:43], v[44:45], v[4:5]
	v_fmac_f64_e32 v[44:45], v[4:5], v[46:47]
	s_delay_alu instid0(VALU_DEP_1) | instskip(NEXT) | instid1(VALU_DEP_2)
	v_cndmask_b32_e64 v5, v45, 0, s3
	v_cndmask_b32_e64 v4, v44, 0, s3
	v_cmp_neq_f64_e64 s3, 1.0, v[52:53]
	s_delay_alu instid0(VALU_DEP_2) | instskip(NEXT) | instid1(VALU_DEP_1)
	v_add_f64_e32 v[42:43], v[10:11], v[4:5]
	v_add_f64_e64 v[10:11], v[42:43], -v[10:11]
	s_delay_alu instid0(VALU_DEP_1) | instskip(NEXT) | instid1(VALU_DEP_1)
	v_add_f64_e64 v[4:5], v[4:5], -v[10:11]
	v_fmac_f64_e32 v[4:5], v[42:43], v[2:3]
	s_delay_alu instid0(VALU_DEP_1) | instskip(NEXT) | instid1(VALU_DEP_1)
	v_add_f64_e32 v[2:3], v[42:43], v[4:5]
	v_add_f64_e32 v[2:3], v[2:3], v[2:3]
	s_delay_alu instid0(VALU_DEP_1)
	v_dual_cndmask_b32 v11, 0, v3, s3 :: v_dual_cndmask_b32 v10, 0, v2, s3
.LBB42_369:                             ;   in Loop: Header=BB42_5 Depth=1
	s_or_b32 exec_lo, exec_lo, s44
                                        ; implicit-def: $vgpr52_vgpr53
.LBB42_370:                             ;   in Loop: Header=BB42_5 Depth=1
	s_and_not1_saveexec_b32 s43, s43
	s_cbranch_execz .LBB42_374
; %bb.371:                              ;   in Loop: Header=BB42_5 Depth=1
	v_fma_f64 v[4:5], |v[52:53]|, -0.5, 0.5
	v_mul_f64_e32 v[2:3], v[52:53], v[52:53]
	v_cmp_ge_f64_e64 s3, |v[52:53]|, 0.5
	s_delay_alu instid0(VALU_DEP_1) | instskip(NEXT) | instid1(VALU_DEP_1)
	v_dual_cndmask_b32 v3, v3, v5, s3 :: v_dual_cndmask_b32 v2, v2, v4, s3
	v_fmamk_f64 v[10:11], v[2:3], 0x3fa059859fea6a70, v[32:33]
	s_delay_alu instid0(VALU_DEP_1) | instskip(NEXT) | instid1(VALU_DEP_1)
	v_fmaak_f64 v[10:11], v[2:3], v[10:11], 0x3f94052137024d6a
	v_fmaak_f64 v[10:11], v[2:3], v[10:11], 0x3f7ab3a098a70509
	s_delay_alu instid0(VALU_DEP_1) | instskip(NEXT) | instid1(VALU_DEP_1)
	v_fmaak_f64 v[10:11], v[2:3], v[10:11], 0x3f88ed60a300c8d2
	v_fmaak_f64 v[10:11], v[2:3], v[10:11], 0x3f8c6fa84b77012b
	;; [unrolled: 3-line block ×5, first 2 shown]
	s_delay_alu instid0(VALU_DEP_1) | instskip(NEXT) | instid1(VALU_DEP_1)
	v_mul_f64_e32 v[2:3], v[2:3], v[10:11]
	v_fma_f64 v[10:11], -v[52:53], v[2:3], -v[52:53]
	s_delay_alu instid0(VALU_DEP_1)
	v_fma_f64 v[10:11], s[22:23], s[20:21], -v[10:11]
	s_and_saveexec_b32 s44, s3
	s_cbranch_execz .LBB42_373
; %bb.372:                              ;   in Loop: Header=BB42_5 Depth=1
	v_rsq_f64_e32 v[10:11], v[4:5]
	v_cmp_eq_f64_e64 s3, 0, v[4:5]
	s_delay_alu instid0(TRANS32_DEP_1) | instskip(SKIP_1) | instid1(VALU_DEP_1)
	v_mul_f64_e32 v[42:43], v[4:5], v[10:11]
	v_mul_f64_e32 v[10:11], 0.5, v[10:11]
	v_fma_f64 v[44:45], -v[10:11], v[42:43], 0.5
	s_delay_alu instid0(VALU_DEP_1) | instskip(SKIP_1) | instid1(VALU_DEP_2)
	v_fmac_f64_e32 v[42:43], v[42:43], v[44:45]
	v_fmac_f64_e32 v[10:11], v[10:11], v[44:45]
	v_fma_f64 v[44:45], -v[42:43], v[42:43], v[4:5]
	s_delay_alu instid0(VALU_DEP_1) | instskip(NEXT) | instid1(VALU_DEP_1)
	v_fmac_f64_e32 v[42:43], v[44:45], v[10:11]
	v_dual_cndmask_b32 v11, v43, v5, s3 :: v_dual_cndmask_b32 v10, v42, v4, s3
	s_delay_alu instid0(VALU_DEP_1) | instskip(SKIP_1) | instid1(VALU_DEP_2)
	v_add_f64_e32 v[42:43], v[10:11], v[10:11]
	v_mul_f64_e32 v[44:45], v[10:11], v[10:11]
	v_rcp_f64_e32 v[46:47], v[42:43]
	s_delay_alu instid0(VALU_DEP_1) | instskip(SKIP_1) | instid1(VALU_DEP_2)
	v_add_f64_e64 v[48:49], v[4:5], -v[44:45]
	v_fma_f64 v[54:55], v[10:11], v[10:11], -v[44:45]
	v_add_f64_e64 v[4:5], v[4:5], -v[48:49]
	s_delay_alu instid0(TRANS32_DEP_1) | instskip(NEXT) | instid1(VALU_DEP_2)
	v_fma_f64 v[50:51], -v[42:43], v[46:47], 1.0
	v_add_f64_e64 v[4:5], v[4:5], -v[44:45]
	s_delay_alu instid0(VALU_DEP_2) | instskip(NEXT) | instid1(VALU_DEP_2)
	v_fmac_f64_e32 v[46:47], v[50:51], v[46:47]
	v_add_f64_e64 v[4:5], v[4:5], -v[54:55]
	s_delay_alu instid0(VALU_DEP_2) | instskip(NEXT) | instid1(VALU_DEP_2)
	v_fma_f64 v[44:45], -v[42:43], v[46:47], 1.0
	v_add_f64_e32 v[4:5], v[48:49], v[4:5]
	s_delay_alu instid0(VALU_DEP_2) | instskip(NEXT) | instid1(VALU_DEP_1)
	v_fmac_f64_e32 v[46:47], v[44:45], v[46:47]
	v_mul_f64_e32 v[44:45], v[4:5], v[46:47]
	s_delay_alu instid0(VALU_DEP_1) | instskip(NEXT) | instid1(VALU_DEP_1)
	v_fma_f64 v[4:5], -v[42:43], v[44:45], v[4:5]
	v_fmac_f64_e32 v[44:45], v[4:5], v[46:47]
	s_delay_alu instid0(VALU_DEP_1) | instskip(NEXT) | instid1(VALU_DEP_2)
	v_cndmask_b32_e64 v5, v45, 0, s3
	v_cndmask_b32_e64 v4, v44, 0, s3
	v_cmp_lt_f64_e64 s3, 0, v[52:53]
	s_delay_alu instid0(VALU_DEP_2) | instskip(NEXT) | instid1(VALU_DEP_1)
	v_add_f64_e32 v[42:43], v[10:11], v[4:5]
	v_add_f64_e64 v[10:11], v[42:43], -v[10:11]
	s_delay_alu instid0(VALU_DEP_1) | instskip(SKIP_1) | instid1(VALU_DEP_2)
	v_add_f64_e64 v[4:5], v[4:5], -v[10:11]
	v_fma_f64 v[10:11], v[42:43], v[2:3], v[42:43]
	v_fmac_f64_e32 v[4:5], v[42:43], v[2:3]
	s_delay_alu instid0(VALU_DEP_2) | instskip(NEXT) | instid1(VALU_DEP_2)
	v_mul_f64_e32 v[2:3], -2.0, v[10:11]
	v_add_f64_e32 v[4:5], v[42:43], v[4:5]
	s_delay_alu instid0(VALU_DEP_2) | instskip(NEXT) | instid1(VALU_DEP_2)
	v_fmac_f64_e64 v[2:3], s[24:25], s[20:21]
	v_add_f64_e32 v[4:5], v[4:5], v[4:5]
	s_delay_alu instid0(VALU_DEP_1) | instskip(SKIP_1) | instid1(VALU_DEP_1)
	v_dual_cndmask_b32 v1, v4, v2, s3 :: v_dual_cndmask_b32 v2, v5, v3, s3
	v_cmp_neq_f64_e64 s3, 1.0, v[52:53]
	v_cndmask_b32_e64 v11, 0x400921fb, v2, s3
	s_delay_alu instid0(VALU_DEP_3)
	v_cndmask_b32_e64 v10, 0x54442d18, v1, s3
.LBB42_373:                             ;   in Loop: Header=BB42_5 Depth=1
	s_or_b32 exec_lo, exec_lo, s44
.LBB42_374:                             ;   in Loop: Header=BB42_5 Depth=1
	s_delay_alu instid0(SALU_CYCLE_1)
	s_or_b32 exec_lo, exec_lo, s43
                                        ; implicit-def: $vgpr54_vgpr55
                                        ; implicit-def: $vgpr56_vgpr57
.LBB42_375:                             ;   in Loop: Header=BB42_5 Depth=1
	s_and_not1_saveexec_b32 s43, s4
	s_cbranch_execz .LBB42_381
; %bb.376:                              ;   in Loop: Header=BB42_5 Depth=1
	s_and_saveexec_b32 s3, vcc_lo
	s_delay_alu instid0(SALU_CYCLE_1)
	s_xor_b32 s44, exec_lo, s3
	s_cbranch_execz .LBB42_378
; %bb.377:                              ;   in Loop: Header=BB42_5 Depth=1
	s_delay_alu instid0(VALU_DEP_2) | instskip(NEXT) | instid1(VALU_DEP_3)
	v_max_num_f64_e64 v[2:3], |v[56:57]|, |v[56:57]|
	v_max_num_f64_e32 v[4:5], v[54:55], v[54:55]
	v_cmp_eq_f64_e64 s3, 0, v[56:57]
	v_cmp_class_f64_e64 s45, v[56:57], 0x204
	v_cmp_eq_f64_e64 s4, 0x7ff00000, v[54:55]
	v_ashrrev_i32_e32 v1, 31, v55
	v_max_num_f64_e32 v[10:11], v[4:5], v[2:3]
	v_min_num_f64_e32 v[2:3], v[4:5], v[2:3]
	s_delay_alu instid0(VALU_DEP_1) | instskip(SKIP_1) | instid1(VALU_DEP_2)
	v_div_scale_f64 v[4:5], null, v[10:11], v[10:11], v[2:3]
	v_div_scale_f64 v[46:47], vcc_lo, v[2:3], v[10:11], v[2:3]
	v_rcp_f64_e32 v[42:43], v[4:5]
	v_nop
	s_delay_alu instid0(TRANS32_DEP_1) | instskip(NEXT) | instid1(VALU_DEP_1)
	v_fma_f64 v[44:45], -v[4:5], v[42:43], 1.0
	v_fmac_f64_e32 v[42:43], v[42:43], v[44:45]
	s_delay_alu instid0(VALU_DEP_1) | instskip(NEXT) | instid1(VALU_DEP_1)
	v_fma_f64 v[44:45], -v[4:5], v[42:43], 1.0
	v_fmac_f64_e32 v[42:43], v[42:43], v[44:45]
	s_delay_alu instid0(VALU_DEP_1) | instskip(NEXT) | instid1(VALU_DEP_1)
	v_mul_f64_e32 v[44:45], v[46:47], v[42:43]
	v_fma_f64 v[4:5], -v[4:5], v[44:45], v[46:47]
	s_delay_alu instid0(VALU_DEP_1) | instskip(SKIP_1) | instid1(VALU_DEP_2)
	v_div_fmas_f64 v[4:5], v[4:5], v[42:43], v[44:45]
	v_cmp_lt_f64_e64 vcc_lo, v[54:55], |v[56:57]|
	v_div_fixup_f64 v[2:3], v[4:5], v[10:11], v[2:3]
	s_delay_alu instid0(VALU_DEP_1) | instskip(NEXT) | instid1(VALU_DEP_1)
	v_mul_f64_e32 v[4:5], v[2:3], v[2:3]
	v_fmamk_f64 v[10:11], v[4:5], 0x3eeba404b5e68a13, v[36:37]
	s_delay_alu instid0(VALU_DEP_1) | instskip(NEXT) | instid1(VALU_DEP_1)
	v_fmaak_f64 v[10:11], v[4:5], v[10:11], 0x3f4b2bb069efb384
	v_fmaak_f64 v[10:11], v[4:5], v[10:11], 0xbf67952daf56de9b
	s_delay_alu instid0(VALU_DEP_1) | instskip(NEXT) | instid1(VALU_DEP_1)
	v_fmaak_f64 v[10:11], v[4:5], v[10:11], 0x3f7d6d43a595c56f
	v_fmaak_f64 v[10:11], v[4:5], v[10:11], 0xbf8c6ea4a57d9582
	;; [unrolled: 3-line block ×9, first 2 shown]
	s_delay_alu instid0(VALU_DEP_1) | instskip(SKIP_2) | instid1(VALU_DEP_3)
	v_mul_f64_e32 v[4:5], v[4:5], v[10:11]
	v_and_b32_e32 v11, 0x54442d18, v1
	v_and_b32_e32 v1, 0x400921fb, v1
	v_fmac_f64_e32 v[2:3], v[2:3], v[4:5]
	s_delay_alu instid0(VALU_DEP_1) | instskip(NEXT) | instid1(VALU_DEP_1)
	v_add_f64_e64 v[4:5], -v[2:3], s[26:27]
	v_dual_cndmask_b32 v3, v3, v5 :: v_dual_cndmask_b32 v2, v2, v4
	v_cmp_gt_i32_e32 vcc_lo, 0, v55
                                        ; implicit-def: $vgpr54_vgpr55
	s_delay_alu instid0(VALU_DEP_2) | instskip(SKIP_1) | instid1(VALU_DEP_2)
	v_add_f64_e64 v[4:5], -v[2:3], s[28:29]
	v_cndmask_b32_e32 v10, 0x54442d18, v59, vcc_lo
	v_dual_cndmask_b32 v3, v3, v5 :: v_dual_cndmask_b32 v2, v2, v4
	v_cndmask_b32_e32 v4, 0x3fe921fb, v60, vcc_lo
	s_and_b32 vcc_lo, s4, s45
	s_delay_alu instid0(VALU_DEP_2) | instskip(NEXT) | instid1(VALU_DEP_1)
	v_dual_cndmask_b32 v1, v3, v1, s3 :: v_dual_cndmask_b32 v2, v2, v11, s3
	v_dual_cndmask_b32 v1, v1, v4 :: v_dual_cndmask_b32 v2, v2, v10
	v_cmp_o_f64_e32 vcc_lo, v[56:57], v[56:57]
	s_delay_alu instid0(VALU_DEP_2) | instskip(NEXT) | instid1(VALU_DEP_3)
	v_cndmask_b32_e32 v1, 0x7ff80000, v1, vcc_lo
	v_cndmask_b32_e32 v10, 0, v2, vcc_lo
	s_delay_alu instid0(VALU_DEP_2)
	v_bfi_b32 v11, 0x7fffffff, v1, v57
                                        ; implicit-def: $vgpr56_vgpr57
.LBB42_378:                             ;   in Loop: Header=BB42_5 Depth=1
	s_and_not1_saveexec_b32 s44, s44
	s_cbranch_execz .LBB42_380
; %bb.379:                              ;   in Loop: Header=BB42_5 Depth=1
	s_delay_alu instid0(VALU_DEP_2) | instskip(NEXT) | instid1(VALU_DEP_3)
	v_max_num_f64_e64 v[2:3], |v[56:57]|, |v[56:57]|
	v_xor_b32_e32 v1, 0x80000000, v55
	s_delay_alu instid0(VALU_DEP_4) | instskip(SKIP_3) | instid1(VALU_DEP_4)
	v_max_num_f64_e32 v[4:5], v[54:55], v[54:55]
	v_cmp_eq_f64_e64 s3, 0, v[56:57]
	v_cmp_class_f64_e64 s45, v[56:57], 0x204
	v_cmp_eq_f64_e64 s4, 0x7ff00000, v[54:55]
	v_max_num_f64_e32 v[10:11], v[4:5], v[2:3]
	v_min_num_f64_e32 v[2:3], v[4:5], v[2:3]
	s_delay_alu instid0(VALU_DEP_1) | instskip(SKIP_1) | instid1(VALU_DEP_2)
	v_div_scale_f64 v[4:5], null, v[10:11], v[10:11], v[2:3]
	v_div_scale_f64 v[46:47], vcc_lo, v[2:3], v[10:11], v[2:3]
	v_rcp_f64_e32 v[42:43], v[4:5]
	v_nop
	s_delay_alu instid0(TRANS32_DEP_1) | instskip(NEXT) | instid1(VALU_DEP_1)
	v_fma_f64 v[44:45], -v[4:5], v[42:43], 1.0
	v_fmac_f64_e32 v[42:43], v[42:43], v[44:45]
	s_delay_alu instid0(VALU_DEP_1) | instskip(NEXT) | instid1(VALU_DEP_1)
	v_fma_f64 v[44:45], -v[4:5], v[42:43], 1.0
	v_fmac_f64_e32 v[42:43], v[42:43], v[44:45]
	s_delay_alu instid0(VALU_DEP_1) | instskip(NEXT) | instid1(VALU_DEP_1)
	v_mul_f64_e32 v[44:45], v[46:47], v[42:43]
	v_fma_f64 v[4:5], -v[4:5], v[44:45], v[46:47]
	s_delay_alu instid0(VALU_DEP_1) | instskip(SKIP_1) | instid1(VALU_DEP_2)
	v_div_fmas_f64 v[4:5], v[4:5], v[42:43], v[44:45]
	v_cmp_lt_f64_e64 vcc_lo, v[54:55], |v[56:57]|
	v_div_fixup_f64 v[2:3], v[4:5], v[10:11], v[2:3]
	s_delay_alu instid0(VALU_DEP_1) | instskip(NEXT) | instid1(VALU_DEP_1)
	v_mul_f64_e32 v[4:5], v[2:3], v[2:3]
	v_fmamk_f64 v[10:11], v[4:5], 0x3eeba404b5e68a13, v[36:37]
	s_delay_alu instid0(VALU_DEP_1) | instskip(NEXT) | instid1(VALU_DEP_1)
	v_fmaak_f64 v[10:11], v[4:5], v[10:11], 0x3f4b2bb069efb384
	v_fmaak_f64 v[10:11], v[4:5], v[10:11], 0xbf67952daf56de9b
	s_delay_alu instid0(VALU_DEP_1) | instskip(NEXT) | instid1(VALU_DEP_1)
	v_fmaak_f64 v[10:11], v[4:5], v[10:11], 0x3f7d6d43a595c56f
	v_fmaak_f64 v[10:11], v[4:5], v[10:11], 0xbf8c6ea4a57d9582
	;; [unrolled: 3-line block ×9, first 2 shown]
	s_delay_alu instid0(VALU_DEP_1) | instskip(NEXT) | instid1(VALU_DEP_1)
	v_dual_mul_f64 v[4:5], v[4:5], v[10:11] :: v_dual_ashrrev_i32 v10, 31, v1
	v_and_b32_e32 v11, 0x54442d18, v10
	s_delay_alu instid0(VALU_DEP_2) | instskip(NEXT) | instid1(VALU_DEP_1)
	v_fmac_f64_e32 v[2:3], v[2:3], v[4:5]
	v_add_f64_e64 v[4:5], -v[2:3], s[26:27]
	s_delay_alu instid0(VALU_DEP_1) | instskip(SKIP_1) | instid1(VALU_DEP_2)
	v_dual_cndmask_b32 v3, v3, v5 :: v_dual_cndmask_b32 v2, v2, v4
	v_cmp_gt_i32_e32 vcc_lo, 0, v1
	v_add_f64_e64 v[4:5], -v[2:3], s[28:29]
	v_cndmask_b32_e32 v1, 0x54442d18, v59, vcc_lo
	s_delay_alu instid0(VALU_DEP_2) | instskip(SKIP_3) | instid1(VALU_DEP_2)
	v_dual_cndmask_b32 v3, v3, v5 :: v_dual_cndmask_b32 v2, v2, v4
	v_and_b32_e32 v4, 0x400921fb, v10
	v_cndmask_b32_e32 v5, 0x3fe921fb, v60, vcc_lo
	s_and_b32 vcc_lo, s4, s45
	v_dual_cndmask_b32 v3, v3, v4, s3 :: v_dual_cndmask_b32 v2, v2, v11, s3
	s_delay_alu instid0(VALU_DEP_1) | instskip(NEXT) | instid1(VALU_DEP_2)
	v_cndmask_b32_e32 v3, v3, v5, vcc_lo
	v_cndmask_b32_e32 v1, v2, v1, vcc_lo
	v_cmp_o_f64_e32 vcc_lo, v[56:57], v[56:57]
	s_delay_alu instid0(VALU_DEP_2) | instskip(NEXT) | instid1(VALU_DEP_4)
	v_cndmask_b32_e32 v10, 0, v1, vcc_lo
	v_cndmask_b32_e32 v1, 0x7ff80000, v3, vcc_lo
	s_delay_alu instid0(VALU_DEP_1)
	v_bfi_b32 v11, 0x7fffffff, v1, v57
.LBB42_380:                             ;   in Loop: Header=BB42_5 Depth=1
	s_or_b32 exec_lo, exec_lo, s44
.LBB42_381:                             ;   in Loop: Header=BB42_5 Depth=1
	s_delay_alu instid0(SALU_CYCLE_1) | instskip(SKIP_1) | instid1(VALU_DEP_1)
	s_or_b32 exec_lo, exec_lo, s43
	v_xor_b32_e32 v1, 0x80000000, v13
                                        ; implicit-def: $vgpr2_vgpr3
	v_cndmask_b32_e64 v13, v1, v13, s2
.LBB42_382:                             ;   in Loop: Header=BB42_5 Depth=1
	s_and_not1_saveexec_b32 s3, s42
	s_cbranch_execz .LBB42_384
; %bb.383:                              ;   in Loop: Header=BB42_5 Depth=1
	flat_load_b64 v[4:5], v[26:27] scope:SCOPE_SYS
	s_wait_loadcnt_dscnt 0x0
	v_add_f64_e64 v[2:3], v[4:5], -v[2:3]
	s_delay_alu instid0(VALU_DEP_1)
	v_add_f64_e32 v[10:11], 0x3ff921fb54442d18, v[2:3]
.LBB42_384:                             ;   in Loop: Header=BB42_5 Depth=1
	s_or_b32 exec_lo, exec_lo, s3
.LBB42_385:                             ;   in Loop: Header=BB42_5 Depth=1
	s_and_not1_saveexec_b32 s3, s41
; %bb.386:                              ;   in Loop: Header=BB42_5 Depth=1
	v_mov_b64_e32 v[10:11], 0
; %bb.387:                              ;   in Loop: Header=BB42_5 Depth=1
	s_or_b32 exec_lo, exec_lo, s3
                                        ; implicit-def: $vgpr2_vgpr3
                                        ; implicit-def: $vgpr44_vgpr45
                                        ; implicit-def: $vgpr46_vgpr47
                                        ; implicit-def: $vgpr42_vgpr43
.LBB42_388:                             ;   in Loop: Header=BB42_5 Depth=1
	s_and_not1_saveexec_b32 s40, s40
	s_cbranch_execz .LBB42_398
; %bb.389:                              ;   in Loop: Header=BB42_5 Depth=1
	v_cmp_lt_f64_e64 s3, |v[2:3]|, |v[4:5]|
	s_wait_dscnt 0x0
	v_and_b32_e32 v1, 0x7fffffff, v3
	v_and_b32_e32 v50, 0x7fffffff, v5
                                        ; implicit-def: $sgpr41
                                        ; implicit-def: $vgpr12_vgpr13
                                        ; implicit-def: $vgpr10_vgpr11
	s_mov_b32 s4, exec_lo
	s_delay_alu instid0(VALU_DEP_1) | instskip(NEXT) | instid1(VALU_DEP_1)
	v_dual_cndmask_b32 v49, v1, v50, s3 :: v_dual_cndmask_b32 v48, v2, v4, s3
	v_cmpx_nlt_f64_e32 s[30:31], v[48:49]
	s_xor_b32 s42, exec_lo, s4
	s_cbranch_execz .LBB42_395
; %bb.390:                              ;   in Loop: Header=BB42_5 Depth=1
	v_dual_cndmask_b32 v51, v50, v1, s3 :: v_dual_cndmask_b32 v50, v4, v2, s3
	v_cmp_nlt_f64_e32 vcc_lo, 0x20200000, v[48:49]
                                        ; implicit-def: $sgpr41
                                        ; implicit-def: $vgpr12_vgpr13
                                        ; implicit-def: $vgpr10_vgpr11
	s_delay_alu instid0(VALU_DEP_2) | instskip(SKIP_1) | instid1(SALU_CYCLE_1)
	v_cmp_ngt_f64_e64 s4, 0x20000000, v[50:51]
	s_and_b32 s4, vcc_lo, s4
	s_and_saveexec_b32 s43, s4
	s_delay_alu instid0(SALU_CYCLE_1)
	s_xor_b32 s4, exec_lo, s43
	s_cbranch_execz .LBB42_392
; %bb.391:                              ;   in Loop: Header=BB42_5 Depth=1
	v_mul_f64_e32 v[12:13], v[50:51], v[50:51]
	v_min_num_f64_e32 v[44:45], v[44:45], v[46:47]
	v_cmp_class_f64_e64 s41, v[4:5], 0x204
	v_cmp_class_f64_e64 s43, v[2:3], 0x204
	s_delay_alu instid0(VALU_DEP_4) | instskip(SKIP_1) | instid1(VALU_DEP_1)
	v_fmac_f64_e32 v[12:13], v[48:49], v[48:49]
	s_and_b32 s41, s43, s41
	v_frexp_mant_f64_e32 v[10:11], v[12:13]
	s_delay_alu instid0(VALU_DEP_1) | instskip(SKIP_1) | instid1(VALU_DEP_1)
	v_cmp_gt_f64_e32 vcc_lo, s[14:15], v[10:11]
	v_cndmask_b32_e64 v1, 0, 1, vcc_lo
	v_ldexp_f64 v[10:11], v[10:11], v1
	v_frexp_exp_i32_f64_e32 v1, v[12:13]
	s_delay_alu instid0(VALU_DEP_2) | instskip(SKIP_1) | instid1(VALU_DEP_3)
	v_add_f64_e32 v[48:49], 1.0, v[10:11]
	v_add_f64_e32 v[54:55], -1.0, v[10:11]
	v_subrev_co_ci_u32_e64 v1, null, 0, v1, vcc_lo
	v_div_scale_f64 v[68:69], vcc_lo, v[44:45], v[42:43], v[44:45]
	s_delay_alu instid0(VALU_DEP_4) | instskip(SKIP_1) | instid1(VALU_DEP_1)
	v_rcp_f64_e32 v[50:51], v[48:49]
	v_add_f64_e32 v[56:57], -1.0, v[48:49]
	v_add_f64_e64 v[10:11], v[10:11], -v[56:57]
	s_delay_alu instid0(TRANS32_DEP_1) | instskip(NEXT) | instid1(VALU_DEP_1)
	v_fma_f64 v[52:53], -v[48:49], v[50:51], 1.0
	v_fmac_f64_e32 v[50:51], v[52:53], v[50:51]
	s_delay_alu instid0(VALU_DEP_1) | instskip(NEXT) | instid1(VALU_DEP_1)
	v_fma_f64 v[52:53], -v[48:49], v[50:51], 1.0
	v_fmac_f64_e32 v[50:51], v[52:53], v[50:51]
	s_delay_alu instid0(VALU_DEP_1) | instskip(NEXT) | instid1(VALU_DEP_1)
	v_mul_f64_e32 v[52:53], v[54:55], v[50:51]
	v_mul_f64_e32 v[62:63], v[48:49], v[52:53]
	s_delay_alu instid0(VALU_DEP_1) | instskip(NEXT) | instid1(VALU_DEP_1)
	v_fma_f64 v[48:49], v[52:53], v[48:49], -v[62:63]
	v_fmac_f64_e32 v[48:49], v[52:53], v[10:11]
	s_delay_alu instid0(VALU_DEP_1) | instskip(NEXT) | instid1(VALU_DEP_1)
	v_add_f64_e32 v[10:11], v[62:63], v[48:49]
	v_add_f64_e64 v[56:57], v[54:55], -v[10:11]
	v_add_f64_e64 v[62:63], v[10:11], -v[62:63]
	s_delay_alu instid0(VALU_DEP_2) | instskip(NEXT) | instid1(VALU_DEP_2)
	v_add_f64_e64 v[54:55], v[54:55], -v[56:57]
	v_add_f64_e64 v[48:49], v[62:63], -v[48:49]
	s_delay_alu instid0(VALU_DEP_2) | instskip(NEXT) | instid1(VALU_DEP_1)
	v_add_f64_e64 v[10:11], v[54:55], -v[10:11]
	v_add_f64_e32 v[10:11], v[48:49], v[10:11]
	s_delay_alu instid0(VALU_DEP_1) | instskip(NEXT) | instid1(VALU_DEP_1)
	v_add_f64_e32 v[10:11], v[56:57], v[10:11]
	v_mul_f64_e32 v[10:11], v[50:51], v[10:11]
	s_delay_alu instid0(VALU_DEP_1) | instskip(NEXT) | instid1(VALU_DEP_1)
	v_add_f64_e32 v[48:49], v[52:53], v[10:11]
	v_mul_f64_e32 v[50:51], v[48:49], v[48:49]
	v_ldexp_f64 v[46:47], v[48:49], 1
	s_delay_alu instid0(VALU_DEP_2) | instskip(SKIP_2) | instid1(VALU_DEP_3)
	v_fmamk_f64 v[54:55], v[50:51], 0x3fc3ab76bf559e2b, v[28:29]
	v_mul_f64_e32 v[56:57], v[48:49], v[50:51]
	v_add_f64_e64 v[48:49], v[48:49], -v[52:53]
	v_fmaak_f64 v[54:55], v[50:51], v[54:55], 0x3fc7474dd7f4df2e
	s_delay_alu instid0(VALU_DEP_1) | instskip(NEXT) | instid1(VALU_DEP_1)
	v_fmaak_f64 v[54:55], v[50:51], v[54:55], 0x3fcc71c016291751
	v_fmaak_f64 v[54:55], v[50:51], v[54:55], 0x3fd249249b27acf1
	s_delay_alu instid0(VALU_DEP_1) | instskip(SKIP_1) | instid1(VALU_DEP_2)
	v_fmaak_f64 v[54:55], v[50:51], v[54:55], 0x3fd99999998ef7b6
	v_add_f64_e64 v[10:11], v[10:11], -v[48:49]
	v_fmaak_f64 v[50:51], v[50:51], v[54:55], 0x3fe5555555555780
	v_div_scale_f64 v[54:55], null, v[42:43], v[42:43], v[44:45]
	s_delay_alu instid0(VALU_DEP_2) | instskip(SKIP_2) | instid1(VALU_DEP_4)
	v_mul_f64_e32 v[50:51], v[56:57], v[50:51]
	v_cvt_f64_i32_e32 v[56:57], v1
	v_ldexp_f64 v[10:11], v[10:11], 1
	v_rcp_f64_e32 v[62:63], v[54:55]
	s_delay_alu instid0(VALU_DEP_3) | instskip(NEXT) | instid1(VALU_DEP_3)
	v_add_f64_e32 v[52:53], v[46:47], v[50:51]
	v_mul_f64_e32 v[64:65], 0x3fe62e42fefa39ef, v[56:57]
	s_delay_alu instid0(VALU_DEP_2) | instskip(NEXT) | instid1(VALU_DEP_2)
	v_add_f64_e64 v[46:47], v[52:53], -v[46:47]
	v_fma_f64 v[48:49], v[56:57], s[16:17], -v[64:65]
	s_delay_alu instid0(VALU_DEP_2) | instskip(NEXT) | instid1(TRANS32_DEP_1)
	v_add_f64_e64 v[46:47], v[50:51], -v[46:47]
	v_fma_f64 v[50:51], -v[54:55], v[62:63], 1.0
	s_delay_alu instid0(VALU_DEP_3) | instskip(NEXT) | instid1(VALU_DEP_3)
	v_fmac_f64_e32 v[48:49], 0x3c7abc9e3b39803f, v[56:57]
	v_add_f64_e32 v[10:11], v[10:11], v[46:47]
	s_delay_alu instid0(VALU_DEP_3) | instskip(NEXT) | instid1(VALU_DEP_3)
	v_fmac_f64_e32 v[62:63], v[62:63], v[50:51]
	v_add_f64_e32 v[46:47], v[64:65], v[48:49]
	s_delay_alu instid0(VALU_DEP_3) | instskip(NEXT) | instid1(VALU_DEP_3)
	v_add_f64_e32 v[50:51], v[52:53], v[10:11]
	v_fma_f64 v[56:57], -v[54:55], v[62:63], 1.0
	s_delay_alu instid0(VALU_DEP_3) | instskip(NEXT) | instid1(VALU_DEP_3)
	v_add_f64_e64 v[64:65], v[46:47], -v[64:65]
	v_add_f64_e32 v[66:67], v[46:47], v[50:51]
	s_delay_alu instid0(VALU_DEP_3) | instskip(SKIP_1) | instid1(VALU_DEP_4)
	v_fmac_f64_e32 v[62:63], v[62:63], v[56:57]
	v_add_f64_e64 v[52:53], v[50:51], -v[52:53]
	v_add_f64_e64 v[48:49], v[48:49], -v[64:65]
	s_delay_alu instid0(VALU_DEP_4) | instskip(NEXT) | instid1(VALU_DEP_4)
	v_add_f64_e64 v[56:57], v[66:67], -v[46:47]
	v_mul_f64_e32 v[70:71], v[68:69], v[62:63]
	s_delay_alu instid0(VALU_DEP_4) | instskip(NEXT) | instid1(VALU_DEP_3)
	v_add_f64_e64 v[52:53], v[10:11], -v[52:53]
	v_add_f64_e64 v[72:73], v[66:67], -v[56:57]
	s_delay_alu instid0(VALU_DEP_3) | instskip(SKIP_1) | instid1(VALU_DEP_3)
	v_fma_f64 v[54:55], -v[54:55], v[70:71], v[68:69]
	v_add_f64_e64 v[10:11], v[50:51], -v[56:57]
	v_add_f64_e64 v[46:47], v[46:47], -v[72:73]
	s_delay_alu instid0(VALU_DEP_3) | instskip(SKIP_2) | instid1(VALU_DEP_4)
	v_div_fmas_f64 v[50:51], v[54:55], v[62:63], v[70:71]
	v_add_f64_e32 v[54:55], v[48:49], v[52:53]
	v_cmp_class_f64_e64 vcc_lo, v[12:13], 0x204
	v_add_f64_e32 v[46:47], v[10:11], v[46:47]
	s_delay_alu instid0(VALU_DEP_4) | instskip(NEXT) | instid1(VALU_DEP_4)
	v_div_fixup_f64 v[10:11], v[50:51], v[42:43], v[44:45]
	v_add_f64_e64 v[42:43], v[54:55], -v[48:49]
	s_delay_alu instid0(VALU_DEP_3) | instskip(NEXT) | instid1(VALU_DEP_3)
	v_add_f64_e32 v[44:45], v[54:55], v[46:47]
	v_mul_f64_e32 v[46:47], v[10:11], v[10:11]
	s_delay_alu instid0(VALU_DEP_3) | instskip(SKIP_1) | instid1(VALU_DEP_4)
	v_add_f64_e64 v[50:51], v[54:55], -v[42:43]
	v_add_f64_e64 v[42:43], v[52:53], -v[42:43]
	v_add_f64_e32 v[54:55], v[66:67], v[44:45]
	s_delay_alu instid0(VALU_DEP_4) | instskip(NEXT) | instid1(VALU_DEP_4)
	v_fmamk_f64 v[56:57], v[46:47], 0x3eeba404b5e68a13, v[36:37]
	v_add_f64_e64 v[48:49], v[48:49], -v[50:51]
	s_delay_alu instid0(VALU_DEP_2) | instskip(NEXT) | instid1(VALU_DEP_1)
	v_fmaak_f64 v[56:57], v[46:47], v[56:57], 0x3f4b2bb069efb384
	v_fmaak_f64 v[56:57], v[46:47], v[56:57], 0xbf67952daf56de9b
	s_delay_alu instid0(VALU_DEP_1) | instskip(NEXT) | instid1(VALU_DEP_1)
	v_fmaak_f64 v[56:57], v[46:47], v[56:57], 0x3f7d6d43a595c56f
	v_fmaak_f64 v[52:53], v[46:47], v[56:57], 0xbf8c6ea4a57d9582
	v_add_f64_e64 v[50:51], v[54:55], -v[66:67]
	v_add_f64_e32 v[42:43], v[42:43], v[48:49]
	s_delay_alu instid0(VALU_DEP_3) | instskip(NEXT) | instid1(VALU_DEP_1)
	v_fmaak_f64 v[52:53], v[46:47], v[52:53], 0x3f967e295f08b19f
	v_fmaak_f64 v[52:53], v[46:47], v[52:53], 0xbf9e9ae6fc27006a
	s_delay_alu instid0(VALU_DEP_1) | instskip(NEXT) | instid1(VALU_DEP_1)
	v_fmaak_f64 v[52:53], v[46:47], v[52:53], 0x3fa2c15b5711927a
	v_fmaak_f64 v[52:53], v[46:47], v[52:53], 0xbfa59976e82d3ff0
	s_delay_alu instid0(VALU_DEP_1) | instskip(SKIP_1) | instid1(VALU_DEP_2)
	v_fmaak_f64 v[48:49], v[46:47], v[52:53], 0x3fa82d5d6ef28734
	v_add_f64_e64 v[44:45], v[44:45], -v[50:51]
	v_fmaak_f64 v[48:49], v[46:47], v[48:49], 0xbfaae5ce6a214619
	s_delay_alu instid0(VALU_DEP_1) | instskip(NEXT) | instid1(VALU_DEP_1)
	v_fmaak_f64 v[48:49], v[46:47], v[48:49], 0x3fae1bb48427b883
	v_fmaak_f64 v[48:49], v[46:47], v[48:49], 0xbfb110e48b207f05
	s_delay_alu instid0(VALU_DEP_4) | instskip(NEXT) | instid1(VALU_DEP_2)
	v_add_f64_e32 v[42:43], v[42:43], v[44:45]
	v_fmaak_f64 v[44:45], v[46:47], v[48:49], 0x3fb3b13657b87036
	s_delay_alu instid0(VALU_DEP_1) | instskip(NEXT) | instid1(VALU_DEP_1)
	v_fmaak_f64 v[44:45], v[46:47], v[44:45], 0xbfb745d119378e4f
	v_fmaak_f64 v[44:45], v[46:47], v[44:45], 0x3fbc71c717e1913c
	s_delay_alu instid0(VALU_DEP_1) | instskip(NEXT) | instid1(VALU_DEP_1)
	v_fmaak_f64 v[44:45], v[46:47], v[44:45], 0xbfc2492492376b7d
	v_fmaak_f64 v[44:45], v[46:47], v[44:45], 0x3fc99999999952cc
	v_add_f64_e32 v[42:43], v[54:55], v[42:43]
	s_delay_alu instid0(VALU_DEP_2) | instskip(NEXT) | instid1(VALU_DEP_1)
	v_fmaak_f64 v[44:45], v[46:47], v[44:45], 0xbfd5555555555523
	v_mul_f64_e32 v[44:45], v[46:47], v[44:45]
                                        ; implicit-def: $vgpr46_vgpr47
	s_delay_alu instid0(VALU_DEP_3) | instskip(SKIP_1) | instid1(VALU_DEP_2)
	v_dual_cndmask_b32 v43, v43, v13 :: v_dual_cndmask_b32 v42, v42, v12
	v_cmp_neq_f64_e32 vcc_lo, 0, v[12:13]
	v_mul_f64_e32 v[42:43], 0.5, v[42:43]
	s_delay_alu instid0(VALU_DEP_4) | instskip(NEXT) | instid1(VALU_DEP_2)
	v_fmac_f64_e32 v[10:11], v[10:11], v[44:45]
                                        ; implicit-def: $vgpr44_vgpr45
	v_cndmask_b32_e32 v13, 0xfff00000, v43, vcc_lo
	s_delay_alu instid0(VALU_DEP_3)
	v_cndmask_b32_e32 v12, 0, v42, vcc_lo
                                        ; implicit-def: $vgpr42_vgpr43
.LBB42_392:                             ;   in Loop: Header=BB42_5 Depth=1
	s_and_not1_saveexec_b32 s4, s4
	s_cbranch_execz .LBB42_394
; %bb.393:                              ;   in Loop: Header=BB42_5 Depth=1
	v_frexp_exp_i32_f64_e32 v1, v[42:43]
	v_cmp_class_f64_e64 s43, v[2:3], 0x204
	v_cmp_class_f64_e64 s44, v[4:5], 0x204
	v_min_num_f64_e32 v[44:45], v[44:45], v[46:47]
	s_and_not1_b32 s41, s41, exec_lo
	v_sub_nc_u32_e32 v12, 0, v1
	s_or_b32 s45, s43, s44
	s_and_b32 s43, s43, s44
	s_delay_alu instid0(SALU_CYCLE_1) | instskip(NEXT) | instid1(VALU_DEP_1)
	s_and_b32 s43, s43, exec_lo
	v_ldexp_f64 v[10:11], |v[4:5]|, v12
	s_or_b32 s41, s41, s43
	s_delay_alu instid0(VALU_DEP_1) | instskip(SKIP_1) | instid1(VALU_DEP_1)
	v_mul_f64_e32 v[10:11], v[10:11], v[10:11]
	v_ldexp_f64 v[12:13], |v[2:3]|, v12
	v_fmac_f64_e32 v[10:11], v[12:13], v[12:13]
	s_delay_alu instid0(VALU_DEP_1) | instskip(SKIP_1) | instid1(TRANS32_DEP_1)
	v_rsq_f64_e32 v[12:13], v[10:11]
	v_cmp_eq_f64_e32 vcc_lo, 0, v[10:11]
	v_mul_f64_e32 v[48:49], v[10:11], v[12:13]
	v_mul_f64_e32 v[12:13], 0.5, v[12:13]
	s_delay_alu instid0(VALU_DEP_1) | instskip(NEXT) | instid1(VALU_DEP_1)
	v_fma_f64 v[50:51], -v[12:13], v[48:49], 0.5
	v_fmac_f64_e32 v[48:49], v[48:49], v[50:51]
	v_fmac_f64_e32 v[12:13], v[12:13], v[50:51]
	s_delay_alu instid0(VALU_DEP_2) | instskip(NEXT) | instid1(VALU_DEP_1)
	v_fma_f64 v[50:51], -v[48:49], v[48:49], v[10:11]
	v_fmac_f64_e32 v[48:49], v[50:51], v[12:13]
	s_delay_alu instid0(VALU_DEP_1) | instskip(NEXT) | instid1(VALU_DEP_1)
	v_dual_cndmask_b32 v11, v49, v11 :: v_dual_cndmask_b32 v10, v48, v10
	v_ldexp_f64 v[10:11], v[10:11], v1
	s_delay_alu instid0(VALU_DEP_1) | instskip(NEXT) | instid1(VALU_DEP_2)
	v_cndmask_b32_e64 v49, v11, 0x7ff00000, s45
	v_cndmask_b32_e64 v48, v10, 0, s45
	s_delay_alu instid0(VALU_DEP_1) | instskip(NEXT) | instid1(VALU_DEP_1)
	v_frexp_mant_f64_e32 v[10:11], v[48:49]
	v_cmp_gt_f64_e32 vcc_lo, s[14:15], v[10:11]
	v_cndmask_b32_e64 v1, 0, 1, vcc_lo
	s_delay_alu instid0(VALU_DEP_1) | instskip(SKIP_1) | instid1(VALU_DEP_2)
	v_ldexp_f64 v[10:11], v[10:11], v1
	v_frexp_exp_i32_f64_e32 v1, v[48:49]
	v_add_f64_e32 v[12:13], 1.0, v[10:11]
	v_add_f64_e32 v[54:55], -1.0, v[10:11]
	s_delay_alu instid0(VALU_DEP_3) | instskip(NEXT) | instid1(VALU_DEP_3)
	v_subrev_co_ci_u32_e64 v1, null, 0, v1, vcc_lo
	v_rcp_f64_e32 v[50:51], v[12:13]
	v_add_f64_e32 v[56:57], -1.0, v[12:13]
	s_delay_alu instid0(VALU_DEP_1) | instskip(NEXT) | instid1(TRANS32_DEP_1)
	v_add_f64_e64 v[10:11], v[10:11], -v[56:57]
	v_fma_f64 v[52:53], -v[12:13], v[50:51], 1.0
	s_delay_alu instid0(VALU_DEP_1) | instskip(NEXT) | instid1(VALU_DEP_1)
	v_fmac_f64_e32 v[50:51], v[52:53], v[50:51]
	v_fma_f64 v[52:53], -v[12:13], v[50:51], 1.0
	s_delay_alu instid0(VALU_DEP_1) | instskip(NEXT) | instid1(VALU_DEP_1)
	v_fmac_f64_e32 v[50:51], v[52:53], v[50:51]
	v_mul_f64_e32 v[52:53], v[54:55], v[50:51]
	s_delay_alu instid0(VALU_DEP_1) | instskip(NEXT) | instid1(VALU_DEP_1)
	v_mul_f64_e32 v[62:63], v[12:13], v[52:53]
	v_fma_f64 v[12:13], v[52:53], v[12:13], -v[62:63]
	s_delay_alu instid0(VALU_DEP_1) | instskip(NEXT) | instid1(VALU_DEP_1)
	v_fmac_f64_e32 v[12:13], v[52:53], v[10:11]
	v_add_f64_e32 v[10:11], v[62:63], v[12:13]
	s_delay_alu instid0(VALU_DEP_1) | instskip(SKIP_1) | instid1(VALU_DEP_2)
	v_add_f64_e64 v[56:57], v[54:55], -v[10:11]
	v_add_f64_e64 v[62:63], v[10:11], -v[62:63]
	;; [unrolled: 1-line block ×3, first 2 shown]
	s_delay_alu instid0(VALU_DEP_2) | instskip(NEXT) | instid1(VALU_DEP_2)
	v_add_f64_e64 v[12:13], v[62:63], -v[12:13]
	v_add_f64_e64 v[10:11], v[54:55], -v[10:11]
	s_delay_alu instid0(VALU_DEP_1) | instskip(NEXT) | instid1(VALU_DEP_1)
	v_add_f64_e32 v[10:11], v[12:13], v[10:11]
	v_add_f64_e32 v[10:11], v[56:57], v[10:11]
	s_delay_alu instid0(VALU_DEP_1) | instskip(NEXT) | instid1(VALU_DEP_1)
	v_mul_f64_e32 v[10:11], v[50:51], v[10:11]
	v_add_f64_e32 v[12:13], v[52:53], v[10:11]
	s_delay_alu instid0(VALU_DEP_1) | instskip(NEXT) | instid1(VALU_DEP_1)
	v_mul_f64_e32 v[50:51], v[12:13], v[12:13]
	v_fmamk_f64 v[54:55], v[50:51], 0x3fc3ab76bf559e2b, v[28:29]
	v_mul_f64_e32 v[56:57], v[12:13], v[50:51]
	s_delay_alu instid0(VALU_DEP_2) | instskip(NEXT) | instid1(VALU_DEP_1)
	v_fmaak_f64 v[54:55], v[50:51], v[54:55], 0x3fc7474dd7f4df2e
	v_fmaak_f64 v[46:47], v[50:51], v[54:55], 0x3fcc71c016291751
	v_div_scale_f64 v[54:55], null, v[42:43], v[42:43], v[44:45]
	s_delay_alu instid0(VALU_DEP_2) | instskip(NEXT) | instid1(VALU_DEP_1)
	v_fmaak_f64 v[46:47], v[50:51], v[46:47], 0x3fd249249b27acf1
	v_fmaak_f64 v[46:47], v[50:51], v[46:47], 0x3fd99999998ef7b6
	s_delay_alu instid0(VALU_DEP_1) | instskip(SKIP_2) | instid1(VALU_DEP_3)
	v_fmaak_f64 v[46:47], v[50:51], v[46:47], 0x3fe5555555555780
	v_ldexp_f64 v[50:51], v[12:13], 1
	v_add_f64_e64 v[12:13], v[12:13], -v[52:53]
	v_mul_f64_e32 v[46:47], v[56:57], v[46:47]
	v_cvt_f64_i32_e32 v[56:57], v1
	v_rcp_f64_e32 v[62:63], v[54:55]
	s_delay_alu instid0(VALU_DEP_3) | instskip(NEXT) | instid1(VALU_DEP_3)
	v_add_f64_e64 v[10:11], v[10:11], -v[12:13]
	v_add_f64_e32 v[52:53], v[50:51], v[46:47]
	s_delay_alu instid0(VALU_DEP_3) | instskip(NEXT) | instid1(VALU_DEP_3)
	v_mul_f64_e32 v[64:65], 0x3fe62e42fefa39ef, v[56:57]
	v_ldexp_f64 v[10:11], v[10:11], 1
	s_delay_alu instid0(VALU_DEP_3) | instskip(NEXT) | instid1(TRANS32_DEP_1)
	v_add_f64_e64 v[12:13], v[52:53], -v[50:51]
	v_fma_f64 v[50:51], -v[54:55], v[62:63], 1.0
	s_delay_alu instid0(VALU_DEP_4) | instskip(NEXT) | instid1(VALU_DEP_3)
	v_fma_f64 v[66:67], v[56:57], s[16:17], -v[64:65]
	v_add_f64_e64 v[12:13], v[46:47], -v[12:13]
	s_delay_alu instid0(VALU_DEP_3) | instskip(NEXT) | instid1(VALU_DEP_3)
	v_fmac_f64_e32 v[62:63], v[62:63], v[50:51]
	v_fmac_f64_e32 v[66:67], 0x3c7abc9e3b39803f, v[56:57]
	v_div_scale_f64 v[56:57], vcc_lo, v[44:45], v[42:43], v[44:45]
	s_delay_alu instid0(VALU_DEP_4) | instskip(NEXT) | instid1(VALU_DEP_4)
	v_add_f64_e32 v[10:11], v[10:11], v[12:13]
	v_fma_f64 v[12:13], -v[54:55], v[62:63], 1.0
	s_delay_alu instid0(VALU_DEP_4) | instskip(NEXT) | instid1(VALU_DEP_3)
	v_add_f64_e32 v[46:47], v[64:65], v[66:67]
	v_add_f64_e32 v[50:51], v[52:53], v[10:11]
	s_delay_alu instid0(VALU_DEP_3) | instskip(NEXT) | instid1(VALU_DEP_2)
	v_fmac_f64_e32 v[62:63], v[62:63], v[12:13]
	v_add_f64_e32 v[12:13], v[46:47], v[50:51]
	s_delay_alu instid0(VALU_DEP_2) | instskip(SKIP_1) | instid1(VALU_DEP_3)
	v_mul_f64_e32 v[68:69], v[56:57], v[62:63]
	v_add_f64_e64 v[52:53], v[50:51], -v[52:53]
	v_add_f64_e64 v[70:71], v[12:13], -v[46:47]
	s_delay_alu instid0(VALU_DEP_3) | instskip(SKIP_1) | instid1(VALU_DEP_4)
	v_fma_f64 v[54:55], -v[54:55], v[68:69], v[56:57]
	v_add_f64_e64 v[56:57], v[46:47], -v[64:65]
	v_add_f64_e64 v[52:53], v[10:11], -v[52:53]
	s_delay_alu instid0(VALU_DEP_4) | instskip(NEXT) | instid1(VALU_DEP_4)
	v_add_f64_e64 v[64:65], v[12:13], -v[70:71]
	v_div_fmas_f64 v[54:55], v[54:55], v[62:63], v[68:69]
	s_delay_alu instid0(VALU_DEP_4)
	v_add_f64_e64 v[56:57], v[66:67], -v[56:57]
	v_add_f64_e64 v[50:51], v[50:51], -v[70:71]
	v_cmp_class_f64_e64 vcc_lo, v[48:49], 0x204
	v_add_f64_e64 v[46:47], v[46:47], -v[64:65]
	v_div_fixup_f64 v[10:11], v[54:55], v[42:43], v[44:45]
	v_add_f64_e32 v[42:43], v[56:57], v[52:53]
	s_delay_alu instid0(VALU_DEP_3) | instskip(NEXT) | instid1(VALU_DEP_3)
	v_add_f64_e32 v[44:45], v[50:51], v[46:47]
	v_mul_f64_e32 v[46:47], v[10:11], v[10:11]
	s_delay_alu instid0(VALU_DEP_3) | instskip(NEXT) | instid1(VALU_DEP_3)
	v_add_f64_e64 v[50:51], v[42:43], -v[56:57]
	v_add_f64_e32 v[44:45], v[42:43], v[44:45]
	s_delay_alu instid0(VALU_DEP_3) | instskip(NEXT) | instid1(VALU_DEP_3)
	v_fmamk_f64 v[54:55], v[46:47], 0x3eeba404b5e68a13, v[36:37]
	v_add_f64_e64 v[42:43], v[42:43], -v[50:51]
	v_add_f64_e64 v[50:51], v[52:53], -v[50:51]
	s_delay_alu instid0(VALU_DEP_3) | instskip(NEXT) | instid1(VALU_DEP_1)
	v_fmaak_f64 v[54:55], v[46:47], v[54:55], 0x3f4b2bb069efb384
	v_fmaak_f64 v[54:55], v[46:47], v[54:55], 0xbf67952daf56de9b
	s_delay_alu instid0(VALU_DEP_1) | instskip(NEXT) | instid1(VALU_DEP_1)
	v_fmaak_f64 v[54:55], v[46:47], v[54:55], 0x3f7d6d43a595c56f
	v_fmaak_f64 v[54:55], v[46:47], v[54:55], 0xbf8c6ea4a57d9582
	v_add_f64_e32 v[62:63], v[12:13], v[44:45]
	v_add_f64_e64 v[42:43], v[56:57], -v[42:43]
	s_delay_alu instid0(VALU_DEP_3) | instskip(NEXT) | instid1(VALU_DEP_1)
	v_fmaak_f64 v[54:55], v[46:47], v[54:55], 0x3f967e295f08b19f
	v_fmaak_f64 v[54:55], v[46:47], v[54:55], 0xbf9e9ae6fc27006a
	s_delay_alu instid0(VALU_DEP_1) | instskip(NEXT) | instid1(VALU_DEP_1)
	v_fmaak_f64 v[54:55], v[46:47], v[54:55], 0x3fa2c15b5711927a
	v_fmaak_f64 v[52:53], v[46:47], v[54:55], 0xbfa59976e82d3ff0
	s_delay_alu instid0(VALU_DEP_1) | instskip(SKIP_2) | instid1(VALU_DEP_3)
	v_fmaak_f64 v[52:53], v[46:47], v[52:53], 0x3fa82d5d6ef28734
	v_add_f64_e64 v[12:13], v[62:63], -v[12:13]
	v_add_f64_e32 v[42:43], v[50:51], v[42:43]
	v_fmaak_f64 v[52:53], v[46:47], v[52:53], 0xbfaae5ce6a214619
	s_delay_alu instid0(VALU_DEP_1) | instskip(NEXT) | instid1(VALU_DEP_1)
	v_fmaak_f64 v[52:53], v[46:47], v[52:53], 0x3fae1bb48427b883
	v_fmaak_f64 v[52:53], v[46:47], v[52:53], 0xbfb110e48b207f05
	v_add_f64_e64 v[12:13], v[44:45], -v[12:13]
	s_delay_alu instid0(VALU_DEP_2) | instskip(NEXT) | instid1(VALU_DEP_1)
	v_fmaak_f64 v[44:45], v[46:47], v[52:53], 0x3fb3b13657b87036
	v_fmaak_f64 v[44:45], v[46:47], v[44:45], 0xbfb745d119378e4f
	s_delay_alu instid0(VALU_DEP_1) | instskip(NEXT) | instid1(VALU_DEP_1)
	v_fmaak_f64 v[44:45], v[46:47], v[44:45], 0x3fbc71c717e1913c
	v_fmaak_f64 v[44:45], v[46:47], v[44:45], 0xbfc2492492376b7d
	v_add_f64_e32 v[12:13], v[42:43], v[12:13]
	s_delay_alu instid0(VALU_DEP_2) | instskip(NEXT) | instid1(VALU_DEP_1)
	v_fmaak_f64 v[42:43], v[46:47], v[44:45], 0x3fc99999999952cc
	v_fmaak_f64 v[42:43], v[46:47], v[42:43], 0xbfd5555555555523
	s_delay_alu instid0(VALU_DEP_1) | instskip(NEXT) | instid1(VALU_DEP_4)
	v_mul_f64_e32 v[42:43], v[46:47], v[42:43]
	v_add_f64_e32 v[12:13], v[62:63], v[12:13]
	s_delay_alu instid0(VALU_DEP_2) | instskip(NEXT) | instid1(VALU_DEP_2)
	v_fmac_f64_e32 v[10:11], v[10:11], v[42:43]
	v_dual_cndmask_b32 v1, v12, v48 :: v_dual_cndmask_b32 v12, v13, v49
	v_cmp_ngt_f64_e32 vcc_lo, 0, v[48:49]
	s_delay_alu instid0(VALU_DEP_2) | instskip(SKIP_1) | instid1(VALU_DEP_4)
	v_cndmask_b32_e32 v13, 0x7ff80000, v12, vcc_lo
	v_cmp_nge_f64_e32 vcc_lo, 0, v[48:49]
	v_cndmask_b32_e32 v12, 0, v1, vcc_lo
	v_cmp_neq_f64_e32 vcc_lo, 0, v[48:49]
	s_delay_alu instid0(VALU_DEP_4)
	v_cndmask_b32_e32 v13, 0xfff00000, v13, vcc_lo
.LBB42_394:                             ;   in Loop: Header=BB42_5 Depth=1
	s_or_b32 exec_lo, exec_lo, s4
                                        ; implicit-def: $vgpr44_vgpr45
                                        ; implicit-def: $vgpr46_vgpr47
                                        ; implicit-def: $vgpr42_vgpr43
.LBB42_395:                             ;   in Loop: Header=BB42_5 Depth=1
	s_and_not1_saveexec_b32 s42, s42
	s_cbranch_execz .LBB42_397
; %bb.396:                              ;   in Loop: Header=BB42_5 Depth=1
	v_div_scale_f64 v[10:11], null, s[34:35], s[34:35], v[2:3]
	v_div_scale_f64 v[12:13], null, s[34:35], s[34:35], v[4:5]
	v_div_scale_f64 v[56:57], vcc_lo, v[2:3], s[34:35], v[2:3]
	v_min_num_f64_e32 v[44:45], v[44:45], v[46:47]
	s_and_not1_b32 s41, s41, exec_lo
	s_delay_alu instid0(VALU_DEP_4) | instskip(NEXT) | instid1(VALU_DEP_3)
	v_rcp_f64_e32 v[48:49], v[10:11]
	v_rcp_f64_e32 v[50:51], v[12:13]
	s_delay_alu instid0(TRANS32_DEP_2) | instskip(NEXT) | instid1(TRANS32_DEP_1)
	v_fma_f64 v[52:53], -v[10:11], v[48:49], 1.0
	v_fma_f64 v[54:55], -v[12:13], v[50:51], 1.0
	s_delay_alu instid0(VALU_DEP_2) | instskip(NEXT) | instid1(VALU_DEP_2)
	v_fmac_f64_e32 v[48:49], v[48:49], v[52:53]
	v_fmac_f64_e32 v[50:51], v[50:51], v[54:55]
	s_delay_alu instid0(VALU_DEP_2) | instskip(NEXT) | instid1(VALU_DEP_2)
	v_fma_f64 v[52:53], -v[10:11], v[48:49], 1.0
	v_fma_f64 v[54:55], -v[12:13], v[50:51], 1.0
	s_delay_alu instid0(VALU_DEP_2) | instskip(SKIP_1) | instid1(VALU_DEP_3)
	v_fmac_f64_e32 v[48:49], v[48:49], v[52:53]
	v_div_scale_f64 v[52:53], s4, v[4:5], s[34:35], v[4:5]
	v_fmac_f64_e32 v[50:51], v[50:51], v[54:55]
	s_delay_alu instid0(VALU_DEP_3) | instskip(NEXT) | instid1(VALU_DEP_2)
	v_mul_f64_e32 v[54:55], v[56:57], v[48:49]
	v_mul_f64_e32 v[62:63], v[52:53], v[50:51]
	s_delay_alu instid0(VALU_DEP_2) | instskip(NEXT) | instid1(VALU_DEP_2)
	v_fma_f64 v[10:11], -v[10:11], v[54:55], v[56:57]
	v_fma_f64 v[12:13], -v[12:13], v[62:63], v[52:53]
	s_delay_alu instid0(VALU_DEP_2) | instskip(SKIP_1) | instid1(VALU_DEP_2)
	v_div_fmas_f64 v[10:11], v[10:11], v[48:49], v[54:55]
	s_mov_b32 vcc_lo, s4
	v_div_fmas_f64 v[12:13], v[12:13], v[50:51], v[62:63]
	s_delay_alu instid0(VALU_DEP_2) | instskip(NEXT) | instid1(VALU_DEP_2)
	v_div_fixup_f64 v[10:11], v[10:11], s[34:35], v[2:3]
	v_div_fixup_f64 v[12:13], v[12:13], s[34:35], v[4:5]
	s_delay_alu instid0(VALU_DEP_2) | instskip(NEXT) | instid1(VALU_DEP_2)
	v_cmp_class_f64_e64 s4, v[10:11], 0x204
	v_max_num_f64_e64 v[48:49], |v[10:11]|, |v[12:13]|
	v_cmp_class_f64_e64 s43, v[12:13], 0x204
	s_delay_alu instid0(VALU_DEP_2) | instskip(SKIP_2) | instid1(VALU_DEP_2)
	v_frexp_exp_i32_f64_e32 v1, v[48:49]
	s_or_b32 s4, s4, s43
	v_cmp_class_f64_e64 s43, v[2:3], 0x204
	v_sub_nc_u32_e32 v50, 0, v1
	s_delay_alu instid0(VALU_DEP_1) | instskip(SKIP_1) | instid1(VALU_DEP_2)
	v_ldexp_f64 v[48:49], |v[12:13]|, v50
	v_ldexp_f64 v[50:51], |v[10:11]|, v50
	v_mul_f64_e32 v[48:49], v[48:49], v[48:49]
	s_delay_alu instid0(VALU_DEP_1) | instskip(NEXT) | instid1(VALU_DEP_1)
	v_fmac_f64_e32 v[48:49], v[50:51], v[50:51]
	v_rsq_f64_e32 v[50:51], v[48:49]
	v_cmp_eq_f64_e32 vcc_lo, 0, v[48:49]
	s_delay_alu instid0(TRANS32_DEP_1) | instskip(SKIP_1) | instid1(VALU_DEP_1)
	v_mul_f64_e32 v[52:53], v[48:49], v[50:51]
	v_mul_f64_e32 v[50:51], 0.5, v[50:51]
	v_fma_f64 v[54:55], -v[50:51], v[52:53], 0.5
	s_delay_alu instid0(VALU_DEP_1) | instskip(SKIP_1) | instid1(VALU_DEP_2)
	v_fmac_f64_e32 v[52:53], v[52:53], v[54:55]
	v_fmac_f64_e32 v[50:51], v[50:51], v[54:55]
	v_fma_f64 v[54:55], -v[52:53], v[52:53], v[48:49]
	s_delay_alu instid0(VALU_DEP_1) | instskip(NEXT) | instid1(VALU_DEP_1)
	v_fmac_f64_e32 v[52:53], v[54:55], v[50:51]
	v_dual_cndmask_b32 v49, v53, v49 :: v_dual_cndmask_b32 v48, v52, v48
	s_delay_alu instid0(VALU_DEP_1) | instskip(NEXT) | instid1(VALU_DEP_1)
	v_ldexp_f64 v[10:11], v[48:49], v1
	v_cndmask_b32_e64 v49, v11, 0x7ff00000, s4
	s_delay_alu instid0(VALU_DEP_2) | instskip(SKIP_1) | instid1(VALU_DEP_2)
	v_cndmask_b32_e64 v48, v10, 0, s4
	v_cmp_class_f64_e64 s4, v[4:5], 0x204
	v_frexp_mant_f64_e32 v[10:11], v[48:49]
	s_and_b32 s4, s43, s4
	s_delay_alu instid0(SALU_CYCLE_1) | instskip(NEXT) | instid1(VALU_DEP_1)
	s_and_b32 s4, s4, exec_lo
	v_cmp_gt_f64_e32 vcc_lo, s[14:15], v[10:11]
	s_or_b32 s41, s41, s4
	v_cndmask_b32_e64 v1, 0, 1, vcc_lo
	s_delay_alu instid0(VALU_DEP_1) | instskip(SKIP_1) | instid1(VALU_DEP_2)
	v_ldexp_f64 v[10:11], v[10:11], v1
	v_frexp_exp_i32_f64_e32 v1, v[48:49]
	v_add_f64_e32 v[12:13], 1.0, v[10:11]
	v_add_f64_e32 v[54:55], -1.0, v[10:11]
	s_delay_alu instid0(VALU_DEP_3) | instskip(SKIP_1) | instid1(VALU_DEP_2)
	v_subrev_co_ci_u32_e64 v1, null, 0, v1, vcc_lo
	v_div_scale_f64 v[68:69], vcc_lo, v[44:45], v[42:43], v[44:45]
	v_cvt_f64_i32_e32 v[46:47], v1
	v_rcp_f64_e32 v[50:51], v[12:13]
	v_add_f64_e32 v[56:57], -1.0, v[12:13]
	s_delay_alu instid0(VALU_DEP_1) | instskip(NEXT) | instid1(TRANS32_DEP_1)
	v_add_f64_e64 v[10:11], v[10:11], -v[56:57]
	v_fma_f64 v[52:53], -v[12:13], v[50:51], 1.0
	s_delay_alu instid0(VALU_DEP_1) | instskip(NEXT) | instid1(VALU_DEP_1)
	v_fmac_f64_e32 v[50:51], v[52:53], v[50:51]
	v_fma_f64 v[52:53], -v[12:13], v[50:51], 1.0
	s_delay_alu instid0(VALU_DEP_1) | instskip(NEXT) | instid1(VALU_DEP_1)
	v_fmac_f64_e32 v[50:51], v[52:53], v[50:51]
	v_mul_f64_e32 v[52:53], v[54:55], v[50:51]
	s_delay_alu instid0(VALU_DEP_1) | instskip(NEXT) | instid1(VALU_DEP_1)
	v_mul_f64_e32 v[62:63], v[12:13], v[52:53]
	v_fma_f64 v[12:13], v[52:53], v[12:13], -v[62:63]
	s_delay_alu instid0(VALU_DEP_1) | instskip(NEXT) | instid1(VALU_DEP_1)
	v_fmac_f64_e32 v[12:13], v[52:53], v[10:11]
	v_add_f64_e32 v[10:11], v[62:63], v[12:13]
	s_delay_alu instid0(VALU_DEP_1) | instskip(SKIP_1) | instid1(VALU_DEP_2)
	v_add_f64_e64 v[56:57], v[54:55], -v[10:11]
	v_add_f64_e64 v[62:63], v[10:11], -v[62:63]
	;; [unrolled: 1-line block ×3, first 2 shown]
	s_delay_alu instid0(VALU_DEP_2) | instskip(SKIP_1) | instid1(VALU_DEP_3)
	v_add_f64_e64 v[12:13], v[62:63], -v[12:13]
	v_mul_f64_e32 v[62:63], 0x3fe62e42fefa39ef, v[46:47]
	v_add_f64_e64 v[10:11], v[54:55], -v[10:11]
	s_delay_alu instid0(VALU_DEP_2) | instskip(NEXT) | instid1(VALU_DEP_2)
	v_fma_f64 v[64:65], v[46:47], s[16:17], -v[62:63]
	v_add_f64_e32 v[10:11], v[12:13], v[10:11]
	s_delay_alu instid0(VALU_DEP_2) | instskip(NEXT) | instid1(VALU_DEP_2)
	v_fmac_f64_e32 v[64:65], 0x3c7abc9e3b39803f, v[46:47]
	v_add_f64_e32 v[10:11], v[56:57], v[10:11]
	s_delay_alu instid0(VALU_DEP_1) | instskip(NEXT) | instid1(VALU_DEP_1)
	v_mul_f64_e32 v[10:11], v[50:51], v[10:11]
	v_add_f64_e32 v[12:13], v[52:53], v[10:11]
	s_delay_alu instid0(VALU_DEP_1) | instskip(NEXT) | instid1(VALU_DEP_1)
	v_mul_f64_e32 v[50:51], v[12:13], v[12:13]
	v_fmamk_f64 v[54:55], v[50:51], 0x3fc3ab76bf559e2b, v[28:29]
	v_mul_f64_e32 v[56:57], v[12:13], v[50:51]
	s_delay_alu instid0(VALU_DEP_2) | instskip(NEXT) | instid1(VALU_DEP_1)
	v_fmaak_f64 v[54:55], v[50:51], v[54:55], 0x3fc7474dd7f4df2e
	v_fmaak_f64 v[54:55], v[50:51], v[54:55], 0x3fcc71c016291751
	s_delay_alu instid0(VALU_DEP_1) | instskip(NEXT) | instid1(VALU_DEP_1)
	v_fmaak_f64 v[54:55], v[50:51], v[54:55], 0x3fd249249b27acf1
	v_fmaak_f64 v[54:55], v[50:51], v[54:55], 0x3fd99999998ef7b6
	s_delay_alu instid0(VALU_DEP_1) | instskip(SKIP_2) | instid1(VALU_DEP_3)
	v_fmaak_f64 v[50:51], v[50:51], v[54:55], 0x3fe5555555555780
	v_ldexp_f64 v[54:55], v[12:13], 1
	v_add_f64_e64 v[12:13], v[12:13], -v[52:53]
	v_mul_f64_e32 v[50:51], v[56:57], v[50:51]
	v_div_scale_f64 v[56:57], null, v[42:43], v[42:43], v[44:45]
	s_delay_alu instid0(VALU_DEP_3) | instskip(NEXT) | instid1(VALU_DEP_3)
	v_add_f64_e64 v[10:11], v[10:11], -v[12:13]
	v_add_f64_e32 v[52:53], v[54:55], v[50:51]
	s_delay_alu instid0(VALU_DEP_2) | instskip(NEXT) | instid1(VALU_DEP_2)
	v_ldexp_f64 v[10:11], v[10:11], 1
	v_add_f64_e64 v[12:13], v[52:53], -v[54:55]
	v_rcp_f64_e32 v[54:55], v[56:57]
	s_delay_alu instid0(VALU_DEP_1) | instskip(NEXT) | instid1(TRANS32_DEP_1)
	v_add_f64_e64 v[12:13], v[50:51], -v[12:13]
	v_fma_f64 v[50:51], -v[56:57], v[54:55], 1.0
	s_delay_alu instid0(VALU_DEP_2) | instskip(SKIP_1) | instid1(VALU_DEP_3)
	v_add_f64_e32 v[10:11], v[10:11], v[12:13]
	v_add_f64_e32 v[12:13], v[62:63], v[64:65]
	v_fmac_f64_e32 v[54:55], v[54:55], v[50:51]
	s_delay_alu instid0(VALU_DEP_3) | instskip(NEXT) | instid1(VALU_DEP_3)
	v_add_f64_e32 v[46:47], v[52:53], v[10:11]
	v_add_f64_e64 v[62:63], v[12:13], -v[62:63]
	s_delay_alu instid0(VALU_DEP_3) | instskip(NEXT) | instid1(VALU_DEP_3)
	v_fma_f64 v[50:51], -v[56:57], v[54:55], 1.0
	v_add_f64_e32 v[66:67], v[12:13], v[46:47]
	v_add_f64_e64 v[52:53], v[46:47], -v[52:53]
	s_delay_alu instid0(VALU_DEP_4) | instskip(NEXT) | instid1(VALU_DEP_4)
	v_add_f64_e64 v[62:63], v[64:65], -v[62:63]
	v_fmac_f64_e32 v[54:55], v[54:55], v[50:51]
	s_delay_alu instid0(VALU_DEP_4) | instskip(NEXT) | instid1(VALU_DEP_4)
	v_add_f64_e64 v[50:51], v[66:67], -v[12:13]
	v_add_f64_e64 v[52:53], v[10:11], -v[52:53]
	s_delay_alu instid0(VALU_DEP_3) | instskip(NEXT) | instid1(VALU_DEP_3)
	v_mul_f64_e32 v[70:71], v[68:69], v[54:55]
	v_add_f64_e64 v[72:73], v[66:67], -v[50:51]
	v_add_f64_e64 v[10:11], v[46:47], -v[50:51]
	s_delay_alu instid0(VALU_DEP_4) | instskip(NEXT) | instid1(VALU_DEP_4)
	v_add_f64_e32 v[50:51], v[62:63], v[52:53]
	v_fma_f64 v[56:57], -v[56:57], v[70:71], v[68:69]
	s_delay_alu instid0(VALU_DEP_4) | instskip(NEXT) | instid1(VALU_DEP_2)
	v_add_f64_e64 v[12:13], v[12:13], -v[72:73]
	v_div_fmas_f64 v[46:47], v[56:57], v[54:55], v[70:71]
	v_cmp_class_f64_e64 vcc_lo, v[48:49], 0x204
	s_delay_alu instid0(VALU_DEP_3) | instskip(NEXT) | instid1(VALU_DEP_3)
	v_add_f64_e32 v[12:13], v[10:11], v[12:13]
	v_div_fixup_f64 v[10:11], v[46:47], v[42:43], v[44:45]
	v_add_f64_e64 v[42:43], v[50:51], -v[62:63]
	s_delay_alu instid0(VALU_DEP_3) | instskip(NEXT) | instid1(VALU_DEP_3)
	v_add_f64_e32 v[12:13], v[50:51], v[12:13]
	v_mul_f64_e32 v[44:45], v[10:11], v[10:11]
	s_delay_alu instid0(VALU_DEP_3) | instskip(SKIP_1) | instid1(VALU_DEP_4)
	v_add_f64_e64 v[46:47], v[50:51], -v[42:43]
	v_add_f64_e64 v[42:43], v[52:53], -v[42:43]
	v_add_f64_e32 v[50:51], v[66:67], v[12:13]
	s_delay_alu instid0(VALU_DEP_4) | instskip(NEXT) | instid1(VALU_DEP_4)
	v_fmamk_f64 v[54:55], v[44:45], 0x3eeba404b5e68a13, v[36:37]
	v_add_f64_e64 v[46:47], v[62:63], -v[46:47]
	s_delay_alu instid0(VALU_DEP_2) | instskip(NEXT) | instid1(VALU_DEP_1)
	v_fmaak_f64 v[54:55], v[44:45], v[54:55], 0x3f4b2bb069efb384
	v_fmaak_f64 v[54:55], v[44:45], v[54:55], 0xbf67952daf56de9b
	s_delay_alu instid0(VALU_DEP_1) | instskip(SKIP_1) | instid1(VALU_DEP_2)
	v_fmaak_f64 v[54:55], v[44:45], v[54:55], 0x3f7d6d43a595c56f
	v_add_f64_e64 v[52:53], v[50:51], -v[66:67]
	v_fmaak_f64 v[54:55], v[44:45], v[54:55], 0xbf8c6ea4a57d9582
	v_add_f64_e32 v[42:43], v[42:43], v[46:47]
	s_delay_alu instid0(VALU_DEP_2) | instskip(NEXT) | instid1(VALU_DEP_1)
	v_fmaak_f64 v[54:55], v[44:45], v[54:55], 0x3f967e295f08b19f
	v_fmaak_f64 v[54:55], v[44:45], v[54:55], 0xbf9e9ae6fc27006a
	s_delay_alu instid0(VALU_DEP_1) | instskip(NEXT) | instid1(VALU_DEP_1)
	v_fmaak_f64 v[54:55], v[44:45], v[54:55], 0x3fa2c15b5711927a
	v_fmaak_f64 v[46:47], v[44:45], v[54:55], 0xbfa59976e82d3ff0
	v_add_f64_e64 v[12:13], v[12:13], -v[52:53]
	s_delay_alu instid0(VALU_DEP_2) | instskip(NEXT) | instid1(VALU_DEP_1)
	v_fmaak_f64 v[46:47], v[44:45], v[46:47], 0x3fa82d5d6ef28734
	v_fmaak_f64 v[46:47], v[44:45], v[46:47], 0xbfaae5ce6a214619
	s_delay_alu instid0(VALU_DEP_1) | instskip(NEXT) | instid1(VALU_DEP_1)
	v_fmaak_f64 v[46:47], v[44:45], v[46:47], 0x3fae1bb48427b883
	v_fmaak_f64 v[46:47], v[44:45], v[46:47], 0xbfb110e48b207f05
	v_add_f64_e32 v[12:13], v[42:43], v[12:13]
	s_delay_alu instid0(VALU_DEP_2) | instskip(NEXT) | instid1(VALU_DEP_1)
	v_fmaak_f64 v[42:43], v[44:45], v[46:47], 0x3fb3b13657b87036
	v_fmaak_f64 v[42:43], v[44:45], v[42:43], 0xbfb745d119378e4f
	s_delay_alu instid0(VALU_DEP_1) | instskip(NEXT) | instid1(VALU_DEP_1)
	v_fmaak_f64 v[42:43], v[44:45], v[42:43], 0x3fbc71c717e1913c
	v_fmaak_f64 v[42:43], v[44:45], v[42:43], 0xbfc2492492376b7d
	s_delay_alu instid0(VALU_DEP_1) | instskip(SKIP_1) | instid1(VALU_DEP_2)
	v_fmaak_f64 v[42:43], v[44:45], v[42:43], 0x3fc99999999952cc
	v_add_f64_e32 v[12:13], v[50:51], v[12:13]
	v_fmaak_f64 v[42:43], v[44:45], v[42:43], 0xbfd5555555555523
	s_delay_alu instid0(VALU_DEP_1) | instskip(NEXT) | instid1(VALU_DEP_3)
	v_mul_f64_e32 v[42:43], v[44:45], v[42:43]
	v_dual_cndmask_b32 v13, v13, v49 :: v_dual_cndmask_b32 v12, v12, v48
	v_cmp_ngt_f64_e32 vcc_lo, 0, v[48:49]
	s_delay_alu instid0(VALU_DEP_2) | instskip(NEXT) | instid1(VALU_DEP_4)
	v_add_f64_e32 v[12:13], 1.0, v[12:13]
	v_fmac_f64_e32 v[10:11], v[10:11], v[42:43]
	s_delay_alu instid0(VALU_DEP_2) | instskip(SKIP_1) | instid1(VALU_DEP_4)
	v_cndmask_b32_e32 v1, 0x7ff80000, v13, vcc_lo
	v_cmp_nge_f64_e32 vcc_lo, 0, v[48:49]
	v_cndmask_b32_e32 v12, 0, v12, vcc_lo
	v_cmp_neq_f64_e32 vcc_lo, 0, v[48:49]
	s_delay_alu instid0(VALU_DEP_4)
	v_cndmask_b32_e32 v13, 0xfff00000, v1, vcc_lo
.LBB42_397:                             ;   in Loop: Header=BB42_5 Depth=1
	s_or_b32 exec_lo, exec_lo, s42
	s_delay_alu instid0(VALU_DEP_3) | instskip(NEXT) | instid1(VALU_DEP_2)
	v_add_f64_e64 v[42:43], -v[10:11], s[26:27]
	v_add_f64_e32 v[12:13], 0x3fe62e42fefa39ef, v[12:13]
	v_cmp_gt_i32_e32 vcc_lo, 0, v3
	v_cndmask_b32_e32 v2, 0x54442d18, v59, vcc_lo
	s_delay_alu instid0(VALU_DEP_4) | instskip(SKIP_2) | instid1(VALU_DEP_3)
	v_dual_cndmask_b32 v11, v11, v43, s3 :: v_dual_cndmask_b32 v10, v10, v42, s3
	v_cmp_eq_f64_e64 s3, 0, v[4:5]
	v_cndmask_b32_e32 v4, 0x3fe921fb, v60, vcc_lo
	v_add_f64_e64 v[42:43], -v[10:11], s[28:29]
	v_ashrrev_i32_e32 v1, 31, v3
	s_delay_alu instid0(VALU_DEP_3) | instskip(NEXT) | instid1(VALU_DEP_3)
	v_bfi_b32 v4, 0x7fffffff, v4, v5
	v_cndmask_b32_e32 v10, v10, v42, vcc_lo
	s_delay_alu instid0(VALU_DEP_3) | instskip(SKIP_2) | instid1(VALU_DEP_1)
	v_and_b32_e32 v3, 0x54442d18, v1
	v_and_b32_e32 v1, 0x400921fb, v1
	v_cndmask_b32_e32 v11, v11, v43, vcc_lo
	v_dual_cndmask_b32 v3, v10, v3, s3 :: v_dual_cndmask_b32 v1, v11, v1, s3
	s_delay_alu instid0(VALU_DEP_1) | instskip(SKIP_1) | instid1(VALU_DEP_3)
	v_cndmask_b32_e64 v1, v1, v4, s41
	v_xor_b32_e32 v4, 0x80000000, v13
	v_cndmask_b32_e64 v10, v3, v2, s41
	s_delay_alu instid0(VALU_DEP_3) | instskip(NEXT) | instid1(VALU_DEP_3)
	v_and_b32_e32 v11, 0x7fffffff, v1
	v_cndmask_b32_e64 v13, v4, v13, s2
.LBB42_398:                             ;   in Loop: Header=BB42_5 Depth=1
	s_or_b32 exec_lo, exec_lo, s40
                                        ; implicit-def: $vgpr4_vgpr5
.LBB42_399:                             ;   in Loop: Header=BB42_5 Depth=1
	s_and_not1_saveexec_b32 s2, s39
	s_cbranch_execz .LBB42_4
; %bb.400:                              ;   in Loop: Header=BB42_5 Depth=1
	v_cmp_neq_f64_e64 s3, 0x7ff00000, |v[2:3]|
                                        ; implicit-def: $vgpr12_vgpr13
	s_and_saveexec_b32 s4, s3
	s_delay_alu instid0(SALU_CYCLE_1)
	s_xor_b32 s3, exec_lo, s4
	s_cbranch_execz .LBB42_410
; %bb.401:                              ;   in Loop: Header=BB42_5 Depth=1
	v_cmp_neq_f64_e64 s4, 0x7ff00000, |v[4:5]|
	v_xor_b32_e32 v13, 0x80000000, v5
	v_mov_b32_e32 v12, v4
	s_and_saveexec_b32 s39, s4
	s_delay_alu instid0(SALU_CYCLE_1)
	s_xor_b32 s4, exec_lo, s39
	s_cbranch_execz .LBB42_407
; %bb.402:                              ;   in Loop: Header=BB42_5 Depth=1
	s_mov_b32 s39, exec_lo
                                        ; implicit-def: $vgpr12_vgpr13
	v_cmpx_neq_f64_e32 0, v[2:3]
	s_xor_b32 s39, exec_lo, s39
	s_cbranch_execz .LBB42_404
; %bb.403:                              ;   in Loop: Header=BB42_5 Depth=1
	v_add_f64_e32 v[4:5], 0, v[4:5]
	s_delay_alu instid0(VALU_DEP_1)
	v_add_f64_e32 v[12:13], v[2:3], v[4:5]
                                        ; implicit-def: $vgpr4_vgpr5
.LBB42_404:                             ;   in Loop: Header=BB42_5 Depth=1
	s_or_saveexec_b32 s39, s39
	s_delay_alu instid0(VALU_DEP_1)
	v_mov_b64_e32 v[10:11], v[12:13]
	s_xor_b32 exec_lo, exec_lo, s39
	s_cbranch_execz .LBB42_406
; %bb.405:                              ;   in Loop: Header=BB42_5 Depth=1
	flat_load_b64 v[2:3], v[26:27] scope:SCOPE_SYS
	s_wait_loadcnt 0x0
	v_add_f64_e32 v[12:13], v[4:5], v[4:5]
	s_wait_dscnt 0x0
	v_add_f64_e32 v[10:11], 0x3ff921fb54442d18, v[2:3]
.LBB42_406:                             ;   in Loop: Header=BB42_5 Depth=1
	s_wait_xcnt 0x0
	s_or_b32 exec_lo, exec_lo, s39
                                        ; implicit-def: $vgpr2_vgpr3
.LBB42_407:                             ;   in Loop: Header=BB42_5 Depth=1
	s_and_not1_saveexec_b32 s4, s4
; %bb.408:                              ;   in Loop: Header=BB42_5 Depth=1
	v_add_f64_e32 v[10:11], v[2:3], v[2:3]
; %bb.409:                              ;   in Loop: Header=BB42_5 Depth=1
	s_or_b32 exec_lo, exec_lo, s4
                                        ; implicit-def: $vgpr4_vgpr5
.LBB42_410:                             ;   in Loop: Header=BB42_5 Depth=1
	s_and_not1_saveexec_b32 s3, s3
	s_cbranch_execz .LBB42_3
; %bb.411:                              ;   in Loop: Header=BB42_5 Depth=1
	v_add_f64_e32 v[10:11], v[4:5], v[4:5]
	v_mov_b64_e32 v[12:13], 0xfff0000000000000
	s_branch .LBB42_3
.LBB42_412:
	s_or_b32 exec_lo, exec_lo, s33
	s_mov_b32 s2, 0
.LBB42_413:
	s_delay_alu instid0(SALU_CYCLE_1)
	s_and_not1_b32 vcc_lo, exec_lo, s2
	s_cbranch_vccnz .LBB42_841
; %bb.414:
	v_cmp_lt_i64_e64 s2, s[6:7], 1
	s_and_b32 vcc_lo, exec_lo, s2
	s_cbranch_vccnz .LBB42_841
; %bb.415:
	v_min_i64 v[22:23], 0x10000, s[6:7]
	v_min_u64 v[26:27], 0x10000, s[6:7]
	s_wait_dscnt 0x0
	v_mbcnt_lo_u32_b32 v1, -1, 0
	s_load_b32 s0, s[0:1], 0xc5c
	v_mov_b32_e32 v2, 8
	v_mov_b64_e32 v[32:33], 0x3fc385386b47b09a
	v_mov_b64_e32 v[34:35], 0xbf90a5a378a05eaf
	v_dual_lshlrev_b32 v3, 20, v1 :: v_dual_mov_b32 v1, 0
	v_mov_b64_e32 v[36:37], 0xbf23e260bd3237f4
	v_mov_b64_e32 v[38:39], 0x3c91a62633145c07
	v_mov_b32_e32 v64, 0xd800000
	s_delay_alu instid0(VALU_DEP_4)
	v_add_nc_u64_e32 v[24:25], src_flat_scratch_base_lo, v[2:3]
	v_mov_b32_e32 v2, 0
	v_mov_b32_e32 v66, 0x4002d97c
	;; [unrolled: 1-line block ×3, first 2 shown]
	s_mov_b32 s13, 0
	s_mov_b64 s[14:15], 0x3e43988e1409212f
	v_add_nc_u64_e32 v[28:29], src_flat_scratch_base_lo, v[2:3]
	v_mov_b32_e32 v2, 4
	s_mov_b64 s[16:17], 0x3fe5555555555555
	s_mov_b32 s19, s13
	s_mov_b32 s21, s13
	s_wait_kmcnt 0x0
	s_and_b32 s12, s0, 0xffff
	v_add_nc_u64_e32 v[30:31], src_flat_scratch_base_lo, v[2:3]
	s_lshl_b32 s18, s12, 1
	s_mul_i32 s20, s12, 3
	s_mov_b64 s[22:23], 0x3fe62e42fefa39ef
	s_mov_b64 s[24:25], 0x3fe488ce703afb7f
	;; [unrolled: 1-line block ×9, first 2 shown]
	s_lshl_b32 s42, s12, 2
	s_mov_b32 s43, s13
	s_mov_b64 s[44:45], 0
                                        ; implicit-def: $vgpr2_vgpr3
                                        ; implicit-def: $vgpr2_vgpr3
                                        ; implicit-def: $vgpr2_vgpr3
                                        ; implicit-def: $vgpr2_vgpr3
                                        ; implicit-def: $vgpr2_vgpr3
                                        ; implicit-def: $vgpr2_vgpr3
                                        ; implicit-def: $vgpr2_vgpr3
                                        ; implicit-def: $vgpr2_vgpr3
                                        ; implicit-def: $vgpr2_vgpr3
                                        ; implicit-def: $vgpr2_vgpr3
                                        ; implicit-def: $vgpr2_vgpr3
                                        ; implicit-def: $vgpr2_vgpr3
                                        ; implicit-def: $vgpr2_vgpr3
                                        ; implicit-def: $vgpr2_vgpr3
                                        ; implicit-def: $vgpr2_vgpr3
                                        ; implicit-def: $vgpr2_vgpr3
                                        ; implicit-def: $vgpr2_vgpr3
                                        ; implicit-def: $vgpr2_vgpr3
                                        ; implicit-def: $vgpr2_vgpr3
                                        ; implicit-def: $vgpr2_vgpr3
                                        ; implicit-def: $vgpr2_vgpr3
                                        ; implicit-def: $vgpr2_vgpr3
                                        ; implicit-def: $vgpr2_vgpr3
                                        ; implicit-def: $vgpr2_vgpr3
                                        ; implicit-def: $vgpr2_vgpr3
                                        ; implicit-def: $vgpr2_vgpr3
                                        ; implicit-def: $vgpr2_vgpr3
                                        ; implicit-def: $vgpr2_vgpr3
                                        ; implicit-def: $vgpr2_vgpr3
                                        ; implicit-def: $vgpr2_vgpr3
                                        ; implicit-def: $vgpr2_vgpr3
                                        ; implicit-def: $vgpr2_vgpr3
                                        ; implicit-def: $vgpr2_vgpr3
	s_branch .LBB42_417
.LBB42_416:                             ;   in Loop: Header=BB42_417 Depth=1
	s_wait_xcnt 0x0
	s_or_b32 exec_lo, exec_lo, s0
	s_add_nc_u64 s[44:45], s[44:45], s[42:43]
	s_delay_alu instid0(SALU_CYCLE_1)
	v_cmp_ge_i64_e32 vcc_lo, s[44:45], v[22:23]
	s_cbranch_vccnz .LBB42_841
.LBB42_417:                             ; =>This Inner Loop Header: Depth=1
	v_add_nc_u64_e32 v[40:41], s[44:45], v[0:1]
	v_mov_b64_e32 v[20:21], 0
	v_mov_b64_e32 v[16:17], 0
	s_wait_dscnt 0x2
	v_mov_b64_e32 v[14:15], 0
	s_delay_alu instid0(VALU_DEP_4)
	v_cmp_lt_u64_e64 s0, v[40:41], v[26:27]
	s_and_saveexec_b32 s1, s0
	s_cbranch_execz .LBB42_419
; %bb.418:                              ;   in Loop: Header=BB42_417 Depth=1
	v_lshl_add_u64 v[2:3], v[40:41], 4, s[8:9]
	global_load_b128 v[14:17], v[2:3], off
.LBB42_419:                             ;   in Loop: Header=BB42_417 Depth=1
	s_wait_xcnt 0x0
	s_or_b32 exec_lo, exec_lo, s1
	v_add_nc_u64_e32 v[42:43], s[12:13], v[40:41]
	s_wait_dscnt 0x1
	v_mov_b64_e32 v[18:19], 0
	s_delay_alu instid0(VALU_DEP_2)
	v_cmp_lt_u64_e64 s1, v[42:43], v[26:27]
	s_and_saveexec_b32 s2, s1
	s_cbranch_execz .LBB42_421
; %bb.420:                              ;   in Loop: Header=BB42_417 Depth=1
	v_lshl_add_u64 v[2:3], v[42:43], 4, s[8:9]
	global_load_b128 v[18:21], v[2:3], off
.LBB42_421:                             ;   in Loop: Header=BB42_417 Depth=1
	s_wait_xcnt 0x0
	s_or_b32 exec_lo, exec_lo, s2
	v_add_nc_u64_e32 v[44:45], s[18:19], v[40:41]
	v_mov_b64_e32 v[4:5], 0
	v_mov_b64_e32 v[12:13], 0
	s_wait_dscnt 0x0
	v_mov_b64_e32 v[10:11], 0
	s_delay_alu instid0(VALU_DEP_4)
	v_cmp_lt_u64_e64 s2, v[44:45], v[26:27]
	s_and_saveexec_b32 s3, s2
	s_cbranch_execz .LBB42_423
; %bb.422:                              ;   in Loop: Header=BB42_417 Depth=1
	v_lshl_add_u64 v[2:3], v[44:45], 4, s[8:9]
	global_load_b128 v[10:13], v[2:3], off
.LBB42_423:                             ;   in Loop: Header=BB42_417 Depth=1
	s_wait_xcnt 0x0
	s_or_b32 exec_lo, exec_lo, s3
	v_add_nc_u64_e32 v[46:47], s[20:21], v[40:41]
	v_mov_b64_e32 v[2:3], 0
	s_delay_alu instid0(VALU_DEP_2)
	v_cmp_lt_u64_e64 s3, v[46:47], v[26:27]
	s_and_saveexec_b32 s4, s3
	s_cbranch_execz .LBB42_425
; %bb.424:                              ;   in Loop: Header=BB42_417 Depth=1
	v_lshl_add_u64 v[2:3], v[46:47], 4, s[8:9]
	global_load_b128 v[2:5], v[2:3], off
.LBB42_425:                             ;   in Loop: Header=BB42_417 Depth=1
	s_wait_xcnt 0x0
	s_or_b32 exec_lo, exec_lo, s4
	flat_store_b64 v[24:25], v[38:39] scope:SCOPE_SYS
	s_wait_storecnt 0x0
                                        ; implicit-def: $vgpr8_vgpr9
	s_mov_b32 s4, exec_lo
	s_wait_loadcnt 0x0
	v_cmpx_o_f64_e32 v[14:15], v[16:17]
	s_xor_b32 s7, exec_lo, s4
	s_cbranch_execz .LBB42_513
; %bb.426:                              ;   in Loop: Header=BB42_417 Depth=1
	v_max_num_f64_e64 v[50:51], |v[14:15]|, |v[14:15]|
	v_max_num_f64_e64 v[52:53], |v[16:17]|, |v[16:17]|
	v_cmp_gt_i64_e64 s4, 0, v[16:17]
                                        ; implicit-def: $vgpr8_vgpr9
	s_mov_b32 s5, exec_lo
	v_max_num_f64_e32 v[48:49], v[52:53], v[50:51]
	s_delay_alu instid0(VALU_DEP_1)
	v_cmpx_nlt_f64_e32 0x43300000, v[48:49]
	s_xor_b32 s33, exec_lo, s5
	s_cbranch_execz .LBB42_502
; %bb.427:                              ;   in Loop: Header=BB42_417 Depth=1
	v_cmp_neq_f64_e32 vcc_lo, 1.0, v[14:15]
	v_cmp_neq_f64_e64 s5, 0, v[16:17]
	v_xor_b32_e32 v9, 0x80000000, v17
	v_mov_b32_e32 v8, v16
	s_or_b32 s5, s5, vcc_lo
	s_delay_alu instid0(SALU_CYCLE_1) | instskip(NEXT) | instid1(SALU_CYCLE_1)
	s_and_saveexec_b32 s6, s5
	s_xor_b32 s46, exec_lo, s6
	s_cbranch_execz .LBB42_499
; %bb.428:                              ;   in Loop: Header=BB42_417 Depth=1
	flat_store_b32 v[28:29], v64 scope:SCOPE_SYS
	s_wait_storecnt 0x0
	flat_load_b32 v6, v[28:29] scope:SCOPE_SYS
	s_wait_loadcnt 0x0
	v_cmp_nlt_f64_e64 s5, |v[14:15]|, s[14:15]
	v_cmp_nlt_f64_e64 s6, |v[16:17]|, s[14:15]
	v_mov_b32_e32 v8, v16
	s_or_b32 s5, s6, s5
	s_wait_dscnt 0x0
	v_add_f32_e32 v6, 1.0, v6
	flat_store_b32 v[30:31], v6 scope:SCOPE_SYS
	s_wait_storecnt 0x0
	flat_load_b32 v6, v[30:31] scope:SCOPE_SYS
	s_wait_loadcnt 0x0
	s_wait_xcnt 0x0
	s_and_saveexec_b32 s6, s5
	s_delay_alu instid0(SALU_CYCLE_1)
	s_xor_b32 s47, exec_lo, s6
	s_cbranch_execz .LBB42_496
; %bb.429:                              ;   in Loop: Header=BB42_417 Depth=1
	s_wait_dscnt 0x0
	v_add_f64_e64 v[6:7], |v[14:15]|, -1.0
	v_add_f64_e64 v[50:51], |v[14:15]|, 1.0
	s_delay_alu instid0(VALU_DEP_2) | instskip(NEXT) | instid1(VALU_DEP_1)
	v_max_num_f64_e64 v[48:49], v[52:53], |v[6:7]|
	v_frexp_exp_i32_f64_e32 v68, v[48:49]
	s_delay_alu instid0(VALU_DEP_1) | instskip(NEXT) | instid1(VALU_DEP_1)
	v_dual_max_num_f64 v[8:9], v[52:53], v[50:51] :: v_dual_sub_nc_u32 v54, 0, v68
	v_frexp_exp_i32_f64_e32 v67, v[8:9]
	s_delay_alu instid0(VALU_DEP_2) | instskip(SKIP_1) | instid1(VALU_DEP_2)
	v_ldexp_f64 v[48:49], |v[6:7]|, v54
	v_ldexp_f64 v[54:55], |v[16:17]|, v54
	v_dual_mul_f64 v[48:49], v[48:49], v[48:49] :: v_dual_sub_nc_u32 v52, 0, v67
	s_delay_alu instid0(VALU_DEP_1) | instskip(NEXT) | instid1(VALU_DEP_2)
	v_ldexp_f64 v[8:9], v[50:51], v52
	v_fmac_f64_e32 v[48:49], v[54:55], v[54:55]
	s_delay_alu instid0(VALU_DEP_2) | instskip(SKIP_1) | instid1(VALU_DEP_3)
	v_mul_f64_e32 v[8:9], v[8:9], v[8:9]
	v_ldexp_f64 v[52:53], |v[16:17]|, v52
	v_rsq_f64_e32 v[54:55], v[48:49]
	v_cmp_eq_f64_e64 s5, 0, v[48:49]
	s_delay_alu instid0(VALU_DEP_2) | instskip(NEXT) | instid1(VALU_DEP_1)
	v_fmac_f64_e32 v[8:9], v[52:53], v[52:53]
	v_rsq_f64_e32 v[52:53], v[8:9]
	v_cmp_eq_f64_e32 vcc_lo, 0, v[8:9]
	s_delay_alu instid0(TRANS32_DEP_1) | instskip(SKIP_1) | instid1(VALU_DEP_1)
	v_mul_f64_e32 v[56:57], v[8:9], v[52:53]
	v_mul_f64_e32 v[52:53], 0.5, v[52:53]
	v_fma_f64 v[60:61], -v[52:53], v[56:57], 0.5
	s_delay_alu instid0(VALU_DEP_1) | instskip(SKIP_1) | instid1(VALU_DEP_2)
	v_fmac_f64_e32 v[56:57], v[56:57], v[60:61]
	v_fmac_f64_e32 v[52:53], v[52:53], v[60:61]
	v_fma_f64 v[60:61], -v[56:57], v[56:57], v[8:9]
	s_delay_alu instid0(VALU_DEP_1) | instskip(NEXT) | instid1(VALU_DEP_1)
	v_fmac_f64_e32 v[56:57], v[60:61], v[52:53]
	v_dual_cndmask_b32 v9, v57, v9 :: v_dual_cndmask_b32 v8, v56, v8
	v_cmp_neq_f64_e32 vcc_lo, 0x7ff00000, v[50:51]
	s_delay_alu instid0(VALU_DEP_2) | instskip(NEXT) | instid1(TRANS32_DEP_2)
	v_ldexp_f64 v[8:9], v[8:9], v67
	v_mul_f64_e32 v[58:59], v[48:49], v[54:55]
	v_mul_f64_e32 v[54:55], 0.5, v[54:55]
	s_delay_alu instid0(VALU_DEP_1) | instskip(NEXT) | instid1(VALU_DEP_1)
	v_fma_f64 v[62:63], -v[54:55], v[58:59], 0.5
	v_fmac_f64_e32 v[58:59], v[58:59], v[62:63]
	v_fmac_f64_e32 v[54:55], v[54:55], v[62:63]
	s_delay_alu instid0(VALU_DEP_2) | instskip(NEXT) | instid1(VALU_DEP_1)
	v_fma_f64 v[62:63], -v[58:59], v[58:59], v[48:49]
	v_fmac_f64_e32 v[58:59], v[62:63], v[54:55]
	v_cndmask_b32_e32 v55, 0x7ff00000, v9, vcc_lo
	s_delay_alu instid0(VALU_DEP_2) | instskip(NEXT) | instid1(VALU_DEP_3)
	v_dual_cndmask_b32 v54, 0, v8, vcc_lo :: v_dual_cndmask_b32 v49, v59, v49, s5
	v_cndmask_b32_e64 v48, v58, v48, s5
	v_cmp_neq_f64_e64 s5, 0x7ff00000, |v[6:7]|
	s_delay_alu instid0(VALU_DEP_2) | instskip(NEXT) | instid1(VALU_DEP_1)
	v_ldexp_f64 v[48:49], v[48:49], v68
	v_cndmask_b32_e64 v53, 0x7ff00000, v49, s5
	s_delay_alu instid0(VALU_DEP_2) | instskip(SKIP_1) | instid1(VALU_DEP_1)
	v_cndmask_b32_e64 v52, 0, v48, s5
	s_mov_b32 s5, exec_lo
	v_add_f64_e32 v[8:9], v[54:55], v[52:53]
	s_delay_alu instid0(VALU_DEP_1) | instskip(NEXT) | instid1(VALU_DEP_1)
	v_mul_f64_e32 v[8:9], 0.5, v[8:9]
	v_cmp_ngt_f64_e32 vcc_lo, 1.0, v[8:9]
	v_cndmask_b32_e32 v49, 0x3ff00000, v9, vcc_lo
	v_cndmask_b32_e32 v48, 0, v8, vcc_lo
                                        ; implicit-def: $vgpr8_vgpr9
	s_delay_alu instid0(VALU_DEP_1)
	v_cmpx_ngt_f64_e32 0x40240000, v[48:49]
	s_xor_b32 s5, exec_lo, s5
	s_cbranch_execz .LBB42_431
; %bb.430:                              ;   in Loop: Header=BB42_417 Depth=1
	v_fma_f64 v[8:9], v[48:49], v[48:49], -1.0
	s_delay_alu instid0(VALU_DEP_1) | instskip(SKIP_1) | instid1(VALU_DEP_1)
	v_cmp_gt_f64_e32 vcc_lo, 0x10000000, v[8:9]
	v_cndmask_b32_e64 v56, 0, 0x100, vcc_lo
	v_ldexp_f64 v[8:9], v[8:9], v56
	s_delay_alu instid0(VALU_DEP_1) | instskip(SKIP_1) | instid1(TRANS32_DEP_1)
	v_rsq_f64_e32 v[56:57], v[8:9]
	v_nop
	v_mul_f64_e32 v[58:59], v[8:9], v[56:57]
	v_mul_f64_e32 v[56:57], 0.5, v[56:57]
	s_delay_alu instid0(VALU_DEP_1) | instskip(NEXT) | instid1(VALU_DEP_1)
	v_fma_f64 v[60:61], -v[56:57], v[58:59], 0.5
	v_fmac_f64_e32 v[58:59], v[58:59], v[60:61]
	v_fmac_f64_e32 v[56:57], v[56:57], v[60:61]
	s_delay_alu instid0(VALU_DEP_2) | instskip(NEXT) | instid1(VALU_DEP_1)
	v_fma_f64 v[60:61], -v[58:59], v[58:59], v[8:9]
	v_fmac_f64_e32 v[58:59], v[60:61], v[56:57]
	s_delay_alu instid0(VALU_DEP_1) | instskip(NEXT) | instid1(VALU_DEP_1)
	v_fma_f64 v[60:61], -v[58:59], v[58:59], v[8:9]
	v_fmac_f64_e32 v[58:59], v[60:61], v[56:57]
	v_cndmask_b32_e64 v56, 0, 0xffffff80, vcc_lo
	v_cmp_class_f64_e64 vcc_lo, v[8:9], 0x260
	s_delay_alu instid0(VALU_DEP_2) | instskip(NEXT) | instid1(VALU_DEP_1)
	v_ldexp_f64 v[56:57], v[58:59], v56
	v_dual_cndmask_b32 v9, v57, v9 :: v_dual_cndmask_b32 v8, v56, v8
	s_delay_alu instid0(VALU_DEP_1) | instskip(NEXT) | instid1(VALU_DEP_1)
	v_add_f64_e32 v[8:9], v[48:49], v[8:9]
	v_frexp_mant_f64_e32 v[56:57], v[8:9]
	v_frexp_exp_i32_f64_e32 v67, v[8:9]
	s_delay_alu instid0(VALU_DEP_2) | instskip(SKIP_1) | instid1(VALU_DEP_3)
	v_cmp_gt_f64_e32 vcc_lo, s[16:17], v[56:57]
	v_cndmask_b32_e64 v58, 0, 1, vcc_lo
	v_subrev_co_ci_u32_e64 v67, null, 0, v67, vcc_lo
	v_cmp_class_f64_e64 vcc_lo, v[8:9], 0x204
	s_delay_alu instid0(VALU_DEP_3) | instskip(NEXT) | instid1(VALU_DEP_1)
	v_ldexp_f64 v[56:57], v[56:57], v58
	v_add_f64_e32 v[58:59], 1.0, v[56:57]
	v_add_f64_e32 v[68:69], -1.0, v[56:57]
	s_delay_alu instid0(VALU_DEP_2) | instskip(SKIP_1) | instid1(VALU_DEP_1)
	v_rcp_f64_e32 v[60:61], v[58:59]
	v_add_f64_e32 v[70:71], -1.0, v[58:59]
	v_add_f64_e64 v[56:57], v[56:57], -v[70:71]
	s_delay_alu instid0(TRANS32_DEP_1) | instskip(NEXT) | instid1(VALU_DEP_1)
	v_fma_f64 v[62:63], -v[58:59], v[60:61], 1.0
	v_fmac_f64_e32 v[60:61], v[62:63], v[60:61]
	s_delay_alu instid0(VALU_DEP_1) | instskip(NEXT) | instid1(VALU_DEP_1)
	v_fma_f64 v[62:63], -v[58:59], v[60:61], 1.0
	v_fmac_f64_e32 v[60:61], v[62:63], v[60:61]
	s_delay_alu instid0(VALU_DEP_1) | instskip(NEXT) | instid1(VALU_DEP_1)
	v_mul_f64_e32 v[62:63], v[68:69], v[60:61]
	v_mul_f64_e32 v[72:73], v[58:59], v[62:63]
	s_delay_alu instid0(VALU_DEP_1) | instskip(NEXT) | instid1(VALU_DEP_1)
	v_fma_f64 v[58:59], v[62:63], v[58:59], -v[72:73]
	v_fmac_f64_e32 v[58:59], v[62:63], v[56:57]
	s_delay_alu instid0(VALU_DEP_1) | instskip(NEXT) | instid1(VALU_DEP_1)
	v_add_f64_e32 v[56:57], v[72:73], v[58:59]
	v_add_f64_e64 v[70:71], v[68:69], -v[56:57]
	v_add_f64_e64 v[72:73], v[56:57], -v[72:73]
	s_delay_alu instid0(VALU_DEP_2) | instskip(NEXT) | instid1(VALU_DEP_2)
	v_add_f64_e64 v[68:69], v[68:69], -v[70:71]
	v_add_f64_e64 v[58:59], v[72:73], -v[58:59]
	s_delay_alu instid0(VALU_DEP_2) | instskip(NEXT) | instid1(VALU_DEP_1)
	v_add_f64_e64 v[56:57], v[68:69], -v[56:57]
	v_add_f64_e32 v[56:57], v[58:59], v[56:57]
	s_delay_alu instid0(VALU_DEP_1) | instskip(NEXT) | instid1(VALU_DEP_1)
	v_add_f64_e32 v[56:57], v[70:71], v[56:57]
	v_mul_f64_e32 v[56:57], v[60:61], v[56:57]
	s_delay_alu instid0(VALU_DEP_1) | instskip(NEXT) | instid1(VALU_DEP_1)
	v_add_f64_e32 v[58:59], v[62:63], v[56:57]
	v_mul_f64_e32 v[60:61], v[58:59], v[58:59]
	s_delay_alu instid0(VALU_DEP_1) | instskip(SKIP_1) | instid1(VALU_DEP_2)
	v_fmamk_f64 v[68:69], v[60:61], 0x3fc3ab76bf559e2b, v[32:33]
	v_mul_f64_e32 v[70:71], v[58:59], v[60:61]
	v_fmaak_f64 v[68:69], v[60:61], v[68:69], 0x3fc7474dd7f4df2e
	s_delay_alu instid0(VALU_DEP_1) | instskip(NEXT) | instid1(VALU_DEP_1)
	v_fmaak_f64 v[68:69], v[60:61], v[68:69], 0x3fcc71c016291751
	v_fmaak_f64 v[68:69], v[60:61], v[68:69], 0x3fd249249b27acf1
	s_delay_alu instid0(VALU_DEP_1) | instskip(NEXT) | instid1(VALU_DEP_1)
	v_fmaak_f64 v[68:69], v[60:61], v[68:69], 0x3fd99999998ef7b6
	v_fmaak_f64 v[60:61], v[60:61], v[68:69], 0x3fe5555555555780
	v_ldexp_f64 v[68:69], v[58:59], 1
	v_add_f64_e64 v[58:59], v[58:59], -v[62:63]
	s_delay_alu instid0(VALU_DEP_3) | instskip(SKIP_1) | instid1(VALU_DEP_3)
	v_mul_f64_e32 v[60:61], v[70:71], v[60:61]
	v_cvt_f64_i32_e32 v[70:71], v67
	v_add_f64_e64 v[56:57], v[56:57], -v[58:59]
	s_delay_alu instid0(VALU_DEP_3) | instskip(NEXT) | instid1(VALU_DEP_3)
	v_add_f64_e32 v[62:63], v[68:69], v[60:61]
	v_mul_f64_e32 v[72:73], 0x3fe62e42fefa39ef, v[70:71]
	s_delay_alu instid0(VALU_DEP_3) | instskip(NEXT) | instid1(VALU_DEP_3)
	v_ldexp_f64 v[56:57], v[56:57], 1
	v_add_f64_e64 v[58:59], v[62:63], -v[68:69]
	s_delay_alu instid0(VALU_DEP_3) | instskip(NEXT) | instid1(VALU_DEP_2)
	v_fma_f64 v[68:69], v[70:71], s[22:23], -v[72:73]
	v_add_f64_e64 v[58:59], v[60:61], -v[58:59]
	s_delay_alu instid0(VALU_DEP_2) | instskip(NEXT) | instid1(VALU_DEP_2)
	v_fmac_f64_e32 v[68:69], 0x3c7abc9e3b39803f, v[70:71]
	v_add_f64_e32 v[56:57], v[56:57], v[58:59]
	s_delay_alu instid0(VALU_DEP_2) | instskip(NEXT) | instid1(VALU_DEP_2)
	v_add_f64_e32 v[58:59], v[72:73], v[68:69]
	v_add_f64_e32 v[60:61], v[62:63], v[56:57]
	s_delay_alu instid0(VALU_DEP_2) | instskip(NEXT) | instid1(VALU_DEP_2)
	v_add_f64_e64 v[72:73], v[58:59], -v[72:73]
	v_add_f64_e32 v[70:71], v[58:59], v[60:61]
	v_add_f64_e64 v[62:63], v[60:61], -v[62:63]
	s_delay_alu instid0(VALU_DEP_3) | instskip(NEXT) | instid1(VALU_DEP_3)
	v_add_f64_e64 v[68:69], v[68:69], -v[72:73]
	v_add_f64_e64 v[74:75], v[70:71], -v[58:59]
	s_delay_alu instid0(VALU_DEP_3) | instskip(NEXT) | instid1(VALU_DEP_2)
	v_add_f64_e64 v[56:57], v[56:57], -v[62:63]
	v_add_f64_e64 v[76:77], v[70:71], -v[74:75]
	;; [unrolled: 1-line block ×3, first 2 shown]
	s_delay_alu instid0(VALU_DEP_3) | instskip(NEXT) | instid1(VALU_DEP_3)
	v_add_f64_e32 v[62:63], v[68:69], v[56:57]
	v_add_f64_e64 v[58:59], v[58:59], -v[76:77]
	s_delay_alu instid0(VALU_DEP_1) | instskip(NEXT) | instid1(VALU_DEP_3)
	v_add_f64_e32 v[58:59], v[60:61], v[58:59]
	v_add_f64_e64 v[60:61], v[62:63], -v[68:69]
	s_delay_alu instid0(VALU_DEP_2) | instskip(NEXT) | instid1(VALU_DEP_2)
	v_add_f64_e32 v[58:59], v[62:63], v[58:59]
	v_add_f64_e64 v[62:63], v[62:63], -v[60:61]
	v_add_f64_e64 v[56:57], v[56:57], -v[60:61]
	s_delay_alu instid0(VALU_DEP_3) | instskip(NEXT) | instid1(VALU_DEP_3)
	v_add_f64_e32 v[72:73], v[70:71], v[58:59]
	v_add_f64_e64 v[60:61], v[68:69], -v[62:63]
	s_delay_alu instid0(VALU_DEP_2) | instskip(NEXT) | instid1(VALU_DEP_2)
	v_add_f64_e64 v[62:63], v[72:73], -v[70:71]
	v_add_f64_e32 v[56:57], v[56:57], v[60:61]
	s_delay_alu instid0(VALU_DEP_2) | instskip(NEXT) | instid1(VALU_DEP_1)
	v_add_f64_e64 v[58:59], v[58:59], -v[62:63]
	v_add_f64_e32 v[56:57], v[56:57], v[58:59]
	s_delay_alu instid0(VALU_DEP_1) | instskip(NEXT) | instid1(VALU_DEP_1)
	v_add_f64_e32 v[56:57], v[72:73], v[56:57]
	v_dual_cndmask_b32 v56, v56, v8 :: v_dual_cndmask_b32 v57, v57, v9
	v_cmp_neq_f64_e32 vcc_lo, 0, v[8:9]
	s_delay_alu instid0(VALU_DEP_2) | instskip(NEXT) | instid1(VALU_DEP_3)
	v_cndmask_b32_e32 v9, 0xfff00000, v57, vcc_lo
	v_cndmask_b32_e32 v8, 0, v56, vcc_lo
.LBB42_431:                             ;   in Loop: Header=BB42_417 Depth=1
	s_or_saveexec_b32 s48, s5
	v_and_b32_e32 v57, 0x7fffffff, v17
	v_mov_b32_e32 v56, v16
	s_xor_b32 exec_lo, exec_lo, s48
	s_cbranch_execz .LBB42_453
; %bb.432:                              ;   in Loop: Header=BB42_417 Depth=1
	v_cmp_neq_f64_e64 s5, |v[14:15]|, 1.0
	v_cmp_ngt_f64_e64 s6, 0x39000000, |v[16:17]|
                                        ; implicit-def: $vgpr8_vgpr9
	s_or_b32 s5, s6, s5
	s_delay_alu instid0(SALU_CYCLE_1) | instskip(NEXT) | instid1(SALU_CYCLE_1)
	s_and_saveexec_b32 s6, s5
	s_xor_b32 s49, exec_lo, s6
	s_cbranch_execz .LBB42_450
; %bb.433:                              ;   in Loop: Header=BB42_417 Depth=1
	v_ldexp_f64 v[8:9], |v[6:7]|, 0xffffffcc
	s_delay_alu instid0(VALU_DEP_1) | instskip(SKIP_1) | instid1(SALU_CYCLE_1)
	v_cmp_ge_f64_e64 s5, |v[16:17]|, v[8:9]
                                        ; implicit-def: $vgpr8_vgpr9
	s_and_saveexec_b32 s6, s5
	s_xor_b32 s50, exec_lo, s6
	s_cbranch_execz .LBB42_443
; %bb.434:                              ;   in Loop: Header=BB42_417 Depth=1
	v_mov_b64_e32 v[8:9], v[56:57]
	s_mov_b32 s5, exec_lo
	v_cmpx_neq_f64_e32 0, v[50:51]
	s_cbranch_execz .LBB42_436
; %bb.435:                              ;   in Loop: Header=BB42_417 Depth=1
	v_mul_f64_e32 v[8:9], v[16:17], v[16:17]
	v_add_f64_e32 v[58:59], v[50:51], v[54:55]
	s_delay_alu instid0(VALU_DEP_1) | instskip(NEXT) | instid1(VALU_DEP_1)
	v_div_scale_f64 v[60:61], null, v[58:59], v[58:59], v[8:9]
	v_rcp_f64_e32 v[62:63], v[60:61]
	v_nop
	s_delay_alu instid0(TRANS32_DEP_1) | instskip(NEXT) | instid1(VALU_DEP_1)
	v_fma_f64 v[68:69], -v[60:61], v[62:63], 1.0
	v_fmac_f64_e32 v[62:63], v[62:63], v[68:69]
	s_delay_alu instid0(VALU_DEP_1) | instskip(NEXT) | instid1(VALU_DEP_1)
	v_fma_f64 v[68:69], -v[60:61], v[62:63], 1.0
	v_fmac_f64_e32 v[62:63], v[62:63], v[68:69]
	v_div_scale_f64 v[68:69], vcc_lo, v[8:9], v[58:59], v[8:9]
	s_delay_alu instid0(VALU_DEP_1) | instskip(NEXT) | instid1(VALU_DEP_1)
	v_mul_f64_e32 v[70:71], v[68:69], v[62:63]
	v_fma_f64 v[60:61], -v[60:61], v[70:71], v[68:69]
	s_delay_alu instid0(VALU_DEP_1) | instskip(NEXT) | instid1(VALU_DEP_1)
	v_div_fmas_f64 v[60:61], v[60:61], v[62:63], v[70:71]
	v_div_fixup_f64 v[8:9], v[60:61], v[58:59], v[8:9]
.LBB42_436:                             ;   in Loop: Header=BB42_417 Depth=1
	s_or_b32 exec_lo, exec_lo, s5
	v_add_f64_e64 v[60:61], -|v[14:15]|, 1.0
	s_mov_b32 s5, exec_lo
                                        ; implicit-def: $vgpr58_vgpr59
	s_delay_alu instid0(VALU_DEP_1)
	v_cmpx_ngt_f64_e32 0, v[60:61]
	s_xor_b32 s5, exec_lo, s5
	s_cbranch_execz .LBB42_440
; %bb.437:                              ;   in Loop: Header=BB42_417 Depth=1
	v_mov_b64_e32 v[58:59], v[56:57]
	s_mov_b32 s6, exec_lo
	v_cmpx_neq_f64_e32 0, v[60:61]
	s_cbranch_execz .LBB42_439
; %bb.438:                              ;   in Loop: Header=BB42_417 Depth=1
	v_mul_f64_e32 v[58:59], v[16:17], v[16:17]
	v_add_f64_e32 v[60:61], v[60:61], v[52:53]
	s_delay_alu instid0(VALU_DEP_1) | instskip(NEXT) | instid1(VALU_DEP_1)
	v_div_scale_f64 v[62:63], null, v[60:61], v[60:61], v[58:59]
	v_rcp_f64_e32 v[68:69], v[62:63]
	v_nop
	s_delay_alu instid0(TRANS32_DEP_1) | instskip(NEXT) | instid1(VALU_DEP_1)
	v_fma_f64 v[70:71], -v[62:63], v[68:69], 1.0
	v_fmac_f64_e32 v[68:69], v[68:69], v[70:71]
	s_delay_alu instid0(VALU_DEP_1) | instskip(NEXT) | instid1(VALU_DEP_1)
	v_fma_f64 v[70:71], -v[62:63], v[68:69], 1.0
	v_fmac_f64_e32 v[68:69], v[68:69], v[70:71]
	v_div_scale_f64 v[70:71], vcc_lo, v[58:59], v[60:61], v[58:59]
	s_delay_alu instid0(VALU_DEP_1) | instskip(NEXT) | instid1(VALU_DEP_1)
	v_mul_f64_e32 v[72:73], v[70:71], v[68:69]
	v_fma_f64 v[62:63], -v[62:63], v[72:73], v[70:71]
	s_delay_alu instid0(VALU_DEP_1) | instskip(NEXT) | instid1(VALU_DEP_1)
	v_div_fmas_f64 v[62:63], v[62:63], v[68:69], v[72:73]
	v_div_fixup_f64 v[58:59], v[62:63], v[60:61], v[58:59]
.LBB42_439:                             ;   in Loop: Header=BB42_417 Depth=1
	s_or_b32 exec_lo, exec_lo, s6
                                        ; implicit-def: $vgpr60_vgpr61
.LBB42_440:                             ;   in Loop: Header=BB42_417 Depth=1
	s_and_not1_saveexec_b32 s5, s5
; %bb.441:                              ;   in Loop: Header=BB42_417 Depth=1
	v_add_f64_e64 v[58:59], v[52:53], -v[60:61]
; %bb.442:                              ;   in Loop: Header=BB42_417 Depth=1
	s_or_b32 exec_lo, exec_lo, s5
	s_delay_alu instid0(VALU_DEP_1) | instskip(SKIP_1) | instid1(VALU_DEP_2)
	v_mul_f64_e32 v[58:59], 0.5, v[58:59]
	v_add_f64_e32 v[60:61], 1.0, v[48:49]
	v_fmac_f64_e32 v[58:59], 0.5, v[8:9]
	s_delay_alu instid0(VALU_DEP_1) | instskip(NEXT) | instid1(VALU_DEP_1)
	v_mul_f64_e32 v[8:9], v[60:61], v[58:59]
	v_cmp_gt_f64_e32 vcc_lo, 0x10000000, v[8:9]
	v_cndmask_b32_e64 v60, 0, 0x100, vcc_lo
	s_delay_alu instid0(VALU_DEP_1) | instskip(NEXT) | instid1(VALU_DEP_1)
	v_ldexp_f64 v[8:9], v[8:9], v60
	v_rsq_f64_e32 v[60:61], v[8:9]
	v_nop
	s_delay_alu instid0(TRANS32_DEP_1) | instskip(SKIP_1) | instid1(VALU_DEP_1)
	v_mul_f64_e32 v[62:63], v[8:9], v[60:61]
	v_mul_f64_e32 v[60:61], 0.5, v[60:61]
	v_fma_f64 v[68:69], -v[60:61], v[62:63], 0.5
	s_delay_alu instid0(VALU_DEP_1) | instskip(SKIP_1) | instid1(VALU_DEP_2)
	v_fmac_f64_e32 v[62:63], v[62:63], v[68:69]
	v_fmac_f64_e32 v[60:61], v[60:61], v[68:69]
	v_fma_f64 v[68:69], -v[62:63], v[62:63], v[8:9]
	s_delay_alu instid0(VALU_DEP_1) | instskip(NEXT) | instid1(VALU_DEP_1)
	v_fmac_f64_e32 v[62:63], v[68:69], v[60:61]
	v_fma_f64 v[68:69], -v[62:63], v[62:63], v[8:9]
	s_delay_alu instid0(VALU_DEP_1) | instskip(SKIP_2) | instid1(VALU_DEP_2)
	v_fmac_f64_e32 v[62:63], v[68:69], v[60:61]
	v_cndmask_b32_e64 v60, 0, 0xffffff80, vcc_lo
	v_cmp_class_f64_e64 vcc_lo, v[8:9], 0x260
	v_ldexp_f64 v[60:61], v[62:63], v60
	s_delay_alu instid0(VALU_DEP_1) | instskip(NEXT) | instid1(VALU_DEP_1)
	v_dual_cndmask_b32 v9, v61, v9 :: v_dual_cndmask_b32 v8, v60, v8
	v_add_f64_e32 v[58:59], v[58:59], v[8:9]
	s_delay_alu instid0(VALU_DEP_1) | instskip(SKIP_2) | instid1(VALU_DEP_3)
	v_add_f64_e32 v[8:9], 1.0, v[58:59]
	v_cmp_neq_f64_e64 s5, 0x7ff00000, v[58:59]
	v_cmp_ngt_f64_e64 s6, -1.0, v[58:59]
	v_frexp_mant_f64_e32 v[60:61], v[8:9]
	v_frexp_exp_i32_f64_e32 v67, v[8:9]
	v_add_f64_e32 v[62:63], -1.0, v[8:9]
	s_delay_alu instid0(VALU_DEP_3) | instskip(NEXT) | instid1(VALU_DEP_2)
	v_cmp_gt_f64_e32 vcc_lo, s[16:17], v[60:61]
	v_add_f64_e64 v[60:61], v[62:63], -v[8:9]
	v_add_f64_e64 v[62:63], v[58:59], -v[62:63]
	v_subrev_co_ci_u32_e64 v67, null, 0, v67, vcc_lo
	s_delay_alu instid0(VALU_DEP_3) | instskip(SKIP_1) | instid1(VALU_DEP_3)
	v_add_f64_e32 v[60:61], 1.0, v[60:61]
	v_cmp_nge_f64_e32 vcc_lo, -1.0, v[58:59]
	v_sub_nc_u32_e32 v70, 0, v67
	s_delay_alu instid0(VALU_DEP_1) | instskip(NEXT) | instid1(VALU_DEP_4)
	v_ldexp_f64 v[8:9], v[8:9], v70
	v_add_f64_e32 v[60:61], v[62:63], v[60:61]
	s_and_b32 vcc_lo, vcc_lo, s5
	s_delay_alu instid0(VALU_DEP_2) | instskip(SKIP_1) | instid1(VALU_DEP_3)
	v_add_f64_e32 v[68:69], 1.0, v[8:9]
	v_add_f64_e32 v[74:75], -1.0, v[8:9]
	v_ldexp_f64 v[60:61], v[60:61], v70
	s_delay_alu instid0(VALU_DEP_3) | instskip(NEXT) | instid1(VALU_DEP_3)
	v_add_f64_e32 v[62:63], -1.0, v[68:69]
	v_add_f64_e32 v[76:77], 1.0, v[74:75]
	s_delay_alu instid0(VALU_DEP_2) | instskip(NEXT) | instid1(VALU_DEP_2)
	v_add_f64_e64 v[62:63], v[8:9], -v[62:63]
	v_add_f64_e64 v[8:9], v[8:9], -v[76:77]
	s_delay_alu instid0(VALU_DEP_2) | instskip(NEXT) | instid1(VALU_DEP_2)
	v_add_f64_e32 v[62:63], v[60:61], v[62:63]
	v_add_f64_e32 v[8:9], v[60:61], v[8:9]
	s_delay_alu instid0(VALU_DEP_2) | instskip(NEXT) | instid1(VALU_DEP_2)
	v_add_f64_e32 v[70:71], v[68:69], v[62:63]
	v_add_f64_e32 v[76:77], v[74:75], v[8:9]
	s_delay_alu instid0(VALU_DEP_2) | instskip(SKIP_1) | instid1(VALU_DEP_2)
	v_rcp_f64_e32 v[72:73], v[70:71]
	v_add_f64_e64 v[68:69], v[70:71], -v[68:69]
	v_add_f64_e64 v[74:75], v[76:77], -v[74:75]
	s_delay_alu instid0(VALU_DEP_2) | instskip(NEXT) | instid1(VALU_DEP_2)
	v_add_f64_e64 v[62:63], v[62:63], -v[68:69]
	v_add_f64_e64 v[8:9], v[8:9], -v[74:75]
	s_delay_alu instid0(TRANS32_DEP_1) | instskip(NEXT) | instid1(VALU_DEP_1)
	v_fma_f64 v[78:79], -v[70:71], v[72:73], 1.0
	v_fmac_f64_e32 v[72:73], v[78:79], v[72:73]
	s_delay_alu instid0(VALU_DEP_1) | instskip(NEXT) | instid1(VALU_DEP_1)
	v_fma_f64 v[60:61], -v[70:71], v[72:73], 1.0
	v_fmac_f64_e32 v[72:73], v[60:61], v[72:73]
	s_delay_alu instid0(VALU_DEP_1) | instskip(NEXT) | instid1(VALU_DEP_1)
	v_mul_f64_e32 v[60:61], v[76:77], v[72:73]
	v_mul_f64_e32 v[78:79], v[70:71], v[60:61]
	s_delay_alu instid0(VALU_DEP_1) | instskip(NEXT) | instid1(VALU_DEP_1)
	v_fma_f64 v[68:69], v[60:61], v[70:71], -v[78:79]
	v_fmac_f64_e32 v[68:69], v[60:61], v[62:63]
	s_delay_alu instid0(VALU_DEP_1) | instskip(NEXT) | instid1(VALU_DEP_1)
	v_add_f64_e32 v[80:81], v[78:79], v[68:69]
	v_add_f64_e64 v[82:83], v[76:77], -v[80:81]
	v_add_f64_e64 v[74:75], v[80:81], -v[78:79]
	s_delay_alu instid0(VALU_DEP_2) | instskip(NEXT) | instid1(VALU_DEP_2)
	v_add_f64_e64 v[76:77], v[76:77], -v[82:83]
	v_add_f64_e64 v[68:69], v[74:75], -v[68:69]
	s_delay_alu instid0(VALU_DEP_2) | instskip(NEXT) | instid1(VALU_DEP_1)
	v_add_f64_e64 v[76:77], v[76:77], -v[80:81]
	v_add_f64_e32 v[8:9], v[8:9], v[76:77]
	s_delay_alu instid0(VALU_DEP_1) | instskip(NEXT) | instid1(VALU_DEP_1)
	v_add_f64_e32 v[8:9], v[68:69], v[8:9]
	v_add_f64_e32 v[68:69], v[82:83], v[8:9]
	s_delay_alu instid0(VALU_DEP_1) | instskip(SKIP_1) | instid1(VALU_DEP_2)
	v_mul_f64_e32 v[74:75], v[72:73], v[68:69]
	v_add_f64_e64 v[80:81], v[82:83], -v[68:69]
	v_mul_f64_e32 v[76:77], v[70:71], v[74:75]
	s_delay_alu instid0(VALU_DEP_2) | instskip(NEXT) | instid1(VALU_DEP_2)
	v_add_f64_e32 v[8:9], v[8:9], v[80:81]
	v_fma_f64 v[70:71], v[74:75], v[70:71], -v[76:77]
	s_delay_alu instid0(VALU_DEP_1) | instskip(NEXT) | instid1(VALU_DEP_1)
	v_fmac_f64_e32 v[70:71], v[74:75], v[62:63]
	v_add_f64_e32 v[62:63], v[76:77], v[70:71]
	s_delay_alu instid0(VALU_DEP_1) | instskip(SKIP_1) | instid1(VALU_DEP_2)
	v_add_f64_e64 v[78:79], v[68:69], -v[62:63]
	v_add_f64_e64 v[76:77], v[62:63], -v[76:77]
	;; [unrolled: 1-line block ×3, first 2 shown]
	s_delay_alu instid0(VALU_DEP_1) | instskip(NEXT) | instid1(VALU_DEP_3)
	v_add_f64_e64 v[62:63], v[68:69], -v[62:63]
	v_add_f64_e64 v[68:69], v[76:77], -v[70:71]
	s_delay_alu instid0(VALU_DEP_2) | instskip(SKIP_1) | instid1(VALU_DEP_2)
	v_add_f64_e32 v[8:9], v[8:9], v[62:63]
	v_add_f64_e32 v[62:63], v[60:61], v[74:75]
	;; [unrolled: 1-line block ×3, first 2 shown]
	s_delay_alu instid0(VALU_DEP_2) | instskip(NEXT) | instid1(VALU_DEP_2)
	v_add_f64_e64 v[60:61], v[62:63], -v[60:61]
	v_add_f64_e32 v[8:9], v[78:79], v[8:9]
	s_delay_alu instid0(VALU_DEP_2) | instskip(NEXT) | instid1(VALU_DEP_2)
	v_add_f64_e64 v[60:61], v[74:75], -v[60:61]
	v_mul_f64_e32 v[8:9], v[72:73], v[8:9]
	s_delay_alu instid0(VALU_DEP_1) | instskip(NEXT) | instid1(VALU_DEP_1)
	v_add_f64_e32 v[8:9], v[60:61], v[8:9]
	v_add_f64_e32 v[60:61], v[62:63], v[8:9]
	s_delay_alu instid0(VALU_DEP_1) | instskip(NEXT) | instid1(VALU_DEP_1)
	v_mul_f64_e32 v[68:69], v[60:61], v[60:61]
	v_fmamk_f64 v[70:71], v[68:69], 0x3fc3ab76bf559e2b, v[32:33]
	v_mul_f64_e32 v[72:73], v[60:61], v[68:69]
	s_delay_alu instid0(VALU_DEP_2) | instskip(NEXT) | instid1(VALU_DEP_1)
	v_fmaak_f64 v[70:71], v[68:69], v[70:71], 0x3fc7474dd7f4df2e
	v_fmaak_f64 v[70:71], v[68:69], v[70:71], 0x3fcc71c016291751
	s_delay_alu instid0(VALU_DEP_1) | instskip(NEXT) | instid1(VALU_DEP_1)
	v_fmaak_f64 v[70:71], v[68:69], v[70:71], 0x3fd249249b27acf1
	v_fmaak_f64 v[70:71], v[68:69], v[70:71], 0x3fd99999998ef7b6
	s_delay_alu instid0(VALU_DEP_1) | instskip(SKIP_2) | instid1(VALU_DEP_3)
	v_fmaak_f64 v[68:69], v[68:69], v[70:71], 0x3fe5555555555780
	v_ldexp_f64 v[70:71], v[60:61], 1
	v_add_f64_e64 v[60:61], v[60:61], -v[62:63]
	v_mul_f64_e32 v[68:69], v[72:73], v[68:69]
	v_cvt_f64_i32_e32 v[72:73], v67
	s_delay_alu instid0(VALU_DEP_3) | instskip(NEXT) | instid1(VALU_DEP_3)
	v_add_f64_e64 v[8:9], v[8:9], -v[60:61]
	v_add_f64_e32 v[62:63], v[70:71], v[68:69]
	s_delay_alu instid0(VALU_DEP_3) | instskip(NEXT) | instid1(VALU_DEP_3)
	v_mul_f64_e32 v[74:75], 0x3fe62e42fefa39ef, v[72:73]
	v_ldexp_f64 v[8:9], v[8:9], 1
	s_delay_alu instid0(VALU_DEP_3) | instskip(NEXT) | instid1(VALU_DEP_3)
	v_add_f64_e64 v[60:61], v[62:63], -v[70:71]
	v_fma_f64 v[70:71], v[72:73], s[22:23], -v[74:75]
	s_delay_alu instid0(VALU_DEP_2) | instskip(NEXT) | instid1(VALU_DEP_2)
	v_add_f64_e64 v[60:61], v[68:69], -v[60:61]
	v_fmac_f64_e32 v[70:71], 0x3c7abc9e3b39803f, v[72:73]
	s_delay_alu instid0(VALU_DEP_2) | instskip(NEXT) | instid1(VALU_DEP_2)
	v_add_f64_e32 v[8:9], v[8:9], v[60:61]
	v_add_f64_e32 v[60:61], v[74:75], v[70:71]
	s_delay_alu instid0(VALU_DEP_2) | instskip(NEXT) | instid1(VALU_DEP_2)
	v_add_f64_e32 v[68:69], v[62:63], v[8:9]
	v_add_f64_e64 v[74:75], v[60:61], -v[74:75]
	s_delay_alu instid0(VALU_DEP_2) | instskip(SKIP_1) | instid1(VALU_DEP_3)
	v_add_f64_e32 v[72:73], v[60:61], v[68:69]
	v_add_f64_e64 v[62:63], v[68:69], -v[62:63]
	v_add_f64_e64 v[70:71], v[70:71], -v[74:75]
	s_delay_alu instid0(VALU_DEP_3) | instskip(NEXT) | instid1(VALU_DEP_3)
	v_add_f64_e64 v[76:77], v[72:73], -v[60:61]
	v_add_f64_e64 v[8:9], v[8:9], -v[62:63]
	s_delay_alu instid0(VALU_DEP_2) | instskip(SKIP_1) | instid1(VALU_DEP_3)
	v_add_f64_e64 v[78:79], v[72:73], -v[76:77]
	v_add_f64_e64 v[62:63], v[68:69], -v[76:77]
	v_add_f64_e32 v[68:69], v[70:71], v[8:9]
	s_delay_alu instid0(VALU_DEP_3) | instskip(NEXT) | instid1(VALU_DEP_1)
	v_add_f64_e64 v[60:61], v[60:61], -v[78:79]
	v_add_f64_e32 v[60:61], v[62:63], v[60:61]
	s_delay_alu instid0(VALU_DEP_3) | instskip(NEXT) | instid1(VALU_DEP_2)
	v_add_f64_e64 v[62:63], v[68:69], -v[70:71]
	v_add_f64_e32 v[60:61], v[68:69], v[60:61]
	s_delay_alu instid0(VALU_DEP_2) | instskip(SKIP_1) | instid1(VALU_DEP_3)
	v_add_f64_e64 v[68:69], v[68:69], -v[62:63]
	v_add_f64_e64 v[8:9], v[8:9], -v[62:63]
	v_add_f64_e32 v[74:75], v[72:73], v[60:61]
	s_delay_alu instid0(VALU_DEP_3) | instskip(NEXT) | instid1(VALU_DEP_2)
	v_add_f64_e64 v[68:69], v[70:71], -v[68:69]
	v_add_f64_e64 v[62:63], v[74:75], -v[72:73]
	s_delay_alu instid0(VALU_DEP_2) | instskip(NEXT) | instid1(VALU_DEP_2)
	v_add_f64_e32 v[8:9], v[8:9], v[68:69]
	v_add_f64_e64 v[60:61], v[60:61], -v[62:63]
	s_delay_alu instid0(VALU_DEP_1) | instskip(NEXT) | instid1(VALU_DEP_1)
	v_add_f64_e32 v[8:9], v[8:9], v[60:61]
	v_add_f64_e32 v[8:9], v[74:75], v[8:9]
	s_delay_alu instid0(VALU_DEP_1) | instskip(SKIP_1) | instid1(VALU_DEP_3)
	v_cndmask_b32_e32 v8, 0, v8, vcc_lo
	v_cmp_neq_f64_e32 vcc_lo, -1.0, v[58:59]
	v_cndmask_b32_e64 v9, 0x7ff00000, v9, s5
	s_delay_alu instid0(VALU_DEP_1) | instskip(NEXT) | instid1(VALU_DEP_1)
	v_cndmask_b32_e64 v9, 0x7ff80000, v9, s6
	v_cndmask_b32_e32 v9, 0xfff00000, v9, vcc_lo
.LBB42_443:                             ;   in Loop: Header=BB42_417 Depth=1
	s_and_not1_saveexec_b32 s50, s50
	s_cbranch_execz .LBB42_449
; %bb.444:                              ;   in Loop: Header=BB42_417 Depth=1
                                        ; implicit-def: $vgpr8_vgpr9
	s_mov_b32 s6, exec_lo
	v_cmpx_nlt_f64_e64 |v[14:15]|, 1.0
	s_xor_b32 s51, exec_lo, s6
	s_cbranch_execz .LBB42_446
; %bb.445:                              ;   in Loop: Header=BB42_417 Depth=1
	v_mul_f64_e32 v[8:9], v[6:7], v[50:51]
	s_delay_alu instid0(VALU_DEP_1) | instskip(SKIP_1) | instid1(VALU_DEP_1)
	v_cmp_gt_f64_e32 vcc_lo, 0x10000000, v[8:9]
	v_cndmask_b32_e64 v58, 0, 0x100, vcc_lo
	v_ldexp_f64 v[8:9], v[8:9], v58
	s_delay_alu instid0(VALU_DEP_1) | instskip(SKIP_1) | instid1(TRANS32_DEP_1)
	v_rsq_f64_e32 v[58:59], v[8:9]
	v_nop
	v_mul_f64_e32 v[60:61], v[8:9], v[58:59]
	v_mul_f64_e32 v[58:59], 0.5, v[58:59]
	s_delay_alu instid0(VALU_DEP_1) | instskip(NEXT) | instid1(VALU_DEP_1)
	v_fma_f64 v[62:63], -v[58:59], v[60:61], 0.5
	v_fmac_f64_e32 v[60:61], v[60:61], v[62:63]
	v_fmac_f64_e32 v[58:59], v[58:59], v[62:63]
	s_delay_alu instid0(VALU_DEP_2) | instskip(NEXT) | instid1(VALU_DEP_1)
	v_fma_f64 v[62:63], -v[60:61], v[60:61], v[8:9]
	v_fmac_f64_e32 v[60:61], v[62:63], v[58:59]
	s_delay_alu instid0(VALU_DEP_1) | instskip(NEXT) | instid1(VALU_DEP_1)
	v_fma_f64 v[62:63], -v[60:61], v[60:61], v[8:9]
	v_fmac_f64_e32 v[60:61], v[62:63], v[58:59]
	v_cndmask_b32_e64 v58, 0, 0xffffff80, vcc_lo
	v_cmp_class_f64_e64 vcc_lo, v[8:9], 0x260
	s_delay_alu instid0(VALU_DEP_2) | instskip(NEXT) | instid1(VALU_DEP_1)
	v_ldexp_f64 v[58:59], v[60:61], v58
	v_dual_cndmask_b32 v9, v59, v9 :: v_dual_cndmask_b32 v8, v58, v8
	s_delay_alu instid0(VALU_DEP_1) | instskip(NEXT) | instid1(VALU_DEP_1)
	v_add_f64_e32 v[58:59], v[6:7], v[8:9]
	v_add_f64_e32 v[8:9], 1.0, v[58:59]
	v_cmp_neq_f64_e64 s5, 0x7ff00000, v[58:59]
	v_cmp_ngt_f64_e64 s6, -1.0, v[58:59]
	s_delay_alu instid0(VALU_DEP_3) | instskip(SKIP_2) | instid1(VALU_DEP_3)
	v_frexp_mant_f64_e32 v[60:61], v[8:9]
	v_frexp_exp_i32_f64_e32 v67, v[8:9]
	v_add_f64_e32 v[62:63], -1.0, v[8:9]
	v_cmp_gt_f64_e32 vcc_lo, s[16:17], v[60:61]
	s_delay_alu instid0(VALU_DEP_2) | instskip(SKIP_2) | instid1(VALU_DEP_3)
	v_add_f64_e64 v[60:61], v[62:63], -v[8:9]
	v_add_f64_e64 v[62:63], v[58:59], -v[62:63]
	v_subrev_co_ci_u32_e64 v67, null, 0, v67, vcc_lo
	v_add_f64_e32 v[60:61], 1.0, v[60:61]
	v_cmp_nge_f64_e32 vcc_lo, -1.0, v[58:59]
	s_delay_alu instid0(VALU_DEP_3) | instskip(NEXT) | instid1(VALU_DEP_1)
	v_sub_nc_u32_e32 v70, 0, v67
	v_ldexp_f64 v[8:9], v[8:9], v70
	s_delay_alu instid0(VALU_DEP_4) | instskip(SKIP_1) | instid1(VALU_DEP_2)
	v_add_f64_e32 v[60:61], v[62:63], v[60:61]
	s_and_b32 vcc_lo, vcc_lo, s5
	v_add_f64_e32 v[68:69], 1.0, v[8:9]
	v_add_f64_e32 v[74:75], -1.0, v[8:9]
	s_delay_alu instid0(VALU_DEP_3) | instskip(NEXT) | instid1(VALU_DEP_3)
	v_ldexp_f64 v[60:61], v[60:61], v70
	v_add_f64_e32 v[62:63], -1.0, v[68:69]
	s_delay_alu instid0(VALU_DEP_3) | instskip(NEXT) | instid1(VALU_DEP_2)
	v_add_f64_e32 v[76:77], 1.0, v[74:75]
	v_add_f64_e64 v[62:63], v[8:9], -v[62:63]
	s_delay_alu instid0(VALU_DEP_2) | instskip(NEXT) | instid1(VALU_DEP_2)
	v_add_f64_e64 v[8:9], v[8:9], -v[76:77]
	v_add_f64_e32 v[62:63], v[60:61], v[62:63]
	s_delay_alu instid0(VALU_DEP_2) | instskip(NEXT) | instid1(VALU_DEP_2)
	v_add_f64_e32 v[8:9], v[60:61], v[8:9]
	v_add_f64_e32 v[70:71], v[68:69], v[62:63]
	s_delay_alu instid0(VALU_DEP_2) | instskip(NEXT) | instid1(VALU_DEP_2)
	v_add_f64_e32 v[76:77], v[74:75], v[8:9]
	v_rcp_f64_e32 v[72:73], v[70:71]
	v_add_f64_e64 v[68:69], v[70:71], -v[68:69]
	s_delay_alu instid0(VALU_DEP_2) | instskip(NEXT) | instid1(VALU_DEP_2)
	v_add_f64_e64 v[74:75], v[76:77], -v[74:75]
	v_add_f64_e64 v[62:63], v[62:63], -v[68:69]
	s_delay_alu instid0(VALU_DEP_2) | instskip(NEXT) | instid1(TRANS32_DEP_1)
	v_add_f64_e64 v[8:9], v[8:9], -v[74:75]
	v_fma_f64 v[78:79], -v[70:71], v[72:73], 1.0
	s_delay_alu instid0(VALU_DEP_1) | instskip(NEXT) | instid1(VALU_DEP_1)
	v_fmac_f64_e32 v[72:73], v[78:79], v[72:73]
	v_fma_f64 v[60:61], -v[70:71], v[72:73], 1.0
	s_delay_alu instid0(VALU_DEP_1) | instskip(NEXT) | instid1(VALU_DEP_1)
	v_fmac_f64_e32 v[72:73], v[60:61], v[72:73]
	v_mul_f64_e32 v[60:61], v[76:77], v[72:73]
	s_delay_alu instid0(VALU_DEP_1) | instskip(NEXT) | instid1(VALU_DEP_1)
	v_mul_f64_e32 v[78:79], v[70:71], v[60:61]
	v_fma_f64 v[68:69], v[60:61], v[70:71], -v[78:79]
	s_delay_alu instid0(VALU_DEP_1) | instskip(NEXT) | instid1(VALU_DEP_1)
	v_fmac_f64_e32 v[68:69], v[60:61], v[62:63]
	v_add_f64_e32 v[80:81], v[78:79], v[68:69]
	s_delay_alu instid0(VALU_DEP_1) | instskip(SKIP_1) | instid1(VALU_DEP_2)
	v_add_f64_e64 v[82:83], v[76:77], -v[80:81]
	v_add_f64_e64 v[74:75], v[80:81], -v[78:79]
	;; [unrolled: 1-line block ×3, first 2 shown]
	s_delay_alu instid0(VALU_DEP_2) | instskip(NEXT) | instid1(VALU_DEP_2)
	v_add_f64_e64 v[68:69], v[74:75], -v[68:69]
	v_add_f64_e64 v[76:77], v[76:77], -v[80:81]
	s_delay_alu instid0(VALU_DEP_1) | instskip(NEXT) | instid1(VALU_DEP_1)
	v_add_f64_e32 v[8:9], v[8:9], v[76:77]
	v_add_f64_e32 v[8:9], v[68:69], v[8:9]
	s_delay_alu instid0(VALU_DEP_1) | instskip(NEXT) | instid1(VALU_DEP_1)
	v_add_f64_e32 v[68:69], v[82:83], v[8:9]
	v_mul_f64_e32 v[74:75], v[72:73], v[68:69]
	v_add_f64_e64 v[80:81], v[82:83], -v[68:69]
	s_delay_alu instid0(VALU_DEP_2) | instskip(NEXT) | instid1(VALU_DEP_2)
	v_mul_f64_e32 v[76:77], v[70:71], v[74:75]
	v_add_f64_e32 v[8:9], v[8:9], v[80:81]
	s_delay_alu instid0(VALU_DEP_2) | instskip(NEXT) | instid1(VALU_DEP_1)
	v_fma_f64 v[70:71], v[74:75], v[70:71], -v[76:77]
	v_fmac_f64_e32 v[70:71], v[74:75], v[62:63]
	s_delay_alu instid0(VALU_DEP_1) | instskip(NEXT) | instid1(VALU_DEP_1)
	v_add_f64_e32 v[62:63], v[76:77], v[70:71]
	v_add_f64_e64 v[78:79], v[68:69], -v[62:63]
	v_add_f64_e64 v[76:77], v[62:63], -v[76:77]
	s_delay_alu instid0(VALU_DEP_2) | instskip(NEXT) | instid1(VALU_DEP_1)
	v_add_f64_e64 v[68:69], v[68:69], -v[78:79]
	v_add_f64_e64 v[62:63], v[68:69], -v[62:63]
	s_delay_alu instid0(VALU_DEP_3) | instskip(NEXT) | instid1(VALU_DEP_2)
	v_add_f64_e64 v[68:69], v[76:77], -v[70:71]
	v_add_f64_e32 v[8:9], v[8:9], v[62:63]
	v_add_f64_e32 v[62:63], v[60:61], v[74:75]
	s_delay_alu instid0(VALU_DEP_2) | instskip(NEXT) | instid1(VALU_DEP_2)
	v_add_f64_e32 v[8:9], v[68:69], v[8:9]
	v_add_f64_e64 v[60:61], v[62:63], -v[60:61]
	s_delay_alu instid0(VALU_DEP_2) | instskip(NEXT) | instid1(VALU_DEP_2)
	v_add_f64_e32 v[8:9], v[78:79], v[8:9]
	v_add_f64_e64 v[60:61], v[74:75], -v[60:61]
	s_delay_alu instid0(VALU_DEP_2) | instskip(NEXT) | instid1(VALU_DEP_1)
	v_mul_f64_e32 v[8:9], v[72:73], v[8:9]
	v_add_f64_e32 v[8:9], v[60:61], v[8:9]
	s_delay_alu instid0(VALU_DEP_1) | instskip(NEXT) | instid1(VALU_DEP_1)
	v_add_f64_e32 v[60:61], v[62:63], v[8:9]
	v_mul_f64_e32 v[68:69], v[60:61], v[60:61]
	s_delay_alu instid0(VALU_DEP_1) | instskip(SKIP_1) | instid1(VALU_DEP_2)
	v_fmamk_f64 v[70:71], v[68:69], 0x3fc3ab76bf559e2b, v[32:33]
	v_mul_f64_e32 v[72:73], v[60:61], v[68:69]
	v_fmaak_f64 v[70:71], v[68:69], v[70:71], 0x3fc7474dd7f4df2e
	s_delay_alu instid0(VALU_DEP_1) | instskip(NEXT) | instid1(VALU_DEP_1)
	v_fmaak_f64 v[70:71], v[68:69], v[70:71], 0x3fcc71c016291751
	v_fmaak_f64 v[70:71], v[68:69], v[70:71], 0x3fd249249b27acf1
	s_delay_alu instid0(VALU_DEP_1) | instskip(NEXT) | instid1(VALU_DEP_1)
	v_fmaak_f64 v[70:71], v[68:69], v[70:71], 0x3fd99999998ef7b6
	v_fmaak_f64 v[68:69], v[68:69], v[70:71], 0x3fe5555555555780
	v_ldexp_f64 v[70:71], v[60:61], 1
	v_add_f64_e64 v[60:61], v[60:61], -v[62:63]
	s_delay_alu instid0(VALU_DEP_3) | instskip(SKIP_1) | instid1(VALU_DEP_3)
	v_mul_f64_e32 v[68:69], v[72:73], v[68:69]
	v_cvt_f64_i32_e32 v[72:73], v67
	v_add_f64_e64 v[8:9], v[8:9], -v[60:61]
	s_delay_alu instid0(VALU_DEP_3) | instskip(NEXT) | instid1(VALU_DEP_3)
	v_add_f64_e32 v[62:63], v[70:71], v[68:69]
	v_mul_f64_e32 v[74:75], 0x3fe62e42fefa39ef, v[72:73]
	s_delay_alu instid0(VALU_DEP_3) | instskip(NEXT) | instid1(VALU_DEP_3)
	v_ldexp_f64 v[8:9], v[8:9], 1
	v_add_f64_e64 v[60:61], v[62:63], -v[70:71]
	s_delay_alu instid0(VALU_DEP_3) | instskip(NEXT) | instid1(VALU_DEP_2)
	v_fma_f64 v[70:71], v[72:73], s[22:23], -v[74:75]
	v_add_f64_e64 v[60:61], v[68:69], -v[60:61]
	s_delay_alu instid0(VALU_DEP_2) | instskip(NEXT) | instid1(VALU_DEP_2)
	v_fmac_f64_e32 v[70:71], 0x3c7abc9e3b39803f, v[72:73]
	v_add_f64_e32 v[8:9], v[8:9], v[60:61]
	s_delay_alu instid0(VALU_DEP_2) | instskip(NEXT) | instid1(VALU_DEP_2)
	v_add_f64_e32 v[60:61], v[74:75], v[70:71]
	v_add_f64_e32 v[68:69], v[62:63], v[8:9]
	s_delay_alu instid0(VALU_DEP_2) | instskip(NEXT) | instid1(VALU_DEP_2)
	v_add_f64_e64 v[74:75], v[60:61], -v[74:75]
	v_add_f64_e32 v[72:73], v[60:61], v[68:69]
	v_add_f64_e64 v[62:63], v[68:69], -v[62:63]
	s_delay_alu instid0(VALU_DEP_3) | instskip(NEXT) | instid1(VALU_DEP_3)
	v_add_f64_e64 v[70:71], v[70:71], -v[74:75]
	v_add_f64_e64 v[76:77], v[72:73], -v[60:61]
	s_delay_alu instid0(VALU_DEP_3) | instskip(NEXT) | instid1(VALU_DEP_2)
	v_add_f64_e64 v[8:9], v[8:9], -v[62:63]
	v_add_f64_e64 v[78:79], v[72:73], -v[76:77]
	;; [unrolled: 1-line block ×3, first 2 shown]
	s_delay_alu instid0(VALU_DEP_3) | instskip(NEXT) | instid1(VALU_DEP_3)
	v_add_f64_e32 v[68:69], v[70:71], v[8:9]
	v_add_f64_e64 v[60:61], v[60:61], -v[78:79]
	s_delay_alu instid0(VALU_DEP_1) | instskip(NEXT) | instid1(VALU_DEP_3)
	v_add_f64_e32 v[60:61], v[62:63], v[60:61]
	v_add_f64_e64 v[62:63], v[68:69], -v[70:71]
	s_delay_alu instid0(VALU_DEP_2) | instskip(NEXT) | instid1(VALU_DEP_2)
	v_add_f64_e32 v[60:61], v[68:69], v[60:61]
	v_add_f64_e64 v[68:69], v[68:69], -v[62:63]
	v_add_f64_e64 v[8:9], v[8:9], -v[62:63]
	s_delay_alu instid0(VALU_DEP_3) | instskip(NEXT) | instid1(VALU_DEP_3)
	v_add_f64_e32 v[74:75], v[72:73], v[60:61]
	v_add_f64_e64 v[68:69], v[70:71], -v[68:69]
	s_delay_alu instid0(VALU_DEP_2) | instskip(NEXT) | instid1(VALU_DEP_2)
	v_add_f64_e64 v[62:63], v[74:75], -v[72:73]
	v_add_f64_e32 v[8:9], v[8:9], v[68:69]
	s_delay_alu instid0(VALU_DEP_2) | instskip(NEXT) | instid1(VALU_DEP_1)
	v_add_f64_e64 v[60:61], v[60:61], -v[62:63]
	v_add_f64_e32 v[8:9], v[8:9], v[60:61]
	s_delay_alu instid0(VALU_DEP_1) | instskip(NEXT) | instid1(VALU_DEP_1)
	v_add_f64_e32 v[8:9], v[74:75], v[8:9]
	v_cndmask_b32_e32 v8, 0, v8, vcc_lo
	v_cmp_neq_f64_e32 vcc_lo, -1.0, v[58:59]
	s_delay_alu instid0(VALU_DEP_3) | instskip(NEXT) | instid1(VALU_DEP_1)
	v_cndmask_b32_e64 v9, 0x7ff00000, v9, s5
	v_cndmask_b32_e64 v9, 0x7ff80000, v9, s6
	s_delay_alu instid0(VALU_DEP_1)
	v_cndmask_b32_e32 v9, 0xfff00000, v9, vcc_lo
.LBB42_446:                             ;   in Loop: Header=BB42_417 Depth=1
	s_and_not1_saveexec_b32 s5, s51
	s_cbranch_execz .LBB42_448
; %bb.447:                              ;   in Loop: Header=BB42_417 Depth=1
	v_add_f64_e64 v[8:9], -|v[14:15]|, 1.0
	s_delay_alu instid0(VALU_DEP_1) | instskip(NEXT) | instid1(VALU_DEP_1)
	v_mul_f64_e32 v[8:9], v[8:9], v[50:51]
	v_cmp_gt_f64_e32 vcc_lo, 0x10000000, v[8:9]
	v_cndmask_b32_e64 v58, 0, 0x100, vcc_lo
	s_delay_alu instid0(VALU_DEP_1) | instskip(NEXT) | instid1(VALU_DEP_1)
	v_ldexp_f64 v[8:9], v[8:9], v58
	v_rsq_f64_e32 v[58:59], v[8:9]
	v_nop
	s_delay_alu instid0(TRANS32_DEP_1) | instskip(SKIP_1) | instid1(VALU_DEP_1)
	v_mul_f64_e32 v[60:61], v[8:9], v[58:59]
	v_mul_f64_e32 v[58:59], 0.5, v[58:59]
	v_fma_f64 v[62:63], -v[58:59], v[60:61], 0.5
	s_delay_alu instid0(VALU_DEP_1) | instskip(SKIP_1) | instid1(VALU_DEP_2)
	v_fmac_f64_e32 v[60:61], v[60:61], v[62:63]
	v_fmac_f64_e32 v[58:59], v[58:59], v[62:63]
	v_fma_f64 v[62:63], -v[60:61], v[60:61], v[8:9]
	s_delay_alu instid0(VALU_DEP_1) | instskip(NEXT) | instid1(VALU_DEP_1)
	v_fmac_f64_e32 v[60:61], v[62:63], v[58:59]
	v_fma_f64 v[62:63], -v[60:61], v[60:61], v[8:9]
	s_delay_alu instid0(VALU_DEP_1) | instskip(SKIP_2) | instid1(VALU_DEP_2)
	v_fmac_f64_e32 v[60:61], v[62:63], v[58:59]
	v_cndmask_b32_e64 v58, 0, 0xffffff80, vcc_lo
	v_cmp_class_f64_e64 vcc_lo, v[8:9], 0x260
	v_ldexp_f64 v[58:59], v[60:61], v58
	v_dual_mov_b32 v60, v16 :: v_dual_mov_b32 v61, v57
	s_delay_alu instid0(VALU_DEP_2) | instskip(NEXT) | instid1(VALU_DEP_1)
	v_dual_cndmask_b32 v8, v58, v8 :: v_dual_cndmask_b32 v9, v59, v9
	v_div_scale_f64 v[58:59], null, v[8:9], v[8:9], v[60:61]
	v_div_scale_f64 v[60:61], vcc_lo, v[60:61], v[8:9], v[60:61]
	s_delay_alu instid0(VALU_DEP_2) | instskip(SKIP_1) | instid1(TRANS32_DEP_1)
	v_rcp_f64_e32 v[62:63], v[58:59]
	v_nop
	v_fma_f64 v[68:69], -v[58:59], v[62:63], 1.0
	s_delay_alu instid0(VALU_DEP_1) | instskip(NEXT) | instid1(VALU_DEP_1)
	v_fmac_f64_e32 v[62:63], v[62:63], v[68:69]
	v_fma_f64 v[68:69], -v[58:59], v[62:63], 1.0
	s_delay_alu instid0(VALU_DEP_1) | instskip(NEXT) | instid1(VALU_DEP_1)
	v_fmac_f64_e32 v[62:63], v[62:63], v[68:69]
	v_mul_f64_e32 v[68:69], v[60:61], v[62:63]
	s_delay_alu instid0(VALU_DEP_1) | instskip(NEXT) | instid1(VALU_DEP_1)
	v_fma_f64 v[58:59], -v[58:59], v[68:69], v[60:61]
	v_div_fmas_f64 v[58:59], v[58:59], v[62:63], v[68:69]
	s_delay_alu instid0(VALU_DEP_1)
	v_div_fixup_f64 v[8:9], v[58:59], v[8:9], |v[16:17]|
.LBB42_448:                             ;   in Loop: Header=BB42_417 Depth=1
	s_or_b32 exec_lo, exec_lo, s5
.LBB42_449:                             ;   in Loop: Header=BB42_417 Depth=1
	s_delay_alu instid0(SALU_CYCLE_1)
	s_or_b32 exec_lo, exec_lo, s50
.LBB42_450:                             ;   in Loop: Header=BB42_417 Depth=1
	s_and_not1_saveexec_b32 s5, s49
	s_cbranch_execz .LBB42_452
; %bb.451:                              ;   in Loop: Header=BB42_417 Depth=1
	v_cmp_gt_f64_e64 s6, 0x10000000, |v[16:17]|
	s_delay_alu instid0(VALU_DEP_1) | instskip(NEXT) | instid1(VALU_DEP_1)
	v_cndmask_b32_e64 v8, 0, 0x100, s6
	v_ldexp_f64 v[8:9], |v[16:17]|, v8
	s_delay_alu instid0(VALU_DEP_1) | instskip(SKIP_1) | instid1(TRANS32_DEP_1)
	v_rsq_f64_e32 v[58:59], v[8:9]
	v_cmp_class_f64_e64 vcc_lo, v[8:9], 0x260
	v_mul_f64_e32 v[60:61], v[8:9], v[58:59]
	v_mul_f64_e32 v[58:59], 0.5, v[58:59]
	s_delay_alu instid0(VALU_DEP_1) | instskip(NEXT) | instid1(VALU_DEP_1)
	v_fma_f64 v[62:63], -v[58:59], v[60:61], 0.5
	v_fmac_f64_e32 v[60:61], v[60:61], v[62:63]
	v_fmac_f64_e32 v[58:59], v[58:59], v[62:63]
	s_delay_alu instid0(VALU_DEP_2) | instskip(NEXT) | instid1(VALU_DEP_1)
	v_fma_f64 v[62:63], -v[60:61], v[60:61], v[8:9]
	v_fmac_f64_e32 v[60:61], v[62:63], v[58:59]
	s_delay_alu instid0(VALU_DEP_1) | instskip(NEXT) | instid1(VALU_DEP_1)
	v_fma_f64 v[62:63], -v[60:61], v[60:61], v[8:9]
	v_fmac_f64_e32 v[60:61], v[62:63], v[58:59]
	v_cndmask_b32_e64 v58, 0, 0xffffff80, s6
	s_delay_alu instid0(VALU_DEP_1) | instskip(NEXT) | instid1(VALU_DEP_1)
	v_ldexp_f64 v[58:59], v[60:61], v58
	v_dual_cndmask_b32 v9, v59, v9 :: v_dual_cndmask_b32 v8, v58, v8
.LBB42_452:                             ;   in Loop: Header=BB42_417 Depth=1
	s_or_b32 exec_lo, exec_lo, s5
.LBB42_453:                             ;   in Loop: Header=BB42_417 Depth=1
	s_delay_alu instid0(SALU_CYCLE_1) | instskip(SKIP_2) | instid1(SALU_CYCLE_1)
	s_or_b32 exec_lo, exec_lo, s48
	v_cmp_ngt_f64_e64 s6, 0x20200000, |v[14:15]|
                                        ; implicit-def: $sgpr5
                                        ; implicit-def: $vgpr58_vgpr59
                                        ; implicit-def: $vgpr62_vgpr63
                                        ; implicit-def: $vgpr60_vgpr61
	s_and_saveexec_b32 s48, s6
	s_xor_b32 s6, exec_lo, s48
	s_cbranch_execz .LBB42_477
; %bb.454:                              ;   in Loop: Header=BB42_417 Depth=1
	v_and_b32_e32 v61, 0x7fffffff, v15
	v_mov_b32_e32 v60, v14
	s_mov_b32 s5, 0
	s_mov_b32 s48, exec_lo
	s_delay_alu instid0(VALU_DEP_1) | instskip(NEXT) | instid1(VALU_DEP_1)
	v_div_scale_f64 v[58:59], null, v[48:49], v[48:49], v[60:61]
	v_rcp_f64_e32 v[62:63], v[58:59]
	v_nop
	s_delay_alu instid0(TRANS32_DEP_1) | instskip(NEXT) | instid1(VALU_DEP_1)
	v_fma_f64 v[68:69], -v[58:59], v[62:63], 1.0
	v_fmac_f64_e32 v[62:63], v[62:63], v[68:69]
	s_delay_alu instid0(VALU_DEP_1) | instskip(NEXT) | instid1(VALU_DEP_1)
	v_fma_f64 v[68:69], -v[58:59], v[62:63], 1.0
	v_fmac_f64_e32 v[62:63], v[62:63], v[68:69]
	v_div_scale_f64 v[68:69], vcc_lo, v[60:61], v[48:49], v[60:61]
	s_delay_alu instid0(VALU_DEP_1) | instskip(NEXT) | instid1(VALU_DEP_1)
	v_mul_f64_e32 v[70:71], v[68:69], v[62:63]
	v_fma_f64 v[58:59], -v[58:59], v[70:71], v[68:69]
	s_delay_alu instid0(VALU_DEP_1) | instskip(NEXT) | instid1(VALU_DEP_1)
	v_div_fmas_f64 v[58:59], v[58:59], v[62:63], v[70:71]
                                        ; implicit-def: $vgpr62_vgpr63
	v_div_fixup_f64 v[58:59], v[58:59], v[48:49], |v[14:15]|
	s_delay_alu instid0(VALU_DEP_1)
	v_cmpx_lt_f64_e32 s[24:25], v[58:59]
	s_cbranch_execz .LBB42_476
; %bb.455:                              ;   in Loop: Header=BB42_417 Depth=1
	v_cmp_neq_f64_e64 s5, |v[14:15]|, 1.0
	v_cmp_ngt_f64_e64 s49, 0x3c400000, |v[16:17]|
                                        ; implicit-def: $vgpr62_vgpr63
	s_or_b32 s5, s49, s5
	s_delay_alu instid0(SALU_CYCLE_1) | instskip(NEXT) | instid1(SALU_CYCLE_1)
	s_and_saveexec_b32 s49, s5
	s_xor_b32 s5, exec_lo, s49
	s_cbranch_execz .LBB42_473
; %bb.456:                              ;   in Loop: Header=BB42_417 Depth=1
	v_ldexp_f64 v[62:63], |v[6:7]|, 0xffffffcc
	s_delay_alu instid0(VALU_DEP_1) | instskip(SKIP_1) | instid1(SALU_CYCLE_1)
	v_cmp_ge_f64_e64 s49, |v[16:17]|, v[62:63]
                                        ; implicit-def: $vgpr62_vgpr63
	s_and_saveexec_b32 s50, s49
	s_xor_b32 s49, exec_lo, s50
	s_cbranch_execz .LBB42_466
; %bb.457:                              ;   in Loop: Header=BB42_417 Depth=1
	v_mov_b64_e32 v[62:63], v[56:57]
	s_mov_b32 s50, exec_lo
	v_cmpx_neq_f64_e32 0, v[50:51]
	s_cbranch_execz .LBB42_459
; %bb.458:                              ;   in Loop: Header=BB42_417 Depth=1
	v_mul_f64_e32 v[62:63], v[16:17], v[16:17]
	v_add_f64_e32 v[50:51], v[50:51], v[54:55]
	s_delay_alu instid0(VALU_DEP_1) | instskip(NEXT) | instid1(VALU_DEP_1)
	v_div_scale_f64 v[54:55], null, v[50:51], v[50:51], v[62:63]
	v_rcp_f64_e32 v[68:69], v[54:55]
	v_nop
	s_delay_alu instid0(TRANS32_DEP_1) | instskip(NEXT) | instid1(VALU_DEP_1)
	v_fma_f64 v[70:71], -v[54:55], v[68:69], 1.0
	v_fmac_f64_e32 v[68:69], v[68:69], v[70:71]
	s_delay_alu instid0(VALU_DEP_1) | instskip(NEXT) | instid1(VALU_DEP_1)
	v_fma_f64 v[70:71], -v[54:55], v[68:69], 1.0
	v_fmac_f64_e32 v[68:69], v[68:69], v[70:71]
	v_div_scale_f64 v[70:71], vcc_lo, v[62:63], v[50:51], v[62:63]
	s_delay_alu instid0(VALU_DEP_1) | instskip(NEXT) | instid1(VALU_DEP_1)
	v_mul_f64_e32 v[72:73], v[70:71], v[68:69]
	v_fma_f64 v[54:55], -v[54:55], v[72:73], v[70:71]
	s_delay_alu instid0(VALU_DEP_1) | instskip(NEXT) | instid1(VALU_DEP_1)
	v_div_fmas_f64 v[54:55], v[54:55], v[68:69], v[72:73]
	v_div_fixup_f64 v[62:63], v[54:55], v[50:51], v[62:63]
.LBB42_459:                             ;   in Loop: Header=BB42_417 Depth=1
	s_or_b32 exec_lo, exec_lo, s50
	s_delay_alu instid0(SALU_CYCLE_1)
	s_mov_b32 s50, exec_lo
	v_cmpx_ngt_f64_e32 0, v[6:7]
	s_xor_b32 s50, exec_lo, s50
	s_cbranch_execz .LBB42_463
; %bb.460:                              ;   in Loop: Header=BB42_417 Depth=1
	s_mov_b32 s51, exec_lo
	v_cmpx_neq_f64_e32 0, v[6:7]
	s_cbranch_execz .LBB42_462
; %bb.461:                              ;   in Loop: Header=BB42_417 Depth=1
	v_mul_f64_e32 v[16:17], v[16:17], v[16:17]
	v_add_f64_e32 v[6:7], v[6:7], v[52:53]
	s_delay_alu instid0(VALU_DEP_1) | instskip(NEXT) | instid1(VALU_DEP_1)
	v_div_scale_f64 v[50:51], null, v[6:7], v[6:7], v[16:17]
	v_rcp_f64_e32 v[52:53], v[50:51]
	v_nop
	s_delay_alu instid0(TRANS32_DEP_1) | instskip(NEXT) | instid1(VALU_DEP_1)
	v_fma_f64 v[54:55], -v[50:51], v[52:53], 1.0
	v_fmac_f64_e32 v[52:53], v[52:53], v[54:55]
	s_delay_alu instid0(VALU_DEP_1) | instskip(NEXT) | instid1(VALU_DEP_1)
	v_fma_f64 v[54:55], -v[50:51], v[52:53], 1.0
	v_fmac_f64_e32 v[52:53], v[52:53], v[54:55]
	v_div_scale_f64 v[54:55], vcc_lo, v[16:17], v[6:7], v[16:17]
	s_delay_alu instid0(VALU_DEP_1) | instskip(NEXT) | instid1(VALU_DEP_1)
	v_mul_f64_e32 v[56:57], v[54:55], v[52:53]
	v_fma_f64 v[50:51], -v[50:51], v[56:57], v[54:55]
	s_delay_alu instid0(VALU_DEP_1) | instskip(NEXT) | instid1(VALU_DEP_1)
	v_div_fmas_f64 v[50:51], v[50:51], v[52:53], v[56:57]
	v_div_fixup_f64 v[56:57], v[50:51], v[6:7], v[16:17]
.LBB42_462:                             ;   in Loop: Header=BB42_417 Depth=1
	s_or_b32 exec_lo, exec_lo, s51
                                        ; implicit-def: $vgpr6_vgpr7
                                        ; implicit-def: $vgpr52_vgpr53
.LBB42_463:                             ;   in Loop: Header=BB42_417 Depth=1
	s_and_not1_saveexec_b32 s50, s50
; %bb.464:                              ;   in Loop: Header=BB42_417 Depth=1
	v_add_f64_e64 v[56:57], v[52:53], -v[6:7]
; %bb.465:                              ;   in Loop: Header=BB42_417 Depth=1
	s_or_b32 exec_lo, exec_lo, s50
	s_delay_alu instid0(VALU_DEP_1) | instskip(SKIP_1) | instid1(VALU_DEP_2)
	v_mul_f64_e32 v[6:7], 0.5, v[56:57]
	v_add_f64_e64 v[16:17], |v[14:15]|, v[48:49]
	v_fmac_f64_e32 v[6:7], 0.5, v[62:63]
	s_delay_alu instid0(VALU_DEP_1) | instskip(NEXT) | instid1(VALU_DEP_1)
	v_mul_f64_e32 v[6:7], v[16:17], v[6:7]
	v_cmp_gt_f64_e32 vcc_lo, 0x10000000, v[6:7]
	v_cndmask_b32_e64 v16, 0, 0x100, vcc_lo
	s_delay_alu instid0(VALU_DEP_1) | instskip(NEXT) | instid1(VALU_DEP_1)
	v_ldexp_f64 v[6:7], v[6:7], v16
	v_rsq_f64_e32 v[16:17], v[6:7]
	v_nop
	s_delay_alu instid0(TRANS32_DEP_1) | instskip(SKIP_1) | instid1(VALU_DEP_1)
	v_mul_f64_e32 v[48:49], v[6:7], v[16:17]
	v_mul_f64_e32 v[16:17], 0.5, v[16:17]
	v_fma_f64 v[50:51], -v[16:17], v[48:49], 0.5
	s_delay_alu instid0(VALU_DEP_1) | instskip(SKIP_1) | instid1(VALU_DEP_2)
	v_fmac_f64_e32 v[48:49], v[48:49], v[50:51]
	v_fmac_f64_e32 v[16:17], v[16:17], v[50:51]
	v_fma_f64 v[50:51], -v[48:49], v[48:49], v[6:7]
	s_delay_alu instid0(VALU_DEP_1) | instskip(NEXT) | instid1(VALU_DEP_1)
	v_fmac_f64_e32 v[48:49], v[50:51], v[16:17]
	v_fma_f64 v[50:51], -v[48:49], v[48:49], v[6:7]
	s_delay_alu instid0(VALU_DEP_1) | instskip(SKIP_2) | instid1(VALU_DEP_2)
	v_fmac_f64_e32 v[48:49], v[50:51], v[16:17]
	v_cndmask_b32_e64 v16, 0, 0xffffff80, vcc_lo
	v_cmp_class_f64_e64 vcc_lo, v[6:7], 0x260
                                        ; implicit-def: $vgpr50_vgpr51
	v_ldexp_f64 v[16:17], v[48:49], v16
	s_delay_alu instid0(VALU_DEP_1)
	v_dual_cndmask_b32 v63, v17, v7 :: v_dual_cndmask_b32 v62, v16, v6
                                        ; implicit-def: $vgpr6_vgpr7
.LBB42_466:                             ;   in Loop: Header=BB42_417 Depth=1
	s_and_not1_saveexec_b32 s49, s49
	s_cbranch_execz .LBB42_472
; %bb.467:                              ;   in Loop: Header=BB42_417 Depth=1
	v_cmp_ngt_f64_e64 s50, |v[14:15]|, 1.0
                                        ; implicit-def: $vgpr62_vgpr63
	s_and_saveexec_b32 s51, s50
	s_delay_alu instid0(SALU_CYCLE_1)
	s_xor_b32 s50, exec_lo, s51
	s_cbranch_execz .LBB42_469
; %bb.468:                              ;   in Loop: Header=BB42_417 Depth=1
	v_add_f64_e64 v[6:7], -|v[14:15]|, 1.0
	s_delay_alu instid0(VALU_DEP_1) | instskip(NEXT) | instid1(VALU_DEP_1)
	v_mul_f64_e32 v[6:7], v[6:7], v[50:51]
	v_cmp_gt_f64_e32 vcc_lo, 0x10000000, v[6:7]
	v_cndmask_b32_e64 v16, 0, 0x100, vcc_lo
	s_delay_alu instid0(VALU_DEP_1) | instskip(NEXT) | instid1(VALU_DEP_1)
	v_ldexp_f64 v[6:7], v[6:7], v16
	v_rsq_f64_e32 v[16:17], v[6:7]
	v_nop
	s_delay_alu instid0(TRANS32_DEP_1) | instskip(SKIP_1) | instid1(VALU_DEP_1)
	v_mul_f64_e32 v[48:49], v[6:7], v[16:17]
	v_mul_f64_e32 v[16:17], 0.5, v[16:17]
	v_fma_f64 v[50:51], -v[16:17], v[48:49], 0.5
	s_delay_alu instid0(VALU_DEP_1) | instskip(SKIP_1) | instid1(VALU_DEP_2)
	v_fmac_f64_e32 v[48:49], v[48:49], v[50:51]
	v_fmac_f64_e32 v[16:17], v[16:17], v[50:51]
	v_fma_f64 v[50:51], -v[48:49], v[48:49], v[6:7]
	s_delay_alu instid0(VALU_DEP_1) | instskip(NEXT) | instid1(VALU_DEP_1)
	v_fmac_f64_e32 v[48:49], v[50:51], v[16:17]
	v_fma_f64 v[50:51], -v[48:49], v[48:49], v[6:7]
	s_delay_alu instid0(VALU_DEP_1) | instskip(SKIP_2) | instid1(VALU_DEP_2)
	v_fmac_f64_e32 v[48:49], v[50:51], v[16:17]
	v_cndmask_b32_e64 v16, 0, 0xffffff80, vcc_lo
	v_cmp_class_f64_e64 vcc_lo, v[6:7], 0x260
                                        ; implicit-def: $vgpr50_vgpr51
	v_ldexp_f64 v[16:17], v[48:49], v16
	s_delay_alu instid0(VALU_DEP_1)
	v_dual_cndmask_b32 v63, v17, v7 :: v_dual_cndmask_b32 v62, v16, v6
                                        ; implicit-def: $vgpr6_vgpr7
.LBB42_469:                             ;   in Loop: Header=BB42_417 Depth=1
	s_and_not1_saveexec_b32 s50, s50
	s_cbranch_execz .LBB42_471
; %bb.470:                              ;   in Loop: Header=BB42_417 Depth=1
	v_mul_f64_e32 v[6:7], v[50:51], v[6:7]
	v_ldexp_f64 v[16:17], |v[16:17]|, 0x6a
	v_ldexp_f64 v[60:61], |v[14:15]|, 0x6a
	s_delay_alu instid0(VALU_DEP_3) | instskip(NEXT) | instid1(VALU_DEP_3)
	v_cmp_gt_f64_e32 vcc_lo, 0x10000000, v[6:7]
	v_mul_f64_e64 v[16:17], |v[14:15]|, v[16:17]
	v_cndmask_b32_e64 v48, 0, 0x100, vcc_lo
	s_delay_alu instid0(VALU_DEP_1) | instskip(NEXT) | instid1(VALU_DEP_1)
	v_ldexp_f64 v[6:7], v[6:7], v48
	v_rsq_f64_e32 v[48:49], v[6:7]
	v_nop
	s_delay_alu instid0(TRANS32_DEP_1) | instskip(SKIP_1) | instid1(VALU_DEP_1)
	v_mul_f64_e32 v[50:51], v[6:7], v[48:49]
	v_mul_f64_e32 v[48:49], 0.5, v[48:49]
	v_fma_f64 v[52:53], -v[48:49], v[50:51], 0.5
	s_delay_alu instid0(VALU_DEP_1) | instskip(SKIP_1) | instid1(VALU_DEP_2)
	v_fmac_f64_e32 v[50:51], v[50:51], v[52:53]
	v_fmac_f64_e32 v[48:49], v[48:49], v[52:53]
	v_fma_f64 v[52:53], -v[50:51], v[50:51], v[6:7]
	s_delay_alu instid0(VALU_DEP_1) | instskip(NEXT) | instid1(VALU_DEP_1)
	v_fmac_f64_e32 v[50:51], v[52:53], v[48:49]
	v_fma_f64 v[52:53], -v[50:51], v[50:51], v[6:7]
	s_delay_alu instid0(VALU_DEP_1) | instskip(SKIP_2) | instid1(VALU_DEP_2)
	v_fmac_f64_e32 v[50:51], v[52:53], v[48:49]
	v_cndmask_b32_e64 v48, 0, 0xffffff80, vcc_lo
	v_cmp_class_f64_e64 vcc_lo, v[6:7], 0x260
	v_ldexp_f64 v[48:49], v[50:51], v48
	s_delay_alu instid0(VALU_DEP_1) | instskip(NEXT) | instid1(VALU_DEP_1)
	v_dual_cndmask_b32 v7, v49, v7 :: v_dual_cndmask_b32 v6, v48, v6
	v_div_scale_f64 v[48:49], null, v[6:7], v[6:7], v[16:17]
	v_div_scale_f64 v[54:55], vcc_lo, v[16:17], v[6:7], v[16:17]
	s_delay_alu instid0(VALU_DEP_2) | instskip(SKIP_1) | instid1(TRANS32_DEP_1)
	v_rcp_f64_e32 v[50:51], v[48:49]
	v_nop
	v_fma_f64 v[52:53], -v[48:49], v[50:51], 1.0
	s_delay_alu instid0(VALU_DEP_1) | instskip(NEXT) | instid1(VALU_DEP_1)
	v_fmac_f64_e32 v[50:51], v[50:51], v[52:53]
	v_fma_f64 v[52:53], -v[48:49], v[50:51], 1.0
	s_delay_alu instid0(VALU_DEP_1) | instskip(NEXT) | instid1(VALU_DEP_1)
	v_fmac_f64_e32 v[50:51], v[50:51], v[52:53]
	v_mul_f64_e32 v[52:53], v[54:55], v[50:51]
	s_delay_alu instid0(VALU_DEP_1) | instskip(NEXT) | instid1(VALU_DEP_1)
	v_fma_f64 v[48:49], -v[48:49], v[52:53], v[54:55]
	v_div_fmas_f64 v[48:49], v[48:49], v[50:51], v[52:53]
	s_delay_alu instid0(VALU_DEP_1)
	v_div_fixup_f64 v[62:63], v[48:49], v[6:7], v[16:17]
.LBB42_471:                             ;   in Loop: Header=BB42_417 Depth=1
	s_or_b32 exec_lo, exec_lo, s50
.LBB42_472:                             ;   in Loop: Header=BB42_417 Depth=1
	s_delay_alu instid0(SALU_CYCLE_1)
	s_or_b32 exec_lo, exec_lo, s49
                                        ; implicit-def: $vgpr48_vgpr49
.LBB42_473:                             ;   in Loop: Header=BB42_417 Depth=1
	s_and_not1_saveexec_b32 s49, s5
	s_cbranch_execz .LBB42_475
; %bb.474:                              ;   in Loop: Header=BB42_417 Depth=1
	v_cmp_gt_f64_e64 s5, 0x10000000, |v[16:17]|
	v_add_f64_e32 v[6:7], 1.0, v[48:49]
	s_delay_alu instid0(VALU_DEP_2) | instskip(NEXT) | instid1(VALU_DEP_1)
	v_cndmask_b32_e64 v48, 0, 0x100, s5
	v_ldexp_f64 v[16:17], |v[16:17]|, v48
	s_delay_alu instid0(VALU_DEP_3) | instskip(NEXT) | instid1(VALU_DEP_1)
	v_mul_f64_e32 v[6:7], 0.5, v[6:7]
	v_cmp_gt_f64_e32 vcc_lo, 0x10000000, v[6:7]
	v_cndmask_b32_e64 v49, 0, 0x100, vcc_lo
	s_delay_alu instid0(VALU_DEP_1) | instskip(SKIP_1) | instid1(VALU_DEP_1)
	v_ldexp_f64 v[6:7], v[6:7], v49
	v_rsq_f64_e32 v[48:49], v[16:17]
	v_rsq_f64_e32 v[50:51], v[6:7]
	v_nop
	s_delay_alu instid0(TRANS32_DEP_1) | instskip(SKIP_1) | instid1(VALU_DEP_1)
	v_mul_f64_e32 v[54:55], v[6:7], v[50:51]
	v_mul_f64_e32 v[50:51], 0.5, v[50:51]
	v_fma_f64 v[60:61], -v[50:51], v[54:55], 0.5
	s_delay_alu instid0(VALU_DEP_1) | instskip(SKIP_1) | instid1(VALU_DEP_2)
	v_fmac_f64_e32 v[54:55], v[54:55], v[60:61]
	v_fmac_f64_e32 v[50:51], v[50:51], v[60:61]
	v_fma_f64 v[60:61], -v[54:55], v[54:55], v[6:7]
	s_delay_alu instid0(VALU_DEP_1) | instskip(NEXT) | instid1(VALU_DEP_1)
	v_fmac_f64_e32 v[54:55], v[60:61], v[50:51]
	v_fma_f64 v[60:61], -v[54:55], v[54:55], v[6:7]
	s_delay_alu instid0(VALU_DEP_1) | instskip(SKIP_3) | instid1(VALU_DEP_3)
	v_fmac_f64_e32 v[54:55], v[60:61], v[50:51]
	v_cndmask_b32_e64 v50, 0, 0xffffff80, vcc_lo
	v_cmp_class_f64_e64 vcc_lo, v[16:17], 0x260
	v_mov_b64_e32 v[60:61], 1.0
	v_ldexp_f64 v[50:51], v[54:55], v50
	s_delay_alu instid0(TRANS32_DEP_2) | instskip(SKIP_1) | instid1(VALU_DEP_1)
	v_mul_f64_e32 v[52:53], v[16:17], v[48:49]
	v_mul_f64_e32 v[48:49], 0.5, v[48:49]
	v_fma_f64 v[56:57], -v[48:49], v[52:53], 0.5
	s_delay_alu instid0(VALU_DEP_1) | instskip(SKIP_1) | instid1(VALU_DEP_2)
	v_fmac_f64_e32 v[52:53], v[52:53], v[56:57]
	v_fmac_f64_e32 v[48:49], v[48:49], v[56:57]
	v_fma_f64 v[56:57], -v[52:53], v[52:53], v[16:17]
	s_delay_alu instid0(VALU_DEP_1) | instskip(NEXT) | instid1(VALU_DEP_1)
	v_fmac_f64_e32 v[52:53], v[56:57], v[48:49]
	v_fma_f64 v[56:57], -v[52:53], v[52:53], v[16:17]
	s_delay_alu instid0(VALU_DEP_1) | instskip(SKIP_2) | instid1(VALU_DEP_2)
	v_fmac_f64_e32 v[52:53], v[56:57], v[48:49]
	v_cndmask_b32_e64 v48, 0, 0xffffff80, s5
	v_cmp_class_f64_e64 s5, v[6:7], 0x260
	v_ldexp_f64 v[48:49], v[52:53], v48
	s_delay_alu instid0(VALU_DEP_2) | instskip(NEXT) | instid1(VALU_DEP_2)
	v_dual_cndmask_b32 v7, v51, v7, s5 :: v_dual_cndmask_b32 v6, v50, v6, s5
	v_dual_cndmask_b32 v17, v49, v17 :: v_dual_cndmask_b32 v16, v48, v16
	s_delay_alu instid0(VALU_DEP_1)
	v_mul_f64_e32 v[62:63], v[16:17], v[6:7]
.LBB42_475:                             ;   in Loop: Header=BB42_417 Depth=1
	s_or_b32 exec_lo, exec_lo, s49
	s_delay_alu instid0(SALU_CYCLE_1)
	s_mov_b32 s5, exec_lo
.LBB42_476:                             ;   in Loop: Header=BB42_417 Depth=1
	s_or_b32 exec_lo, exec_lo, s48
                                        ; implicit-def: $vgpr48_vgpr49
.LBB42_477:                             ;   in Loop: Header=BB42_417 Depth=1
	s_and_not1_saveexec_b32 s6, s6
	s_cbranch_execz .LBB42_479
; %bb.478:                              ;   in Loop: Header=BB42_417 Depth=1
	v_ldexp_f64 v[62:63], v[48:49], 53
	v_ldexp_f64 v[60:61], |v[14:15]|, 53
	s_or_b32 s5, s5, exec_lo
                                        ; implicit-def: $vgpr58_vgpr59
.LBB42_479:                             ;   in Loop: Header=BB42_417 Depth=1
	s_or_b32 exec_lo, exec_lo, s6
	s_xor_b32 s5, s5, -1
	v_cmp_lt_i64_e32 vcc_lo, -1, v[14:15]
	s_and_saveexec_b32 s6, s5
	s_delay_alu instid0(SALU_CYCLE_1)
	s_xor_b32 s6, exec_lo, s6
	s_cbranch_execz .LBB42_489
; %bb.480:                              ;   in Loop: Header=BB42_417 Depth=1
	s_delay_alu instid0(VALU_DEP_4) | instskip(NEXT) | instid1(SALU_CYCLE_1)
	s_and_saveexec_b32 s5, vcc_lo
	s_xor_b32 s48, exec_lo, s5
	s_cbranch_execz .LBB42_484
; %bb.481:                              ;   in Loop: Header=BB42_417 Depth=1
	v_fma_f64 v[16:17], |v[58:59]|, -0.5, 0.5
	v_mul_f64_e32 v[6:7], v[58:59], v[58:59]
	v_cmp_ge_f64_e64 s5, |v[58:59]|, 0.5
	s_delay_alu instid0(VALU_DEP_1) | instskip(NEXT) | instid1(VALU_DEP_1)
	v_dual_cndmask_b32 v7, v7, v17, s5 :: v_dual_cndmask_b32 v6, v6, v16, s5
	v_fmamk_f64 v[14:15], v[6:7], 0x3fa059859fea6a70, v[34:35]
	s_delay_alu instid0(VALU_DEP_1) | instskip(NEXT) | instid1(VALU_DEP_1)
	v_fmaak_f64 v[14:15], v[6:7], v[14:15], 0x3f94052137024d6a
	v_fmaak_f64 v[14:15], v[6:7], v[14:15], 0x3f7ab3a098a70509
	s_delay_alu instid0(VALU_DEP_1) | instskip(NEXT) | instid1(VALU_DEP_1)
	v_fmaak_f64 v[14:15], v[6:7], v[14:15], 0x3f88ed60a300c8d2
	v_fmaak_f64 v[14:15], v[6:7], v[14:15], 0x3f8c6fa84b77012b
	;; [unrolled: 3-line block ×5, first 2 shown]
	s_delay_alu instid0(VALU_DEP_1) | instskip(NEXT) | instid1(VALU_DEP_1)
	v_mul_f64_e32 v[14:15], v[6:7], v[14:15]
	v_fma_f64 v[6:7], v[58:59], v[14:15], v[58:59]
	s_delay_alu instid0(VALU_DEP_1)
	v_fma_f64 v[6:7], s[28:29], s[26:27], -v[6:7]
	s_and_saveexec_b32 s49, s5
	s_cbranch_execz .LBB42_483
; %bb.482:                              ;   in Loop: Header=BB42_417 Depth=1
	v_rsq_f64_e32 v[6:7], v[16:17]
	v_cmp_eq_f64_e64 s5, 0, v[16:17]
	s_delay_alu instid0(TRANS32_DEP_1) | instskip(SKIP_1) | instid1(VALU_DEP_1)
	v_mul_f64_e32 v[48:49], v[16:17], v[6:7]
	v_mul_f64_e32 v[6:7], 0.5, v[6:7]
	v_fma_f64 v[50:51], -v[6:7], v[48:49], 0.5
	s_delay_alu instid0(VALU_DEP_1) | instskip(SKIP_1) | instid1(VALU_DEP_2)
	v_fmac_f64_e32 v[48:49], v[48:49], v[50:51]
	v_fmac_f64_e32 v[6:7], v[6:7], v[50:51]
	v_fma_f64 v[50:51], -v[48:49], v[48:49], v[16:17]
	s_delay_alu instid0(VALU_DEP_1) | instskip(NEXT) | instid1(VALU_DEP_1)
	v_fmac_f64_e32 v[48:49], v[50:51], v[6:7]
	v_dual_cndmask_b32 v7, v49, v17, s5 :: v_dual_cndmask_b32 v6, v48, v16, s5
	s_delay_alu instid0(VALU_DEP_1) | instskip(SKIP_1) | instid1(VALU_DEP_2)
	v_add_f64_e32 v[48:49], v[6:7], v[6:7]
	v_mul_f64_e32 v[50:51], v[6:7], v[6:7]
	v_rcp_f64_e32 v[52:53], v[48:49]
	s_delay_alu instid0(VALU_DEP_1) | instskip(SKIP_1) | instid1(VALU_DEP_2)
	v_add_f64_e64 v[54:55], v[16:17], -v[50:51]
	v_fma_f64 v[60:61], v[6:7], v[6:7], -v[50:51]
	v_add_f64_e64 v[16:17], v[16:17], -v[54:55]
	s_delay_alu instid0(TRANS32_DEP_1) | instskip(NEXT) | instid1(VALU_DEP_2)
	v_fma_f64 v[56:57], -v[48:49], v[52:53], 1.0
	v_add_f64_e64 v[16:17], v[16:17], -v[50:51]
	s_delay_alu instid0(VALU_DEP_2) | instskip(NEXT) | instid1(VALU_DEP_2)
	v_fmac_f64_e32 v[52:53], v[56:57], v[52:53]
	v_add_f64_e64 v[16:17], v[16:17], -v[60:61]
	s_delay_alu instid0(VALU_DEP_2) | instskip(NEXT) | instid1(VALU_DEP_2)
	v_fma_f64 v[50:51], -v[48:49], v[52:53], 1.0
	v_add_f64_e32 v[16:17], v[54:55], v[16:17]
	s_delay_alu instid0(VALU_DEP_2) | instskip(NEXT) | instid1(VALU_DEP_1)
	v_fmac_f64_e32 v[52:53], v[50:51], v[52:53]
	v_mul_f64_e32 v[50:51], v[16:17], v[52:53]
	s_delay_alu instid0(VALU_DEP_1) | instskip(NEXT) | instid1(VALU_DEP_1)
	v_fma_f64 v[16:17], -v[48:49], v[50:51], v[16:17]
	v_fmac_f64_e32 v[50:51], v[16:17], v[52:53]
	s_delay_alu instid0(VALU_DEP_1) | instskip(NEXT) | instid1(VALU_DEP_2)
	v_cndmask_b32_e64 v17, v51, 0, s5
	v_cndmask_b32_e64 v16, v50, 0, s5
	v_cmp_neq_f64_e64 s5, 1.0, v[58:59]
	s_delay_alu instid0(VALU_DEP_2) | instskip(NEXT) | instid1(VALU_DEP_1)
	v_add_f64_e32 v[48:49], v[6:7], v[16:17]
	v_add_f64_e64 v[6:7], v[48:49], -v[6:7]
	s_delay_alu instid0(VALU_DEP_1) | instskip(NEXT) | instid1(VALU_DEP_1)
	v_add_f64_e64 v[6:7], v[16:17], -v[6:7]
	v_fmac_f64_e32 v[6:7], v[48:49], v[14:15]
	s_delay_alu instid0(VALU_DEP_1) | instskip(NEXT) | instid1(VALU_DEP_1)
	v_add_f64_e32 v[6:7], v[48:49], v[6:7]
	v_add_f64_e32 v[6:7], v[6:7], v[6:7]
	s_delay_alu instid0(VALU_DEP_1)
	v_dual_cndmask_b32 v7, 0, v7, s5 :: v_dual_cndmask_b32 v6, 0, v6, s5
.LBB42_483:                             ;   in Loop: Header=BB42_417 Depth=1
	s_or_b32 exec_lo, exec_lo, s49
                                        ; implicit-def: $vgpr58_vgpr59
.LBB42_484:                             ;   in Loop: Header=BB42_417 Depth=1
	s_and_not1_saveexec_b32 s48, s48
	s_cbranch_execz .LBB42_488
; %bb.485:                              ;   in Loop: Header=BB42_417 Depth=1
	v_fma_f64 v[16:17], |v[58:59]|, -0.5, 0.5
	v_mul_f64_e32 v[6:7], v[58:59], v[58:59]
	v_cmp_ge_f64_e64 s5, |v[58:59]|, 0.5
	s_delay_alu instid0(VALU_DEP_1) | instskip(NEXT) | instid1(VALU_DEP_1)
	v_dual_cndmask_b32 v7, v7, v17, s5 :: v_dual_cndmask_b32 v6, v6, v16, s5
	v_fmamk_f64 v[14:15], v[6:7], 0x3fa059859fea6a70, v[34:35]
	s_delay_alu instid0(VALU_DEP_1) | instskip(NEXT) | instid1(VALU_DEP_1)
	v_fmaak_f64 v[14:15], v[6:7], v[14:15], 0x3f94052137024d6a
	v_fmaak_f64 v[14:15], v[6:7], v[14:15], 0x3f7ab3a098a70509
	s_delay_alu instid0(VALU_DEP_1) | instskip(NEXT) | instid1(VALU_DEP_1)
	v_fmaak_f64 v[14:15], v[6:7], v[14:15], 0x3f88ed60a300c8d2
	v_fmaak_f64 v[14:15], v[6:7], v[14:15], 0x3f8c6fa84b77012b
	;; [unrolled: 3-line block ×5, first 2 shown]
	s_delay_alu instid0(VALU_DEP_1) | instskip(NEXT) | instid1(VALU_DEP_1)
	v_mul_f64_e32 v[14:15], v[6:7], v[14:15]
	v_fma_f64 v[6:7], -v[58:59], v[14:15], -v[58:59]
	s_delay_alu instid0(VALU_DEP_1)
	v_fma_f64 v[6:7], s[28:29], s[26:27], -v[6:7]
	s_and_saveexec_b32 s49, s5
	s_cbranch_execz .LBB42_487
; %bb.486:                              ;   in Loop: Header=BB42_417 Depth=1
	v_rsq_f64_e32 v[6:7], v[16:17]
	v_cmp_eq_f64_e64 s5, 0, v[16:17]
	s_delay_alu instid0(TRANS32_DEP_1) | instskip(SKIP_1) | instid1(VALU_DEP_1)
	v_mul_f64_e32 v[48:49], v[16:17], v[6:7]
	v_mul_f64_e32 v[6:7], 0.5, v[6:7]
	v_fma_f64 v[50:51], -v[6:7], v[48:49], 0.5
	s_delay_alu instid0(VALU_DEP_1) | instskip(SKIP_1) | instid1(VALU_DEP_2)
	v_fmac_f64_e32 v[48:49], v[48:49], v[50:51]
	v_fmac_f64_e32 v[6:7], v[6:7], v[50:51]
	v_fma_f64 v[50:51], -v[48:49], v[48:49], v[16:17]
	s_delay_alu instid0(VALU_DEP_1) | instskip(NEXT) | instid1(VALU_DEP_1)
	v_fmac_f64_e32 v[48:49], v[50:51], v[6:7]
	v_dual_cndmask_b32 v7, v49, v17, s5 :: v_dual_cndmask_b32 v6, v48, v16, s5
	s_delay_alu instid0(VALU_DEP_1) | instskip(SKIP_1) | instid1(VALU_DEP_2)
	v_add_f64_e32 v[48:49], v[6:7], v[6:7]
	v_mul_f64_e32 v[50:51], v[6:7], v[6:7]
	v_rcp_f64_e32 v[52:53], v[48:49]
	s_delay_alu instid0(VALU_DEP_1) | instskip(SKIP_1) | instid1(VALU_DEP_2)
	v_add_f64_e64 v[54:55], v[16:17], -v[50:51]
	v_fma_f64 v[60:61], v[6:7], v[6:7], -v[50:51]
	v_add_f64_e64 v[16:17], v[16:17], -v[54:55]
	s_delay_alu instid0(TRANS32_DEP_1) | instskip(NEXT) | instid1(VALU_DEP_2)
	v_fma_f64 v[56:57], -v[48:49], v[52:53], 1.0
	v_add_f64_e64 v[16:17], v[16:17], -v[50:51]
	s_delay_alu instid0(VALU_DEP_2) | instskip(NEXT) | instid1(VALU_DEP_2)
	v_fmac_f64_e32 v[52:53], v[56:57], v[52:53]
	v_add_f64_e64 v[16:17], v[16:17], -v[60:61]
	s_delay_alu instid0(VALU_DEP_2) | instskip(NEXT) | instid1(VALU_DEP_2)
	v_fma_f64 v[50:51], -v[48:49], v[52:53], 1.0
	v_add_f64_e32 v[16:17], v[54:55], v[16:17]
	s_delay_alu instid0(VALU_DEP_2) | instskip(NEXT) | instid1(VALU_DEP_1)
	v_fmac_f64_e32 v[52:53], v[50:51], v[52:53]
	v_mul_f64_e32 v[50:51], v[16:17], v[52:53]
	s_delay_alu instid0(VALU_DEP_1) | instskip(NEXT) | instid1(VALU_DEP_1)
	v_fma_f64 v[16:17], -v[48:49], v[50:51], v[16:17]
	v_fmac_f64_e32 v[50:51], v[16:17], v[52:53]
	s_delay_alu instid0(VALU_DEP_1) | instskip(NEXT) | instid1(VALU_DEP_2)
	v_cndmask_b32_e64 v17, v51, 0, s5
	v_cndmask_b32_e64 v16, v50, 0, s5
	v_cmp_lt_f64_e64 s5, 0, v[58:59]
	s_delay_alu instid0(VALU_DEP_2) | instskip(NEXT) | instid1(VALU_DEP_1)
	v_add_f64_e32 v[48:49], v[6:7], v[16:17]
	v_add_f64_e64 v[6:7], v[48:49], -v[6:7]
	s_delay_alu instid0(VALU_DEP_1) | instskip(SKIP_1) | instid1(VALU_DEP_2)
	v_add_f64_e64 v[6:7], v[16:17], -v[6:7]
	v_fma_f64 v[16:17], v[48:49], v[14:15], v[48:49]
	v_fmac_f64_e32 v[6:7], v[48:49], v[14:15]
	s_delay_alu instid0(VALU_DEP_2) | instskip(NEXT) | instid1(VALU_DEP_2)
	v_mul_f64_e32 v[14:15], -2.0, v[16:17]
	v_add_f64_e32 v[6:7], v[48:49], v[6:7]
	s_delay_alu instid0(VALU_DEP_2) | instskip(NEXT) | instid1(VALU_DEP_2)
	v_fmac_f64_e64 v[14:15], s[30:31], s[26:27]
	v_add_f64_e32 v[6:7], v[6:7], v[6:7]
	s_delay_alu instid0(VALU_DEP_1) | instskip(SKIP_1) | instid1(VALU_DEP_1)
	v_dual_cndmask_b32 v6, v6, v14, s5 :: v_dual_cndmask_b32 v7, v7, v15, s5
	v_cmp_neq_f64_e64 s5, 1.0, v[58:59]
	v_cndmask_b32_e64 v7, 0x400921fb, v7, s5
	s_delay_alu instid0(VALU_DEP_3)
	v_cndmask_b32_e64 v6, 0x54442d18, v6, s5
.LBB42_487:                             ;   in Loop: Header=BB42_417 Depth=1
	s_or_b32 exec_lo, exec_lo, s49
.LBB42_488:                             ;   in Loop: Header=BB42_417 Depth=1
	s_delay_alu instid0(SALU_CYCLE_1)
	s_or_b32 exec_lo, exec_lo, s48
                                        ; implicit-def: $vgpr60_vgpr61
                                        ; implicit-def: $vgpr62_vgpr63
.LBB42_489:                             ;   in Loop: Header=BB42_417 Depth=1
	s_and_not1_saveexec_b32 s48, s6
	s_cbranch_execz .LBB42_495
; %bb.490:                              ;   in Loop: Header=BB42_417 Depth=1
	s_delay_alu instid0(VALU_DEP_4) | instskip(NEXT) | instid1(SALU_CYCLE_1)
	s_and_saveexec_b32 s5, vcc_lo
	s_xor_b32 s49, exec_lo, s5
	s_cbranch_execz .LBB42_492
; %bb.491:                              ;   in Loop: Header=BB42_417 Depth=1
	s_delay_alu instid0(VALU_DEP_2) | instskip(NEXT) | instid1(VALU_DEP_3)
	v_max_num_f64_e64 v[6:7], |v[62:63]|, |v[62:63]|
	v_max_num_f64_e32 v[14:15], v[60:61], v[60:61]
	v_cmp_eq_f64_e64 s5, 0, v[62:63]
	v_cmp_class_f64_e64 s50, v[62:63], 0x204
	v_cmp_eq_f64_e64 s6, 0x7ff00000, v[60:61]
	s_delay_alu instid0(VALU_DEP_4) | instskip(SKIP_1) | instid1(VALU_DEP_1)
	v_max_num_f64_e32 v[16:17], v[14:15], v[6:7]
	v_min_num_f64_e32 v[6:7], v[14:15], v[6:7]
	v_div_scale_f64 v[14:15], null, v[16:17], v[16:17], v[6:7]
	v_div_scale_f64 v[52:53], vcc_lo, v[6:7], v[16:17], v[6:7]
	s_delay_alu instid0(VALU_DEP_2) | instskip(SKIP_1) | instid1(TRANS32_DEP_1)
	v_rcp_f64_e32 v[48:49], v[14:15]
	v_nop
	v_fma_f64 v[50:51], -v[14:15], v[48:49], 1.0
	s_delay_alu instid0(VALU_DEP_1) | instskip(NEXT) | instid1(VALU_DEP_1)
	v_fmac_f64_e32 v[48:49], v[48:49], v[50:51]
	v_fma_f64 v[50:51], -v[14:15], v[48:49], 1.0
	s_delay_alu instid0(VALU_DEP_1) | instskip(NEXT) | instid1(VALU_DEP_1)
	v_fmac_f64_e32 v[48:49], v[48:49], v[50:51]
	v_mul_f64_e32 v[50:51], v[52:53], v[48:49]
	s_delay_alu instid0(VALU_DEP_1) | instskip(NEXT) | instid1(VALU_DEP_1)
	v_fma_f64 v[14:15], -v[14:15], v[50:51], v[52:53]
	v_div_fmas_f64 v[14:15], v[14:15], v[48:49], v[50:51]
	v_cmp_lt_f64_e64 vcc_lo, v[60:61], |v[62:63]|
	s_delay_alu instid0(VALU_DEP_2) | instskip(NEXT) | instid1(VALU_DEP_1)
	v_div_fixup_f64 v[6:7], v[14:15], v[16:17], v[6:7]
	v_mul_f64_e32 v[14:15], v[6:7], v[6:7]
	s_delay_alu instid0(VALU_DEP_1) | instskip(NEXT) | instid1(VALU_DEP_1)
	v_fmamk_f64 v[16:17], v[14:15], 0x3eeba404b5e68a13, v[36:37]
	v_fmaak_f64 v[16:17], v[14:15], v[16:17], 0x3f4b2bb069efb384
	s_delay_alu instid0(VALU_DEP_1) | instskip(NEXT) | instid1(VALU_DEP_1)
	v_fmaak_f64 v[16:17], v[14:15], v[16:17], 0xbf67952daf56de9b
	v_fmaak_f64 v[16:17], v[14:15], v[16:17], 0x3f7d6d43a595c56f
	s_delay_alu instid0(VALU_DEP_1) | instskip(NEXT) | instid1(VALU_DEP_1)
	v_fmaak_f64 v[16:17], v[14:15], v[16:17], 0xbf8c6ea4a57d9582
	;; [unrolled: 3-line block ×9, first 2 shown]
	v_mul_f64_e32 v[14:15], v[14:15], v[16:17]
	v_ashrrev_i32_e32 v16, 31, v61
	s_delay_alu instid0(VALU_DEP_1) | instskip(NEXT) | instid1(VALU_DEP_3)
	v_and_b32_e32 v48, 0x54442d18, v16
	v_fmac_f64_e32 v[6:7], v[6:7], v[14:15]
	s_delay_alu instid0(VALU_DEP_1) | instskip(NEXT) | instid1(VALU_DEP_1)
	v_add_f64_e64 v[14:15], -v[6:7], s[34:35]
	v_dual_cndmask_b32 v7, v7, v15 :: v_dual_cndmask_b32 v6, v6, v14
	v_cmp_gt_i32_e32 vcc_lo, 0, v61
                                        ; implicit-def: $vgpr60_vgpr61
	s_delay_alu instid0(VALU_DEP_2) | instskip(SKIP_1) | instid1(VALU_DEP_2)
	v_add_f64_e64 v[14:15], -v[6:7], s[36:37]
	v_cndmask_b32_e32 v17, 0x54442d18, v65, vcc_lo
	v_dual_cndmask_b32 v7, v7, v15 :: v_dual_cndmask_b32 v6, v6, v14
	v_and_b32_e32 v14, 0x400921fb, v16
	v_cndmask_b32_e32 v15, 0x3fe921fb, v66, vcc_lo
	s_and_b32 vcc_lo, s6, s50
	s_delay_alu instid0(VALU_DEP_2) | instskip(NEXT) | instid1(VALU_DEP_1)
	v_dual_cndmask_b32 v7, v7, v14, s5 :: v_dual_cndmask_b32 v6, v6, v48, s5
	v_dual_cndmask_b32 v7, v7, v15 :: v_dual_cndmask_b32 v6, v6, v17
	v_cmp_o_f64_e32 vcc_lo, v[62:63], v[62:63]
	s_delay_alu instid0(VALU_DEP_2) | instskip(NEXT) | instid1(VALU_DEP_3)
	v_cndmask_b32_e32 v7, 0x7ff80000, v7, vcc_lo
	v_cndmask_b32_e32 v6, 0, v6, vcc_lo
	s_delay_alu instid0(VALU_DEP_2)
	v_bfi_b32 v7, 0x7fffffff, v7, v63
                                        ; implicit-def: $vgpr62_vgpr63
.LBB42_492:                             ;   in Loop: Header=BB42_417 Depth=1
	s_and_not1_saveexec_b32 s49, s49
	s_cbranch_execz .LBB42_494
; %bb.493:                              ;   in Loop: Header=BB42_417 Depth=1
	s_delay_alu instid0(VALU_DEP_2) | instskip(NEXT) | instid1(VALU_DEP_3)
	v_max_num_f64_e64 v[6:7], |v[62:63]|, |v[62:63]|
	v_max_num_f64_e32 v[14:15], v[60:61], v[60:61]
	v_cmp_eq_f64_e64 s5, 0, v[62:63]
	v_cmp_class_f64_e64 s50, v[62:63], 0x204
	v_cmp_eq_f64_e64 s6, 0x7ff00000, v[60:61]
	s_delay_alu instid0(VALU_DEP_4) | instskip(SKIP_1) | instid1(VALU_DEP_1)
	v_max_num_f64_e32 v[16:17], v[14:15], v[6:7]
	v_min_num_f64_e32 v[6:7], v[14:15], v[6:7]
	v_div_scale_f64 v[14:15], null, v[16:17], v[16:17], v[6:7]
	v_div_scale_f64 v[52:53], vcc_lo, v[6:7], v[16:17], v[6:7]
	s_delay_alu instid0(VALU_DEP_2) | instskip(SKIP_1) | instid1(TRANS32_DEP_1)
	v_rcp_f64_e32 v[48:49], v[14:15]
	v_nop
	v_fma_f64 v[50:51], -v[14:15], v[48:49], 1.0
	s_delay_alu instid0(VALU_DEP_1) | instskip(NEXT) | instid1(VALU_DEP_1)
	v_fmac_f64_e32 v[48:49], v[48:49], v[50:51]
	v_fma_f64 v[50:51], -v[14:15], v[48:49], 1.0
	s_delay_alu instid0(VALU_DEP_1) | instskip(NEXT) | instid1(VALU_DEP_1)
	v_fmac_f64_e32 v[48:49], v[48:49], v[50:51]
	v_mul_f64_e32 v[50:51], v[52:53], v[48:49]
	s_delay_alu instid0(VALU_DEP_1) | instskip(NEXT) | instid1(VALU_DEP_1)
	v_fma_f64 v[14:15], -v[14:15], v[50:51], v[52:53]
	v_div_fmas_f64 v[14:15], v[14:15], v[48:49], v[50:51]
	v_cmp_lt_f64_e64 vcc_lo, v[60:61], |v[62:63]|
	s_delay_alu instid0(VALU_DEP_2) | instskip(NEXT) | instid1(VALU_DEP_1)
	v_div_fixup_f64 v[6:7], v[14:15], v[16:17], v[6:7]
	v_mul_f64_e32 v[14:15], v[6:7], v[6:7]
	s_delay_alu instid0(VALU_DEP_1) | instskip(NEXT) | instid1(VALU_DEP_1)
	v_fmamk_f64 v[16:17], v[14:15], 0x3eeba404b5e68a13, v[36:37]
	v_fmaak_f64 v[16:17], v[14:15], v[16:17], 0x3f4b2bb069efb384
	s_delay_alu instid0(VALU_DEP_1) | instskip(NEXT) | instid1(VALU_DEP_1)
	v_fmaak_f64 v[16:17], v[14:15], v[16:17], 0xbf67952daf56de9b
	v_fmaak_f64 v[16:17], v[14:15], v[16:17], 0x3f7d6d43a595c56f
	s_delay_alu instid0(VALU_DEP_1) | instskip(NEXT) | instid1(VALU_DEP_1)
	v_fmaak_f64 v[16:17], v[14:15], v[16:17], 0xbf8c6ea4a57d9582
	;; [unrolled: 3-line block ×9, first 2 shown]
	v_mul_f64_e32 v[14:15], v[14:15], v[16:17]
	v_xor_b32_e32 v16, 0x80000000, v61
	s_delay_alu instid0(VALU_DEP_1) | instskip(NEXT) | instid1(VALU_DEP_1)
	v_ashrrev_i32_e32 v17, 31, v16
	v_and_b32_e32 v48, 0x54442d18, v17
	s_delay_alu instid0(VALU_DEP_4) | instskip(NEXT) | instid1(VALU_DEP_1)
	v_fmac_f64_e32 v[6:7], v[6:7], v[14:15]
	v_add_f64_e64 v[14:15], -v[6:7], s[34:35]
	s_delay_alu instid0(VALU_DEP_1) | instskip(SKIP_1) | instid1(VALU_DEP_2)
	v_dual_cndmask_b32 v7, v7, v15 :: v_dual_cndmask_b32 v6, v6, v14
	v_cmp_gt_i32_e32 vcc_lo, 0, v16
	v_add_f64_e64 v[14:15], -v[6:7], s[36:37]
	v_cndmask_b32_e32 v16, 0x54442d18, v65, vcc_lo
	s_delay_alu instid0(VALU_DEP_2) | instskip(SKIP_3) | instid1(VALU_DEP_2)
	v_dual_cndmask_b32 v7, v7, v15 :: v_dual_cndmask_b32 v6, v6, v14
	v_and_b32_e32 v14, 0x400921fb, v17
	v_cndmask_b32_e32 v15, 0x3fe921fb, v66, vcc_lo
	s_and_b32 vcc_lo, s6, s50
	v_dual_cndmask_b32 v7, v7, v14, s5 :: v_dual_cndmask_b32 v6, v6, v48, s5
	s_delay_alu instid0(VALU_DEP_1) | instskip(SKIP_1) | instid1(VALU_DEP_2)
	v_dual_cndmask_b32 v7, v7, v15 :: v_dual_cndmask_b32 v6, v6, v16
	v_cmp_o_f64_e32 vcc_lo, v[62:63], v[62:63]
	v_cndmask_b32_e32 v7, 0x7ff80000, v7, vcc_lo
	s_delay_alu instid0(VALU_DEP_3) | instskip(NEXT) | instid1(VALU_DEP_2)
	v_cndmask_b32_e32 v6, 0, v6, vcc_lo
	v_bfi_b32 v7, 0x7fffffff, v7, v63
.LBB42_494:                             ;   in Loop: Header=BB42_417 Depth=1
	s_or_b32 exec_lo, exec_lo, s49
.LBB42_495:                             ;   in Loop: Header=BB42_417 Depth=1
	s_delay_alu instid0(SALU_CYCLE_1) | instskip(SKIP_1) | instid1(VALU_DEP_1)
	s_or_b32 exec_lo, exec_lo, s48
	v_xor_b32_e32 v14, 0x80000000, v9
	v_cndmask_b32_e64 v9, v14, v9, s4
                                        ; implicit-def: $vgpr14_vgpr15
.LBB42_496:                             ;   in Loop: Header=BB42_417 Depth=1
	s_and_not1_saveexec_b32 s5, s47
	s_cbranch_execz .LBB42_498
; %bb.497:                              ;   in Loop: Header=BB42_417 Depth=1
	s_wait_dscnt 0x0
	flat_load_b64 v[6:7], v[24:25] scope:SCOPE_SYS
	s_wait_loadcnt_dscnt 0x0
	v_add_f64_e64 v[6:7], v[6:7], -v[14:15]
	s_delay_alu instid0(VALU_DEP_1)
	v_add_f64_e32 v[6:7], 0x3ff921fb54442d18, v[6:7]
.LBB42_498:                             ;   in Loop: Header=BB42_417 Depth=1
	s_or_b32 exec_lo, exec_lo, s5
.LBB42_499:                             ;   in Loop: Header=BB42_417 Depth=1
	s_and_not1_saveexec_b32 s5, s46
	s_cbranch_execz .LBB42_501
; %bb.500:                              ;   in Loop: Header=BB42_417 Depth=1
	s_wait_dscnt 0x0
	v_mov_b64_e32 v[6:7], 0
.LBB42_501:                             ;   in Loop: Header=BB42_417 Depth=1
	s_or_b32 exec_lo, exec_lo, s5
                                        ; implicit-def: $vgpr14_vgpr15
                                        ; implicit-def: $vgpr50_vgpr51
                                        ; implicit-def: $vgpr52_vgpr53
                                        ; implicit-def: $vgpr48_vgpr49
.LBB42_502:                             ;   in Loop: Header=BB42_417 Depth=1
	s_and_not1_saveexec_b32 s33, s33
	s_cbranch_execz .LBB42_512
; %bb.503:                              ;   in Loop: Header=BB42_417 Depth=1
	v_cmp_lt_f64_e64 s5, |v[14:15]|, |v[16:17]|
	v_and_b32_e32 v56, 0x7fffffff, v15
	v_and_b32_e32 v57, 0x7fffffff, v17
                                        ; implicit-def: $sgpr46
                                        ; implicit-def: $vgpr8_vgpr9
                                        ; implicit-def: $vgpr6_vgpr7
	s_mov_b32 s6, exec_lo
	s_delay_alu instid0(VALU_DEP_1) | instskip(NEXT) | instid1(VALU_DEP_1)
	v_dual_cndmask_b32 v55, v56, v57, s5 :: v_dual_cndmask_b32 v54, v14, v16, s5
	v_cmpx_nlt_f64_e32 s[38:39], v[54:55]
	s_xor_b32 s47, exec_lo, s6
	s_cbranch_execz .LBB42_509
; %bb.504:                              ;   in Loop: Header=BB42_417 Depth=1
	v_dual_cndmask_b32 v57, v57, v56, s5 :: v_dual_cndmask_b32 v56, v16, v14, s5
	v_cmp_nlt_f64_e32 vcc_lo, 0x20200000, v[54:55]
                                        ; implicit-def: $sgpr46
                                        ; implicit-def: $vgpr8_vgpr9
                                        ; implicit-def: $vgpr6_vgpr7
	s_delay_alu instid0(VALU_DEP_2) | instskip(SKIP_1) | instid1(SALU_CYCLE_1)
	v_cmp_ngt_f64_e64 s6, 0x20000000, v[56:57]
	s_and_b32 s6, vcc_lo, s6
	s_and_saveexec_b32 s48, s6
	s_delay_alu instid0(SALU_CYCLE_1)
	s_xor_b32 s6, exec_lo, s48
	s_cbranch_execz .LBB42_506
; %bb.505:                              ;   in Loop: Header=BB42_417 Depth=1
	v_mul_f64_e32 v[8:9], v[56:57], v[56:57]
	v_min_num_f64_e32 v[50:51], v[50:51], v[52:53]
	v_cmp_class_f64_e64 s46, v[16:17], 0x204
	v_cmp_class_f64_e64 s48, v[14:15], 0x204
	s_delay_alu instid0(VALU_DEP_4) | instskip(SKIP_2) | instid1(VALU_DEP_1)
	v_fmac_f64_e32 v[8:9], v[54:55], v[54:55]
	s_and_b32 s46, s46, s48
	s_wait_dscnt 0x0
	v_frexp_mant_f64_e32 v[6:7], v[8:9]
	s_delay_alu instid0(VALU_DEP_1) | instskip(SKIP_1) | instid1(VALU_DEP_1)
	v_cmp_gt_f64_e32 vcc_lo, s[16:17], v[6:7]
	v_cndmask_b32_e64 v54, 0, 1, vcc_lo
	v_ldexp_f64 v[6:7], v[6:7], v54
	s_delay_alu instid0(VALU_DEP_1) | instskip(SKIP_1) | instid1(VALU_DEP_2)
	v_add_f64_e32 v[54:55], 1.0, v[6:7]
	v_add_f64_e32 v[60:61], -1.0, v[6:7]
	v_rcp_f64_e32 v[56:57], v[54:55]
	v_add_f64_e32 v[62:63], -1.0, v[54:55]
	s_delay_alu instid0(VALU_DEP_1) | instskip(NEXT) | instid1(TRANS32_DEP_1)
	v_add_f64_e64 v[6:7], v[6:7], -v[62:63]
	v_fma_f64 v[58:59], -v[54:55], v[56:57], 1.0
	s_delay_alu instid0(VALU_DEP_1) | instskip(NEXT) | instid1(VALU_DEP_1)
	v_fmac_f64_e32 v[56:57], v[58:59], v[56:57]
	v_fma_f64 v[58:59], -v[54:55], v[56:57], 1.0
	s_delay_alu instid0(VALU_DEP_1) | instskip(NEXT) | instid1(VALU_DEP_1)
	v_fmac_f64_e32 v[56:57], v[58:59], v[56:57]
	v_mul_f64_e32 v[58:59], v[60:61], v[56:57]
	s_delay_alu instid0(VALU_DEP_1) | instskip(NEXT) | instid1(VALU_DEP_1)
	v_mul_f64_e32 v[68:69], v[54:55], v[58:59]
	v_fma_f64 v[54:55], v[58:59], v[54:55], -v[68:69]
	s_delay_alu instid0(VALU_DEP_1) | instskip(NEXT) | instid1(VALU_DEP_1)
	v_fmac_f64_e32 v[54:55], v[58:59], v[6:7]
	v_add_f64_e32 v[6:7], v[68:69], v[54:55]
	s_delay_alu instid0(VALU_DEP_1) | instskip(SKIP_1) | instid1(VALU_DEP_2)
	v_add_f64_e64 v[62:63], v[60:61], -v[6:7]
	v_add_f64_e64 v[68:69], v[6:7], -v[68:69]
	v_add_f64_e64 v[60:61], v[60:61], -v[62:63]
	s_delay_alu instid0(VALU_DEP_2) | instskip(NEXT) | instid1(VALU_DEP_2)
	v_add_f64_e64 v[54:55], v[68:69], -v[54:55]
	v_add_f64_e64 v[6:7], v[60:61], -v[6:7]
	s_delay_alu instid0(VALU_DEP_1) | instskip(NEXT) | instid1(VALU_DEP_1)
	v_add_f64_e32 v[6:7], v[54:55], v[6:7]
	v_add_f64_e32 v[6:7], v[62:63], v[6:7]
	s_delay_alu instid0(VALU_DEP_1) | instskip(NEXT) | instid1(VALU_DEP_1)
	v_mul_f64_e32 v[6:7], v[56:57], v[6:7]
	v_add_f64_e32 v[54:55], v[58:59], v[6:7]
	s_delay_alu instid0(VALU_DEP_1) | instskip(SKIP_1) | instid1(VALU_DEP_2)
	v_mul_f64_e32 v[56:57], v[54:55], v[54:55]
	v_ldexp_f64 v[52:53], v[54:55], 1
	v_fmamk_f64 v[60:61], v[56:57], 0x3fc3ab76bf559e2b, v[32:33]
	v_mul_f64_e32 v[62:63], v[54:55], v[56:57]
	v_add_f64_e64 v[54:55], v[54:55], -v[58:59]
	s_delay_alu instid0(VALU_DEP_3) | instskip(NEXT) | instid1(VALU_DEP_1)
	v_fmaak_f64 v[60:61], v[56:57], v[60:61], 0x3fc7474dd7f4df2e
	v_fmaak_f64 v[60:61], v[56:57], v[60:61], 0x3fcc71c016291751
	s_delay_alu instid0(VALU_DEP_1) | instskip(NEXT) | instid1(VALU_DEP_1)
	v_fmaak_f64 v[60:61], v[56:57], v[60:61], 0x3fd249249b27acf1
	v_fmaak_f64 v[60:61], v[56:57], v[60:61], 0x3fd99999998ef7b6
	v_add_f64_e64 v[6:7], v[6:7], -v[54:55]
	s_delay_alu instid0(VALU_DEP_2) | instskip(SKIP_1) | instid1(VALU_DEP_2)
	v_fmaak_f64 v[56:57], v[56:57], v[60:61], 0x3fe5555555555780
	v_frexp_exp_i32_f64_e32 v60, v[8:9]
	v_mul_f64_e32 v[56:57], v[62:63], v[56:57]
	s_delay_alu instid0(VALU_DEP_4) | instskip(NEXT) | instid1(VALU_DEP_3)
	v_ldexp_f64 v[6:7], v[6:7], 1
	v_subrev_co_ci_u32_e64 v62, null, 0, v60, vcc_lo
	v_div_scale_f64 v[60:61], null, v[48:49], v[48:49], v[50:51]
	v_div_scale_f64 v[74:75], vcc_lo, v[50:51], v[48:49], v[50:51]
	s_delay_alu instid0(VALU_DEP_3) | instskip(SKIP_1) | instid1(VALU_DEP_4)
	v_cvt_f64_i32_e32 v[62:63], v62
	v_add_f64_e32 v[58:59], v[52:53], v[56:57]
	v_rcp_f64_e32 v[68:69], v[60:61]
	s_delay_alu instid0(VALU_DEP_2) | instskip(NEXT) | instid1(VALU_DEP_2)
	v_mul_f64_e32 v[70:71], 0x3fe62e42fefa39ef, v[62:63]
	v_add_f64_e64 v[52:53], v[58:59], -v[52:53]
	s_delay_alu instid0(VALU_DEP_2) | instskip(NEXT) | instid1(VALU_DEP_2)
	v_fma_f64 v[54:55], v[62:63], s[22:23], -v[70:71]
	v_add_f64_e64 v[52:53], v[56:57], -v[52:53]
	s_delay_alu instid0(TRANS32_DEP_1) | instskip(NEXT) | instid1(VALU_DEP_3)
	v_fma_f64 v[56:57], -v[60:61], v[68:69], 1.0
	v_fmac_f64_e32 v[54:55], 0x3c7abc9e3b39803f, v[62:63]
	s_delay_alu instid0(VALU_DEP_3) | instskip(NEXT) | instid1(VALU_DEP_3)
	v_add_f64_e32 v[6:7], v[6:7], v[52:53]
	v_fmac_f64_e32 v[68:69], v[68:69], v[56:57]
	s_delay_alu instid0(VALU_DEP_3) | instskip(NEXT) | instid1(VALU_DEP_3)
	v_add_f64_e32 v[52:53], v[70:71], v[54:55]
	v_add_f64_e32 v[56:57], v[58:59], v[6:7]
	s_delay_alu instid0(VALU_DEP_3) | instskip(NEXT) | instid1(VALU_DEP_3)
	v_fma_f64 v[62:63], -v[60:61], v[68:69], 1.0
	v_add_f64_e64 v[70:71], v[52:53], -v[70:71]
	s_delay_alu instid0(VALU_DEP_3) | instskip(NEXT) | instid1(VALU_DEP_3)
	v_add_f64_e32 v[72:73], v[52:53], v[56:57]
	v_fmac_f64_e32 v[68:69], v[68:69], v[62:63]
	v_add_f64_e64 v[58:59], v[56:57], -v[58:59]
	s_delay_alu instid0(VALU_DEP_4) | instskip(NEXT) | instid1(VALU_DEP_4)
	v_add_f64_e64 v[54:55], v[54:55], -v[70:71]
	v_add_f64_e64 v[62:63], v[72:73], -v[52:53]
	s_delay_alu instid0(VALU_DEP_4) | instskip(NEXT) | instid1(VALU_DEP_4)
	v_mul_f64_e32 v[76:77], v[74:75], v[68:69]
	v_add_f64_e64 v[58:59], v[6:7], -v[58:59]
	s_delay_alu instid0(VALU_DEP_3) | instskip(NEXT) | instid1(VALU_DEP_3)
	v_add_f64_e64 v[78:79], v[72:73], -v[62:63]
	v_fma_f64 v[60:61], -v[60:61], v[76:77], v[74:75]
	v_add_f64_e64 v[6:7], v[56:57], -v[62:63]
	s_delay_alu instid0(VALU_DEP_3) | instskip(NEXT) | instid1(VALU_DEP_3)
	v_add_f64_e64 v[52:53], v[52:53], -v[78:79]
	v_div_fmas_f64 v[56:57], v[60:61], v[68:69], v[76:77]
	v_add_f64_e32 v[60:61], v[54:55], v[58:59]
	v_cmp_class_f64_e64 vcc_lo, v[8:9], 0x204
	s_delay_alu instid0(VALU_DEP_4) | instskip(NEXT) | instid1(VALU_DEP_4)
	v_add_f64_e32 v[52:53], v[6:7], v[52:53]
	v_div_fixup_f64 v[6:7], v[56:57], v[48:49], v[50:51]
	s_delay_alu instid0(VALU_DEP_4) | instskip(NEXT) | instid1(VALU_DEP_3)
	v_add_f64_e64 v[48:49], v[60:61], -v[54:55]
	v_add_f64_e32 v[50:51], v[60:61], v[52:53]
	s_delay_alu instid0(VALU_DEP_3) | instskip(NEXT) | instid1(VALU_DEP_3)
	v_mul_f64_e32 v[52:53], v[6:7], v[6:7]
	v_add_f64_e64 v[56:57], v[60:61], -v[48:49]
	v_add_f64_e64 v[48:49], v[58:59], -v[48:49]
	s_delay_alu instid0(VALU_DEP_4) | instskip(NEXT) | instid1(VALU_DEP_4)
	v_add_f64_e32 v[60:61], v[72:73], v[50:51]
	v_fmamk_f64 v[62:63], v[52:53], 0x3eeba404b5e68a13, v[36:37]
	s_delay_alu instid0(VALU_DEP_4) | instskip(NEXT) | instid1(VALU_DEP_2)
	v_add_f64_e64 v[54:55], v[54:55], -v[56:57]
	v_fmaak_f64 v[62:63], v[52:53], v[62:63], 0x3f4b2bb069efb384
	s_delay_alu instid0(VALU_DEP_1) | instskip(NEXT) | instid1(VALU_DEP_1)
	v_fmaak_f64 v[62:63], v[52:53], v[62:63], 0xbf67952daf56de9b
	v_fmaak_f64 v[62:63], v[52:53], v[62:63], 0x3f7d6d43a595c56f
	s_delay_alu instid0(VALU_DEP_1) | instskip(SKIP_2) | instid1(VALU_DEP_3)
	v_fmaak_f64 v[58:59], v[52:53], v[62:63], 0xbf8c6ea4a57d9582
	v_add_f64_e64 v[56:57], v[60:61], -v[72:73]
	v_add_f64_e32 v[48:49], v[48:49], v[54:55]
	v_fmaak_f64 v[58:59], v[52:53], v[58:59], 0x3f967e295f08b19f
	s_delay_alu instid0(VALU_DEP_1) | instskip(NEXT) | instid1(VALU_DEP_1)
	v_fmaak_f64 v[58:59], v[52:53], v[58:59], 0xbf9e9ae6fc27006a
	v_fmaak_f64 v[58:59], v[52:53], v[58:59], 0x3fa2c15b5711927a
	s_delay_alu instid0(VALU_DEP_1) | instskip(NEXT) | instid1(VALU_DEP_1)
	v_fmaak_f64 v[58:59], v[52:53], v[58:59], 0xbfa59976e82d3ff0
	v_fmaak_f64 v[54:55], v[52:53], v[58:59], 0x3fa82d5d6ef28734
	v_add_f64_e64 v[50:51], v[50:51], -v[56:57]
	s_delay_alu instid0(VALU_DEP_2) | instskip(NEXT) | instid1(VALU_DEP_1)
	v_fmaak_f64 v[54:55], v[52:53], v[54:55], 0xbfaae5ce6a214619
	v_fmaak_f64 v[54:55], v[52:53], v[54:55], 0x3fae1bb48427b883
	s_delay_alu instid0(VALU_DEP_1) | instskip(NEXT) | instid1(VALU_DEP_4)
	v_fmaak_f64 v[54:55], v[52:53], v[54:55], 0xbfb110e48b207f05
	v_add_f64_e32 v[48:49], v[48:49], v[50:51]
	s_delay_alu instid0(VALU_DEP_2) | instskip(NEXT) | instid1(VALU_DEP_1)
	v_fmaak_f64 v[50:51], v[52:53], v[54:55], 0x3fb3b13657b87036
	v_fmaak_f64 v[50:51], v[52:53], v[50:51], 0xbfb745d119378e4f
	s_delay_alu instid0(VALU_DEP_1) | instskip(NEXT) | instid1(VALU_DEP_1)
	v_fmaak_f64 v[50:51], v[52:53], v[50:51], 0x3fbc71c717e1913c
	v_fmaak_f64 v[50:51], v[52:53], v[50:51], 0xbfc2492492376b7d
	s_delay_alu instid0(VALU_DEP_1) | instskip(SKIP_1) | instid1(VALU_DEP_2)
	v_fmaak_f64 v[50:51], v[52:53], v[50:51], 0x3fc99999999952cc
	v_add_f64_e32 v[48:49], v[60:61], v[48:49]
	v_fmaak_f64 v[50:51], v[52:53], v[50:51], 0xbfd5555555555523
	s_delay_alu instid0(VALU_DEP_1) | instskip(NEXT) | instid1(VALU_DEP_3)
	v_mul_f64_e32 v[50:51], v[52:53], v[50:51]
                                        ; implicit-def: $vgpr52_vgpr53
	v_dual_cndmask_b32 v49, v49, v9 :: v_dual_cndmask_b32 v48, v48, v8
	v_cmp_neq_f64_e32 vcc_lo, 0, v[8:9]
	s_delay_alu instid0(VALU_DEP_2) | instskip(NEXT) | instid1(VALU_DEP_4)
	v_mul_f64_e32 v[48:49], 0.5, v[48:49]
	v_fmac_f64_e32 v[6:7], v[6:7], v[50:51]
                                        ; implicit-def: $vgpr50_vgpr51
	s_delay_alu instid0(VALU_DEP_2) | instskip(NEXT) | instid1(VALU_DEP_3)
	v_cndmask_b32_e32 v9, 0xfff00000, v49, vcc_lo
	v_cndmask_b32_e32 v8, 0, v48, vcc_lo
                                        ; implicit-def: $vgpr48_vgpr49
.LBB42_506:                             ;   in Loop: Header=BB42_417 Depth=1
	s_and_not1_saveexec_b32 s6, s6
	s_cbranch_execz .LBB42_508
; %bb.507:                              ;   in Loop: Header=BB42_417 Depth=1
	v_frexp_exp_i32_f64_e32 v58, v[48:49]
	v_cmp_class_f64_e64 s48, v[14:15], 0x204
	v_cmp_class_f64_e64 s49, v[16:17], 0x204
	v_min_num_f64_e32 v[50:51], v[50:51], v[52:53]
	s_and_not1_b32 s46, s46, exec_lo
	v_sub_nc_u32_e32 v8, 0, v58
	s_or_b32 s50, s49, s48
	s_and_b32 s48, s49, s48
	s_delay_alu instid0(SALU_CYCLE_1) | instskip(SKIP_4) | instid1(VALU_DEP_2)
	s_and_b32 s48, s48, exec_lo
	s_wait_dscnt 0x0
	v_ldexp_f64 v[6:7], |v[16:17]|, v8
	v_ldexp_f64 v[8:9], |v[14:15]|, v8
	s_or_b32 s46, s46, s48
	v_mul_f64_e32 v[6:7], v[6:7], v[6:7]
	s_delay_alu instid0(VALU_DEP_1) | instskip(NEXT) | instid1(VALU_DEP_1)
	v_fmac_f64_e32 v[6:7], v[8:9], v[8:9]
	v_rsq_f64_e32 v[8:9], v[6:7]
	v_cmp_eq_f64_e32 vcc_lo, 0, v[6:7]
	s_delay_alu instid0(TRANS32_DEP_1) | instskip(SKIP_1) | instid1(VALU_DEP_1)
	v_mul_f64_e32 v[54:55], v[6:7], v[8:9]
	v_mul_f64_e32 v[8:9], 0.5, v[8:9]
	v_fma_f64 v[56:57], -v[8:9], v[54:55], 0.5
	s_delay_alu instid0(VALU_DEP_1) | instskip(SKIP_1) | instid1(VALU_DEP_2)
	v_fmac_f64_e32 v[54:55], v[54:55], v[56:57]
	v_fmac_f64_e32 v[8:9], v[8:9], v[56:57]
	v_fma_f64 v[56:57], -v[54:55], v[54:55], v[6:7]
	s_delay_alu instid0(VALU_DEP_1) | instskip(NEXT) | instid1(VALU_DEP_1)
	v_fmac_f64_e32 v[54:55], v[56:57], v[8:9]
	v_dual_cndmask_b32 v7, v55, v7 :: v_dual_cndmask_b32 v6, v54, v6
	s_delay_alu instid0(VALU_DEP_1) | instskip(NEXT) | instid1(VALU_DEP_1)
	v_ldexp_f64 v[6:7], v[6:7], v58
	v_cndmask_b32_e64 v55, v7, 0x7ff00000, s50
	s_delay_alu instid0(VALU_DEP_2) | instskip(NEXT) | instid1(VALU_DEP_1)
	v_cndmask_b32_e64 v54, v6, 0, s50
	v_frexp_mant_f64_e32 v[6:7], v[54:55]
	v_frexp_exp_i32_f64_e32 v67, v[54:55]
	s_delay_alu instid0(VALU_DEP_2) | instskip(SKIP_1) | instid1(VALU_DEP_1)
	v_cmp_gt_f64_e32 vcc_lo, s[16:17], v[6:7]
	v_cndmask_b32_e64 v8, 0, 1, vcc_lo
	v_ldexp_f64 v[6:7], v[6:7], v8
	s_delay_alu instid0(VALU_DEP_1) | instskip(SKIP_1) | instid1(VALU_DEP_2)
	v_add_f64_e32 v[8:9], 1.0, v[6:7]
	v_add_f64_e32 v[60:61], -1.0, v[6:7]
	v_rcp_f64_e32 v[56:57], v[8:9]
	v_add_f64_e32 v[62:63], -1.0, v[8:9]
	s_delay_alu instid0(VALU_DEP_1) | instskip(NEXT) | instid1(TRANS32_DEP_1)
	v_add_f64_e64 v[6:7], v[6:7], -v[62:63]
	v_fma_f64 v[58:59], -v[8:9], v[56:57], 1.0
	s_delay_alu instid0(VALU_DEP_1) | instskip(NEXT) | instid1(VALU_DEP_1)
	v_fmac_f64_e32 v[56:57], v[58:59], v[56:57]
	v_fma_f64 v[58:59], -v[8:9], v[56:57], 1.0
	s_delay_alu instid0(VALU_DEP_1) | instskip(NEXT) | instid1(VALU_DEP_1)
	v_fmac_f64_e32 v[56:57], v[58:59], v[56:57]
	v_mul_f64_e32 v[58:59], v[60:61], v[56:57]
	s_delay_alu instid0(VALU_DEP_1) | instskip(NEXT) | instid1(VALU_DEP_1)
	v_mul_f64_e32 v[68:69], v[8:9], v[58:59]
	v_fma_f64 v[8:9], v[58:59], v[8:9], -v[68:69]
	s_delay_alu instid0(VALU_DEP_1) | instskip(NEXT) | instid1(VALU_DEP_1)
	v_fmac_f64_e32 v[8:9], v[58:59], v[6:7]
	v_add_f64_e32 v[6:7], v[68:69], v[8:9]
	s_delay_alu instid0(VALU_DEP_1) | instskip(SKIP_1) | instid1(VALU_DEP_2)
	v_add_f64_e64 v[62:63], v[60:61], -v[6:7]
	v_add_f64_e64 v[68:69], v[6:7], -v[68:69]
	;; [unrolled: 1-line block ×3, first 2 shown]
	s_delay_alu instid0(VALU_DEP_2) | instskip(NEXT) | instid1(VALU_DEP_2)
	v_add_f64_e64 v[8:9], v[68:69], -v[8:9]
	v_add_f64_e64 v[6:7], v[60:61], -v[6:7]
	s_delay_alu instid0(VALU_DEP_1) | instskip(NEXT) | instid1(VALU_DEP_1)
	v_add_f64_e32 v[6:7], v[8:9], v[6:7]
	v_add_f64_e32 v[6:7], v[62:63], v[6:7]
	s_delay_alu instid0(VALU_DEP_1) | instskip(NEXT) | instid1(VALU_DEP_1)
	v_mul_f64_e32 v[6:7], v[56:57], v[6:7]
	v_add_f64_e32 v[8:9], v[58:59], v[6:7]
	s_delay_alu instid0(VALU_DEP_1) | instskip(NEXT) | instid1(VALU_DEP_1)
	v_mul_f64_e32 v[56:57], v[8:9], v[8:9]
	v_fmamk_f64 v[60:61], v[56:57], 0x3fc3ab76bf559e2b, v[32:33]
	v_mul_f64_e32 v[62:63], v[8:9], v[56:57]
	s_delay_alu instid0(VALU_DEP_2) | instskip(NEXT) | instid1(VALU_DEP_1)
	v_fmaak_f64 v[60:61], v[56:57], v[60:61], 0x3fc7474dd7f4df2e
	v_fmaak_f64 v[52:53], v[56:57], v[60:61], 0x3fcc71c016291751
	v_div_scale_f64 v[60:61], null, v[48:49], v[48:49], v[50:51]
	s_delay_alu instid0(VALU_DEP_2) | instskip(NEXT) | instid1(VALU_DEP_1)
	v_fmaak_f64 v[52:53], v[56:57], v[52:53], 0x3fd249249b27acf1
	v_fmaak_f64 v[52:53], v[56:57], v[52:53], 0x3fd99999998ef7b6
	s_delay_alu instid0(VALU_DEP_1) | instskip(SKIP_2) | instid1(VALU_DEP_3)
	v_fmaak_f64 v[52:53], v[56:57], v[52:53], 0x3fe5555555555780
	v_ldexp_f64 v[56:57], v[8:9], 1
	v_add_f64_e64 v[8:9], v[8:9], -v[58:59]
	v_mul_f64_e32 v[52:53], v[62:63], v[52:53]
	v_subrev_co_ci_u32_e64 v62, null, 0, v67, vcc_lo
	v_rcp_f64_e32 v[68:69], v[60:61]
	s_delay_alu instid0(VALU_DEP_1) | instskip(NEXT) | instid1(VALU_DEP_4)
	v_cvt_f64_i32_e32 v[62:63], v62
	v_add_f64_e64 v[6:7], v[6:7], -v[8:9]
	s_delay_alu instid0(VALU_DEP_4) | instskip(NEXT) | instid1(VALU_DEP_3)
	v_add_f64_e32 v[58:59], v[56:57], v[52:53]
	v_mul_f64_e32 v[70:71], 0x3fe62e42fefa39ef, v[62:63]
	s_delay_alu instid0(VALU_DEP_3) | instskip(NEXT) | instid1(VALU_DEP_3)
	v_ldexp_f64 v[6:7], v[6:7], 1
	v_add_f64_e64 v[8:9], v[58:59], -v[56:57]
	s_delay_alu instid0(TRANS32_DEP_1) | instskip(NEXT) | instid1(VALU_DEP_4)
	v_fma_f64 v[56:57], -v[60:61], v[68:69], 1.0
	v_fma_f64 v[72:73], v[62:63], s[22:23], -v[70:71]
	s_delay_alu instid0(VALU_DEP_3) | instskip(NEXT) | instid1(VALU_DEP_3)
	v_add_f64_e64 v[8:9], v[52:53], -v[8:9]
	v_fmac_f64_e32 v[68:69], v[68:69], v[56:57]
	s_delay_alu instid0(VALU_DEP_3) | instskip(SKIP_1) | instid1(VALU_DEP_4)
	v_fmac_f64_e32 v[72:73], 0x3c7abc9e3b39803f, v[62:63]
	v_div_scale_f64 v[62:63], vcc_lo, v[50:51], v[48:49], v[50:51]
	v_add_f64_e32 v[6:7], v[6:7], v[8:9]
	s_delay_alu instid0(VALU_DEP_4) | instskip(NEXT) | instid1(VALU_DEP_4)
	v_fma_f64 v[8:9], -v[60:61], v[68:69], 1.0
	v_add_f64_e32 v[52:53], v[70:71], v[72:73]
	s_delay_alu instid0(VALU_DEP_3) | instskip(NEXT) | instid1(VALU_DEP_3)
	v_add_f64_e32 v[56:57], v[58:59], v[6:7]
	v_fmac_f64_e32 v[68:69], v[68:69], v[8:9]
	s_delay_alu instid0(VALU_DEP_2) | instskip(NEXT) | instid1(VALU_DEP_2)
	v_add_f64_e32 v[8:9], v[52:53], v[56:57]
	v_mul_f64_e32 v[74:75], v[62:63], v[68:69]
	v_add_f64_e64 v[58:59], v[56:57], -v[58:59]
	s_delay_alu instid0(VALU_DEP_3) | instskip(NEXT) | instid1(VALU_DEP_3)
	v_add_f64_e64 v[76:77], v[8:9], -v[52:53]
	v_fma_f64 v[60:61], -v[60:61], v[74:75], v[62:63]
	v_add_f64_e64 v[62:63], v[52:53], -v[70:71]
	s_delay_alu instid0(VALU_DEP_4) | instskip(NEXT) | instid1(VALU_DEP_4)
	v_add_f64_e64 v[58:59], v[6:7], -v[58:59]
	v_add_f64_e64 v[70:71], v[8:9], -v[76:77]
	s_delay_alu instid0(VALU_DEP_4) | instskip(NEXT) | instid1(VALU_DEP_4)
	v_div_fmas_f64 v[60:61], v[60:61], v[68:69], v[74:75]
	v_add_f64_e64 v[62:63], v[72:73], -v[62:63]
	v_add_f64_e64 v[56:57], v[56:57], -v[76:77]
	v_cmp_class_f64_e64 vcc_lo, v[54:55], 0x204
	v_add_f64_e64 v[52:53], v[52:53], -v[70:71]
	v_div_fixup_f64 v[6:7], v[60:61], v[48:49], v[50:51]
	v_add_f64_e32 v[48:49], v[62:63], v[58:59]
	s_delay_alu instid0(VALU_DEP_3) | instskip(NEXT) | instid1(VALU_DEP_3)
	v_add_f64_e32 v[50:51], v[56:57], v[52:53]
	v_mul_f64_e32 v[52:53], v[6:7], v[6:7]
	s_delay_alu instid0(VALU_DEP_3) | instskip(NEXT) | instid1(VALU_DEP_3)
	v_add_f64_e64 v[56:57], v[48:49], -v[62:63]
	v_add_f64_e32 v[50:51], v[48:49], v[50:51]
	s_delay_alu instid0(VALU_DEP_3) | instskip(NEXT) | instid1(VALU_DEP_3)
	v_fmamk_f64 v[60:61], v[52:53], 0x3eeba404b5e68a13, v[36:37]
	v_add_f64_e64 v[48:49], v[48:49], -v[56:57]
	v_add_f64_e64 v[56:57], v[58:59], -v[56:57]
	s_delay_alu instid0(VALU_DEP_3) | instskip(NEXT) | instid1(VALU_DEP_1)
	v_fmaak_f64 v[60:61], v[52:53], v[60:61], 0x3f4b2bb069efb384
	v_fmaak_f64 v[60:61], v[52:53], v[60:61], 0xbf67952daf56de9b
	s_delay_alu instid0(VALU_DEP_1) | instskip(NEXT) | instid1(VALU_DEP_1)
	v_fmaak_f64 v[60:61], v[52:53], v[60:61], 0x3f7d6d43a595c56f
	v_fmaak_f64 v[60:61], v[52:53], v[60:61], 0xbf8c6ea4a57d9582
	v_add_f64_e32 v[68:69], v[8:9], v[50:51]
	v_add_f64_e64 v[48:49], v[62:63], -v[48:49]
	s_delay_alu instid0(VALU_DEP_3) | instskip(NEXT) | instid1(VALU_DEP_1)
	v_fmaak_f64 v[60:61], v[52:53], v[60:61], 0x3f967e295f08b19f
	v_fmaak_f64 v[60:61], v[52:53], v[60:61], 0xbf9e9ae6fc27006a
	s_delay_alu instid0(VALU_DEP_1) | instskip(NEXT) | instid1(VALU_DEP_1)
	v_fmaak_f64 v[60:61], v[52:53], v[60:61], 0x3fa2c15b5711927a
	v_fmaak_f64 v[58:59], v[52:53], v[60:61], 0xbfa59976e82d3ff0
	s_delay_alu instid0(VALU_DEP_1) | instskip(SKIP_2) | instid1(VALU_DEP_3)
	v_fmaak_f64 v[58:59], v[52:53], v[58:59], 0x3fa82d5d6ef28734
	v_add_f64_e64 v[8:9], v[68:69], -v[8:9]
	v_add_f64_e32 v[48:49], v[56:57], v[48:49]
	v_fmaak_f64 v[58:59], v[52:53], v[58:59], 0xbfaae5ce6a214619
	s_delay_alu instid0(VALU_DEP_1) | instskip(NEXT) | instid1(VALU_DEP_1)
	v_fmaak_f64 v[58:59], v[52:53], v[58:59], 0x3fae1bb48427b883
	v_fmaak_f64 v[58:59], v[52:53], v[58:59], 0xbfb110e48b207f05
	v_add_f64_e64 v[8:9], v[50:51], -v[8:9]
	s_delay_alu instid0(VALU_DEP_2) | instskip(NEXT) | instid1(VALU_DEP_1)
	v_fmaak_f64 v[50:51], v[52:53], v[58:59], 0x3fb3b13657b87036
	v_fmaak_f64 v[50:51], v[52:53], v[50:51], 0xbfb745d119378e4f
	s_delay_alu instid0(VALU_DEP_1) | instskip(NEXT) | instid1(VALU_DEP_1)
	v_fmaak_f64 v[50:51], v[52:53], v[50:51], 0x3fbc71c717e1913c
	v_fmaak_f64 v[50:51], v[52:53], v[50:51], 0xbfc2492492376b7d
	v_add_f64_e32 v[8:9], v[48:49], v[8:9]
	s_delay_alu instid0(VALU_DEP_2) | instskip(NEXT) | instid1(VALU_DEP_1)
	v_fmaak_f64 v[48:49], v[52:53], v[50:51], 0x3fc99999999952cc
	v_fmaak_f64 v[48:49], v[52:53], v[48:49], 0xbfd5555555555523
	s_delay_alu instid0(VALU_DEP_1) | instskip(NEXT) | instid1(VALU_DEP_4)
	v_mul_f64_e32 v[48:49], v[52:53], v[48:49]
	v_add_f64_e32 v[8:9], v[68:69], v[8:9]
	s_delay_alu instid0(VALU_DEP_2) | instskip(NEXT) | instid1(VALU_DEP_2)
	v_fmac_f64_e32 v[6:7], v[6:7], v[48:49]
	v_dual_cndmask_b32 v8, v8, v54 :: v_dual_cndmask_b32 v9, v9, v55
	v_cmp_ngt_f64_e32 vcc_lo, 0, v[54:55]
	s_delay_alu instid0(VALU_DEP_2) | instskip(SKIP_1) | instid1(VALU_DEP_4)
	v_cndmask_b32_e32 v9, 0x7ff80000, v9, vcc_lo
	v_cmp_nge_f64_e32 vcc_lo, 0, v[54:55]
	v_cndmask_b32_e32 v8, 0, v8, vcc_lo
	v_cmp_neq_f64_e32 vcc_lo, 0, v[54:55]
	s_delay_alu instid0(VALU_DEP_4)
	v_cndmask_b32_e32 v9, 0xfff00000, v9, vcc_lo
.LBB42_508:                             ;   in Loop: Header=BB42_417 Depth=1
	s_or_b32 exec_lo, exec_lo, s6
                                        ; implicit-def: $vgpr50_vgpr51
                                        ; implicit-def: $vgpr52_vgpr53
                                        ; implicit-def: $vgpr48_vgpr49
.LBB42_509:                             ;   in Loop: Header=BB42_417 Depth=1
	s_and_not1_saveexec_b32 s47, s47
	s_cbranch_execz .LBB42_511
; %bb.510:                              ;   in Loop: Header=BB42_417 Depth=1
	s_wait_dscnt 0x0
	v_div_scale_f64 v[6:7], null, s[40:41], s[40:41], v[14:15]
	v_div_scale_f64 v[8:9], null, s[40:41], s[40:41], v[16:17]
	v_div_scale_f64 v[62:63], vcc_lo, v[14:15], s[40:41], v[14:15]
	v_min_num_f64_e32 v[50:51], v[50:51], v[52:53]
	s_and_not1_b32 s46, s46, exec_lo
	s_delay_alu instid0(VALU_DEP_4) | instskip(NEXT) | instid1(VALU_DEP_3)
	v_rcp_f64_e32 v[54:55], v[6:7]
	v_rcp_f64_e32 v[56:57], v[8:9]
	s_delay_alu instid0(TRANS32_DEP_2) | instskip(NEXT) | instid1(TRANS32_DEP_1)
	v_fma_f64 v[58:59], -v[6:7], v[54:55], 1.0
	v_fma_f64 v[60:61], -v[8:9], v[56:57], 1.0
	s_delay_alu instid0(VALU_DEP_2) | instskip(NEXT) | instid1(VALU_DEP_2)
	v_fmac_f64_e32 v[54:55], v[54:55], v[58:59]
	v_fmac_f64_e32 v[56:57], v[56:57], v[60:61]
	s_delay_alu instid0(VALU_DEP_2) | instskip(NEXT) | instid1(VALU_DEP_2)
	v_fma_f64 v[58:59], -v[6:7], v[54:55], 1.0
	v_fma_f64 v[60:61], -v[8:9], v[56:57], 1.0
	s_delay_alu instid0(VALU_DEP_2) | instskip(SKIP_1) | instid1(VALU_DEP_3)
	v_fmac_f64_e32 v[54:55], v[54:55], v[58:59]
	v_div_scale_f64 v[58:59], s6, v[16:17], s[40:41], v[16:17]
	v_fmac_f64_e32 v[56:57], v[56:57], v[60:61]
	s_delay_alu instid0(VALU_DEP_3) | instskip(NEXT) | instid1(VALU_DEP_2)
	v_mul_f64_e32 v[60:61], v[62:63], v[54:55]
	v_mul_f64_e32 v[68:69], v[58:59], v[56:57]
	s_delay_alu instid0(VALU_DEP_2) | instskip(NEXT) | instid1(VALU_DEP_2)
	v_fma_f64 v[6:7], -v[6:7], v[60:61], v[62:63]
	v_fma_f64 v[8:9], -v[8:9], v[68:69], v[58:59]
	s_delay_alu instid0(VALU_DEP_2) | instskip(SKIP_1) | instid1(VALU_DEP_2)
	v_div_fmas_f64 v[6:7], v[6:7], v[54:55], v[60:61]
	s_mov_b32 vcc_lo, s6
	v_div_fmas_f64 v[8:9], v[8:9], v[56:57], v[68:69]
	s_delay_alu instid0(VALU_DEP_2) | instskip(NEXT) | instid1(VALU_DEP_2)
	v_div_fixup_f64 v[6:7], v[6:7], s[40:41], v[14:15]
	v_div_fixup_f64 v[8:9], v[8:9], s[40:41], v[16:17]
	s_delay_alu instid0(VALU_DEP_2) | instskip(NEXT) | instid1(VALU_DEP_2)
	v_cmp_class_f64_e64 s6, v[6:7], 0x204
	v_max_num_f64_e64 v[54:55], |v[6:7]|, |v[8:9]|
	v_cmp_class_f64_e64 s48, v[8:9], 0x204
	s_delay_alu instid0(VALU_DEP_2) | instskip(SKIP_2) | instid1(VALU_DEP_2)
	v_frexp_exp_i32_f64_e32 v62, v[54:55]
	s_or_b32 s6, s48, s6
	v_cmp_class_f64_e64 s48, v[14:15], 0x204
	v_sub_nc_u32_e32 v56, 0, v62
	s_delay_alu instid0(VALU_DEP_1) | instskip(SKIP_1) | instid1(VALU_DEP_2)
	v_ldexp_f64 v[54:55], |v[8:9]|, v56
	v_ldexp_f64 v[56:57], |v[6:7]|, v56
	v_mul_f64_e32 v[54:55], v[54:55], v[54:55]
	s_delay_alu instid0(VALU_DEP_1) | instskip(NEXT) | instid1(VALU_DEP_1)
	v_fmac_f64_e32 v[54:55], v[56:57], v[56:57]
	v_rsq_f64_e32 v[56:57], v[54:55]
	v_cmp_eq_f64_e32 vcc_lo, 0, v[54:55]
	s_delay_alu instid0(TRANS32_DEP_1) | instskip(SKIP_1) | instid1(VALU_DEP_1)
	v_mul_f64_e32 v[58:59], v[54:55], v[56:57]
	v_mul_f64_e32 v[56:57], 0.5, v[56:57]
	v_fma_f64 v[60:61], -v[56:57], v[58:59], 0.5
	s_delay_alu instid0(VALU_DEP_1) | instskip(SKIP_1) | instid1(VALU_DEP_2)
	v_fmac_f64_e32 v[58:59], v[58:59], v[60:61]
	v_fmac_f64_e32 v[56:57], v[56:57], v[60:61]
	v_fma_f64 v[60:61], -v[58:59], v[58:59], v[54:55]
	s_delay_alu instid0(VALU_DEP_1) | instskip(NEXT) | instid1(VALU_DEP_1)
	v_fmac_f64_e32 v[58:59], v[60:61], v[56:57]
	v_dual_cndmask_b32 v55, v59, v55 :: v_dual_cndmask_b32 v54, v58, v54
	s_delay_alu instid0(VALU_DEP_1) | instskip(NEXT) | instid1(VALU_DEP_1)
	v_ldexp_f64 v[6:7], v[54:55], v62
	v_cndmask_b32_e64 v55, v7, 0x7ff00000, s6
	s_delay_alu instid0(VALU_DEP_2) | instskip(SKIP_1) | instid1(VALU_DEP_2)
	v_cndmask_b32_e64 v54, v6, 0, s6
	v_cmp_class_f64_e64 s6, v[16:17], 0x204
	v_frexp_mant_f64_e32 v[6:7], v[54:55]
	v_frexp_exp_i32_f64_e32 v67, v[54:55]
	s_and_b32 s6, s6, s48
	s_delay_alu instid0(SALU_CYCLE_1) | instskip(NEXT) | instid1(VALU_DEP_2)
	s_and_b32 s6, s6, exec_lo
	v_cmp_gt_f64_e32 vcc_lo, s[16:17], v[6:7]
	s_or_b32 s46, s46, s6
	v_cndmask_b32_e64 v8, 0, 1, vcc_lo
	s_delay_alu instid0(VALU_DEP_3) | instskip(SKIP_1) | instid1(VALU_DEP_3)
	v_subrev_co_ci_u32_e64 v52, null, 0, v67, vcc_lo
	v_div_scale_f64 v[74:75], vcc_lo, v[50:51], v[48:49], v[50:51]
	v_ldexp_f64 v[6:7], v[6:7], v8
	s_delay_alu instid0(VALU_DEP_3) | instskip(NEXT) | instid1(VALU_DEP_2)
	v_cvt_f64_i32_e32 v[52:53], v52
	v_add_f64_e32 v[8:9], 1.0, v[6:7]
	v_add_f64_e32 v[60:61], -1.0, v[6:7]
	s_delay_alu instid0(VALU_DEP_2) | instskip(SKIP_1) | instid1(VALU_DEP_1)
	v_rcp_f64_e32 v[56:57], v[8:9]
	v_add_f64_e32 v[62:63], -1.0, v[8:9]
	v_add_f64_e64 v[6:7], v[6:7], -v[62:63]
	s_delay_alu instid0(TRANS32_DEP_1) | instskip(NEXT) | instid1(VALU_DEP_1)
	v_fma_f64 v[58:59], -v[8:9], v[56:57], 1.0
	v_fmac_f64_e32 v[56:57], v[58:59], v[56:57]
	s_delay_alu instid0(VALU_DEP_1) | instskip(NEXT) | instid1(VALU_DEP_1)
	v_fma_f64 v[58:59], -v[8:9], v[56:57], 1.0
	v_fmac_f64_e32 v[56:57], v[58:59], v[56:57]
	s_delay_alu instid0(VALU_DEP_1) | instskip(NEXT) | instid1(VALU_DEP_1)
	v_mul_f64_e32 v[58:59], v[60:61], v[56:57]
	v_mul_f64_e32 v[68:69], v[8:9], v[58:59]
	s_delay_alu instid0(VALU_DEP_1) | instskip(NEXT) | instid1(VALU_DEP_1)
	v_fma_f64 v[8:9], v[58:59], v[8:9], -v[68:69]
	v_fmac_f64_e32 v[8:9], v[58:59], v[6:7]
	s_delay_alu instid0(VALU_DEP_1) | instskip(NEXT) | instid1(VALU_DEP_1)
	v_add_f64_e32 v[6:7], v[68:69], v[8:9]
	v_add_f64_e64 v[62:63], v[60:61], -v[6:7]
	v_add_f64_e64 v[68:69], v[6:7], -v[68:69]
	s_delay_alu instid0(VALU_DEP_2) | instskip(NEXT) | instid1(VALU_DEP_2)
	v_add_f64_e64 v[60:61], v[60:61], -v[62:63]
	v_add_f64_e64 v[8:9], v[68:69], -v[8:9]
	v_mul_f64_e32 v[68:69], 0x3fe62e42fefa39ef, v[52:53]
	s_delay_alu instid0(VALU_DEP_3) | instskip(NEXT) | instid1(VALU_DEP_2)
	v_add_f64_e64 v[6:7], v[60:61], -v[6:7]
	v_fma_f64 v[70:71], v[52:53], s[22:23], -v[68:69]
	s_delay_alu instid0(VALU_DEP_2) | instskip(NEXT) | instid1(VALU_DEP_2)
	v_add_f64_e32 v[6:7], v[8:9], v[6:7]
	v_fmac_f64_e32 v[70:71], 0x3c7abc9e3b39803f, v[52:53]
	s_delay_alu instid0(VALU_DEP_2) | instskip(NEXT) | instid1(VALU_DEP_1)
	v_add_f64_e32 v[6:7], v[62:63], v[6:7]
	v_mul_f64_e32 v[6:7], v[56:57], v[6:7]
	s_delay_alu instid0(VALU_DEP_1) | instskip(NEXT) | instid1(VALU_DEP_1)
	v_add_f64_e32 v[8:9], v[58:59], v[6:7]
	v_mul_f64_e32 v[56:57], v[8:9], v[8:9]
	s_delay_alu instid0(VALU_DEP_1) | instskip(SKIP_1) | instid1(VALU_DEP_2)
	v_fmamk_f64 v[60:61], v[56:57], 0x3fc3ab76bf559e2b, v[32:33]
	v_mul_f64_e32 v[62:63], v[8:9], v[56:57]
	v_fmaak_f64 v[60:61], v[56:57], v[60:61], 0x3fc7474dd7f4df2e
	s_delay_alu instid0(VALU_DEP_1) | instskip(NEXT) | instid1(VALU_DEP_1)
	v_fmaak_f64 v[60:61], v[56:57], v[60:61], 0x3fcc71c016291751
	v_fmaak_f64 v[60:61], v[56:57], v[60:61], 0x3fd249249b27acf1
	s_delay_alu instid0(VALU_DEP_1) | instskip(NEXT) | instid1(VALU_DEP_1)
	v_fmaak_f64 v[60:61], v[56:57], v[60:61], 0x3fd99999998ef7b6
	v_fmaak_f64 v[56:57], v[56:57], v[60:61], 0x3fe5555555555780
	v_ldexp_f64 v[60:61], v[8:9], 1
	v_add_f64_e64 v[8:9], v[8:9], -v[58:59]
	s_delay_alu instid0(VALU_DEP_3) | instskip(SKIP_1) | instid1(VALU_DEP_3)
	v_mul_f64_e32 v[56:57], v[62:63], v[56:57]
	v_div_scale_f64 v[62:63], null, v[48:49], v[48:49], v[50:51]
	v_add_f64_e64 v[6:7], v[6:7], -v[8:9]
	s_delay_alu instid0(VALU_DEP_3) | instskip(NEXT) | instid1(VALU_DEP_2)
	v_add_f64_e32 v[58:59], v[60:61], v[56:57]
	v_ldexp_f64 v[6:7], v[6:7], 1
	s_delay_alu instid0(VALU_DEP_2) | instskip(SKIP_1) | instid1(VALU_DEP_1)
	v_add_f64_e64 v[8:9], v[58:59], -v[60:61]
	v_rcp_f64_e32 v[60:61], v[62:63]
	v_add_f64_e64 v[8:9], v[56:57], -v[8:9]
	s_delay_alu instid0(TRANS32_DEP_1) | instskip(NEXT) | instid1(VALU_DEP_2)
	v_fma_f64 v[56:57], -v[62:63], v[60:61], 1.0
	v_add_f64_e32 v[6:7], v[6:7], v[8:9]
	v_add_f64_e32 v[8:9], v[68:69], v[70:71]
	s_delay_alu instid0(VALU_DEP_3) | instskip(NEXT) | instid1(VALU_DEP_3)
	v_fmac_f64_e32 v[60:61], v[60:61], v[56:57]
	v_add_f64_e32 v[52:53], v[58:59], v[6:7]
	s_delay_alu instid0(VALU_DEP_3) | instskip(NEXT) | instid1(VALU_DEP_3)
	v_add_f64_e64 v[68:69], v[8:9], -v[68:69]
	v_fma_f64 v[56:57], -v[62:63], v[60:61], 1.0
	s_delay_alu instid0(VALU_DEP_3) | instskip(SKIP_1) | instid1(VALU_DEP_4)
	v_add_f64_e32 v[72:73], v[8:9], v[52:53]
	v_add_f64_e64 v[58:59], v[52:53], -v[58:59]
	v_add_f64_e64 v[68:69], v[70:71], -v[68:69]
	s_delay_alu instid0(VALU_DEP_4) | instskip(NEXT) | instid1(VALU_DEP_4)
	v_fmac_f64_e32 v[60:61], v[60:61], v[56:57]
	v_add_f64_e64 v[56:57], v[72:73], -v[8:9]
	s_delay_alu instid0(VALU_DEP_4) | instskip(NEXT) | instid1(VALU_DEP_3)
	v_add_f64_e64 v[58:59], v[6:7], -v[58:59]
	v_mul_f64_e32 v[76:77], v[74:75], v[60:61]
	s_delay_alu instid0(VALU_DEP_3) | instskip(SKIP_1) | instid1(VALU_DEP_4)
	v_add_f64_e64 v[78:79], v[72:73], -v[56:57]
	v_add_f64_e64 v[6:7], v[52:53], -v[56:57]
	v_add_f64_e32 v[56:57], v[68:69], v[58:59]
	s_delay_alu instid0(VALU_DEP_4) | instskip(NEXT) | instid1(VALU_DEP_4)
	v_fma_f64 v[62:63], -v[62:63], v[76:77], v[74:75]
	v_add_f64_e64 v[8:9], v[8:9], -v[78:79]
	s_delay_alu instid0(VALU_DEP_2) | instskip(SKIP_1) | instid1(VALU_DEP_3)
	v_div_fmas_f64 v[52:53], v[62:63], v[60:61], v[76:77]
	v_cmp_class_f64_e64 vcc_lo, v[54:55], 0x204
	v_add_f64_e32 v[8:9], v[6:7], v[8:9]
	s_delay_alu instid0(VALU_DEP_3) | instskip(SKIP_1) | instid1(VALU_DEP_3)
	v_div_fixup_f64 v[6:7], v[52:53], v[48:49], v[50:51]
	v_add_f64_e64 v[48:49], v[56:57], -v[68:69]
	v_add_f64_e32 v[8:9], v[56:57], v[8:9]
	s_delay_alu instid0(VALU_DEP_3) | instskip(NEXT) | instid1(VALU_DEP_3)
	v_mul_f64_e32 v[50:51], v[6:7], v[6:7]
	v_add_f64_e64 v[52:53], v[56:57], -v[48:49]
	v_add_f64_e64 v[48:49], v[58:59], -v[48:49]
	s_delay_alu instid0(VALU_DEP_4) | instskip(NEXT) | instid1(VALU_DEP_4)
	v_add_f64_e32 v[56:57], v[72:73], v[8:9]
	v_fmamk_f64 v[60:61], v[50:51], 0x3eeba404b5e68a13, v[36:37]
	s_delay_alu instid0(VALU_DEP_4) | instskip(NEXT) | instid1(VALU_DEP_2)
	v_add_f64_e64 v[52:53], v[68:69], -v[52:53]
	v_fmaak_f64 v[60:61], v[50:51], v[60:61], 0x3f4b2bb069efb384
	s_delay_alu instid0(VALU_DEP_1) | instskip(NEXT) | instid1(VALU_DEP_1)
	v_fmaak_f64 v[60:61], v[50:51], v[60:61], 0xbf67952daf56de9b
	v_fmaak_f64 v[60:61], v[50:51], v[60:61], 0x3f7d6d43a595c56f
	v_add_f64_e64 v[58:59], v[56:57], -v[72:73]
	s_delay_alu instid0(VALU_DEP_2) | instskip(SKIP_1) | instid1(VALU_DEP_2)
	v_fmaak_f64 v[60:61], v[50:51], v[60:61], 0xbf8c6ea4a57d9582
	v_add_f64_e32 v[48:49], v[48:49], v[52:53]
	v_fmaak_f64 v[60:61], v[50:51], v[60:61], 0x3f967e295f08b19f
	s_delay_alu instid0(VALU_DEP_1) | instskip(NEXT) | instid1(VALU_DEP_1)
	v_fmaak_f64 v[60:61], v[50:51], v[60:61], 0xbf9e9ae6fc27006a
	v_fmaak_f64 v[60:61], v[50:51], v[60:61], 0x3fa2c15b5711927a
	s_delay_alu instid0(VALU_DEP_1) | instskip(SKIP_1) | instid1(VALU_DEP_2)
	v_fmaak_f64 v[52:53], v[50:51], v[60:61], 0xbfa59976e82d3ff0
	v_add_f64_e64 v[8:9], v[8:9], -v[58:59]
	v_fmaak_f64 v[52:53], v[50:51], v[52:53], 0x3fa82d5d6ef28734
	s_delay_alu instid0(VALU_DEP_1) | instskip(NEXT) | instid1(VALU_DEP_1)
	v_fmaak_f64 v[52:53], v[50:51], v[52:53], 0xbfaae5ce6a214619
	v_fmaak_f64 v[52:53], v[50:51], v[52:53], 0x3fae1bb48427b883
	s_delay_alu instid0(VALU_DEP_1) | instskip(SKIP_1) | instid1(VALU_DEP_2)
	v_fmaak_f64 v[52:53], v[50:51], v[52:53], 0xbfb110e48b207f05
	v_add_f64_e32 v[8:9], v[48:49], v[8:9]
	v_fmaak_f64 v[48:49], v[50:51], v[52:53], 0x3fb3b13657b87036
	s_delay_alu instid0(VALU_DEP_1) | instskip(NEXT) | instid1(VALU_DEP_1)
	v_fmaak_f64 v[48:49], v[50:51], v[48:49], 0xbfb745d119378e4f
	v_fmaak_f64 v[48:49], v[50:51], v[48:49], 0x3fbc71c717e1913c
	s_delay_alu instid0(VALU_DEP_1) | instskip(NEXT) | instid1(VALU_DEP_1)
	v_fmaak_f64 v[48:49], v[50:51], v[48:49], 0xbfc2492492376b7d
	v_fmaak_f64 v[48:49], v[50:51], v[48:49], 0x3fc99999999952cc
	v_add_f64_e32 v[8:9], v[56:57], v[8:9]
	s_delay_alu instid0(VALU_DEP_2) | instskip(NEXT) | instid1(VALU_DEP_1)
	v_fmaak_f64 v[48:49], v[50:51], v[48:49], 0xbfd5555555555523
	v_dual_mul_f64 v[48:49], v[50:51], v[48:49] :: v_dual_cndmask_b32 v9, v9, v55, vcc_lo
	s_delay_alu instid0(VALU_DEP_3) | instskip(SKIP_1) | instid1(VALU_DEP_2)
	v_cndmask_b32_e32 v8, v8, v54, vcc_lo
	v_cmp_ngt_f64_e32 vcc_lo, 0, v[54:55]
	v_add_f64_e32 v[8:9], 1.0, v[8:9]
	s_delay_alu instid0(VALU_DEP_4) | instskip(NEXT) | instid1(VALU_DEP_2)
	v_fmac_f64_e32 v[6:7], v[6:7], v[48:49]
	v_cndmask_b32_e32 v9, 0x7ff80000, v9, vcc_lo
	v_cmp_nge_f64_e32 vcc_lo, 0, v[54:55]
	s_delay_alu instid0(VALU_DEP_4) | instskip(SKIP_1) | instid1(VALU_DEP_4)
	v_cndmask_b32_e32 v8, 0, v8, vcc_lo
	v_cmp_neq_f64_e32 vcc_lo, 0, v[54:55]
	v_cndmask_b32_e32 v9, 0xfff00000, v9, vcc_lo
.LBB42_511:                             ;   in Loop: Header=BB42_417 Depth=1
	s_or_b32 exec_lo, exec_lo, s47
	s_wait_dscnt 0x0
	s_delay_alu instid0(VALU_DEP_3) | instskip(NEXT) | instid1(VALU_DEP_2)
	v_add_f64_e64 v[48:49], -v[6:7], s[34:35]
	v_add_f64_e32 v[8:9], 0x3fe62e42fefa39ef, v[8:9]
	v_cmp_gt_i32_e32 vcc_lo, 0, v15
	v_dual_cndmask_b32 v15, 0x54442d18, v65 :: v_dual_ashrrev_i32 v14, 31, v15
	s_delay_alu instid0(VALU_DEP_1) | instskip(SKIP_4) | instid1(VALU_DEP_3)
	v_and_b32_e32 v50, 0x54442d18, v14
	v_and_b32_e32 v14, 0x400921fb, v14
	v_dual_cndmask_b32 v7, v7, v49, s5 :: v_dual_cndmask_b32 v6, v6, v48, s5
	v_cmp_eq_f64_e64 s5, 0, v[16:17]
	v_cndmask_b32_e32 v16, 0x3fe921fb, v66, vcc_lo
	v_add_f64_e64 v[48:49], -v[6:7], s[36:37]
	s_delay_alu instid0(VALU_DEP_2) | instskip(NEXT) | instid1(VALU_DEP_2)
	v_bfi_b32 v16, 0x7fffffff, v16, v17
	v_dual_cndmask_b32 v6, v6, v48 :: v_dual_cndmask_b32 v7, v7, v49
	s_delay_alu instid0(VALU_DEP_1) | instskip(NEXT) | instid1(VALU_DEP_2)
	v_cndmask_b32_e64 v7, v7, v14, s5
	v_cndmask_b32_e64 v6, v6, v50, s5
	v_xor_b32_e32 v14, 0x80000000, v9
	s_delay_alu instid0(VALU_DEP_2) | instskip(NEXT) | instid1(VALU_DEP_2)
	v_dual_cndmask_b32 v7, v7, v16, s46 :: v_dual_cndmask_b32 v6, v6, v15, s46
	v_cndmask_b32_e64 v9, v14, v9, s4
	s_delay_alu instid0(VALU_DEP_2)
	v_and_b32_e32 v7, 0x7fffffff, v7
.LBB42_512:                             ;   in Loop: Header=BB42_417 Depth=1
	s_or_b32 exec_lo, exec_lo, s33
                                        ; implicit-def: $vgpr16_vgpr17
.LBB42_513:                             ;   in Loop: Header=BB42_417 Depth=1
	s_and_not1_saveexec_b32 s4, s7
	s_cbranch_execz .LBB42_527
; %bb.514:                              ;   in Loop: Header=BB42_417 Depth=1
	v_cmp_neq_f64_e64 s5, 0x7ff00000, |v[14:15]|
                                        ; implicit-def: $vgpr8_vgpr9
	s_and_saveexec_b32 s6, s5
	s_delay_alu instid0(SALU_CYCLE_1)
	s_xor_b32 s5, exec_lo, s6
	s_cbranch_execz .LBB42_524
; %bb.515:                              ;   in Loop: Header=BB42_417 Depth=1
	v_cmp_neq_f64_e64 s6, 0x7ff00000, |v[16:17]|
	s_wait_dscnt 0x0
	v_xor_b32_e32 v9, 0x80000000, v17
	v_mov_b32_e32 v8, v16
	s_and_saveexec_b32 s7, s6
	s_delay_alu instid0(SALU_CYCLE_1)
	s_xor_b32 s6, exec_lo, s7
	s_cbranch_execz .LBB42_521
; %bb.516:                              ;   in Loop: Header=BB42_417 Depth=1
	s_mov_b32 s7, exec_lo
                                        ; implicit-def: $vgpr8_vgpr9
	v_cmpx_neq_f64_e32 0, v[14:15]
	s_xor_b32 s7, exec_lo, s7
	s_cbranch_execz .LBB42_518
; %bb.517:                              ;   in Loop: Header=BB42_417 Depth=1
	v_add_f64_e32 v[6:7], 0, v[16:17]
                                        ; implicit-def: $vgpr16_vgpr17
	s_delay_alu instid0(VALU_DEP_1)
	v_add_f64_e32 v[8:9], v[14:15], v[6:7]
.LBB42_518:                             ;   in Loop: Header=BB42_417 Depth=1
	s_or_saveexec_b32 s7, s7
	s_delay_alu instid0(VALU_DEP_1)
	v_mov_b64_e32 v[6:7], v[8:9]
	s_xor_b32 exec_lo, exec_lo, s7
	s_cbranch_execz .LBB42_520
; %bb.519:                              ;   in Loop: Header=BB42_417 Depth=1
	flat_load_b64 v[6:7], v[24:25] scope:SCOPE_SYS
	s_wait_loadcnt 0x0
	v_add_f64_e32 v[8:9], v[16:17], v[16:17]
	s_wait_dscnt 0x0
	v_add_f64_e32 v[6:7], 0x3ff921fb54442d18, v[6:7]
.LBB42_520:                             ;   in Loop: Header=BB42_417 Depth=1
	s_wait_xcnt 0x0
	s_or_b32 exec_lo, exec_lo, s7
                                        ; implicit-def: $vgpr14_vgpr15
.LBB42_521:                             ;   in Loop: Header=BB42_417 Depth=1
	s_and_not1_saveexec_b32 s6, s6
; %bb.522:                              ;   in Loop: Header=BB42_417 Depth=1
	v_add_f64_e32 v[6:7], v[14:15], v[14:15]
; %bb.523:                              ;   in Loop: Header=BB42_417 Depth=1
	s_or_b32 exec_lo, exec_lo, s6
                                        ; implicit-def: $vgpr16_vgpr17
.LBB42_524:                             ;   in Loop: Header=BB42_417 Depth=1
	s_and_not1_saveexec_b32 s5, s5
	s_cbranch_execz .LBB42_526
; %bb.525:                              ;   in Loop: Header=BB42_417 Depth=1
	s_wait_dscnt 0x0
	v_add_f64_e32 v[6:7], v[16:17], v[16:17]
	v_mov_b64_e32 v[8:9], 0xfff0000000000000
.LBB42_526:                             ;   in Loop: Header=BB42_417 Depth=1
	s_or_b32 exec_lo, exec_lo, s5
.LBB42_527:                             ;   in Loop: Header=BB42_417 Depth=1
	s_delay_alu instid0(SALU_CYCLE_1)
	s_or_b32 exec_lo, exec_lo, s4
	flat_store_b64 v[24:25], v[38:39] scope:SCOPE_SYS
	s_wait_storecnt 0x0
                                        ; implicit-def: $vgpr16_vgpr17
	s_mov_b32 s4, exec_lo
	s_wait_xcnt 0x0
	v_cmpx_o_f64_e32 v[18:19], v[20:21]
	s_xor_b32 s7, exec_lo, s4
	s_cbranch_execz .LBB42_615
; %bb.528:                              ;   in Loop: Header=BB42_417 Depth=1
	v_max_num_f64_e64 v[50:51], |v[18:19]|, |v[18:19]|
	v_max_num_f64_e64 v[52:53], |v[20:21]|, |v[20:21]|
	v_cmp_gt_i64_e64 s4, 0, v[20:21]
                                        ; implicit-def: $vgpr16_vgpr17
	s_mov_b32 s5, exec_lo
	v_max_num_f64_e32 v[48:49], v[52:53], v[50:51]
	s_delay_alu instid0(VALU_DEP_1)
	v_cmpx_nlt_f64_e32 0x43300000, v[48:49]
	s_xor_b32 s33, exec_lo, s5
	s_cbranch_execz .LBB42_604
; %bb.529:                              ;   in Loop: Header=BB42_417 Depth=1
	v_cmp_neq_f64_e32 vcc_lo, 1.0, v[18:19]
	v_cmp_neq_f64_e64 s5, 0, v[20:21]
	v_xor_b32_e32 v17, 0x80000000, v21
	v_mov_b32_e32 v16, v20
	s_or_b32 s5, s5, vcc_lo
	s_delay_alu instid0(SALU_CYCLE_1) | instskip(NEXT) | instid1(SALU_CYCLE_1)
	s_and_saveexec_b32 s6, s5
	s_xor_b32 s46, exec_lo, s6
	s_cbranch_execz .LBB42_601
; %bb.530:                              ;   in Loop: Header=BB42_417 Depth=1
	flat_store_b32 v[28:29], v64 scope:SCOPE_SYS
	s_wait_storecnt 0x0
	flat_load_b32 v14, v[28:29] scope:SCOPE_SYS
	s_wait_loadcnt 0x0
	v_cmp_nlt_f64_e64 s5, |v[18:19]|, s[14:15]
	v_cmp_nlt_f64_e64 s6, |v[20:21]|, s[14:15]
	v_mov_b32_e32 v16, v20
	s_or_b32 s5, s6, s5
	s_wait_dscnt 0x0
	v_add_f32_e32 v14, 1.0, v14
	flat_store_b32 v[30:31], v14 scope:SCOPE_SYS
	s_wait_storecnt 0x0
	flat_load_b32 v14, v[30:31] scope:SCOPE_SYS
	s_wait_loadcnt 0x0
	s_wait_xcnt 0x0
	s_and_saveexec_b32 s6, s5
	s_delay_alu instid0(SALU_CYCLE_1)
	s_xor_b32 s47, exec_lo, s6
	s_cbranch_execz .LBB42_598
; %bb.531:                              ;   in Loop: Header=BB42_417 Depth=1
	s_wait_dscnt 0x0
	v_add_f64_e64 v[14:15], |v[18:19]|, -1.0
	v_add_f64_e64 v[50:51], |v[18:19]|, 1.0
	s_delay_alu instid0(VALU_DEP_2) | instskip(NEXT) | instid1(VALU_DEP_1)
	v_max_num_f64_e64 v[48:49], v[52:53], |v[14:15]|
	v_frexp_exp_i32_f64_e32 v68, v[48:49]
	s_delay_alu instid0(VALU_DEP_1) | instskip(NEXT) | instid1(VALU_DEP_1)
	v_dual_max_num_f64 v[16:17], v[52:53], v[50:51] :: v_dual_sub_nc_u32 v54, 0, v68
	v_frexp_exp_i32_f64_e32 v67, v[16:17]
	s_delay_alu instid0(VALU_DEP_2) | instskip(SKIP_1) | instid1(VALU_DEP_2)
	v_ldexp_f64 v[48:49], |v[14:15]|, v54
	v_ldexp_f64 v[54:55], |v[20:21]|, v54
	v_dual_mul_f64 v[48:49], v[48:49], v[48:49] :: v_dual_sub_nc_u32 v52, 0, v67
	s_delay_alu instid0(VALU_DEP_1) | instskip(NEXT) | instid1(VALU_DEP_2)
	v_ldexp_f64 v[16:17], v[50:51], v52
	v_fmac_f64_e32 v[48:49], v[54:55], v[54:55]
	s_delay_alu instid0(VALU_DEP_2) | instskip(SKIP_1) | instid1(VALU_DEP_3)
	v_mul_f64_e32 v[16:17], v[16:17], v[16:17]
	v_ldexp_f64 v[52:53], |v[20:21]|, v52
	v_rsq_f64_e32 v[54:55], v[48:49]
	v_cmp_eq_f64_e64 s5, 0, v[48:49]
	s_delay_alu instid0(VALU_DEP_2) | instskip(NEXT) | instid1(VALU_DEP_1)
	v_fmac_f64_e32 v[16:17], v[52:53], v[52:53]
	v_rsq_f64_e32 v[52:53], v[16:17]
	v_cmp_eq_f64_e32 vcc_lo, 0, v[16:17]
	s_delay_alu instid0(TRANS32_DEP_1) | instskip(SKIP_1) | instid1(VALU_DEP_1)
	v_mul_f64_e32 v[56:57], v[16:17], v[52:53]
	v_mul_f64_e32 v[52:53], 0.5, v[52:53]
	v_fma_f64 v[60:61], -v[52:53], v[56:57], 0.5
	s_delay_alu instid0(VALU_DEP_1) | instskip(SKIP_1) | instid1(VALU_DEP_2)
	v_fmac_f64_e32 v[56:57], v[56:57], v[60:61]
	v_fmac_f64_e32 v[52:53], v[52:53], v[60:61]
	v_fma_f64 v[60:61], -v[56:57], v[56:57], v[16:17]
	s_delay_alu instid0(VALU_DEP_1) | instskip(NEXT) | instid1(VALU_DEP_1)
	v_fmac_f64_e32 v[56:57], v[60:61], v[52:53]
	v_dual_cndmask_b32 v17, v57, v17 :: v_dual_cndmask_b32 v16, v56, v16
	v_cmp_neq_f64_e32 vcc_lo, 0x7ff00000, v[50:51]
	s_delay_alu instid0(VALU_DEP_2) | instskip(NEXT) | instid1(TRANS32_DEP_2)
	v_ldexp_f64 v[16:17], v[16:17], v67
	v_mul_f64_e32 v[58:59], v[48:49], v[54:55]
	v_mul_f64_e32 v[54:55], 0.5, v[54:55]
	s_delay_alu instid0(VALU_DEP_1) | instskip(NEXT) | instid1(VALU_DEP_1)
	v_fma_f64 v[62:63], -v[54:55], v[58:59], 0.5
	v_fmac_f64_e32 v[58:59], v[58:59], v[62:63]
	v_fmac_f64_e32 v[54:55], v[54:55], v[62:63]
	s_delay_alu instid0(VALU_DEP_2) | instskip(NEXT) | instid1(VALU_DEP_1)
	v_fma_f64 v[62:63], -v[58:59], v[58:59], v[48:49]
	v_fmac_f64_e32 v[58:59], v[62:63], v[54:55]
	v_cndmask_b32_e32 v55, 0x7ff00000, v17, vcc_lo
	s_delay_alu instid0(VALU_DEP_2) | instskip(NEXT) | instid1(VALU_DEP_3)
	v_dual_cndmask_b32 v54, 0, v16, vcc_lo :: v_dual_cndmask_b32 v49, v59, v49, s5
	v_cndmask_b32_e64 v48, v58, v48, s5
	v_cmp_neq_f64_e64 s5, 0x7ff00000, |v[14:15]|
	s_delay_alu instid0(VALU_DEP_2) | instskip(NEXT) | instid1(VALU_DEP_1)
	v_ldexp_f64 v[48:49], v[48:49], v68
	v_cndmask_b32_e64 v53, 0x7ff00000, v49, s5
	s_delay_alu instid0(VALU_DEP_2) | instskip(SKIP_1) | instid1(VALU_DEP_1)
	v_cndmask_b32_e64 v52, 0, v48, s5
	s_mov_b32 s5, exec_lo
	v_add_f64_e32 v[16:17], v[54:55], v[52:53]
	s_delay_alu instid0(VALU_DEP_1) | instskip(NEXT) | instid1(VALU_DEP_1)
	v_mul_f64_e32 v[16:17], 0.5, v[16:17]
	v_cmp_ngt_f64_e32 vcc_lo, 1.0, v[16:17]
	v_cndmask_b32_e32 v49, 0x3ff00000, v17, vcc_lo
	v_cndmask_b32_e32 v48, 0, v16, vcc_lo
                                        ; implicit-def: $vgpr16_vgpr17
	s_delay_alu instid0(VALU_DEP_1)
	v_cmpx_ngt_f64_e32 0x40240000, v[48:49]
	s_xor_b32 s5, exec_lo, s5
	s_cbranch_execz .LBB42_533
; %bb.532:                              ;   in Loop: Header=BB42_417 Depth=1
	v_fma_f64 v[16:17], v[48:49], v[48:49], -1.0
	s_delay_alu instid0(VALU_DEP_1) | instskip(SKIP_1) | instid1(VALU_DEP_1)
	v_cmp_gt_f64_e32 vcc_lo, 0x10000000, v[16:17]
	v_cndmask_b32_e64 v56, 0, 0x100, vcc_lo
	v_ldexp_f64 v[16:17], v[16:17], v56
	s_delay_alu instid0(VALU_DEP_1) | instskip(SKIP_1) | instid1(TRANS32_DEP_1)
	v_rsq_f64_e32 v[56:57], v[16:17]
	v_nop
	v_mul_f64_e32 v[58:59], v[16:17], v[56:57]
	v_mul_f64_e32 v[56:57], 0.5, v[56:57]
	s_delay_alu instid0(VALU_DEP_1) | instskip(NEXT) | instid1(VALU_DEP_1)
	v_fma_f64 v[60:61], -v[56:57], v[58:59], 0.5
	v_fmac_f64_e32 v[58:59], v[58:59], v[60:61]
	v_fmac_f64_e32 v[56:57], v[56:57], v[60:61]
	s_delay_alu instid0(VALU_DEP_2) | instskip(NEXT) | instid1(VALU_DEP_1)
	v_fma_f64 v[60:61], -v[58:59], v[58:59], v[16:17]
	v_fmac_f64_e32 v[58:59], v[60:61], v[56:57]
	s_delay_alu instid0(VALU_DEP_1) | instskip(NEXT) | instid1(VALU_DEP_1)
	v_fma_f64 v[60:61], -v[58:59], v[58:59], v[16:17]
	v_fmac_f64_e32 v[58:59], v[60:61], v[56:57]
	v_cndmask_b32_e64 v56, 0, 0xffffff80, vcc_lo
	v_cmp_class_f64_e64 vcc_lo, v[16:17], 0x260
	s_delay_alu instid0(VALU_DEP_2) | instskip(NEXT) | instid1(VALU_DEP_1)
	v_ldexp_f64 v[56:57], v[58:59], v56
	v_dual_cndmask_b32 v17, v57, v17 :: v_dual_cndmask_b32 v16, v56, v16
	s_delay_alu instid0(VALU_DEP_1) | instskip(NEXT) | instid1(VALU_DEP_1)
	v_add_f64_e32 v[16:17], v[48:49], v[16:17]
	v_frexp_mant_f64_e32 v[56:57], v[16:17]
	v_frexp_exp_i32_f64_e32 v67, v[16:17]
	s_delay_alu instid0(VALU_DEP_2) | instskip(SKIP_1) | instid1(VALU_DEP_3)
	v_cmp_gt_f64_e32 vcc_lo, s[16:17], v[56:57]
	v_cndmask_b32_e64 v58, 0, 1, vcc_lo
	v_subrev_co_ci_u32_e64 v67, null, 0, v67, vcc_lo
	v_cmp_class_f64_e64 vcc_lo, v[16:17], 0x204
	s_delay_alu instid0(VALU_DEP_3) | instskip(NEXT) | instid1(VALU_DEP_1)
	v_ldexp_f64 v[56:57], v[56:57], v58
	v_add_f64_e32 v[58:59], 1.0, v[56:57]
	v_add_f64_e32 v[68:69], -1.0, v[56:57]
	s_delay_alu instid0(VALU_DEP_2) | instskip(SKIP_1) | instid1(VALU_DEP_1)
	v_rcp_f64_e32 v[60:61], v[58:59]
	v_add_f64_e32 v[70:71], -1.0, v[58:59]
	v_add_f64_e64 v[56:57], v[56:57], -v[70:71]
	s_delay_alu instid0(TRANS32_DEP_1) | instskip(NEXT) | instid1(VALU_DEP_1)
	v_fma_f64 v[62:63], -v[58:59], v[60:61], 1.0
	v_fmac_f64_e32 v[60:61], v[62:63], v[60:61]
	s_delay_alu instid0(VALU_DEP_1) | instskip(NEXT) | instid1(VALU_DEP_1)
	v_fma_f64 v[62:63], -v[58:59], v[60:61], 1.0
	v_fmac_f64_e32 v[60:61], v[62:63], v[60:61]
	s_delay_alu instid0(VALU_DEP_1) | instskip(NEXT) | instid1(VALU_DEP_1)
	v_mul_f64_e32 v[62:63], v[68:69], v[60:61]
	v_mul_f64_e32 v[72:73], v[58:59], v[62:63]
	s_delay_alu instid0(VALU_DEP_1) | instskip(NEXT) | instid1(VALU_DEP_1)
	v_fma_f64 v[58:59], v[62:63], v[58:59], -v[72:73]
	v_fmac_f64_e32 v[58:59], v[62:63], v[56:57]
	s_delay_alu instid0(VALU_DEP_1) | instskip(NEXT) | instid1(VALU_DEP_1)
	v_add_f64_e32 v[56:57], v[72:73], v[58:59]
	v_add_f64_e64 v[70:71], v[68:69], -v[56:57]
	v_add_f64_e64 v[72:73], v[56:57], -v[72:73]
	s_delay_alu instid0(VALU_DEP_2) | instskip(NEXT) | instid1(VALU_DEP_2)
	v_add_f64_e64 v[68:69], v[68:69], -v[70:71]
	v_add_f64_e64 v[58:59], v[72:73], -v[58:59]
	s_delay_alu instid0(VALU_DEP_2) | instskip(NEXT) | instid1(VALU_DEP_1)
	v_add_f64_e64 v[56:57], v[68:69], -v[56:57]
	v_add_f64_e32 v[56:57], v[58:59], v[56:57]
	s_delay_alu instid0(VALU_DEP_1) | instskip(NEXT) | instid1(VALU_DEP_1)
	v_add_f64_e32 v[56:57], v[70:71], v[56:57]
	v_mul_f64_e32 v[56:57], v[60:61], v[56:57]
	s_delay_alu instid0(VALU_DEP_1) | instskip(NEXT) | instid1(VALU_DEP_1)
	v_add_f64_e32 v[58:59], v[62:63], v[56:57]
	v_mul_f64_e32 v[60:61], v[58:59], v[58:59]
	s_delay_alu instid0(VALU_DEP_1) | instskip(SKIP_1) | instid1(VALU_DEP_2)
	v_fmamk_f64 v[68:69], v[60:61], 0x3fc3ab76bf559e2b, v[32:33]
	v_mul_f64_e32 v[70:71], v[58:59], v[60:61]
	v_fmaak_f64 v[68:69], v[60:61], v[68:69], 0x3fc7474dd7f4df2e
	s_delay_alu instid0(VALU_DEP_1) | instskip(NEXT) | instid1(VALU_DEP_1)
	v_fmaak_f64 v[68:69], v[60:61], v[68:69], 0x3fcc71c016291751
	v_fmaak_f64 v[68:69], v[60:61], v[68:69], 0x3fd249249b27acf1
	s_delay_alu instid0(VALU_DEP_1) | instskip(NEXT) | instid1(VALU_DEP_1)
	v_fmaak_f64 v[68:69], v[60:61], v[68:69], 0x3fd99999998ef7b6
	v_fmaak_f64 v[60:61], v[60:61], v[68:69], 0x3fe5555555555780
	v_ldexp_f64 v[68:69], v[58:59], 1
	v_add_f64_e64 v[58:59], v[58:59], -v[62:63]
	s_delay_alu instid0(VALU_DEP_3) | instskip(SKIP_1) | instid1(VALU_DEP_3)
	v_mul_f64_e32 v[60:61], v[70:71], v[60:61]
	v_cvt_f64_i32_e32 v[70:71], v67
	v_add_f64_e64 v[56:57], v[56:57], -v[58:59]
	s_delay_alu instid0(VALU_DEP_3) | instskip(NEXT) | instid1(VALU_DEP_3)
	v_add_f64_e32 v[62:63], v[68:69], v[60:61]
	v_mul_f64_e32 v[72:73], 0x3fe62e42fefa39ef, v[70:71]
	s_delay_alu instid0(VALU_DEP_3) | instskip(NEXT) | instid1(VALU_DEP_3)
	v_ldexp_f64 v[56:57], v[56:57], 1
	v_add_f64_e64 v[58:59], v[62:63], -v[68:69]
	s_delay_alu instid0(VALU_DEP_3) | instskip(NEXT) | instid1(VALU_DEP_2)
	v_fma_f64 v[68:69], v[70:71], s[22:23], -v[72:73]
	v_add_f64_e64 v[58:59], v[60:61], -v[58:59]
	s_delay_alu instid0(VALU_DEP_2) | instskip(NEXT) | instid1(VALU_DEP_2)
	v_fmac_f64_e32 v[68:69], 0x3c7abc9e3b39803f, v[70:71]
	v_add_f64_e32 v[56:57], v[56:57], v[58:59]
	s_delay_alu instid0(VALU_DEP_2) | instskip(NEXT) | instid1(VALU_DEP_2)
	v_add_f64_e32 v[58:59], v[72:73], v[68:69]
	v_add_f64_e32 v[60:61], v[62:63], v[56:57]
	s_delay_alu instid0(VALU_DEP_2) | instskip(NEXT) | instid1(VALU_DEP_2)
	v_add_f64_e64 v[72:73], v[58:59], -v[72:73]
	v_add_f64_e32 v[70:71], v[58:59], v[60:61]
	v_add_f64_e64 v[62:63], v[60:61], -v[62:63]
	s_delay_alu instid0(VALU_DEP_3) | instskip(NEXT) | instid1(VALU_DEP_3)
	v_add_f64_e64 v[68:69], v[68:69], -v[72:73]
	v_add_f64_e64 v[74:75], v[70:71], -v[58:59]
	s_delay_alu instid0(VALU_DEP_3) | instskip(NEXT) | instid1(VALU_DEP_2)
	v_add_f64_e64 v[56:57], v[56:57], -v[62:63]
	v_add_f64_e64 v[76:77], v[70:71], -v[74:75]
	;; [unrolled: 1-line block ×3, first 2 shown]
	s_delay_alu instid0(VALU_DEP_3) | instskip(NEXT) | instid1(VALU_DEP_3)
	v_add_f64_e32 v[62:63], v[68:69], v[56:57]
	v_add_f64_e64 v[58:59], v[58:59], -v[76:77]
	s_delay_alu instid0(VALU_DEP_1) | instskip(NEXT) | instid1(VALU_DEP_3)
	v_add_f64_e32 v[58:59], v[60:61], v[58:59]
	v_add_f64_e64 v[60:61], v[62:63], -v[68:69]
	s_delay_alu instid0(VALU_DEP_2) | instskip(NEXT) | instid1(VALU_DEP_2)
	v_add_f64_e32 v[58:59], v[62:63], v[58:59]
	v_add_f64_e64 v[62:63], v[62:63], -v[60:61]
	v_add_f64_e64 v[56:57], v[56:57], -v[60:61]
	s_delay_alu instid0(VALU_DEP_3) | instskip(NEXT) | instid1(VALU_DEP_3)
	v_add_f64_e32 v[72:73], v[70:71], v[58:59]
	v_add_f64_e64 v[60:61], v[68:69], -v[62:63]
	s_delay_alu instid0(VALU_DEP_2) | instskip(NEXT) | instid1(VALU_DEP_2)
	v_add_f64_e64 v[62:63], v[72:73], -v[70:71]
	v_add_f64_e32 v[56:57], v[56:57], v[60:61]
	s_delay_alu instid0(VALU_DEP_2) | instskip(NEXT) | instid1(VALU_DEP_1)
	v_add_f64_e64 v[58:59], v[58:59], -v[62:63]
	v_add_f64_e32 v[56:57], v[56:57], v[58:59]
	s_delay_alu instid0(VALU_DEP_1) | instskip(NEXT) | instid1(VALU_DEP_1)
	v_add_f64_e32 v[56:57], v[72:73], v[56:57]
	v_dual_cndmask_b32 v56, v56, v16 :: v_dual_cndmask_b32 v57, v57, v17
	v_cmp_neq_f64_e32 vcc_lo, 0, v[16:17]
	s_delay_alu instid0(VALU_DEP_2) | instskip(NEXT) | instid1(VALU_DEP_3)
	v_cndmask_b32_e32 v17, 0xfff00000, v57, vcc_lo
	v_cndmask_b32_e32 v16, 0, v56, vcc_lo
.LBB42_533:                             ;   in Loop: Header=BB42_417 Depth=1
	s_or_saveexec_b32 s48, s5
	v_and_b32_e32 v57, 0x7fffffff, v21
	v_mov_b32_e32 v56, v20
	s_xor_b32 exec_lo, exec_lo, s48
	s_cbranch_execz .LBB42_555
; %bb.534:                              ;   in Loop: Header=BB42_417 Depth=1
	v_cmp_neq_f64_e64 s5, |v[18:19]|, 1.0
	v_cmp_ngt_f64_e64 s6, 0x39000000, |v[20:21]|
                                        ; implicit-def: $vgpr16_vgpr17
	s_or_b32 s5, s6, s5
	s_delay_alu instid0(SALU_CYCLE_1) | instskip(NEXT) | instid1(SALU_CYCLE_1)
	s_and_saveexec_b32 s6, s5
	s_xor_b32 s49, exec_lo, s6
	s_cbranch_execz .LBB42_552
; %bb.535:                              ;   in Loop: Header=BB42_417 Depth=1
	v_ldexp_f64 v[16:17], |v[14:15]|, 0xffffffcc
	s_delay_alu instid0(VALU_DEP_1) | instskip(SKIP_1) | instid1(SALU_CYCLE_1)
	v_cmp_ge_f64_e64 s5, |v[20:21]|, v[16:17]
                                        ; implicit-def: $vgpr16_vgpr17
	s_and_saveexec_b32 s6, s5
	s_xor_b32 s50, exec_lo, s6
	s_cbranch_execz .LBB42_545
; %bb.536:                              ;   in Loop: Header=BB42_417 Depth=1
	v_mov_b64_e32 v[16:17], v[56:57]
	s_mov_b32 s5, exec_lo
	v_cmpx_neq_f64_e32 0, v[50:51]
	s_cbranch_execz .LBB42_538
; %bb.537:                              ;   in Loop: Header=BB42_417 Depth=1
	v_mul_f64_e32 v[16:17], v[20:21], v[20:21]
	v_add_f64_e32 v[58:59], v[50:51], v[54:55]
	s_delay_alu instid0(VALU_DEP_1) | instskip(NEXT) | instid1(VALU_DEP_1)
	v_div_scale_f64 v[60:61], null, v[58:59], v[58:59], v[16:17]
	v_rcp_f64_e32 v[62:63], v[60:61]
	v_nop
	s_delay_alu instid0(TRANS32_DEP_1) | instskip(NEXT) | instid1(VALU_DEP_1)
	v_fma_f64 v[68:69], -v[60:61], v[62:63], 1.0
	v_fmac_f64_e32 v[62:63], v[62:63], v[68:69]
	s_delay_alu instid0(VALU_DEP_1) | instskip(NEXT) | instid1(VALU_DEP_1)
	v_fma_f64 v[68:69], -v[60:61], v[62:63], 1.0
	v_fmac_f64_e32 v[62:63], v[62:63], v[68:69]
	v_div_scale_f64 v[68:69], vcc_lo, v[16:17], v[58:59], v[16:17]
	s_delay_alu instid0(VALU_DEP_1) | instskip(NEXT) | instid1(VALU_DEP_1)
	v_mul_f64_e32 v[70:71], v[68:69], v[62:63]
	v_fma_f64 v[60:61], -v[60:61], v[70:71], v[68:69]
	s_delay_alu instid0(VALU_DEP_1) | instskip(NEXT) | instid1(VALU_DEP_1)
	v_div_fmas_f64 v[60:61], v[60:61], v[62:63], v[70:71]
	v_div_fixup_f64 v[16:17], v[60:61], v[58:59], v[16:17]
.LBB42_538:                             ;   in Loop: Header=BB42_417 Depth=1
	s_or_b32 exec_lo, exec_lo, s5
	v_add_f64_e64 v[60:61], -|v[18:19]|, 1.0
	s_mov_b32 s5, exec_lo
                                        ; implicit-def: $vgpr58_vgpr59
	s_delay_alu instid0(VALU_DEP_1)
	v_cmpx_ngt_f64_e32 0, v[60:61]
	s_xor_b32 s5, exec_lo, s5
	s_cbranch_execz .LBB42_542
; %bb.539:                              ;   in Loop: Header=BB42_417 Depth=1
	v_mov_b64_e32 v[58:59], v[56:57]
	s_mov_b32 s6, exec_lo
	v_cmpx_neq_f64_e32 0, v[60:61]
	s_cbranch_execz .LBB42_541
; %bb.540:                              ;   in Loop: Header=BB42_417 Depth=1
	v_mul_f64_e32 v[58:59], v[20:21], v[20:21]
	v_add_f64_e32 v[60:61], v[60:61], v[52:53]
	s_delay_alu instid0(VALU_DEP_1) | instskip(NEXT) | instid1(VALU_DEP_1)
	v_div_scale_f64 v[62:63], null, v[60:61], v[60:61], v[58:59]
	v_rcp_f64_e32 v[68:69], v[62:63]
	v_nop
	s_delay_alu instid0(TRANS32_DEP_1) | instskip(NEXT) | instid1(VALU_DEP_1)
	v_fma_f64 v[70:71], -v[62:63], v[68:69], 1.0
	v_fmac_f64_e32 v[68:69], v[68:69], v[70:71]
	s_delay_alu instid0(VALU_DEP_1) | instskip(NEXT) | instid1(VALU_DEP_1)
	v_fma_f64 v[70:71], -v[62:63], v[68:69], 1.0
	v_fmac_f64_e32 v[68:69], v[68:69], v[70:71]
	v_div_scale_f64 v[70:71], vcc_lo, v[58:59], v[60:61], v[58:59]
	s_delay_alu instid0(VALU_DEP_1) | instskip(NEXT) | instid1(VALU_DEP_1)
	v_mul_f64_e32 v[72:73], v[70:71], v[68:69]
	v_fma_f64 v[62:63], -v[62:63], v[72:73], v[70:71]
	s_delay_alu instid0(VALU_DEP_1) | instskip(NEXT) | instid1(VALU_DEP_1)
	v_div_fmas_f64 v[62:63], v[62:63], v[68:69], v[72:73]
	v_div_fixup_f64 v[58:59], v[62:63], v[60:61], v[58:59]
.LBB42_541:                             ;   in Loop: Header=BB42_417 Depth=1
	s_or_b32 exec_lo, exec_lo, s6
                                        ; implicit-def: $vgpr60_vgpr61
.LBB42_542:                             ;   in Loop: Header=BB42_417 Depth=1
	s_and_not1_saveexec_b32 s5, s5
; %bb.543:                              ;   in Loop: Header=BB42_417 Depth=1
	v_add_f64_e64 v[58:59], v[52:53], -v[60:61]
; %bb.544:                              ;   in Loop: Header=BB42_417 Depth=1
	s_or_b32 exec_lo, exec_lo, s5
	s_delay_alu instid0(VALU_DEP_1) | instskip(SKIP_1) | instid1(VALU_DEP_2)
	v_mul_f64_e32 v[58:59], 0.5, v[58:59]
	v_add_f64_e32 v[60:61], 1.0, v[48:49]
	v_fmac_f64_e32 v[58:59], 0.5, v[16:17]
	s_delay_alu instid0(VALU_DEP_1) | instskip(NEXT) | instid1(VALU_DEP_1)
	v_mul_f64_e32 v[16:17], v[60:61], v[58:59]
	v_cmp_gt_f64_e32 vcc_lo, 0x10000000, v[16:17]
	v_cndmask_b32_e64 v60, 0, 0x100, vcc_lo
	s_delay_alu instid0(VALU_DEP_1) | instskip(NEXT) | instid1(VALU_DEP_1)
	v_ldexp_f64 v[16:17], v[16:17], v60
	v_rsq_f64_e32 v[60:61], v[16:17]
	v_nop
	s_delay_alu instid0(TRANS32_DEP_1) | instskip(SKIP_1) | instid1(VALU_DEP_1)
	v_mul_f64_e32 v[62:63], v[16:17], v[60:61]
	v_mul_f64_e32 v[60:61], 0.5, v[60:61]
	v_fma_f64 v[68:69], -v[60:61], v[62:63], 0.5
	s_delay_alu instid0(VALU_DEP_1) | instskip(SKIP_1) | instid1(VALU_DEP_2)
	v_fmac_f64_e32 v[62:63], v[62:63], v[68:69]
	v_fmac_f64_e32 v[60:61], v[60:61], v[68:69]
	v_fma_f64 v[68:69], -v[62:63], v[62:63], v[16:17]
	s_delay_alu instid0(VALU_DEP_1) | instskip(NEXT) | instid1(VALU_DEP_1)
	v_fmac_f64_e32 v[62:63], v[68:69], v[60:61]
	v_fma_f64 v[68:69], -v[62:63], v[62:63], v[16:17]
	s_delay_alu instid0(VALU_DEP_1) | instskip(SKIP_2) | instid1(VALU_DEP_2)
	v_fmac_f64_e32 v[62:63], v[68:69], v[60:61]
	v_cndmask_b32_e64 v60, 0, 0xffffff80, vcc_lo
	v_cmp_class_f64_e64 vcc_lo, v[16:17], 0x260
	v_ldexp_f64 v[60:61], v[62:63], v60
	s_delay_alu instid0(VALU_DEP_1) | instskip(NEXT) | instid1(VALU_DEP_1)
	v_dual_cndmask_b32 v17, v61, v17 :: v_dual_cndmask_b32 v16, v60, v16
	v_add_f64_e32 v[58:59], v[58:59], v[16:17]
	s_delay_alu instid0(VALU_DEP_1) | instskip(SKIP_2) | instid1(VALU_DEP_3)
	v_add_f64_e32 v[16:17], 1.0, v[58:59]
	v_cmp_neq_f64_e64 s5, 0x7ff00000, v[58:59]
	v_cmp_ngt_f64_e64 s6, -1.0, v[58:59]
	v_frexp_mant_f64_e32 v[60:61], v[16:17]
	v_frexp_exp_i32_f64_e32 v67, v[16:17]
	v_add_f64_e32 v[62:63], -1.0, v[16:17]
	s_delay_alu instid0(VALU_DEP_3) | instskip(NEXT) | instid1(VALU_DEP_2)
	v_cmp_gt_f64_e32 vcc_lo, s[16:17], v[60:61]
	v_add_f64_e64 v[60:61], v[62:63], -v[16:17]
	v_add_f64_e64 v[62:63], v[58:59], -v[62:63]
	v_subrev_co_ci_u32_e64 v67, null, 0, v67, vcc_lo
	s_delay_alu instid0(VALU_DEP_3) | instskip(SKIP_1) | instid1(VALU_DEP_3)
	v_add_f64_e32 v[60:61], 1.0, v[60:61]
	v_cmp_nge_f64_e32 vcc_lo, -1.0, v[58:59]
	v_sub_nc_u32_e32 v70, 0, v67
	s_delay_alu instid0(VALU_DEP_1) | instskip(NEXT) | instid1(VALU_DEP_4)
	v_ldexp_f64 v[16:17], v[16:17], v70
	v_add_f64_e32 v[60:61], v[62:63], v[60:61]
	s_and_b32 vcc_lo, vcc_lo, s5
	s_delay_alu instid0(VALU_DEP_2) | instskip(SKIP_1) | instid1(VALU_DEP_3)
	v_add_f64_e32 v[68:69], 1.0, v[16:17]
	v_add_f64_e32 v[74:75], -1.0, v[16:17]
	v_ldexp_f64 v[60:61], v[60:61], v70
	s_delay_alu instid0(VALU_DEP_3) | instskip(NEXT) | instid1(VALU_DEP_3)
	v_add_f64_e32 v[62:63], -1.0, v[68:69]
	v_add_f64_e32 v[76:77], 1.0, v[74:75]
	s_delay_alu instid0(VALU_DEP_2) | instskip(NEXT) | instid1(VALU_DEP_2)
	v_add_f64_e64 v[62:63], v[16:17], -v[62:63]
	v_add_f64_e64 v[16:17], v[16:17], -v[76:77]
	s_delay_alu instid0(VALU_DEP_2) | instskip(NEXT) | instid1(VALU_DEP_2)
	v_add_f64_e32 v[62:63], v[60:61], v[62:63]
	v_add_f64_e32 v[16:17], v[60:61], v[16:17]
	s_delay_alu instid0(VALU_DEP_2) | instskip(NEXT) | instid1(VALU_DEP_2)
	v_add_f64_e32 v[70:71], v[68:69], v[62:63]
	v_add_f64_e32 v[76:77], v[74:75], v[16:17]
	s_delay_alu instid0(VALU_DEP_2) | instskip(SKIP_1) | instid1(VALU_DEP_2)
	v_rcp_f64_e32 v[72:73], v[70:71]
	v_add_f64_e64 v[68:69], v[70:71], -v[68:69]
	v_add_f64_e64 v[74:75], v[76:77], -v[74:75]
	s_delay_alu instid0(VALU_DEP_2) | instskip(NEXT) | instid1(VALU_DEP_2)
	v_add_f64_e64 v[62:63], v[62:63], -v[68:69]
	v_add_f64_e64 v[16:17], v[16:17], -v[74:75]
	s_delay_alu instid0(TRANS32_DEP_1) | instskip(NEXT) | instid1(VALU_DEP_1)
	v_fma_f64 v[78:79], -v[70:71], v[72:73], 1.0
	v_fmac_f64_e32 v[72:73], v[78:79], v[72:73]
	s_delay_alu instid0(VALU_DEP_1) | instskip(NEXT) | instid1(VALU_DEP_1)
	v_fma_f64 v[60:61], -v[70:71], v[72:73], 1.0
	v_fmac_f64_e32 v[72:73], v[60:61], v[72:73]
	s_delay_alu instid0(VALU_DEP_1) | instskip(NEXT) | instid1(VALU_DEP_1)
	v_mul_f64_e32 v[60:61], v[76:77], v[72:73]
	v_mul_f64_e32 v[78:79], v[70:71], v[60:61]
	s_delay_alu instid0(VALU_DEP_1) | instskip(NEXT) | instid1(VALU_DEP_1)
	v_fma_f64 v[68:69], v[60:61], v[70:71], -v[78:79]
	v_fmac_f64_e32 v[68:69], v[60:61], v[62:63]
	s_delay_alu instid0(VALU_DEP_1) | instskip(NEXT) | instid1(VALU_DEP_1)
	v_add_f64_e32 v[80:81], v[78:79], v[68:69]
	v_add_f64_e64 v[82:83], v[76:77], -v[80:81]
	v_add_f64_e64 v[74:75], v[80:81], -v[78:79]
	s_delay_alu instid0(VALU_DEP_2) | instskip(NEXT) | instid1(VALU_DEP_2)
	v_add_f64_e64 v[76:77], v[76:77], -v[82:83]
	v_add_f64_e64 v[68:69], v[74:75], -v[68:69]
	s_delay_alu instid0(VALU_DEP_2) | instskip(NEXT) | instid1(VALU_DEP_1)
	v_add_f64_e64 v[76:77], v[76:77], -v[80:81]
	v_add_f64_e32 v[16:17], v[16:17], v[76:77]
	s_delay_alu instid0(VALU_DEP_1) | instskip(NEXT) | instid1(VALU_DEP_1)
	v_add_f64_e32 v[16:17], v[68:69], v[16:17]
	v_add_f64_e32 v[68:69], v[82:83], v[16:17]
	s_delay_alu instid0(VALU_DEP_1) | instskip(SKIP_1) | instid1(VALU_DEP_2)
	v_mul_f64_e32 v[74:75], v[72:73], v[68:69]
	v_add_f64_e64 v[80:81], v[82:83], -v[68:69]
	v_mul_f64_e32 v[76:77], v[70:71], v[74:75]
	s_delay_alu instid0(VALU_DEP_2) | instskip(NEXT) | instid1(VALU_DEP_2)
	v_add_f64_e32 v[16:17], v[16:17], v[80:81]
	v_fma_f64 v[70:71], v[74:75], v[70:71], -v[76:77]
	s_delay_alu instid0(VALU_DEP_1) | instskip(NEXT) | instid1(VALU_DEP_1)
	v_fmac_f64_e32 v[70:71], v[74:75], v[62:63]
	v_add_f64_e32 v[62:63], v[76:77], v[70:71]
	s_delay_alu instid0(VALU_DEP_1) | instskip(SKIP_1) | instid1(VALU_DEP_2)
	v_add_f64_e64 v[78:79], v[68:69], -v[62:63]
	v_add_f64_e64 v[76:77], v[62:63], -v[76:77]
	;; [unrolled: 1-line block ×3, first 2 shown]
	s_delay_alu instid0(VALU_DEP_1) | instskip(NEXT) | instid1(VALU_DEP_3)
	v_add_f64_e64 v[62:63], v[68:69], -v[62:63]
	v_add_f64_e64 v[68:69], v[76:77], -v[70:71]
	s_delay_alu instid0(VALU_DEP_2) | instskip(SKIP_1) | instid1(VALU_DEP_2)
	v_add_f64_e32 v[16:17], v[16:17], v[62:63]
	v_add_f64_e32 v[62:63], v[60:61], v[74:75]
	;; [unrolled: 1-line block ×3, first 2 shown]
	s_delay_alu instid0(VALU_DEP_2) | instskip(NEXT) | instid1(VALU_DEP_2)
	v_add_f64_e64 v[60:61], v[62:63], -v[60:61]
	v_add_f64_e32 v[16:17], v[78:79], v[16:17]
	s_delay_alu instid0(VALU_DEP_2) | instskip(NEXT) | instid1(VALU_DEP_2)
	v_add_f64_e64 v[60:61], v[74:75], -v[60:61]
	v_mul_f64_e32 v[16:17], v[72:73], v[16:17]
	s_delay_alu instid0(VALU_DEP_1) | instskip(NEXT) | instid1(VALU_DEP_1)
	v_add_f64_e32 v[16:17], v[60:61], v[16:17]
	v_add_f64_e32 v[60:61], v[62:63], v[16:17]
	s_delay_alu instid0(VALU_DEP_1) | instskip(NEXT) | instid1(VALU_DEP_1)
	v_mul_f64_e32 v[68:69], v[60:61], v[60:61]
	v_fmamk_f64 v[70:71], v[68:69], 0x3fc3ab76bf559e2b, v[32:33]
	v_mul_f64_e32 v[72:73], v[60:61], v[68:69]
	s_delay_alu instid0(VALU_DEP_2) | instskip(NEXT) | instid1(VALU_DEP_1)
	v_fmaak_f64 v[70:71], v[68:69], v[70:71], 0x3fc7474dd7f4df2e
	v_fmaak_f64 v[70:71], v[68:69], v[70:71], 0x3fcc71c016291751
	s_delay_alu instid0(VALU_DEP_1) | instskip(NEXT) | instid1(VALU_DEP_1)
	v_fmaak_f64 v[70:71], v[68:69], v[70:71], 0x3fd249249b27acf1
	v_fmaak_f64 v[70:71], v[68:69], v[70:71], 0x3fd99999998ef7b6
	s_delay_alu instid0(VALU_DEP_1) | instskip(SKIP_2) | instid1(VALU_DEP_3)
	v_fmaak_f64 v[68:69], v[68:69], v[70:71], 0x3fe5555555555780
	v_ldexp_f64 v[70:71], v[60:61], 1
	v_add_f64_e64 v[60:61], v[60:61], -v[62:63]
	v_mul_f64_e32 v[68:69], v[72:73], v[68:69]
	v_cvt_f64_i32_e32 v[72:73], v67
	s_delay_alu instid0(VALU_DEP_3) | instskip(NEXT) | instid1(VALU_DEP_3)
	v_add_f64_e64 v[16:17], v[16:17], -v[60:61]
	v_add_f64_e32 v[62:63], v[70:71], v[68:69]
	s_delay_alu instid0(VALU_DEP_3) | instskip(NEXT) | instid1(VALU_DEP_3)
	v_mul_f64_e32 v[74:75], 0x3fe62e42fefa39ef, v[72:73]
	v_ldexp_f64 v[16:17], v[16:17], 1
	s_delay_alu instid0(VALU_DEP_3) | instskip(NEXT) | instid1(VALU_DEP_3)
	v_add_f64_e64 v[60:61], v[62:63], -v[70:71]
	v_fma_f64 v[70:71], v[72:73], s[22:23], -v[74:75]
	s_delay_alu instid0(VALU_DEP_2) | instskip(NEXT) | instid1(VALU_DEP_2)
	v_add_f64_e64 v[60:61], v[68:69], -v[60:61]
	v_fmac_f64_e32 v[70:71], 0x3c7abc9e3b39803f, v[72:73]
	s_delay_alu instid0(VALU_DEP_2) | instskip(NEXT) | instid1(VALU_DEP_2)
	v_add_f64_e32 v[16:17], v[16:17], v[60:61]
	v_add_f64_e32 v[60:61], v[74:75], v[70:71]
	s_delay_alu instid0(VALU_DEP_2) | instskip(NEXT) | instid1(VALU_DEP_2)
	v_add_f64_e32 v[68:69], v[62:63], v[16:17]
	v_add_f64_e64 v[74:75], v[60:61], -v[74:75]
	s_delay_alu instid0(VALU_DEP_2) | instskip(SKIP_1) | instid1(VALU_DEP_3)
	v_add_f64_e32 v[72:73], v[60:61], v[68:69]
	v_add_f64_e64 v[62:63], v[68:69], -v[62:63]
	v_add_f64_e64 v[70:71], v[70:71], -v[74:75]
	s_delay_alu instid0(VALU_DEP_3) | instskip(NEXT) | instid1(VALU_DEP_3)
	v_add_f64_e64 v[76:77], v[72:73], -v[60:61]
	v_add_f64_e64 v[16:17], v[16:17], -v[62:63]
	s_delay_alu instid0(VALU_DEP_2) | instskip(SKIP_1) | instid1(VALU_DEP_3)
	v_add_f64_e64 v[78:79], v[72:73], -v[76:77]
	v_add_f64_e64 v[62:63], v[68:69], -v[76:77]
	v_add_f64_e32 v[68:69], v[70:71], v[16:17]
	s_delay_alu instid0(VALU_DEP_3) | instskip(NEXT) | instid1(VALU_DEP_1)
	v_add_f64_e64 v[60:61], v[60:61], -v[78:79]
	v_add_f64_e32 v[60:61], v[62:63], v[60:61]
	s_delay_alu instid0(VALU_DEP_3) | instskip(NEXT) | instid1(VALU_DEP_2)
	v_add_f64_e64 v[62:63], v[68:69], -v[70:71]
	v_add_f64_e32 v[60:61], v[68:69], v[60:61]
	s_delay_alu instid0(VALU_DEP_2) | instskip(SKIP_1) | instid1(VALU_DEP_3)
	v_add_f64_e64 v[68:69], v[68:69], -v[62:63]
	v_add_f64_e64 v[16:17], v[16:17], -v[62:63]
	v_add_f64_e32 v[74:75], v[72:73], v[60:61]
	s_delay_alu instid0(VALU_DEP_3) | instskip(NEXT) | instid1(VALU_DEP_2)
	v_add_f64_e64 v[68:69], v[70:71], -v[68:69]
	v_add_f64_e64 v[62:63], v[74:75], -v[72:73]
	s_delay_alu instid0(VALU_DEP_2) | instskip(NEXT) | instid1(VALU_DEP_2)
	v_add_f64_e32 v[16:17], v[16:17], v[68:69]
	v_add_f64_e64 v[60:61], v[60:61], -v[62:63]
	s_delay_alu instid0(VALU_DEP_1) | instskip(NEXT) | instid1(VALU_DEP_1)
	v_add_f64_e32 v[16:17], v[16:17], v[60:61]
	v_add_f64_e32 v[16:17], v[74:75], v[16:17]
	s_delay_alu instid0(VALU_DEP_1) | instskip(SKIP_1) | instid1(VALU_DEP_3)
	v_cndmask_b32_e32 v16, 0, v16, vcc_lo
	v_cmp_neq_f64_e32 vcc_lo, -1.0, v[58:59]
	v_cndmask_b32_e64 v17, 0x7ff00000, v17, s5
	s_delay_alu instid0(VALU_DEP_1) | instskip(NEXT) | instid1(VALU_DEP_1)
	v_cndmask_b32_e64 v17, 0x7ff80000, v17, s6
	v_cndmask_b32_e32 v17, 0xfff00000, v17, vcc_lo
.LBB42_545:                             ;   in Loop: Header=BB42_417 Depth=1
	s_and_not1_saveexec_b32 s50, s50
	s_cbranch_execz .LBB42_551
; %bb.546:                              ;   in Loop: Header=BB42_417 Depth=1
                                        ; implicit-def: $vgpr16_vgpr17
	s_mov_b32 s6, exec_lo
	v_cmpx_nlt_f64_e64 |v[18:19]|, 1.0
	s_xor_b32 s51, exec_lo, s6
	s_cbranch_execz .LBB42_548
; %bb.547:                              ;   in Loop: Header=BB42_417 Depth=1
	v_mul_f64_e32 v[16:17], v[14:15], v[50:51]
	s_delay_alu instid0(VALU_DEP_1) | instskip(SKIP_1) | instid1(VALU_DEP_1)
	v_cmp_gt_f64_e32 vcc_lo, 0x10000000, v[16:17]
	v_cndmask_b32_e64 v58, 0, 0x100, vcc_lo
	v_ldexp_f64 v[16:17], v[16:17], v58
	s_delay_alu instid0(VALU_DEP_1) | instskip(SKIP_1) | instid1(TRANS32_DEP_1)
	v_rsq_f64_e32 v[58:59], v[16:17]
	v_nop
	v_mul_f64_e32 v[60:61], v[16:17], v[58:59]
	v_mul_f64_e32 v[58:59], 0.5, v[58:59]
	s_delay_alu instid0(VALU_DEP_1) | instskip(NEXT) | instid1(VALU_DEP_1)
	v_fma_f64 v[62:63], -v[58:59], v[60:61], 0.5
	v_fmac_f64_e32 v[60:61], v[60:61], v[62:63]
	v_fmac_f64_e32 v[58:59], v[58:59], v[62:63]
	s_delay_alu instid0(VALU_DEP_2) | instskip(NEXT) | instid1(VALU_DEP_1)
	v_fma_f64 v[62:63], -v[60:61], v[60:61], v[16:17]
	v_fmac_f64_e32 v[60:61], v[62:63], v[58:59]
	s_delay_alu instid0(VALU_DEP_1) | instskip(NEXT) | instid1(VALU_DEP_1)
	v_fma_f64 v[62:63], -v[60:61], v[60:61], v[16:17]
	v_fmac_f64_e32 v[60:61], v[62:63], v[58:59]
	v_cndmask_b32_e64 v58, 0, 0xffffff80, vcc_lo
	v_cmp_class_f64_e64 vcc_lo, v[16:17], 0x260
	s_delay_alu instid0(VALU_DEP_2) | instskip(NEXT) | instid1(VALU_DEP_1)
	v_ldexp_f64 v[58:59], v[60:61], v58
	v_dual_cndmask_b32 v17, v59, v17 :: v_dual_cndmask_b32 v16, v58, v16
	s_delay_alu instid0(VALU_DEP_1) | instskip(NEXT) | instid1(VALU_DEP_1)
	v_add_f64_e32 v[58:59], v[14:15], v[16:17]
	v_add_f64_e32 v[16:17], 1.0, v[58:59]
	v_cmp_neq_f64_e64 s5, 0x7ff00000, v[58:59]
	v_cmp_ngt_f64_e64 s6, -1.0, v[58:59]
	s_delay_alu instid0(VALU_DEP_3) | instskip(SKIP_2) | instid1(VALU_DEP_3)
	v_frexp_mant_f64_e32 v[60:61], v[16:17]
	v_frexp_exp_i32_f64_e32 v67, v[16:17]
	v_add_f64_e32 v[62:63], -1.0, v[16:17]
	v_cmp_gt_f64_e32 vcc_lo, s[16:17], v[60:61]
	s_delay_alu instid0(VALU_DEP_2) | instskip(SKIP_2) | instid1(VALU_DEP_3)
	v_add_f64_e64 v[60:61], v[62:63], -v[16:17]
	v_add_f64_e64 v[62:63], v[58:59], -v[62:63]
	v_subrev_co_ci_u32_e64 v67, null, 0, v67, vcc_lo
	v_add_f64_e32 v[60:61], 1.0, v[60:61]
	v_cmp_nge_f64_e32 vcc_lo, -1.0, v[58:59]
	s_delay_alu instid0(VALU_DEP_3) | instskip(NEXT) | instid1(VALU_DEP_1)
	v_sub_nc_u32_e32 v70, 0, v67
	v_ldexp_f64 v[16:17], v[16:17], v70
	s_delay_alu instid0(VALU_DEP_4) | instskip(SKIP_1) | instid1(VALU_DEP_2)
	v_add_f64_e32 v[60:61], v[62:63], v[60:61]
	s_and_b32 vcc_lo, vcc_lo, s5
	v_add_f64_e32 v[68:69], 1.0, v[16:17]
	v_add_f64_e32 v[74:75], -1.0, v[16:17]
	s_delay_alu instid0(VALU_DEP_3) | instskip(NEXT) | instid1(VALU_DEP_3)
	v_ldexp_f64 v[60:61], v[60:61], v70
	v_add_f64_e32 v[62:63], -1.0, v[68:69]
	s_delay_alu instid0(VALU_DEP_3) | instskip(NEXT) | instid1(VALU_DEP_2)
	v_add_f64_e32 v[76:77], 1.0, v[74:75]
	v_add_f64_e64 v[62:63], v[16:17], -v[62:63]
	s_delay_alu instid0(VALU_DEP_2) | instskip(NEXT) | instid1(VALU_DEP_2)
	v_add_f64_e64 v[16:17], v[16:17], -v[76:77]
	v_add_f64_e32 v[62:63], v[60:61], v[62:63]
	s_delay_alu instid0(VALU_DEP_2) | instskip(NEXT) | instid1(VALU_DEP_2)
	v_add_f64_e32 v[16:17], v[60:61], v[16:17]
	v_add_f64_e32 v[70:71], v[68:69], v[62:63]
	s_delay_alu instid0(VALU_DEP_2) | instskip(NEXT) | instid1(VALU_DEP_2)
	v_add_f64_e32 v[76:77], v[74:75], v[16:17]
	v_rcp_f64_e32 v[72:73], v[70:71]
	v_add_f64_e64 v[68:69], v[70:71], -v[68:69]
	s_delay_alu instid0(VALU_DEP_2) | instskip(NEXT) | instid1(VALU_DEP_2)
	v_add_f64_e64 v[74:75], v[76:77], -v[74:75]
	v_add_f64_e64 v[62:63], v[62:63], -v[68:69]
	s_delay_alu instid0(VALU_DEP_2) | instskip(NEXT) | instid1(TRANS32_DEP_1)
	v_add_f64_e64 v[16:17], v[16:17], -v[74:75]
	v_fma_f64 v[78:79], -v[70:71], v[72:73], 1.0
	s_delay_alu instid0(VALU_DEP_1) | instskip(NEXT) | instid1(VALU_DEP_1)
	v_fmac_f64_e32 v[72:73], v[78:79], v[72:73]
	v_fma_f64 v[60:61], -v[70:71], v[72:73], 1.0
	s_delay_alu instid0(VALU_DEP_1) | instskip(NEXT) | instid1(VALU_DEP_1)
	v_fmac_f64_e32 v[72:73], v[60:61], v[72:73]
	v_mul_f64_e32 v[60:61], v[76:77], v[72:73]
	s_delay_alu instid0(VALU_DEP_1) | instskip(NEXT) | instid1(VALU_DEP_1)
	v_mul_f64_e32 v[78:79], v[70:71], v[60:61]
	v_fma_f64 v[68:69], v[60:61], v[70:71], -v[78:79]
	s_delay_alu instid0(VALU_DEP_1) | instskip(NEXT) | instid1(VALU_DEP_1)
	v_fmac_f64_e32 v[68:69], v[60:61], v[62:63]
	v_add_f64_e32 v[80:81], v[78:79], v[68:69]
	s_delay_alu instid0(VALU_DEP_1) | instskip(SKIP_1) | instid1(VALU_DEP_2)
	v_add_f64_e64 v[82:83], v[76:77], -v[80:81]
	v_add_f64_e64 v[74:75], v[80:81], -v[78:79]
	;; [unrolled: 1-line block ×3, first 2 shown]
	s_delay_alu instid0(VALU_DEP_2) | instskip(NEXT) | instid1(VALU_DEP_2)
	v_add_f64_e64 v[68:69], v[74:75], -v[68:69]
	v_add_f64_e64 v[76:77], v[76:77], -v[80:81]
	s_delay_alu instid0(VALU_DEP_1) | instskip(NEXT) | instid1(VALU_DEP_1)
	v_add_f64_e32 v[16:17], v[16:17], v[76:77]
	v_add_f64_e32 v[16:17], v[68:69], v[16:17]
	s_delay_alu instid0(VALU_DEP_1) | instskip(NEXT) | instid1(VALU_DEP_1)
	v_add_f64_e32 v[68:69], v[82:83], v[16:17]
	v_mul_f64_e32 v[74:75], v[72:73], v[68:69]
	v_add_f64_e64 v[80:81], v[82:83], -v[68:69]
	s_delay_alu instid0(VALU_DEP_2) | instskip(NEXT) | instid1(VALU_DEP_2)
	v_mul_f64_e32 v[76:77], v[70:71], v[74:75]
	v_add_f64_e32 v[16:17], v[16:17], v[80:81]
	s_delay_alu instid0(VALU_DEP_2) | instskip(NEXT) | instid1(VALU_DEP_1)
	v_fma_f64 v[70:71], v[74:75], v[70:71], -v[76:77]
	v_fmac_f64_e32 v[70:71], v[74:75], v[62:63]
	s_delay_alu instid0(VALU_DEP_1) | instskip(NEXT) | instid1(VALU_DEP_1)
	v_add_f64_e32 v[62:63], v[76:77], v[70:71]
	v_add_f64_e64 v[78:79], v[68:69], -v[62:63]
	v_add_f64_e64 v[76:77], v[62:63], -v[76:77]
	s_delay_alu instid0(VALU_DEP_2) | instskip(NEXT) | instid1(VALU_DEP_1)
	v_add_f64_e64 v[68:69], v[68:69], -v[78:79]
	v_add_f64_e64 v[62:63], v[68:69], -v[62:63]
	s_delay_alu instid0(VALU_DEP_3) | instskip(NEXT) | instid1(VALU_DEP_2)
	v_add_f64_e64 v[68:69], v[76:77], -v[70:71]
	v_add_f64_e32 v[16:17], v[16:17], v[62:63]
	v_add_f64_e32 v[62:63], v[60:61], v[74:75]
	s_delay_alu instid0(VALU_DEP_2) | instskip(NEXT) | instid1(VALU_DEP_2)
	v_add_f64_e32 v[16:17], v[68:69], v[16:17]
	v_add_f64_e64 v[60:61], v[62:63], -v[60:61]
	s_delay_alu instid0(VALU_DEP_2) | instskip(NEXT) | instid1(VALU_DEP_2)
	v_add_f64_e32 v[16:17], v[78:79], v[16:17]
	v_add_f64_e64 v[60:61], v[74:75], -v[60:61]
	s_delay_alu instid0(VALU_DEP_2) | instskip(NEXT) | instid1(VALU_DEP_1)
	v_mul_f64_e32 v[16:17], v[72:73], v[16:17]
	v_add_f64_e32 v[16:17], v[60:61], v[16:17]
	s_delay_alu instid0(VALU_DEP_1) | instskip(NEXT) | instid1(VALU_DEP_1)
	v_add_f64_e32 v[60:61], v[62:63], v[16:17]
	v_mul_f64_e32 v[68:69], v[60:61], v[60:61]
	s_delay_alu instid0(VALU_DEP_1) | instskip(SKIP_1) | instid1(VALU_DEP_2)
	v_fmamk_f64 v[70:71], v[68:69], 0x3fc3ab76bf559e2b, v[32:33]
	v_mul_f64_e32 v[72:73], v[60:61], v[68:69]
	v_fmaak_f64 v[70:71], v[68:69], v[70:71], 0x3fc7474dd7f4df2e
	s_delay_alu instid0(VALU_DEP_1) | instskip(NEXT) | instid1(VALU_DEP_1)
	v_fmaak_f64 v[70:71], v[68:69], v[70:71], 0x3fcc71c016291751
	v_fmaak_f64 v[70:71], v[68:69], v[70:71], 0x3fd249249b27acf1
	s_delay_alu instid0(VALU_DEP_1) | instskip(NEXT) | instid1(VALU_DEP_1)
	v_fmaak_f64 v[70:71], v[68:69], v[70:71], 0x3fd99999998ef7b6
	v_fmaak_f64 v[68:69], v[68:69], v[70:71], 0x3fe5555555555780
	v_ldexp_f64 v[70:71], v[60:61], 1
	v_add_f64_e64 v[60:61], v[60:61], -v[62:63]
	s_delay_alu instid0(VALU_DEP_3) | instskip(SKIP_1) | instid1(VALU_DEP_3)
	v_mul_f64_e32 v[68:69], v[72:73], v[68:69]
	v_cvt_f64_i32_e32 v[72:73], v67
	v_add_f64_e64 v[16:17], v[16:17], -v[60:61]
	s_delay_alu instid0(VALU_DEP_3) | instskip(NEXT) | instid1(VALU_DEP_3)
	v_add_f64_e32 v[62:63], v[70:71], v[68:69]
	v_mul_f64_e32 v[74:75], 0x3fe62e42fefa39ef, v[72:73]
	s_delay_alu instid0(VALU_DEP_3) | instskip(NEXT) | instid1(VALU_DEP_3)
	v_ldexp_f64 v[16:17], v[16:17], 1
	v_add_f64_e64 v[60:61], v[62:63], -v[70:71]
	s_delay_alu instid0(VALU_DEP_3) | instskip(NEXT) | instid1(VALU_DEP_2)
	v_fma_f64 v[70:71], v[72:73], s[22:23], -v[74:75]
	v_add_f64_e64 v[60:61], v[68:69], -v[60:61]
	s_delay_alu instid0(VALU_DEP_2) | instskip(NEXT) | instid1(VALU_DEP_2)
	v_fmac_f64_e32 v[70:71], 0x3c7abc9e3b39803f, v[72:73]
	v_add_f64_e32 v[16:17], v[16:17], v[60:61]
	s_delay_alu instid0(VALU_DEP_2) | instskip(NEXT) | instid1(VALU_DEP_2)
	v_add_f64_e32 v[60:61], v[74:75], v[70:71]
	v_add_f64_e32 v[68:69], v[62:63], v[16:17]
	s_delay_alu instid0(VALU_DEP_2) | instskip(NEXT) | instid1(VALU_DEP_2)
	v_add_f64_e64 v[74:75], v[60:61], -v[74:75]
	v_add_f64_e32 v[72:73], v[60:61], v[68:69]
	v_add_f64_e64 v[62:63], v[68:69], -v[62:63]
	s_delay_alu instid0(VALU_DEP_3) | instskip(NEXT) | instid1(VALU_DEP_3)
	v_add_f64_e64 v[70:71], v[70:71], -v[74:75]
	v_add_f64_e64 v[76:77], v[72:73], -v[60:61]
	s_delay_alu instid0(VALU_DEP_3) | instskip(NEXT) | instid1(VALU_DEP_2)
	v_add_f64_e64 v[16:17], v[16:17], -v[62:63]
	v_add_f64_e64 v[78:79], v[72:73], -v[76:77]
	;; [unrolled: 1-line block ×3, first 2 shown]
	s_delay_alu instid0(VALU_DEP_3) | instskip(NEXT) | instid1(VALU_DEP_3)
	v_add_f64_e32 v[68:69], v[70:71], v[16:17]
	v_add_f64_e64 v[60:61], v[60:61], -v[78:79]
	s_delay_alu instid0(VALU_DEP_1) | instskip(NEXT) | instid1(VALU_DEP_3)
	v_add_f64_e32 v[60:61], v[62:63], v[60:61]
	v_add_f64_e64 v[62:63], v[68:69], -v[70:71]
	s_delay_alu instid0(VALU_DEP_2) | instskip(NEXT) | instid1(VALU_DEP_2)
	v_add_f64_e32 v[60:61], v[68:69], v[60:61]
	v_add_f64_e64 v[68:69], v[68:69], -v[62:63]
	v_add_f64_e64 v[16:17], v[16:17], -v[62:63]
	s_delay_alu instid0(VALU_DEP_3) | instskip(NEXT) | instid1(VALU_DEP_3)
	v_add_f64_e32 v[74:75], v[72:73], v[60:61]
	v_add_f64_e64 v[68:69], v[70:71], -v[68:69]
	s_delay_alu instid0(VALU_DEP_2) | instskip(NEXT) | instid1(VALU_DEP_2)
	v_add_f64_e64 v[62:63], v[74:75], -v[72:73]
	v_add_f64_e32 v[16:17], v[16:17], v[68:69]
	s_delay_alu instid0(VALU_DEP_2) | instskip(NEXT) | instid1(VALU_DEP_1)
	v_add_f64_e64 v[60:61], v[60:61], -v[62:63]
	v_add_f64_e32 v[16:17], v[16:17], v[60:61]
	s_delay_alu instid0(VALU_DEP_1) | instskip(NEXT) | instid1(VALU_DEP_1)
	v_add_f64_e32 v[16:17], v[74:75], v[16:17]
	v_cndmask_b32_e32 v16, 0, v16, vcc_lo
	v_cmp_neq_f64_e32 vcc_lo, -1.0, v[58:59]
	s_delay_alu instid0(VALU_DEP_3) | instskip(NEXT) | instid1(VALU_DEP_1)
	v_cndmask_b32_e64 v17, 0x7ff00000, v17, s5
	v_cndmask_b32_e64 v17, 0x7ff80000, v17, s6
	s_delay_alu instid0(VALU_DEP_1)
	v_cndmask_b32_e32 v17, 0xfff00000, v17, vcc_lo
.LBB42_548:                             ;   in Loop: Header=BB42_417 Depth=1
	s_and_not1_saveexec_b32 s5, s51
	s_cbranch_execz .LBB42_550
; %bb.549:                              ;   in Loop: Header=BB42_417 Depth=1
	v_add_f64_e64 v[16:17], -|v[18:19]|, 1.0
	s_delay_alu instid0(VALU_DEP_1) | instskip(NEXT) | instid1(VALU_DEP_1)
	v_mul_f64_e32 v[16:17], v[16:17], v[50:51]
	v_cmp_gt_f64_e32 vcc_lo, 0x10000000, v[16:17]
	v_cndmask_b32_e64 v58, 0, 0x100, vcc_lo
	s_delay_alu instid0(VALU_DEP_1) | instskip(NEXT) | instid1(VALU_DEP_1)
	v_ldexp_f64 v[16:17], v[16:17], v58
	v_rsq_f64_e32 v[58:59], v[16:17]
	v_nop
	s_delay_alu instid0(TRANS32_DEP_1) | instskip(SKIP_1) | instid1(VALU_DEP_1)
	v_mul_f64_e32 v[60:61], v[16:17], v[58:59]
	v_mul_f64_e32 v[58:59], 0.5, v[58:59]
	v_fma_f64 v[62:63], -v[58:59], v[60:61], 0.5
	s_delay_alu instid0(VALU_DEP_1) | instskip(SKIP_1) | instid1(VALU_DEP_2)
	v_fmac_f64_e32 v[60:61], v[60:61], v[62:63]
	v_fmac_f64_e32 v[58:59], v[58:59], v[62:63]
	v_fma_f64 v[62:63], -v[60:61], v[60:61], v[16:17]
	s_delay_alu instid0(VALU_DEP_1) | instskip(NEXT) | instid1(VALU_DEP_1)
	v_fmac_f64_e32 v[60:61], v[62:63], v[58:59]
	v_fma_f64 v[62:63], -v[60:61], v[60:61], v[16:17]
	s_delay_alu instid0(VALU_DEP_1) | instskip(SKIP_2) | instid1(VALU_DEP_2)
	v_fmac_f64_e32 v[60:61], v[62:63], v[58:59]
	v_cndmask_b32_e64 v58, 0, 0xffffff80, vcc_lo
	v_cmp_class_f64_e64 vcc_lo, v[16:17], 0x260
	v_ldexp_f64 v[58:59], v[60:61], v58
	v_dual_mov_b32 v60, v20 :: v_dual_mov_b32 v61, v57
	s_delay_alu instid0(VALU_DEP_2) | instskip(NEXT) | instid1(VALU_DEP_1)
	v_dual_cndmask_b32 v16, v58, v16 :: v_dual_cndmask_b32 v17, v59, v17
	v_div_scale_f64 v[58:59], null, v[16:17], v[16:17], v[60:61]
	v_div_scale_f64 v[60:61], vcc_lo, v[60:61], v[16:17], v[60:61]
	s_delay_alu instid0(VALU_DEP_2) | instskip(SKIP_1) | instid1(TRANS32_DEP_1)
	v_rcp_f64_e32 v[62:63], v[58:59]
	v_nop
	v_fma_f64 v[68:69], -v[58:59], v[62:63], 1.0
	s_delay_alu instid0(VALU_DEP_1) | instskip(NEXT) | instid1(VALU_DEP_1)
	v_fmac_f64_e32 v[62:63], v[62:63], v[68:69]
	v_fma_f64 v[68:69], -v[58:59], v[62:63], 1.0
	s_delay_alu instid0(VALU_DEP_1) | instskip(NEXT) | instid1(VALU_DEP_1)
	v_fmac_f64_e32 v[62:63], v[62:63], v[68:69]
	v_mul_f64_e32 v[68:69], v[60:61], v[62:63]
	s_delay_alu instid0(VALU_DEP_1) | instskip(NEXT) | instid1(VALU_DEP_1)
	v_fma_f64 v[58:59], -v[58:59], v[68:69], v[60:61]
	v_div_fmas_f64 v[58:59], v[58:59], v[62:63], v[68:69]
	s_delay_alu instid0(VALU_DEP_1)
	v_div_fixup_f64 v[16:17], v[58:59], v[16:17], |v[20:21]|
.LBB42_550:                             ;   in Loop: Header=BB42_417 Depth=1
	s_or_b32 exec_lo, exec_lo, s5
.LBB42_551:                             ;   in Loop: Header=BB42_417 Depth=1
	s_delay_alu instid0(SALU_CYCLE_1)
	s_or_b32 exec_lo, exec_lo, s50
.LBB42_552:                             ;   in Loop: Header=BB42_417 Depth=1
	s_and_not1_saveexec_b32 s5, s49
	s_cbranch_execz .LBB42_554
; %bb.553:                              ;   in Loop: Header=BB42_417 Depth=1
	v_cmp_gt_f64_e64 s6, 0x10000000, |v[20:21]|
	s_delay_alu instid0(VALU_DEP_1) | instskip(NEXT) | instid1(VALU_DEP_1)
	v_cndmask_b32_e64 v16, 0, 0x100, s6
	v_ldexp_f64 v[16:17], |v[20:21]|, v16
	s_delay_alu instid0(VALU_DEP_1) | instskip(SKIP_1) | instid1(TRANS32_DEP_1)
	v_rsq_f64_e32 v[58:59], v[16:17]
	v_cmp_class_f64_e64 vcc_lo, v[16:17], 0x260
	v_mul_f64_e32 v[60:61], v[16:17], v[58:59]
	v_mul_f64_e32 v[58:59], 0.5, v[58:59]
	s_delay_alu instid0(VALU_DEP_1) | instskip(NEXT) | instid1(VALU_DEP_1)
	v_fma_f64 v[62:63], -v[58:59], v[60:61], 0.5
	v_fmac_f64_e32 v[60:61], v[60:61], v[62:63]
	v_fmac_f64_e32 v[58:59], v[58:59], v[62:63]
	s_delay_alu instid0(VALU_DEP_2) | instskip(NEXT) | instid1(VALU_DEP_1)
	v_fma_f64 v[62:63], -v[60:61], v[60:61], v[16:17]
	v_fmac_f64_e32 v[60:61], v[62:63], v[58:59]
	s_delay_alu instid0(VALU_DEP_1) | instskip(NEXT) | instid1(VALU_DEP_1)
	v_fma_f64 v[62:63], -v[60:61], v[60:61], v[16:17]
	v_fmac_f64_e32 v[60:61], v[62:63], v[58:59]
	v_cndmask_b32_e64 v58, 0, 0xffffff80, s6
	s_delay_alu instid0(VALU_DEP_1) | instskip(NEXT) | instid1(VALU_DEP_1)
	v_ldexp_f64 v[58:59], v[60:61], v58
	v_dual_cndmask_b32 v17, v59, v17 :: v_dual_cndmask_b32 v16, v58, v16
.LBB42_554:                             ;   in Loop: Header=BB42_417 Depth=1
	s_or_b32 exec_lo, exec_lo, s5
.LBB42_555:                             ;   in Loop: Header=BB42_417 Depth=1
	s_delay_alu instid0(SALU_CYCLE_1) | instskip(SKIP_2) | instid1(SALU_CYCLE_1)
	s_or_b32 exec_lo, exec_lo, s48
	v_cmp_ngt_f64_e64 s6, 0x20200000, |v[18:19]|
                                        ; implicit-def: $sgpr5
                                        ; implicit-def: $vgpr58_vgpr59
                                        ; implicit-def: $vgpr62_vgpr63
                                        ; implicit-def: $vgpr60_vgpr61
	s_and_saveexec_b32 s48, s6
	s_xor_b32 s6, exec_lo, s48
	s_cbranch_execz .LBB42_579
; %bb.556:                              ;   in Loop: Header=BB42_417 Depth=1
	v_and_b32_e32 v61, 0x7fffffff, v19
	v_mov_b32_e32 v60, v18
	s_mov_b32 s5, 0
	s_mov_b32 s48, exec_lo
	s_delay_alu instid0(VALU_DEP_1) | instskip(NEXT) | instid1(VALU_DEP_1)
	v_div_scale_f64 v[58:59], null, v[48:49], v[48:49], v[60:61]
	v_rcp_f64_e32 v[62:63], v[58:59]
	v_nop
	s_delay_alu instid0(TRANS32_DEP_1) | instskip(NEXT) | instid1(VALU_DEP_1)
	v_fma_f64 v[68:69], -v[58:59], v[62:63], 1.0
	v_fmac_f64_e32 v[62:63], v[62:63], v[68:69]
	s_delay_alu instid0(VALU_DEP_1) | instskip(NEXT) | instid1(VALU_DEP_1)
	v_fma_f64 v[68:69], -v[58:59], v[62:63], 1.0
	v_fmac_f64_e32 v[62:63], v[62:63], v[68:69]
	v_div_scale_f64 v[68:69], vcc_lo, v[60:61], v[48:49], v[60:61]
	s_delay_alu instid0(VALU_DEP_1) | instskip(NEXT) | instid1(VALU_DEP_1)
	v_mul_f64_e32 v[70:71], v[68:69], v[62:63]
	v_fma_f64 v[58:59], -v[58:59], v[70:71], v[68:69]
	s_delay_alu instid0(VALU_DEP_1) | instskip(NEXT) | instid1(VALU_DEP_1)
	v_div_fmas_f64 v[58:59], v[58:59], v[62:63], v[70:71]
                                        ; implicit-def: $vgpr62_vgpr63
	v_div_fixup_f64 v[58:59], v[58:59], v[48:49], |v[18:19]|
	s_delay_alu instid0(VALU_DEP_1)
	v_cmpx_lt_f64_e32 s[24:25], v[58:59]
	s_cbranch_execz .LBB42_578
; %bb.557:                              ;   in Loop: Header=BB42_417 Depth=1
	v_cmp_neq_f64_e64 s5, |v[18:19]|, 1.0
	v_cmp_ngt_f64_e64 s49, 0x3c400000, |v[20:21]|
                                        ; implicit-def: $vgpr62_vgpr63
	s_or_b32 s5, s49, s5
	s_delay_alu instid0(SALU_CYCLE_1) | instskip(NEXT) | instid1(SALU_CYCLE_1)
	s_and_saveexec_b32 s49, s5
	s_xor_b32 s5, exec_lo, s49
	s_cbranch_execz .LBB42_575
; %bb.558:                              ;   in Loop: Header=BB42_417 Depth=1
	v_ldexp_f64 v[62:63], |v[14:15]|, 0xffffffcc
	s_delay_alu instid0(VALU_DEP_1) | instskip(SKIP_1) | instid1(SALU_CYCLE_1)
	v_cmp_ge_f64_e64 s49, |v[20:21]|, v[62:63]
                                        ; implicit-def: $vgpr62_vgpr63
	s_and_saveexec_b32 s50, s49
	s_xor_b32 s49, exec_lo, s50
	s_cbranch_execz .LBB42_568
; %bb.559:                              ;   in Loop: Header=BB42_417 Depth=1
	v_mov_b64_e32 v[62:63], v[56:57]
	s_mov_b32 s50, exec_lo
	v_cmpx_neq_f64_e32 0, v[50:51]
	s_cbranch_execz .LBB42_561
; %bb.560:                              ;   in Loop: Header=BB42_417 Depth=1
	v_mul_f64_e32 v[62:63], v[20:21], v[20:21]
	v_add_f64_e32 v[50:51], v[50:51], v[54:55]
	s_delay_alu instid0(VALU_DEP_1) | instskip(NEXT) | instid1(VALU_DEP_1)
	v_div_scale_f64 v[54:55], null, v[50:51], v[50:51], v[62:63]
	v_rcp_f64_e32 v[68:69], v[54:55]
	v_nop
	s_delay_alu instid0(TRANS32_DEP_1) | instskip(NEXT) | instid1(VALU_DEP_1)
	v_fma_f64 v[70:71], -v[54:55], v[68:69], 1.0
	v_fmac_f64_e32 v[68:69], v[68:69], v[70:71]
	s_delay_alu instid0(VALU_DEP_1) | instskip(NEXT) | instid1(VALU_DEP_1)
	v_fma_f64 v[70:71], -v[54:55], v[68:69], 1.0
	v_fmac_f64_e32 v[68:69], v[68:69], v[70:71]
	v_div_scale_f64 v[70:71], vcc_lo, v[62:63], v[50:51], v[62:63]
	s_delay_alu instid0(VALU_DEP_1) | instskip(NEXT) | instid1(VALU_DEP_1)
	v_mul_f64_e32 v[72:73], v[70:71], v[68:69]
	v_fma_f64 v[54:55], -v[54:55], v[72:73], v[70:71]
	s_delay_alu instid0(VALU_DEP_1) | instskip(NEXT) | instid1(VALU_DEP_1)
	v_div_fmas_f64 v[54:55], v[54:55], v[68:69], v[72:73]
	v_div_fixup_f64 v[62:63], v[54:55], v[50:51], v[62:63]
.LBB42_561:                             ;   in Loop: Header=BB42_417 Depth=1
	s_or_b32 exec_lo, exec_lo, s50
	s_delay_alu instid0(SALU_CYCLE_1)
	s_mov_b32 s50, exec_lo
	v_cmpx_ngt_f64_e32 0, v[14:15]
	s_xor_b32 s50, exec_lo, s50
	s_cbranch_execz .LBB42_565
; %bb.562:                              ;   in Loop: Header=BB42_417 Depth=1
	s_mov_b32 s51, exec_lo
	v_cmpx_neq_f64_e32 0, v[14:15]
	s_cbranch_execz .LBB42_564
; %bb.563:                              ;   in Loop: Header=BB42_417 Depth=1
	v_mul_f64_e32 v[20:21], v[20:21], v[20:21]
	v_add_f64_e32 v[14:15], v[14:15], v[52:53]
	s_delay_alu instid0(VALU_DEP_1) | instskip(NEXT) | instid1(VALU_DEP_1)
	v_div_scale_f64 v[50:51], null, v[14:15], v[14:15], v[20:21]
	v_rcp_f64_e32 v[52:53], v[50:51]
	v_nop
	s_delay_alu instid0(TRANS32_DEP_1) | instskip(NEXT) | instid1(VALU_DEP_1)
	v_fma_f64 v[54:55], -v[50:51], v[52:53], 1.0
	v_fmac_f64_e32 v[52:53], v[52:53], v[54:55]
	s_delay_alu instid0(VALU_DEP_1) | instskip(NEXT) | instid1(VALU_DEP_1)
	v_fma_f64 v[54:55], -v[50:51], v[52:53], 1.0
	v_fmac_f64_e32 v[52:53], v[52:53], v[54:55]
	v_div_scale_f64 v[54:55], vcc_lo, v[20:21], v[14:15], v[20:21]
	s_delay_alu instid0(VALU_DEP_1) | instskip(NEXT) | instid1(VALU_DEP_1)
	v_mul_f64_e32 v[56:57], v[54:55], v[52:53]
	v_fma_f64 v[50:51], -v[50:51], v[56:57], v[54:55]
	s_delay_alu instid0(VALU_DEP_1) | instskip(NEXT) | instid1(VALU_DEP_1)
	v_div_fmas_f64 v[50:51], v[50:51], v[52:53], v[56:57]
	v_div_fixup_f64 v[56:57], v[50:51], v[14:15], v[20:21]
.LBB42_564:                             ;   in Loop: Header=BB42_417 Depth=1
	s_or_b32 exec_lo, exec_lo, s51
                                        ; implicit-def: $vgpr14_vgpr15
                                        ; implicit-def: $vgpr52_vgpr53
.LBB42_565:                             ;   in Loop: Header=BB42_417 Depth=1
	s_and_not1_saveexec_b32 s50, s50
; %bb.566:                              ;   in Loop: Header=BB42_417 Depth=1
	v_add_f64_e64 v[56:57], v[52:53], -v[14:15]
; %bb.567:                              ;   in Loop: Header=BB42_417 Depth=1
	s_or_b32 exec_lo, exec_lo, s50
	s_delay_alu instid0(VALU_DEP_1) | instskip(SKIP_1) | instid1(VALU_DEP_2)
	v_mul_f64_e32 v[14:15], 0.5, v[56:57]
	v_add_f64_e64 v[20:21], |v[18:19]|, v[48:49]
	v_fmac_f64_e32 v[14:15], 0.5, v[62:63]
	s_delay_alu instid0(VALU_DEP_1) | instskip(NEXT) | instid1(VALU_DEP_1)
	v_mul_f64_e32 v[14:15], v[20:21], v[14:15]
	v_cmp_gt_f64_e32 vcc_lo, 0x10000000, v[14:15]
	v_cndmask_b32_e64 v20, 0, 0x100, vcc_lo
	s_delay_alu instid0(VALU_DEP_1) | instskip(NEXT) | instid1(VALU_DEP_1)
	v_ldexp_f64 v[14:15], v[14:15], v20
	v_rsq_f64_e32 v[20:21], v[14:15]
	v_nop
	s_delay_alu instid0(TRANS32_DEP_1) | instskip(SKIP_1) | instid1(VALU_DEP_1)
	v_mul_f64_e32 v[48:49], v[14:15], v[20:21]
	v_mul_f64_e32 v[20:21], 0.5, v[20:21]
	v_fma_f64 v[50:51], -v[20:21], v[48:49], 0.5
	s_delay_alu instid0(VALU_DEP_1) | instskip(SKIP_1) | instid1(VALU_DEP_2)
	v_fmac_f64_e32 v[48:49], v[48:49], v[50:51]
	v_fmac_f64_e32 v[20:21], v[20:21], v[50:51]
	v_fma_f64 v[50:51], -v[48:49], v[48:49], v[14:15]
	s_delay_alu instid0(VALU_DEP_1) | instskip(NEXT) | instid1(VALU_DEP_1)
	v_fmac_f64_e32 v[48:49], v[50:51], v[20:21]
	v_fma_f64 v[50:51], -v[48:49], v[48:49], v[14:15]
	s_delay_alu instid0(VALU_DEP_1) | instskip(SKIP_2) | instid1(VALU_DEP_2)
	v_fmac_f64_e32 v[48:49], v[50:51], v[20:21]
	v_cndmask_b32_e64 v20, 0, 0xffffff80, vcc_lo
	v_cmp_class_f64_e64 vcc_lo, v[14:15], 0x260
                                        ; implicit-def: $vgpr50_vgpr51
	v_ldexp_f64 v[20:21], v[48:49], v20
	s_delay_alu instid0(VALU_DEP_1)
	v_dual_cndmask_b32 v63, v21, v15 :: v_dual_cndmask_b32 v62, v20, v14
                                        ; implicit-def: $vgpr14_vgpr15
.LBB42_568:                             ;   in Loop: Header=BB42_417 Depth=1
	s_and_not1_saveexec_b32 s49, s49
	s_cbranch_execz .LBB42_574
; %bb.569:                              ;   in Loop: Header=BB42_417 Depth=1
	v_cmp_ngt_f64_e64 s50, |v[18:19]|, 1.0
                                        ; implicit-def: $vgpr62_vgpr63
	s_and_saveexec_b32 s51, s50
	s_delay_alu instid0(SALU_CYCLE_1)
	s_xor_b32 s50, exec_lo, s51
	s_cbranch_execz .LBB42_571
; %bb.570:                              ;   in Loop: Header=BB42_417 Depth=1
	v_add_f64_e64 v[14:15], -|v[18:19]|, 1.0
	s_delay_alu instid0(VALU_DEP_1) | instskip(NEXT) | instid1(VALU_DEP_1)
	v_mul_f64_e32 v[14:15], v[14:15], v[50:51]
	v_cmp_gt_f64_e32 vcc_lo, 0x10000000, v[14:15]
	v_cndmask_b32_e64 v20, 0, 0x100, vcc_lo
	s_delay_alu instid0(VALU_DEP_1) | instskip(NEXT) | instid1(VALU_DEP_1)
	v_ldexp_f64 v[14:15], v[14:15], v20
	v_rsq_f64_e32 v[20:21], v[14:15]
	v_nop
	s_delay_alu instid0(TRANS32_DEP_1) | instskip(SKIP_1) | instid1(VALU_DEP_1)
	v_mul_f64_e32 v[48:49], v[14:15], v[20:21]
	v_mul_f64_e32 v[20:21], 0.5, v[20:21]
	v_fma_f64 v[50:51], -v[20:21], v[48:49], 0.5
	s_delay_alu instid0(VALU_DEP_1) | instskip(SKIP_1) | instid1(VALU_DEP_2)
	v_fmac_f64_e32 v[48:49], v[48:49], v[50:51]
	v_fmac_f64_e32 v[20:21], v[20:21], v[50:51]
	v_fma_f64 v[50:51], -v[48:49], v[48:49], v[14:15]
	s_delay_alu instid0(VALU_DEP_1) | instskip(NEXT) | instid1(VALU_DEP_1)
	v_fmac_f64_e32 v[48:49], v[50:51], v[20:21]
	v_fma_f64 v[50:51], -v[48:49], v[48:49], v[14:15]
	s_delay_alu instid0(VALU_DEP_1) | instskip(SKIP_2) | instid1(VALU_DEP_2)
	v_fmac_f64_e32 v[48:49], v[50:51], v[20:21]
	v_cndmask_b32_e64 v20, 0, 0xffffff80, vcc_lo
	v_cmp_class_f64_e64 vcc_lo, v[14:15], 0x260
                                        ; implicit-def: $vgpr50_vgpr51
	v_ldexp_f64 v[20:21], v[48:49], v20
	s_delay_alu instid0(VALU_DEP_1)
	v_dual_cndmask_b32 v63, v21, v15 :: v_dual_cndmask_b32 v62, v20, v14
                                        ; implicit-def: $vgpr14_vgpr15
.LBB42_571:                             ;   in Loop: Header=BB42_417 Depth=1
	s_and_not1_saveexec_b32 s50, s50
	s_cbranch_execz .LBB42_573
; %bb.572:                              ;   in Loop: Header=BB42_417 Depth=1
	v_mul_f64_e32 v[14:15], v[50:51], v[14:15]
	v_ldexp_f64 v[20:21], |v[20:21]|, 0x6a
	v_ldexp_f64 v[60:61], |v[18:19]|, 0x6a
	s_delay_alu instid0(VALU_DEP_3) | instskip(NEXT) | instid1(VALU_DEP_3)
	v_cmp_gt_f64_e32 vcc_lo, 0x10000000, v[14:15]
	v_mul_f64_e64 v[20:21], |v[18:19]|, v[20:21]
	v_cndmask_b32_e64 v48, 0, 0x100, vcc_lo
	s_delay_alu instid0(VALU_DEP_1) | instskip(NEXT) | instid1(VALU_DEP_1)
	v_ldexp_f64 v[14:15], v[14:15], v48
	v_rsq_f64_e32 v[48:49], v[14:15]
	v_nop
	s_delay_alu instid0(TRANS32_DEP_1) | instskip(SKIP_1) | instid1(VALU_DEP_1)
	v_mul_f64_e32 v[50:51], v[14:15], v[48:49]
	v_mul_f64_e32 v[48:49], 0.5, v[48:49]
	v_fma_f64 v[52:53], -v[48:49], v[50:51], 0.5
	s_delay_alu instid0(VALU_DEP_1) | instskip(SKIP_1) | instid1(VALU_DEP_2)
	v_fmac_f64_e32 v[50:51], v[50:51], v[52:53]
	v_fmac_f64_e32 v[48:49], v[48:49], v[52:53]
	v_fma_f64 v[52:53], -v[50:51], v[50:51], v[14:15]
	s_delay_alu instid0(VALU_DEP_1) | instskip(NEXT) | instid1(VALU_DEP_1)
	v_fmac_f64_e32 v[50:51], v[52:53], v[48:49]
	v_fma_f64 v[52:53], -v[50:51], v[50:51], v[14:15]
	s_delay_alu instid0(VALU_DEP_1) | instskip(SKIP_2) | instid1(VALU_DEP_2)
	v_fmac_f64_e32 v[50:51], v[52:53], v[48:49]
	v_cndmask_b32_e64 v48, 0, 0xffffff80, vcc_lo
	v_cmp_class_f64_e64 vcc_lo, v[14:15], 0x260
	v_ldexp_f64 v[48:49], v[50:51], v48
	s_delay_alu instid0(VALU_DEP_1) | instskip(NEXT) | instid1(VALU_DEP_1)
	v_dual_cndmask_b32 v15, v49, v15 :: v_dual_cndmask_b32 v14, v48, v14
	v_div_scale_f64 v[48:49], null, v[14:15], v[14:15], v[20:21]
	v_div_scale_f64 v[54:55], vcc_lo, v[20:21], v[14:15], v[20:21]
	s_delay_alu instid0(VALU_DEP_2) | instskip(SKIP_1) | instid1(TRANS32_DEP_1)
	v_rcp_f64_e32 v[50:51], v[48:49]
	v_nop
	v_fma_f64 v[52:53], -v[48:49], v[50:51], 1.0
	s_delay_alu instid0(VALU_DEP_1) | instskip(NEXT) | instid1(VALU_DEP_1)
	v_fmac_f64_e32 v[50:51], v[50:51], v[52:53]
	v_fma_f64 v[52:53], -v[48:49], v[50:51], 1.0
	s_delay_alu instid0(VALU_DEP_1) | instskip(NEXT) | instid1(VALU_DEP_1)
	v_fmac_f64_e32 v[50:51], v[50:51], v[52:53]
	v_mul_f64_e32 v[52:53], v[54:55], v[50:51]
	s_delay_alu instid0(VALU_DEP_1) | instskip(NEXT) | instid1(VALU_DEP_1)
	v_fma_f64 v[48:49], -v[48:49], v[52:53], v[54:55]
	v_div_fmas_f64 v[48:49], v[48:49], v[50:51], v[52:53]
	s_delay_alu instid0(VALU_DEP_1)
	v_div_fixup_f64 v[62:63], v[48:49], v[14:15], v[20:21]
.LBB42_573:                             ;   in Loop: Header=BB42_417 Depth=1
	s_or_b32 exec_lo, exec_lo, s50
.LBB42_574:                             ;   in Loop: Header=BB42_417 Depth=1
	s_delay_alu instid0(SALU_CYCLE_1)
	s_or_b32 exec_lo, exec_lo, s49
                                        ; implicit-def: $vgpr48_vgpr49
.LBB42_575:                             ;   in Loop: Header=BB42_417 Depth=1
	s_and_not1_saveexec_b32 s49, s5
	s_cbranch_execz .LBB42_577
; %bb.576:                              ;   in Loop: Header=BB42_417 Depth=1
	v_cmp_gt_f64_e64 s5, 0x10000000, |v[20:21]|
	v_add_f64_e32 v[14:15], 1.0, v[48:49]
	s_delay_alu instid0(VALU_DEP_2) | instskip(NEXT) | instid1(VALU_DEP_1)
	v_cndmask_b32_e64 v48, 0, 0x100, s5
	v_ldexp_f64 v[20:21], |v[20:21]|, v48
	s_delay_alu instid0(VALU_DEP_3) | instskip(NEXT) | instid1(VALU_DEP_1)
	v_mul_f64_e32 v[14:15], 0.5, v[14:15]
	v_cmp_gt_f64_e32 vcc_lo, 0x10000000, v[14:15]
	v_cndmask_b32_e64 v49, 0, 0x100, vcc_lo
	s_delay_alu instid0(VALU_DEP_1) | instskip(SKIP_1) | instid1(VALU_DEP_1)
	v_ldexp_f64 v[14:15], v[14:15], v49
	v_rsq_f64_e32 v[48:49], v[20:21]
	v_rsq_f64_e32 v[50:51], v[14:15]
	v_nop
	s_delay_alu instid0(TRANS32_DEP_1) | instskip(SKIP_1) | instid1(VALU_DEP_1)
	v_mul_f64_e32 v[54:55], v[14:15], v[50:51]
	v_mul_f64_e32 v[50:51], 0.5, v[50:51]
	v_fma_f64 v[60:61], -v[50:51], v[54:55], 0.5
	s_delay_alu instid0(VALU_DEP_1) | instskip(SKIP_1) | instid1(VALU_DEP_2)
	v_fmac_f64_e32 v[54:55], v[54:55], v[60:61]
	v_fmac_f64_e32 v[50:51], v[50:51], v[60:61]
	v_fma_f64 v[60:61], -v[54:55], v[54:55], v[14:15]
	s_delay_alu instid0(VALU_DEP_1) | instskip(NEXT) | instid1(VALU_DEP_1)
	v_fmac_f64_e32 v[54:55], v[60:61], v[50:51]
	v_fma_f64 v[60:61], -v[54:55], v[54:55], v[14:15]
	s_delay_alu instid0(VALU_DEP_1) | instskip(SKIP_3) | instid1(VALU_DEP_3)
	v_fmac_f64_e32 v[54:55], v[60:61], v[50:51]
	v_cndmask_b32_e64 v50, 0, 0xffffff80, vcc_lo
	v_cmp_class_f64_e64 vcc_lo, v[20:21], 0x260
	v_mov_b64_e32 v[60:61], 1.0
	v_ldexp_f64 v[50:51], v[54:55], v50
	s_delay_alu instid0(TRANS32_DEP_2) | instskip(SKIP_1) | instid1(VALU_DEP_1)
	v_mul_f64_e32 v[52:53], v[20:21], v[48:49]
	v_mul_f64_e32 v[48:49], 0.5, v[48:49]
	v_fma_f64 v[56:57], -v[48:49], v[52:53], 0.5
	s_delay_alu instid0(VALU_DEP_1) | instskip(SKIP_1) | instid1(VALU_DEP_2)
	v_fmac_f64_e32 v[52:53], v[52:53], v[56:57]
	v_fmac_f64_e32 v[48:49], v[48:49], v[56:57]
	v_fma_f64 v[56:57], -v[52:53], v[52:53], v[20:21]
	s_delay_alu instid0(VALU_DEP_1) | instskip(NEXT) | instid1(VALU_DEP_1)
	v_fmac_f64_e32 v[52:53], v[56:57], v[48:49]
	v_fma_f64 v[56:57], -v[52:53], v[52:53], v[20:21]
	s_delay_alu instid0(VALU_DEP_1) | instskip(SKIP_2) | instid1(VALU_DEP_2)
	v_fmac_f64_e32 v[52:53], v[56:57], v[48:49]
	v_cndmask_b32_e64 v48, 0, 0xffffff80, s5
	v_cmp_class_f64_e64 s5, v[14:15], 0x260
	v_ldexp_f64 v[48:49], v[52:53], v48
	s_delay_alu instid0(VALU_DEP_2) | instskip(NEXT) | instid1(VALU_DEP_2)
	v_dual_cndmask_b32 v15, v51, v15, s5 :: v_dual_cndmask_b32 v14, v50, v14, s5
	v_dual_cndmask_b32 v21, v49, v21 :: v_dual_cndmask_b32 v20, v48, v20
	s_delay_alu instid0(VALU_DEP_1)
	v_mul_f64_e32 v[62:63], v[20:21], v[14:15]
.LBB42_577:                             ;   in Loop: Header=BB42_417 Depth=1
	s_or_b32 exec_lo, exec_lo, s49
	s_delay_alu instid0(SALU_CYCLE_1)
	s_mov_b32 s5, exec_lo
.LBB42_578:                             ;   in Loop: Header=BB42_417 Depth=1
	s_or_b32 exec_lo, exec_lo, s48
                                        ; implicit-def: $vgpr48_vgpr49
.LBB42_579:                             ;   in Loop: Header=BB42_417 Depth=1
	s_and_not1_saveexec_b32 s6, s6
	s_cbranch_execz .LBB42_581
; %bb.580:                              ;   in Loop: Header=BB42_417 Depth=1
	v_ldexp_f64 v[62:63], v[48:49], 53
	v_ldexp_f64 v[60:61], |v[18:19]|, 53
	s_or_b32 s5, s5, exec_lo
                                        ; implicit-def: $vgpr58_vgpr59
.LBB42_581:                             ;   in Loop: Header=BB42_417 Depth=1
	s_or_b32 exec_lo, exec_lo, s6
	s_xor_b32 s5, s5, -1
	v_cmp_lt_i64_e32 vcc_lo, -1, v[18:19]
	s_and_saveexec_b32 s6, s5
	s_delay_alu instid0(SALU_CYCLE_1)
	s_xor_b32 s6, exec_lo, s6
	s_cbranch_execz .LBB42_591
; %bb.582:                              ;   in Loop: Header=BB42_417 Depth=1
	s_delay_alu instid0(VALU_DEP_4) | instskip(NEXT) | instid1(SALU_CYCLE_1)
	s_and_saveexec_b32 s5, vcc_lo
	s_xor_b32 s48, exec_lo, s5
	s_cbranch_execz .LBB42_586
; %bb.583:                              ;   in Loop: Header=BB42_417 Depth=1
	v_fma_f64 v[20:21], |v[58:59]|, -0.5, 0.5
	v_mul_f64_e32 v[14:15], v[58:59], v[58:59]
	v_cmp_ge_f64_e64 s5, |v[58:59]|, 0.5
	s_delay_alu instid0(VALU_DEP_1) | instskip(NEXT) | instid1(VALU_DEP_1)
	v_dual_cndmask_b32 v15, v15, v21, s5 :: v_dual_cndmask_b32 v14, v14, v20, s5
	v_fmamk_f64 v[18:19], v[14:15], 0x3fa059859fea6a70, v[34:35]
	s_delay_alu instid0(VALU_DEP_1) | instskip(NEXT) | instid1(VALU_DEP_1)
	v_fmaak_f64 v[18:19], v[14:15], v[18:19], 0x3f94052137024d6a
	v_fmaak_f64 v[18:19], v[14:15], v[18:19], 0x3f7ab3a098a70509
	s_delay_alu instid0(VALU_DEP_1) | instskip(NEXT) | instid1(VALU_DEP_1)
	v_fmaak_f64 v[18:19], v[14:15], v[18:19], 0x3f88ed60a300c8d2
	v_fmaak_f64 v[18:19], v[14:15], v[18:19], 0x3f8c6fa84b77012b
	;; [unrolled: 3-line block ×5, first 2 shown]
	s_delay_alu instid0(VALU_DEP_1) | instskip(NEXT) | instid1(VALU_DEP_1)
	v_mul_f64_e32 v[18:19], v[14:15], v[18:19]
	v_fma_f64 v[14:15], v[58:59], v[18:19], v[58:59]
	s_delay_alu instid0(VALU_DEP_1)
	v_fma_f64 v[14:15], s[28:29], s[26:27], -v[14:15]
	s_and_saveexec_b32 s49, s5
	s_cbranch_execz .LBB42_585
; %bb.584:                              ;   in Loop: Header=BB42_417 Depth=1
	v_rsq_f64_e32 v[14:15], v[20:21]
	v_cmp_eq_f64_e64 s5, 0, v[20:21]
	s_delay_alu instid0(TRANS32_DEP_1) | instskip(SKIP_1) | instid1(VALU_DEP_1)
	v_mul_f64_e32 v[48:49], v[20:21], v[14:15]
	v_mul_f64_e32 v[14:15], 0.5, v[14:15]
	v_fma_f64 v[50:51], -v[14:15], v[48:49], 0.5
	s_delay_alu instid0(VALU_DEP_1) | instskip(SKIP_1) | instid1(VALU_DEP_2)
	v_fmac_f64_e32 v[48:49], v[48:49], v[50:51]
	v_fmac_f64_e32 v[14:15], v[14:15], v[50:51]
	v_fma_f64 v[50:51], -v[48:49], v[48:49], v[20:21]
	s_delay_alu instid0(VALU_DEP_1) | instskip(NEXT) | instid1(VALU_DEP_1)
	v_fmac_f64_e32 v[48:49], v[50:51], v[14:15]
	v_dual_cndmask_b32 v15, v49, v21, s5 :: v_dual_cndmask_b32 v14, v48, v20, s5
	s_delay_alu instid0(VALU_DEP_1) | instskip(SKIP_1) | instid1(VALU_DEP_2)
	v_add_f64_e32 v[48:49], v[14:15], v[14:15]
	v_mul_f64_e32 v[50:51], v[14:15], v[14:15]
	v_rcp_f64_e32 v[52:53], v[48:49]
	s_delay_alu instid0(VALU_DEP_1) | instskip(SKIP_1) | instid1(VALU_DEP_2)
	v_add_f64_e64 v[54:55], v[20:21], -v[50:51]
	v_fma_f64 v[60:61], v[14:15], v[14:15], -v[50:51]
	v_add_f64_e64 v[20:21], v[20:21], -v[54:55]
	s_delay_alu instid0(TRANS32_DEP_1) | instskip(NEXT) | instid1(VALU_DEP_2)
	v_fma_f64 v[56:57], -v[48:49], v[52:53], 1.0
	v_add_f64_e64 v[20:21], v[20:21], -v[50:51]
	s_delay_alu instid0(VALU_DEP_2) | instskip(NEXT) | instid1(VALU_DEP_2)
	v_fmac_f64_e32 v[52:53], v[56:57], v[52:53]
	v_add_f64_e64 v[20:21], v[20:21], -v[60:61]
	s_delay_alu instid0(VALU_DEP_2) | instskip(NEXT) | instid1(VALU_DEP_2)
	v_fma_f64 v[50:51], -v[48:49], v[52:53], 1.0
	v_add_f64_e32 v[20:21], v[54:55], v[20:21]
	s_delay_alu instid0(VALU_DEP_2) | instskip(NEXT) | instid1(VALU_DEP_1)
	v_fmac_f64_e32 v[52:53], v[50:51], v[52:53]
	v_mul_f64_e32 v[50:51], v[20:21], v[52:53]
	s_delay_alu instid0(VALU_DEP_1) | instskip(NEXT) | instid1(VALU_DEP_1)
	v_fma_f64 v[20:21], -v[48:49], v[50:51], v[20:21]
	v_fmac_f64_e32 v[50:51], v[20:21], v[52:53]
	s_delay_alu instid0(VALU_DEP_1) | instskip(NEXT) | instid1(VALU_DEP_2)
	v_cndmask_b32_e64 v21, v51, 0, s5
	v_cndmask_b32_e64 v20, v50, 0, s5
	v_cmp_neq_f64_e64 s5, 1.0, v[58:59]
	s_delay_alu instid0(VALU_DEP_2) | instskip(NEXT) | instid1(VALU_DEP_1)
	v_add_f64_e32 v[48:49], v[14:15], v[20:21]
	v_add_f64_e64 v[14:15], v[48:49], -v[14:15]
	s_delay_alu instid0(VALU_DEP_1) | instskip(NEXT) | instid1(VALU_DEP_1)
	v_add_f64_e64 v[14:15], v[20:21], -v[14:15]
	v_fmac_f64_e32 v[14:15], v[48:49], v[18:19]
	s_delay_alu instid0(VALU_DEP_1) | instskip(NEXT) | instid1(VALU_DEP_1)
	v_add_f64_e32 v[14:15], v[48:49], v[14:15]
	v_add_f64_e32 v[14:15], v[14:15], v[14:15]
	s_delay_alu instid0(VALU_DEP_1)
	v_dual_cndmask_b32 v15, 0, v15, s5 :: v_dual_cndmask_b32 v14, 0, v14, s5
.LBB42_585:                             ;   in Loop: Header=BB42_417 Depth=1
	s_or_b32 exec_lo, exec_lo, s49
                                        ; implicit-def: $vgpr58_vgpr59
.LBB42_586:                             ;   in Loop: Header=BB42_417 Depth=1
	s_and_not1_saveexec_b32 s48, s48
	s_cbranch_execz .LBB42_590
; %bb.587:                              ;   in Loop: Header=BB42_417 Depth=1
	v_fma_f64 v[20:21], |v[58:59]|, -0.5, 0.5
	v_mul_f64_e32 v[14:15], v[58:59], v[58:59]
	v_cmp_ge_f64_e64 s5, |v[58:59]|, 0.5
	s_delay_alu instid0(VALU_DEP_1) | instskip(NEXT) | instid1(VALU_DEP_1)
	v_dual_cndmask_b32 v15, v15, v21, s5 :: v_dual_cndmask_b32 v14, v14, v20, s5
	v_fmamk_f64 v[18:19], v[14:15], 0x3fa059859fea6a70, v[34:35]
	s_delay_alu instid0(VALU_DEP_1) | instskip(NEXT) | instid1(VALU_DEP_1)
	v_fmaak_f64 v[18:19], v[14:15], v[18:19], 0x3f94052137024d6a
	v_fmaak_f64 v[18:19], v[14:15], v[18:19], 0x3f7ab3a098a70509
	s_delay_alu instid0(VALU_DEP_1) | instskip(NEXT) | instid1(VALU_DEP_1)
	v_fmaak_f64 v[18:19], v[14:15], v[18:19], 0x3f88ed60a300c8d2
	v_fmaak_f64 v[18:19], v[14:15], v[18:19], 0x3f8c6fa84b77012b
	;; [unrolled: 3-line block ×5, first 2 shown]
	s_delay_alu instid0(VALU_DEP_1) | instskip(NEXT) | instid1(VALU_DEP_1)
	v_mul_f64_e32 v[18:19], v[14:15], v[18:19]
	v_fma_f64 v[14:15], -v[58:59], v[18:19], -v[58:59]
	s_delay_alu instid0(VALU_DEP_1)
	v_fma_f64 v[14:15], s[28:29], s[26:27], -v[14:15]
	s_and_saveexec_b32 s49, s5
	s_cbranch_execz .LBB42_589
; %bb.588:                              ;   in Loop: Header=BB42_417 Depth=1
	v_rsq_f64_e32 v[14:15], v[20:21]
	v_cmp_eq_f64_e64 s5, 0, v[20:21]
	s_delay_alu instid0(TRANS32_DEP_1) | instskip(SKIP_1) | instid1(VALU_DEP_1)
	v_mul_f64_e32 v[48:49], v[20:21], v[14:15]
	v_mul_f64_e32 v[14:15], 0.5, v[14:15]
	v_fma_f64 v[50:51], -v[14:15], v[48:49], 0.5
	s_delay_alu instid0(VALU_DEP_1) | instskip(SKIP_1) | instid1(VALU_DEP_2)
	v_fmac_f64_e32 v[48:49], v[48:49], v[50:51]
	v_fmac_f64_e32 v[14:15], v[14:15], v[50:51]
	v_fma_f64 v[50:51], -v[48:49], v[48:49], v[20:21]
	s_delay_alu instid0(VALU_DEP_1) | instskip(NEXT) | instid1(VALU_DEP_1)
	v_fmac_f64_e32 v[48:49], v[50:51], v[14:15]
	v_dual_cndmask_b32 v15, v49, v21, s5 :: v_dual_cndmask_b32 v14, v48, v20, s5
	s_delay_alu instid0(VALU_DEP_1) | instskip(SKIP_1) | instid1(VALU_DEP_2)
	v_add_f64_e32 v[48:49], v[14:15], v[14:15]
	v_mul_f64_e32 v[50:51], v[14:15], v[14:15]
	v_rcp_f64_e32 v[52:53], v[48:49]
	s_delay_alu instid0(VALU_DEP_1) | instskip(SKIP_1) | instid1(VALU_DEP_2)
	v_add_f64_e64 v[54:55], v[20:21], -v[50:51]
	v_fma_f64 v[60:61], v[14:15], v[14:15], -v[50:51]
	v_add_f64_e64 v[20:21], v[20:21], -v[54:55]
	s_delay_alu instid0(TRANS32_DEP_1) | instskip(NEXT) | instid1(VALU_DEP_2)
	v_fma_f64 v[56:57], -v[48:49], v[52:53], 1.0
	v_add_f64_e64 v[20:21], v[20:21], -v[50:51]
	s_delay_alu instid0(VALU_DEP_2) | instskip(NEXT) | instid1(VALU_DEP_2)
	v_fmac_f64_e32 v[52:53], v[56:57], v[52:53]
	v_add_f64_e64 v[20:21], v[20:21], -v[60:61]
	s_delay_alu instid0(VALU_DEP_2) | instskip(NEXT) | instid1(VALU_DEP_2)
	v_fma_f64 v[50:51], -v[48:49], v[52:53], 1.0
	v_add_f64_e32 v[20:21], v[54:55], v[20:21]
	s_delay_alu instid0(VALU_DEP_2) | instskip(NEXT) | instid1(VALU_DEP_1)
	v_fmac_f64_e32 v[52:53], v[50:51], v[52:53]
	v_mul_f64_e32 v[50:51], v[20:21], v[52:53]
	s_delay_alu instid0(VALU_DEP_1) | instskip(NEXT) | instid1(VALU_DEP_1)
	v_fma_f64 v[20:21], -v[48:49], v[50:51], v[20:21]
	v_fmac_f64_e32 v[50:51], v[20:21], v[52:53]
	s_delay_alu instid0(VALU_DEP_1) | instskip(NEXT) | instid1(VALU_DEP_2)
	v_cndmask_b32_e64 v21, v51, 0, s5
	v_cndmask_b32_e64 v20, v50, 0, s5
	v_cmp_lt_f64_e64 s5, 0, v[58:59]
	s_delay_alu instid0(VALU_DEP_2) | instskip(NEXT) | instid1(VALU_DEP_1)
	v_add_f64_e32 v[48:49], v[14:15], v[20:21]
	v_add_f64_e64 v[14:15], v[48:49], -v[14:15]
	s_delay_alu instid0(VALU_DEP_1) | instskip(SKIP_1) | instid1(VALU_DEP_2)
	v_add_f64_e64 v[14:15], v[20:21], -v[14:15]
	v_fma_f64 v[20:21], v[48:49], v[18:19], v[48:49]
	v_fmac_f64_e32 v[14:15], v[48:49], v[18:19]
	s_delay_alu instid0(VALU_DEP_2) | instskip(NEXT) | instid1(VALU_DEP_2)
	v_mul_f64_e32 v[18:19], -2.0, v[20:21]
	v_add_f64_e32 v[14:15], v[48:49], v[14:15]
	s_delay_alu instid0(VALU_DEP_2) | instskip(NEXT) | instid1(VALU_DEP_2)
	v_fmac_f64_e64 v[18:19], s[30:31], s[26:27]
	v_add_f64_e32 v[14:15], v[14:15], v[14:15]
	s_delay_alu instid0(VALU_DEP_1) | instskip(SKIP_1) | instid1(VALU_DEP_1)
	v_dual_cndmask_b32 v14, v14, v18, s5 :: v_dual_cndmask_b32 v15, v15, v19, s5
	v_cmp_neq_f64_e64 s5, 1.0, v[58:59]
	v_cndmask_b32_e64 v15, 0x400921fb, v15, s5
	s_delay_alu instid0(VALU_DEP_3)
	v_cndmask_b32_e64 v14, 0x54442d18, v14, s5
.LBB42_589:                             ;   in Loop: Header=BB42_417 Depth=1
	s_or_b32 exec_lo, exec_lo, s49
.LBB42_590:                             ;   in Loop: Header=BB42_417 Depth=1
	s_delay_alu instid0(SALU_CYCLE_1)
	s_or_b32 exec_lo, exec_lo, s48
                                        ; implicit-def: $vgpr60_vgpr61
                                        ; implicit-def: $vgpr62_vgpr63
.LBB42_591:                             ;   in Loop: Header=BB42_417 Depth=1
	s_and_not1_saveexec_b32 s48, s6
	s_cbranch_execz .LBB42_597
; %bb.592:                              ;   in Loop: Header=BB42_417 Depth=1
	s_delay_alu instid0(VALU_DEP_4) | instskip(NEXT) | instid1(SALU_CYCLE_1)
	s_and_saveexec_b32 s5, vcc_lo
	s_xor_b32 s49, exec_lo, s5
	s_cbranch_execz .LBB42_594
; %bb.593:                              ;   in Loop: Header=BB42_417 Depth=1
	s_delay_alu instid0(VALU_DEP_2) | instskip(NEXT) | instid1(VALU_DEP_3)
	v_max_num_f64_e64 v[14:15], |v[62:63]|, |v[62:63]|
	v_max_num_f64_e32 v[18:19], v[60:61], v[60:61]
	v_cmp_eq_f64_e64 s5, 0, v[62:63]
	v_cmp_class_f64_e64 s50, v[62:63], 0x204
	v_cmp_eq_f64_e64 s6, 0x7ff00000, v[60:61]
	s_delay_alu instid0(VALU_DEP_4) | instskip(SKIP_1) | instid1(VALU_DEP_1)
	v_max_num_f64_e32 v[20:21], v[18:19], v[14:15]
	v_min_num_f64_e32 v[14:15], v[18:19], v[14:15]
	v_div_scale_f64 v[18:19], null, v[20:21], v[20:21], v[14:15]
	v_div_scale_f64 v[52:53], vcc_lo, v[14:15], v[20:21], v[14:15]
	s_delay_alu instid0(VALU_DEP_2) | instskip(SKIP_1) | instid1(TRANS32_DEP_1)
	v_rcp_f64_e32 v[48:49], v[18:19]
	v_nop
	v_fma_f64 v[50:51], -v[18:19], v[48:49], 1.0
	s_delay_alu instid0(VALU_DEP_1) | instskip(NEXT) | instid1(VALU_DEP_1)
	v_fmac_f64_e32 v[48:49], v[48:49], v[50:51]
	v_fma_f64 v[50:51], -v[18:19], v[48:49], 1.0
	s_delay_alu instid0(VALU_DEP_1) | instskip(NEXT) | instid1(VALU_DEP_1)
	v_fmac_f64_e32 v[48:49], v[48:49], v[50:51]
	v_mul_f64_e32 v[50:51], v[52:53], v[48:49]
	s_delay_alu instid0(VALU_DEP_1) | instskip(NEXT) | instid1(VALU_DEP_1)
	v_fma_f64 v[18:19], -v[18:19], v[50:51], v[52:53]
	v_div_fmas_f64 v[18:19], v[18:19], v[48:49], v[50:51]
	v_cmp_lt_f64_e64 vcc_lo, v[60:61], |v[62:63]|
	s_delay_alu instid0(VALU_DEP_2) | instskip(NEXT) | instid1(VALU_DEP_1)
	v_div_fixup_f64 v[14:15], v[18:19], v[20:21], v[14:15]
	v_mul_f64_e32 v[18:19], v[14:15], v[14:15]
	s_delay_alu instid0(VALU_DEP_1) | instskip(NEXT) | instid1(VALU_DEP_1)
	v_fmamk_f64 v[20:21], v[18:19], 0x3eeba404b5e68a13, v[36:37]
	v_fmaak_f64 v[20:21], v[18:19], v[20:21], 0x3f4b2bb069efb384
	s_delay_alu instid0(VALU_DEP_1) | instskip(NEXT) | instid1(VALU_DEP_1)
	v_fmaak_f64 v[20:21], v[18:19], v[20:21], 0xbf67952daf56de9b
	v_fmaak_f64 v[20:21], v[18:19], v[20:21], 0x3f7d6d43a595c56f
	s_delay_alu instid0(VALU_DEP_1) | instskip(NEXT) | instid1(VALU_DEP_1)
	v_fmaak_f64 v[20:21], v[18:19], v[20:21], 0xbf8c6ea4a57d9582
	;; [unrolled: 3-line block ×9, first 2 shown]
	v_mul_f64_e32 v[18:19], v[18:19], v[20:21]
	v_ashrrev_i32_e32 v20, 31, v61
	s_delay_alu instid0(VALU_DEP_1) | instskip(NEXT) | instid1(VALU_DEP_3)
	v_and_b32_e32 v48, 0x54442d18, v20
	v_fmac_f64_e32 v[14:15], v[14:15], v[18:19]
	s_delay_alu instid0(VALU_DEP_1) | instskip(NEXT) | instid1(VALU_DEP_1)
	v_add_f64_e64 v[18:19], -v[14:15], s[34:35]
	v_dual_cndmask_b32 v15, v15, v19 :: v_dual_cndmask_b32 v14, v14, v18
	v_cmp_gt_i32_e32 vcc_lo, 0, v61
                                        ; implicit-def: $vgpr60_vgpr61
	s_delay_alu instid0(VALU_DEP_2) | instskip(SKIP_1) | instid1(VALU_DEP_2)
	v_add_f64_e64 v[18:19], -v[14:15], s[36:37]
	v_cndmask_b32_e32 v21, 0x54442d18, v65, vcc_lo
	v_dual_cndmask_b32 v15, v15, v19 :: v_dual_cndmask_b32 v14, v14, v18
	v_and_b32_e32 v18, 0x400921fb, v20
	v_cndmask_b32_e32 v19, 0x3fe921fb, v66, vcc_lo
	s_and_b32 vcc_lo, s6, s50
	s_delay_alu instid0(VALU_DEP_2) | instskip(NEXT) | instid1(VALU_DEP_1)
	v_dual_cndmask_b32 v15, v15, v18, s5 :: v_dual_cndmask_b32 v14, v14, v48, s5
	v_dual_cndmask_b32 v15, v15, v19 :: v_dual_cndmask_b32 v14, v14, v21
	v_cmp_o_f64_e32 vcc_lo, v[62:63], v[62:63]
	s_delay_alu instid0(VALU_DEP_2) | instskip(NEXT) | instid1(VALU_DEP_3)
	v_cndmask_b32_e32 v15, 0x7ff80000, v15, vcc_lo
	v_cndmask_b32_e32 v14, 0, v14, vcc_lo
	s_delay_alu instid0(VALU_DEP_2)
	v_bfi_b32 v15, 0x7fffffff, v15, v63
                                        ; implicit-def: $vgpr62_vgpr63
.LBB42_594:                             ;   in Loop: Header=BB42_417 Depth=1
	s_and_not1_saveexec_b32 s49, s49
	s_cbranch_execz .LBB42_596
; %bb.595:                              ;   in Loop: Header=BB42_417 Depth=1
	s_delay_alu instid0(VALU_DEP_2) | instskip(NEXT) | instid1(VALU_DEP_3)
	v_max_num_f64_e64 v[14:15], |v[62:63]|, |v[62:63]|
	v_max_num_f64_e32 v[18:19], v[60:61], v[60:61]
	v_cmp_eq_f64_e64 s5, 0, v[62:63]
	v_cmp_class_f64_e64 s50, v[62:63], 0x204
	v_cmp_eq_f64_e64 s6, 0x7ff00000, v[60:61]
	s_delay_alu instid0(VALU_DEP_4) | instskip(SKIP_1) | instid1(VALU_DEP_1)
	v_max_num_f64_e32 v[20:21], v[18:19], v[14:15]
	v_min_num_f64_e32 v[14:15], v[18:19], v[14:15]
	v_div_scale_f64 v[18:19], null, v[20:21], v[20:21], v[14:15]
	v_div_scale_f64 v[52:53], vcc_lo, v[14:15], v[20:21], v[14:15]
	s_delay_alu instid0(VALU_DEP_2) | instskip(SKIP_1) | instid1(TRANS32_DEP_1)
	v_rcp_f64_e32 v[48:49], v[18:19]
	v_nop
	v_fma_f64 v[50:51], -v[18:19], v[48:49], 1.0
	s_delay_alu instid0(VALU_DEP_1) | instskip(NEXT) | instid1(VALU_DEP_1)
	v_fmac_f64_e32 v[48:49], v[48:49], v[50:51]
	v_fma_f64 v[50:51], -v[18:19], v[48:49], 1.0
	s_delay_alu instid0(VALU_DEP_1) | instskip(NEXT) | instid1(VALU_DEP_1)
	v_fmac_f64_e32 v[48:49], v[48:49], v[50:51]
	v_mul_f64_e32 v[50:51], v[52:53], v[48:49]
	s_delay_alu instid0(VALU_DEP_1) | instskip(NEXT) | instid1(VALU_DEP_1)
	v_fma_f64 v[18:19], -v[18:19], v[50:51], v[52:53]
	v_div_fmas_f64 v[18:19], v[18:19], v[48:49], v[50:51]
	v_cmp_lt_f64_e64 vcc_lo, v[60:61], |v[62:63]|
	s_delay_alu instid0(VALU_DEP_2) | instskip(NEXT) | instid1(VALU_DEP_1)
	v_div_fixup_f64 v[14:15], v[18:19], v[20:21], v[14:15]
	v_mul_f64_e32 v[18:19], v[14:15], v[14:15]
	s_delay_alu instid0(VALU_DEP_1) | instskip(NEXT) | instid1(VALU_DEP_1)
	v_fmamk_f64 v[20:21], v[18:19], 0x3eeba404b5e68a13, v[36:37]
	v_fmaak_f64 v[20:21], v[18:19], v[20:21], 0x3f4b2bb069efb384
	s_delay_alu instid0(VALU_DEP_1) | instskip(NEXT) | instid1(VALU_DEP_1)
	v_fmaak_f64 v[20:21], v[18:19], v[20:21], 0xbf67952daf56de9b
	v_fmaak_f64 v[20:21], v[18:19], v[20:21], 0x3f7d6d43a595c56f
	s_delay_alu instid0(VALU_DEP_1) | instskip(NEXT) | instid1(VALU_DEP_1)
	v_fmaak_f64 v[20:21], v[18:19], v[20:21], 0xbf8c6ea4a57d9582
	;; [unrolled: 3-line block ×9, first 2 shown]
	v_mul_f64_e32 v[18:19], v[18:19], v[20:21]
	v_xor_b32_e32 v20, 0x80000000, v61
	s_delay_alu instid0(VALU_DEP_1) | instskip(NEXT) | instid1(VALU_DEP_1)
	v_ashrrev_i32_e32 v21, 31, v20
	v_and_b32_e32 v48, 0x54442d18, v21
	s_delay_alu instid0(VALU_DEP_4) | instskip(NEXT) | instid1(VALU_DEP_1)
	v_fmac_f64_e32 v[14:15], v[14:15], v[18:19]
	v_add_f64_e64 v[18:19], -v[14:15], s[34:35]
	s_delay_alu instid0(VALU_DEP_1) | instskip(SKIP_1) | instid1(VALU_DEP_2)
	v_dual_cndmask_b32 v15, v15, v19 :: v_dual_cndmask_b32 v14, v14, v18
	v_cmp_gt_i32_e32 vcc_lo, 0, v20
	v_add_f64_e64 v[18:19], -v[14:15], s[36:37]
	v_cndmask_b32_e32 v20, 0x54442d18, v65, vcc_lo
	s_delay_alu instid0(VALU_DEP_2) | instskip(SKIP_3) | instid1(VALU_DEP_2)
	v_dual_cndmask_b32 v15, v15, v19 :: v_dual_cndmask_b32 v14, v14, v18
	v_and_b32_e32 v18, 0x400921fb, v21
	v_cndmask_b32_e32 v19, 0x3fe921fb, v66, vcc_lo
	s_and_b32 vcc_lo, s6, s50
	v_dual_cndmask_b32 v15, v15, v18, s5 :: v_dual_cndmask_b32 v14, v14, v48, s5
	s_delay_alu instid0(VALU_DEP_1) | instskip(SKIP_1) | instid1(VALU_DEP_2)
	v_dual_cndmask_b32 v15, v15, v19 :: v_dual_cndmask_b32 v14, v14, v20
	v_cmp_o_f64_e32 vcc_lo, v[62:63], v[62:63]
	v_cndmask_b32_e32 v15, 0x7ff80000, v15, vcc_lo
	s_delay_alu instid0(VALU_DEP_3) | instskip(NEXT) | instid1(VALU_DEP_2)
	v_cndmask_b32_e32 v14, 0, v14, vcc_lo
	v_bfi_b32 v15, 0x7fffffff, v15, v63
.LBB42_596:                             ;   in Loop: Header=BB42_417 Depth=1
	s_or_b32 exec_lo, exec_lo, s49
.LBB42_597:                             ;   in Loop: Header=BB42_417 Depth=1
	s_delay_alu instid0(SALU_CYCLE_1) | instskip(SKIP_1) | instid1(VALU_DEP_1)
	s_or_b32 exec_lo, exec_lo, s48
	v_xor_b32_e32 v18, 0x80000000, v17
	v_cndmask_b32_e64 v17, v18, v17, s4
                                        ; implicit-def: $vgpr18_vgpr19
.LBB42_598:                             ;   in Loop: Header=BB42_417 Depth=1
	s_and_not1_saveexec_b32 s5, s47
	s_cbranch_execz .LBB42_600
; %bb.599:                              ;   in Loop: Header=BB42_417 Depth=1
	s_wait_dscnt 0x0
	flat_load_b64 v[14:15], v[24:25] scope:SCOPE_SYS
	s_wait_loadcnt_dscnt 0x0
	v_add_f64_e64 v[14:15], v[14:15], -v[18:19]
	s_delay_alu instid0(VALU_DEP_1)
	v_add_f64_e32 v[14:15], 0x3ff921fb54442d18, v[14:15]
.LBB42_600:                             ;   in Loop: Header=BB42_417 Depth=1
	s_or_b32 exec_lo, exec_lo, s5
.LBB42_601:                             ;   in Loop: Header=BB42_417 Depth=1
	s_and_not1_saveexec_b32 s5, s46
	s_cbranch_execz .LBB42_603
; %bb.602:                              ;   in Loop: Header=BB42_417 Depth=1
	s_wait_dscnt 0x0
	v_mov_b64_e32 v[14:15], 0
.LBB42_603:                             ;   in Loop: Header=BB42_417 Depth=1
	s_or_b32 exec_lo, exec_lo, s5
                                        ; implicit-def: $vgpr18_vgpr19
                                        ; implicit-def: $vgpr50_vgpr51
                                        ; implicit-def: $vgpr52_vgpr53
                                        ; implicit-def: $vgpr48_vgpr49
.LBB42_604:                             ;   in Loop: Header=BB42_417 Depth=1
	s_and_not1_saveexec_b32 s33, s33
	s_cbranch_execz .LBB42_614
; %bb.605:                              ;   in Loop: Header=BB42_417 Depth=1
	v_cmp_lt_f64_e64 s5, |v[18:19]|, |v[20:21]|
	v_and_b32_e32 v56, 0x7fffffff, v19
	v_and_b32_e32 v57, 0x7fffffff, v21
                                        ; implicit-def: $sgpr46
                                        ; implicit-def: $vgpr16_vgpr17
                                        ; implicit-def: $vgpr14_vgpr15
	s_mov_b32 s6, exec_lo
	s_delay_alu instid0(VALU_DEP_1) | instskip(NEXT) | instid1(VALU_DEP_1)
	v_dual_cndmask_b32 v55, v56, v57, s5 :: v_dual_cndmask_b32 v54, v18, v20, s5
	v_cmpx_nlt_f64_e32 s[38:39], v[54:55]
	s_xor_b32 s47, exec_lo, s6
	s_cbranch_execz .LBB42_611
; %bb.606:                              ;   in Loop: Header=BB42_417 Depth=1
	v_dual_cndmask_b32 v57, v57, v56, s5 :: v_dual_cndmask_b32 v56, v20, v18, s5
	v_cmp_nlt_f64_e32 vcc_lo, 0x20200000, v[54:55]
                                        ; implicit-def: $sgpr46
                                        ; implicit-def: $vgpr16_vgpr17
                                        ; implicit-def: $vgpr14_vgpr15
	s_delay_alu instid0(VALU_DEP_2) | instskip(SKIP_1) | instid1(SALU_CYCLE_1)
	v_cmp_ngt_f64_e64 s6, 0x20000000, v[56:57]
	s_and_b32 s6, vcc_lo, s6
	s_and_saveexec_b32 s48, s6
	s_delay_alu instid0(SALU_CYCLE_1)
	s_xor_b32 s6, exec_lo, s48
	s_cbranch_execz .LBB42_608
; %bb.607:                              ;   in Loop: Header=BB42_417 Depth=1
	v_mul_f64_e32 v[16:17], v[56:57], v[56:57]
	v_min_num_f64_e32 v[50:51], v[50:51], v[52:53]
	v_cmp_class_f64_e64 s46, v[20:21], 0x204
	v_cmp_class_f64_e64 s48, v[18:19], 0x204
	s_delay_alu instid0(VALU_DEP_4) | instskip(SKIP_2) | instid1(VALU_DEP_1)
	v_fmac_f64_e32 v[16:17], v[54:55], v[54:55]
	s_and_b32 s46, s46, s48
	s_wait_dscnt 0x0
	v_frexp_mant_f64_e32 v[14:15], v[16:17]
	s_delay_alu instid0(VALU_DEP_1) | instskip(SKIP_1) | instid1(VALU_DEP_1)
	v_cmp_gt_f64_e32 vcc_lo, s[16:17], v[14:15]
	v_cndmask_b32_e64 v54, 0, 1, vcc_lo
	v_ldexp_f64 v[14:15], v[14:15], v54
	s_delay_alu instid0(VALU_DEP_1) | instskip(SKIP_1) | instid1(VALU_DEP_2)
	v_add_f64_e32 v[54:55], 1.0, v[14:15]
	v_add_f64_e32 v[60:61], -1.0, v[14:15]
	v_rcp_f64_e32 v[56:57], v[54:55]
	v_add_f64_e32 v[62:63], -1.0, v[54:55]
	s_delay_alu instid0(VALU_DEP_1) | instskip(NEXT) | instid1(TRANS32_DEP_1)
	v_add_f64_e64 v[14:15], v[14:15], -v[62:63]
	v_fma_f64 v[58:59], -v[54:55], v[56:57], 1.0
	s_delay_alu instid0(VALU_DEP_1) | instskip(NEXT) | instid1(VALU_DEP_1)
	v_fmac_f64_e32 v[56:57], v[58:59], v[56:57]
	v_fma_f64 v[58:59], -v[54:55], v[56:57], 1.0
	s_delay_alu instid0(VALU_DEP_1) | instskip(NEXT) | instid1(VALU_DEP_1)
	v_fmac_f64_e32 v[56:57], v[58:59], v[56:57]
	v_mul_f64_e32 v[58:59], v[60:61], v[56:57]
	s_delay_alu instid0(VALU_DEP_1) | instskip(NEXT) | instid1(VALU_DEP_1)
	v_mul_f64_e32 v[68:69], v[54:55], v[58:59]
	v_fma_f64 v[54:55], v[58:59], v[54:55], -v[68:69]
	s_delay_alu instid0(VALU_DEP_1) | instskip(NEXT) | instid1(VALU_DEP_1)
	v_fmac_f64_e32 v[54:55], v[58:59], v[14:15]
	v_add_f64_e32 v[14:15], v[68:69], v[54:55]
	s_delay_alu instid0(VALU_DEP_1) | instskip(SKIP_1) | instid1(VALU_DEP_2)
	v_add_f64_e64 v[62:63], v[60:61], -v[14:15]
	v_add_f64_e64 v[68:69], v[14:15], -v[68:69]
	;; [unrolled: 1-line block ×3, first 2 shown]
	s_delay_alu instid0(VALU_DEP_2) | instskip(NEXT) | instid1(VALU_DEP_2)
	v_add_f64_e64 v[54:55], v[68:69], -v[54:55]
	v_add_f64_e64 v[14:15], v[60:61], -v[14:15]
	s_delay_alu instid0(VALU_DEP_1) | instskip(NEXT) | instid1(VALU_DEP_1)
	v_add_f64_e32 v[14:15], v[54:55], v[14:15]
	v_add_f64_e32 v[14:15], v[62:63], v[14:15]
	s_delay_alu instid0(VALU_DEP_1) | instskip(NEXT) | instid1(VALU_DEP_1)
	v_mul_f64_e32 v[14:15], v[56:57], v[14:15]
	v_add_f64_e32 v[54:55], v[58:59], v[14:15]
	s_delay_alu instid0(VALU_DEP_1) | instskip(SKIP_1) | instid1(VALU_DEP_2)
	v_mul_f64_e32 v[56:57], v[54:55], v[54:55]
	v_ldexp_f64 v[52:53], v[54:55], 1
	v_fmamk_f64 v[60:61], v[56:57], 0x3fc3ab76bf559e2b, v[32:33]
	v_mul_f64_e32 v[62:63], v[54:55], v[56:57]
	v_add_f64_e64 v[54:55], v[54:55], -v[58:59]
	s_delay_alu instid0(VALU_DEP_3) | instskip(NEXT) | instid1(VALU_DEP_1)
	v_fmaak_f64 v[60:61], v[56:57], v[60:61], 0x3fc7474dd7f4df2e
	v_fmaak_f64 v[60:61], v[56:57], v[60:61], 0x3fcc71c016291751
	s_delay_alu instid0(VALU_DEP_1) | instskip(NEXT) | instid1(VALU_DEP_1)
	v_fmaak_f64 v[60:61], v[56:57], v[60:61], 0x3fd249249b27acf1
	v_fmaak_f64 v[60:61], v[56:57], v[60:61], 0x3fd99999998ef7b6
	v_add_f64_e64 v[14:15], v[14:15], -v[54:55]
	s_delay_alu instid0(VALU_DEP_2) | instskip(SKIP_1) | instid1(VALU_DEP_2)
	v_fmaak_f64 v[56:57], v[56:57], v[60:61], 0x3fe5555555555780
	v_frexp_exp_i32_f64_e32 v60, v[16:17]
	v_mul_f64_e32 v[56:57], v[62:63], v[56:57]
	s_delay_alu instid0(VALU_DEP_4) | instskip(NEXT) | instid1(VALU_DEP_3)
	v_ldexp_f64 v[14:15], v[14:15], 1
	v_subrev_co_ci_u32_e64 v62, null, 0, v60, vcc_lo
	v_div_scale_f64 v[60:61], null, v[48:49], v[48:49], v[50:51]
	v_div_scale_f64 v[74:75], vcc_lo, v[50:51], v[48:49], v[50:51]
	s_delay_alu instid0(VALU_DEP_3) | instskip(SKIP_1) | instid1(VALU_DEP_4)
	v_cvt_f64_i32_e32 v[62:63], v62
	v_add_f64_e32 v[58:59], v[52:53], v[56:57]
	v_rcp_f64_e32 v[68:69], v[60:61]
	s_delay_alu instid0(VALU_DEP_2) | instskip(NEXT) | instid1(VALU_DEP_2)
	v_mul_f64_e32 v[70:71], 0x3fe62e42fefa39ef, v[62:63]
	v_add_f64_e64 v[52:53], v[58:59], -v[52:53]
	s_delay_alu instid0(VALU_DEP_2) | instskip(NEXT) | instid1(VALU_DEP_2)
	v_fma_f64 v[54:55], v[62:63], s[22:23], -v[70:71]
	v_add_f64_e64 v[52:53], v[56:57], -v[52:53]
	s_delay_alu instid0(TRANS32_DEP_1) | instskip(NEXT) | instid1(VALU_DEP_3)
	v_fma_f64 v[56:57], -v[60:61], v[68:69], 1.0
	v_fmac_f64_e32 v[54:55], 0x3c7abc9e3b39803f, v[62:63]
	s_delay_alu instid0(VALU_DEP_3) | instskip(NEXT) | instid1(VALU_DEP_3)
	v_add_f64_e32 v[14:15], v[14:15], v[52:53]
	v_fmac_f64_e32 v[68:69], v[68:69], v[56:57]
	s_delay_alu instid0(VALU_DEP_3) | instskip(NEXT) | instid1(VALU_DEP_3)
	v_add_f64_e32 v[52:53], v[70:71], v[54:55]
	v_add_f64_e32 v[56:57], v[58:59], v[14:15]
	s_delay_alu instid0(VALU_DEP_3) | instskip(NEXT) | instid1(VALU_DEP_3)
	v_fma_f64 v[62:63], -v[60:61], v[68:69], 1.0
	v_add_f64_e64 v[70:71], v[52:53], -v[70:71]
	s_delay_alu instid0(VALU_DEP_3) | instskip(NEXT) | instid1(VALU_DEP_3)
	v_add_f64_e32 v[72:73], v[52:53], v[56:57]
	v_fmac_f64_e32 v[68:69], v[68:69], v[62:63]
	v_add_f64_e64 v[58:59], v[56:57], -v[58:59]
	s_delay_alu instid0(VALU_DEP_4) | instskip(NEXT) | instid1(VALU_DEP_4)
	v_add_f64_e64 v[54:55], v[54:55], -v[70:71]
	v_add_f64_e64 v[62:63], v[72:73], -v[52:53]
	s_delay_alu instid0(VALU_DEP_4) | instskip(NEXT) | instid1(VALU_DEP_4)
	v_mul_f64_e32 v[76:77], v[74:75], v[68:69]
	v_add_f64_e64 v[58:59], v[14:15], -v[58:59]
	s_delay_alu instid0(VALU_DEP_3) | instskip(NEXT) | instid1(VALU_DEP_3)
	v_add_f64_e64 v[78:79], v[72:73], -v[62:63]
	v_fma_f64 v[60:61], -v[60:61], v[76:77], v[74:75]
	v_add_f64_e64 v[14:15], v[56:57], -v[62:63]
	s_delay_alu instid0(VALU_DEP_3) | instskip(NEXT) | instid1(VALU_DEP_3)
	v_add_f64_e64 v[52:53], v[52:53], -v[78:79]
	v_div_fmas_f64 v[56:57], v[60:61], v[68:69], v[76:77]
	v_add_f64_e32 v[60:61], v[54:55], v[58:59]
	v_cmp_class_f64_e64 vcc_lo, v[16:17], 0x204
	s_delay_alu instid0(VALU_DEP_4) | instskip(NEXT) | instid1(VALU_DEP_4)
	v_add_f64_e32 v[52:53], v[14:15], v[52:53]
	v_div_fixup_f64 v[14:15], v[56:57], v[48:49], v[50:51]
	s_delay_alu instid0(VALU_DEP_4) | instskip(NEXT) | instid1(VALU_DEP_3)
	v_add_f64_e64 v[48:49], v[60:61], -v[54:55]
	v_add_f64_e32 v[50:51], v[60:61], v[52:53]
	s_delay_alu instid0(VALU_DEP_3) | instskip(NEXT) | instid1(VALU_DEP_3)
	v_mul_f64_e32 v[52:53], v[14:15], v[14:15]
	v_add_f64_e64 v[56:57], v[60:61], -v[48:49]
	v_add_f64_e64 v[48:49], v[58:59], -v[48:49]
	s_delay_alu instid0(VALU_DEP_4) | instskip(NEXT) | instid1(VALU_DEP_4)
	v_add_f64_e32 v[60:61], v[72:73], v[50:51]
	v_fmamk_f64 v[62:63], v[52:53], 0x3eeba404b5e68a13, v[36:37]
	s_delay_alu instid0(VALU_DEP_4) | instskip(NEXT) | instid1(VALU_DEP_2)
	v_add_f64_e64 v[54:55], v[54:55], -v[56:57]
	v_fmaak_f64 v[62:63], v[52:53], v[62:63], 0x3f4b2bb069efb384
	s_delay_alu instid0(VALU_DEP_1) | instskip(NEXT) | instid1(VALU_DEP_1)
	v_fmaak_f64 v[62:63], v[52:53], v[62:63], 0xbf67952daf56de9b
	v_fmaak_f64 v[62:63], v[52:53], v[62:63], 0x3f7d6d43a595c56f
	s_delay_alu instid0(VALU_DEP_1) | instskip(SKIP_2) | instid1(VALU_DEP_3)
	v_fmaak_f64 v[58:59], v[52:53], v[62:63], 0xbf8c6ea4a57d9582
	v_add_f64_e64 v[56:57], v[60:61], -v[72:73]
	v_add_f64_e32 v[48:49], v[48:49], v[54:55]
	v_fmaak_f64 v[58:59], v[52:53], v[58:59], 0x3f967e295f08b19f
	s_delay_alu instid0(VALU_DEP_1) | instskip(NEXT) | instid1(VALU_DEP_1)
	v_fmaak_f64 v[58:59], v[52:53], v[58:59], 0xbf9e9ae6fc27006a
	v_fmaak_f64 v[58:59], v[52:53], v[58:59], 0x3fa2c15b5711927a
	s_delay_alu instid0(VALU_DEP_1) | instskip(NEXT) | instid1(VALU_DEP_1)
	v_fmaak_f64 v[58:59], v[52:53], v[58:59], 0xbfa59976e82d3ff0
	v_fmaak_f64 v[54:55], v[52:53], v[58:59], 0x3fa82d5d6ef28734
	v_add_f64_e64 v[50:51], v[50:51], -v[56:57]
	s_delay_alu instid0(VALU_DEP_2) | instskip(NEXT) | instid1(VALU_DEP_1)
	v_fmaak_f64 v[54:55], v[52:53], v[54:55], 0xbfaae5ce6a214619
	v_fmaak_f64 v[54:55], v[52:53], v[54:55], 0x3fae1bb48427b883
	s_delay_alu instid0(VALU_DEP_1) | instskip(NEXT) | instid1(VALU_DEP_4)
	v_fmaak_f64 v[54:55], v[52:53], v[54:55], 0xbfb110e48b207f05
	v_add_f64_e32 v[48:49], v[48:49], v[50:51]
	s_delay_alu instid0(VALU_DEP_2) | instskip(NEXT) | instid1(VALU_DEP_1)
	v_fmaak_f64 v[50:51], v[52:53], v[54:55], 0x3fb3b13657b87036
	v_fmaak_f64 v[50:51], v[52:53], v[50:51], 0xbfb745d119378e4f
	s_delay_alu instid0(VALU_DEP_1) | instskip(NEXT) | instid1(VALU_DEP_1)
	v_fmaak_f64 v[50:51], v[52:53], v[50:51], 0x3fbc71c717e1913c
	v_fmaak_f64 v[50:51], v[52:53], v[50:51], 0xbfc2492492376b7d
	s_delay_alu instid0(VALU_DEP_1) | instskip(SKIP_1) | instid1(VALU_DEP_2)
	v_fmaak_f64 v[50:51], v[52:53], v[50:51], 0x3fc99999999952cc
	v_add_f64_e32 v[48:49], v[60:61], v[48:49]
	v_fmaak_f64 v[50:51], v[52:53], v[50:51], 0xbfd5555555555523
	s_delay_alu instid0(VALU_DEP_1) | instskip(NEXT) | instid1(VALU_DEP_3)
	v_mul_f64_e32 v[50:51], v[52:53], v[50:51]
                                        ; implicit-def: $vgpr52_vgpr53
	v_dual_cndmask_b32 v49, v49, v17 :: v_dual_cndmask_b32 v48, v48, v16
	v_cmp_neq_f64_e32 vcc_lo, 0, v[16:17]
	s_delay_alu instid0(VALU_DEP_2) | instskip(NEXT) | instid1(VALU_DEP_4)
	v_mul_f64_e32 v[48:49], 0.5, v[48:49]
	v_fmac_f64_e32 v[14:15], v[14:15], v[50:51]
                                        ; implicit-def: $vgpr50_vgpr51
	s_delay_alu instid0(VALU_DEP_2) | instskip(NEXT) | instid1(VALU_DEP_3)
	v_cndmask_b32_e32 v17, 0xfff00000, v49, vcc_lo
	v_cndmask_b32_e32 v16, 0, v48, vcc_lo
                                        ; implicit-def: $vgpr48_vgpr49
.LBB42_608:                             ;   in Loop: Header=BB42_417 Depth=1
	s_and_not1_saveexec_b32 s6, s6
	s_cbranch_execz .LBB42_610
; %bb.609:                              ;   in Loop: Header=BB42_417 Depth=1
	v_frexp_exp_i32_f64_e32 v58, v[48:49]
	v_cmp_class_f64_e64 s48, v[18:19], 0x204
	v_cmp_class_f64_e64 s49, v[20:21], 0x204
	v_min_num_f64_e32 v[50:51], v[50:51], v[52:53]
	s_and_not1_b32 s46, s46, exec_lo
	v_sub_nc_u32_e32 v16, 0, v58
	s_or_b32 s50, s49, s48
	s_and_b32 s48, s49, s48
	s_delay_alu instid0(SALU_CYCLE_1) | instskip(SKIP_4) | instid1(VALU_DEP_2)
	s_and_b32 s48, s48, exec_lo
	s_wait_dscnt 0x0
	v_ldexp_f64 v[14:15], |v[20:21]|, v16
	v_ldexp_f64 v[16:17], |v[18:19]|, v16
	s_or_b32 s46, s46, s48
	v_mul_f64_e32 v[14:15], v[14:15], v[14:15]
	s_delay_alu instid0(VALU_DEP_1) | instskip(NEXT) | instid1(VALU_DEP_1)
	v_fmac_f64_e32 v[14:15], v[16:17], v[16:17]
	v_rsq_f64_e32 v[16:17], v[14:15]
	v_cmp_eq_f64_e32 vcc_lo, 0, v[14:15]
	s_delay_alu instid0(TRANS32_DEP_1) | instskip(SKIP_1) | instid1(VALU_DEP_1)
	v_mul_f64_e32 v[54:55], v[14:15], v[16:17]
	v_mul_f64_e32 v[16:17], 0.5, v[16:17]
	v_fma_f64 v[56:57], -v[16:17], v[54:55], 0.5
	s_delay_alu instid0(VALU_DEP_1) | instskip(SKIP_1) | instid1(VALU_DEP_2)
	v_fmac_f64_e32 v[54:55], v[54:55], v[56:57]
	v_fmac_f64_e32 v[16:17], v[16:17], v[56:57]
	v_fma_f64 v[56:57], -v[54:55], v[54:55], v[14:15]
	s_delay_alu instid0(VALU_DEP_1) | instskip(NEXT) | instid1(VALU_DEP_1)
	v_fmac_f64_e32 v[54:55], v[56:57], v[16:17]
	v_dual_cndmask_b32 v15, v55, v15 :: v_dual_cndmask_b32 v14, v54, v14
	s_delay_alu instid0(VALU_DEP_1) | instskip(NEXT) | instid1(VALU_DEP_1)
	v_ldexp_f64 v[14:15], v[14:15], v58
	v_cndmask_b32_e64 v55, v15, 0x7ff00000, s50
	s_delay_alu instid0(VALU_DEP_2) | instskip(NEXT) | instid1(VALU_DEP_1)
	v_cndmask_b32_e64 v54, v14, 0, s50
	v_frexp_mant_f64_e32 v[14:15], v[54:55]
	v_frexp_exp_i32_f64_e32 v67, v[54:55]
	s_delay_alu instid0(VALU_DEP_2) | instskip(SKIP_1) | instid1(VALU_DEP_1)
	v_cmp_gt_f64_e32 vcc_lo, s[16:17], v[14:15]
	v_cndmask_b32_e64 v16, 0, 1, vcc_lo
	v_ldexp_f64 v[14:15], v[14:15], v16
	s_delay_alu instid0(VALU_DEP_1) | instskip(SKIP_1) | instid1(VALU_DEP_2)
	v_add_f64_e32 v[16:17], 1.0, v[14:15]
	v_add_f64_e32 v[60:61], -1.0, v[14:15]
	v_rcp_f64_e32 v[56:57], v[16:17]
	v_add_f64_e32 v[62:63], -1.0, v[16:17]
	s_delay_alu instid0(VALU_DEP_1) | instskip(NEXT) | instid1(TRANS32_DEP_1)
	v_add_f64_e64 v[14:15], v[14:15], -v[62:63]
	v_fma_f64 v[58:59], -v[16:17], v[56:57], 1.0
	s_delay_alu instid0(VALU_DEP_1) | instskip(NEXT) | instid1(VALU_DEP_1)
	v_fmac_f64_e32 v[56:57], v[58:59], v[56:57]
	v_fma_f64 v[58:59], -v[16:17], v[56:57], 1.0
	s_delay_alu instid0(VALU_DEP_1) | instskip(NEXT) | instid1(VALU_DEP_1)
	v_fmac_f64_e32 v[56:57], v[58:59], v[56:57]
	v_mul_f64_e32 v[58:59], v[60:61], v[56:57]
	s_delay_alu instid0(VALU_DEP_1) | instskip(NEXT) | instid1(VALU_DEP_1)
	v_mul_f64_e32 v[68:69], v[16:17], v[58:59]
	v_fma_f64 v[16:17], v[58:59], v[16:17], -v[68:69]
	s_delay_alu instid0(VALU_DEP_1) | instskip(NEXT) | instid1(VALU_DEP_1)
	v_fmac_f64_e32 v[16:17], v[58:59], v[14:15]
	v_add_f64_e32 v[14:15], v[68:69], v[16:17]
	s_delay_alu instid0(VALU_DEP_1) | instskip(SKIP_1) | instid1(VALU_DEP_2)
	v_add_f64_e64 v[62:63], v[60:61], -v[14:15]
	v_add_f64_e64 v[68:69], v[14:15], -v[68:69]
	;; [unrolled: 1-line block ×3, first 2 shown]
	s_delay_alu instid0(VALU_DEP_2) | instskip(NEXT) | instid1(VALU_DEP_2)
	v_add_f64_e64 v[16:17], v[68:69], -v[16:17]
	v_add_f64_e64 v[14:15], v[60:61], -v[14:15]
	s_delay_alu instid0(VALU_DEP_1) | instskip(NEXT) | instid1(VALU_DEP_1)
	v_add_f64_e32 v[14:15], v[16:17], v[14:15]
	v_add_f64_e32 v[14:15], v[62:63], v[14:15]
	s_delay_alu instid0(VALU_DEP_1) | instskip(NEXT) | instid1(VALU_DEP_1)
	v_mul_f64_e32 v[14:15], v[56:57], v[14:15]
	v_add_f64_e32 v[16:17], v[58:59], v[14:15]
	s_delay_alu instid0(VALU_DEP_1) | instskip(NEXT) | instid1(VALU_DEP_1)
	v_mul_f64_e32 v[56:57], v[16:17], v[16:17]
	v_fmamk_f64 v[60:61], v[56:57], 0x3fc3ab76bf559e2b, v[32:33]
	v_mul_f64_e32 v[62:63], v[16:17], v[56:57]
	s_delay_alu instid0(VALU_DEP_2) | instskip(NEXT) | instid1(VALU_DEP_1)
	v_fmaak_f64 v[60:61], v[56:57], v[60:61], 0x3fc7474dd7f4df2e
	v_fmaak_f64 v[52:53], v[56:57], v[60:61], 0x3fcc71c016291751
	v_div_scale_f64 v[60:61], null, v[48:49], v[48:49], v[50:51]
	s_delay_alu instid0(VALU_DEP_2) | instskip(NEXT) | instid1(VALU_DEP_1)
	v_fmaak_f64 v[52:53], v[56:57], v[52:53], 0x3fd249249b27acf1
	v_fmaak_f64 v[52:53], v[56:57], v[52:53], 0x3fd99999998ef7b6
	s_delay_alu instid0(VALU_DEP_1) | instskip(SKIP_2) | instid1(VALU_DEP_3)
	v_fmaak_f64 v[52:53], v[56:57], v[52:53], 0x3fe5555555555780
	v_ldexp_f64 v[56:57], v[16:17], 1
	v_add_f64_e64 v[16:17], v[16:17], -v[58:59]
	v_mul_f64_e32 v[52:53], v[62:63], v[52:53]
	v_subrev_co_ci_u32_e64 v62, null, 0, v67, vcc_lo
	v_rcp_f64_e32 v[68:69], v[60:61]
	s_delay_alu instid0(VALU_DEP_1) | instskip(NEXT) | instid1(VALU_DEP_4)
	v_cvt_f64_i32_e32 v[62:63], v62
	v_add_f64_e64 v[14:15], v[14:15], -v[16:17]
	s_delay_alu instid0(VALU_DEP_4) | instskip(NEXT) | instid1(VALU_DEP_3)
	v_add_f64_e32 v[58:59], v[56:57], v[52:53]
	v_mul_f64_e32 v[70:71], 0x3fe62e42fefa39ef, v[62:63]
	s_delay_alu instid0(VALU_DEP_3) | instskip(NEXT) | instid1(VALU_DEP_3)
	v_ldexp_f64 v[14:15], v[14:15], 1
	v_add_f64_e64 v[16:17], v[58:59], -v[56:57]
	s_delay_alu instid0(TRANS32_DEP_1) | instskip(NEXT) | instid1(VALU_DEP_4)
	v_fma_f64 v[56:57], -v[60:61], v[68:69], 1.0
	v_fma_f64 v[72:73], v[62:63], s[22:23], -v[70:71]
	s_delay_alu instid0(VALU_DEP_3) | instskip(NEXT) | instid1(VALU_DEP_3)
	v_add_f64_e64 v[16:17], v[52:53], -v[16:17]
	v_fmac_f64_e32 v[68:69], v[68:69], v[56:57]
	s_delay_alu instid0(VALU_DEP_3) | instskip(SKIP_1) | instid1(VALU_DEP_4)
	v_fmac_f64_e32 v[72:73], 0x3c7abc9e3b39803f, v[62:63]
	v_div_scale_f64 v[62:63], vcc_lo, v[50:51], v[48:49], v[50:51]
	v_add_f64_e32 v[14:15], v[14:15], v[16:17]
	s_delay_alu instid0(VALU_DEP_4) | instskip(NEXT) | instid1(VALU_DEP_4)
	v_fma_f64 v[16:17], -v[60:61], v[68:69], 1.0
	v_add_f64_e32 v[52:53], v[70:71], v[72:73]
	s_delay_alu instid0(VALU_DEP_3) | instskip(NEXT) | instid1(VALU_DEP_3)
	v_add_f64_e32 v[56:57], v[58:59], v[14:15]
	v_fmac_f64_e32 v[68:69], v[68:69], v[16:17]
	s_delay_alu instid0(VALU_DEP_2) | instskip(NEXT) | instid1(VALU_DEP_2)
	v_add_f64_e32 v[16:17], v[52:53], v[56:57]
	v_mul_f64_e32 v[74:75], v[62:63], v[68:69]
	v_add_f64_e64 v[58:59], v[56:57], -v[58:59]
	s_delay_alu instid0(VALU_DEP_3) | instskip(NEXT) | instid1(VALU_DEP_3)
	v_add_f64_e64 v[76:77], v[16:17], -v[52:53]
	v_fma_f64 v[60:61], -v[60:61], v[74:75], v[62:63]
	v_add_f64_e64 v[62:63], v[52:53], -v[70:71]
	s_delay_alu instid0(VALU_DEP_4) | instskip(NEXT) | instid1(VALU_DEP_4)
	v_add_f64_e64 v[58:59], v[14:15], -v[58:59]
	v_add_f64_e64 v[70:71], v[16:17], -v[76:77]
	s_delay_alu instid0(VALU_DEP_4) | instskip(NEXT) | instid1(VALU_DEP_4)
	v_div_fmas_f64 v[60:61], v[60:61], v[68:69], v[74:75]
	v_add_f64_e64 v[62:63], v[72:73], -v[62:63]
	v_add_f64_e64 v[56:57], v[56:57], -v[76:77]
	v_cmp_class_f64_e64 vcc_lo, v[54:55], 0x204
	v_add_f64_e64 v[52:53], v[52:53], -v[70:71]
	v_div_fixup_f64 v[14:15], v[60:61], v[48:49], v[50:51]
	v_add_f64_e32 v[48:49], v[62:63], v[58:59]
	s_delay_alu instid0(VALU_DEP_3) | instskip(NEXT) | instid1(VALU_DEP_3)
	v_add_f64_e32 v[50:51], v[56:57], v[52:53]
	v_mul_f64_e32 v[52:53], v[14:15], v[14:15]
	s_delay_alu instid0(VALU_DEP_3) | instskip(NEXT) | instid1(VALU_DEP_3)
	v_add_f64_e64 v[56:57], v[48:49], -v[62:63]
	v_add_f64_e32 v[50:51], v[48:49], v[50:51]
	s_delay_alu instid0(VALU_DEP_3) | instskip(NEXT) | instid1(VALU_DEP_3)
	v_fmamk_f64 v[60:61], v[52:53], 0x3eeba404b5e68a13, v[36:37]
	v_add_f64_e64 v[48:49], v[48:49], -v[56:57]
	v_add_f64_e64 v[56:57], v[58:59], -v[56:57]
	s_delay_alu instid0(VALU_DEP_3) | instskip(NEXT) | instid1(VALU_DEP_1)
	v_fmaak_f64 v[60:61], v[52:53], v[60:61], 0x3f4b2bb069efb384
	v_fmaak_f64 v[60:61], v[52:53], v[60:61], 0xbf67952daf56de9b
	s_delay_alu instid0(VALU_DEP_1) | instskip(NEXT) | instid1(VALU_DEP_1)
	v_fmaak_f64 v[60:61], v[52:53], v[60:61], 0x3f7d6d43a595c56f
	v_fmaak_f64 v[60:61], v[52:53], v[60:61], 0xbf8c6ea4a57d9582
	v_add_f64_e32 v[68:69], v[16:17], v[50:51]
	v_add_f64_e64 v[48:49], v[62:63], -v[48:49]
	s_delay_alu instid0(VALU_DEP_3) | instskip(NEXT) | instid1(VALU_DEP_1)
	v_fmaak_f64 v[60:61], v[52:53], v[60:61], 0x3f967e295f08b19f
	v_fmaak_f64 v[60:61], v[52:53], v[60:61], 0xbf9e9ae6fc27006a
	s_delay_alu instid0(VALU_DEP_1) | instskip(NEXT) | instid1(VALU_DEP_1)
	v_fmaak_f64 v[60:61], v[52:53], v[60:61], 0x3fa2c15b5711927a
	v_fmaak_f64 v[58:59], v[52:53], v[60:61], 0xbfa59976e82d3ff0
	s_delay_alu instid0(VALU_DEP_1) | instskip(SKIP_2) | instid1(VALU_DEP_3)
	v_fmaak_f64 v[58:59], v[52:53], v[58:59], 0x3fa82d5d6ef28734
	v_add_f64_e64 v[16:17], v[68:69], -v[16:17]
	v_add_f64_e32 v[48:49], v[56:57], v[48:49]
	v_fmaak_f64 v[58:59], v[52:53], v[58:59], 0xbfaae5ce6a214619
	s_delay_alu instid0(VALU_DEP_1) | instskip(NEXT) | instid1(VALU_DEP_1)
	v_fmaak_f64 v[58:59], v[52:53], v[58:59], 0x3fae1bb48427b883
	v_fmaak_f64 v[58:59], v[52:53], v[58:59], 0xbfb110e48b207f05
	v_add_f64_e64 v[16:17], v[50:51], -v[16:17]
	s_delay_alu instid0(VALU_DEP_2) | instskip(NEXT) | instid1(VALU_DEP_1)
	v_fmaak_f64 v[50:51], v[52:53], v[58:59], 0x3fb3b13657b87036
	v_fmaak_f64 v[50:51], v[52:53], v[50:51], 0xbfb745d119378e4f
	s_delay_alu instid0(VALU_DEP_1) | instskip(NEXT) | instid1(VALU_DEP_1)
	v_fmaak_f64 v[50:51], v[52:53], v[50:51], 0x3fbc71c717e1913c
	v_fmaak_f64 v[50:51], v[52:53], v[50:51], 0xbfc2492492376b7d
	v_add_f64_e32 v[16:17], v[48:49], v[16:17]
	s_delay_alu instid0(VALU_DEP_2) | instskip(NEXT) | instid1(VALU_DEP_1)
	v_fmaak_f64 v[48:49], v[52:53], v[50:51], 0x3fc99999999952cc
	v_fmaak_f64 v[48:49], v[52:53], v[48:49], 0xbfd5555555555523
	s_delay_alu instid0(VALU_DEP_1) | instskip(NEXT) | instid1(VALU_DEP_4)
	v_mul_f64_e32 v[48:49], v[52:53], v[48:49]
	v_add_f64_e32 v[16:17], v[68:69], v[16:17]
	s_delay_alu instid0(VALU_DEP_2) | instskip(NEXT) | instid1(VALU_DEP_2)
	v_fmac_f64_e32 v[14:15], v[14:15], v[48:49]
	v_dual_cndmask_b32 v16, v16, v54 :: v_dual_cndmask_b32 v17, v17, v55
	v_cmp_ngt_f64_e32 vcc_lo, 0, v[54:55]
	s_delay_alu instid0(VALU_DEP_2) | instskip(SKIP_1) | instid1(VALU_DEP_4)
	v_cndmask_b32_e32 v17, 0x7ff80000, v17, vcc_lo
	v_cmp_nge_f64_e32 vcc_lo, 0, v[54:55]
	v_cndmask_b32_e32 v16, 0, v16, vcc_lo
	v_cmp_neq_f64_e32 vcc_lo, 0, v[54:55]
	s_delay_alu instid0(VALU_DEP_4)
	v_cndmask_b32_e32 v17, 0xfff00000, v17, vcc_lo
.LBB42_610:                             ;   in Loop: Header=BB42_417 Depth=1
	s_or_b32 exec_lo, exec_lo, s6
                                        ; implicit-def: $vgpr50_vgpr51
                                        ; implicit-def: $vgpr52_vgpr53
                                        ; implicit-def: $vgpr48_vgpr49
.LBB42_611:                             ;   in Loop: Header=BB42_417 Depth=1
	s_and_not1_saveexec_b32 s47, s47
	s_cbranch_execz .LBB42_613
; %bb.612:                              ;   in Loop: Header=BB42_417 Depth=1
	s_wait_dscnt 0x0
	v_div_scale_f64 v[14:15], null, s[40:41], s[40:41], v[18:19]
	v_div_scale_f64 v[16:17], null, s[40:41], s[40:41], v[20:21]
	v_div_scale_f64 v[62:63], vcc_lo, v[18:19], s[40:41], v[18:19]
	v_min_num_f64_e32 v[50:51], v[50:51], v[52:53]
	s_and_not1_b32 s46, s46, exec_lo
	s_delay_alu instid0(VALU_DEP_4) | instskip(NEXT) | instid1(VALU_DEP_3)
	v_rcp_f64_e32 v[54:55], v[14:15]
	v_rcp_f64_e32 v[56:57], v[16:17]
	s_delay_alu instid0(TRANS32_DEP_2) | instskip(NEXT) | instid1(TRANS32_DEP_1)
	v_fma_f64 v[58:59], -v[14:15], v[54:55], 1.0
	v_fma_f64 v[60:61], -v[16:17], v[56:57], 1.0
	s_delay_alu instid0(VALU_DEP_2) | instskip(NEXT) | instid1(VALU_DEP_2)
	v_fmac_f64_e32 v[54:55], v[54:55], v[58:59]
	v_fmac_f64_e32 v[56:57], v[56:57], v[60:61]
	s_delay_alu instid0(VALU_DEP_2) | instskip(NEXT) | instid1(VALU_DEP_2)
	v_fma_f64 v[58:59], -v[14:15], v[54:55], 1.0
	v_fma_f64 v[60:61], -v[16:17], v[56:57], 1.0
	s_delay_alu instid0(VALU_DEP_2) | instskip(SKIP_1) | instid1(VALU_DEP_3)
	v_fmac_f64_e32 v[54:55], v[54:55], v[58:59]
	v_div_scale_f64 v[58:59], s6, v[20:21], s[40:41], v[20:21]
	v_fmac_f64_e32 v[56:57], v[56:57], v[60:61]
	s_delay_alu instid0(VALU_DEP_3) | instskip(NEXT) | instid1(VALU_DEP_2)
	v_mul_f64_e32 v[60:61], v[62:63], v[54:55]
	v_mul_f64_e32 v[68:69], v[58:59], v[56:57]
	s_delay_alu instid0(VALU_DEP_2) | instskip(NEXT) | instid1(VALU_DEP_2)
	v_fma_f64 v[14:15], -v[14:15], v[60:61], v[62:63]
	v_fma_f64 v[16:17], -v[16:17], v[68:69], v[58:59]
	s_delay_alu instid0(VALU_DEP_2) | instskip(SKIP_1) | instid1(VALU_DEP_2)
	v_div_fmas_f64 v[14:15], v[14:15], v[54:55], v[60:61]
	s_mov_b32 vcc_lo, s6
	v_div_fmas_f64 v[16:17], v[16:17], v[56:57], v[68:69]
	s_delay_alu instid0(VALU_DEP_2) | instskip(NEXT) | instid1(VALU_DEP_2)
	v_div_fixup_f64 v[14:15], v[14:15], s[40:41], v[18:19]
	v_div_fixup_f64 v[16:17], v[16:17], s[40:41], v[20:21]
	s_delay_alu instid0(VALU_DEP_2) | instskip(NEXT) | instid1(VALU_DEP_2)
	v_cmp_class_f64_e64 s6, v[14:15], 0x204
	v_max_num_f64_e64 v[54:55], |v[14:15]|, |v[16:17]|
	v_cmp_class_f64_e64 s48, v[16:17], 0x204
	s_delay_alu instid0(VALU_DEP_2) | instskip(SKIP_2) | instid1(VALU_DEP_2)
	v_frexp_exp_i32_f64_e32 v62, v[54:55]
	s_or_b32 s6, s48, s6
	v_cmp_class_f64_e64 s48, v[18:19], 0x204
	v_sub_nc_u32_e32 v56, 0, v62
	s_delay_alu instid0(VALU_DEP_1) | instskip(SKIP_1) | instid1(VALU_DEP_2)
	v_ldexp_f64 v[54:55], |v[16:17]|, v56
	v_ldexp_f64 v[56:57], |v[14:15]|, v56
	v_mul_f64_e32 v[54:55], v[54:55], v[54:55]
	s_delay_alu instid0(VALU_DEP_1) | instskip(NEXT) | instid1(VALU_DEP_1)
	v_fmac_f64_e32 v[54:55], v[56:57], v[56:57]
	v_rsq_f64_e32 v[56:57], v[54:55]
	v_cmp_eq_f64_e32 vcc_lo, 0, v[54:55]
	s_delay_alu instid0(TRANS32_DEP_1) | instskip(SKIP_1) | instid1(VALU_DEP_1)
	v_mul_f64_e32 v[58:59], v[54:55], v[56:57]
	v_mul_f64_e32 v[56:57], 0.5, v[56:57]
	v_fma_f64 v[60:61], -v[56:57], v[58:59], 0.5
	s_delay_alu instid0(VALU_DEP_1) | instskip(SKIP_1) | instid1(VALU_DEP_2)
	v_fmac_f64_e32 v[58:59], v[58:59], v[60:61]
	v_fmac_f64_e32 v[56:57], v[56:57], v[60:61]
	v_fma_f64 v[60:61], -v[58:59], v[58:59], v[54:55]
	s_delay_alu instid0(VALU_DEP_1) | instskip(NEXT) | instid1(VALU_DEP_1)
	v_fmac_f64_e32 v[58:59], v[60:61], v[56:57]
	v_dual_cndmask_b32 v55, v59, v55 :: v_dual_cndmask_b32 v54, v58, v54
	s_delay_alu instid0(VALU_DEP_1) | instskip(NEXT) | instid1(VALU_DEP_1)
	v_ldexp_f64 v[14:15], v[54:55], v62
	v_cndmask_b32_e64 v55, v15, 0x7ff00000, s6
	s_delay_alu instid0(VALU_DEP_2) | instskip(SKIP_1) | instid1(VALU_DEP_2)
	v_cndmask_b32_e64 v54, v14, 0, s6
	v_cmp_class_f64_e64 s6, v[20:21], 0x204
	v_frexp_mant_f64_e32 v[14:15], v[54:55]
	v_frexp_exp_i32_f64_e32 v67, v[54:55]
	s_and_b32 s6, s6, s48
	s_delay_alu instid0(SALU_CYCLE_1) | instskip(NEXT) | instid1(VALU_DEP_2)
	s_and_b32 s6, s6, exec_lo
	v_cmp_gt_f64_e32 vcc_lo, s[16:17], v[14:15]
	s_or_b32 s46, s46, s6
	v_cndmask_b32_e64 v16, 0, 1, vcc_lo
	s_delay_alu instid0(VALU_DEP_3) | instskip(SKIP_1) | instid1(VALU_DEP_3)
	v_subrev_co_ci_u32_e64 v52, null, 0, v67, vcc_lo
	v_div_scale_f64 v[74:75], vcc_lo, v[50:51], v[48:49], v[50:51]
	v_ldexp_f64 v[14:15], v[14:15], v16
	s_delay_alu instid0(VALU_DEP_3) | instskip(NEXT) | instid1(VALU_DEP_2)
	v_cvt_f64_i32_e32 v[52:53], v52
	v_add_f64_e32 v[16:17], 1.0, v[14:15]
	v_add_f64_e32 v[60:61], -1.0, v[14:15]
	s_delay_alu instid0(VALU_DEP_2) | instskip(SKIP_1) | instid1(VALU_DEP_1)
	v_rcp_f64_e32 v[56:57], v[16:17]
	v_add_f64_e32 v[62:63], -1.0, v[16:17]
	v_add_f64_e64 v[14:15], v[14:15], -v[62:63]
	s_delay_alu instid0(TRANS32_DEP_1) | instskip(NEXT) | instid1(VALU_DEP_1)
	v_fma_f64 v[58:59], -v[16:17], v[56:57], 1.0
	v_fmac_f64_e32 v[56:57], v[58:59], v[56:57]
	s_delay_alu instid0(VALU_DEP_1) | instskip(NEXT) | instid1(VALU_DEP_1)
	v_fma_f64 v[58:59], -v[16:17], v[56:57], 1.0
	v_fmac_f64_e32 v[56:57], v[58:59], v[56:57]
	s_delay_alu instid0(VALU_DEP_1) | instskip(NEXT) | instid1(VALU_DEP_1)
	v_mul_f64_e32 v[58:59], v[60:61], v[56:57]
	v_mul_f64_e32 v[68:69], v[16:17], v[58:59]
	s_delay_alu instid0(VALU_DEP_1) | instskip(NEXT) | instid1(VALU_DEP_1)
	v_fma_f64 v[16:17], v[58:59], v[16:17], -v[68:69]
	v_fmac_f64_e32 v[16:17], v[58:59], v[14:15]
	s_delay_alu instid0(VALU_DEP_1) | instskip(NEXT) | instid1(VALU_DEP_1)
	v_add_f64_e32 v[14:15], v[68:69], v[16:17]
	v_add_f64_e64 v[62:63], v[60:61], -v[14:15]
	v_add_f64_e64 v[68:69], v[14:15], -v[68:69]
	s_delay_alu instid0(VALU_DEP_2) | instskip(NEXT) | instid1(VALU_DEP_2)
	v_add_f64_e64 v[60:61], v[60:61], -v[62:63]
	v_add_f64_e64 v[16:17], v[68:69], -v[16:17]
	v_mul_f64_e32 v[68:69], 0x3fe62e42fefa39ef, v[52:53]
	s_delay_alu instid0(VALU_DEP_3) | instskip(NEXT) | instid1(VALU_DEP_2)
	v_add_f64_e64 v[14:15], v[60:61], -v[14:15]
	v_fma_f64 v[70:71], v[52:53], s[22:23], -v[68:69]
	s_delay_alu instid0(VALU_DEP_2) | instskip(NEXT) | instid1(VALU_DEP_2)
	v_add_f64_e32 v[14:15], v[16:17], v[14:15]
	v_fmac_f64_e32 v[70:71], 0x3c7abc9e3b39803f, v[52:53]
	s_delay_alu instid0(VALU_DEP_2) | instskip(NEXT) | instid1(VALU_DEP_1)
	v_add_f64_e32 v[14:15], v[62:63], v[14:15]
	v_mul_f64_e32 v[14:15], v[56:57], v[14:15]
	s_delay_alu instid0(VALU_DEP_1) | instskip(NEXT) | instid1(VALU_DEP_1)
	v_add_f64_e32 v[16:17], v[58:59], v[14:15]
	v_mul_f64_e32 v[56:57], v[16:17], v[16:17]
	s_delay_alu instid0(VALU_DEP_1) | instskip(SKIP_1) | instid1(VALU_DEP_2)
	v_fmamk_f64 v[60:61], v[56:57], 0x3fc3ab76bf559e2b, v[32:33]
	v_mul_f64_e32 v[62:63], v[16:17], v[56:57]
	v_fmaak_f64 v[60:61], v[56:57], v[60:61], 0x3fc7474dd7f4df2e
	s_delay_alu instid0(VALU_DEP_1) | instskip(NEXT) | instid1(VALU_DEP_1)
	v_fmaak_f64 v[60:61], v[56:57], v[60:61], 0x3fcc71c016291751
	v_fmaak_f64 v[60:61], v[56:57], v[60:61], 0x3fd249249b27acf1
	s_delay_alu instid0(VALU_DEP_1) | instskip(NEXT) | instid1(VALU_DEP_1)
	v_fmaak_f64 v[60:61], v[56:57], v[60:61], 0x3fd99999998ef7b6
	v_fmaak_f64 v[56:57], v[56:57], v[60:61], 0x3fe5555555555780
	v_ldexp_f64 v[60:61], v[16:17], 1
	v_add_f64_e64 v[16:17], v[16:17], -v[58:59]
	s_delay_alu instid0(VALU_DEP_3) | instskip(SKIP_1) | instid1(VALU_DEP_3)
	v_mul_f64_e32 v[56:57], v[62:63], v[56:57]
	v_div_scale_f64 v[62:63], null, v[48:49], v[48:49], v[50:51]
	v_add_f64_e64 v[14:15], v[14:15], -v[16:17]
	s_delay_alu instid0(VALU_DEP_3) | instskip(NEXT) | instid1(VALU_DEP_2)
	v_add_f64_e32 v[58:59], v[60:61], v[56:57]
	v_ldexp_f64 v[14:15], v[14:15], 1
	s_delay_alu instid0(VALU_DEP_2) | instskip(SKIP_1) | instid1(VALU_DEP_1)
	v_add_f64_e64 v[16:17], v[58:59], -v[60:61]
	v_rcp_f64_e32 v[60:61], v[62:63]
	v_add_f64_e64 v[16:17], v[56:57], -v[16:17]
	s_delay_alu instid0(TRANS32_DEP_1) | instskip(NEXT) | instid1(VALU_DEP_2)
	v_fma_f64 v[56:57], -v[62:63], v[60:61], 1.0
	v_add_f64_e32 v[14:15], v[14:15], v[16:17]
	v_add_f64_e32 v[16:17], v[68:69], v[70:71]
	s_delay_alu instid0(VALU_DEP_3) | instskip(NEXT) | instid1(VALU_DEP_3)
	v_fmac_f64_e32 v[60:61], v[60:61], v[56:57]
	v_add_f64_e32 v[52:53], v[58:59], v[14:15]
	s_delay_alu instid0(VALU_DEP_3) | instskip(NEXT) | instid1(VALU_DEP_3)
	v_add_f64_e64 v[68:69], v[16:17], -v[68:69]
	v_fma_f64 v[56:57], -v[62:63], v[60:61], 1.0
	s_delay_alu instid0(VALU_DEP_3) | instskip(SKIP_1) | instid1(VALU_DEP_4)
	v_add_f64_e32 v[72:73], v[16:17], v[52:53]
	v_add_f64_e64 v[58:59], v[52:53], -v[58:59]
	v_add_f64_e64 v[68:69], v[70:71], -v[68:69]
	s_delay_alu instid0(VALU_DEP_4) | instskip(NEXT) | instid1(VALU_DEP_4)
	v_fmac_f64_e32 v[60:61], v[60:61], v[56:57]
	v_add_f64_e64 v[56:57], v[72:73], -v[16:17]
	s_delay_alu instid0(VALU_DEP_4) | instskip(NEXT) | instid1(VALU_DEP_3)
	v_add_f64_e64 v[58:59], v[14:15], -v[58:59]
	v_mul_f64_e32 v[76:77], v[74:75], v[60:61]
	s_delay_alu instid0(VALU_DEP_3) | instskip(SKIP_1) | instid1(VALU_DEP_4)
	v_add_f64_e64 v[78:79], v[72:73], -v[56:57]
	v_add_f64_e64 v[14:15], v[52:53], -v[56:57]
	v_add_f64_e32 v[56:57], v[68:69], v[58:59]
	s_delay_alu instid0(VALU_DEP_4) | instskip(NEXT) | instid1(VALU_DEP_4)
	v_fma_f64 v[62:63], -v[62:63], v[76:77], v[74:75]
	v_add_f64_e64 v[16:17], v[16:17], -v[78:79]
	s_delay_alu instid0(VALU_DEP_2) | instskip(SKIP_1) | instid1(VALU_DEP_3)
	v_div_fmas_f64 v[52:53], v[62:63], v[60:61], v[76:77]
	v_cmp_class_f64_e64 vcc_lo, v[54:55], 0x204
	v_add_f64_e32 v[16:17], v[14:15], v[16:17]
	s_delay_alu instid0(VALU_DEP_3) | instskip(SKIP_1) | instid1(VALU_DEP_3)
	v_div_fixup_f64 v[14:15], v[52:53], v[48:49], v[50:51]
	v_add_f64_e64 v[48:49], v[56:57], -v[68:69]
	v_add_f64_e32 v[16:17], v[56:57], v[16:17]
	s_delay_alu instid0(VALU_DEP_3) | instskip(NEXT) | instid1(VALU_DEP_3)
	v_mul_f64_e32 v[50:51], v[14:15], v[14:15]
	v_add_f64_e64 v[52:53], v[56:57], -v[48:49]
	v_add_f64_e64 v[48:49], v[58:59], -v[48:49]
	s_delay_alu instid0(VALU_DEP_4) | instskip(NEXT) | instid1(VALU_DEP_4)
	v_add_f64_e32 v[56:57], v[72:73], v[16:17]
	v_fmamk_f64 v[60:61], v[50:51], 0x3eeba404b5e68a13, v[36:37]
	s_delay_alu instid0(VALU_DEP_4) | instskip(NEXT) | instid1(VALU_DEP_2)
	v_add_f64_e64 v[52:53], v[68:69], -v[52:53]
	v_fmaak_f64 v[60:61], v[50:51], v[60:61], 0x3f4b2bb069efb384
	s_delay_alu instid0(VALU_DEP_1) | instskip(NEXT) | instid1(VALU_DEP_1)
	v_fmaak_f64 v[60:61], v[50:51], v[60:61], 0xbf67952daf56de9b
	v_fmaak_f64 v[60:61], v[50:51], v[60:61], 0x3f7d6d43a595c56f
	v_add_f64_e64 v[58:59], v[56:57], -v[72:73]
	s_delay_alu instid0(VALU_DEP_2) | instskip(SKIP_1) | instid1(VALU_DEP_2)
	v_fmaak_f64 v[60:61], v[50:51], v[60:61], 0xbf8c6ea4a57d9582
	v_add_f64_e32 v[48:49], v[48:49], v[52:53]
	v_fmaak_f64 v[60:61], v[50:51], v[60:61], 0x3f967e295f08b19f
	s_delay_alu instid0(VALU_DEP_1) | instskip(NEXT) | instid1(VALU_DEP_1)
	v_fmaak_f64 v[60:61], v[50:51], v[60:61], 0xbf9e9ae6fc27006a
	v_fmaak_f64 v[60:61], v[50:51], v[60:61], 0x3fa2c15b5711927a
	s_delay_alu instid0(VALU_DEP_1) | instskip(SKIP_1) | instid1(VALU_DEP_2)
	v_fmaak_f64 v[52:53], v[50:51], v[60:61], 0xbfa59976e82d3ff0
	v_add_f64_e64 v[16:17], v[16:17], -v[58:59]
	v_fmaak_f64 v[52:53], v[50:51], v[52:53], 0x3fa82d5d6ef28734
	s_delay_alu instid0(VALU_DEP_1) | instskip(NEXT) | instid1(VALU_DEP_1)
	v_fmaak_f64 v[52:53], v[50:51], v[52:53], 0xbfaae5ce6a214619
	v_fmaak_f64 v[52:53], v[50:51], v[52:53], 0x3fae1bb48427b883
	s_delay_alu instid0(VALU_DEP_1) | instskip(SKIP_1) | instid1(VALU_DEP_2)
	v_fmaak_f64 v[52:53], v[50:51], v[52:53], 0xbfb110e48b207f05
	v_add_f64_e32 v[16:17], v[48:49], v[16:17]
	v_fmaak_f64 v[48:49], v[50:51], v[52:53], 0x3fb3b13657b87036
	s_delay_alu instid0(VALU_DEP_1) | instskip(NEXT) | instid1(VALU_DEP_1)
	v_fmaak_f64 v[48:49], v[50:51], v[48:49], 0xbfb745d119378e4f
	v_fmaak_f64 v[48:49], v[50:51], v[48:49], 0x3fbc71c717e1913c
	s_delay_alu instid0(VALU_DEP_1) | instskip(NEXT) | instid1(VALU_DEP_1)
	v_fmaak_f64 v[48:49], v[50:51], v[48:49], 0xbfc2492492376b7d
	v_fmaak_f64 v[48:49], v[50:51], v[48:49], 0x3fc99999999952cc
	v_add_f64_e32 v[16:17], v[56:57], v[16:17]
	s_delay_alu instid0(VALU_DEP_2) | instskip(NEXT) | instid1(VALU_DEP_1)
	v_fmaak_f64 v[48:49], v[50:51], v[48:49], 0xbfd5555555555523
	v_dual_mul_f64 v[48:49], v[50:51], v[48:49] :: v_dual_cndmask_b32 v17, v17, v55, vcc_lo
	s_delay_alu instid0(VALU_DEP_3) | instskip(SKIP_1) | instid1(VALU_DEP_2)
	v_cndmask_b32_e32 v16, v16, v54, vcc_lo
	v_cmp_ngt_f64_e32 vcc_lo, 0, v[54:55]
	v_add_f64_e32 v[16:17], 1.0, v[16:17]
	s_delay_alu instid0(VALU_DEP_4) | instskip(NEXT) | instid1(VALU_DEP_2)
	v_fmac_f64_e32 v[14:15], v[14:15], v[48:49]
	v_cndmask_b32_e32 v17, 0x7ff80000, v17, vcc_lo
	v_cmp_nge_f64_e32 vcc_lo, 0, v[54:55]
	s_delay_alu instid0(VALU_DEP_4) | instskip(SKIP_1) | instid1(VALU_DEP_4)
	v_cndmask_b32_e32 v16, 0, v16, vcc_lo
	v_cmp_neq_f64_e32 vcc_lo, 0, v[54:55]
	v_cndmask_b32_e32 v17, 0xfff00000, v17, vcc_lo
.LBB42_613:                             ;   in Loop: Header=BB42_417 Depth=1
	s_or_b32 exec_lo, exec_lo, s47
	s_wait_dscnt 0x0
	s_delay_alu instid0(VALU_DEP_3) | instskip(NEXT) | instid1(VALU_DEP_2)
	v_add_f64_e64 v[48:49], -v[14:15], s[34:35]
	v_add_f64_e32 v[16:17], 0x3fe62e42fefa39ef, v[16:17]
	v_cmp_gt_i32_e32 vcc_lo, 0, v19
	v_dual_cndmask_b32 v19, 0x54442d18, v65 :: v_dual_ashrrev_i32 v18, 31, v19
	s_delay_alu instid0(VALU_DEP_1) | instskip(SKIP_4) | instid1(VALU_DEP_3)
	v_and_b32_e32 v50, 0x54442d18, v18
	v_and_b32_e32 v18, 0x400921fb, v18
	v_dual_cndmask_b32 v15, v15, v49, s5 :: v_dual_cndmask_b32 v14, v14, v48, s5
	v_cmp_eq_f64_e64 s5, 0, v[20:21]
	v_cndmask_b32_e32 v20, 0x3fe921fb, v66, vcc_lo
	v_add_f64_e64 v[48:49], -v[14:15], s[36:37]
	s_delay_alu instid0(VALU_DEP_2) | instskip(NEXT) | instid1(VALU_DEP_2)
	v_bfi_b32 v20, 0x7fffffff, v20, v21
	v_dual_cndmask_b32 v14, v14, v48 :: v_dual_cndmask_b32 v15, v15, v49
	s_delay_alu instid0(VALU_DEP_1) | instskip(NEXT) | instid1(VALU_DEP_2)
	v_cndmask_b32_e64 v15, v15, v18, s5
	v_cndmask_b32_e64 v14, v14, v50, s5
	v_xor_b32_e32 v18, 0x80000000, v17
	s_delay_alu instid0(VALU_DEP_2) | instskip(NEXT) | instid1(VALU_DEP_2)
	v_dual_cndmask_b32 v15, v15, v20, s46 :: v_dual_cndmask_b32 v14, v14, v19, s46
	v_cndmask_b32_e64 v17, v18, v17, s4
	s_delay_alu instid0(VALU_DEP_2)
	v_and_b32_e32 v15, 0x7fffffff, v15
.LBB42_614:                             ;   in Loop: Header=BB42_417 Depth=1
	s_or_b32 exec_lo, exec_lo, s33
                                        ; implicit-def: $vgpr20_vgpr21
.LBB42_615:                             ;   in Loop: Header=BB42_417 Depth=1
	s_and_not1_saveexec_b32 s4, s7
	s_cbranch_execz .LBB42_629
; %bb.616:                              ;   in Loop: Header=BB42_417 Depth=1
	v_cmp_neq_f64_e64 s5, 0x7ff00000, |v[18:19]|
                                        ; implicit-def: $vgpr16_vgpr17
	s_and_saveexec_b32 s6, s5
	s_delay_alu instid0(SALU_CYCLE_1)
	s_xor_b32 s5, exec_lo, s6
	s_cbranch_execz .LBB42_626
; %bb.617:                              ;   in Loop: Header=BB42_417 Depth=1
	v_cmp_neq_f64_e64 s6, 0x7ff00000, |v[20:21]|
	s_wait_dscnt 0x0
	v_xor_b32_e32 v17, 0x80000000, v21
	v_mov_b32_e32 v16, v20
	s_and_saveexec_b32 s7, s6
	s_delay_alu instid0(SALU_CYCLE_1)
	s_xor_b32 s6, exec_lo, s7
	s_cbranch_execz .LBB42_623
; %bb.618:                              ;   in Loop: Header=BB42_417 Depth=1
	s_mov_b32 s7, exec_lo
                                        ; implicit-def: $vgpr16_vgpr17
	v_cmpx_neq_f64_e32 0, v[18:19]
	s_xor_b32 s7, exec_lo, s7
	s_cbranch_execz .LBB42_620
; %bb.619:                              ;   in Loop: Header=BB42_417 Depth=1
	v_add_f64_e32 v[14:15], 0, v[20:21]
                                        ; implicit-def: $vgpr20_vgpr21
	s_delay_alu instid0(VALU_DEP_1)
	v_add_f64_e32 v[16:17], v[18:19], v[14:15]
.LBB42_620:                             ;   in Loop: Header=BB42_417 Depth=1
	s_or_saveexec_b32 s7, s7
	s_delay_alu instid0(VALU_DEP_1)
	v_mov_b64_e32 v[14:15], v[16:17]
	s_xor_b32 exec_lo, exec_lo, s7
	s_cbranch_execz .LBB42_622
; %bb.621:                              ;   in Loop: Header=BB42_417 Depth=1
	flat_load_b64 v[14:15], v[24:25] scope:SCOPE_SYS
	s_wait_loadcnt 0x0
	v_add_f64_e32 v[16:17], v[20:21], v[20:21]
	s_wait_dscnt 0x0
	v_add_f64_e32 v[14:15], 0x3ff921fb54442d18, v[14:15]
.LBB42_622:                             ;   in Loop: Header=BB42_417 Depth=1
	s_wait_xcnt 0x0
	s_or_b32 exec_lo, exec_lo, s7
                                        ; implicit-def: $vgpr18_vgpr19
.LBB42_623:                             ;   in Loop: Header=BB42_417 Depth=1
	s_and_not1_saveexec_b32 s6, s6
; %bb.624:                              ;   in Loop: Header=BB42_417 Depth=1
	v_add_f64_e32 v[14:15], v[18:19], v[18:19]
; %bb.625:                              ;   in Loop: Header=BB42_417 Depth=1
	s_or_b32 exec_lo, exec_lo, s6
                                        ; implicit-def: $vgpr20_vgpr21
.LBB42_626:                             ;   in Loop: Header=BB42_417 Depth=1
	s_and_not1_saveexec_b32 s5, s5
	s_cbranch_execz .LBB42_628
; %bb.627:                              ;   in Loop: Header=BB42_417 Depth=1
	s_wait_dscnt 0x0
	v_add_f64_e32 v[14:15], v[20:21], v[20:21]
	v_mov_b64_e32 v[16:17], 0xfff0000000000000
.LBB42_628:                             ;   in Loop: Header=BB42_417 Depth=1
	s_or_b32 exec_lo, exec_lo, s5
.LBB42_629:                             ;   in Loop: Header=BB42_417 Depth=1
	s_delay_alu instid0(SALU_CYCLE_1)
	s_or_b32 exec_lo, exec_lo, s4
	flat_store_b64 v[24:25], v[38:39] scope:SCOPE_SYS
	s_wait_storecnt 0x0
                                        ; implicit-def: $vgpr20_vgpr21
	s_mov_b32 s4, exec_lo
	s_wait_xcnt 0x0
	v_cmpx_o_f64_e32 v[10:11], v[12:13]
	s_xor_b32 s7, exec_lo, s4
	s_cbranch_execz .LBB42_717
; %bb.630:                              ;   in Loop: Header=BB42_417 Depth=1
	v_max_num_f64_e64 v[50:51], |v[10:11]|, |v[10:11]|
	v_max_num_f64_e64 v[52:53], |v[12:13]|, |v[12:13]|
	v_cmp_gt_i64_e64 s4, 0, v[12:13]
                                        ; implicit-def: $vgpr20_vgpr21
	s_mov_b32 s5, exec_lo
	v_max_num_f64_e32 v[48:49], v[52:53], v[50:51]
	s_delay_alu instid0(VALU_DEP_1)
	v_cmpx_nlt_f64_e32 0x43300000, v[48:49]
	s_xor_b32 s33, exec_lo, s5
	s_cbranch_execz .LBB42_706
; %bb.631:                              ;   in Loop: Header=BB42_417 Depth=1
	v_cmp_neq_f64_e32 vcc_lo, 1.0, v[10:11]
	v_cmp_neq_f64_e64 s5, 0, v[12:13]
	v_xor_b32_e32 v21, 0x80000000, v13
	v_mov_b32_e32 v20, v12
	s_or_b32 s5, s5, vcc_lo
	s_delay_alu instid0(SALU_CYCLE_1) | instskip(NEXT) | instid1(SALU_CYCLE_1)
	s_and_saveexec_b32 s6, s5
	s_xor_b32 s46, exec_lo, s6
	s_cbranch_execz .LBB42_703
; %bb.632:                              ;   in Loop: Header=BB42_417 Depth=1
	flat_store_b32 v[28:29], v64 scope:SCOPE_SYS
	s_wait_storecnt 0x0
	flat_load_b32 v18, v[28:29] scope:SCOPE_SYS
	s_wait_loadcnt 0x0
	v_cmp_nlt_f64_e64 s5, |v[10:11]|, s[14:15]
	v_cmp_nlt_f64_e64 s6, |v[12:13]|, s[14:15]
	v_mov_b32_e32 v20, v12
	s_or_b32 s5, s6, s5
	s_wait_dscnt 0x0
	v_add_f32_e32 v18, 1.0, v18
	flat_store_b32 v[30:31], v18 scope:SCOPE_SYS
	s_wait_storecnt 0x0
	flat_load_b32 v18, v[30:31] scope:SCOPE_SYS
	s_wait_loadcnt 0x0
	s_wait_xcnt 0x0
	s_and_saveexec_b32 s6, s5
	s_delay_alu instid0(SALU_CYCLE_1)
	s_xor_b32 s47, exec_lo, s6
	s_cbranch_execz .LBB42_700
; %bb.633:                              ;   in Loop: Header=BB42_417 Depth=1
	s_wait_dscnt 0x0
	v_add_f64_e64 v[18:19], |v[10:11]|, -1.0
	v_add_f64_e64 v[50:51], |v[10:11]|, 1.0
	s_delay_alu instid0(VALU_DEP_2) | instskip(NEXT) | instid1(VALU_DEP_1)
	v_max_num_f64_e64 v[48:49], v[52:53], |v[18:19]|
	v_frexp_exp_i32_f64_e32 v68, v[48:49]
	s_delay_alu instid0(VALU_DEP_1) | instskip(NEXT) | instid1(VALU_DEP_1)
	v_dual_max_num_f64 v[20:21], v[52:53], v[50:51] :: v_dual_sub_nc_u32 v54, 0, v68
	v_frexp_exp_i32_f64_e32 v67, v[20:21]
	s_delay_alu instid0(VALU_DEP_2) | instskip(SKIP_1) | instid1(VALU_DEP_2)
	v_ldexp_f64 v[48:49], |v[18:19]|, v54
	v_ldexp_f64 v[54:55], |v[12:13]|, v54
	v_dual_mul_f64 v[48:49], v[48:49], v[48:49] :: v_dual_sub_nc_u32 v52, 0, v67
	s_delay_alu instid0(VALU_DEP_1) | instskip(NEXT) | instid1(VALU_DEP_2)
	v_ldexp_f64 v[20:21], v[50:51], v52
	v_fmac_f64_e32 v[48:49], v[54:55], v[54:55]
	s_delay_alu instid0(VALU_DEP_2) | instskip(SKIP_1) | instid1(VALU_DEP_3)
	v_mul_f64_e32 v[20:21], v[20:21], v[20:21]
	v_ldexp_f64 v[52:53], |v[12:13]|, v52
	v_rsq_f64_e32 v[54:55], v[48:49]
	v_cmp_eq_f64_e64 s5, 0, v[48:49]
	s_delay_alu instid0(VALU_DEP_2) | instskip(NEXT) | instid1(VALU_DEP_1)
	v_fmac_f64_e32 v[20:21], v[52:53], v[52:53]
	v_rsq_f64_e32 v[52:53], v[20:21]
	v_cmp_eq_f64_e32 vcc_lo, 0, v[20:21]
	s_delay_alu instid0(TRANS32_DEP_1) | instskip(SKIP_1) | instid1(VALU_DEP_1)
	v_mul_f64_e32 v[56:57], v[20:21], v[52:53]
	v_mul_f64_e32 v[52:53], 0.5, v[52:53]
	v_fma_f64 v[60:61], -v[52:53], v[56:57], 0.5
	s_delay_alu instid0(VALU_DEP_1) | instskip(SKIP_1) | instid1(VALU_DEP_2)
	v_fmac_f64_e32 v[56:57], v[56:57], v[60:61]
	v_fmac_f64_e32 v[52:53], v[52:53], v[60:61]
	v_fma_f64 v[60:61], -v[56:57], v[56:57], v[20:21]
	s_delay_alu instid0(VALU_DEP_1) | instskip(NEXT) | instid1(VALU_DEP_1)
	v_fmac_f64_e32 v[56:57], v[60:61], v[52:53]
	v_dual_cndmask_b32 v21, v57, v21 :: v_dual_cndmask_b32 v20, v56, v20
	v_cmp_neq_f64_e32 vcc_lo, 0x7ff00000, v[50:51]
	s_delay_alu instid0(VALU_DEP_2) | instskip(NEXT) | instid1(TRANS32_DEP_2)
	v_ldexp_f64 v[20:21], v[20:21], v67
	v_mul_f64_e32 v[58:59], v[48:49], v[54:55]
	v_mul_f64_e32 v[54:55], 0.5, v[54:55]
	s_delay_alu instid0(VALU_DEP_1) | instskip(NEXT) | instid1(VALU_DEP_1)
	v_fma_f64 v[62:63], -v[54:55], v[58:59], 0.5
	v_fmac_f64_e32 v[58:59], v[58:59], v[62:63]
	v_fmac_f64_e32 v[54:55], v[54:55], v[62:63]
	s_delay_alu instid0(VALU_DEP_2) | instskip(NEXT) | instid1(VALU_DEP_1)
	v_fma_f64 v[62:63], -v[58:59], v[58:59], v[48:49]
	v_fmac_f64_e32 v[58:59], v[62:63], v[54:55]
	v_cndmask_b32_e32 v55, 0x7ff00000, v21, vcc_lo
	s_delay_alu instid0(VALU_DEP_2) | instskip(NEXT) | instid1(VALU_DEP_3)
	v_dual_cndmask_b32 v54, 0, v20, vcc_lo :: v_dual_cndmask_b32 v49, v59, v49, s5
	v_cndmask_b32_e64 v48, v58, v48, s5
	v_cmp_neq_f64_e64 s5, 0x7ff00000, |v[18:19]|
	s_delay_alu instid0(VALU_DEP_2) | instskip(NEXT) | instid1(VALU_DEP_1)
	v_ldexp_f64 v[48:49], v[48:49], v68
	v_cndmask_b32_e64 v53, 0x7ff00000, v49, s5
	s_delay_alu instid0(VALU_DEP_2) | instskip(SKIP_1) | instid1(VALU_DEP_1)
	v_cndmask_b32_e64 v52, 0, v48, s5
	s_mov_b32 s5, exec_lo
	v_add_f64_e32 v[20:21], v[54:55], v[52:53]
	s_delay_alu instid0(VALU_DEP_1) | instskip(NEXT) | instid1(VALU_DEP_1)
	v_mul_f64_e32 v[20:21], 0.5, v[20:21]
	v_cmp_ngt_f64_e32 vcc_lo, 1.0, v[20:21]
	v_cndmask_b32_e32 v49, 0x3ff00000, v21, vcc_lo
	v_cndmask_b32_e32 v48, 0, v20, vcc_lo
                                        ; implicit-def: $vgpr20_vgpr21
	s_delay_alu instid0(VALU_DEP_1)
	v_cmpx_ngt_f64_e32 0x40240000, v[48:49]
	s_xor_b32 s5, exec_lo, s5
	s_cbranch_execz .LBB42_635
; %bb.634:                              ;   in Loop: Header=BB42_417 Depth=1
	v_fma_f64 v[20:21], v[48:49], v[48:49], -1.0
	s_delay_alu instid0(VALU_DEP_1) | instskip(SKIP_1) | instid1(VALU_DEP_1)
	v_cmp_gt_f64_e32 vcc_lo, 0x10000000, v[20:21]
	v_cndmask_b32_e64 v56, 0, 0x100, vcc_lo
	v_ldexp_f64 v[20:21], v[20:21], v56
	s_delay_alu instid0(VALU_DEP_1) | instskip(SKIP_1) | instid1(TRANS32_DEP_1)
	v_rsq_f64_e32 v[56:57], v[20:21]
	v_nop
	v_mul_f64_e32 v[58:59], v[20:21], v[56:57]
	v_mul_f64_e32 v[56:57], 0.5, v[56:57]
	s_delay_alu instid0(VALU_DEP_1) | instskip(NEXT) | instid1(VALU_DEP_1)
	v_fma_f64 v[60:61], -v[56:57], v[58:59], 0.5
	v_fmac_f64_e32 v[58:59], v[58:59], v[60:61]
	v_fmac_f64_e32 v[56:57], v[56:57], v[60:61]
	s_delay_alu instid0(VALU_DEP_2) | instskip(NEXT) | instid1(VALU_DEP_1)
	v_fma_f64 v[60:61], -v[58:59], v[58:59], v[20:21]
	v_fmac_f64_e32 v[58:59], v[60:61], v[56:57]
	s_delay_alu instid0(VALU_DEP_1) | instskip(NEXT) | instid1(VALU_DEP_1)
	v_fma_f64 v[60:61], -v[58:59], v[58:59], v[20:21]
	v_fmac_f64_e32 v[58:59], v[60:61], v[56:57]
	v_cndmask_b32_e64 v56, 0, 0xffffff80, vcc_lo
	v_cmp_class_f64_e64 vcc_lo, v[20:21], 0x260
	s_delay_alu instid0(VALU_DEP_2) | instskip(NEXT) | instid1(VALU_DEP_1)
	v_ldexp_f64 v[56:57], v[58:59], v56
	v_dual_cndmask_b32 v21, v57, v21 :: v_dual_cndmask_b32 v20, v56, v20
	s_delay_alu instid0(VALU_DEP_1) | instskip(NEXT) | instid1(VALU_DEP_1)
	v_add_f64_e32 v[20:21], v[48:49], v[20:21]
	v_frexp_mant_f64_e32 v[56:57], v[20:21]
	v_frexp_exp_i32_f64_e32 v67, v[20:21]
	s_delay_alu instid0(VALU_DEP_2) | instskip(SKIP_1) | instid1(VALU_DEP_3)
	v_cmp_gt_f64_e32 vcc_lo, s[16:17], v[56:57]
	v_cndmask_b32_e64 v58, 0, 1, vcc_lo
	v_subrev_co_ci_u32_e64 v67, null, 0, v67, vcc_lo
	v_cmp_class_f64_e64 vcc_lo, v[20:21], 0x204
	s_delay_alu instid0(VALU_DEP_3) | instskip(NEXT) | instid1(VALU_DEP_1)
	v_ldexp_f64 v[56:57], v[56:57], v58
	v_add_f64_e32 v[58:59], 1.0, v[56:57]
	v_add_f64_e32 v[68:69], -1.0, v[56:57]
	s_delay_alu instid0(VALU_DEP_2) | instskip(SKIP_1) | instid1(VALU_DEP_1)
	v_rcp_f64_e32 v[60:61], v[58:59]
	v_add_f64_e32 v[70:71], -1.0, v[58:59]
	v_add_f64_e64 v[56:57], v[56:57], -v[70:71]
	s_delay_alu instid0(TRANS32_DEP_1) | instskip(NEXT) | instid1(VALU_DEP_1)
	v_fma_f64 v[62:63], -v[58:59], v[60:61], 1.0
	v_fmac_f64_e32 v[60:61], v[62:63], v[60:61]
	s_delay_alu instid0(VALU_DEP_1) | instskip(NEXT) | instid1(VALU_DEP_1)
	v_fma_f64 v[62:63], -v[58:59], v[60:61], 1.0
	v_fmac_f64_e32 v[60:61], v[62:63], v[60:61]
	s_delay_alu instid0(VALU_DEP_1) | instskip(NEXT) | instid1(VALU_DEP_1)
	v_mul_f64_e32 v[62:63], v[68:69], v[60:61]
	v_mul_f64_e32 v[72:73], v[58:59], v[62:63]
	s_delay_alu instid0(VALU_DEP_1) | instskip(NEXT) | instid1(VALU_DEP_1)
	v_fma_f64 v[58:59], v[62:63], v[58:59], -v[72:73]
	v_fmac_f64_e32 v[58:59], v[62:63], v[56:57]
	s_delay_alu instid0(VALU_DEP_1) | instskip(NEXT) | instid1(VALU_DEP_1)
	v_add_f64_e32 v[56:57], v[72:73], v[58:59]
	v_add_f64_e64 v[70:71], v[68:69], -v[56:57]
	v_add_f64_e64 v[72:73], v[56:57], -v[72:73]
	s_delay_alu instid0(VALU_DEP_2) | instskip(NEXT) | instid1(VALU_DEP_2)
	v_add_f64_e64 v[68:69], v[68:69], -v[70:71]
	v_add_f64_e64 v[58:59], v[72:73], -v[58:59]
	s_delay_alu instid0(VALU_DEP_2) | instskip(NEXT) | instid1(VALU_DEP_1)
	v_add_f64_e64 v[56:57], v[68:69], -v[56:57]
	v_add_f64_e32 v[56:57], v[58:59], v[56:57]
	s_delay_alu instid0(VALU_DEP_1) | instskip(NEXT) | instid1(VALU_DEP_1)
	v_add_f64_e32 v[56:57], v[70:71], v[56:57]
	v_mul_f64_e32 v[56:57], v[60:61], v[56:57]
	s_delay_alu instid0(VALU_DEP_1) | instskip(NEXT) | instid1(VALU_DEP_1)
	v_add_f64_e32 v[58:59], v[62:63], v[56:57]
	v_mul_f64_e32 v[60:61], v[58:59], v[58:59]
	s_delay_alu instid0(VALU_DEP_1) | instskip(SKIP_1) | instid1(VALU_DEP_2)
	v_fmamk_f64 v[68:69], v[60:61], 0x3fc3ab76bf559e2b, v[32:33]
	v_mul_f64_e32 v[70:71], v[58:59], v[60:61]
	v_fmaak_f64 v[68:69], v[60:61], v[68:69], 0x3fc7474dd7f4df2e
	s_delay_alu instid0(VALU_DEP_1) | instskip(NEXT) | instid1(VALU_DEP_1)
	v_fmaak_f64 v[68:69], v[60:61], v[68:69], 0x3fcc71c016291751
	v_fmaak_f64 v[68:69], v[60:61], v[68:69], 0x3fd249249b27acf1
	s_delay_alu instid0(VALU_DEP_1) | instskip(NEXT) | instid1(VALU_DEP_1)
	v_fmaak_f64 v[68:69], v[60:61], v[68:69], 0x3fd99999998ef7b6
	v_fmaak_f64 v[60:61], v[60:61], v[68:69], 0x3fe5555555555780
	v_ldexp_f64 v[68:69], v[58:59], 1
	v_add_f64_e64 v[58:59], v[58:59], -v[62:63]
	s_delay_alu instid0(VALU_DEP_3) | instskip(SKIP_1) | instid1(VALU_DEP_3)
	v_mul_f64_e32 v[60:61], v[70:71], v[60:61]
	v_cvt_f64_i32_e32 v[70:71], v67
	v_add_f64_e64 v[56:57], v[56:57], -v[58:59]
	s_delay_alu instid0(VALU_DEP_3) | instskip(NEXT) | instid1(VALU_DEP_3)
	v_add_f64_e32 v[62:63], v[68:69], v[60:61]
	v_mul_f64_e32 v[72:73], 0x3fe62e42fefa39ef, v[70:71]
	s_delay_alu instid0(VALU_DEP_3) | instskip(NEXT) | instid1(VALU_DEP_3)
	v_ldexp_f64 v[56:57], v[56:57], 1
	v_add_f64_e64 v[58:59], v[62:63], -v[68:69]
	s_delay_alu instid0(VALU_DEP_3) | instskip(NEXT) | instid1(VALU_DEP_2)
	v_fma_f64 v[68:69], v[70:71], s[22:23], -v[72:73]
	v_add_f64_e64 v[58:59], v[60:61], -v[58:59]
	s_delay_alu instid0(VALU_DEP_2) | instskip(NEXT) | instid1(VALU_DEP_2)
	v_fmac_f64_e32 v[68:69], 0x3c7abc9e3b39803f, v[70:71]
	v_add_f64_e32 v[56:57], v[56:57], v[58:59]
	s_delay_alu instid0(VALU_DEP_2) | instskip(NEXT) | instid1(VALU_DEP_2)
	v_add_f64_e32 v[58:59], v[72:73], v[68:69]
	v_add_f64_e32 v[60:61], v[62:63], v[56:57]
	s_delay_alu instid0(VALU_DEP_2) | instskip(NEXT) | instid1(VALU_DEP_2)
	v_add_f64_e64 v[72:73], v[58:59], -v[72:73]
	v_add_f64_e32 v[70:71], v[58:59], v[60:61]
	v_add_f64_e64 v[62:63], v[60:61], -v[62:63]
	s_delay_alu instid0(VALU_DEP_3) | instskip(NEXT) | instid1(VALU_DEP_3)
	v_add_f64_e64 v[68:69], v[68:69], -v[72:73]
	v_add_f64_e64 v[74:75], v[70:71], -v[58:59]
	s_delay_alu instid0(VALU_DEP_3) | instskip(NEXT) | instid1(VALU_DEP_2)
	v_add_f64_e64 v[56:57], v[56:57], -v[62:63]
	v_add_f64_e64 v[76:77], v[70:71], -v[74:75]
	;; [unrolled: 1-line block ×3, first 2 shown]
	s_delay_alu instid0(VALU_DEP_3) | instskip(NEXT) | instid1(VALU_DEP_3)
	v_add_f64_e32 v[62:63], v[68:69], v[56:57]
	v_add_f64_e64 v[58:59], v[58:59], -v[76:77]
	s_delay_alu instid0(VALU_DEP_1) | instskip(NEXT) | instid1(VALU_DEP_3)
	v_add_f64_e32 v[58:59], v[60:61], v[58:59]
	v_add_f64_e64 v[60:61], v[62:63], -v[68:69]
	s_delay_alu instid0(VALU_DEP_2) | instskip(NEXT) | instid1(VALU_DEP_2)
	v_add_f64_e32 v[58:59], v[62:63], v[58:59]
	v_add_f64_e64 v[62:63], v[62:63], -v[60:61]
	v_add_f64_e64 v[56:57], v[56:57], -v[60:61]
	s_delay_alu instid0(VALU_DEP_3) | instskip(NEXT) | instid1(VALU_DEP_3)
	v_add_f64_e32 v[72:73], v[70:71], v[58:59]
	v_add_f64_e64 v[60:61], v[68:69], -v[62:63]
	s_delay_alu instid0(VALU_DEP_2) | instskip(NEXT) | instid1(VALU_DEP_2)
	v_add_f64_e64 v[62:63], v[72:73], -v[70:71]
	v_add_f64_e32 v[56:57], v[56:57], v[60:61]
	s_delay_alu instid0(VALU_DEP_2) | instskip(NEXT) | instid1(VALU_DEP_1)
	v_add_f64_e64 v[58:59], v[58:59], -v[62:63]
	v_add_f64_e32 v[56:57], v[56:57], v[58:59]
	s_delay_alu instid0(VALU_DEP_1) | instskip(NEXT) | instid1(VALU_DEP_1)
	v_add_f64_e32 v[56:57], v[72:73], v[56:57]
	v_dual_cndmask_b32 v56, v56, v20 :: v_dual_cndmask_b32 v57, v57, v21
	v_cmp_neq_f64_e32 vcc_lo, 0, v[20:21]
	s_delay_alu instid0(VALU_DEP_2) | instskip(NEXT) | instid1(VALU_DEP_3)
	v_cndmask_b32_e32 v21, 0xfff00000, v57, vcc_lo
	v_cndmask_b32_e32 v20, 0, v56, vcc_lo
.LBB42_635:                             ;   in Loop: Header=BB42_417 Depth=1
	s_or_saveexec_b32 s48, s5
	v_and_b32_e32 v57, 0x7fffffff, v13
	v_mov_b32_e32 v56, v12
	s_xor_b32 exec_lo, exec_lo, s48
	s_cbranch_execz .LBB42_657
; %bb.636:                              ;   in Loop: Header=BB42_417 Depth=1
	v_cmp_neq_f64_e64 s5, |v[10:11]|, 1.0
	v_cmp_ngt_f64_e64 s6, 0x39000000, |v[12:13]|
                                        ; implicit-def: $vgpr20_vgpr21
	s_or_b32 s5, s6, s5
	s_delay_alu instid0(SALU_CYCLE_1) | instskip(NEXT) | instid1(SALU_CYCLE_1)
	s_and_saveexec_b32 s6, s5
	s_xor_b32 s49, exec_lo, s6
	s_cbranch_execz .LBB42_654
; %bb.637:                              ;   in Loop: Header=BB42_417 Depth=1
	v_ldexp_f64 v[20:21], |v[18:19]|, 0xffffffcc
	s_delay_alu instid0(VALU_DEP_1) | instskip(SKIP_1) | instid1(SALU_CYCLE_1)
	v_cmp_ge_f64_e64 s5, |v[12:13]|, v[20:21]
                                        ; implicit-def: $vgpr20_vgpr21
	s_and_saveexec_b32 s6, s5
	s_xor_b32 s50, exec_lo, s6
	s_cbranch_execz .LBB42_647
; %bb.638:                              ;   in Loop: Header=BB42_417 Depth=1
	v_mov_b64_e32 v[20:21], v[56:57]
	s_mov_b32 s5, exec_lo
	v_cmpx_neq_f64_e32 0, v[50:51]
	s_cbranch_execz .LBB42_640
; %bb.639:                              ;   in Loop: Header=BB42_417 Depth=1
	v_mul_f64_e32 v[20:21], v[12:13], v[12:13]
	v_add_f64_e32 v[58:59], v[50:51], v[54:55]
	s_delay_alu instid0(VALU_DEP_1) | instskip(NEXT) | instid1(VALU_DEP_1)
	v_div_scale_f64 v[60:61], null, v[58:59], v[58:59], v[20:21]
	v_rcp_f64_e32 v[62:63], v[60:61]
	v_nop
	s_delay_alu instid0(TRANS32_DEP_1) | instskip(NEXT) | instid1(VALU_DEP_1)
	v_fma_f64 v[68:69], -v[60:61], v[62:63], 1.0
	v_fmac_f64_e32 v[62:63], v[62:63], v[68:69]
	s_delay_alu instid0(VALU_DEP_1) | instskip(NEXT) | instid1(VALU_DEP_1)
	v_fma_f64 v[68:69], -v[60:61], v[62:63], 1.0
	v_fmac_f64_e32 v[62:63], v[62:63], v[68:69]
	v_div_scale_f64 v[68:69], vcc_lo, v[20:21], v[58:59], v[20:21]
	s_delay_alu instid0(VALU_DEP_1) | instskip(NEXT) | instid1(VALU_DEP_1)
	v_mul_f64_e32 v[70:71], v[68:69], v[62:63]
	v_fma_f64 v[60:61], -v[60:61], v[70:71], v[68:69]
	s_delay_alu instid0(VALU_DEP_1) | instskip(NEXT) | instid1(VALU_DEP_1)
	v_div_fmas_f64 v[60:61], v[60:61], v[62:63], v[70:71]
	v_div_fixup_f64 v[20:21], v[60:61], v[58:59], v[20:21]
.LBB42_640:                             ;   in Loop: Header=BB42_417 Depth=1
	s_or_b32 exec_lo, exec_lo, s5
	v_add_f64_e64 v[60:61], -|v[10:11]|, 1.0
	s_mov_b32 s5, exec_lo
                                        ; implicit-def: $vgpr58_vgpr59
	s_delay_alu instid0(VALU_DEP_1)
	v_cmpx_ngt_f64_e32 0, v[60:61]
	s_xor_b32 s5, exec_lo, s5
	s_cbranch_execz .LBB42_644
; %bb.641:                              ;   in Loop: Header=BB42_417 Depth=1
	v_mov_b64_e32 v[58:59], v[56:57]
	s_mov_b32 s6, exec_lo
	v_cmpx_neq_f64_e32 0, v[60:61]
	s_cbranch_execz .LBB42_643
; %bb.642:                              ;   in Loop: Header=BB42_417 Depth=1
	v_mul_f64_e32 v[58:59], v[12:13], v[12:13]
	v_add_f64_e32 v[60:61], v[60:61], v[52:53]
	s_delay_alu instid0(VALU_DEP_1) | instskip(NEXT) | instid1(VALU_DEP_1)
	v_div_scale_f64 v[62:63], null, v[60:61], v[60:61], v[58:59]
	v_rcp_f64_e32 v[68:69], v[62:63]
	v_nop
	s_delay_alu instid0(TRANS32_DEP_1) | instskip(NEXT) | instid1(VALU_DEP_1)
	v_fma_f64 v[70:71], -v[62:63], v[68:69], 1.0
	v_fmac_f64_e32 v[68:69], v[68:69], v[70:71]
	s_delay_alu instid0(VALU_DEP_1) | instskip(NEXT) | instid1(VALU_DEP_1)
	v_fma_f64 v[70:71], -v[62:63], v[68:69], 1.0
	v_fmac_f64_e32 v[68:69], v[68:69], v[70:71]
	v_div_scale_f64 v[70:71], vcc_lo, v[58:59], v[60:61], v[58:59]
	s_delay_alu instid0(VALU_DEP_1) | instskip(NEXT) | instid1(VALU_DEP_1)
	v_mul_f64_e32 v[72:73], v[70:71], v[68:69]
	v_fma_f64 v[62:63], -v[62:63], v[72:73], v[70:71]
	s_delay_alu instid0(VALU_DEP_1) | instskip(NEXT) | instid1(VALU_DEP_1)
	v_div_fmas_f64 v[62:63], v[62:63], v[68:69], v[72:73]
	v_div_fixup_f64 v[58:59], v[62:63], v[60:61], v[58:59]
.LBB42_643:                             ;   in Loop: Header=BB42_417 Depth=1
	s_or_b32 exec_lo, exec_lo, s6
                                        ; implicit-def: $vgpr60_vgpr61
.LBB42_644:                             ;   in Loop: Header=BB42_417 Depth=1
	s_and_not1_saveexec_b32 s5, s5
; %bb.645:                              ;   in Loop: Header=BB42_417 Depth=1
	v_add_f64_e64 v[58:59], v[52:53], -v[60:61]
; %bb.646:                              ;   in Loop: Header=BB42_417 Depth=1
	s_or_b32 exec_lo, exec_lo, s5
	s_delay_alu instid0(VALU_DEP_1) | instskip(SKIP_1) | instid1(VALU_DEP_2)
	v_mul_f64_e32 v[58:59], 0.5, v[58:59]
	v_add_f64_e32 v[60:61], 1.0, v[48:49]
	v_fmac_f64_e32 v[58:59], 0.5, v[20:21]
	s_delay_alu instid0(VALU_DEP_1) | instskip(NEXT) | instid1(VALU_DEP_1)
	v_mul_f64_e32 v[20:21], v[60:61], v[58:59]
	v_cmp_gt_f64_e32 vcc_lo, 0x10000000, v[20:21]
	v_cndmask_b32_e64 v60, 0, 0x100, vcc_lo
	s_delay_alu instid0(VALU_DEP_1) | instskip(NEXT) | instid1(VALU_DEP_1)
	v_ldexp_f64 v[20:21], v[20:21], v60
	v_rsq_f64_e32 v[60:61], v[20:21]
	v_nop
	s_delay_alu instid0(TRANS32_DEP_1) | instskip(SKIP_1) | instid1(VALU_DEP_1)
	v_mul_f64_e32 v[62:63], v[20:21], v[60:61]
	v_mul_f64_e32 v[60:61], 0.5, v[60:61]
	v_fma_f64 v[68:69], -v[60:61], v[62:63], 0.5
	s_delay_alu instid0(VALU_DEP_1) | instskip(SKIP_1) | instid1(VALU_DEP_2)
	v_fmac_f64_e32 v[62:63], v[62:63], v[68:69]
	v_fmac_f64_e32 v[60:61], v[60:61], v[68:69]
	v_fma_f64 v[68:69], -v[62:63], v[62:63], v[20:21]
	s_delay_alu instid0(VALU_DEP_1) | instskip(NEXT) | instid1(VALU_DEP_1)
	v_fmac_f64_e32 v[62:63], v[68:69], v[60:61]
	v_fma_f64 v[68:69], -v[62:63], v[62:63], v[20:21]
	s_delay_alu instid0(VALU_DEP_1) | instskip(SKIP_2) | instid1(VALU_DEP_2)
	v_fmac_f64_e32 v[62:63], v[68:69], v[60:61]
	v_cndmask_b32_e64 v60, 0, 0xffffff80, vcc_lo
	v_cmp_class_f64_e64 vcc_lo, v[20:21], 0x260
	v_ldexp_f64 v[60:61], v[62:63], v60
	s_delay_alu instid0(VALU_DEP_1) | instskip(NEXT) | instid1(VALU_DEP_1)
	v_dual_cndmask_b32 v21, v61, v21 :: v_dual_cndmask_b32 v20, v60, v20
	v_add_f64_e32 v[58:59], v[58:59], v[20:21]
	s_delay_alu instid0(VALU_DEP_1) | instskip(SKIP_2) | instid1(VALU_DEP_3)
	v_add_f64_e32 v[20:21], 1.0, v[58:59]
	v_cmp_neq_f64_e64 s5, 0x7ff00000, v[58:59]
	v_cmp_ngt_f64_e64 s6, -1.0, v[58:59]
	v_frexp_mant_f64_e32 v[60:61], v[20:21]
	v_frexp_exp_i32_f64_e32 v67, v[20:21]
	v_add_f64_e32 v[62:63], -1.0, v[20:21]
	s_delay_alu instid0(VALU_DEP_3) | instskip(NEXT) | instid1(VALU_DEP_2)
	v_cmp_gt_f64_e32 vcc_lo, s[16:17], v[60:61]
	v_add_f64_e64 v[60:61], v[62:63], -v[20:21]
	v_add_f64_e64 v[62:63], v[58:59], -v[62:63]
	v_subrev_co_ci_u32_e64 v67, null, 0, v67, vcc_lo
	s_delay_alu instid0(VALU_DEP_3) | instskip(SKIP_1) | instid1(VALU_DEP_3)
	v_add_f64_e32 v[60:61], 1.0, v[60:61]
	v_cmp_nge_f64_e32 vcc_lo, -1.0, v[58:59]
	v_sub_nc_u32_e32 v70, 0, v67
	s_delay_alu instid0(VALU_DEP_1) | instskip(NEXT) | instid1(VALU_DEP_4)
	v_ldexp_f64 v[20:21], v[20:21], v70
	v_add_f64_e32 v[60:61], v[62:63], v[60:61]
	s_and_b32 vcc_lo, vcc_lo, s5
	s_delay_alu instid0(VALU_DEP_2) | instskip(SKIP_1) | instid1(VALU_DEP_3)
	v_add_f64_e32 v[68:69], 1.0, v[20:21]
	v_add_f64_e32 v[74:75], -1.0, v[20:21]
	v_ldexp_f64 v[60:61], v[60:61], v70
	s_delay_alu instid0(VALU_DEP_3) | instskip(NEXT) | instid1(VALU_DEP_3)
	v_add_f64_e32 v[62:63], -1.0, v[68:69]
	v_add_f64_e32 v[76:77], 1.0, v[74:75]
	s_delay_alu instid0(VALU_DEP_2) | instskip(NEXT) | instid1(VALU_DEP_2)
	v_add_f64_e64 v[62:63], v[20:21], -v[62:63]
	v_add_f64_e64 v[20:21], v[20:21], -v[76:77]
	s_delay_alu instid0(VALU_DEP_2) | instskip(NEXT) | instid1(VALU_DEP_2)
	v_add_f64_e32 v[62:63], v[60:61], v[62:63]
	v_add_f64_e32 v[20:21], v[60:61], v[20:21]
	s_delay_alu instid0(VALU_DEP_2) | instskip(NEXT) | instid1(VALU_DEP_2)
	v_add_f64_e32 v[70:71], v[68:69], v[62:63]
	v_add_f64_e32 v[76:77], v[74:75], v[20:21]
	s_delay_alu instid0(VALU_DEP_2) | instskip(SKIP_1) | instid1(VALU_DEP_2)
	v_rcp_f64_e32 v[72:73], v[70:71]
	v_add_f64_e64 v[68:69], v[70:71], -v[68:69]
	v_add_f64_e64 v[74:75], v[76:77], -v[74:75]
	s_delay_alu instid0(VALU_DEP_2) | instskip(NEXT) | instid1(VALU_DEP_2)
	v_add_f64_e64 v[62:63], v[62:63], -v[68:69]
	v_add_f64_e64 v[20:21], v[20:21], -v[74:75]
	s_delay_alu instid0(TRANS32_DEP_1) | instskip(NEXT) | instid1(VALU_DEP_1)
	v_fma_f64 v[78:79], -v[70:71], v[72:73], 1.0
	v_fmac_f64_e32 v[72:73], v[78:79], v[72:73]
	s_delay_alu instid0(VALU_DEP_1) | instskip(NEXT) | instid1(VALU_DEP_1)
	v_fma_f64 v[60:61], -v[70:71], v[72:73], 1.0
	v_fmac_f64_e32 v[72:73], v[60:61], v[72:73]
	s_delay_alu instid0(VALU_DEP_1) | instskip(NEXT) | instid1(VALU_DEP_1)
	v_mul_f64_e32 v[60:61], v[76:77], v[72:73]
	v_mul_f64_e32 v[78:79], v[70:71], v[60:61]
	s_delay_alu instid0(VALU_DEP_1) | instskip(NEXT) | instid1(VALU_DEP_1)
	v_fma_f64 v[68:69], v[60:61], v[70:71], -v[78:79]
	v_fmac_f64_e32 v[68:69], v[60:61], v[62:63]
	s_delay_alu instid0(VALU_DEP_1) | instskip(NEXT) | instid1(VALU_DEP_1)
	v_add_f64_e32 v[80:81], v[78:79], v[68:69]
	v_add_f64_e64 v[82:83], v[76:77], -v[80:81]
	v_add_f64_e64 v[74:75], v[80:81], -v[78:79]
	s_delay_alu instid0(VALU_DEP_2) | instskip(NEXT) | instid1(VALU_DEP_2)
	v_add_f64_e64 v[76:77], v[76:77], -v[82:83]
	v_add_f64_e64 v[68:69], v[74:75], -v[68:69]
	s_delay_alu instid0(VALU_DEP_2) | instskip(NEXT) | instid1(VALU_DEP_1)
	v_add_f64_e64 v[76:77], v[76:77], -v[80:81]
	v_add_f64_e32 v[20:21], v[20:21], v[76:77]
	s_delay_alu instid0(VALU_DEP_1) | instskip(NEXT) | instid1(VALU_DEP_1)
	v_add_f64_e32 v[20:21], v[68:69], v[20:21]
	v_add_f64_e32 v[68:69], v[82:83], v[20:21]
	s_delay_alu instid0(VALU_DEP_1) | instskip(SKIP_1) | instid1(VALU_DEP_2)
	v_mul_f64_e32 v[74:75], v[72:73], v[68:69]
	v_add_f64_e64 v[80:81], v[82:83], -v[68:69]
	v_mul_f64_e32 v[76:77], v[70:71], v[74:75]
	s_delay_alu instid0(VALU_DEP_2) | instskip(NEXT) | instid1(VALU_DEP_2)
	v_add_f64_e32 v[20:21], v[20:21], v[80:81]
	v_fma_f64 v[70:71], v[74:75], v[70:71], -v[76:77]
	s_delay_alu instid0(VALU_DEP_1) | instskip(NEXT) | instid1(VALU_DEP_1)
	v_fmac_f64_e32 v[70:71], v[74:75], v[62:63]
	v_add_f64_e32 v[62:63], v[76:77], v[70:71]
	s_delay_alu instid0(VALU_DEP_1) | instskip(SKIP_1) | instid1(VALU_DEP_2)
	v_add_f64_e64 v[78:79], v[68:69], -v[62:63]
	v_add_f64_e64 v[76:77], v[62:63], -v[76:77]
	;; [unrolled: 1-line block ×3, first 2 shown]
	s_delay_alu instid0(VALU_DEP_1) | instskip(NEXT) | instid1(VALU_DEP_3)
	v_add_f64_e64 v[62:63], v[68:69], -v[62:63]
	v_add_f64_e64 v[68:69], v[76:77], -v[70:71]
	s_delay_alu instid0(VALU_DEP_2) | instskip(SKIP_1) | instid1(VALU_DEP_2)
	v_add_f64_e32 v[20:21], v[20:21], v[62:63]
	v_add_f64_e32 v[62:63], v[60:61], v[74:75]
	v_add_f64_e32 v[20:21], v[68:69], v[20:21]
	s_delay_alu instid0(VALU_DEP_2) | instskip(NEXT) | instid1(VALU_DEP_2)
	v_add_f64_e64 v[60:61], v[62:63], -v[60:61]
	v_add_f64_e32 v[20:21], v[78:79], v[20:21]
	s_delay_alu instid0(VALU_DEP_2) | instskip(NEXT) | instid1(VALU_DEP_2)
	v_add_f64_e64 v[60:61], v[74:75], -v[60:61]
	v_mul_f64_e32 v[20:21], v[72:73], v[20:21]
	s_delay_alu instid0(VALU_DEP_1) | instskip(NEXT) | instid1(VALU_DEP_1)
	v_add_f64_e32 v[20:21], v[60:61], v[20:21]
	v_add_f64_e32 v[60:61], v[62:63], v[20:21]
	s_delay_alu instid0(VALU_DEP_1) | instskip(NEXT) | instid1(VALU_DEP_1)
	v_mul_f64_e32 v[68:69], v[60:61], v[60:61]
	v_fmamk_f64 v[70:71], v[68:69], 0x3fc3ab76bf559e2b, v[32:33]
	v_mul_f64_e32 v[72:73], v[60:61], v[68:69]
	s_delay_alu instid0(VALU_DEP_2) | instskip(NEXT) | instid1(VALU_DEP_1)
	v_fmaak_f64 v[70:71], v[68:69], v[70:71], 0x3fc7474dd7f4df2e
	v_fmaak_f64 v[70:71], v[68:69], v[70:71], 0x3fcc71c016291751
	s_delay_alu instid0(VALU_DEP_1) | instskip(NEXT) | instid1(VALU_DEP_1)
	v_fmaak_f64 v[70:71], v[68:69], v[70:71], 0x3fd249249b27acf1
	v_fmaak_f64 v[70:71], v[68:69], v[70:71], 0x3fd99999998ef7b6
	s_delay_alu instid0(VALU_DEP_1) | instskip(SKIP_2) | instid1(VALU_DEP_3)
	v_fmaak_f64 v[68:69], v[68:69], v[70:71], 0x3fe5555555555780
	v_ldexp_f64 v[70:71], v[60:61], 1
	v_add_f64_e64 v[60:61], v[60:61], -v[62:63]
	v_mul_f64_e32 v[68:69], v[72:73], v[68:69]
	v_cvt_f64_i32_e32 v[72:73], v67
	s_delay_alu instid0(VALU_DEP_3) | instskip(NEXT) | instid1(VALU_DEP_3)
	v_add_f64_e64 v[20:21], v[20:21], -v[60:61]
	v_add_f64_e32 v[62:63], v[70:71], v[68:69]
	s_delay_alu instid0(VALU_DEP_3) | instskip(NEXT) | instid1(VALU_DEP_3)
	v_mul_f64_e32 v[74:75], 0x3fe62e42fefa39ef, v[72:73]
	v_ldexp_f64 v[20:21], v[20:21], 1
	s_delay_alu instid0(VALU_DEP_3) | instskip(NEXT) | instid1(VALU_DEP_3)
	v_add_f64_e64 v[60:61], v[62:63], -v[70:71]
	v_fma_f64 v[70:71], v[72:73], s[22:23], -v[74:75]
	s_delay_alu instid0(VALU_DEP_2) | instskip(NEXT) | instid1(VALU_DEP_2)
	v_add_f64_e64 v[60:61], v[68:69], -v[60:61]
	v_fmac_f64_e32 v[70:71], 0x3c7abc9e3b39803f, v[72:73]
	s_delay_alu instid0(VALU_DEP_2) | instskip(NEXT) | instid1(VALU_DEP_2)
	v_add_f64_e32 v[20:21], v[20:21], v[60:61]
	v_add_f64_e32 v[60:61], v[74:75], v[70:71]
	s_delay_alu instid0(VALU_DEP_2) | instskip(NEXT) | instid1(VALU_DEP_2)
	v_add_f64_e32 v[68:69], v[62:63], v[20:21]
	v_add_f64_e64 v[74:75], v[60:61], -v[74:75]
	s_delay_alu instid0(VALU_DEP_2) | instskip(SKIP_1) | instid1(VALU_DEP_3)
	v_add_f64_e32 v[72:73], v[60:61], v[68:69]
	v_add_f64_e64 v[62:63], v[68:69], -v[62:63]
	v_add_f64_e64 v[70:71], v[70:71], -v[74:75]
	s_delay_alu instid0(VALU_DEP_3) | instskip(NEXT) | instid1(VALU_DEP_3)
	v_add_f64_e64 v[76:77], v[72:73], -v[60:61]
	v_add_f64_e64 v[20:21], v[20:21], -v[62:63]
	s_delay_alu instid0(VALU_DEP_2) | instskip(SKIP_1) | instid1(VALU_DEP_3)
	v_add_f64_e64 v[78:79], v[72:73], -v[76:77]
	v_add_f64_e64 v[62:63], v[68:69], -v[76:77]
	v_add_f64_e32 v[68:69], v[70:71], v[20:21]
	s_delay_alu instid0(VALU_DEP_3) | instskip(NEXT) | instid1(VALU_DEP_1)
	v_add_f64_e64 v[60:61], v[60:61], -v[78:79]
	v_add_f64_e32 v[60:61], v[62:63], v[60:61]
	s_delay_alu instid0(VALU_DEP_3) | instskip(NEXT) | instid1(VALU_DEP_2)
	v_add_f64_e64 v[62:63], v[68:69], -v[70:71]
	v_add_f64_e32 v[60:61], v[68:69], v[60:61]
	s_delay_alu instid0(VALU_DEP_2) | instskip(SKIP_1) | instid1(VALU_DEP_3)
	v_add_f64_e64 v[68:69], v[68:69], -v[62:63]
	v_add_f64_e64 v[20:21], v[20:21], -v[62:63]
	v_add_f64_e32 v[74:75], v[72:73], v[60:61]
	s_delay_alu instid0(VALU_DEP_3) | instskip(NEXT) | instid1(VALU_DEP_2)
	v_add_f64_e64 v[68:69], v[70:71], -v[68:69]
	v_add_f64_e64 v[62:63], v[74:75], -v[72:73]
	s_delay_alu instid0(VALU_DEP_2) | instskip(NEXT) | instid1(VALU_DEP_2)
	v_add_f64_e32 v[20:21], v[20:21], v[68:69]
	v_add_f64_e64 v[60:61], v[60:61], -v[62:63]
	s_delay_alu instid0(VALU_DEP_1) | instskip(NEXT) | instid1(VALU_DEP_1)
	v_add_f64_e32 v[20:21], v[20:21], v[60:61]
	v_add_f64_e32 v[20:21], v[74:75], v[20:21]
	s_delay_alu instid0(VALU_DEP_1) | instskip(SKIP_1) | instid1(VALU_DEP_3)
	v_cndmask_b32_e32 v20, 0, v20, vcc_lo
	v_cmp_neq_f64_e32 vcc_lo, -1.0, v[58:59]
	v_cndmask_b32_e64 v21, 0x7ff00000, v21, s5
	s_delay_alu instid0(VALU_DEP_1) | instskip(NEXT) | instid1(VALU_DEP_1)
	v_cndmask_b32_e64 v21, 0x7ff80000, v21, s6
	v_cndmask_b32_e32 v21, 0xfff00000, v21, vcc_lo
.LBB42_647:                             ;   in Loop: Header=BB42_417 Depth=1
	s_and_not1_saveexec_b32 s50, s50
	s_cbranch_execz .LBB42_653
; %bb.648:                              ;   in Loop: Header=BB42_417 Depth=1
                                        ; implicit-def: $vgpr20_vgpr21
	s_mov_b32 s6, exec_lo
	v_cmpx_nlt_f64_e64 |v[10:11]|, 1.0
	s_xor_b32 s51, exec_lo, s6
	s_cbranch_execz .LBB42_650
; %bb.649:                              ;   in Loop: Header=BB42_417 Depth=1
	v_mul_f64_e32 v[20:21], v[18:19], v[50:51]
	s_delay_alu instid0(VALU_DEP_1) | instskip(SKIP_1) | instid1(VALU_DEP_1)
	v_cmp_gt_f64_e32 vcc_lo, 0x10000000, v[20:21]
	v_cndmask_b32_e64 v58, 0, 0x100, vcc_lo
	v_ldexp_f64 v[20:21], v[20:21], v58
	s_delay_alu instid0(VALU_DEP_1) | instskip(SKIP_1) | instid1(TRANS32_DEP_1)
	v_rsq_f64_e32 v[58:59], v[20:21]
	v_nop
	v_mul_f64_e32 v[60:61], v[20:21], v[58:59]
	v_mul_f64_e32 v[58:59], 0.5, v[58:59]
	s_delay_alu instid0(VALU_DEP_1) | instskip(NEXT) | instid1(VALU_DEP_1)
	v_fma_f64 v[62:63], -v[58:59], v[60:61], 0.5
	v_fmac_f64_e32 v[60:61], v[60:61], v[62:63]
	v_fmac_f64_e32 v[58:59], v[58:59], v[62:63]
	s_delay_alu instid0(VALU_DEP_2) | instskip(NEXT) | instid1(VALU_DEP_1)
	v_fma_f64 v[62:63], -v[60:61], v[60:61], v[20:21]
	v_fmac_f64_e32 v[60:61], v[62:63], v[58:59]
	s_delay_alu instid0(VALU_DEP_1) | instskip(NEXT) | instid1(VALU_DEP_1)
	v_fma_f64 v[62:63], -v[60:61], v[60:61], v[20:21]
	v_fmac_f64_e32 v[60:61], v[62:63], v[58:59]
	v_cndmask_b32_e64 v58, 0, 0xffffff80, vcc_lo
	v_cmp_class_f64_e64 vcc_lo, v[20:21], 0x260
	s_delay_alu instid0(VALU_DEP_2) | instskip(NEXT) | instid1(VALU_DEP_1)
	v_ldexp_f64 v[58:59], v[60:61], v58
	v_dual_cndmask_b32 v21, v59, v21 :: v_dual_cndmask_b32 v20, v58, v20
	s_delay_alu instid0(VALU_DEP_1) | instskip(NEXT) | instid1(VALU_DEP_1)
	v_add_f64_e32 v[58:59], v[18:19], v[20:21]
	v_add_f64_e32 v[20:21], 1.0, v[58:59]
	v_cmp_neq_f64_e64 s5, 0x7ff00000, v[58:59]
	v_cmp_ngt_f64_e64 s6, -1.0, v[58:59]
	s_delay_alu instid0(VALU_DEP_3) | instskip(SKIP_2) | instid1(VALU_DEP_3)
	v_frexp_mant_f64_e32 v[60:61], v[20:21]
	v_frexp_exp_i32_f64_e32 v67, v[20:21]
	v_add_f64_e32 v[62:63], -1.0, v[20:21]
	v_cmp_gt_f64_e32 vcc_lo, s[16:17], v[60:61]
	s_delay_alu instid0(VALU_DEP_2) | instskip(SKIP_2) | instid1(VALU_DEP_3)
	v_add_f64_e64 v[60:61], v[62:63], -v[20:21]
	v_add_f64_e64 v[62:63], v[58:59], -v[62:63]
	v_subrev_co_ci_u32_e64 v67, null, 0, v67, vcc_lo
	v_add_f64_e32 v[60:61], 1.0, v[60:61]
	v_cmp_nge_f64_e32 vcc_lo, -1.0, v[58:59]
	s_delay_alu instid0(VALU_DEP_3) | instskip(NEXT) | instid1(VALU_DEP_1)
	v_sub_nc_u32_e32 v70, 0, v67
	v_ldexp_f64 v[20:21], v[20:21], v70
	s_delay_alu instid0(VALU_DEP_4) | instskip(SKIP_1) | instid1(VALU_DEP_2)
	v_add_f64_e32 v[60:61], v[62:63], v[60:61]
	s_and_b32 vcc_lo, vcc_lo, s5
	v_add_f64_e32 v[68:69], 1.0, v[20:21]
	v_add_f64_e32 v[74:75], -1.0, v[20:21]
	s_delay_alu instid0(VALU_DEP_3) | instskip(NEXT) | instid1(VALU_DEP_3)
	v_ldexp_f64 v[60:61], v[60:61], v70
	v_add_f64_e32 v[62:63], -1.0, v[68:69]
	s_delay_alu instid0(VALU_DEP_3) | instskip(NEXT) | instid1(VALU_DEP_2)
	v_add_f64_e32 v[76:77], 1.0, v[74:75]
	v_add_f64_e64 v[62:63], v[20:21], -v[62:63]
	s_delay_alu instid0(VALU_DEP_2) | instskip(NEXT) | instid1(VALU_DEP_2)
	v_add_f64_e64 v[20:21], v[20:21], -v[76:77]
	v_add_f64_e32 v[62:63], v[60:61], v[62:63]
	s_delay_alu instid0(VALU_DEP_2) | instskip(NEXT) | instid1(VALU_DEP_2)
	v_add_f64_e32 v[20:21], v[60:61], v[20:21]
	v_add_f64_e32 v[70:71], v[68:69], v[62:63]
	s_delay_alu instid0(VALU_DEP_2) | instskip(NEXT) | instid1(VALU_DEP_2)
	v_add_f64_e32 v[76:77], v[74:75], v[20:21]
	v_rcp_f64_e32 v[72:73], v[70:71]
	v_add_f64_e64 v[68:69], v[70:71], -v[68:69]
	s_delay_alu instid0(VALU_DEP_2) | instskip(NEXT) | instid1(VALU_DEP_2)
	v_add_f64_e64 v[74:75], v[76:77], -v[74:75]
	v_add_f64_e64 v[62:63], v[62:63], -v[68:69]
	s_delay_alu instid0(VALU_DEP_2) | instskip(NEXT) | instid1(TRANS32_DEP_1)
	v_add_f64_e64 v[20:21], v[20:21], -v[74:75]
	v_fma_f64 v[78:79], -v[70:71], v[72:73], 1.0
	s_delay_alu instid0(VALU_DEP_1) | instskip(NEXT) | instid1(VALU_DEP_1)
	v_fmac_f64_e32 v[72:73], v[78:79], v[72:73]
	v_fma_f64 v[60:61], -v[70:71], v[72:73], 1.0
	s_delay_alu instid0(VALU_DEP_1) | instskip(NEXT) | instid1(VALU_DEP_1)
	v_fmac_f64_e32 v[72:73], v[60:61], v[72:73]
	v_mul_f64_e32 v[60:61], v[76:77], v[72:73]
	s_delay_alu instid0(VALU_DEP_1) | instskip(NEXT) | instid1(VALU_DEP_1)
	v_mul_f64_e32 v[78:79], v[70:71], v[60:61]
	v_fma_f64 v[68:69], v[60:61], v[70:71], -v[78:79]
	s_delay_alu instid0(VALU_DEP_1) | instskip(NEXT) | instid1(VALU_DEP_1)
	v_fmac_f64_e32 v[68:69], v[60:61], v[62:63]
	v_add_f64_e32 v[80:81], v[78:79], v[68:69]
	s_delay_alu instid0(VALU_DEP_1) | instskip(SKIP_1) | instid1(VALU_DEP_2)
	v_add_f64_e64 v[82:83], v[76:77], -v[80:81]
	v_add_f64_e64 v[74:75], v[80:81], -v[78:79]
	;; [unrolled: 1-line block ×3, first 2 shown]
	s_delay_alu instid0(VALU_DEP_2) | instskip(NEXT) | instid1(VALU_DEP_2)
	v_add_f64_e64 v[68:69], v[74:75], -v[68:69]
	v_add_f64_e64 v[76:77], v[76:77], -v[80:81]
	s_delay_alu instid0(VALU_DEP_1) | instskip(NEXT) | instid1(VALU_DEP_1)
	v_add_f64_e32 v[20:21], v[20:21], v[76:77]
	v_add_f64_e32 v[20:21], v[68:69], v[20:21]
	s_delay_alu instid0(VALU_DEP_1) | instskip(NEXT) | instid1(VALU_DEP_1)
	v_add_f64_e32 v[68:69], v[82:83], v[20:21]
	v_mul_f64_e32 v[74:75], v[72:73], v[68:69]
	v_add_f64_e64 v[80:81], v[82:83], -v[68:69]
	s_delay_alu instid0(VALU_DEP_2) | instskip(NEXT) | instid1(VALU_DEP_2)
	v_mul_f64_e32 v[76:77], v[70:71], v[74:75]
	v_add_f64_e32 v[20:21], v[20:21], v[80:81]
	s_delay_alu instid0(VALU_DEP_2) | instskip(NEXT) | instid1(VALU_DEP_1)
	v_fma_f64 v[70:71], v[74:75], v[70:71], -v[76:77]
	v_fmac_f64_e32 v[70:71], v[74:75], v[62:63]
	s_delay_alu instid0(VALU_DEP_1) | instskip(NEXT) | instid1(VALU_DEP_1)
	v_add_f64_e32 v[62:63], v[76:77], v[70:71]
	v_add_f64_e64 v[78:79], v[68:69], -v[62:63]
	v_add_f64_e64 v[76:77], v[62:63], -v[76:77]
	s_delay_alu instid0(VALU_DEP_2) | instskip(NEXT) | instid1(VALU_DEP_1)
	v_add_f64_e64 v[68:69], v[68:69], -v[78:79]
	v_add_f64_e64 v[62:63], v[68:69], -v[62:63]
	s_delay_alu instid0(VALU_DEP_3) | instskip(NEXT) | instid1(VALU_DEP_2)
	v_add_f64_e64 v[68:69], v[76:77], -v[70:71]
	v_add_f64_e32 v[20:21], v[20:21], v[62:63]
	v_add_f64_e32 v[62:63], v[60:61], v[74:75]
	s_delay_alu instid0(VALU_DEP_2) | instskip(NEXT) | instid1(VALU_DEP_2)
	v_add_f64_e32 v[20:21], v[68:69], v[20:21]
	v_add_f64_e64 v[60:61], v[62:63], -v[60:61]
	s_delay_alu instid0(VALU_DEP_2) | instskip(NEXT) | instid1(VALU_DEP_2)
	v_add_f64_e32 v[20:21], v[78:79], v[20:21]
	v_add_f64_e64 v[60:61], v[74:75], -v[60:61]
	s_delay_alu instid0(VALU_DEP_2) | instskip(NEXT) | instid1(VALU_DEP_1)
	v_mul_f64_e32 v[20:21], v[72:73], v[20:21]
	v_add_f64_e32 v[20:21], v[60:61], v[20:21]
	s_delay_alu instid0(VALU_DEP_1) | instskip(NEXT) | instid1(VALU_DEP_1)
	v_add_f64_e32 v[60:61], v[62:63], v[20:21]
	v_mul_f64_e32 v[68:69], v[60:61], v[60:61]
	s_delay_alu instid0(VALU_DEP_1) | instskip(SKIP_1) | instid1(VALU_DEP_2)
	v_fmamk_f64 v[70:71], v[68:69], 0x3fc3ab76bf559e2b, v[32:33]
	v_mul_f64_e32 v[72:73], v[60:61], v[68:69]
	v_fmaak_f64 v[70:71], v[68:69], v[70:71], 0x3fc7474dd7f4df2e
	s_delay_alu instid0(VALU_DEP_1) | instskip(NEXT) | instid1(VALU_DEP_1)
	v_fmaak_f64 v[70:71], v[68:69], v[70:71], 0x3fcc71c016291751
	v_fmaak_f64 v[70:71], v[68:69], v[70:71], 0x3fd249249b27acf1
	s_delay_alu instid0(VALU_DEP_1) | instskip(NEXT) | instid1(VALU_DEP_1)
	v_fmaak_f64 v[70:71], v[68:69], v[70:71], 0x3fd99999998ef7b6
	v_fmaak_f64 v[68:69], v[68:69], v[70:71], 0x3fe5555555555780
	v_ldexp_f64 v[70:71], v[60:61], 1
	v_add_f64_e64 v[60:61], v[60:61], -v[62:63]
	s_delay_alu instid0(VALU_DEP_3) | instskip(SKIP_1) | instid1(VALU_DEP_3)
	v_mul_f64_e32 v[68:69], v[72:73], v[68:69]
	v_cvt_f64_i32_e32 v[72:73], v67
	v_add_f64_e64 v[20:21], v[20:21], -v[60:61]
	s_delay_alu instid0(VALU_DEP_3) | instskip(NEXT) | instid1(VALU_DEP_3)
	v_add_f64_e32 v[62:63], v[70:71], v[68:69]
	v_mul_f64_e32 v[74:75], 0x3fe62e42fefa39ef, v[72:73]
	s_delay_alu instid0(VALU_DEP_3) | instskip(NEXT) | instid1(VALU_DEP_3)
	v_ldexp_f64 v[20:21], v[20:21], 1
	v_add_f64_e64 v[60:61], v[62:63], -v[70:71]
	s_delay_alu instid0(VALU_DEP_3) | instskip(NEXT) | instid1(VALU_DEP_2)
	v_fma_f64 v[70:71], v[72:73], s[22:23], -v[74:75]
	v_add_f64_e64 v[60:61], v[68:69], -v[60:61]
	s_delay_alu instid0(VALU_DEP_2) | instskip(NEXT) | instid1(VALU_DEP_2)
	v_fmac_f64_e32 v[70:71], 0x3c7abc9e3b39803f, v[72:73]
	v_add_f64_e32 v[20:21], v[20:21], v[60:61]
	s_delay_alu instid0(VALU_DEP_2) | instskip(NEXT) | instid1(VALU_DEP_2)
	v_add_f64_e32 v[60:61], v[74:75], v[70:71]
	v_add_f64_e32 v[68:69], v[62:63], v[20:21]
	s_delay_alu instid0(VALU_DEP_2) | instskip(NEXT) | instid1(VALU_DEP_2)
	v_add_f64_e64 v[74:75], v[60:61], -v[74:75]
	v_add_f64_e32 v[72:73], v[60:61], v[68:69]
	v_add_f64_e64 v[62:63], v[68:69], -v[62:63]
	s_delay_alu instid0(VALU_DEP_3) | instskip(NEXT) | instid1(VALU_DEP_3)
	v_add_f64_e64 v[70:71], v[70:71], -v[74:75]
	v_add_f64_e64 v[76:77], v[72:73], -v[60:61]
	s_delay_alu instid0(VALU_DEP_3) | instskip(NEXT) | instid1(VALU_DEP_2)
	v_add_f64_e64 v[20:21], v[20:21], -v[62:63]
	v_add_f64_e64 v[78:79], v[72:73], -v[76:77]
	;; [unrolled: 1-line block ×3, first 2 shown]
	s_delay_alu instid0(VALU_DEP_3) | instskip(NEXT) | instid1(VALU_DEP_3)
	v_add_f64_e32 v[68:69], v[70:71], v[20:21]
	v_add_f64_e64 v[60:61], v[60:61], -v[78:79]
	s_delay_alu instid0(VALU_DEP_1) | instskip(NEXT) | instid1(VALU_DEP_3)
	v_add_f64_e32 v[60:61], v[62:63], v[60:61]
	v_add_f64_e64 v[62:63], v[68:69], -v[70:71]
	s_delay_alu instid0(VALU_DEP_2) | instskip(NEXT) | instid1(VALU_DEP_2)
	v_add_f64_e32 v[60:61], v[68:69], v[60:61]
	v_add_f64_e64 v[68:69], v[68:69], -v[62:63]
	v_add_f64_e64 v[20:21], v[20:21], -v[62:63]
	s_delay_alu instid0(VALU_DEP_3) | instskip(NEXT) | instid1(VALU_DEP_3)
	v_add_f64_e32 v[74:75], v[72:73], v[60:61]
	v_add_f64_e64 v[68:69], v[70:71], -v[68:69]
	s_delay_alu instid0(VALU_DEP_2) | instskip(NEXT) | instid1(VALU_DEP_2)
	v_add_f64_e64 v[62:63], v[74:75], -v[72:73]
	v_add_f64_e32 v[20:21], v[20:21], v[68:69]
	s_delay_alu instid0(VALU_DEP_2) | instskip(NEXT) | instid1(VALU_DEP_1)
	v_add_f64_e64 v[60:61], v[60:61], -v[62:63]
	v_add_f64_e32 v[20:21], v[20:21], v[60:61]
	s_delay_alu instid0(VALU_DEP_1) | instskip(NEXT) | instid1(VALU_DEP_1)
	v_add_f64_e32 v[20:21], v[74:75], v[20:21]
	v_cndmask_b32_e32 v20, 0, v20, vcc_lo
	v_cmp_neq_f64_e32 vcc_lo, -1.0, v[58:59]
	s_delay_alu instid0(VALU_DEP_3) | instskip(NEXT) | instid1(VALU_DEP_1)
	v_cndmask_b32_e64 v21, 0x7ff00000, v21, s5
	v_cndmask_b32_e64 v21, 0x7ff80000, v21, s6
	s_delay_alu instid0(VALU_DEP_1)
	v_cndmask_b32_e32 v21, 0xfff00000, v21, vcc_lo
.LBB42_650:                             ;   in Loop: Header=BB42_417 Depth=1
	s_and_not1_saveexec_b32 s5, s51
	s_cbranch_execz .LBB42_652
; %bb.651:                              ;   in Loop: Header=BB42_417 Depth=1
	v_add_f64_e64 v[20:21], -|v[10:11]|, 1.0
	s_delay_alu instid0(VALU_DEP_1) | instskip(NEXT) | instid1(VALU_DEP_1)
	v_mul_f64_e32 v[20:21], v[20:21], v[50:51]
	v_cmp_gt_f64_e32 vcc_lo, 0x10000000, v[20:21]
	v_cndmask_b32_e64 v58, 0, 0x100, vcc_lo
	s_delay_alu instid0(VALU_DEP_1) | instskip(NEXT) | instid1(VALU_DEP_1)
	v_ldexp_f64 v[20:21], v[20:21], v58
	v_rsq_f64_e32 v[58:59], v[20:21]
	v_nop
	s_delay_alu instid0(TRANS32_DEP_1) | instskip(SKIP_1) | instid1(VALU_DEP_1)
	v_mul_f64_e32 v[60:61], v[20:21], v[58:59]
	v_mul_f64_e32 v[58:59], 0.5, v[58:59]
	v_fma_f64 v[62:63], -v[58:59], v[60:61], 0.5
	s_delay_alu instid0(VALU_DEP_1) | instskip(SKIP_1) | instid1(VALU_DEP_2)
	v_fmac_f64_e32 v[60:61], v[60:61], v[62:63]
	v_fmac_f64_e32 v[58:59], v[58:59], v[62:63]
	v_fma_f64 v[62:63], -v[60:61], v[60:61], v[20:21]
	s_delay_alu instid0(VALU_DEP_1) | instskip(NEXT) | instid1(VALU_DEP_1)
	v_fmac_f64_e32 v[60:61], v[62:63], v[58:59]
	v_fma_f64 v[62:63], -v[60:61], v[60:61], v[20:21]
	s_delay_alu instid0(VALU_DEP_1) | instskip(SKIP_2) | instid1(VALU_DEP_2)
	v_fmac_f64_e32 v[60:61], v[62:63], v[58:59]
	v_cndmask_b32_e64 v58, 0, 0xffffff80, vcc_lo
	v_cmp_class_f64_e64 vcc_lo, v[20:21], 0x260
	v_ldexp_f64 v[58:59], v[60:61], v58
	v_dual_mov_b32 v60, v12 :: v_dual_mov_b32 v61, v57
	s_delay_alu instid0(VALU_DEP_2) | instskip(NEXT) | instid1(VALU_DEP_1)
	v_dual_cndmask_b32 v20, v58, v20 :: v_dual_cndmask_b32 v21, v59, v21
	v_div_scale_f64 v[58:59], null, v[20:21], v[20:21], v[60:61]
	v_div_scale_f64 v[60:61], vcc_lo, v[60:61], v[20:21], v[60:61]
	s_delay_alu instid0(VALU_DEP_2) | instskip(SKIP_1) | instid1(TRANS32_DEP_1)
	v_rcp_f64_e32 v[62:63], v[58:59]
	v_nop
	v_fma_f64 v[68:69], -v[58:59], v[62:63], 1.0
	s_delay_alu instid0(VALU_DEP_1) | instskip(NEXT) | instid1(VALU_DEP_1)
	v_fmac_f64_e32 v[62:63], v[62:63], v[68:69]
	v_fma_f64 v[68:69], -v[58:59], v[62:63], 1.0
	s_delay_alu instid0(VALU_DEP_1) | instskip(NEXT) | instid1(VALU_DEP_1)
	v_fmac_f64_e32 v[62:63], v[62:63], v[68:69]
	v_mul_f64_e32 v[68:69], v[60:61], v[62:63]
	s_delay_alu instid0(VALU_DEP_1) | instskip(NEXT) | instid1(VALU_DEP_1)
	v_fma_f64 v[58:59], -v[58:59], v[68:69], v[60:61]
	v_div_fmas_f64 v[58:59], v[58:59], v[62:63], v[68:69]
	s_delay_alu instid0(VALU_DEP_1)
	v_div_fixup_f64 v[20:21], v[58:59], v[20:21], |v[12:13]|
.LBB42_652:                             ;   in Loop: Header=BB42_417 Depth=1
	s_or_b32 exec_lo, exec_lo, s5
.LBB42_653:                             ;   in Loop: Header=BB42_417 Depth=1
	s_delay_alu instid0(SALU_CYCLE_1)
	s_or_b32 exec_lo, exec_lo, s50
.LBB42_654:                             ;   in Loop: Header=BB42_417 Depth=1
	s_and_not1_saveexec_b32 s5, s49
	s_cbranch_execz .LBB42_656
; %bb.655:                              ;   in Loop: Header=BB42_417 Depth=1
	v_cmp_gt_f64_e64 s6, 0x10000000, |v[12:13]|
	s_delay_alu instid0(VALU_DEP_1) | instskip(NEXT) | instid1(VALU_DEP_1)
	v_cndmask_b32_e64 v20, 0, 0x100, s6
	v_ldexp_f64 v[20:21], |v[12:13]|, v20
	s_delay_alu instid0(VALU_DEP_1) | instskip(SKIP_1) | instid1(TRANS32_DEP_1)
	v_rsq_f64_e32 v[58:59], v[20:21]
	v_cmp_class_f64_e64 vcc_lo, v[20:21], 0x260
	v_mul_f64_e32 v[60:61], v[20:21], v[58:59]
	v_mul_f64_e32 v[58:59], 0.5, v[58:59]
	s_delay_alu instid0(VALU_DEP_1) | instskip(NEXT) | instid1(VALU_DEP_1)
	v_fma_f64 v[62:63], -v[58:59], v[60:61], 0.5
	v_fmac_f64_e32 v[60:61], v[60:61], v[62:63]
	v_fmac_f64_e32 v[58:59], v[58:59], v[62:63]
	s_delay_alu instid0(VALU_DEP_2) | instskip(NEXT) | instid1(VALU_DEP_1)
	v_fma_f64 v[62:63], -v[60:61], v[60:61], v[20:21]
	v_fmac_f64_e32 v[60:61], v[62:63], v[58:59]
	s_delay_alu instid0(VALU_DEP_1) | instskip(NEXT) | instid1(VALU_DEP_1)
	v_fma_f64 v[62:63], -v[60:61], v[60:61], v[20:21]
	v_fmac_f64_e32 v[60:61], v[62:63], v[58:59]
	v_cndmask_b32_e64 v58, 0, 0xffffff80, s6
	s_delay_alu instid0(VALU_DEP_1) | instskip(NEXT) | instid1(VALU_DEP_1)
	v_ldexp_f64 v[58:59], v[60:61], v58
	v_dual_cndmask_b32 v21, v59, v21 :: v_dual_cndmask_b32 v20, v58, v20
.LBB42_656:                             ;   in Loop: Header=BB42_417 Depth=1
	s_or_b32 exec_lo, exec_lo, s5
.LBB42_657:                             ;   in Loop: Header=BB42_417 Depth=1
	s_delay_alu instid0(SALU_CYCLE_1) | instskip(SKIP_2) | instid1(SALU_CYCLE_1)
	s_or_b32 exec_lo, exec_lo, s48
	v_cmp_ngt_f64_e64 s6, 0x20200000, |v[10:11]|
                                        ; implicit-def: $sgpr5
                                        ; implicit-def: $vgpr58_vgpr59
                                        ; implicit-def: $vgpr62_vgpr63
                                        ; implicit-def: $vgpr60_vgpr61
	s_and_saveexec_b32 s48, s6
	s_xor_b32 s6, exec_lo, s48
	s_cbranch_execz .LBB42_681
; %bb.658:                              ;   in Loop: Header=BB42_417 Depth=1
	v_and_b32_e32 v61, 0x7fffffff, v11
	v_mov_b32_e32 v60, v10
	s_mov_b32 s5, 0
	s_mov_b32 s48, exec_lo
	s_delay_alu instid0(VALU_DEP_1) | instskip(NEXT) | instid1(VALU_DEP_1)
	v_div_scale_f64 v[58:59], null, v[48:49], v[48:49], v[60:61]
	v_rcp_f64_e32 v[62:63], v[58:59]
	v_nop
	s_delay_alu instid0(TRANS32_DEP_1) | instskip(NEXT) | instid1(VALU_DEP_1)
	v_fma_f64 v[68:69], -v[58:59], v[62:63], 1.0
	v_fmac_f64_e32 v[62:63], v[62:63], v[68:69]
	s_delay_alu instid0(VALU_DEP_1) | instskip(NEXT) | instid1(VALU_DEP_1)
	v_fma_f64 v[68:69], -v[58:59], v[62:63], 1.0
	v_fmac_f64_e32 v[62:63], v[62:63], v[68:69]
	v_div_scale_f64 v[68:69], vcc_lo, v[60:61], v[48:49], v[60:61]
	s_delay_alu instid0(VALU_DEP_1) | instskip(NEXT) | instid1(VALU_DEP_1)
	v_mul_f64_e32 v[70:71], v[68:69], v[62:63]
	v_fma_f64 v[58:59], -v[58:59], v[70:71], v[68:69]
	s_delay_alu instid0(VALU_DEP_1) | instskip(NEXT) | instid1(VALU_DEP_1)
	v_div_fmas_f64 v[58:59], v[58:59], v[62:63], v[70:71]
                                        ; implicit-def: $vgpr62_vgpr63
	v_div_fixup_f64 v[58:59], v[58:59], v[48:49], |v[10:11]|
	s_delay_alu instid0(VALU_DEP_1)
	v_cmpx_lt_f64_e32 s[24:25], v[58:59]
	s_cbranch_execz .LBB42_680
; %bb.659:                              ;   in Loop: Header=BB42_417 Depth=1
	v_cmp_neq_f64_e64 s5, |v[10:11]|, 1.0
	v_cmp_ngt_f64_e64 s49, 0x3c400000, |v[12:13]|
                                        ; implicit-def: $vgpr62_vgpr63
	s_or_b32 s5, s49, s5
	s_delay_alu instid0(SALU_CYCLE_1) | instskip(NEXT) | instid1(SALU_CYCLE_1)
	s_and_saveexec_b32 s49, s5
	s_xor_b32 s5, exec_lo, s49
	s_cbranch_execz .LBB42_677
; %bb.660:                              ;   in Loop: Header=BB42_417 Depth=1
	v_ldexp_f64 v[62:63], |v[18:19]|, 0xffffffcc
	s_delay_alu instid0(VALU_DEP_1) | instskip(SKIP_1) | instid1(SALU_CYCLE_1)
	v_cmp_ge_f64_e64 s49, |v[12:13]|, v[62:63]
                                        ; implicit-def: $vgpr62_vgpr63
	s_and_saveexec_b32 s50, s49
	s_xor_b32 s49, exec_lo, s50
	s_cbranch_execz .LBB42_670
; %bb.661:                              ;   in Loop: Header=BB42_417 Depth=1
	v_mov_b64_e32 v[62:63], v[56:57]
	s_mov_b32 s50, exec_lo
	v_cmpx_neq_f64_e32 0, v[50:51]
	s_cbranch_execz .LBB42_663
; %bb.662:                              ;   in Loop: Header=BB42_417 Depth=1
	v_mul_f64_e32 v[62:63], v[12:13], v[12:13]
	v_add_f64_e32 v[50:51], v[50:51], v[54:55]
	s_delay_alu instid0(VALU_DEP_1) | instskip(NEXT) | instid1(VALU_DEP_1)
	v_div_scale_f64 v[54:55], null, v[50:51], v[50:51], v[62:63]
	v_rcp_f64_e32 v[68:69], v[54:55]
	v_nop
	s_delay_alu instid0(TRANS32_DEP_1) | instskip(NEXT) | instid1(VALU_DEP_1)
	v_fma_f64 v[70:71], -v[54:55], v[68:69], 1.0
	v_fmac_f64_e32 v[68:69], v[68:69], v[70:71]
	s_delay_alu instid0(VALU_DEP_1) | instskip(NEXT) | instid1(VALU_DEP_1)
	v_fma_f64 v[70:71], -v[54:55], v[68:69], 1.0
	v_fmac_f64_e32 v[68:69], v[68:69], v[70:71]
	v_div_scale_f64 v[70:71], vcc_lo, v[62:63], v[50:51], v[62:63]
	s_delay_alu instid0(VALU_DEP_1) | instskip(NEXT) | instid1(VALU_DEP_1)
	v_mul_f64_e32 v[72:73], v[70:71], v[68:69]
	v_fma_f64 v[54:55], -v[54:55], v[72:73], v[70:71]
	s_delay_alu instid0(VALU_DEP_1) | instskip(NEXT) | instid1(VALU_DEP_1)
	v_div_fmas_f64 v[54:55], v[54:55], v[68:69], v[72:73]
	v_div_fixup_f64 v[62:63], v[54:55], v[50:51], v[62:63]
.LBB42_663:                             ;   in Loop: Header=BB42_417 Depth=1
	s_or_b32 exec_lo, exec_lo, s50
	s_delay_alu instid0(SALU_CYCLE_1)
	s_mov_b32 s50, exec_lo
	v_cmpx_ngt_f64_e32 0, v[18:19]
	s_xor_b32 s50, exec_lo, s50
	s_cbranch_execz .LBB42_667
; %bb.664:                              ;   in Loop: Header=BB42_417 Depth=1
	s_mov_b32 s51, exec_lo
	v_cmpx_neq_f64_e32 0, v[18:19]
	s_cbranch_execz .LBB42_666
; %bb.665:                              ;   in Loop: Header=BB42_417 Depth=1
	v_mul_f64_e32 v[12:13], v[12:13], v[12:13]
	v_add_f64_e32 v[18:19], v[18:19], v[52:53]
	s_delay_alu instid0(VALU_DEP_1) | instskip(NEXT) | instid1(VALU_DEP_1)
	v_div_scale_f64 v[50:51], null, v[18:19], v[18:19], v[12:13]
	v_rcp_f64_e32 v[52:53], v[50:51]
	v_nop
	s_delay_alu instid0(TRANS32_DEP_1) | instskip(NEXT) | instid1(VALU_DEP_1)
	v_fma_f64 v[54:55], -v[50:51], v[52:53], 1.0
	v_fmac_f64_e32 v[52:53], v[52:53], v[54:55]
	s_delay_alu instid0(VALU_DEP_1) | instskip(NEXT) | instid1(VALU_DEP_1)
	v_fma_f64 v[54:55], -v[50:51], v[52:53], 1.0
	v_fmac_f64_e32 v[52:53], v[52:53], v[54:55]
	v_div_scale_f64 v[54:55], vcc_lo, v[12:13], v[18:19], v[12:13]
	s_delay_alu instid0(VALU_DEP_1) | instskip(NEXT) | instid1(VALU_DEP_1)
	v_mul_f64_e32 v[56:57], v[54:55], v[52:53]
	v_fma_f64 v[50:51], -v[50:51], v[56:57], v[54:55]
	s_delay_alu instid0(VALU_DEP_1) | instskip(NEXT) | instid1(VALU_DEP_1)
	v_div_fmas_f64 v[50:51], v[50:51], v[52:53], v[56:57]
	v_div_fixup_f64 v[56:57], v[50:51], v[18:19], v[12:13]
.LBB42_666:                             ;   in Loop: Header=BB42_417 Depth=1
	s_or_b32 exec_lo, exec_lo, s51
                                        ; implicit-def: $vgpr18_vgpr19
                                        ; implicit-def: $vgpr52_vgpr53
.LBB42_667:                             ;   in Loop: Header=BB42_417 Depth=1
	s_and_not1_saveexec_b32 s50, s50
; %bb.668:                              ;   in Loop: Header=BB42_417 Depth=1
	v_add_f64_e64 v[56:57], v[52:53], -v[18:19]
; %bb.669:                              ;   in Loop: Header=BB42_417 Depth=1
	s_or_b32 exec_lo, exec_lo, s50
	s_delay_alu instid0(VALU_DEP_1) | instskip(SKIP_1) | instid1(VALU_DEP_2)
	v_mul_f64_e32 v[12:13], 0.5, v[56:57]
	v_add_f64_e64 v[18:19], |v[10:11]|, v[48:49]
	v_fmac_f64_e32 v[12:13], 0.5, v[62:63]
	s_delay_alu instid0(VALU_DEP_1) | instskip(NEXT) | instid1(VALU_DEP_1)
	v_mul_f64_e32 v[12:13], v[18:19], v[12:13]
	v_cmp_gt_f64_e32 vcc_lo, 0x10000000, v[12:13]
	v_cndmask_b32_e64 v18, 0, 0x100, vcc_lo
	s_delay_alu instid0(VALU_DEP_1) | instskip(NEXT) | instid1(VALU_DEP_1)
	v_ldexp_f64 v[12:13], v[12:13], v18
	v_rsq_f64_e32 v[18:19], v[12:13]
	v_nop
	s_delay_alu instid0(TRANS32_DEP_1) | instskip(SKIP_1) | instid1(VALU_DEP_1)
	v_mul_f64_e32 v[48:49], v[12:13], v[18:19]
	v_mul_f64_e32 v[18:19], 0.5, v[18:19]
	v_fma_f64 v[50:51], -v[18:19], v[48:49], 0.5
	s_delay_alu instid0(VALU_DEP_1) | instskip(SKIP_1) | instid1(VALU_DEP_2)
	v_fmac_f64_e32 v[48:49], v[48:49], v[50:51]
	v_fmac_f64_e32 v[18:19], v[18:19], v[50:51]
	v_fma_f64 v[50:51], -v[48:49], v[48:49], v[12:13]
	s_delay_alu instid0(VALU_DEP_1) | instskip(NEXT) | instid1(VALU_DEP_1)
	v_fmac_f64_e32 v[48:49], v[50:51], v[18:19]
	v_fma_f64 v[50:51], -v[48:49], v[48:49], v[12:13]
	s_delay_alu instid0(VALU_DEP_1) | instskip(SKIP_2) | instid1(VALU_DEP_2)
	v_fmac_f64_e32 v[48:49], v[50:51], v[18:19]
	v_cndmask_b32_e64 v18, 0, 0xffffff80, vcc_lo
	v_cmp_class_f64_e64 vcc_lo, v[12:13], 0x260
                                        ; implicit-def: $vgpr50_vgpr51
	v_ldexp_f64 v[18:19], v[48:49], v18
	s_delay_alu instid0(VALU_DEP_1)
	v_dual_cndmask_b32 v63, v19, v13 :: v_dual_cndmask_b32 v62, v18, v12
                                        ; implicit-def: $vgpr18_vgpr19
.LBB42_670:                             ;   in Loop: Header=BB42_417 Depth=1
	s_and_not1_saveexec_b32 s49, s49
	s_cbranch_execz .LBB42_676
; %bb.671:                              ;   in Loop: Header=BB42_417 Depth=1
	v_cmp_ngt_f64_e64 s50, |v[10:11]|, 1.0
                                        ; implicit-def: $vgpr62_vgpr63
	s_and_saveexec_b32 s51, s50
	s_delay_alu instid0(SALU_CYCLE_1)
	s_xor_b32 s50, exec_lo, s51
	s_cbranch_execz .LBB42_673
; %bb.672:                              ;   in Loop: Header=BB42_417 Depth=1
	v_add_f64_e64 v[12:13], -|v[10:11]|, 1.0
	s_delay_alu instid0(VALU_DEP_1) | instskip(NEXT) | instid1(VALU_DEP_1)
	v_mul_f64_e32 v[12:13], v[12:13], v[50:51]
	v_cmp_gt_f64_e32 vcc_lo, 0x10000000, v[12:13]
	v_cndmask_b32_e64 v18, 0, 0x100, vcc_lo
	s_delay_alu instid0(VALU_DEP_1) | instskip(NEXT) | instid1(VALU_DEP_1)
	v_ldexp_f64 v[12:13], v[12:13], v18
	v_rsq_f64_e32 v[18:19], v[12:13]
	v_nop
	s_delay_alu instid0(TRANS32_DEP_1) | instskip(SKIP_1) | instid1(VALU_DEP_1)
	v_mul_f64_e32 v[48:49], v[12:13], v[18:19]
	v_mul_f64_e32 v[18:19], 0.5, v[18:19]
	v_fma_f64 v[50:51], -v[18:19], v[48:49], 0.5
	s_delay_alu instid0(VALU_DEP_1) | instskip(SKIP_1) | instid1(VALU_DEP_2)
	v_fmac_f64_e32 v[48:49], v[48:49], v[50:51]
	v_fmac_f64_e32 v[18:19], v[18:19], v[50:51]
	v_fma_f64 v[50:51], -v[48:49], v[48:49], v[12:13]
	s_delay_alu instid0(VALU_DEP_1) | instskip(NEXT) | instid1(VALU_DEP_1)
	v_fmac_f64_e32 v[48:49], v[50:51], v[18:19]
	v_fma_f64 v[50:51], -v[48:49], v[48:49], v[12:13]
	s_delay_alu instid0(VALU_DEP_1) | instskip(SKIP_2) | instid1(VALU_DEP_2)
	v_fmac_f64_e32 v[48:49], v[50:51], v[18:19]
	v_cndmask_b32_e64 v18, 0, 0xffffff80, vcc_lo
	v_cmp_class_f64_e64 vcc_lo, v[12:13], 0x260
                                        ; implicit-def: $vgpr50_vgpr51
	v_ldexp_f64 v[18:19], v[48:49], v18
	s_delay_alu instid0(VALU_DEP_1)
	v_dual_cndmask_b32 v63, v19, v13 :: v_dual_cndmask_b32 v62, v18, v12
                                        ; implicit-def: $vgpr18_vgpr19
.LBB42_673:                             ;   in Loop: Header=BB42_417 Depth=1
	s_and_not1_saveexec_b32 s50, s50
	s_cbranch_execz .LBB42_675
; %bb.674:                              ;   in Loop: Header=BB42_417 Depth=1
	v_mul_f64_e32 v[18:19], v[50:51], v[18:19]
	v_ldexp_f64 v[12:13], |v[12:13]|, 0x6a
	v_ldexp_f64 v[60:61], |v[10:11]|, 0x6a
	s_delay_alu instid0(VALU_DEP_3) | instskip(NEXT) | instid1(VALU_DEP_3)
	v_cmp_gt_f64_e32 vcc_lo, 0x10000000, v[18:19]
	v_mul_f64_e64 v[12:13], |v[10:11]|, v[12:13]
	v_cndmask_b32_e64 v48, 0, 0x100, vcc_lo
	s_delay_alu instid0(VALU_DEP_1) | instskip(NEXT) | instid1(VALU_DEP_1)
	v_ldexp_f64 v[18:19], v[18:19], v48
	v_rsq_f64_e32 v[48:49], v[18:19]
	v_nop
	s_delay_alu instid0(TRANS32_DEP_1) | instskip(SKIP_1) | instid1(VALU_DEP_1)
	v_mul_f64_e32 v[50:51], v[18:19], v[48:49]
	v_mul_f64_e32 v[48:49], 0.5, v[48:49]
	v_fma_f64 v[52:53], -v[48:49], v[50:51], 0.5
	s_delay_alu instid0(VALU_DEP_1) | instskip(SKIP_1) | instid1(VALU_DEP_2)
	v_fmac_f64_e32 v[50:51], v[50:51], v[52:53]
	v_fmac_f64_e32 v[48:49], v[48:49], v[52:53]
	v_fma_f64 v[52:53], -v[50:51], v[50:51], v[18:19]
	s_delay_alu instid0(VALU_DEP_1) | instskip(NEXT) | instid1(VALU_DEP_1)
	v_fmac_f64_e32 v[50:51], v[52:53], v[48:49]
	v_fma_f64 v[52:53], -v[50:51], v[50:51], v[18:19]
	s_delay_alu instid0(VALU_DEP_1) | instskip(SKIP_2) | instid1(VALU_DEP_2)
	v_fmac_f64_e32 v[50:51], v[52:53], v[48:49]
	v_cndmask_b32_e64 v48, 0, 0xffffff80, vcc_lo
	v_cmp_class_f64_e64 vcc_lo, v[18:19], 0x260
	v_ldexp_f64 v[48:49], v[50:51], v48
	s_delay_alu instid0(VALU_DEP_1) | instskip(NEXT) | instid1(VALU_DEP_1)
	v_dual_cndmask_b32 v19, v49, v19 :: v_dual_cndmask_b32 v18, v48, v18
	v_div_scale_f64 v[48:49], null, v[18:19], v[18:19], v[12:13]
	v_div_scale_f64 v[54:55], vcc_lo, v[12:13], v[18:19], v[12:13]
	s_delay_alu instid0(VALU_DEP_2) | instskip(SKIP_1) | instid1(TRANS32_DEP_1)
	v_rcp_f64_e32 v[50:51], v[48:49]
	v_nop
	v_fma_f64 v[52:53], -v[48:49], v[50:51], 1.0
	s_delay_alu instid0(VALU_DEP_1) | instskip(NEXT) | instid1(VALU_DEP_1)
	v_fmac_f64_e32 v[50:51], v[50:51], v[52:53]
	v_fma_f64 v[52:53], -v[48:49], v[50:51], 1.0
	s_delay_alu instid0(VALU_DEP_1) | instskip(NEXT) | instid1(VALU_DEP_1)
	v_fmac_f64_e32 v[50:51], v[50:51], v[52:53]
	v_mul_f64_e32 v[52:53], v[54:55], v[50:51]
	s_delay_alu instid0(VALU_DEP_1) | instskip(NEXT) | instid1(VALU_DEP_1)
	v_fma_f64 v[48:49], -v[48:49], v[52:53], v[54:55]
	v_div_fmas_f64 v[48:49], v[48:49], v[50:51], v[52:53]
	s_delay_alu instid0(VALU_DEP_1)
	v_div_fixup_f64 v[62:63], v[48:49], v[18:19], v[12:13]
.LBB42_675:                             ;   in Loop: Header=BB42_417 Depth=1
	s_or_b32 exec_lo, exec_lo, s50
.LBB42_676:                             ;   in Loop: Header=BB42_417 Depth=1
	s_delay_alu instid0(SALU_CYCLE_1)
	s_or_b32 exec_lo, exec_lo, s49
                                        ; implicit-def: $vgpr48_vgpr49
.LBB42_677:                             ;   in Loop: Header=BB42_417 Depth=1
	s_and_not1_saveexec_b32 s49, s5
	s_cbranch_execz .LBB42_679
; %bb.678:                              ;   in Loop: Header=BB42_417 Depth=1
	v_cmp_gt_f64_e64 s5, 0x10000000, |v[12:13]|
	v_add_f64_e32 v[18:19], 1.0, v[48:49]
	s_delay_alu instid0(VALU_DEP_2) | instskip(NEXT) | instid1(VALU_DEP_1)
	v_cndmask_b32_e64 v48, 0, 0x100, s5
	v_ldexp_f64 v[12:13], |v[12:13]|, v48
	s_delay_alu instid0(VALU_DEP_3) | instskip(NEXT) | instid1(VALU_DEP_1)
	v_mul_f64_e32 v[18:19], 0.5, v[18:19]
	v_cmp_gt_f64_e32 vcc_lo, 0x10000000, v[18:19]
	v_cndmask_b32_e64 v49, 0, 0x100, vcc_lo
	s_delay_alu instid0(VALU_DEP_1) | instskip(SKIP_1) | instid1(VALU_DEP_1)
	v_ldexp_f64 v[18:19], v[18:19], v49
	v_rsq_f64_e32 v[48:49], v[12:13]
	v_rsq_f64_e32 v[50:51], v[18:19]
	v_nop
	s_delay_alu instid0(TRANS32_DEP_1) | instskip(SKIP_1) | instid1(VALU_DEP_1)
	v_mul_f64_e32 v[54:55], v[18:19], v[50:51]
	v_mul_f64_e32 v[50:51], 0.5, v[50:51]
	v_fma_f64 v[60:61], -v[50:51], v[54:55], 0.5
	s_delay_alu instid0(VALU_DEP_1) | instskip(SKIP_1) | instid1(VALU_DEP_2)
	v_fmac_f64_e32 v[54:55], v[54:55], v[60:61]
	v_fmac_f64_e32 v[50:51], v[50:51], v[60:61]
	v_fma_f64 v[60:61], -v[54:55], v[54:55], v[18:19]
	s_delay_alu instid0(VALU_DEP_1) | instskip(NEXT) | instid1(VALU_DEP_1)
	v_fmac_f64_e32 v[54:55], v[60:61], v[50:51]
	v_fma_f64 v[60:61], -v[54:55], v[54:55], v[18:19]
	s_delay_alu instid0(VALU_DEP_1) | instskip(SKIP_3) | instid1(VALU_DEP_3)
	v_fmac_f64_e32 v[54:55], v[60:61], v[50:51]
	v_cndmask_b32_e64 v50, 0, 0xffffff80, vcc_lo
	v_cmp_class_f64_e64 vcc_lo, v[12:13], 0x260
	v_mov_b64_e32 v[60:61], 1.0
	v_ldexp_f64 v[50:51], v[54:55], v50
	s_delay_alu instid0(TRANS32_DEP_2) | instskip(SKIP_1) | instid1(VALU_DEP_1)
	v_mul_f64_e32 v[52:53], v[12:13], v[48:49]
	v_mul_f64_e32 v[48:49], 0.5, v[48:49]
	v_fma_f64 v[56:57], -v[48:49], v[52:53], 0.5
	s_delay_alu instid0(VALU_DEP_1) | instskip(SKIP_1) | instid1(VALU_DEP_2)
	v_fmac_f64_e32 v[52:53], v[52:53], v[56:57]
	v_fmac_f64_e32 v[48:49], v[48:49], v[56:57]
	v_fma_f64 v[56:57], -v[52:53], v[52:53], v[12:13]
	s_delay_alu instid0(VALU_DEP_1) | instskip(NEXT) | instid1(VALU_DEP_1)
	v_fmac_f64_e32 v[52:53], v[56:57], v[48:49]
	v_fma_f64 v[56:57], -v[52:53], v[52:53], v[12:13]
	s_delay_alu instid0(VALU_DEP_1) | instskip(SKIP_2) | instid1(VALU_DEP_2)
	v_fmac_f64_e32 v[52:53], v[56:57], v[48:49]
	v_cndmask_b32_e64 v48, 0, 0xffffff80, s5
	v_cmp_class_f64_e64 s5, v[18:19], 0x260
	v_ldexp_f64 v[48:49], v[52:53], v48
	s_delay_alu instid0(VALU_DEP_2) | instskip(NEXT) | instid1(VALU_DEP_2)
	v_dual_cndmask_b32 v19, v51, v19, s5 :: v_dual_cndmask_b32 v18, v50, v18, s5
	v_dual_cndmask_b32 v13, v49, v13 :: v_dual_cndmask_b32 v12, v48, v12
	s_delay_alu instid0(VALU_DEP_1)
	v_mul_f64_e32 v[62:63], v[12:13], v[18:19]
.LBB42_679:                             ;   in Loop: Header=BB42_417 Depth=1
	s_or_b32 exec_lo, exec_lo, s49
	s_delay_alu instid0(SALU_CYCLE_1)
	s_mov_b32 s5, exec_lo
.LBB42_680:                             ;   in Loop: Header=BB42_417 Depth=1
	s_or_b32 exec_lo, exec_lo, s48
                                        ; implicit-def: $vgpr48_vgpr49
.LBB42_681:                             ;   in Loop: Header=BB42_417 Depth=1
	s_and_not1_saveexec_b32 s6, s6
	s_cbranch_execz .LBB42_683
; %bb.682:                              ;   in Loop: Header=BB42_417 Depth=1
	v_ldexp_f64 v[62:63], v[48:49], 53
	v_ldexp_f64 v[60:61], |v[10:11]|, 53
	s_or_b32 s5, s5, exec_lo
                                        ; implicit-def: $vgpr58_vgpr59
.LBB42_683:                             ;   in Loop: Header=BB42_417 Depth=1
	s_or_b32 exec_lo, exec_lo, s6
	s_xor_b32 s5, s5, -1
	v_cmp_lt_i64_e32 vcc_lo, -1, v[10:11]
	s_and_saveexec_b32 s6, s5
	s_delay_alu instid0(SALU_CYCLE_1)
	s_xor_b32 s6, exec_lo, s6
	s_cbranch_execz .LBB42_693
; %bb.684:                              ;   in Loop: Header=BB42_417 Depth=1
	s_delay_alu instid0(VALU_DEP_4) | instskip(NEXT) | instid1(SALU_CYCLE_1)
	s_and_saveexec_b32 s5, vcc_lo
	s_xor_b32 s48, exec_lo, s5
	s_cbranch_execz .LBB42_688
; %bb.685:                              ;   in Loop: Header=BB42_417 Depth=1
	v_fma_f64 v[12:13], |v[58:59]|, -0.5, 0.5
	v_mul_f64_e32 v[10:11], v[58:59], v[58:59]
	v_cmp_ge_f64_e64 s5, |v[58:59]|, 0.5
	s_delay_alu instid0(VALU_DEP_1) | instskip(NEXT) | instid1(VALU_DEP_1)
	v_dual_cndmask_b32 v11, v11, v13, s5 :: v_dual_cndmask_b32 v10, v10, v12, s5
	v_fmamk_f64 v[18:19], v[10:11], 0x3fa059859fea6a70, v[34:35]
	s_delay_alu instid0(VALU_DEP_1) | instskip(NEXT) | instid1(VALU_DEP_1)
	v_fmaak_f64 v[18:19], v[10:11], v[18:19], 0x3f94052137024d6a
	v_fmaak_f64 v[18:19], v[10:11], v[18:19], 0x3f7ab3a098a70509
	s_delay_alu instid0(VALU_DEP_1) | instskip(NEXT) | instid1(VALU_DEP_1)
	v_fmaak_f64 v[18:19], v[10:11], v[18:19], 0x3f88ed60a300c8d2
	v_fmaak_f64 v[18:19], v[10:11], v[18:19], 0x3f8c6fa84b77012b
	;; [unrolled: 3-line block ×5, first 2 shown]
	s_delay_alu instid0(VALU_DEP_1) | instskip(NEXT) | instid1(VALU_DEP_1)
	v_mul_f64_e32 v[10:11], v[10:11], v[18:19]
	v_fma_f64 v[18:19], v[58:59], v[10:11], v[58:59]
	s_delay_alu instid0(VALU_DEP_1)
	v_fma_f64 v[18:19], s[28:29], s[26:27], -v[18:19]
	s_and_saveexec_b32 s49, s5
	s_cbranch_execz .LBB42_687
; %bb.686:                              ;   in Loop: Header=BB42_417 Depth=1
	v_rsq_f64_e32 v[18:19], v[12:13]
	v_cmp_eq_f64_e64 s5, 0, v[12:13]
	s_delay_alu instid0(TRANS32_DEP_1) | instskip(SKIP_1) | instid1(VALU_DEP_1)
	v_mul_f64_e32 v[48:49], v[12:13], v[18:19]
	v_mul_f64_e32 v[18:19], 0.5, v[18:19]
	v_fma_f64 v[50:51], -v[18:19], v[48:49], 0.5
	s_delay_alu instid0(VALU_DEP_1) | instskip(SKIP_1) | instid1(VALU_DEP_2)
	v_fmac_f64_e32 v[48:49], v[48:49], v[50:51]
	v_fmac_f64_e32 v[18:19], v[18:19], v[50:51]
	v_fma_f64 v[50:51], -v[48:49], v[48:49], v[12:13]
	s_delay_alu instid0(VALU_DEP_1) | instskip(NEXT) | instid1(VALU_DEP_1)
	v_fmac_f64_e32 v[48:49], v[50:51], v[18:19]
	v_dual_cndmask_b32 v19, v49, v13, s5 :: v_dual_cndmask_b32 v18, v48, v12, s5
	s_delay_alu instid0(VALU_DEP_1) | instskip(SKIP_1) | instid1(VALU_DEP_2)
	v_add_f64_e32 v[48:49], v[18:19], v[18:19]
	v_mul_f64_e32 v[50:51], v[18:19], v[18:19]
	v_rcp_f64_e32 v[52:53], v[48:49]
	s_delay_alu instid0(VALU_DEP_1) | instskip(SKIP_1) | instid1(VALU_DEP_2)
	v_add_f64_e64 v[54:55], v[12:13], -v[50:51]
	v_fma_f64 v[60:61], v[18:19], v[18:19], -v[50:51]
	v_add_f64_e64 v[12:13], v[12:13], -v[54:55]
	s_delay_alu instid0(TRANS32_DEP_1) | instskip(NEXT) | instid1(VALU_DEP_2)
	v_fma_f64 v[56:57], -v[48:49], v[52:53], 1.0
	v_add_f64_e64 v[12:13], v[12:13], -v[50:51]
	s_delay_alu instid0(VALU_DEP_2) | instskip(NEXT) | instid1(VALU_DEP_2)
	v_fmac_f64_e32 v[52:53], v[56:57], v[52:53]
	v_add_f64_e64 v[12:13], v[12:13], -v[60:61]
	s_delay_alu instid0(VALU_DEP_2) | instskip(NEXT) | instid1(VALU_DEP_2)
	v_fma_f64 v[50:51], -v[48:49], v[52:53], 1.0
	v_add_f64_e32 v[12:13], v[54:55], v[12:13]
	s_delay_alu instid0(VALU_DEP_2) | instskip(NEXT) | instid1(VALU_DEP_1)
	v_fmac_f64_e32 v[52:53], v[50:51], v[52:53]
	v_mul_f64_e32 v[50:51], v[12:13], v[52:53]
	s_delay_alu instid0(VALU_DEP_1) | instskip(NEXT) | instid1(VALU_DEP_1)
	v_fma_f64 v[12:13], -v[48:49], v[50:51], v[12:13]
	v_fmac_f64_e32 v[50:51], v[12:13], v[52:53]
	s_delay_alu instid0(VALU_DEP_1) | instskip(NEXT) | instid1(VALU_DEP_2)
	v_cndmask_b32_e64 v13, v51, 0, s5
	v_cndmask_b32_e64 v12, v50, 0, s5
	v_cmp_neq_f64_e64 s5, 1.0, v[58:59]
	s_delay_alu instid0(VALU_DEP_2) | instskip(NEXT) | instid1(VALU_DEP_1)
	v_add_f64_e32 v[48:49], v[18:19], v[12:13]
	v_add_f64_e64 v[18:19], v[48:49], -v[18:19]
	s_delay_alu instid0(VALU_DEP_1) | instskip(NEXT) | instid1(VALU_DEP_1)
	v_add_f64_e64 v[12:13], v[12:13], -v[18:19]
	v_fmac_f64_e32 v[12:13], v[48:49], v[10:11]
	s_delay_alu instid0(VALU_DEP_1) | instskip(NEXT) | instid1(VALU_DEP_1)
	v_add_f64_e32 v[10:11], v[48:49], v[12:13]
	v_add_f64_e32 v[10:11], v[10:11], v[10:11]
	s_delay_alu instid0(VALU_DEP_1)
	v_dual_cndmask_b32 v19, 0, v11, s5 :: v_dual_cndmask_b32 v18, 0, v10, s5
.LBB42_687:                             ;   in Loop: Header=BB42_417 Depth=1
	s_or_b32 exec_lo, exec_lo, s49
                                        ; implicit-def: $vgpr58_vgpr59
.LBB42_688:                             ;   in Loop: Header=BB42_417 Depth=1
	s_and_not1_saveexec_b32 s48, s48
	s_cbranch_execz .LBB42_692
; %bb.689:                              ;   in Loop: Header=BB42_417 Depth=1
	v_fma_f64 v[12:13], |v[58:59]|, -0.5, 0.5
	v_mul_f64_e32 v[10:11], v[58:59], v[58:59]
	v_cmp_ge_f64_e64 s5, |v[58:59]|, 0.5
	s_delay_alu instid0(VALU_DEP_1) | instskip(NEXT) | instid1(VALU_DEP_1)
	v_dual_cndmask_b32 v11, v11, v13, s5 :: v_dual_cndmask_b32 v10, v10, v12, s5
	v_fmamk_f64 v[18:19], v[10:11], 0x3fa059859fea6a70, v[34:35]
	s_delay_alu instid0(VALU_DEP_1) | instskip(NEXT) | instid1(VALU_DEP_1)
	v_fmaak_f64 v[18:19], v[10:11], v[18:19], 0x3f94052137024d6a
	v_fmaak_f64 v[18:19], v[10:11], v[18:19], 0x3f7ab3a098a70509
	s_delay_alu instid0(VALU_DEP_1) | instskip(NEXT) | instid1(VALU_DEP_1)
	v_fmaak_f64 v[18:19], v[10:11], v[18:19], 0x3f88ed60a300c8d2
	v_fmaak_f64 v[18:19], v[10:11], v[18:19], 0x3f8c6fa84b77012b
	;; [unrolled: 3-line block ×5, first 2 shown]
	s_delay_alu instid0(VALU_DEP_1) | instskip(NEXT) | instid1(VALU_DEP_1)
	v_mul_f64_e32 v[10:11], v[10:11], v[18:19]
	v_fma_f64 v[18:19], -v[58:59], v[10:11], -v[58:59]
	s_delay_alu instid0(VALU_DEP_1)
	v_fma_f64 v[18:19], s[28:29], s[26:27], -v[18:19]
	s_and_saveexec_b32 s49, s5
	s_cbranch_execz .LBB42_691
; %bb.690:                              ;   in Loop: Header=BB42_417 Depth=1
	v_rsq_f64_e32 v[18:19], v[12:13]
	v_cmp_eq_f64_e64 s5, 0, v[12:13]
	s_delay_alu instid0(TRANS32_DEP_1) | instskip(SKIP_1) | instid1(VALU_DEP_1)
	v_mul_f64_e32 v[48:49], v[12:13], v[18:19]
	v_mul_f64_e32 v[18:19], 0.5, v[18:19]
	v_fma_f64 v[50:51], -v[18:19], v[48:49], 0.5
	s_delay_alu instid0(VALU_DEP_1) | instskip(SKIP_1) | instid1(VALU_DEP_2)
	v_fmac_f64_e32 v[48:49], v[48:49], v[50:51]
	v_fmac_f64_e32 v[18:19], v[18:19], v[50:51]
	v_fma_f64 v[50:51], -v[48:49], v[48:49], v[12:13]
	s_delay_alu instid0(VALU_DEP_1) | instskip(NEXT) | instid1(VALU_DEP_1)
	v_fmac_f64_e32 v[48:49], v[50:51], v[18:19]
	v_dual_cndmask_b32 v19, v49, v13, s5 :: v_dual_cndmask_b32 v18, v48, v12, s5
	s_delay_alu instid0(VALU_DEP_1) | instskip(SKIP_1) | instid1(VALU_DEP_2)
	v_add_f64_e32 v[48:49], v[18:19], v[18:19]
	v_mul_f64_e32 v[50:51], v[18:19], v[18:19]
	v_rcp_f64_e32 v[52:53], v[48:49]
	s_delay_alu instid0(VALU_DEP_1) | instskip(SKIP_1) | instid1(VALU_DEP_2)
	v_add_f64_e64 v[54:55], v[12:13], -v[50:51]
	v_fma_f64 v[60:61], v[18:19], v[18:19], -v[50:51]
	v_add_f64_e64 v[12:13], v[12:13], -v[54:55]
	s_delay_alu instid0(TRANS32_DEP_1) | instskip(NEXT) | instid1(VALU_DEP_2)
	v_fma_f64 v[56:57], -v[48:49], v[52:53], 1.0
	v_add_f64_e64 v[12:13], v[12:13], -v[50:51]
	s_delay_alu instid0(VALU_DEP_2) | instskip(NEXT) | instid1(VALU_DEP_2)
	v_fmac_f64_e32 v[52:53], v[56:57], v[52:53]
	v_add_f64_e64 v[12:13], v[12:13], -v[60:61]
	s_delay_alu instid0(VALU_DEP_2) | instskip(NEXT) | instid1(VALU_DEP_2)
	v_fma_f64 v[50:51], -v[48:49], v[52:53], 1.0
	v_add_f64_e32 v[12:13], v[54:55], v[12:13]
	s_delay_alu instid0(VALU_DEP_2) | instskip(NEXT) | instid1(VALU_DEP_1)
	v_fmac_f64_e32 v[52:53], v[50:51], v[52:53]
	v_mul_f64_e32 v[50:51], v[12:13], v[52:53]
	s_delay_alu instid0(VALU_DEP_1) | instskip(NEXT) | instid1(VALU_DEP_1)
	v_fma_f64 v[12:13], -v[48:49], v[50:51], v[12:13]
	v_fmac_f64_e32 v[50:51], v[12:13], v[52:53]
	s_delay_alu instid0(VALU_DEP_1) | instskip(NEXT) | instid1(VALU_DEP_2)
	v_cndmask_b32_e64 v13, v51, 0, s5
	v_cndmask_b32_e64 v12, v50, 0, s5
	v_cmp_lt_f64_e64 s5, 0, v[58:59]
	s_delay_alu instid0(VALU_DEP_2) | instskip(NEXT) | instid1(VALU_DEP_1)
	v_add_f64_e32 v[48:49], v[18:19], v[12:13]
	v_add_f64_e64 v[18:19], v[48:49], -v[18:19]
	s_delay_alu instid0(VALU_DEP_1) | instskip(SKIP_1) | instid1(VALU_DEP_2)
	v_add_f64_e64 v[12:13], v[12:13], -v[18:19]
	v_fma_f64 v[18:19], v[48:49], v[10:11], v[48:49]
	v_fmac_f64_e32 v[12:13], v[48:49], v[10:11]
	s_delay_alu instid0(VALU_DEP_2) | instskip(NEXT) | instid1(VALU_DEP_2)
	v_mul_f64_e32 v[10:11], -2.0, v[18:19]
	v_add_f64_e32 v[12:13], v[48:49], v[12:13]
	s_delay_alu instid0(VALU_DEP_2) | instskip(NEXT) | instid1(VALU_DEP_2)
	v_fmac_f64_e64 v[10:11], s[30:31], s[26:27]
	v_add_f64_e32 v[12:13], v[12:13], v[12:13]
	s_delay_alu instid0(VALU_DEP_1) | instskip(SKIP_1) | instid1(VALU_DEP_1)
	v_dual_cndmask_b32 v10, v12, v10, s5 :: v_dual_cndmask_b32 v11, v13, v11, s5
	v_cmp_neq_f64_e64 s5, 1.0, v[58:59]
	v_cndmask_b32_e64 v19, 0x400921fb, v11, s5
	s_delay_alu instid0(VALU_DEP_3)
	v_cndmask_b32_e64 v18, 0x54442d18, v10, s5
.LBB42_691:                             ;   in Loop: Header=BB42_417 Depth=1
	s_or_b32 exec_lo, exec_lo, s49
.LBB42_692:                             ;   in Loop: Header=BB42_417 Depth=1
	s_delay_alu instid0(SALU_CYCLE_1)
	s_or_b32 exec_lo, exec_lo, s48
                                        ; implicit-def: $vgpr60_vgpr61
                                        ; implicit-def: $vgpr62_vgpr63
.LBB42_693:                             ;   in Loop: Header=BB42_417 Depth=1
	s_and_not1_saveexec_b32 s48, s6
	s_cbranch_execz .LBB42_699
; %bb.694:                              ;   in Loop: Header=BB42_417 Depth=1
	s_delay_alu instid0(VALU_DEP_4) | instskip(NEXT) | instid1(SALU_CYCLE_1)
	s_and_saveexec_b32 s5, vcc_lo
	s_xor_b32 s49, exec_lo, s5
	s_cbranch_execz .LBB42_696
; %bb.695:                              ;   in Loop: Header=BB42_417 Depth=1
	s_delay_alu instid0(VALU_DEP_2) | instskip(NEXT) | instid1(VALU_DEP_3)
	v_max_num_f64_e64 v[10:11], |v[62:63]|, |v[62:63]|
	v_max_num_f64_e32 v[12:13], v[60:61], v[60:61]
	v_cmp_eq_f64_e64 s5, 0, v[62:63]
	v_cmp_class_f64_e64 s50, v[62:63], 0x204
	v_cmp_eq_f64_e64 s6, 0x7ff00000, v[60:61]
	s_delay_alu instid0(VALU_DEP_4) | instskip(SKIP_1) | instid1(VALU_DEP_1)
	v_max_num_f64_e32 v[18:19], v[12:13], v[10:11]
	v_min_num_f64_e32 v[10:11], v[12:13], v[10:11]
	v_div_scale_f64 v[12:13], null, v[18:19], v[18:19], v[10:11]
	v_div_scale_f64 v[52:53], vcc_lo, v[10:11], v[18:19], v[10:11]
	s_delay_alu instid0(VALU_DEP_2) | instskip(SKIP_1) | instid1(TRANS32_DEP_1)
	v_rcp_f64_e32 v[48:49], v[12:13]
	v_nop
	v_fma_f64 v[50:51], -v[12:13], v[48:49], 1.0
	s_delay_alu instid0(VALU_DEP_1) | instskip(NEXT) | instid1(VALU_DEP_1)
	v_fmac_f64_e32 v[48:49], v[48:49], v[50:51]
	v_fma_f64 v[50:51], -v[12:13], v[48:49], 1.0
	s_delay_alu instid0(VALU_DEP_1) | instskip(NEXT) | instid1(VALU_DEP_1)
	v_fmac_f64_e32 v[48:49], v[48:49], v[50:51]
	v_mul_f64_e32 v[50:51], v[52:53], v[48:49]
	s_delay_alu instid0(VALU_DEP_1) | instskip(NEXT) | instid1(VALU_DEP_1)
	v_fma_f64 v[12:13], -v[12:13], v[50:51], v[52:53]
	v_div_fmas_f64 v[12:13], v[12:13], v[48:49], v[50:51]
	v_cmp_lt_f64_e64 vcc_lo, v[60:61], |v[62:63]|
	s_delay_alu instid0(VALU_DEP_2) | instskip(NEXT) | instid1(VALU_DEP_1)
	v_div_fixup_f64 v[10:11], v[12:13], v[18:19], v[10:11]
	v_mul_f64_e32 v[12:13], v[10:11], v[10:11]
	s_delay_alu instid0(VALU_DEP_1) | instskip(NEXT) | instid1(VALU_DEP_1)
	v_fmamk_f64 v[18:19], v[12:13], 0x3eeba404b5e68a13, v[36:37]
	v_fmaak_f64 v[18:19], v[12:13], v[18:19], 0x3f4b2bb069efb384
	s_delay_alu instid0(VALU_DEP_1) | instskip(NEXT) | instid1(VALU_DEP_1)
	v_fmaak_f64 v[18:19], v[12:13], v[18:19], 0xbf67952daf56de9b
	v_fmaak_f64 v[18:19], v[12:13], v[18:19], 0x3f7d6d43a595c56f
	s_delay_alu instid0(VALU_DEP_1) | instskip(NEXT) | instid1(VALU_DEP_1)
	v_fmaak_f64 v[18:19], v[12:13], v[18:19], 0xbf8c6ea4a57d9582
	;; [unrolled: 3-line block ×9, first 2 shown]
	v_dual_mul_f64 v[12:13], v[12:13], v[18:19] :: v_dual_ashrrev_i32 v18, 31, v61
	s_delay_alu instid0(VALU_DEP_1) | instskip(NEXT) | instid1(VALU_DEP_2)
	v_and_b32_e32 v48, 0x54442d18, v18
	v_fmac_f64_e32 v[10:11], v[10:11], v[12:13]
	s_delay_alu instid0(VALU_DEP_1) | instskip(NEXT) | instid1(VALU_DEP_1)
	v_add_f64_e64 v[12:13], -v[10:11], s[34:35]
	v_dual_cndmask_b32 v11, v11, v13 :: v_dual_cndmask_b32 v10, v10, v12
	v_cmp_gt_i32_e32 vcc_lo, 0, v61
                                        ; implicit-def: $vgpr60_vgpr61
	s_delay_alu instid0(VALU_DEP_2) | instskip(SKIP_1) | instid1(VALU_DEP_2)
	v_add_f64_e64 v[12:13], -v[10:11], s[36:37]
	v_cndmask_b32_e32 v19, 0x54442d18, v65, vcc_lo
	v_dual_cndmask_b32 v11, v11, v13 :: v_dual_cndmask_b32 v10, v10, v12
	v_and_b32_e32 v12, 0x400921fb, v18
	v_cndmask_b32_e32 v13, 0x3fe921fb, v66, vcc_lo
	s_and_b32 vcc_lo, s6, s50
	s_delay_alu instid0(VALU_DEP_2) | instskip(NEXT) | instid1(VALU_DEP_1)
	v_cndmask_b32_e64 v11, v11, v12, s5
	v_dual_cndmask_b32 v10, v10, v48, s5 :: v_dual_cndmask_b32 v11, v11, v13, vcc_lo
	s_delay_alu instid0(VALU_DEP_1) | instskip(SKIP_1) | instid1(VALU_DEP_2)
	v_cndmask_b32_e32 v10, v10, v19, vcc_lo
	v_cmp_o_f64_e32 vcc_lo, v[62:63], v[62:63]
	v_cndmask_b32_e32 v18, 0, v10, vcc_lo
	s_delay_alu instid0(VALU_DEP_4) | instskip(NEXT) | instid1(VALU_DEP_1)
	v_cndmask_b32_e32 v10, 0x7ff80000, v11, vcc_lo
	v_bfi_b32 v19, 0x7fffffff, v10, v63
                                        ; implicit-def: $vgpr62_vgpr63
.LBB42_696:                             ;   in Loop: Header=BB42_417 Depth=1
	s_and_not1_saveexec_b32 s49, s49
	s_cbranch_execz .LBB42_698
; %bb.697:                              ;   in Loop: Header=BB42_417 Depth=1
	s_delay_alu instid0(VALU_DEP_2) | instskip(NEXT) | instid1(VALU_DEP_3)
	v_max_num_f64_e64 v[10:11], |v[62:63]|, |v[62:63]|
	v_max_num_f64_e32 v[12:13], v[60:61], v[60:61]
	v_cmp_eq_f64_e64 s5, 0, v[62:63]
	v_cmp_class_f64_e64 s50, v[62:63], 0x204
	v_cmp_eq_f64_e64 s6, 0x7ff00000, v[60:61]
	s_delay_alu instid0(VALU_DEP_4) | instskip(SKIP_1) | instid1(VALU_DEP_1)
	v_max_num_f64_e32 v[18:19], v[12:13], v[10:11]
	v_min_num_f64_e32 v[10:11], v[12:13], v[10:11]
	v_div_scale_f64 v[12:13], null, v[18:19], v[18:19], v[10:11]
	v_div_scale_f64 v[52:53], vcc_lo, v[10:11], v[18:19], v[10:11]
	s_delay_alu instid0(VALU_DEP_2) | instskip(SKIP_1) | instid1(TRANS32_DEP_1)
	v_rcp_f64_e32 v[48:49], v[12:13]
	v_nop
	v_fma_f64 v[50:51], -v[12:13], v[48:49], 1.0
	s_delay_alu instid0(VALU_DEP_1) | instskip(NEXT) | instid1(VALU_DEP_1)
	v_fmac_f64_e32 v[48:49], v[48:49], v[50:51]
	v_fma_f64 v[50:51], -v[12:13], v[48:49], 1.0
	s_delay_alu instid0(VALU_DEP_1) | instskip(NEXT) | instid1(VALU_DEP_1)
	v_fmac_f64_e32 v[48:49], v[48:49], v[50:51]
	v_mul_f64_e32 v[50:51], v[52:53], v[48:49]
	s_delay_alu instid0(VALU_DEP_1) | instskip(NEXT) | instid1(VALU_DEP_1)
	v_fma_f64 v[12:13], -v[12:13], v[50:51], v[52:53]
	v_div_fmas_f64 v[12:13], v[12:13], v[48:49], v[50:51]
	v_cmp_lt_f64_e64 vcc_lo, v[60:61], |v[62:63]|
	s_delay_alu instid0(VALU_DEP_2) | instskip(NEXT) | instid1(VALU_DEP_1)
	v_div_fixup_f64 v[10:11], v[12:13], v[18:19], v[10:11]
	v_mul_f64_e32 v[12:13], v[10:11], v[10:11]
	s_delay_alu instid0(VALU_DEP_1) | instskip(NEXT) | instid1(VALU_DEP_1)
	v_fmamk_f64 v[18:19], v[12:13], 0x3eeba404b5e68a13, v[36:37]
	v_fmaak_f64 v[18:19], v[12:13], v[18:19], 0x3f4b2bb069efb384
	s_delay_alu instid0(VALU_DEP_1) | instskip(NEXT) | instid1(VALU_DEP_1)
	v_fmaak_f64 v[18:19], v[12:13], v[18:19], 0xbf67952daf56de9b
	v_fmaak_f64 v[18:19], v[12:13], v[18:19], 0x3f7d6d43a595c56f
	s_delay_alu instid0(VALU_DEP_1) | instskip(NEXT) | instid1(VALU_DEP_1)
	v_fmaak_f64 v[18:19], v[12:13], v[18:19], 0xbf8c6ea4a57d9582
	;; [unrolled: 3-line block ×9, first 2 shown]
	v_mul_f64_e32 v[12:13], v[12:13], v[18:19]
	v_xor_b32_e32 v18, 0x80000000, v61
	s_delay_alu instid0(VALU_DEP_1) | instskip(NEXT) | instid1(VALU_DEP_1)
	v_ashrrev_i32_e32 v19, 31, v18
	v_and_b32_e32 v48, 0x54442d18, v19
	s_delay_alu instid0(VALU_DEP_4) | instskip(NEXT) | instid1(VALU_DEP_1)
	v_fmac_f64_e32 v[10:11], v[10:11], v[12:13]
	v_add_f64_e64 v[12:13], -v[10:11], s[34:35]
	s_delay_alu instid0(VALU_DEP_1) | instskip(SKIP_1) | instid1(VALU_DEP_2)
	v_dual_cndmask_b32 v11, v11, v13 :: v_dual_cndmask_b32 v10, v10, v12
	v_cmp_gt_i32_e32 vcc_lo, 0, v18
	v_add_f64_e64 v[12:13], -v[10:11], s[36:37]
	v_cndmask_b32_e32 v18, 0x54442d18, v65, vcc_lo
	s_delay_alu instid0(VALU_DEP_2) | instskip(SKIP_3) | instid1(VALU_DEP_2)
	v_dual_cndmask_b32 v11, v11, v13 :: v_dual_cndmask_b32 v10, v10, v12
	v_and_b32_e32 v12, 0x400921fb, v19
	v_cndmask_b32_e32 v13, 0x3fe921fb, v66, vcc_lo
	s_and_b32 vcc_lo, s6, s50
	v_cndmask_b32_e64 v11, v11, v12, s5
	v_cndmask_b32_e64 v10, v10, v48, s5
	s_delay_alu instid0(VALU_DEP_1) | instskip(SKIP_1) | instid1(VALU_DEP_2)
	v_dual_cndmask_b32 v10, v10, v18 :: v_dual_cndmask_b32 v11, v11, v13
	v_cmp_o_f64_e32 vcc_lo, v[62:63], v[62:63]
	v_cndmask_b32_e32 v18, 0, v10, vcc_lo
	s_delay_alu instid0(VALU_DEP_3) | instskip(NEXT) | instid1(VALU_DEP_1)
	v_cndmask_b32_e32 v10, 0x7ff80000, v11, vcc_lo
	v_bfi_b32 v19, 0x7fffffff, v10, v63
.LBB42_698:                             ;   in Loop: Header=BB42_417 Depth=1
	s_or_b32 exec_lo, exec_lo, s49
.LBB42_699:                             ;   in Loop: Header=BB42_417 Depth=1
	s_delay_alu instid0(SALU_CYCLE_1) | instskip(SKIP_1) | instid1(VALU_DEP_1)
	s_or_b32 exec_lo, exec_lo, s48
	v_xor_b32_e32 v10, 0x80000000, v21
	v_cndmask_b32_e64 v21, v10, v21, s4
                                        ; implicit-def: $vgpr10_vgpr11
.LBB42_700:                             ;   in Loop: Header=BB42_417 Depth=1
	s_and_not1_saveexec_b32 s5, s47
	s_cbranch_execz .LBB42_702
; %bb.701:                              ;   in Loop: Header=BB42_417 Depth=1
	flat_load_b64 v[12:13], v[24:25] scope:SCOPE_SYS
	s_wait_loadcnt_dscnt 0x0
	v_add_f64_e64 v[10:11], v[12:13], -v[10:11]
	s_delay_alu instid0(VALU_DEP_1)
	v_add_f64_e32 v[18:19], 0x3ff921fb54442d18, v[10:11]
.LBB42_702:                             ;   in Loop: Header=BB42_417 Depth=1
	s_or_b32 exec_lo, exec_lo, s5
.LBB42_703:                             ;   in Loop: Header=BB42_417 Depth=1
	s_and_not1_saveexec_b32 s5, s46
	s_cbranch_execz .LBB42_705
; %bb.704:                              ;   in Loop: Header=BB42_417 Depth=1
	s_wait_dscnt 0x0
	v_mov_b64_e32 v[18:19], 0
.LBB42_705:                             ;   in Loop: Header=BB42_417 Depth=1
	s_or_b32 exec_lo, exec_lo, s5
                                        ; implicit-def: $vgpr10_vgpr11
                                        ; implicit-def: $vgpr50_vgpr51
                                        ; implicit-def: $vgpr52_vgpr53
                                        ; implicit-def: $vgpr48_vgpr49
.LBB42_706:                             ;   in Loop: Header=BB42_417 Depth=1
	s_and_not1_saveexec_b32 s33, s33
	s_cbranch_execz .LBB42_716
; %bb.707:                              ;   in Loop: Header=BB42_417 Depth=1
	v_cmp_lt_f64_e64 s5, |v[10:11]|, |v[12:13]|
	v_and_b32_e32 v56, 0x7fffffff, v11
	v_and_b32_e32 v57, 0x7fffffff, v13
                                        ; implicit-def: $sgpr46
                                        ; implicit-def: $vgpr20_vgpr21
                                        ; implicit-def: $vgpr18_vgpr19
	s_mov_b32 s6, exec_lo
	s_delay_alu instid0(VALU_DEP_1) | instskip(NEXT) | instid1(VALU_DEP_1)
	v_dual_cndmask_b32 v55, v56, v57, s5 :: v_dual_cndmask_b32 v54, v10, v12, s5
	v_cmpx_nlt_f64_e32 s[38:39], v[54:55]
	s_xor_b32 s47, exec_lo, s6
	s_cbranch_execz .LBB42_713
; %bb.708:                              ;   in Loop: Header=BB42_417 Depth=1
	v_dual_cndmask_b32 v57, v57, v56, s5 :: v_dual_cndmask_b32 v56, v12, v10, s5
	v_cmp_nlt_f64_e32 vcc_lo, 0x20200000, v[54:55]
                                        ; implicit-def: $sgpr46
                                        ; implicit-def: $vgpr20_vgpr21
                                        ; implicit-def: $vgpr18_vgpr19
	s_delay_alu instid0(VALU_DEP_2) | instskip(SKIP_1) | instid1(SALU_CYCLE_1)
	v_cmp_ngt_f64_e64 s6, 0x20000000, v[56:57]
	s_and_b32 s6, vcc_lo, s6
	s_and_saveexec_b32 s48, s6
	s_delay_alu instid0(SALU_CYCLE_1)
	s_xor_b32 s6, exec_lo, s48
	s_cbranch_execz .LBB42_710
; %bb.709:                              ;   in Loop: Header=BB42_417 Depth=1
	v_mul_f64_e32 v[20:21], v[56:57], v[56:57]
	v_min_num_f64_e32 v[50:51], v[50:51], v[52:53]
	v_cmp_class_f64_e64 s46, v[12:13], 0x204
	v_cmp_class_f64_e64 s48, v[10:11], 0x204
	s_delay_alu instid0(VALU_DEP_4) | instskip(SKIP_2) | instid1(VALU_DEP_1)
	v_fmac_f64_e32 v[20:21], v[54:55], v[54:55]
	s_and_b32 s46, s46, s48
	s_wait_dscnt 0x0
	v_frexp_mant_f64_e32 v[18:19], v[20:21]
	s_delay_alu instid0(VALU_DEP_1) | instskip(SKIP_1) | instid1(VALU_DEP_1)
	v_cmp_gt_f64_e32 vcc_lo, s[16:17], v[18:19]
	v_cndmask_b32_e64 v54, 0, 1, vcc_lo
	v_ldexp_f64 v[18:19], v[18:19], v54
	s_delay_alu instid0(VALU_DEP_1) | instskip(SKIP_1) | instid1(VALU_DEP_2)
	v_add_f64_e32 v[54:55], 1.0, v[18:19]
	v_add_f64_e32 v[60:61], -1.0, v[18:19]
	v_rcp_f64_e32 v[56:57], v[54:55]
	v_add_f64_e32 v[62:63], -1.0, v[54:55]
	s_delay_alu instid0(VALU_DEP_1) | instskip(NEXT) | instid1(TRANS32_DEP_1)
	v_add_f64_e64 v[18:19], v[18:19], -v[62:63]
	v_fma_f64 v[58:59], -v[54:55], v[56:57], 1.0
	s_delay_alu instid0(VALU_DEP_1) | instskip(NEXT) | instid1(VALU_DEP_1)
	v_fmac_f64_e32 v[56:57], v[58:59], v[56:57]
	v_fma_f64 v[58:59], -v[54:55], v[56:57], 1.0
	s_delay_alu instid0(VALU_DEP_1) | instskip(NEXT) | instid1(VALU_DEP_1)
	v_fmac_f64_e32 v[56:57], v[58:59], v[56:57]
	v_mul_f64_e32 v[58:59], v[60:61], v[56:57]
	s_delay_alu instid0(VALU_DEP_1) | instskip(NEXT) | instid1(VALU_DEP_1)
	v_mul_f64_e32 v[68:69], v[54:55], v[58:59]
	v_fma_f64 v[54:55], v[58:59], v[54:55], -v[68:69]
	s_delay_alu instid0(VALU_DEP_1) | instskip(NEXT) | instid1(VALU_DEP_1)
	v_fmac_f64_e32 v[54:55], v[58:59], v[18:19]
	v_add_f64_e32 v[18:19], v[68:69], v[54:55]
	s_delay_alu instid0(VALU_DEP_1) | instskip(SKIP_1) | instid1(VALU_DEP_2)
	v_add_f64_e64 v[62:63], v[60:61], -v[18:19]
	v_add_f64_e64 v[68:69], v[18:19], -v[68:69]
	;; [unrolled: 1-line block ×3, first 2 shown]
	s_delay_alu instid0(VALU_DEP_2) | instskip(NEXT) | instid1(VALU_DEP_2)
	v_add_f64_e64 v[54:55], v[68:69], -v[54:55]
	v_add_f64_e64 v[18:19], v[60:61], -v[18:19]
	s_delay_alu instid0(VALU_DEP_1) | instskip(NEXT) | instid1(VALU_DEP_1)
	v_add_f64_e32 v[18:19], v[54:55], v[18:19]
	v_add_f64_e32 v[18:19], v[62:63], v[18:19]
	s_delay_alu instid0(VALU_DEP_1) | instskip(NEXT) | instid1(VALU_DEP_1)
	v_mul_f64_e32 v[18:19], v[56:57], v[18:19]
	v_add_f64_e32 v[54:55], v[58:59], v[18:19]
	s_delay_alu instid0(VALU_DEP_1) | instskip(SKIP_1) | instid1(VALU_DEP_2)
	v_mul_f64_e32 v[56:57], v[54:55], v[54:55]
	v_ldexp_f64 v[52:53], v[54:55], 1
	v_fmamk_f64 v[60:61], v[56:57], 0x3fc3ab76bf559e2b, v[32:33]
	v_mul_f64_e32 v[62:63], v[54:55], v[56:57]
	v_add_f64_e64 v[54:55], v[54:55], -v[58:59]
	s_delay_alu instid0(VALU_DEP_3) | instskip(NEXT) | instid1(VALU_DEP_1)
	v_fmaak_f64 v[60:61], v[56:57], v[60:61], 0x3fc7474dd7f4df2e
	v_fmaak_f64 v[60:61], v[56:57], v[60:61], 0x3fcc71c016291751
	s_delay_alu instid0(VALU_DEP_1) | instskip(NEXT) | instid1(VALU_DEP_1)
	v_fmaak_f64 v[60:61], v[56:57], v[60:61], 0x3fd249249b27acf1
	v_fmaak_f64 v[60:61], v[56:57], v[60:61], 0x3fd99999998ef7b6
	v_add_f64_e64 v[18:19], v[18:19], -v[54:55]
	s_delay_alu instid0(VALU_DEP_2) | instskip(SKIP_1) | instid1(VALU_DEP_2)
	v_fmaak_f64 v[56:57], v[56:57], v[60:61], 0x3fe5555555555780
	v_frexp_exp_i32_f64_e32 v60, v[20:21]
	v_mul_f64_e32 v[56:57], v[62:63], v[56:57]
	s_delay_alu instid0(VALU_DEP_4) | instskip(NEXT) | instid1(VALU_DEP_3)
	v_ldexp_f64 v[18:19], v[18:19], 1
	v_subrev_co_ci_u32_e64 v62, null, 0, v60, vcc_lo
	v_div_scale_f64 v[60:61], null, v[48:49], v[48:49], v[50:51]
	v_div_scale_f64 v[74:75], vcc_lo, v[50:51], v[48:49], v[50:51]
	s_delay_alu instid0(VALU_DEP_3) | instskip(SKIP_1) | instid1(VALU_DEP_4)
	v_cvt_f64_i32_e32 v[62:63], v62
	v_add_f64_e32 v[58:59], v[52:53], v[56:57]
	v_rcp_f64_e32 v[68:69], v[60:61]
	s_delay_alu instid0(VALU_DEP_2) | instskip(NEXT) | instid1(VALU_DEP_2)
	v_mul_f64_e32 v[70:71], 0x3fe62e42fefa39ef, v[62:63]
	v_add_f64_e64 v[52:53], v[58:59], -v[52:53]
	s_delay_alu instid0(VALU_DEP_2) | instskip(NEXT) | instid1(VALU_DEP_2)
	v_fma_f64 v[54:55], v[62:63], s[22:23], -v[70:71]
	v_add_f64_e64 v[52:53], v[56:57], -v[52:53]
	s_delay_alu instid0(TRANS32_DEP_1) | instskip(NEXT) | instid1(VALU_DEP_3)
	v_fma_f64 v[56:57], -v[60:61], v[68:69], 1.0
	v_fmac_f64_e32 v[54:55], 0x3c7abc9e3b39803f, v[62:63]
	s_delay_alu instid0(VALU_DEP_3) | instskip(NEXT) | instid1(VALU_DEP_3)
	v_add_f64_e32 v[18:19], v[18:19], v[52:53]
	v_fmac_f64_e32 v[68:69], v[68:69], v[56:57]
	s_delay_alu instid0(VALU_DEP_3) | instskip(NEXT) | instid1(VALU_DEP_3)
	v_add_f64_e32 v[52:53], v[70:71], v[54:55]
	v_add_f64_e32 v[56:57], v[58:59], v[18:19]
	s_delay_alu instid0(VALU_DEP_3) | instskip(NEXT) | instid1(VALU_DEP_3)
	v_fma_f64 v[62:63], -v[60:61], v[68:69], 1.0
	v_add_f64_e64 v[70:71], v[52:53], -v[70:71]
	s_delay_alu instid0(VALU_DEP_3) | instskip(NEXT) | instid1(VALU_DEP_3)
	v_add_f64_e32 v[72:73], v[52:53], v[56:57]
	v_fmac_f64_e32 v[68:69], v[68:69], v[62:63]
	v_add_f64_e64 v[58:59], v[56:57], -v[58:59]
	s_delay_alu instid0(VALU_DEP_4) | instskip(NEXT) | instid1(VALU_DEP_4)
	v_add_f64_e64 v[54:55], v[54:55], -v[70:71]
	v_add_f64_e64 v[62:63], v[72:73], -v[52:53]
	s_delay_alu instid0(VALU_DEP_4) | instskip(NEXT) | instid1(VALU_DEP_4)
	v_mul_f64_e32 v[76:77], v[74:75], v[68:69]
	v_add_f64_e64 v[58:59], v[18:19], -v[58:59]
	s_delay_alu instid0(VALU_DEP_3) | instskip(NEXT) | instid1(VALU_DEP_3)
	v_add_f64_e64 v[78:79], v[72:73], -v[62:63]
	v_fma_f64 v[60:61], -v[60:61], v[76:77], v[74:75]
	v_add_f64_e64 v[18:19], v[56:57], -v[62:63]
	s_delay_alu instid0(VALU_DEP_3) | instskip(NEXT) | instid1(VALU_DEP_3)
	v_add_f64_e64 v[52:53], v[52:53], -v[78:79]
	v_div_fmas_f64 v[56:57], v[60:61], v[68:69], v[76:77]
	v_add_f64_e32 v[60:61], v[54:55], v[58:59]
	v_cmp_class_f64_e64 vcc_lo, v[20:21], 0x204
	s_delay_alu instid0(VALU_DEP_4) | instskip(NEXT) | instid1(VALU_DEP_4)
	v_add_f64_e32 v[52:53], v[18:19], v[52:53]
	v_div_fixup_f64 v[18:19], v[56:57], v[48:49], v[50:51]
	s_delay_alu instid0(VALU_DEP_4) | instskip(NEXT) | instid1(VALU_DEP_3)
	v_add_f64_e64 v[48:49], v[60:61], -v[54:55]
	v_add_f64_e32 v[50:51], v[60:61], v[52:53]
	s_delay_alu instid0(VALU_DEP_3) | instskip(NEXT) | instid1(VALU_DEP_3)
	v_mul_f64_e32 v[52:53], v[18:19], v[18:19]
	v_add_f64_e64 v[56:57], v[60:61], -v[48:49]
	v_add_f64_e64 v[48:49], v[58:59], -v[48:49]
	s_delay_alu instid0(VALU_DEP_4) | instskip(NEXT) | instid1(VALU_DEP_4)
	v_add_f64_e32 v[60:61], v[72:73], v[50:51]
	v_fmamk_f64 v[62:63], v[52:53], 0x3eeba404b5e68a13, v[36:37]
	s_delay_alu instid0(VALU_DEP_4) | instskip(NEXT) | instid1(VALU_DEP_2)
	v_add_f64_e64 v[54:55], v[54:55], -v[56:57]
	v_fmaak_f64 v[62:63], v[52:53], v[62:63], 0x3f4b2bb069efb384
	s_delay_alu instid0(VALU_DEP_1) | instskip(NEXT) | instid1(VALU_DEP_1)
	v_fmaak_f64 v[62:63], v[52:53], v[62:63], 0xbf67952daf56de9b
	v_fmaak_f64 v[62:63], v[52:53], v[62:63], 0x3f7d6d43a595c56f
	s_delay_alu instid0(VALU_DEP_1) | instskip(SKIP_2) | instid1(VALU_DEP_3)
	v_fmaak_f64 v[58:59], v[52:53], v[62:63], 0xbf8c6ea4a57d9582
	v_add_f64_e64 v[56:57], v[60:61], -v[72:73]
	v_add_f64_e32 v[48:49], v[48:49], v[54:55]
	v_fmaak_f64 v[58:59], v[52:53], v[58:59], 0x3f967e295f08b19f
	s_delay_alu instid0(VALU_DEP_1) | instskip(NEXT) | instid1(VALU_DEP_1)
	v_fmaak_f64 v[58:59], v[52:53], v[58:59], 0xbf9e9ae6fc27006a
	v_fmaak_f64 v[58:59], v[52:53], v[58:59], 0x3fa2c15b5711927a
	s_delay_alu instid0(VALU_DEP_1) | instskip(NEXT) | instid1(VALU_DEP_1)
	v_fmaak_f64 v[58:59], v[52:53], v[58:59], 0xbfa59976e82d3ff0
	v_fmaak_f64 v[54:55], v[52:53], v[58:59], 0x3fa82d5d6ef28734
	v_add_f64_e64 v[50:51], v[50:51], -v[56:57]
	s_delay_alu instid0(VALU_DEP_2) | instskip(NEXT) | instid1(VALU_DEP_1)
	v_fmaak_f64 v[54:55], v[52:53], v[54:55], 0xbfaae5ce6a214619
	v_fmaak_f64 v[54:55], v[52:53], v[54:55], 0x3fae1bb48427b883
	s_delay_alu instid0(VALU_DEP_1) | instskip(NEXT) | instid1(VALU_DEP_4)
	v_fmaak_f64 v[54:55], v[52:53], v[54:55], 0xbfb110e48b207f05
	v_add_f64_e32 v[48:49], v[48:49], v[50:51]
	s_delay_alu instid0(VALU_DEP_2) | instskip(NEXT) | instid1(VALU_DEP_1)
	v_fmaak_f64 v[50:51], v[52:53], v[54:55], 0x3fb3b13657b87036
	v_fmaak_f64 v[50:51], v[52:53], v[50:51], 0xbfb745d119378e4f
	s_delay_alu instid0(VALU_DEP_1) | instskip(NEXT) | instid1(VALU_DEP_1)
	v_fmaak_f64 v[50:51], v[52:53], v[50:51], 0x3fbc71c717e1913c
	v_fmaak_f64 v[50:51], v[52:53], v[50:51], 0xbfc2492492376b7d
	s_delay_alu instid0(VALU_DEP_1) | instskip(SKIP_1) | instid1(VALU_DEP_2)
	v_fmaak_f64 v[50:51], v[52:53], v[50:51], 0x3fc99999999952cc
	v_add_f64_e32 v[48:49], v[60:61], v[48:49]
	v_fmaak_f64 v[50:51], v[52:53], v[50:51], 0xbfd5555555555523
	s_delay_alu instid0(VALU_DEP_1) | instskip(NEXT) | instid1(VALU_DEP_3)
	v_mul_f64_e32 v[50:51], v[52:53], v[50:51]
                                        ; implicit-def: $vgpr52_vgpr53
	v_dual_cndmask_b32 v49, v49, v21 :: v_dual_cndmask_b32 v48, v48, v20
	v_cmp_neq_f64_e32 vcc_lo, 0, v[20:21]
	s_delay_alu instid0(VALU_DEP_2) | instskip(NEXT) | instid1(VALU_DEP_4)
	v_mul_f64_e32 v[48:49], 0.5, v[48:49]
	v_fmac_f64_e32 v[18:19], v[18:19], v[50:51]
                                        ; implicit-def: $vgpr50_vgpr51
	s_delay_alu instid0(VALU_DEP_2) | instskip(NEXT) | instid1(VALU_DEP_3)
	v_cndmask_b32_e32 v21, 0xfff00000, v49, vcc_lo
	v_cndmask_b32_e32 v20, 0, v48, vcc_lo
                                        ; implicit-def: $vgpr48_vgpr49
.LBB42_710:                             ;   in Loop: Header=BB42_417 Depth=1
	s_and_not1_saveexec_b32 s6, s6
	s_cbranch_execz .LBB42_712
; %bb.711:                              ;   in Loop: Header=BB42_417 Depth=1
	v_frexp_exp_i32_f64_e32 v58, v[48:49]
	v_cmp_class_f64_e64 s48, v[10:11], 0x204
	v_cmp_class_f64_e64 s49, v[12:13], 0x204
	v_min_num_f64_e32 v[50:51], v[50:51], v[52:53]
	s_and_not1_b32 s46, s46, exec_lo
	v_sub_nc_u32_e32 v20, 0, v58
	s_or_b32 s50, s49, s48
	s_and_b32 s48, s49, s48
	s_delay_alu instid0(SALU_CYCLE_1) | instskip(SKIP_4) | instid1(VALU_DEP_2)
	s_and_b32 s48, s48, exec_lo
	s_wait_dscnt 0x0
	v_ldexp_f64 v[18:19], |v[12:13]|, v20
	v_ldexp_f64 v[20:21], |v[10:11]|, v20
	s_or_b32 s46, s46, s48
	v_mul_f64_e32 v[18:19], v[18:19], v[18:19]
	s_delay_alu instid0(VALU_DEP_1) | instskip(NEXT) | instid1(VALU_DEP_1)
	v_fmac_f64_e32 v[18:19], v[20:21], v[20:21]
	v_rsq_f64_e32 v[20:21], v[18:19]
	v_cmp_eq_f64_e32 vcc_lo, 0, v[18:19]
	s_delay_alu instid0(TRANS32_DEP_1) | instskip(SKIP_1) | instid1(VALU_DEP_1)
	v_mul_f64_e32 v[54:55], v[18:19], v[20:21]
	v_mul_f64_e32 v[20:21], 0.5, v[20:21]
	v_fma_f64 v[56:57], -v[20:21], v[54:55], 0.5
	s_delay_alu instid0(VALU_DEP_1) | instskip(SKIP_1) | instid1(VALU_DEP_2)
	v_fmac_f64_e32 v[54:55], v[54:55], v[56:57]
	v_fmac_f64_e32 v[20:21], v[20:21], v[56:57]
	v_fma_f64 v[56:57], -v[54:55], v[54:55], v[18:19]
	s_delay_alu instid0(VALU_DEP_1) | instskip(NEXT) | instid1(VALU_DEP_1)
	v_fmac_f64_e32 v[54:55], v[56:57], v[20:21]
	v_dual_cndmask_b32 v19, v55, v19 :: v_dual_cndmask_b32 v18, v54, v18
	s_delay_alu instid0(VALU_DEP_1) | instskip(NEXT) | instid1(VALU_DEP_1)
	v_ldexp_f64 v[18:19], v[18:19], v58
	v_cndmask_b32_e64 v55, v19, 0x7ff00000, s50
	s_delay_alu instid0(VALU_DEP_2) | instskip(NEXT) | instid1(VALU_DEP_1)
	v_cndmask_b32_e64 v54, v18, 0, s50
	v_frexp_mant_f64_e32 v[18:19], v[54:55]
	v_frexp_exp_i32_f64_e32 v67, v[54:55]
	s_delay_alu instid0(VALU_DEP_2) | instskip(SKIP_1) | instid1(VALU_DEP_1)
	v_cmp_gt_f64_e32 vcc_lo, s[16:17], v[18:19]
	v_cndmask_b32_e64 v20, 0, 1, vcc_lo
	v_ldexp_f64 v[18:19], v[18:19], v20
	s_delay_alu instid0(VALU_DEP_1) | instskip(SKIP_1) | instid1(VALU_DEP_2)
	v_add_f64_e32 v[20:21], 1.0, v[18:19]
	v_add_f64_e32 v[60:61], -1.0, v[18:19]
	v_rcp_f64_e32 v[56:57], v[20:21]
	v_add_f64_e32 v[62:63], -1.0, v[20:21]
	s_delay_alu instid0(VALU_DEP_1) | instskip(NEXT) | instid1(TRANS32_DEP_1)
	v_add_f64_e64 v[18:19], v[18:19], -v[62:63]
	v_fma_f64 v[58:59], -v[20:21], v[56:57], 1.0
	s_delay_alu instid0(VALU_DEP_1) | instskip(NEXT) | instid1(VALU_DEP_1)
	v_fmac_f64_e32 v[56:57], v[58:59], v[56:57]
	v_fma_f64 v[58:59], -v[20:21], v[56:57], 1.0
	s_delay_alu instid0(VALU_DEP_1) | instskip(NEXT) | instid1(VALU_DEP_1)
	v_fmac_f64_e32 v[56:57], v[58:59], v[56:57]
	v_mul_f64_e32 v[58:59], v[60:61], v[56:57]
	s_delay_alu instid0(VALU_DEP_1) | instskip(NEXT) | instid1(VALU_DEP_1)
	v_mul_f64_e32 v[68:69], v[20:21], v[58:59]
	v_fma_f64 v[20:21], v[58:59], v[20:21], -v[68:69]
	s_delay_alu instid0(VALU_DEP_1) | instskip(NEXT) | instid1(VALU_DEP_1)
	v_fmac_f64_e32 v[20:21], v[58:59], v[18:19]
	v_add_f64_e32 v[18:19], v[68:69], v[20:21]
	s_delay_alu instid0(VALU_DEP_1) | instskip(SKIP_1) | instid1(VALU_DEP_2)
	v_add_f64_e64 v[62:63], v[60:61], -v[18:19]
	v_add_f64_e64 v[68:69], v[18:19], -v[68:69]
	;; [unrolled: 1-line block ×3, first 2 shown]
	s_delay_alu instid0(VALU_DEP_2) | instskip(NEXT) | instid1(VALU_DEP_2)
	v_add_f64_e64 v[20:21], v[68:69], -v[20:21]
	v_add_f64_e64 v[18:19], v[60:61], -v[18:19]
	s_delay_alu instid0(VALU_DEP_1) | instskip(NEXT) | instid1(VALU_DEP_1)
	v_add_f64_e32 v[18:19], v[20:21], v[18:19]
	v_add_f64_e32 v[18:19], v[62:63], v[18:19]
	s_delay_alu instid0(VALU_DEP_1) | instskip(NEXT) | instid1(VALU_DEP_1)
	v_mul_f64_e32 v[18:19], v[56:57], v[18:19]
	v_add_f64_e32 v[20:21], v[58:59], v[18:19]
	s_delay_alu instid0(VALU_DEP_1) | instskip(NEXT) | instid1(VALU_DEP_1)
	v_mul_f64_e32 v[56:57], v[20:21], v[20:21]
	v_fmamk_f64 v[60:61], v[56:57], 0x3fc3ab76bf559e2b, v[32:33]
	v_mul_f64_e32 v[62:63], v[20:21], v[56:57]
	s_delay_alu instid0(VALU_DEP_2) | instskip(NEXT) | instid1(VALU_DEP_1)
	v_fmaak_f64 v[60:61], v[56:57], v[60:61], 0x3fc7474dd7f4df2e
	v_fmaak_f64 v[52:53], v[56:57], v[60:61], 0x3fcc71c016291751
	v_div_scale_f64 v[60:61], null, v[48:49], v[48:49], v[50:51]
	s_delay_alu instid0(VALU_DEP_2) | instskip(NEXT) | instid1(VALU_DEP_1)
	v_fmaak_f64 v[52:53], v[56:57], v[52:53], 0x3fd249249b27acf1
	v_fmaak_f64 v[52:53], v[56:57], v[52:53], 0x3fd99999998ef7b6
	s_delay_alu instid0(VALU_DEP_1) | instskip(SKIP_2) | instid1(VALU_DEP_3)
	v_fmaak_f64 v[52:53], v[56:57], v[52:53], 0x3fe5555555555780
	v_ldexp_f64 v[56:57], v[20:21], 1
	v_add_f64_e64 v[20:21], v[20:21], -v[58:59]
	v_mul_f64_e32 v[52:53], v[62:63], v[52:53]
	v_subrev_co_ci_u32_e64 v62, null, 0, v67, vcc_lo
	v_rcp_f64_e32 v[68:69], v[60:61]
	s_delay_alu instid0(VALU_DEP_1) | instskip(NEXT) | instid1(VALU_DEP_4)
	v_cvt_f64_i32_e32 v[62:63], v62
	v_add_f64_e64 v[18:19], v[18:19], -v[20:21]
	s_delay_alu instid0(VALU_DEP_4) | instskip(NEXT) | instid1(VALU_DEP_3)
	v_add_f64_e32 v[58:59], v[56:57], v[52:53]
	v_mul_f64_e32 v[70:71], 0x3fe62e42fefa39ef, v[62:63]
	s_delay_alu instid0(VALU_DEP_3) | instskip(NEXT) | instid1(VALU_DEP_3)
	v_ldexp_f64 v[18:19], v[18:19], 1
	v_add_f64_e64 v[20:21], v[58:59], -v[56:57]
	s_delay_alu instid0(TRANS32_DEP_1) | instskip(NEXT) | instid1(VALU_DEP_4)
	v_fma_f64 v[56:57], -v[60:61], v[68:69], 1.0
	v_fma_f64 v[72:73], v[62:63], s[22:23], -v[70:71]
	s_delay_alu instid0(VALU_DEP_3) | instskip(NEXT) | instid1(VALU_DEP_3)
	v_add_f64_e64 v[20:21], v[52:53], -v[20:21]
	v_fmac_f64_e32 v[68:69], v[68:69], v[56:57]
	s_delay_alu instid0(VALU_DEP_3) | instskip(SKIP_1) | instid1(VALU_DEP_4)
	v_fmac_f64_e32 v[72:73], 0x3c7abc9e3b39803f, v[62:63]
	v_div_scale_f64 v[62:63], vcc_lo, v[50:51], v[48:49], v[50:51]
	v_add_f64_e32 v[18:19], v[18:19], v[20:21]
	s_delay_alu instid0(VALU_DEP_4) | instskip(NEXT) | instid1(VALU_DEP_4)
	v_fma_f64 v[20:21], -v[60:61], v[68:69], 1.0
	v_add_f64_e32 v[52:53], v[70:71], v[72:73]
	s_delay_alu instid0(VALU_DEP_3) | instskip(NEXT) | instid1(VALU_DEP_3)
	v_add_f64_e32 v[56:57], v[58:59], v[18:19]
	v_fmac_f64_e32 v[68:69], v[68:69], v[20:21]
	s_delay_alu instid0(VALU_DEP_2) | instskip(NEXT) | instid1(VALU_DEP_2)
	v_add_f64_e32 v[20:21], v[52:53], v[56:57]
	v_mul_f64_e32 v[74:75], v[62:63], v[68:69]
	v_add_f64_e64 v[58:59], v[56:57], -v[58:59]
	s_delay_alu instid0(VALU_DEP_3) | instskip(NEXT) | instid1(VALU_DEP_3)
	v_add_f64_e64 v[76:77], v[20:21], -v[52:53]
	v_fma_f64 v[60:61], -v[60:61], v[74:75], v[62:63]
	v_add_f64_e64 v[62:63], v[52:53], -v[70:71]
	s_delay_alu instid0(VALU_DEP_4) | instskip(NEXT) | instid1(VALU_DEP_4)
	v_add_f64_e64 v[58:59], v[18:19], -v[58:59]
	v_add_f64_e64 v[70:71], v[20:21], -v[76:77]
	s_delay_alu instid0(VALU_DEP_4) | instskip(NEXT) | instid1(VALU_DEP_4)
	v_div_fmas_f64 v[60:61], v[60:61], v[68:69], v[74:75]
	v_add_f64_e64 v[62:63], v[72:73], -v[62:63]
	v_add_f64_e64 v[56:57], v[56:57], -v[76:77]
	v_cmp_class_f64_e64 vcc_lo, v[54:55], 0x204
	v_add_f64_e64 v[52:53], v[52:53], -v[70:71]
	v_div_fixup_f64 v[18:19], v[60:61], v[48:49], v[50:51]
	v_add_f64_e32 v[48:49], v[62:63], v[58:59]
	s_delay_alu instid0(VALU_DEP_3) | instskip(NEXT) | instid1(VALU_DEP_3)
	v_add_f64_e32 v[50:51], v[56:57], v[52:53]
	v_mul_f64_e32 v[52:53], v[18:19], v[18:19]
	s_delay_alu instid0(VALU_DEP_3) | instskip(NEXT) | instid1(VALU_DEP_3)
	v_add_f64_e64 v[56:57], v[48:49], -v[62:63]
	v_add_f64_e32 v[50:51], v[48:49], v[50:51]
	s_delay_alu instid0(VALU_DEP_3) | instskip(NEXT) | instid1(VALU_DEP_3)
	v_fmamk_f64 v[60:61], v[52:53], 0x3eeba404b5e68a13, v[36:37]
	v_add_f64_e64 v[48:49], v[48:49], -v[56:57]
	v_add_f64_e64 v[56:57], v[58:59], -v[56:57]
	s_delay_alu instid0(VALU_DEP_3) | instskip(NEXT) | instid1(VALU_DEP_1)
	v_fmaak_f64 v[60:61], v[52:53], v[60:61], 0x3f4b2bb069efb384
	v_fmaak_f64 v[60:61], v[52:53], v[60:61], 0xbf67952daf56de9b
	s_delay_alu instid0(VALU_DEP_1) | instskip(NEXT) | instid1(VALU_DEP_1)
	v_fmaak_f64 v[60:61], v[52:53], v[60:61], 0x3f7d6d43a595c56f
	v_fmaak_f64 v[60:61], v[52:53], v[60:61], 0xbf8c6ea4a57d9582
	v_add_f64_e32 v[68:69], v[20:21], v[50:51]
	v_add_f64_e64 v[48:49], v[62:63], -v[48:49]
	s_delay_alu instid0(VALU_DEP_3) | instskip(NEXT) | instid1(VALU_DEP_1)
	v_fmaak_f64 v[60:61], v[52:53], v[60:61], 0x3f967e295f08b19f
	v_fmaak_f64 v[60:61], v[52:53], v[60:61], 0xbf9e9ae6fc27006a
	s_delay_alu instid0(VALU_DEP_1) | instskip(NEXT) | instid1(VALU_DEP_1)
	v_fmaak_f64 v[60:61], v[52:53], v[60:61], 0x3fa2c15b5711927a
	v_fmaak_f64 v[58:59], v[52:53], v[60:61], 0xbfa59976e82d3ff0
	s_delay_alu instid0(VALU_DEP_1) | instskip(SKIP_2) | instid1(VALU_DEP_3)
	v_fmaak_f64 v[58:59], v[52:53], v[58:59], 0x3fa82d5d6ef28734
	v_add_f64_e64 v[20:21], v[68:69], -v[20:21]
	v_add_f64_e32 v[48:49], v[56:57], v[48:49]
	v_fmaak_f64 v[58:59], v[52:53], v[58:59], 0xbfaae5ce6a214619
	s_delay_alu instid0(VALU_DEP_1) | instskip(NEXT) | instid1(VALU_DEP_1)
	v_fmaak_f64 v[58:59], v[52:53], v[58:59], 0x3fae1bb48427b883
	v_fmaak_f64 v[58:59], v[52:53], v[58:59], 0xbfb110e48b207f05
	v_add_f64_e64 v[20:21], v[50:51], -v[20:21]
	s_delay_alu instid0(VALU_DEP_2) | instskip(NEXT) | instid1(VALU_DEP_1)
	v_fmaak_f64 v[50:51], v[52:53], v[58:59], 0x3fb3b13657b87036
	v_fmaak_f64 v[50:51], v[52:53], v[50:51], 0xbfb745d119378e4f
	s_delay_alu instid0(VALU_DEP_1) | instskip(NEXT) | instid1(VALU_DEP_1)
	v_fmaak_f64 v[50:51], v[52:53], v[50:51], 0x3fbc71c717e1913c
	v_fmaak_f64 v[50:51], v[52:53], v[50:51], 0xbfc2492492376b7d
	v_add_f64_e32 v[20:21], v[48:49], v[20:21]
	s_delay_alu instid0(VALU_DEP_2) | instskip(NEXT) | instid1(VALU_DEP_1)
	v_fmaak_f64 v[48:49], v[52:53], v[50:51], 0x3fc99999999952cc
	v_fmaak_f64 v[48:49], v[52:53], v[48:49], 0xbfd5555555555523
	s_delay_alu instid0(VALU_DEP_1) | instskip(NEXT) | instid1(VALU_DEP_4)
	v_mul_f64_e32 v[48:49], v[52:53], v[48:49]
	v_add_f64_e32 v[20:21], v[68:69], v[20:21]
	s_delay_alu instid0(VALU_DEP_2) | instskip(NEXT) | instid1(VALU_DEP_2)
	v_fmac_f64_e32 v[18:19], v[18:19], v[48:49]
	v_dual_cndmask_b32 v20, v20, v54 :: v_dual_cndmask_b32 v21, v21, v55
	v_cmp_ngt_f64_e32 vcc_lo, 0, v[54:55]
	s_delay_alu instid0(VALU_DEP_2) | instskip(SKIP_1) | instid1(VALU_DEP_4)
	v_cndmask_b32_e32 v21, 0x7ff80000, v21, vcc_lo
	v_cmp_nge_f64_e32 vcc_lo, 0, v[54:55]
	v_cndmask_b32_e32 v20, 0, v20, vcc_lo
	v_cmp_neq_f64_e32 vcc_lo, 0, v[54:55]
	s_delay_alu instid0(VALU_DEP_4)
	v_cndmask_b32_e32 v21, 0xfff00000, v21, vcc_lo
.LBB42_712:                             ;   in Loop: Header=BB42_417 Depth=1
	s_or_b32 exec_lo, exec_lo, s6
                                        ; implicit-def: $vgpr50_vgpr51
                                        ; implicit-def: $vgpr52_vgpr53
                                        ; implicit-def: $vgpr48_vgpr49
.LBB42_713:                             ;   in Loop: Header=BB42_417 Depth=1
	s_and_not1_saveexec_b32 s47, s47
	s_cbranch_execz .LBB42_715
; %bb.714:                              ;   in Loop: Header=BB42_417 Depth=1
	s_wait_dscnt 0x0
	v_div_scale_f64 v[18:19], null, s[40:41], s[40:41], v[10:11]
	v_div_scale_f64 v[20:21], null, s[40:41], s[40:41], v[12:13]
	v_div_scale_f64 v[62:63], vcc_lo, v[10:11], s[40:41], v[10:11]
	v_min_num_f64_e32 v[50:51], v[50:51], v[52:53]
	s_and_not1_b32 s46, s46, exec_lo
	s_delay_alu instid0(VALU_DEP_4) | instskip(NEXT) | instid1(VALU_DEP_3)
	v_rcp_f64_e32 v[54:55], v[18:19]
	v_rcp_f64_e32 v[56:57], v[20:21]
	s_delay_alu instid0(TRANS32_DEP_2) | instskip(NEXT) | instid1(TRANS32_DEP_1)
	v_fma_f64 v[58:59], -v[18:19], v[54:55], 1.0
	v_fma_f64 v[60:61], -v[20:21], v[56:57], 1.0
	s_delay_alu instid0(VALU_DEP_2) | instskip(NEXT) | instid1(VALU_DEP_2)
	v_fmac_f64_e32 v[54:55], v[54:55], v[58:59]
	v_fmac_f64_e32 v[56:57], v[56:57], v[60:61]
	s_delay_alu instid0(VALU_DEP_2) | instskip(NEXT) | instid1(VALU_DEP_2)
	v_fma_f64 v[58:59], -v[18:19], v[54:55], 1.0
	v_fma_f64 v[60:61], -v[20:21], v[56:57], 1.0
	s_delay_alu instid0(VALU_DEP_2) | instskip(SKIP_1) | instid1(VALU_DEP_3)
	v_fmac_f64_e32 v[54:55], v[54:55], v[58:59]
	v_div_scale_f64 v[58:59], s6, v[12:13], s[40:41], v[12:13]
	v_fmac_f64_e32 v[56:57], v[56:57], v[60:61]
	s_delay_alu instid0(VALU_DEP_3) | instskip(NEXT) | instid1(VALU_DEP_2)
	v_mul_f64_e32 v[60:61], v[62:63], v[54:55]
	v_mul_f64_e32 v[68:69], v[58:59], v[56:57]
	s_delay_alu instid0(VALU_DEP_2) | instskip(NEXT) | instid1(VALU_DEP_2)
	v_fma_f64 v[18:19], -v[18:19], v[60:61], v[62:63]
	v_fma_f64 v[20:21], -v[20:21], v[68:69], v[58:59]
	s_delay_alu instid0(VALU_DEP_2) | instskip(SKIP_1) | instid1(VALU_DEP_2)
	v_div_fmas_f64 v[18:19], v[18:19], v[54:55], v[60:61]
	s_mov_b32 vcc_lo, s6
	v_div_fmas_f64 v[20:21], v[20:21], v[56:57], v[68:69]
	s_delay_alu instid0(VALU_DEP_2) | instskip(NEXT) | instid1(VALU_DEP_2)
	v_div_fixup_f64 v[18:19], v[18:19], s[40:41], v[10:11]
	v_div_fixup_f64 v[20:21], v[20:21], s[40:41], v[12:13]
	s_delay_alu instid0(VALU_DEP_2) | instskip(NEXT) | instid1(VALU_DEP_2)
	v_cmp_class_f64_e64 s6, v[18:19], 0x204
	v_max_num_f64_e64 v[54:55], |v[18:19]|, |v[20:21]|
	v_cmp_class_f64_e64 s48, v[20:21], 0x204
	s_delay_alu instid0(VALU_DEP_2) | instskip(SKIP_2) | instid1(VALU_DEP_2)
	v_frexp_exp_i32_f64_e32 v62, v[54:55]
	s_or_b32 s6, s48, s6
	v_cmp_class_f64_e64 s48, v[10:11], 0x204
	v_sub_nc_u32_e32 v56, 0, v62
	s_delay_alu instid0(VALU_DEP_1) | instskip(SKIP_1) | instid1(VALU_DEP_2)
	v_ldexp_f64 v[54:55], |v[20:21]|, v56
	v_ldexp_f64 v[56:57], |v[18:19]|, v56
	v_mul_f64_e32 v[54:55], v[54:55], v[54:55]
	s_delay_alu instid0(VALU_DEP_1) | instskip(NEXT) | instid1(VALU_DEP_1)
	v_fmac_f64_e32 v[54:55], v[56:57], v[56:57]
	v_rsq_f64_e32 v[56:57], v[54:55]
	v_cmp_eq_f64_e32 vcc_lo, 0, v[54:55]
	s_delay_alu instid0(TRANS32_DEP_1) | instskip(SKIP_1) | instid1(VALU_DEP_1)
	v_mul_f64_e32 v[58:59], v[54:55], v[56:57]
	v_mul_f64_e32 v[56:57], 0.5, v[56:57]
	v_fma_f64 v[60:61], -v[56:57], v[58:59], 0.5
	s_delay_alu instid0(VALU_DEP_1) | instskip(SKIP_1) | instid1(VALU_DEP_2)
	v_fmac_f64_e32 v[58:59], v[58:59], v[60:61]
	v_fmac_f64_e32 v[56:57], v[56:57], v[60:61]
	v_fma_f64 v[60:61], -v[58:59], v[58:59], v[54:55]
	s_delay_alu instid0(VALU_DEP_1) | instskip(NEXT) | instid1(VALU_DEP_1)
	v_fmac_f64_e32 v[58:59], v[60:61], v[56:57]
	v_dual_cndmask_b32 v55, v59, v55 :: v_dual_cndmask_b32 v54, v58, v54
	s_delay_alu instid0(VALU_DEP_1) | instskip(NEXT) | instid1(VALU_DEP_1)
	v_ldexp_f64 v[18:19], v[54:55], v62
	v_cndmask_b32_e64 v55, v19, 0x7ff00000, s6
	s_delay_alu instid0(VALU_DEP_2) | instskip(SKIP_1) | instid1(VALU_DEP_2)
	v_cndmask_b32_e64 v54, v18, 0, s6
	v_cmp_class_f64_e64 s6, v[12:13], 0x204
	v_frexp_mant_f64_e32 v[18:19], v[54:55]
	v_frexp_exp_i32_f64_e32 v67, v[54:55]
	s_and_b32 s6, s6, s48
	s_delay_alu instid0(SALU_CYCLE_1) | instskip(NEXT) | instid1(VALU_DEP_2)
	s_and_b32 s6, s6, exec_lo
	v_cmp_gt_f64_e32 vcc_lo, s[16:17], v[18:19]
	s_or_b32 s46, s46, s6
	v_cndmask_b32_e64 v20, 0, 1, vcc_lo
	s_delay_alu instid0(VALU_DEP_3) | instskip(SKIP_1) | instid1(VALU_DEP_3)
	v_subrev_co_ci_u32_e64 v52, null, 0, v67, vcc_lo
	v_div_scale_f64 v[74:75], vcc_lo, v[50:51], v[48:49], v[50:51]
	v_ldexp_f64 v[18:19], v[18:19], v20
	s_delay_alu instid0(VALU_DEP_3) | instskip(NEXT) | instid1(VALU_DEP_2)
	v_cvt_f64_i32_e32 v[52:53], v52
	v_add_f64_e32 v[20:21], 1.0, v[18:19]
	v_add_f64_e32 v[60:61], -1.0, v[18:19]
	s_delay_alu instid0(VALU_DEP_2) | instskip(SKIP_1) | instid1(VALU_DEP_1)
	v_rcp_f64_e32 v[56:57], v[20:21]
	v_add_f64_e32 v[62:63], -1.0, v[20:21]
	v_add_f64_e64 v[18:19], v[18:19], -v[62:63]
	s_delay_alu instid0(TRANS32_DEP_1) | instskip(NEXT) | instid1(VALU_DEP_1)
	v_fma_f64 v[58:59], -v[20:21], v[56:57], 1.0
	v_fmac_f64_e32 v[56:57], v[58:59], v[56:57]
	s_delay_alu instid0(VALU_DEP_1) | instskip(NEXT) | instid1(VALU_DEP_1)
	v_fma_f64 v[58:59], -v[20:21], v[56:57], 1.0
	v_fmac_f64_e32 v[56:57], v[58:59], v[56:57]
	s_delay_alu instid0(VALU_DEP_1) | instskip(NEXT) | instid1(VALU_DEP_1)
	v_mul_f64_e32 v[58:59], v[60:61], v[56:57]
	v_mul_f64_e32 v[68:69], v[20:21], v[58:59]
	s_delay_alu instid0(VALU_DEP_1) | instskip(NEXT) | instid1(VALU_DEP_1)
	v_fma_f64 v[20:21], v[58:59], v[20:21], -v[68:69]
	v_fmac_f64_e32 v[20:21], v[58:59], v[18:19]
	s_delay_alu instid0(VALU_DEP_1) | instskip(NEXT) | instid1(VALU_DEP_1)
	v_add_f64_e32 v[18:19], v[68:69], v[20:21]
	v_add_f64_e64 v[62:63], v[60:61], -v[18:19]
	v_add_f64_e64 v[68:69], v[18:19], -v[68:69]
	s_delay_alu instid0(VALU_DEP_2) | instskip(NEXT) | instid1(VALU_DEP_2)
	v_add_f64_e64 v[60:61], v[60:61], -v[62:63]
	v_add_f64_e64 v[20:21], v[68:69], -v[20:21]
	v_mul_f64_e32 v[68:69], 0x3fe62e42fefa39ef, v[52:53]
	s_delay_alu instid0(VALU_DEP_3) | instskip(NEXT) | instid1(VALU_DEP_2)
	v_add_f64_e64 v[18:19], v[60:61], -v[18:19]
	v_fma_f64 v[70:71], v[52:53], s[22:23], -v[68:69]
	s_delay_alu instid0(VALU_DEP_2) | instskip(NEXT) | instid1(VALU_DEP_2)
	v_add_f64_e32 v[18:19], v[20:21], v[18:19]
	v_fmac_f64_e32 v[70:71], 0x3c7abc9e3b39803f, v[52:53]
	s_delay_alu instid0(VALU_DEP_2) | instskip(NEXT) | instid1(VALU_DEP_1)
	v_add_f64_e32 v[18:19], v[62:63], v[18:19]
	v_mul_f64_e32 v[18:19], v[56:57], v[18:19]
	s_delay_alu instid0(VALU_DEP_1) | instskip(NEXT) | instid1(VALU_DEP_1)
	v_add_f64_e32 v[20:21], v[58:59], v[18:19]
	v_mul_f64_e32 v[56:57], v[20:21], v[20:21]
	s_delay_alu instid0(VALU_DEP_1) | instskip(SKIP_1) | instid1(VALU_DEP_2)
	v_fmamk_f64 v[60:61], v[56:57], 0x3fc3ab76bf559e2b, v[32:33]
	v_mul_f64_e32 v[62:63], v[20:21], v[56:57]
	v_fmaak_f64 v[60:61], v[56:57], v[60:61], 0x3fc7474dd7f4df2e
	s_delay_alu instid0(VALU_DEP_1) | instskip(NEXT) | instid1(VALU_DEP_1)
	v_fmaak_f64 v[60:61], v[56:57], v[60:61], 0x3fcc71c016291751
	v_fmaak_f64 v[60:61], v[56:57], v[60:61], 0x3fd249249b27acf1
	s_delay_alu instid0(VALU_DEP_1) | instskip(NEXT) | instid1(VALU_DEP_1)
	v_fmaak_f64 v[60:61], v[56:57], v[60:61], 0x3fd99999998ef7b6
	v_fmaak_f64 v[56:57], v[56:57], v[60:61], 0x3fe5555555555780
	v_ldexp_f64 v[60:61], v[20:21], 1
	v_add_f64_e64 v[20:21], v[20:21], -v[58:59]
	s_delay_alu instid0(VALU_DEP_3) | instskip(SKIP_1) | instid1(VALU_DEP_3)
	v_mul_f64_e32 v[56:57], v[62:63], v[56:57]
	v_div_scale_f64 v[62:63], null, v[48:49], v[48:49], v[50:51]
	v_add_f64_e64 v[18:19], v[18:19], -v[20:21]
	s_delay_alu instid0(VALU_DEP_3) | instskip(NEXT) | instid1(VALU_DEP_2)
	v_add_f64_e32 v[58:59], v[60:61], v[56:57]
	v_ldexp_f64 v[18:19], v[18:19], 1
	s_delay_alu instid0(VALU_DEP_2) | instskip(SKIP_1) | instid1(VALU_DEP_1)
	v_add_f64_e64 v[20:21], v[58:59], -v[60:61]
	v_rcp_f64_e32 v[60:61], v[62:63]
	v_add_f64_e64 v[20:21], v[56:57], -v[20:21]
	s_delay_alu instid0(TRANS32_DEP_1) | instskip(NEXT) | instid1(VALU_DEP_2)
	v_fma_f64 v[56:57], -v[62:63], v[60:61], 1.0
	v_add_f64_e32 v[18:19], v[18:19], v[20:21]
	v_add_f64_e32 v[20:21], v[68:69], v[70:71]
	s_delay_alu instid0(VALU_DEP_3) | instskip(NEXT) | instid1(VALU_DEP_3)
	v_fmac_f64_e32 v[60:61], v[60:61], v[56:57]
	v_add_f64_e32 v[52:53], v[58:59], v[18:19]
	s_delay_alu instid0(VALU_DEP_3) | instskip(NEXT) | instid1(VALU_DEP_3)
	v_add_f64_e64 v[68:69], v[20:21], -v[68:69]
	v_fma_f64 v[56:57], -v[62:63], v[60:61], 1.0
	s_delay_alu instid0(VALU_DEP_3) | instskip(SKIP_1) | instid1(VALU_DEP_4)
	v_add_f64_e32 v[72:73], v[20:21], v[52:53]
	v_add_f64_e64 v[58:59], v[52:53], -v[58:59]
	v_add_f64_e64 v[68:69], v[70:71], -v[68:69]
	s_delay_alu instid0(VALU_DEP_4) | instskip(NEXT) | instid1(VALU_DEP_4)
	v_fmac_f64_e32 v[60:61], v[60:61], v[56:57]
	v_add_f64_e64 v[56:57], v[72:73], -v[20:21]
	s_delay_alu instid0(VALU_DEP_4) | instskip(NEXT) | instid1(VALU_DEP_3)
	v_add_f64_e64 v[58:59], v[18:19], -v[58:59]
	v_mul_f64_e32 v[76:77], v[74:75], v[60:61]
	s_delay_alu instid0(VALU_DEP_3) | instskip(SKIP_1) | instid1(VALU_DEP_4)
	v_add_f64_e64 v[78:79], v[72:73], -v[56:57]
	v_add_f64_e64 v[18:19], v[52:53], -v[56:57]
	v_add_f64_e32 v[56:57], v[68:69], v[58:59]
	s_delay_alu instid0(VALU_DEP_4) | instskip(NEXT) | instid1(VALU_DEP_4)
	v_fma_f64 v[62:63], -v[62:63], v[76:77], v[74:75]
	v_add_f64_e64 v[20:21], v[20:21], -v[78:79]
	s_delay_alu instid0(VALU_DEP_2) | instskip(SKIP_1) | instid1(VALU_DEP_3)
	v_div_fmas_f64 v[52:53], v[62:63], v[60:61], v[76:77]
	v_cmp_class_f64_e64 vcc_lo, v[54:55], 0x204
	v_add_f64_e32 v[20:21], v[18:19], v[20:21]
	s_delay_alu instid0(VALU_DEP_3) | instskip(SKIP_1) | instid1(VALU_DEP_3)
	v_div_fixup_f64 v[18:19], v[52:53], v[48:49], v[50:51]
	v_add_f64_e64 v[48:49], v[56:57], -v[68:69]
	v_add_f64_e32 v[20:21], v[56:57], v[20:21]
	s_delay_alu instid0(VALU_DEP_3) | instskip(NEXT) | instid1(VALU_DEP_3)
	v_mul_f64_e32 v[50:51], v[18:19], v[18:19]
	v_add_f64_e64 v[52:53], v[56:57], -v[48:49]
	v_add_f64_e64 v[48:49], v[58:59], -v[48:49]
	s_delay_alu instid0(VALU_DEP_4) | instskip(NEXT) | instid1(VALU_DEP_4)
	v_add_f64_e32 v[56:57], v[72:73], v[20:21]
	v_fmamk_f64 v[60:61], v[50:51], 0x3eeba404b5e68a13, v[36:37]
	s_delay_alu instid0(VALU_DEP_4) | instskip(NEXT) | instid1(VALU_DEP_2)
	v_add_f64_e64 v[52:53], v[68:69], -v[52:53]
	v_fmaak_f64 v[60:61], v[50:51], v[60:61], 0x3f4b2bb069efb384
	s_delay_alu instid0(VALU_DEP_1) | instskip(NEXT) | instid1(VALU_DEP_1)
	v_fmaak_f64 v[60:61], v[50:51], v[60:61], 0xbf67952daf56de9b
	v_fmaak_f64 v[60:61], v[50:51], v[60:61], 0x3f7d6d43a595c56f
	v_add_f64_e64 v[58:59], v[56:57], -v[72:73]
	s_delay_alu instid0(VALU_DEP_2) | instskip(SKIP_1) | instid1(VALU_DEP_2)
	v_fmaak_f64 v[60:61], v[50:51], v[60:61], 0xbf8c6ea4a57d9582
	v_add_f64_e32 v[48:49], v[48:49], v[52:53]
	v_fmaak_f64 v[60:61], v[50:51], v[60:61], 0x3f967e295f08b19f
	s_delay_alu instid0(VALU_DEP_1) | instskip(NEXT) | instid1(VALU_DEP_1)
	v_fmaak_f64 v[60:61], v[50:51], v[60:61], 0xbf9e9ae6fc27006a
	v_fmaak_f64 v[60:61], v[50:51], v[60:61], 0x3fa2c15b5711927a
	s_delay_alu instid0(VALU_DEP_1) | instskip(SKIP_1) | instid1(VALU_DEP_2)
	v_fmaak_f64 v[52:53], v[50:51], v[60:61], 0xbfa59976e82d3ff0
	v_add_f64_e64 v[20:21], v[20:21], -v[58:59]
	v_fmaak_f64 v[52:53], v[50:51], v[52:53], 0x3fa82d5d6ef28734
	s_delay_alu instid0(VALU_DEP_1) | instskip(NEXT) | instid1(VALU_DEP_1)
	v_fmaak_f64 v[52:53], v[50:51], v[52:53], 0xbfaae5ce6a214619
	v_fmaak_f64 v[52:53], v[50:51], v[52:53], 0x3fae1bb48427b883
	s_delay_alu instid0(VALU_DEP_1) | instskip(SKIP_1) | instid1(VALU_DEP_2)
	v_fmaak_f64 v[52:53], v[50:51], v[52:53], 0xbfb110e48b207f05
	v_add_f64_e32 v[20:21], v[48:49], v[20:21]
	v_fmaak_f64 v[48:49], v[50:51], v[52:53], 0x3fb3b13657b87036
	s_delay_alu instid0(VALU_DEP_1) | instskip(NEXT) | instid1(VALU_DEP_1)
	v_fmaak_f64 v[48:49], v[50:51], v[48:49], 0xbfb745d119378e4f
	v_fmaak_f64 v[48:49], v[50:51], v[48:49], 0x3fbc71c717e1913c
	s_delay_alu instid0(VALU_DEP_1) | instskip(NEXT) | instid1(VALU_DEP_1)
	v_fmaak_f64 v[48:49], v[50:51], v[48:49], 0xbfc2492492376b7d
	v_fmaak_f64 v[48:49], v[50:51], v[48:49], 0x3fc99999999952cc
	v_add_f64_e32 v[20:21], v[56:57], v[20:21]
	s_delay_alu instid0(VALU_DEP_2) | instskip(NEXT) | instid1(VALU_DEP_1)
	v_fmaak_f64 v[48:49], v[50:51], v[48:49], 0xbfd5555555555523
	v_dual_mul_f64 v[48:49], v[50:51], v[48:49] :: v_dual_cndmask_b32 v21, v21, v55, vcc_lo
	s_delay_alu instid0(VALU_DEP_3) | instskip(SKIP_1) | instid1(VALU_DEP_2)
	v_cndmask_b32_e32 v20, v20, v54, vcc_lo
	v_cmp_ngt_f64_e32 vcc_lo, 0, v[54:55]
	v_add_f64_e32 v[20:21], 1.0, v[20:21]
	s_delay_alu instid0(VALU_DEP_4) | instskip(NEXT) | instid1(VALU_DEP_2)
	v_fmac_f64_e32 v[18:19], v[18:19], v[48:49]
	v_cndmask_b32_e32 v10, 0x7ff80000, v21, vcc_lo
	v_cmp_nge_f64_e32 vcc_lo, 0, v[54:55]
	s_delay_alu instid0(VALU_DEP_4) | instskip(SKIP_1) | instid1(VALU_DEP_4)
	v_cndmask_b32_e32 v20, 0, v20, vcc_lo
	v_cmp_neq_f64_e32 vcc_lo, 0, v[54:55]
	v_cndmask_b32_e32 v21, 0xfff00000, v10, vcc_lo
.LBB42_715:                             ;   in Loop: Header=BB42_417 Depth=1
	s_or_b32 exec_lo, exec_lo, s47
	s_wait_dscnt 0x0
	s_delay_alu instid0(VALU_DEP_3) | instskip(NEXT) | instid1(VALU_DEP_2)
	v_add_f64_e64 v[48:49], -v[18:19], s[34:35]
	v_add_f64_e32 v[20:21], 0x3fe62e42fefa39ef, v[20:21]
	v_cmp_gt_i32_e32 vcc_lo, 0, v11
	v_dual_cndmask_b32 v11, 0x54442d18, v65 :: v_dual_ashrrev_i32 v10, 31, v11
	s_delay_alu instid0(VALU_DEP_1) | instskip(SKIP_4) | instid1(VALU_DEP_3)
	v_and_b32_e32 v50, 0x54442d18, v10
	v_and_b32_e32 v10, 0x400921fb, v10
	v_dual_cndmask_b32 v19, v19, v49, s5 :: v_dual_cndmask_b32 v18, v18, v48, s5
	v_cmp_eq_f64_e64 s5, 0, v[12:13]
	v_cndmask_b32_e32 v12, 0x3fe921fb, v66, vcc_lo
	v_add_f64_e64 v[48:49], -v[18:19], s[36:37]
	s_delay_alu instid0(VALU_DEP_2) | instskip(NEXT) | instid1(VALU_DEP_2)
	v_bfi_b32 v12, 0x7fffffff, v12, v13
	v_dual_cndmask_b32 v18, v18, v48 :: v_dual_cndmask_b32 v19, v19, v49
	s_delay_alu instid0(VALU_DEP_1) | instskip(NEXT) | instid1(VALU_DEP_1)
	v_cndmask_b32_e64 v10, v19, v10, s5
	v_cndmask_b32_e64 v10, v10, v12, s46
	v_xor_b32_e32 v12, 0x80000000, v21
	s_delay_alu instid0(VALU_DEP_4) | instskip(NEXT) | instid1(VALU_DEP_3)
	v_cndmask_b32_e64 v13, v18, v50, s5
	v_and_b32_e32 v19, 0x7fffffff, v10
	s_delay_alu instid0(VALU_DEP_2)
	v_dual_cndmask_b32 v21, v12, v21, s4 :: v_dual_cndmask_b32 v18, v13, v11, s46
.LBB42_716:                             ;   in Loop: Header=BB42_417 Depth=1
	s_or_b32 exec_lo, exec_lo, s33
                                        ; implicit-def: $vgpr12_vgpr13
.LBB42_717:                             ;   in Loop: Header=BB42_417 Depth=1
	s_and_not1_saveexec_b32 s4, s7
	s_cbranch_execz .LBB42_731
; %bb.718:                              ;   in Loop: Header=BB42_417 Depth=1
	v_cmp_neq_f64_e64 s5, 0x7ff00000, |v[10:11]|
                                        ; implicit-def: $vgpr20_vgpr21
	s_and_saveexec_b32 s6, s5
	s_delay_alu instid0(SALU_CYCLE_1)
	s_xor_b32 s5, exec_lo, s6
	s_cbranch_execz .LBB42_728
; %bb.719:                              ;   in Loop: Header=BB42_417 Depth=1
	v_cmp_neq_f64_e64 s6, 0x7ff00000, |v[12:13]|
	s_wait_dscnt 0x0
	v_xor_b32_e32 v21, 0x80000000, v13
	v_mov_b32_e32 v20, v12
	s_and_saveexec_b32 s7, s6
	s_delay_alu instid0(SALU_CYCLE_1)
	s_xor_b32 s6, exec_lo, s7
	s_cbranch_execz .LBB42_725
; %bb.720:                              ;   in Loop: Header=BB42_417 Depth=1
	s_mov_b32 s7, exec_lo
                                        ; implicit-def: $vgpr20_vgpr21
	v_cmpx_neq_f64_e32 0, v[10:11]
	s_xor_b32 s7, exec_lo, s7
	s_cbranch_execz .LBB42_722
; %bb.721:                              ;   in Loop: Header=BB42_417 Depth=1
	v_add_f64_e32 v[12:13], 0, v[12:13]
	s_delay_alu instid0(VALU_DEP_1)
	v_add_f64_e32 v[20:21], v[10:11], v[12:13]
                                        ; implicit-def: $vgpr12_vgpr13
.LBB42_722:                             ;   in Loop: Header=BB42_417 Depth=1
	s_or_saveexec_b32 s7, s7
	s_delay_alu instid0(VALU_DEP_1)
	v_mov_b64_e32 v[18:19], v[20:21]
	s_xor_b32 exec_lo, exec_lo, s7
	s_cbranch_execz .LBB42_724
; %bb.723:                              ;   in Loop: Header=BB42_417 Depth=1
	flat_load_b64 v[10:11], v[24:25] scope:SCOPE_SYS
	s_wait_loadcnt 0x0
	v_add_f64_e32 v[20:21], v[12:13], v[12:13]
	s_wait_dscnt 0x0
	v_add_f64_e32 v[18:19], 0x3ff921fb54442d18, v[10:11]
.LBB42_724:                             ;   in Loop: Header=BB42_417 Depth=1
	s_wait_xcnt 0x0
	s_or_b32 exec_lo, exec_lo, s7
                                        ; implicit-def: $vgpr10_vgpr11
.LBB42_725:                             ;   in Loop: Header=BB42_417 Depth=1
	s_and_not1_saveexec_b32 s6, s6
; %bb.726:                              ;   in Loop: Header=BB42_417 Depth=1
	v_add_f64_e32 v[18:19], v[10:11], v[10:11]
; %bb.727:                              ;   in Loop: Header=BB42_417 Depth=1
	s_or_b32 exec_lo, exec_lo, s6
                                        ; implicit-def: $vgpr12_vgpr13
.LBB42_728:                             ;   in Loop: Header=BB42_417 Depth=1
	s_and_not1_saveexec_b32 s5, s5
	s_cbranch_execz .LBB42_730
; %bb.729:                              ;   in Loop: Header=BB42_417 Depth=1
	s_wait_dscnt 0x0
	v_add_f64_e32 v[18:19], v[12:13], v[12:13]
	v_mov_b64_e32 v[20:21], 0xfff0000000000000
.LBB42_730:                             ;   in Loop: Header=BB42_417 Depth=1
	s_or_b32 exec_lo, exec_lo, s5
.LBB42_731:                             ;   in Loop: Header=BB42_417 Depth=1
	s_delay_alu instid0(SALU_CYCLE_1)
	s_or_b32 exec_lo, exec_lo, s4
	flat_store_b64 v[24:25], v[38:39] scope:SCOPE_SYS
	s_wait_storecnt 0x0
                                        ; implicit-def: $vgpr12_vgpr13
	s_mov_b32 s4, exec_lo
	s_wait_xcnt 0x0
	v_cmpx_o_f64_e32 v[2:3], v[4:5]
	s_xor_b32 s7, exec_lo, s4
	s_cbranch_execnz .LBB42_737
; %bb.732:                              ;   in Loop: Header=BB42_417 Depth=1
	s_and_not1_saveexec_b32 s4, s7
	s_cbranch_execnz .LBB42_824
.LBB42_733:                             ;   in Loop: Header=BB42_417 Depth=1
	s_or_b32 exec_lo, exec_lo, s4
	s_and_saveexec_b32 s4, s0
	s_delay_alu instid0(SALU_CYCLE_1)
	s_xor_b32 s0, exec_lo, s4
	s_cbranch_execnz .LBB42_837
.LBB42_734:                             ;   in Loop: Header=BB42_417 Depth=1
	s_or_b32 exec_lo, exec_lo, s0
	s_and_saveexec_b32 s0, s1
	s_cbranch_execnz .LBB42_838
.LBB42_735:                             ;   in Loop: Header=BB42_417 Depth=1
	s_or_b32 exec_lo, exec_lo, s0
	s_and_saveexec_b32 s0, s2
	s_cbranch_execnz .LBB42_839
.LBB42_736:                             ;   in Loop: Header=BB42_417 Depth=1
	s_or_b32 exec_lo, exec_lo, s0
	s_and_saveexec_b32 s0, s3
	s_cbranch_execz .LBB42_416
	s_branch .LBB42_840
.LBB42_737:                             ;   in Loop: Header=BB42_417 Depth=1
	v_max_num_f64_e64 v[50:51], |v[2:3]|, |v[2:3]|
	v_max_num_f64_e64 v[52:53], |v[4:5]|, |v[4:5]|
	v_cmp_gt_i64_e64 s4, 0, v[4:5]
                                        ; implicit-def: $vgpr12_vgpr13
	s_mov_b32 s5, exec_lo
	v_max_num_f64_e32 v[48:49], v[52:53], v[50:51]
	s_delay_alu instid0(VALU_DEP_1)
	v_cmpx_nlt_f64_e32 0x43300000, v[48:49]
	s_xor_b32 s33, exec_lo, s5
	s_cbranch_execz .LBB42_813
; %bb.738:                              ;   in Loop: Header=BB42_417 Depth=1
	v_cmp_neq_f64_e32 vcc_lo, 1.0, v[2:3]
	v_cmp_neq_f64_e64 s5, 0, v[4:5]
	v_xor_b32_e32 v13, 0x80000000, v5
	v_mov_b32_e32 v12, v4
	s_or_b32 s5, s5, vcc_lo
	s_delay_alu instid0(SALU_CYCLE_1) | instskip(NEXT) | instid1(SALU_CYCLE_1)
	s_and_saveexec_b32 s6, s5
	s_xor_b32 s46, exec_lo, s6
	s_cbranch_execz .LBB42_810
; %bb.739:                              ;   in Loop: Header=BB42_417 Depth=1
	flat_store_b32 v[28:29], v64 scope:SCOPE_SYS
	s_wait_storecnt 0x0
	flat_load_b32 v10, v[28:29] scope:SCOPE_SYS
	s_wait_loadcnt 0x0
	v_cmp_nlt_f64_e64 s5, |v[2:3]|, s[14:15]
	v_cmp_nlt_f64_e64 s6, |v[4:5]|, s[14:15]
	v_mov_b32_e32 v12, v4
	s_or_b32 s5, s6, s5
	s_wait_dscnt 0x0
	v_add_f32_e32 v10, 1.0, v10
	flat_store_b32 v[30:31], v10 scope:SCOPE_SYS
	s_wait_storecnt 0x0
	flat_load_b32 v10, v[30:31] scope:SCOPE_SYS
	s_wait_loadcnt 0x0
	s_wait_xcnt 0x0
	s_and_saveexec_b32 s6, s5
	s_delay_alu instid0(SALU_CYCLE_1)
	s_xor_b32 s47, exec_lo, s6
	s_cbranch_execz .LBB42_807
; %bb.740:                              ;   in Loop: Header=BB42_417 Depth=1
	s_wait_dscnt 0x0
	v_add_f64_e64 v[10:11], |v[2:3]|, -1.0
	v_add_f64_e64 v[50:51], |v[2:3]|, 1.0
	s_delay_alu instid0(VALU_DEP_2) | instskip(NEXT) | instid1(VALU_DEP_1)
	v_max_num_f64_e64 v[48:49], v[52:53], |v[10:11]|
	v_frexp_exp_i32_f64_e32 v68, v[48:49]
	s_delay_alu instid0(VALU_DEP_1) | instskip(NEXT) | instid1(VALU_DEP_1)
	v_dual_max_num_f64 v[12:13], v[52:53], v[50:51] :: v_dual_sub_nc_u32 v54, 0, v68
	v_frexp_exp_i32_f64_e32 v67, v[12:13]
	s_delay_alu instid0(VALU_DEP_2) | instskip(SKIP_1) | instid1(VALU_DEP_2)
	v_ldexp_f64 v[48:49], |v[10:11]|, v54
	v_ldexp_f64 v[54:55], |v[4:5]|, v54
	v_dual_mul_f64 v[48:49], v[48:49], v[48:49] :: v_dual_sub_nc_u32 v52, 0, v67
	s_delay_alu instid0(VALU_DEP_1) | instskip(NEXT) | instid1(VALU_DEP_2)
	v_ldexp_f64 v[12:13], v[50:51], v52
	v_fmac_f64_e32 v[48:49], v[54:55], v[54:55]
	s_delay_alu instid0(VALU_DEP_2) | instskip(SKIP_1) | instid1(VALU_DEP_3)
	v_mul_f64_e32 v[12:13], v[12:13], v[12:13]
	v_ldexp_f64 v[52:53], |v[4:5]|, v52
	v_rsq_f64_e32 v[54:55], v[48:49]
	v_cmp_eq_f64_e64 s5, 0, v[48:49]
	s_delay_alu instid0(VALU_DEP_2) | instskip(NEXT) | instid1(VALU_DEP_1)
	v_fmac_f64_e32 v[12:13], v[52:53], v[52:53]
	v_rsq_f64_e32 v[52:53], v[12:13]
	v_cmp_eq_f64_e32 vcc_lo, 0, v[12:13]
	s_delay_alu instid0(TRANS32_DEP_1) | instskip(SKIP_1) | instid1(VALU_DEP_1)
	v_mul_f64_e32 v[56:57], v[12:13], v[52:53]
	v_mul_f64_e32 v[52:53], 0.5, v[52:53]
	v_fma_f64 v[60:61], -v[52:53], v[56:57], 0.5
	s_delay_alu instid0(VALU_DEP_1) | instskip(SKIP_1) | instid1(VALU_DEP_2)
	v_fmac_f64_e32 v[56:57], v[56:57], v[60:61]
	v_fmac_f64_e32 v[52:53], v[52:53], v[60:61]
	v_fma_f64 v[60:61], -v[56:57], v[56:57], v[12:13]
	s_delay_alu instid0(VALU_DEP_1) | instskip(NEXT) | instid1(VALU_DEP_1)
	v_fmac_f64_e32 v[56:57], v[60:61], v[52:53]
	v_dual_cndmask_b32 v13, v57, v13 :: v_dual_cndmask_b32 v12, v56, v12
	v_cmp_neq_f64_e32 vcc_lo, 0x7ff00000, v[50:51]
	s_delay_alu instid0(VALU_DEP_2) | instskip(NEXT) | instid1(TRANS32_DEP_2)
	v_ldexp_f64 v[12:13], v[12:13], v67
	v_mul_f64_e32 v[58:59], v[48:49], v[54:55]
	v_mul_f64_e32 v[54:55], 0.5, v[54:55]
	s_delay_alu instid0(VALU_DEP_1) | instskip(NEXT) | instid1(VALU_DEP_1)
	v_fma_f64 v[62:63], -v[54:55], v[58:59], 0.5
	v_fmac_f64_e32 v[58:59], v[58:59], v[62:63]
	v_fmac_f64_e32 v[54:55], v[54:55], v[62:63]
	s_delay_alu instid0(VALU_DEP_2) | instskip(NEXT) | instid1(VALU_DEP_1)
	v_fma_f64 v[62:63], -v[58:59], v[58:59], v[48:49]
	v_fmac_f64_e32 v[58:59], v[62:63], v[54:55]
	v_cndmask_b32_e32 v55, 0x7ff00000, v13, vcc_lo
	s_delay_alu instid0(VALU_DEP_2) | instskip(NEXT) | instid1(VALU_DEP_3)
	v_dual_cndmask_b32 v54, 0, v12, vcc_lo :: v_dual_cndmask_b32 v49, v59, v49, s5
	v_cndmask_b32_e64 v48, v58, v48, s5
	v_cmp_neq_f64_e64 s5, 0x7ff00000, |v[10:11]|
	s_delay_alu instid0(VALU_DEP_2) | instskip(NEXT) | instid1(VALU_DEP_1)
	v_ldexp_f64 v[48:49], v[48:49], v68
	v_cndmask_b32_e64 v53, 0x7ff00000, v49, s5
	s_delay_alu instid0(VALU_DEP_2) | instskip(SKIP_1) | instid1(VALU_DEP_1)
	v_cndmask_b32_e64 v52, 0, v48, s5
	s_mov_b32 s5, exec_lo
	v_add_f64_e32 v[12:13], v[54:55], v[52:53]
	s_delay_alu instid0(VALU_DEP_1) | instskip(NEXT) | instid1(VALU_DEP_1)
	v_mul_f64_e32 v[12:13], 0.5, v[12:13]
	v_cmp_ngt_f64_e32 vcc_lo, 1.0, v[12:13]
	v_cndmask_b32_e32 v49, 0x3ff00000, v13, vcc_lo
	v_cndmask_b32_e32 v48, 0, v12, vcc_lo
                                        ; implicit-def: $vgpr12_vgpr13
	s_delay_alu instid0(VALU_DEP_1)
	v_cmpx_ngt_f64_e32 0x40240000, v[48:49]
	s_xor_b32 s5, exec_lo, s5
	s_cbranch_execz .LBB42_742
; %bb.741:                              ;   in Loop: Header=BB42_417 Depth=1
	v_fma_f64 v[12:13], v[48:49], v[48:49], -1.0
	s_delay_alu instid0(VALU_DEP_1) | instskip(SKIP_1) | instid1(VALU_DEP_1)
	v_cmp_gt_f64_e32 vcc_lo, 0x10000000, v[12:13]
	v_cndmask_b32_e64 v56, 0, 0x100, vcc_lo
	v_ldexp_f64 v[12:13], v[12:13], v56
	s_delay_alu instid0(VALU_DEP_1) | instskip(SKIP_1) | instid1(TRANS32_DEP_1)
	v_rsq_f64_e32 v[56:57], v[12:13]
	v_nop
	v_mul_f64_e32 v[58:59], v[12:13], v[56:57]
	v_mul_f64_e32 v[56:57], 0.5, v[56:57]
	s_delay_alu instid0(VALU_DEP_1) | instskip(NEXT) | instid1(VALU_DEP_1)
	v_fma_f64 v[60:61], -v[56:57], v[58:59], 0.5
	v_fmac_f64_e32 v[58:59], v[58:59], v[60:61]
	v_fmac_f64_e32 v[56:57], v[56:57], v[60:61]
	s_delay_alu instid0(VALU_DEP_2) | instskip(NEXT) | instid1(VALU_DEP_1)
	v_fma_f64 v[60:61], -v[58:59], v[58:59], v[12:13]
	v_fmac_f64_e32 v[58:59], v[60:61], v[56:57]
	s_delay_alu instid0(VALU_DEP_1) | instskip(NEXT) | instid1(VALU_DEP_1)
	v_fma_f64 v[60:61], -v[58:59], v[58:59], v[12:13]
	v_fmac_f64_e32 v[58:59], v[60:61], v[56:57]
	v_cndmask_b32_e64 v56, 0, 0xffffff80, vcc_lo
	v_cmp_class_f64_e64 vcc_lo, v[12:13], 0x260
	s_delay_alu instid0(VALU_DEP_2) | instskip(NEXT) | instid1(VALU_DEP_1)
	v_ldexp_f64 v[56:57], v[58:59], v56
	v_dual_cndmask_b32 v13, v57, v13 :: v_dual_cndmask_b32 v12, v56, v12
	s_delay_alu instid0(VALU_DEP_1) | instskip(NEXT) | instid1(VALU_DEP_1)
	v_add_f64_e32 v[12:13], v[48:49], v[12:13]
	v_frexp_mant_f64_e32 v[56:57], v[12:13]
	v_frexp_exp_i32_f64_e32 v67, v[12:13]
	s_delay_alu instid0(VALU_DEP_2) | instskip(SKIP_1) | instid1(VALU_DEP_3)
	v_cmp_gt_f64_e32 vcc_lo, s[16:17], v[56:57]
	v_cndmask_b32_e64 v58, 0, 1, vcc_lo
	v_subrev_co_ci_u32_e64 v67, null, 0, v67, vcc_lo
	v_cmp_class_f64_e64 vcc_lo, v[12:13], 0x204
	s_delay_alu instid0(VALU_DEP_3) | instskip(NEXT) | instid1(VALU_DEP_1)
	v_ldexp_f64 v[56:57], v[56:57], v58
	v_add_f64_e32 v[58:59], 1.0, v[56:57]
	v_add_f64_e32 v[68:69], -1.0, v[56:57]
	s_delay_alu instid0(VALU_DEP_2) | instskip(SKIP_1) | instid1(VALU_DEP_1)
	v_rcp_f64_e32 v[60:61], v[58:59]
	v_add_f64_e32 v[70:71], -1.0, v[58:59]
	v_add_f64_e64 v[56:57], v[56:57], -v[70:71]
	s_delay_alu instid0(TRANS32_DEP_1) | instskip(NEXT) | instid1(VALU_DEP_1)
	v_fma_f64 v[62:63], -v[58:59], v[60:61], 1.0
	v_fmac_f64_e32 v[60:61], v[62:63], v[60:61]
	s_delay_alu instid0(VALU_DEP_1) | instskip(NEXT) | instid1(VALU_DEP_1)
	v_fma_f64 v[62:63], -v[58:59], v[60:61], 1.0
	v_fmac_f64_e32 v[60:61], v[62:63], v[60:61]
	s_delay_alu instid0(VALU_DEP_1) | instskip(NEXT) | instid1(VALU_DEP_1)
	v_mul_f64_e32 v[62:63], v[68:69], v[60:61]
	v_mul_f64_e32 v[72:73], v[58:59], v[62:63]
	s_delay_alu instid0(VALU_DEP_1) | instskip(NEXT) | instid1(VALU_DEP_1)
	v_fma_f64 v[58:59], v[62:63], v[58:59], -v[72:73]
	v_fmac_f64_e32 v[58:59], v[62:63], v[56:57]
	s_delay_alu instid0(VALU_DEP_1) | instskip(NEXT) | instid1(VALU_DEP_1)
	v_add_f64_e32 v[56:57], v[72:73], v[58:59]
	v_add_f64_e64 v[70:71], v[68:69], -v[56:57]
	v_add_f64_e64 v[72:73], v[56:57], -v[72:73]
	s_delay_alu instid0(VALU_DEP_2) | instskip(NEXT) | instid1(VALU_DEP_2)
	v_add_f64_e64 v[68:69], v[68:69], -v[70:71]
	v_add_f64_e64 v[58:59], v[72:73], -v[58:59]
	s_delay_alu instid0(VALU_DEP_2) | instskip(NEXT) | instid1(VALU_DEP_1)
	v_add_f64_e64 v[56:57], v[68:69], -v[56:57]
	v_add_f64_e32 v[56:57], v[58:59], v[56:57]
	s_delay_alu instid0(VALU_DEP_1) | instskip(NEXT) | instid1(VALU_DEP_1)
	v_add_f64_e32 v[56:57], v[70:71], v[56:57]
	v_mul_f64_e32 v[56:57], v[60:61], v[56:57]
	s_delay_alu instid0(VALU_DEP_1) | instskip(NEXT) | instid1(VALU_DEP_1)
	v_add_f64_e32 v[58:59], v[62:63], v[56:57]
	v_mul_f64_e32 v[60:61], v[58:59], v[58:59]
	s_delay_alu instid0(VALU_DEP_1) | instskip(SKIP_1) | instid1(VALU_DEP_2)
	v_fmamk_f64 v[68:69], v[60:61], 0x3fc3ab76bf559e2b, v[32:33]
	v_mul_f64_e32 v[70:71], v[58:59], v[60:61]
	v_fmaak_f64 v[68:69], v[60:61], v[68:69], 0x3fc7474dd7f4df2e
	s_delay_alu instid0(VALU_DEP_1) | instskip(NEXT) | instid1(VALU_DEP_1)
	v_fmaak_f64 v[68:69], v[60:61], v[68:69], 0x3fcc71c016291751
	v_fmaak_f64 v[68:69], v[60:61], v[68:69], 0x3fd249249b27acf1
	s_delay_alu instid0(VALU_DEP_1) | instskip(NEXT) | instid1(VALU_DEP_1)
	v_fmaak_f64 v[68:69], v[60:61], v[68:69], 0x3fd99999998ef7b6
	v_fmaak_f64 v[60:61], v[60:61], v[68:69], 0x3fe5555555555780
	v_ldexp_f64 v[68:69], v[58:59], 1
	v_add_f64_e64 v[58:59], v[58:59], -v[62:63]
	s_delay_alu instid0(VALU_DEP_3) | instskip(SKIP_1) | instid1(VALU_DEP_3)
	v_mul_f64_e32 v[60:61], v[70:71], v[60:61]
	v_cvt_f64_i32_e32 v[70:71], v67
	v_add_f64_e64 v[56:57], v[56:57], -v[58:59]
	s_delay_alu instid0(VALU_DEP_3) | instskip(NEXT) | instid1(VALU_DEP_3)
	v_add_f64_e32 v[62:63], v[68:69], v[60:61]
	v_mul_f64_e32 v[72:73], 0x3fe62e42fefa39ef, v[70:71]
	s_delay_alu instid0(VALU_DEP_3) | instskip(NEXT) | instid1(VALU_DEP_3)
	v_ldexp_f64 v[56:57], v[56:57], 1
	v_add_f64_e64 v[58:59], v[62:63], -v[68:69]
	s_delay_alu instid0(VALU_DEP_3) | instskip(NEXT) | instid1(VALU_DEP_2)
	v_fma_f64 v[68:69], v[70:71], s[22:23], -v[72:73]
	v_add_f64_e64 v[58:59], v[60:61], -v[58:59]
	s_delay_alu instid0(VALU_DEP_2) | instskip(NEXT) | instid1(VALU_DEP_2)
	v_fmac_f64_e32 v[68:69], 0x3c7abc9e3b39803f, v[70:71]
	v_add_f64_e32 v[56:57], v[56:57], v[58:59]
	s_delay_alu instid0(VALU_DEP_2) | instskip(NEXT) | instid1(VALU_DEP_2)
	v_add_f64_e32 v[58:59], v[72:73], v[68:69]
	v_add_f64_e32 v[60:61], v[62:63], v[56:57]
	s_delay_alu instid0(VALU_DEP_2) | instskip(NEXT) | instid1(VALU_DEP_2)
	v_add_f64_e64 v[72:73], v[58:59], -v[72:73]
	v_add_f64_e32 v[70:71], v[58:59], v[60:61]
	v_add_f64_e64 v[62:63], v[60:61], -v[62:63]
	s_delay_alu instid0(VALU_DEP_3) | instskip(NEXT) | instid1(VALU_DEP_3)
	v_add_f64_e64 v[68:69], v[68:69], -v[72:73]
	v_add_f64_e64 v[74:75], v[70:71], -v[58:59]
	s_delay_alu instid0(VALU_DEP_3) | instskip(NEXT) | instid1(VALU_DEP_2)
	v_add_f64_e64 v[56:57], v[56:57], -v[62:63]
	v_add_f64_e64 v[76:77], v[70:71], -v[74:75]
	;; [unrolled: 1-line block ×3, first 2 shown]
	s_delay_alu instid0(VALU_DEP_3) | instskip(NEXT) | instid1(VALU_DEP_3)
	v_add_f64_e32 v[62:63], v[68:69], v[56:57]
	v_add_f64_e64 v[58:59], v[58:59], -v[76:77]
	s_delay_alu instid0(VALU_DEP_1) | instskip(NEXT) | instid1(VALU_DEP_3)
	v_add_f64_e32 v[58:59], v[60:61], v[58:59]
	v_add_f64_e64 v[60:61], v[62:63], -v[68:69]
	s_delay_alu instid0(VALU_DEP_2) | instskip(NEXT) | instid1(VALU_DEP_2)
	v_add_f64_e32 v[58:59], v[62:63], v[58:59]
	v_add_f64_e64 v[62:63], v[62:63], -v[60:61]
	v_add_f64_e64 v[56:57], v[56:57], -v[60:61]
	s_delay_alu instid0(VALU_DEP_3) | instskip(NEXT) | instid1(VALU_DEP_3)
	v_add_f64_e32 v[72:73], v[70:71], v[58:59]
	v_add_f64_e64 v[60:61], v[68:69], -v[62:63]
	s_delay_alu instid0(VALU_DEP_2) | instskip(NEXT) | instid1(VALU_DEP_2)
	v_add_f64_e64 v[62:63], v[72:73], -v[70:71]
	v_add_f64_e32 v[56:57], v[56:57], v[60:61]
	s_delay_alu instid0(VALU_DEP_2) | instskip(NEXT) | instid1(VALU_DEP_1)
	v_add_f64_e64 v[58:59], v[58:59], -v[62:63]
	v_add_f64_e32 v[56:57], v[56:57], v[58:59]
	s_delay_alu instid0(VALU_DEP_1) | instskip(NEXT) | instid1(VALU_DEP_1)
	v_add_f64_e32 v[56:57], v[72:73], v[56:57]
	v_dual_cndmask_b32 v56, v56, v12 :: v_dual_cndmask_b32 v57, v57, v13
	v_cmp_neq_f64_e32 vcc_lo, 0, v[12:13]
	s_delay_alu instid0(VALU_DEP_2) | instskip(NEXT) | instid1(VALU_DEP_3)
	v_cndmask_b32_e32 v13, 0xfff00000, v57, vcc_lo
	v_cndmask_b32_e32 v12, 0, v56, vcc_lo
.LBB42_742:                             ;   in Loop: Header=BB42_417 Depth=1
	s_or_saveexec_b32 s48, s5
	v_and_b32_e32 v57, 0x7fffffff, v5
	v_mov_b32_e32 v56, v4
	s_xor_b32 exec_lo, exec_lo, s48
	s_cbranch_execz .LBB42_764
; %bb.743:                              ;   in Loop: Header=BB42_417 Depth=1
	v_cmp_neq_f64_e64 s5, |v[2:3]|, 1.0
	v_cmp_ngt_f64_e64 s6, 0x39000000, |v[4:5]|
                                        ; implicit-def: $vgpr12_vgpr13
	s_or_b32 s5, s6, s5
	s_delay_alu instid0(SALU_CYCLE_1) | instskip(NEXT) | instid1(SALU_CYCLE_1)
	s_and_saveexec_b32 s6, s5
	s_xor_b32 s49, exec_lo, s6
	s_cbranch_execz .LBB42_761
; %bb.744:                              ;   in Loop: Header=BB42_417 Depth=1
	v_ldexp_f64 v[12:13], |v[10:11]|, 0xffffffcc
	s_delay_alu instid0(VALU_DEP_1) | instskip(SKIP_1) | instid1(SALU_CYCLE_1)
	v_cmp_ge_f64_e64 s5, |v[4:5]|, v[12:13]
                                        ; implicit-def: $vgpr12_vgpr13
	s_and_saveexec_b32 s6, s5
	s_xor_b32 s50, exec_lo, s6
	s_cbranch_execz .LBB42_754
; %bb.745:                              ;   in Loop: Header=BB42_417 Depth=1
	v_mov_b64_e32 v[12:13], v[56:57]
	s_mov_b32 s5, exec_lo
	v_cmpx_neq_f64_e32 0, v[50:51]
	s_cbranch_execz .LBB42_747
; %bb.746:                              ;   in Loop: Header=BB42_417 Depth=1
	v_mul_f64_e32 v[12:13], v[4:5], v[4:5]
	v_add_f64_e32 v[58:59], v[50:51], v[54:55]
	s_delay_alu instid0(VALU_DEP_1) | instskip(NEXT) | instid1(VALU_DEP_1)
	v_div_scale_f64 v[60:61], null, v[58:59], v[58:59], v[12:13]
	v_rcp_f64_e32 v[62:63], v[60:61]
	v_nop
	s_delay_alu instid0(TRANS32_DEP_1) | instskip(NEXT) | instid1(VALU_DEP_1)
	v_fma_f64 v[68:69], -v[60:61], v[62:63], 1.0
	v_fmac_f64_e32 v[62:63], v[62:63], v[68:69]
	s_delay_alu instid0(VALU_DEP_1) | instskip(NEXT) | instid1(VALU_DEP_1)
	v_fma_f64 v[68:69], -v[60:61], v[62:63], 1.0
	v_fmac_f64_e32 v[62:63], v[62:63], v[68:69]
	v_div_scale_f64 v[68:69], vcc_lo, v[12:13], v[58:59], v[12:13]
	s_delay_alu instid0(VALU_DEP_1) | instskip(NEXT) | instid1(VALU_DEP_1)
	v_mul_f64_e32 v[70:71], v[68:69], v[62:63]
	v_fma_f64 v[60:61], -v[60:61], v[70:71], v[68:69]
	s_delay_alu instid0(VALU_DEP_1) | instskip(NEXT) | instid1(VALU_DEP_1)
	v_div_fmas_f64 v[60:61], v[60:61], v[62:63], v[70:71]
	v_div_fixup_f64 v[12:13], v[60:61], v[58:59], v[12:13]
.LBB42_747:                             ;   in Loop: Header=BB42_417 Depth=1
	s_or_b32 exec_lo, exec_lo, s5
	v_add_f64_e64 v[60:61], -|v[2:3]|, 1.0
	s_mov_b32 s5, exec_lo
                                        ; implicit-def: $vgpr58_vgpr59
	s_delay_alu instid0(VALU_DEP_1)
	v_cmpx_ngt_f64_e32 0, v[60:61]
	s_xor_b32 s5, exec_lo, s5
	s_cbranch_execz .LBB42_751
; %bb.748:                              ;   in Loop: Header=BB42_417 Depth=1
	v_mov_b64_e32 v[58:59], v[56:57]
	s_mov_b32 s6, exec_lo
	v_cmpx_neq_f64_e32 0, v[60:61]
	s_cbranch_execz .LBB42_750
; %bb.749:                              ;   in Loop: Header=BB42_417 Depth=1
	v_mul_f64_e32 v[58:59], v[4:5], v[4:5]
	v_add_f64_e32 v[60:61], v[60:61], v[52:53]
	s_delay_alu instid0(VALU_DEP_1) | instskip(NEXT) | instid1(VALU_DEP_1)
	v_div_scale_f64 v[62:63], null, v[60:61], v[60:61], v[58:59]
	v_rcp_f64_e32 v[68:69], v[62:63]
	v_nop
	s_delay_alu instid0(TRANS32_DEP_1) | instskip(NEXT) | instid1(VALU_DEP_1)
	v_fma_f64 v[70:71], -v[62:63], v[68:69], 1.0
	v_fmac_f64_e32 v[68:69], v[68:69], v[70:71]
	s_delay_alu instid0(VALU_DEP_1) | instskip(NEXT) | instid1(VALU_DEP_1)
	v_fma_f64 v[70:71], -v[62:63], v[68:69], 1.0
	v_fmac_f64_e32 v[68:69], v[68:69], v[70:71]
	v_div_scale_f64 v[70:71], vcc_lo, v[58:59], v[60:61], v[58:59]
	s_delay_alu instid0(VALU_DEP_1) | instskip(NEXT) | instid1(VALU_DEP_1)
	v_mul_f64_e32 v[72:73], v[70:71], v[68:69]
	v_fma_f64 v[62:63], -v[62:63], v[72:73], v[70:71]
	s_delay_alu instid0(VALU_DEP_1) | instskip(NEXT) | instid1(VALU_DEP_1)
	v_div_fmas_f64 v[62:63], v[62:63], v[68:69], v[72:73]
	v_div_fixup_f64 v[58:59], v[62:63], v[60:61], v[58:59]
.LBB42_750:                             ;   in Loop: Header=BB42_417 Depth=1
	s_or_b32 exec_lo, exec_lo, s6
                                        ; implicit-def: $vgpr60_vgpr61
.LBB42_751:                             ;   in Loop: Header=BB42_417 Depth=1
	s_and_not1_saveexec_b32 s5, s5
; %bb.752:                              ;   in Loop: Header=BB42_417 Depth=1
	v_add_f64_e64 v[58:59], v[52:53], -v[60:61]
; %bb.753:                              ;   in Loop: Header=BB42_417 Depth=1
	s_or_b32 exec_lo, exec_lo, s5
	s_delay_alu instid0(VALU_DEP_1) | instskip(SKIP_1) | instid1(VALU_DEP_2)
	v_mul_f64_e32 v[58:59], 0.5, v[58:59]
	v_add_f64_e32 v[60:61], 1.0, v[48:49]
	v_fmac_f64_e32 v[58:59], 0.5, v[12:13]
	s_delay_alu instid0(VALU_DEP_1) | instskip(NEXT) | instid1(VALU_DEP_1)
	v_mul_f64_e32 v[12:13], v[60:61], v[58:59]
	v_cmp_gt_f64_e32 vcc_lo, 0x10000000, v[12:13]
	v_cndmask_b32_e64 v60, 0, 0x100, vcc_lo
	s_delay_alu instid0(VALU_DEP_1) | instskip(NEXT) | instid1(VALU_DEP_1)
	v_ldexp_f64 v[12:13], v[12:13], v60
	v_rsq_f64_e32 v[60:61], v[12:13]
	v_nop
	s_delay_alu instid0(TRANS32_DEP_1) | instskip(SKIP_1) | instid1(VALU_DEP_1)
	v_mul_f64_e32 v[62:63], v[12:13], v[60:61]
	v_mul_f64_e32 v[60:61], 0.5, v[60:61]
	v_fma_f64 v[68:69], -v[60:61], v[62:63], 0.5
	s_delay_alu instid0(VALU_DEP_1) | instskip(SKIP_1) | instid1(VALU_DEP_2)
	v_fmac_f64_e32 v[62:63], v[62:63], v[68:69]
	v_fmac_f64_e32 v[60:61], v[60:61], v[68:69]
	v_fma_f64 v[68:69], -v[62:63], v[62:63], v[12:13]
	s_delay_alu instid0(VALU_DEP_1) | instskip(NEXT) | instid1(VALU_DEP_1)
	v_fmac_f64_e32 v[62:63], v[68:69], v[60:61]
	v_fma_f64 v[68:69], -v[62:63], v[62:63], v[12:13]
	s_delay_alu instid0(VALU_DEP_1) | instskip(SKIP_2) | instid1(VALU_DEP_2)
	v_fmac_f64_e32 v[62:63], v[68:69], v[60:61]
	v_cndmask_b32_e64 v60, 0, 0xffffff80, vcc_lo
	v_cmp_class_f64_e64 vcc_lo, v[12:13], 0x260
	v_ldexp_f64 v[60:61], v[62:63], v60
	s_delay_alu instid0(VALU_DEP_1) | instskip(NEXT) | instid1(VALU_DEP_1)
	v_dual_cndmask_b32 v13, v61, v13 :: v_dual_cndmask_b32 v12, v60, v12
	v_add_f64_e32 v[58:59], v[58:59], v[12:13]
	s_delay_alu instid0(VALU_DEP_1) | instskip(SKIP_2) | instid1(VALU_DEP_3)
	v_add_f64_e32 v[12:13], 1.0, v[58:59]
	v_cmp_neq_f64_e64 s5, 0x7ff00000, v[58:59]
	v_cmp_ngt_f64_e64 s6, -1.0, v[58:59]
	v_frexp_mant_f64_e32 v[60:61], v[12:13]
	v_frexp_exp_i32_f64_e32 v67, v[12:13]
	v_add_f64_e32 v[62:63], -1.0, v[12:13]
	s_delay_alu instid0(VALU_DEP_3) | instskip(NEXT) | instid1(VALU_DEP_2)
	v_cmp_gt_f64_e32 vcc_lo, s[16:17], v[60:61]
	v_add_f64_e64 v[60:61], v[62:63], -v[12:13]
	v_add_f64_e64 v[62:63], v[58:59], -v[62:63]
	v_subrev_co_ci_u32_e64 v67, null, 0, v67, vcc_lo
	s_delay_alu instid0(VALU_DEP_3) | instskip(SKIP_1) | instid1(VALU_DEP_3)
	v_add_f64_e32 v[60:61], 1.0, v[60:61]
	v_cmp_nge_f64_e32 vcc_lo, -1.0, v[58:59]
	v_sub_nc_u32_e32 v70, 0, v67
	s_delay_alu instid0(VALU_DEP_1) | instskip(NEXT) | instid1(VALU_DEP_4)
	v_ldexp_f64 v[12:13], v[12:13], v70
	v_add_f64_e32 v[60:61], v[62:63], v[60:61]
	s_and_b32 vcc_lo, vcc_lo, s5
	s_delay_alu instid0(VALU_DEP_2) | instskip(SKIP_1) | instid1(VALU_DEP_3)
	v_add_f64_e32 v[68:69], 1.0, v[12:13]
	v_add_f64_e32 v[74:75], -1.0, v[12:13]
	v_ldexp_f64 v[60:61], v[60:61], v70
	s_delay_alu instid0(VALU_DEP_3) | instskip(NEXT) | instid1(VALU_DEP_3)
	v_add_f64_e32 v[62:63], -1.0, v[68:69]
	v_add_f64_e32 v[76:77], 1.0, v[74:75]
	s_delay_alu instid0(VALU_DEP_2) | instskip(NEXT) | instid1(VALU_DEP_2)
	v_add_f64_e64 v[62:63], v[12:13], -v[62:63]
	v_add_f64_e64 v[12:13], v[12:13], -v[76:77]
	s_delay_alu instid0(VALU_DEP_2) | instskip(NEXT) | instid1(VALU_DEP_2)
	v_add_f64_e32 v[62:63], v[60:61], v[62:63]
	v_add_f64_e32 v[12:13], v[60:61], v[12:13]
	s_delay_alu instid0(VALU_DEP_2) | instskip(NEXT) | instid1(VALU_DEP_2)
	v_add_f64_e32 v[70:71], v[68:69], v[62:63]
	v_add_f64_e32 v[76:77], v[74:75], v[12:13]
	s_delay_alu instid0(VALU_DEP_2) | instskip(SKIP_1) | instid1(VALU_DEP_2)
	v_rcp_f64_e32 v[72:73], v[70:71]
	v_add_f64_e64 v[68:69], v[70:71], -v[68:69]
	v_add_f64_e64 v[74:75], v[76:77], -v[74:75]
	s_delay_alu instid0(VALU_DEP_2) | instskip(NEXT) | instid1(VALU_DEP_2)
	v_add_f64_e64 v[62:63], v[62:63], -v[68:69]
	v_add_f64_e64 v[12:13], v[12:13], -v[74:75]
	s_delay_alu instid0(TRANS32_DEP_1) | instskip(NEXT) | instid1(VALU_DEP_1)
	v_fma_f64 v[78:79], -v[70:71], v[72:73], 1.0
	v_fmac_f64_e32 v[72:73], v[78:79], v[72:73]
	s_delay_alu instid0(VALU_DEP_1) | instskip(NEXT) | instid1(VALU_DEP_1)
	v_fma_f64 v[60:61], -v[70:71], v[72:73], 1.0
	v_fmac_f64_e32 v[72:73], v[60:61], v[72:73]
	s_delay_alu instid0(VALU_DEP_1) | instskip(NEXT) | instid1(VALU_DEP_1)
	v_mul_f64_e32 v[60:61], v[76:77], v[72:73]
	v_mul_f64_e32 v[78:79], v[70:71], v[60:61]
	s_delay_alu instid0(VALU_DEP_1) | instskip(NEXT) | instid1(VALU_DEP_1)
	v_fma_f64 v[68:69], v[60:61], v[70:71], -v[78:79]
	v_fmac_f64_e32 v[68:69], v[60:61], v[62:63]
	s_delay_alu instid0(VALU_DEP_1) | instskip(NEXT) | instid1(VALU_DEP_1)
	v_add_f64_e32 v[80:81], v[78:79], v[68:69]
	v_add_f64_e64 v[82:83], v[76:77], -v[80:81]
	v_add_f64_e64 v[74:75], v[80:81], -v[78:79]
	s_delay_alu instid0(VALU_DEP_2) | instskip(NEXT) | instid1(VALU_DEP_2)
	v_add_f64_e64 v[76:77], v[76:77], -v[82:83]
	v_add_f64_e64 v[68:69], v[74:75], -v[68:69]
	s_delay_alu instid0(VALU_DEP_2) | instskip(NEXT) | instid1(VALU_DEP_1)
	v_add_f64_e64 v[76:77], v[76:77], -v[80:81]
	v_add_f64_e32 v[12:13], v[12:13], v[76:77]
	s_delay_alu instid0(VALU_DEP_1) | instskip(NEXT) | instid1(VALU_DEP_1)
	v_add_f64_e32 v[12:13], v[68:69], v[12:13]
	v_add_f64_e32 v[68:69], v[82:83], v[12:13]
	s_delay_alu instid0(VALU_DEP_1) | instskip(SKIP_1) | instid1(VALU_DEP_2)
	v_mul_f64_e32 v[74:75], v[72:73], v[68:69]
	v_add_f64_e64 v[80:81], v[82:83], -v[68:69]
	v_mul_f64_e32 v[76:77], v[70:71], v[74:75]
	s_delay_alu instid0(VALU_DEP_2) | instskip(NEXT) | instid1(VALU_DEP_2)
	v_add_f64_e32 v[12:13], v[12:13], v[80:81]
	v_fma_f64 v[70:71], v[74:75], v[70:71], -v[76:77]
	s_delay_alu instid0(VALU_DEP_1) | instskip(NEXT) | instid1(VALU_DEP_1)
	v_fmac_f64_e32 v[70:71], v[74:75], v[62:63]
	v_add_f64_e32 v[62:63], v[76:77], v[70:71]
	s_delay_alu instid0(VALU_DEP_1) | instskip(SKIP_1) | instid1(VALU_DEP_2)
	v_add_f64_e64 v[78:79], v[68:69], -v[62:63]
	v_add_f64_e64 v[76:77], v[62:63], -v[76:77]
	;; [unrolled: 1-line block ×3, first 2 shown]
	s_delay_alu instid0(VALU_DEP_1) | instskip(NEXT) | instid1(VALU_DEP_3)
	v_add_f64_e64 v[62:63], v[68:69], -v[62:63]
	v_add_f64_e64 v[68:69], v[76:77], -v[70:71]
	s_delay_alu instid0(VALU_DEP_2) | instskip(SKIP_1) | instid1(VALU_DEP_2)
	v_add_f64_e32 v[12:13], v[12:13], v[62:63]
	v_add_f64_e32 v[62:63], v[60:61], v[74:75]
	v_add_f64_e32 v[12:13], v[68:69], v[12:13]
	s_delay_alu instid0(VALU_DEP_2) | instskip(NEXT) | instid1(VALU_DEP_2)
	v_add_f64_e64 v[60:61], v[62:63], -v[60:61]
	v_add_f64_e32 v[12:13], v[78:79], v[12:13]
	s_delay_alu instid0(VALU_DEP_2) | instskip(NEXT) | instid1(VALU_DEP_2)
	v_add_f64_e64 v[60:61], v[74:75], -v[60:61]
	v_mul_f64_e32 v[12:13], v[72:73], v[12:13]
	s_delay_alu instid0(VALU_DEP_1) | instskip(NEXT) | instid1(VALU_DEP_1)
	v_add_f64_e32 v[12:13], v[60:61], v[12:13]
	v_add_f64_e32 v[60:61], v[62:63], v[12:13]
	s_delay_alu instid0(VALU_DEP_1) | instskip(NEXT) | instid1(VALU_DEP_1)
	v_mul_f64_e32 v[68:69], v[60:61], v[60:61]
	v_fmamk_f64 v[70:71], v[68:69], 0x3fc3ab76bf559e2b, v[32:33]
	v_mul_f64_e32 v[72:73], v[60:61], v[68:69]
	s_delay_alu instid0(VALU_DEP_2) | instskip(NEXT) | instid1(VALU_DEP_1)
	v_fmaak_f64 v[70:71], v[68:69], v[70:71], 0x3fc7474dd7f4df2e
	v_fmaak_f64 v[70:71], v[68:69], v[70:71], 0x3fcc71c016291751
	s_delay_alu instid0(VALU_DEP_1) | instskip(NEXT) | instid1(VALU_DEP_1)
	v_fmaak_f64 v[70:71], v[68:69], v[70:71], 0x3fd249249b27acf1
	v_fmaak_f64 v[70:71], v[68:69], v[70:71], 0x3fd99999998ef7b6
	s_delay_alu instid0(VALU_DEP_1) | instskip(SKIP_2) | instid1(VALU_DEP_3)
	v_fmaak_f64 v[68:69], v[68:69], v[70:71], 0x3fe5555555555780
	v_ldexp_f64 v[70:71], v[60:61], 1
	v_add_f64_e64 v[60:61], v[60:61], -v[62:63]
	v_mul_f64_e32 v[68:69], v[72:73], v[68:69]
	v_cvt_f64_i32_e32 v[72:73], v67
	s_delay_alu instid0(VALU_DEP_3) | instskip(NEXT) | instid1(VALU_DEP_3)
	v_add_f64_e64 v[12:13], v[12:13], -v[60:61]
	v_add_f64_e32 v[62:63], v[70:71], v[68:69]
	s_delay_alu instid0(VALU_DEP_3) | instskip(NEXT) | instid1(VALU_DEP_3)
	v_mul_f64_e32 v[74:75], 0x3fe62e42fefa39ef, v[72:73]
	v_ldexp_f64 v[12:13], v[12:13], 1
	s_delay_alu instid0(VALU_DEP_3) | instskip(NEXT) | instid1(VALU_DEP_3)
	v_add_f64_e64 v[60:61], v[62:63], -v[70:71]
	v_fma_f64 v[70:71], v[72:73], s[22:23], -v[74:75]
	s_delay_alu instid0(VALU_DEP_2) | instskip(NEXT) | instid1(VALU_DEP_2)
	v_add_f64_e64 v[60:61], v[68:69], -v[60:61]
	v_fmac_f64_e32 v[70:71], 0x3c7abc9e3b39803f, v[72:73]
	s_delay_alu instid0(VALU_DEP_2) | instskip(NEXT) | instid1(VALU_DEP_2)
	v_add_f64_e32 v[12:13], v[12:13], v[60:61]
	v_add_f64_e32 v[60:61], v[74:75], v[70:71]
	s_delay_alu instid0(VALU_DEP_2) | instskip(NEXT) | instid1(VALU_DEP_2)
	v_add_f64_e32 v[68:69], v[62:63], v[12:13]
	v_add_f64_e64 v[74:75], v[60:61], -v[74:75]
	s_delay_alu instid0(VALU_DEP_2) | instskip(SKIP_1) | instid1(VALU_DEP_3)
	v_add_f64_e32 v[72:73], v[60:61], v[68:69]
	v_add_f64_e64 v[62:63], v[68:69], -v[62:63]
	v_add_f64_e64 v[70:71], v[70:71], -v[74:75]
	s_delay_alu instid0(VALU_DEP_3) | instskip(NEXT) | instid1(VALU_DEP_3)
	v_add_f64_e64 v[76:77], v[72:73], -v[60:61]
	v_add_f64_e64 v[12:13], v[12:13], -v[62:63]
	s_delay_alu instid0(VALU_DEP_2) | instskip(SKIP_1) | instid1(VALU_DEP_3)
	v_add_f64_e64 v[78:79], v[72:73], -v[76:77]
	v_add_f64_e64 v[62:63], v[68:69], -v[76:77]
	v_add_f64_e32 v[68:69], v[70:71], v[12:13]
	s_delay_alu instid0(VALU_DEP_3) | instskip(NEXT) | instid1(VALU_DEP_1)
	v_add_f64_e64 v[60:61], v[60:61], -v[78:79]
	v_add_f64_e32 v[60:61], v[62:63], v[60:61]
	s_delay_alu instid0(VALU_DEP_3) | instskip(NEXT) | instid1(VALU_DEP_2)
	v_add_f64_e64 v[62:63], v[68:69], -v[70:71]
	v_add_f64_e32 v[60:61], v[68:69], v[60:61]
	s_delay_alu instid0(VALU_DEP_2) | instskip(SKIP_1) | instid1(VALU_DEP_3)
	v_add_f64_e64 v[68:69], v[68:69], -v[62:63]
	v_add_f64_e64 v[12:13], v[12:13], -v[62:63]
	v_add_f64_e32 v[74:75], v[72:73], v[60:61]
	s_delay_alu instid0(VALU_DEP_3) | instskip(NEXT) | instid1(VALU_DEP_2)
	v_add_f64_e64 v[68:69], v[70:71], -v[68:69]
	v_add_f64_e64 v[62:63], v[74:75], -v[72:73]
	s_delay_alu instid0(VALU_DEP_2) | instskip(NEXT) | instid1(VALU_DEP_2)
	v_add_f64_e32 v[12:13], v[12:13], v[68:69]
	v_add_f64_e64 v[60:61], v[60:61], -v[62:63]
	s_delay_alu instid0(VALU_DEP_1) | instskip(NEXT) | instid1(VALU_DEP_1)
	v_add_f64_e32 v[12:13], v[12:13], v[60:61]
	v_add_f64_e32 v[12:13], v[74:75], v[12:13]
	s_delay_alu instid0(VALU_DEP_1) | instskip(SKIP_1) | instid1(VALU_DEP_3)
	v_cndmask_b32_e32 v12, 0, v12, vcc_lo
	v_cmp_neq_f64_e32 vcc_lo, -1.0, v[58:59]
	v_cndmask_b32_e64 v13, 0x7ff00000, v13, s5
	s_delay_alu instid0(VALU_DEP_1) | instskip(NEXT) | instid1(VALU_DEP_1)
	v_cndmask_b32_e64 v13, 0x7ff80000, v13, s6
	v_cndmask_b32_e32 v13, 0xfff00000, v13, vcc_lo
.LBB42_754:                             ;   in Loop: Header=BB42_417 Depth=1
	s_and_not1_saveexec_b32 s50, s50
	s_cbranch_execz .LBB42_760
; %bb.755:                              ;   in Loop: Header=BB42_417 Depth=1
                                        ; implicit-def: $vgpr12_vgpr13
	s_mov_b32 s6, exec_lo
	v_cmpx_nlt_f64_e64 |v[2:3]|, 1.0
	s_xor_b32 s51, exec_lo, s6
	s_cbranch_execz .LBB42_757
; %bb.756:                              ;   in Loop: Header=BB42_417 Depth=1
	v_mul_f64_e32 v[12:13], v[10:11], v[50:51]
	s_delay_alu instid0(VALU_DEP_1) | instskip(SKIP_1) | instid1(VALU_DEP_1)
	v_cmp_gt_f64_e32 vcc_lo, 0x10000000, v[12:13]
	v_cndmask_b32_e64 v58, 0, 0x100, vcc_lo
	v_ldexp_f64 v[12:13], v[12:13], v58
	s_delay_alu instid0(VALU_DEP_1) | instskip(SKIP_1) | instid1(TRANS32_DEP_1)
	v_rsq_f64_e32 v[58:59], v[12:13]
	v_nop
	v_mul_f64_e32 v[60:61], v[12:13], v[58:59]
	v_mul_f64_e32 v[58:59], 0.5, v[58:59]
	s_delay_alu instid0(VALU_DEP_1) | instskip(NEXT) | instid1(VALU_DEP_1)
	v_fma_f64 v[62:63], -v[58:59], v[60:61], 0.5
	v_fmac_f64_e32 v[60:61], v[60:61], v[62:63]
	v_fmac_f64_e32 v[58:59], v[58:59], v[62:63]
	s_delay_alu instid0(VALU_DEP_2) | instskip(NEXT) | instid1(VALU_DEP_1)
	v_fma_f64 v[62:63], -v[60:61], v[60:61], v[12:13]
	v_fmac_f64_e32 v[60:61], v[62:63], v[58:59]
	s_delay_alu instid0(VALU_DEP_1) | instskip(NEXT) | instid1(VALU_DEP_1)
	v_fma_f64 v[62:63], -v[60:61], v[60:61], v[12:13]
	v_fmac_f64_e32 v[60:61], v[62:63], v[58:59]
	v_cndmask_b32_e64 v58, 0, 0xffffff80, vcc_lo
	v_cmp_class_f64_e64 vcc_lo, v[12:13], 0x260
	s_delay_alu instid0(VALU_DEP_2) | instskip(NEXT) | instid1(VALU_DEP_1)
	v_ldexp_f64 v[58:59], v[60:61], v58
	v_dual_cndmask_b32 v13, v59, v13 :: v_dual_cndmask_b32 v12, v58, v12
	s_delay_alu instid0(VALU_DEP_1) | instskip(NEXT) | instid1(VALU_DEP_1)
	v_add_f64_e32 v[58:59], v[10:11], v[12:13]
	v_add_f64_e32 v[12:13], 1.0, v[58:59]
	v_cmp_neq_f64_e64 s5, 0x7ff00000, v[58:59]
	v_cmp_ngt_f64_e64 s6, -1.0, v[58:59]
	s_delay_alu instid0(VALU_DEP_3) | instskip(SKIP_2) | instid1(VALU_DEP_3)
	v_frexp_mant_f64_e32 v[60:61], v[12:13]
	v_frexp_exp_i32_f64_e32 v67, v[12:13]
	v_add_f64_e32 v[62:63], -1.0, v[12:13]
	v_cmp_gt_f64_e32 vcc_lo, s[16:17], v[60:61]
	s_delay_alu instid0(VALU_DEP_2) | instskip(SKIP_2) | instid1(VALU_DEP_3)
	v_add_f64_e64 v[60:61], v[62:63], -v[12:13]
	v_add_f64_e64 v[62:63], v[58:59], -v[62:63]
	v_subrev_co_ci_u32_e64 v67, null, 0, v67, vcc_lo
	v_add_f64_e32 v[60:61], 1.0, v[60:61]
	v_cmp_nge_f64_e32 vcc_lo, -1.0, v[58:59]
	s_delay_alu instid0(VALU_DEP_3) | instskip(NEXT) | instid1(VALU_DEP_1)
	v_sub_nc_u32_e32 v70, 0, v67
	v_ldexp_f64 v[12:13], v[12:13], v70
	s_delay_alu instid0(VALU_DEP_4) | instskip(SKIP_1) | instid1(VALU_DEP_2)
	v_add_f64_e32 v[60:61], v[62:63], v[60:61]
	s_and_b32 vcc_lo, vcc_lo, s5
	v_add_f64_e32 v[68:69], 1.0, v[12:13]
	v_add_f64_e32 v[74:75], -1.0, v[12:13]
	s_delay_alu instid0(VALU_DEP_3) | instskip(NEXT) | instid1(VALU_DEP_3)
	v_ldexp_f64 v[60:61], v[60:61], v70
	v_add_f64_e32 v[62:63], -1.0, v[68:69]
	s_delay_alu instid0(VALU_DEP_3) | instskip(NEXT) | instid1(VALU_DEP_2)
	v_add_f64_e32 v[76:77], 1.0, v[74:75]
	v_add_f64_e64 v[62:63], v[12:13], -v[62:63]
	s_delay_alu instid0(VALU_DEP_2) | instskip(NEXT) | instid1(VALU_DEP_2)
	v_add_f64_e64 v[12:13], v[12:13], -v[76:77]
	v_add_f64_e32 v[62:63], v[60:61], v[62:63]
	s_delay_alu instid0(VALU_DEP_2) | instskip(NEXT) | instid1(VALU_DEP_2)
	v_add_f64_e32 v[12:13], v[60:61], v[12:13]
	v_add_f64_e32 v[70:71], v[68:69], v[62:63]
	s_delay_alu instid0(VALU_DEP_2) | instskip(NEXT) | instid1(VALU_DEP_2)
	v_add_f64_e32 v[76:77], v[74:75], v[12:13]
	v_rcp_f64_e32 v[72:73], v[70:71]
	v_add_f64_e64 v[68:69], v[70:71], -v[68:69]
	s_delay_alu instid0(VALU_DEP_2) | instskip(NEXT) | instid1(VALU_DEP_2)
	v_add_f64_e64 v[74:75], v[76:77], -v[74:75]
	v_add_f64_e64 v[62:63], v[62:63], -v[68:69]
	s_delay_alu instid0(VALU_DEP_2) | instskip(NEXT) | instid1(TRANS32_DEP_1)
	v_add_f64_e64 v[12:13], v[12:13], -v[74:75]
	v_fma_f64 v[78:79], -v[70:71], v[72:73], 1.0
	s_delay_alu instid0(VALU_DEP_1) | instskip(NEXT) | instid1(VALU_DEP_1)
	v_fmac_f64_e32 v[72:73], v[78:79], v[72:73]
	v_fma_f64 v[60:61], -v[70:71], v[72:73], 1.0
	s_delay_alu instid0(VALU_DEP_1) | instskip(NEXT) | instid1(VALU_DEP_1)
	v_fmac_f64_e32 v[72:73], v[60:61], v[72:73]
	v_mul_f64_e32 v[60:61], v[76:77], v[72:73]
	s_delay_alu instid0(VALU_DEP_1) | instskip(NEXT) | instid1(VALU_DEP_1)
	v_mul_f64_e32 v[78:79], v[70:71], v[60:61]
	v_fma_f64 v[68:69], v[60:61], v[70:71], -v[78:79]
	s_delay_alu instid0(VALU_DEP_1) | instskip(NEXT) | instid1(VALU_DEP_1)
	v_fmac_f64_e32 v[68:69], v[60:61], v[62:63]
	v_add_f64_e32 v[80:81], v[78:79], v[68:69]
	s_delay_alu instid0(VALU_DEP_1) | instskip(SKIP_1) | instid1(VALU_DEP_2)
	v_add_f64_e64 v[82:83], v[76:77], -v[80:81]
	v_add_f64_e64 v[74:75], v[80:81], -v[78:79]
	;; [unrolled: 1-line block ×3, first 2 shown]
	s_delay_alu instid0(VALU_DEP_2) | instskip(NEXT) | instid1(VALU_DEP_2)
	v_add_f64_e64 v[68:69], v[74:75], -v[68:69]
	v_add_f64_e64 v[76:77], v[76:77], -v[80:81]
	s_delay_alu instid0(VALU_DEP_1) | instskip(NEXT) | instid1(VALU_DEP_1)
	v_add_f64_e32 v[12:13], v[12:13], v[76:77]
	v_add_f64_e32 v[12:13], v[68:69], v[12:13]
	s_delay_alu instid0(VALU_DEP_1) | instskip(NEXT) | instid1(VALU_DEP_1)
	v_add_f64_e32 v[68:69], v[82:83], v[12:13]
	v_mul_f64_e32 v[74:75], v[72:73], v[68:69]
	v_add_f64_e64 v[80:81], v[82:83], -v[68:69]
	s_delay_alu instid0(VALU_DEP_2) | instskip(NEXT) | instid1(VALU_DEP_2)
	v_mul_f64_e32 v[76:77], v[70:71], v[74:75]
	v_add_f64_e32 v[12:13], v[12:13], v[80:81]
	s_delay_alu instid0(VALU_DEP_2) | instskip(NEXT) | instid1(VALU_DEP_1)
	v_fma_f64 v[70:71], v[74:75], v[70:71], -v[76:77]
	v_fmac_f64_e32 v[70:71], v[74:75], v[62:63]
	s_delay_alu instid0(VALU_DEP_1) | instskip(NEXT) | instid1(VALU_DEP_1)
	v_add_f64_e32 v[62:63], v[76:77], v[70:71]
	v_add_f64_e64 v[78:79], v[68:69], -v[62:63]
	v_add_f64_e64 v[76:77], v[62:63], -v[76:77]
	s_delay_alu instid0(VALU_DEP_2) | instskip(NEXT) | instid1(VALU_DEP_1)
	v_add_f64_e64 v[68:69], v[68:69], -v[78:79]
	v_add_f64_e64 v[62:63], v[68:69], -v[62:63]
	s_delay_alu instid0(VALU_DEP_3) | instskip(NEXT) | instid1(VALU_DEP_2)
	v_add_f64_e64 v[68:69], v[76:77], -v[70:71]
	v_add_f64_e32 v[12:13], v[12:13], v[62:63]
	v_add_f64_e32 v[62:63], v[60:61], v[74:75]
	s_delay_alu instid0(VALU_DEP_2) | instskip(NEXT) | instid1(VALU_DEP_2)
	v_add_f64_e32 v[12:13], v[68:69], v[12:13]
	v_add_f64_e64 v[60:61], v[62:63], -v[60:61]
	s_delay_alu instid0(VALU_DEP_2) | instskip(NEXT) | instid1(VALU_DEP_2)
	v_add_f64_e32 v[12:13], v[78:79], v[12:13]
	v_add_f64_e64 v[60:61], v[74:75], -v[60:61]
	s_delay_alu instid0(VALU_DEP_2) | instskip(NEXT) | instid1(VALU_DEP_1)
	v_mul_f64_e32 v[12:13], v[72:73], v[12:13]
	v_add_f64_e32 v[12:13], v[60:61], v[12:13]
	s_delay_alu instid0(VALU_DEP_1) | instskip(NEXT) | instid1(VALU_DEP_1)
	v_add_f64_e32 v[60:61], v[62:63], v[12:13]
	v_mul_f64_e32 v[68:69], v[60:61], v[60:61]
	s_delay_alu instid0(VALU_DEP_1) | instskip(SKIP_1) | instid1(VALU_DEP_2)
	v_fmamk_f64 v[70:71], v[68:69], 0x3fc3ab76bf559e2b, v[32:33]
	v_mul_f64_e32 v[72:73], v[60:61], v[68:69]
	v_fmaak_f64 v[70:71], v[68:69], v[70:71], 0x3fc7474dd7f4df2e
	s_delay_alu instid0(VALU_DEP_1) | instskip(NEXT) | instid1(VALU_DEP_1)
	v_fmaak_f64 v[70:71], v[68:69], v[70:71], 0x3fcc71c016291751
	v_fmaak_f64 v[70:71], v[68:69], v[70:71], 0x3fd249249b27acf1
	s_delay_alu instid0(VALU_DEP_1) | instskip(NEXT) | instid1(VALU_DEP_1)
	v_fmaak_f64 v[70:71], v[68:69], v[70:71], 0x3fd99999998ef7b6
	v_fmaak_f64 v[68:69], v[68:69], v[70:71], 0x3fe5555555555780
	v_ldexp_f64 v[70:71], v[60:61], 1
	v_add_f64_e64 v[60:61], v[60:61], -v[62:63]
	s_delay_alu instid0(VALU_DEP_3) | instskip(SKIP_1) | instid1(VALU_DEP_3)
	v_mul_f64_e32 v[68:69], v[72:73], v[68:69]
	v_cvt_f64_i32_e32 v[72:73], v67
	v_add_f64_e64 v[12:13], v[12:13], -v[60:61]
	s_delay_alu instid0(VALU_DEP_3) | instskip(NEXT) | instid1(VALU_DEP_3)
	v_add_f64_e32 v[62:63], v[70:71], v[68:69]
	v_mul_f64_e32 v[74:75], 0x3fe62e42fefa39ef, v[72:73]
	s_delay_alu instid0(VALU_DEP_3) | instskip(NEXT) | instid1(VALU_DEP_3)
	v_ldexp_f64 v[12:13], v[12:13], 1
	v_add_f64_e64 v[60:61], v[62:63], -v[70:71]
	s_delay_alu instid0(VALU_DEP_3) | instskip(NEXT) | instid1(VALU_DEP_2)
	v_fma_f64 v[70:71], v[72:73], s[22:23], -v[74:75]
	v_add_f64_e64 v[60:61], v[68:69], -v[60:61]
	s_delay_alu instid0(VALU_DEP_2) | instskip(NEXT) | instid1(VALU_DEP_2)
	v_fmac_f64_e32 v[70:71], 0x3c7abc9e3b39803f, v[72:73]
	v_add_f64_e32 v[12:13], v[12:13], v[60:61]
	s_delay_alu instid0(VALU_DEP_2) | instskip(NEXT) | instid1(VALU_DEP_2)
	v_add_f64_e32 v[60:61], v[74:75], v[70:71]
	v_add_f64_e32 v[68:69], v[62:63], v[12:13]
	s_delay_alu instid0(VALU_DEP_2) | instskip(NEXT) | instid1(VALU_DEP_2)
	v_add_f64_e64 v[74:75], v[60:61], -v[74:75]
	v_add_f64_e32 v[72:73], v[60:61], v[68:69]
	v_add_f64_e64 v[62:63], v[68:69], -v[62:63]
	s_delay_alu instid0(VALU_DEP_3) | instskip(NEXT) | instid1(VALU_DEP_3)
	v_add_f64_e64 v[70:71], v[70:71], -v[74:75]
	v_add_f64_e64 v[76:77], v[72:73], -v[60:61]
	s_delay_alu instid0(VALU_DEP_3) | instskip(NEXT) | instid1(VALU_DEP_2)
	v_add_f64_e64 v[12:13], v[12:13], -v[62:63]
	v_add_f64_e64 v[78:79], v[72:73], -v[76:77]
	;; [unrolled: 1-line block ×3, first 2 shown]
	s_delay_alu instid0(VALU_DEP_3) | instskip(NEXT) | instid1(VALU_DEP_3)
	v_add_f64_e32 v[68:69], v[70:71], v[12:13]
	v_add_f64_e64 v[60:61], v[60:61], -v[78:79]
	s_delay_alu instid0(VALU_DEP_1) | instskip(NEXT) | instid1(VALU_DEP_3)
	v_add_f64_e32 v[60:61], v[62:63], v[60:61]
	v_add_f64_e64 v[62:63], v[68:69], -v[70:71]
	s_delay_alu instid0(VALU_DEP_2) | instskip(NEXT) | instid1(VALU_DEP_2)
	v_add_f64_e32 v[60:61], v[68:69], v[60:61]
	v_add_f64_e64 v[68:69], v[68:69], -v[62:63]
	v_add_f64_e64 v[12:13], v[12:13], -v[62:63]
	s_delay_alu instid0(VALU_DEP_3) | instskip(NEXT) | instid1(VALU_DEP_3)
	v_add_f64_e32 v[74:75], v[72:73], v[60:61]
	v_add_f64_e64 v[68:69], v[70:71], -v[68:69]
	s_delay_alu instid0(VALU_DEP_2) | instskip(NEXT) | instid1(VALU_DEP_2)
	v_add_f64_e64 v[62:63], v[74:75], -v[72:73]
	v_add_f64_e32 v[12:13], v[12:13], v[68:69]
	s_delay_alu instid0(VALU_DEP_2) | instskip(NEXT) | instid1(VALU_DEP_1)
	v_add_f64_e64 v[60:61], v[60:61], -v[62:63]
	v_add_f64_e32 v[12:13], v[12:13], v[60:61]
	s_delay_alu instid0(VALU_DEP_1) | instskip(NEXT) | instid1(VALU_DEP_1)
	v_add_f64_e32 v[12:13], v[74:75], v[12:13]
	v_cndmask_b32_e32 v12, 0, v12, vcc_lo
	v_cmp_neq_f64_e32 vcc_lo, -1.0, v[58:59]
	s_delay_alu instid0(VALU_DEP_3) | instskip(NEXT) | instid1(VALU_DEP_1)
	v_cndmask_b32_e64 v13, 0x7ff00000, v13, s5
	v_cndmask_b32_e64 v13, 0x7ff80000, v13, s6
	s_delay_alu instid0(VALU_DEP_1)
	v_cndmask_b32_e32 v13, 0xfff00000, v13, vcc_lo
.LBB42_757:                             ;   in Loop: Header=BB42_417 Depth=1
	s_and_not1_saveexec_b32 s5, s51
	s_cbranch_execz .LBB42_759
; %bb.758:                              ;   in Loop: Header=BB42_417 Depth=1
	v_add_f64_e64 v[12:13], -|v[2:3]|, 1.0
	s_delay_alu instid0(VALU_DEP_1) | instskip(NEXT) | instid1(VALU_DEP_1)
	v_mul_f64_e32 v[12:13], v[12:13], v[50:51]
	v_cmp_gt_f64_e32 vcc_lo, 0x10000000, v[12:13]
	v_cndmask_b32_e64 v58, 0, 0x100, vcc_lo
	s_delay_alu instid0(VALU_DEP_1) | instskip(NEXT) | instid1(VALU_DEP_1)
	v_ldexp_f64 v[12:13], v[12:13], v58
	v_rsq_f64_e32 v[58:59], v[12:13]
	v_nop
	s_delay_alu instid0(TRANS32_DEP_1) | instskip(SKIP_1) | instid1(VALU_DEP_1)
	v_mul_f64_e32 v[60:61], v[12:13], v[58:59]
	v_mul_f64_e32 v[58:59], 0.5, v[58:59]
	v_fma_f64 v[62:63], -v[58:59], v[60:61], 0.5
	s_delay_alu instid0(VALU_DEP_1) | instskip(SKIP_1) | instid1(VALU_DEP_2)
	v_fmac_f64_e32 v[60:61], v[60:61], v[62:63]
	v_fmac_f64_e32 v[58:59], v[58:59], v[62:63]
	v_fma_f64 v[62:63], -v[60:61], v[60:61], v[12:13]
	s_delay_alu instid0(VALU_DEP_1) | instskip(NEXT) | instid1(VALU_DEP_1)
	v_fmac_f64_e32 v[60:61], v[62:63], v[58:59]
	v_fma_f64 v[62:63], -v[60:61], v[60:61], v[12:13]
	s_delay_alu instid0(VALU_DEP_1) | instskip(SKIP_2) | instid1(VALU_DEP_2)
	v_fmac_f64_e32 v[60:61], v[62:63], v[58:59]
	v_cndmask_b32_e64 v58, 0, 0xffffff80, vcc_lo
	v_cmp_class_f64_e64 vcc_lo, v[12:13], 0x260
	v_ldexp_f64 v[58:59], v[60:61], v58
	v_dual_mov_b32 v60, v4 :: v_dual_mov_b32 v61, v57
	s_delay_alu instid0(VALU_DEP_2) | instskip(NEXT) | instid1(VALU_DEP_1)
	v_dual_cndmask_b32 v12, v58, v12 :: v_dual_cndmask_b32 v13, v59, v13
	v_div_scale_f64 v[58:59], null, v[12:13], v[12:13], v[60:61]
	v_div_scale_f64 v[60:61], vcc_lo, v[60:61], v[12:13], v[60:61]
	s_delay_alu instid0(VALU_DEP_2) | instskip(SKIP_1) | instid1(TRANS32_DEP_1)
	v_rcp_f64_e32 v[62:63], v[58:59]
	v_nop
	v_fma_f64 v[68:69], -v[58:59], v[62:63], 1.0
	s_delay_alu instid0(VALU_DEP_1) | instskip(NEXT) | instid1(VALU_DEP_1)
	v_fmac_f64_e32 v[62:63], v[62:63], v[68:69]
	v_fma_f64 v[68:69], -v[58:59], v[62:63], 1.0
	s_delay_alu instid0(VALU_DEP_1) | instskip(NEXT) | instid1(VALU_DEP_1)
	v_fmac_f64_e32 v[62:63], v[62:63], v[68:69]
	v_mul_f64_e32 v[68:69], v[60:61], v[62:63]
	s_delay_alu instid0(VALU_DEP_1) | instskip(NEXT) | instid1(VALU_DEP_1)
	v_fma_f64 v[58:59], -v[58:59], v[68:69], v[60:61]
	v_div_fmas_f64 v[58:59], v[58:59], v[62:63], v[68:69]
	s_delay_alu instid0(VALU_DEP_1)
	v_div_fixup_f64 v[12:13], v[58:59], v[12:13], |v[4:5]|
.LBB42_759:                             ;   in Loop: Header=BB42_417 Depth=1
	s_or_b32 exec_lo, exec_lo, s5
.LBB42_760:                             ;   in Loop: Header=BB42_417 Depth=1
	s_delay_alu instid0(SALU_CYCLE_1)
	s_or_b32 exec_lo, exec_lo, s50
.LBB42_761:                             ;   in Loop: Header=BB42_417 Depth=1
	s_and_not1_saveexec_b32 s5, s49
	s_cbranch_execz .LBB42_763
; %bb.762:                              ;   in Loop: Header=BB42_417 Depth=1
	v_cmp_gt_f64_e64 s6, 0x10000000, |v[4:5]|
	s_delay_alu instid0(VALU_DEP_1) | instskip(NEXT) | instid1(VALU_DEP_1)
	v_cndmask_b32_e64 v12, 0, 0x100, s6
	v_ldexp_f64 v[12:13], |v[4:5]|, v12
	s_delay_alu instid0(VALU_DEP_1) | instskip(SKIP_1) | instid1(TRANS32_DEP_1)
	v_rsq_f64_e32 v[58:59], v[12:13]
	v_cmp_class_f64_e64 vcc_lo, v[12:13], 0x260
	v_mul_f64_e32 v[60:61], v[12:13], v[58:59]
	v_mul_f64_e32 v[58:59], 0.5, v[58:59]
	s_delay_alu instid0(VALU_DEP_1) | instskip(NEXT) | instid1(VALU_DEP_1)
	v_fma_f64 v[62:63], -v[58:59], v[60:61], 0.5
	v_fmac_f64_e32 v[60:61], v[60:61], v[62:63]
	v_fmac_f64_e32 v[58:59], v[58:59], v[62:63]
	s_delay_alu instid0(VALU_DEP_2) | instskip(NEXT) | instid1(VALU_DEP_1)
	v_fma_f64 v[62:63], -v[60:61], v[60:61], v[12:13]
	v_fmac_f64_e32 v[60:61], v[62:63], v[58:59]
	s_delay_alu instid0(VALU_DEP_1) | instskip(NEXT) | instid1(VALU_DEP_1)
	v_fma_f64 v[62:63], -v[60:61], v[60:61], v[12:13]
	v_fmac_f64_e32 v[60:61], v[62:63], v[58:59]
	v_cndmask_b32_e64 v58, 0, 0xffffff80, s6
	s_delay_alu instid0(VALU_DEP_1) | instskip(NEXT) | instid1(VALU_DEP_1)
	v_ldexp_f64 v[58:59], v[60:61], v58
	v_dual_cndmask_b32 v13, v59, v13 :: v_dual_cndmask_b32 v12, v58, v12
.LBB42_763:                             ;   in Loop: Header=BB42_417 Depth=1
	s_or_b32 exec_lo, exec_lo, s5
.LBB42_764:                             ;   in Loop: Header=BB42_417 Depth=1
	s_delay_alu instid0(SALU_CYCLE_1) | instskip(SKIP_2) | instid1(SALU_CYCLE_1)
	s_or_b32 exec_lo, exec_lo, s48
	v_cmp_ngt_f64_e64 s6, 0x20200000, |v[2:3]|
                                        ; implicit-def: $sgpr5
                                        ; implicit-def: $vgpr58_vgpr59
                                        ; implicit-def: $vgpr62_vgpr63
                                        ; implicit-def: $vgpr60_vgpr61
	s_and_saveexec_b32 s48, s6
	s_xor_b32 s6, exec_lo, s48
	s_cbranch_execz .LBB42_788
; %bb.765:                              ;   in Loop: Header=BB42_417 Depth=1
	v_and_b32_e32 v61, 0x7fffffff, v3
	v_mov_b32_e32 v60, v2
	s_mov_b32 s5, 0
	s_mov_b32 s48, exec_lo
	s_delay_alu instid0(VALU_DEP_1) | instskip(NEXT) | instid1(VALU_DEP_1)
	v_div_scale_f64 v[58:59], null, v[48:49], v[48:49], v[60:61]
	v_rcp_f64_e32 v[62:63], v[58:59]
	v_nop
	s_delay_alu instid0(TRANS32_DEP_1) | instskip(NEXT) | instid1(VALU_DEP_1)
	v_fma_f64 v[68:69], -v[58:59], v[62:63], 1.0
	v_fmac_f64_e32 v[62:63], v[62:63], v[68:69]
	s_delay_alu instid0(VALU_DEP_1) | instskip(NEXT) | instid1(VALU_DEP_1)
	v_fma_f64 v[68:69], -v[58:59], v[62:63], 1.0
	v_fmac_f64_e32 v[62:63], v[62:63], v[68:69]
	v_div_scale_f64 v[68:69], vcc_lo, v[60:61], v[48:49], v[60:61]
	s_delay_alu instid0(VALU_DEP_1) | instskip(NEXT) | instid1(VALU_DEP_1)
	v_mul_f64_e32 v[70:71], v[68:69], v[62:63]
	v_fma_f64 v[58:59], -v[58:59], v[70:71], v[68:69]
	s_delay_alu instid0(VALU_DEP_1) | instskip(NEXT) | instid1(VALU_DEP_1)
	v_div_fmas_f64 v[58:59], v[58:59], v[62:63], v[70:71]
                                        ; implicit-def: $vgpr62_vgpr63
	v_div_fixup_f64 v[58:59], v[58:59], v[48:49], |v[2:3]|
	s_delay_alu instid0(VALU_DEP_1)
	v_cmpx_lt_f64_e32 s[24:25], v[58:59]
	s_cbranch_execz .LBB42_787
; %bb.766:                              ;   in Loop: Header=BB42_417 Depth=1
	v_cmp_neq_f64_e64 s5, |v[2:3]|, 1.0
	v_cmp_ngt_f64_e64 s49, 0x3c400000, |v[4:5]|
                                        ; implicit-def: $vgpr62_vgpr63
	s_or_b32 s5, s49, s5
	s_delay_alu instid0(SALU_CYCLE_1) | instskip(NEXT) | instid1(SALU_CYCLE_1)
	s_and_saveexec_b32 s49, s5
	s_xor_b32 s5, exec_lo, s49
	s_cbranch_execz .LBB42_784
; %bb.767:                              ;   in Loop: Header=BB42_417 Depth=1
	v_ldexp_f64 v[62:63], |v[10:11]|, 0xffffffcc
	s_delay_alu instid0(VALU_DEP_1) | instskip(SKIP_1) | instid1(SALU_CYCLE_1)
	v_cmp_ge_f64_e64 s49, |v[4:5]|, v[62:63]
                                        ; implicit-def: $vgpr62_vgpr63
	s_and_saveexec_b32 s50, s49
	s_xor_b32 s49, exec_lo, s50
	s_cbranch_execz .LBB42_777
; %bb.768:                              ;   in Loop: Header=BB42_417 Depth=1
	v_mov_b64_e32 v[62:63], v[56:57]
	s_mov_b32 s50, exec_lo
	v_cmpx_neq_f64_e32 0, v[50:51]
	s_cbranch_execz .LBB42_770
; %bb.769:                              ;   in Loop: Header=BB42_417 Depth=1
	v_mul_f64_e32 v[62:63], v[4:5], v[4:5]
	v_add_f64_e32 v[50:51], v[50:51], v[54:55]
	s_delay_alu instid0(VALU_DEP_1) | instskip(NEXT) | instid1(VALU_DEP_1)
	v_div_scale_f64 v[54:55], null, v[50:51], v[50:51], v[62:63]
	v_rcp_f64_e32 v[68:69], v[54:55]
	v_nop
	s_delay_alu instid0(TRANS32_DEP_1) | instskip(NEXT) | instid1(VALU_DEP_1)
	v_fma_f64 v[70:71], -v[54:55], v[68:69], 1.0
	v_fmac_f64_e32 v[68:69], v[68:69], v[70:71]
	s_delay_alu instid0(VALU_DEP_1) | instskip(NEXT) | instid1(VALU_DEP_1)
	v_fma_f64 v[70:71], -v[54:55], v[68:69], 1.0
	v_fmac_f64_e32 v[68:69], v[68:69], v[70:71]
	v_div_scale_f64 v[70:71], vcc_lo, v[62:63], v[50:51], v[62:63]
	s_delay_alu instid0(VALU_DEP_1) | instskip(NEXT) | instid1(VALU_DEP_1)
	v_mul_f64_e32 v[72:73], v[70:71], v[68:69]
	v_fma_f64 v[54:55], -v[54:55], v[72:73], v[70:71]
	s_delay_alu instid0(VALU_DEP_1) | instskip(NEXT) | instid1(VALU_DEP_1)
	v_div_fmas_f64 v[54:55], v[54:55], v[68:69], v[72:73]
	v_div_fixup_f64 v[62:63], v[54:55], v[50:51], v[62:63]
.LBB42_770:                             ;   in Loop: Header=BB42_417 Depth=1
	s_or_b32 exec_lo, exec_lo, s50
	s_delay_alu instid0(SALU_CYCLE_1)
	s_mov_b32 s50, exec_lo
	v_cmpx_ngt_f64_e32 0, v[10:11]
	s_xor_b32 s50, exec_lo, s50
	s_cbranch_execz .LBB42_774
; %bb.771:                              ;   in Loop: Header=BB42_417 Depth=1
	s_mov_b32 s51, exec_lo
	v_cmpx_neq_f64_e32 0, v[10:11]
	s_cbranch_execz .LBB42_773
; %bb.772:                              ;   in Loop: Header=BB42_417 Depth=1
	v_mul_f64_e32 v[4:5], v[4:5], v[4:5]
	v_add_f64_e32 v[10:11], v[10:11], v[52:53]
	s_delay_alu instid0(VALU_DEP_1) | instskip(NEXT) | instid1(VALU_DEP_1)
	v_div_scale_f64 v[50:51], null, v[10:11], v[10:11], v[4:5]
	v_rcp_f64_e32 v[52:53], v[50:51]
	v_nop
	s_delay_alu instid0(TRANS32_DEP_1) | instskip(NEXT) | instid1(VALU_DEP_1)
	v_fma_f64 v[54:55], -v[50:51], v[52:53], 1.0
	v_fmac_f64_e32 v[52:53], v[52:53], v[54:55]
	s_delay_alu instid0(VALU_DEP_1) | instskip(NEXT) | instid1(VALU_DEP_1)
	v_fma_f64 v[54:55], -v[50:51], v[52:53], 1.0
	v_fmac_f64_e32 v[52:53], v[52:53], v[54:55]
	v_div_scale_f64 v[54:55], vcc_lo, v[4:5], v[10:11], v[4:5]
	s_delay_alu instid0(VALU_DEP_1) | instskip(NEXT) | instid1(VALU_DEP_1)
	v_mul_f64_e32 v[56:57], v[54:55], v[52:53]
	v_fma_f64 v[50:51], -v[50:51], v[56:57], v[54:55]
	s_delay_alu instid0(VALU_DEP_1) | instskip(NEXT) | instid1(VALU_DEP_1)
	v_div_fmas_f64 v[50:51], v[50:51], v[52:53], v[56:57]
	v_div_fixup_f64 v[56:57], v[50:51], v[10:11], v[4:5]
.LBB42_773:                             ;   in Loop: Header=BB42_417 Depth=1
	s_or_b32 exec_lo, exec_lo, s51
                                        ; implicit-def: $vgpr10_vgpr11
                                        ; implicit-def: $vgpr52_vgpr53
.LBB42_774:                             ;   in Loop: Header=BB42_417 Depth=1
	s_and_not1_saveexec_b32 s50, s50
; %bb.775:                              ;   in Loop: Header=BB42_417 Depth=1
	v_add_f64_e64 v[56:57], v[52:53], -v[10:11]
; %bb.776:                              ;   in Loop: Header=BB42_417 Depth=1
	s_or_b32 exec_lo, exec_lo, s50
	s_delay_alu instid0(VALU_DEP_1) | instskip(SKIP_1) | instid1(VALU_DEP_2)
	v_mul_f64_e32 v[4:5], 0.5, v[56:57]
	v_add_f64_e64 v[10:11], |v[2:3]|, v[48:49]
	v_fmac_f64_e32 v[4:5], 0.5, v[62:63]
	s_delay_alu instid0(VALU_DEP_1) | instskip(NEXT) | instid1(VALU_DEP_1)
	v_mul_f64_e32 v[4:5], v[10:11], v[4:5]
	v_cmp_gt_f64_e32 vcc_lo, 0x10000000, v[4:5]
	v_cndmask_b32_e64 v10, 0, 0x100, vcc_lo
	s_delay_alu instid0(VALU_DEP_1) | instskip(NEXT) | instid1(VALU_DEP_1)
	v_ldexp_f64 v[4:5], v[4:5], v10
	v_rsq_f64_e32 v[10:11], v[4:5]
	v_nop
	s_delay_alu instid0(TRANS32_DEP_1) | instskip(SKIP_1) | instid1(VALU_DEP_1)
	v_mul_f64_e32 v[48:49], v[4:5], v[10:11]
	v_mul_f64_e32 v[10:11], 0.5, v[10:11]
	v_fma_f64 v[50:51], -v[10:11], v[48:49], 0.5
	s_delay_alu instid0(VALU_DEP_1) | instskip(SKIP_1) | instid1(VALU_DEP_2)
	v_fmac_f64_e32 v[48:49], v[48:49], v[50:51]
	v_fmac_f64_e32 v[10:11], v[10:11], v[50:51]
	v_fma_f64 v[50:51], -v[48:49], v[48:49], v[4:5]
	s_delay_alu instid0(VALU_DEP_1) | instskip(NEXT) | instid1(VALU_DEP_1)
	v_fmac_f64_e32 v[48:49], v[50:51], v[10:11]
	v_fma_f64 v[50:51], -v[48:49], v[48:49], v[4:5]
	s_delay_alu instid0(VALU_DEP_1) | instskip(SKIP_2) | instid1(VALU_DEP_2)
	v_fmac_f64_e32 v[48:49], v[50:51], v[10:11]
	v_cndmask_b32_e64 v10, 0, 0xffffff80, vcc_lo
	v_cmp_class_f64_e64 vcc_lo, v[4:5], 0x260
                                        ; implicit-def: $vgpr50_vgpr51
	v_ldexp_f64 v[10:11], v[48:49], v10
	s_delay_alu instid0(VALU_DEP_1)
	v_dual_cndmask_b32 v63, v11, v5 :: v_dual_cndmask_b32 v62, v10, v4
                                        ; implicit-def: $vgpr10_vgpr11
.LBB42_777:                             ;   in Loop: Header=BB42_417 Depth=1
	s_and_not1_saveexec_b32 s49, s49
	s_cbranch_execz .LBB42_783
; %bb.778:                              ;   in Loop: Header=BB42_417 Depth=1
	v_cmp_ngt_f64_e64 s50, |v[2:3]|, 1.0
                                        ; implicit-def: $vgpr62_vgpr63
	s_and_saveexec_b32 s51, s50
	s_delay_alu instid0(SALU_CYCLE_1)
	s_xor_b32 s50, exec_lo, s51
	s_cbranch_execz .LBB42_780
; %bb.779:                              ;   in Loop: Header=BB42_417 Depth=1
	v_add_f64_e64 v[4:5], -|v[2:3]|, 1.0
	s_delay_alu instid0(VALU_DEP_1) | instskip(NEXT) | instid1(VALU_DEP_1)
	v_mul_f64_e32 v[4:5], v[4:5], v[50:51]
	v_cmp_gt_f64_e32 vcc_lo, 0x10000000, v[4:5]
	v_cndmask_b32_e64 v10, 0, 0x100, vcc_lo
	s_delay_alu instid0(VALU_DEP_1) | instskip(NEXT) | instid1(VALU_DEP_1)
	v_ldexp_f64 v[4:5], v[4:5], v10
	v_rsq_f64_e32 v[10:11], v[4:5]
	v_nop
	s_delay_alu instid0(TRANS32_DEP_1) | instskip(SKIP_1) | instid1(VALU_DEP_1)
	v_mul_f64_e32 v[48:49], v[4:5], v[10:11]
	v_mul_f64_e32 v[10:11], 0.5, v[10:11]
	v_fma_f64 v[50:51], -v[10:11], v[48:49], 0.5
	s_delay_alu instid0(VALU_DEP_1) | instskip(SKIP_1) | instid1(VALU_DEP_2)
	v_fmac_f64_e32 v[48:49], v[48:49], v[50:51]
	v_fmac_f64_e32 v[10:11], v[10:11], v[50:51]
	v_fma_f64 v[50:51], -v[48:49], v[48:49], v[4:5]
	s_delay_alu instid0(VALU_DEP_1) | instskip(NEXT) | instid1(VALU_DEP_1)
	v_fmac_f64_e32 v[48:49], v[50:51], v[10:11]
	v_fma_f64 v[50:51], -v[48:49], v[48:49], v[4:5]
	s_delay_alu instid0(VALU_DEP_1) | instskip(SKIP_2) | instid1(VALU_DEP_2)
	v_fmac_f64_e32 v[48:49], v[50:51], v[10:11]
	v_cndmask_b32_e64 v10, 0, 0xffffff80, vcc_lo
	v_cmp_class_f64_e64 vcc_lo, v[4:5], 0x260
                                        ; implicit-def: $vgpr50_vgpr51
	v_ldexp_f64 v[10:11], v[48:49], v10
	s_delay_alu instid0(VALU_DEP_1)
	v_dual_cndmask_b32 v63, v11, v5 :: v_dual_cndmask_b32 v62, v10, v4
                                        ; implicit-def: $vgpr10_vgpr11
.LBB42_780:                             ;   in Loop: Header=BB42_417 Depth=1
	s_and_not1_saveexec_b32 s50, s50
	s_cbranch_execz .LBB42_782
; %bb.781:                              ;   in Loop: Header=BB42_417 Depth=1
	v_mul_f64_e32 v[10:11], v[50:51], v[10:11]
	v_ldexp_f64 v[4:5], |v[4:5]|, 0x6a
	v_ldexp_f64 v[60:61], |v[2:3]|, 0x6a
	s_delay_alu instid0(VALU_DEP_3) | instskip(NEXT) | instid1(VALU_DEP_3)
	v_cmp_gt_f64_e32 vcc_lo, 0x10000000, v[10:11]
	v_mul_f64_e64 v[4:5], |v[2:3]|, v[4:5]
	v_cndmask_b32_e64 v48, 0, 0x100, vcc_lo
	s_delay_alu instid0(VALU_DEP_1) | instskip(NEXT) | instid1(VALU_DEP_1)
	v_ldexp_f64 v[10:11], v[10:11], v48
	v_rsq_f64_e32 v[48:49], v[10:11]
	v_nop
	s_delay_alu instid0(TRANS32_DEP_1) | instskip(SKIP_1) | instid1(VALU_DEP_1)
	v_mul_f64_e32 v[50:51], v[10:11], v[48:49]
	v_mul_f64_e32 v[48:49], 0.5, v[48:49]
	v_fma_f64 v[52:53], -v[48:49], v[50:51], 0.5
	s_delay_alu instid0(VALU_DEP_1) | instskip(SKIP_1) | instid1(VALU_DEP_2)
	v_fmac_f64_e32 v[50:51], v[50:51], v[52:53]
	v_fmac_f64_e32 v[48:49], v[48:49], v[52:53]
	v_fma_f64 v[52:53], -v[50:51], v[50:51], v[10:11]
	s_delay_alu instid0(VALU_DEP_1) | instskip(NEXT) | instid1(VALU_DEP_1)
	v_fmac_f64_e32 v[50:51], v[52:53], v[48:49]
	v_fma_f64 v[52:53], -v[50:51], v[50:51], v[10:11]
	s_delay_alu instid0(VALU_DEP_1) | instskip(SKIP_2) | instid1(VALU_DEP_2)
	v_fmac_f64_e32 v[50:51], v[52:53], v[48:49]
	v_cndmask_b32_e64 v48, 0, 0xffffff80, vcc_lo
	v_cmp_class_f64_e64 vcc_lo, v[10:11], 0x260
	v_ldexp_f64 v[48:49], v[50:51], v48
	s_delay_alu instid0(VALU_DEP_1) | instskip(NEXT) | instid1(VALU_DEP_1)
	v_dual_cndmask_b32 v11, v49, v11 :: v_dual_cndmask_b32 v10, v48, v10
	v_div_scale_f64 v[48:49], null, v[10:11], v[10:11], v[4:5]
	v_div_scale_f64 v[54:55], vcc_lo, v[4:5], v[10:11], v[4:5]
	s_delay_alu instid0(VALU_DEP_2) | instskip(SKIP_1) | instid1(TRANS32_DEP_1)
	v_rcp_f64_e32 v[50:51], v[48:49]
	v_nop
	v_fma_f64 v[52:53], -v[48:49], v[50:51], 1.0
	s_delay_alu instid0(VALU_DEP_1) | instskip(NEXT) | instid1(VALU_DEP_1)
	v_fmac_f64_e32 v[50:51], v[50:51], v[52:53]
	v_fma_f64 v[52:53], -v[48:49], v[50:51], 1.0
	s_delay_alu instid0(VALU_DEP_1) | instskip(NEXT) | instid1(VALU_DEP_1)
	v_fmac_f64_e32 v[50:51], v[50:51], v[52:53]
	v_mul_f64_e32 v[52:53], v[54:55], v[50:51]
	s_delay_alu instid0(VALU_DEP_1) | instskip(NEXT) | instid1(VALU_DEP_1)
	v_fma_f64 v[48:49], -v[48:49], v[52:53], v[54:55]
	v_div_fmas_f64 v[48:49], v[48:49], v[50:51], v[52:53]
	s_delay_alu instid0(VALU_DEP_1)
	v_div_fixup_f64 v[62:63], v[48:49], v[10:11], v[4:5]
.LBB42_782:                             ;   in Loop: Header=BB42_417 Depth=1
	s_or_b32 exec_lo, exec_lo, s50
.LBB42_783:                             ;   in Loop: Header=BB42_417 Depth=1
	s_delay_alu instid0(SALU_CYCLE_1)
	s_or_b32 exec_lo, exec_lo, s49
                                        ; implicit-def: $vgpr48_vgpr49
.LBB42_784:                             ;   in Loop: Header=BB42_417 Depth=1
	s_and_not1_saveexec_b32 s49, s5
	s_cbranch_execz .LBB42_786
; %bb.785:                              ;   in Loop: Header=BB42_417 Depth=1
	v_cmp_gt_f64_e64 s5, 0x10000000, |v[4:5]|
	v_add_f64_e32 v[10:11], 1.0, v[48:49]
	s_delay_alu instid0(VALU_DEP_2) | instskip(NEXT) | instid1(VALU_DEP_1)
	v_cndmask_b32_e64 v48, 0, 0x100, s5
	v_ldexp_f64 v[4:5], |v[4:5]|, v48
	s_delay_alu instid0(VALU_DEP_3) | instskip(NEXT) | instid1(VALU_DEP_1)
	v_mul_f64_e32 v[10:11], 0.5, v[10:11]
	v_cmp_gt_f64_e32 vcc_lo, 0x10000000, v[10:11]
	v_cndmask_b32_e64 v49, 0, 0x100, vcc_lo
	s_delay_alu instid0(VALU_DEP_1) | instskip(SKIP_1) | instid1(VALU_DEP_1)
	v_ldexp_f64 v[10:11], v[10:11], v49
	v_rsq_f64_e32 v[48:49], v[4:5]
	v_rsq_f64_e32 v[50:51], v[10:11]
	v_nop
	s_delay_alu instid0(TRANS32_DEP_1) | instskip(SKIP_1) | instid1(VALU_DEP_1)
	v_mul_f64_e32 v[54:55], v[10:11], v[50:51]
	v_mul_f64_e32 v[50:51], 0.5, v[50:51]
	v_fma_f64 v[60:61], -v[50:51], v[54:55], 0.5
	s_delay_alu instid0(VALU_DEP_1) | instskip(SKIP_1) | instid1(VALU_DEP_2)
	v_fmac_f64_e32 v[54:55], v[54:55], v[60:61]
	v_fmac_f64_e32 v[50:51], v[50:51], v[60:61]
	v_fma_f64 v[60:61], -v[54:55], v[54:55], v[10:11]
	s_delay_alu instid0(VALU_DEP_1) | instskip(NEXT) | instid1(VALU_DEP_1)
	v_fmac_f64_e32 v[54:55], v[60:61], v[50:51]
	v_fma_f64 v[60:61], -v[54:55], v[54:55], v[10:11]
	s_delay_alu instid0(VALU_DEP_1) | instskip(SKIP_3) | instid1(VALU_DEP_3)
	v_fmac_f64_e32 v[54:55], v[60:61], v[50:51]
	v_cndmask_b32_e64 v50, 0, 0xffffff80, vcc_lo
	v_cmp_class_f64_e64 vcc_lo, v[4:5], 0x260
	v_mov_b64_e32 v[60:61], 1.0
	v_ldexp_f64 v[50:51], v[54:55], v50
	s_delay_alu instid0(TRANS32_DEP_2) | instskip(SKIP_1) | instid1(VALU_DEP_1)
	v_mul_f64_e32 v[52:53], v[4:5], v[48:49]
	v_mul_f64_e32 v[48:49], 0.5, v[48:49]
	v_fma_f64 v[56:57], -v[48:49], v[52:53], 0.5
	s_delay_alu instid0(VALU_DEP_1) | instskip(SKIP_1) | instid1(VALU_DEP_2)
	v_fmac_f64_e32 v[52:53], v[52:53], v[56:57]
	v_fmac_f64_e32 v[48:49], v[48:49], v[56:57]
	v_fma_f64 v[56:57], -v[52:53], v[52:53], v[4:5]
	s_delay_alu instid0(VALU_DEP_1) | instskip(NEXT) | instid1(VALU_DEP_1)
	v_fmac_f64_e32 v[52:53], v[56:57], v[48:49]
	v_fma_f64 v[56:57], -v[52:53], v[52:53], v[4:5]
	s_delay_alu instid0(VALU_DEP_1) | instskip(SKIP_2) | instid1(VALU_DEP_2)
	v_fmac_f64_e32 v[52:53], v[56:57], v[48:49]
	v_cndmask_b32_e64 v48, 0, 0xffffff80, s5
	v_cmp_class_f64_e64 s5, v[10:11], 0x260
	v_ldexp_f64 v[48:49], v[52:53], v48
	s_delay_alu instid0(VALU_DEP_2) | instskip(NEXT) | instid1(VALU_DEP_2)
	v_dual_cndmask_b32 v11, v51, v11, s5 :: v_dual_cndmask_b32 v10, v50, v10, s5
	v_dual_cndmask_b32 v5, v49, v5 :: v_dual_cndmask_b32 v4, v48, v4
	s_delay_alu instid0(VALU_DEP_1)
	v_mul_f64_e32 v[62:63], v[4:5], v[10:11]
.LBB42_786:                             ;   in Loop: Header=BB42_417 Depth=1
	s_or_b32 exec_lo, exec_lo, s49
	s_delay_alu instid0(SALU_CYCLE_1)
	s_mov_b32 s5, exec_lo
.LBB42_787:                             ;   in Loop: Header=BB42_417 Depth=1
	s_or_b32 exec_lo, exec_lo, s48
                                        ; implicit-def: $vgpr48_vgpr49
.LBB42_788:                             ;   in Loop: Header=BB42_417 Depth=1
	s_and_not1_saveexec_b32 s6, s6
	s_cbranch_execz .LBB42_790
; %bb.789:                              ;   in Loop: Header=BB42_417 Depth=1
	v_ldexp_f64 v[62:63], v[48:49], 53
	v_ldexp_f64 v[60:61], |v[2:3]|, 53
	s_or_b32 s5, s5, exec_lo
                                        ; implicit-def: $vgpr58_vgpr59
.LBB42_790:                             ;   in Loop: Header=BB42_417 Depth=1
	s_or_b32 exec_lo, exec_lo, s6
	s_xor_b32 s5, s5, -1
	v_cmp_lt_i64_e32 vcc_lo, -1, v[2:3]
	s_and_saveexec_b32 s6, s5
	s_delay_alu instid0(SALU_CYCLE_1)
	s_xor_b32 s6, exec_lo, s6
	s_cbranch_execz .LBB42_800
; %bb.791:                              ;   in Loop: Header=BB42_417 Depth=1
	s_delay_alu instid0(VALU_DEP_4) | instskip(NEXT) | instid1(SALU_CYCLE_1)
	s_and_saveexec_b32 s5, vcc_lo
	s_xor_b32 s48, exec_lo, s5
	s_cbranch_execz .LBB42_795
; %bb.792:                              ;   in Loop: Header=BB42_417 Depth=1
	v_fma_f64 v[4:5], |v[58:59]|, -0.5, 0.5
	v_mul_f64_e32 v[2:3], v[58:59], v[58:59]
	v_cmp_ge_f64_e64 s5, |v[58:59]|, 0.5
	s_delay_alu instid0(VALU_DEP_1) | instskip(NEXT) | instid1(VALU_DEP_1)
	v_dual_cndmask_b32 v3, v3, v5, s5 :: v_dual_cndmask_b32 v2, v2, v4, s5
	v_fmamk_f64 v[10:11], v[2:3], 0x3fa059859fea6a70, v[34:35]
	s_delay_alu instid0(VALU_DEP_1) | instskip(NEXT) | instid1(VALU_DEP_1)
	v_fmaak_f64 v[10:11], v[2:3], v[10:11], 0x3f94052137024d6a
	v_fmaak_f64 v[10:11], v[2:3], v[10:11], 0x3f7ab3a098a70509
	s_delay_alu instid0(VALU_DEP_1) | instskip(NEXT) | instid1(VALU_DEP_1)
	v_fmaak_f64 v[10:11], v[2:3], v[10:11], 0x3f88ed60a300c8d2
	v_fmaak_f64 v[10:11], v[2:3], v[10:11], 0x3f8c6fa84b77012b
	;; [unrolled: 3-line block ×5, first 2 shown]
	s_delay_alu instid0(VALU_DEP_1) | instskip(NEXT) | instid1(VALU_DEP_1)
	v_mul_f64_e32 v[2:3], v[2:3], v[10:11]
	v_fma_f64 v[10:11], v[58:59], v[2:3], v[58:59]
	s_delay_alu instid0(VALU_DEP_1)
	v_fma_f64 v[10:11], s[28:29], s[26:27], -v[10:11]
	s_and_saveexec_b32 s49, s5
	s_cbranch_execz .LBB42_794
; %bb.793:                              ;   in Loop: Header=BB42_417 Depth=1
	v_rsq_f64_e32 v[10:11], v[4:5]
	v_cmp_eq_f64_e64 s5, 0, v[4:5]
	s_delay_alu instid0(TRANS32_DEP_1) | instskip(SKIP_1) | instid1(VALU_DEP_1)
	v_mul_f64_e32 v[48:49], v[4:5], v[10:11]
	v_mul_f64_e32 v[10:11], 0.5, v[10:11]
	v_fma_f64 v[50:51], -v[10:11], v[48:49], 0.5
	s_delay_alu instid0(VALU_DEP_1) | instskip(SKIP_1) | instid1(VALU_DEP_2)
	v_fmac_f64_e32 v[48:49], v[48:49], v[50:51]
	v_fmac_f64_e32 v[10:11], v[10:11], v[50:51]
	v_fma_f64 v[50:51], -v[48:49], v[48:49], v[4:5]
	s_delay_alu instid0(VALU_DEP_1) | instskip(NEXT) | instid1(VALU_DEP_1)
	v_fmac_f64_e32 v[48:49], v[50:51], v[10:11]
	v_dual_cndmask_b32 v11, v49, v5, s5 :: v_dual_cndmask_b32 v10, v48, v4, s5
	s_delay_alu instid0(VALU_DEP_1) | instskip(SKIP_1) | instid1(VALU_DEP_2)
	v_add_f64_e32 v[48:49], v[10:11], v[10:11]
	v_mul_f64_e32 v[50:51], v[10:11], v[10:11]
	v_rcp_f64_e32 v[52:53], v[48:49]
	s_delay_alu instid0(VALU_DEP_1) | instskip(SKIP_1) | instid1(VALU_DEP_2)
	v_add_f64_e64 v[54:55], v[4:5], -v[50:51]
	v_fma_f64 v[60:61], v[10:11], v[10:11], -v[50:51]
	v_add_f64_e64 v[4:5], v[4:5], -v[54:55]
	s_delay_alu instid0(TRANS32_DEP_1) | instskip(NEXT) | instid1(VALU_DEP_2)
	v_fma_f64 v[56:57], -v[48:49], v[52:53], 1.0
	v_add_f64_e64 v[4:5], v[4:5], -v[50:51]
	s_delay_alu instid0(VALU_DEP_2) | instskip(NEXT) | instid1(VALU_DEP_2)
	v_fmac_f64_e32 v[52:53], v[56:57], v[52:53]
	v_add_f64_e64 v[4:5], v[4:5], -v[60:61]
	s_delay_alu instid0(VALU_DEP_2) | instskip(NEXT) | instid1(VALU_DEP_2)
	v_fma_f64 v[50:51], -v[48:49], v[52:53], 1.0
	v_add_f64_e32 v[4:5], v[54:55], v[4:5]
	s_delay_alu instid0(VALU_DEP_2) | instskip(NEXT) | instid1(VALU_DEP_1)
	v_fmac_f64_e32 v[52:53], v[50:51], v[52:53]
	v_mul_f64_e32 v[50:51], v[4:5], v[52:53]
	s_delay_alu instid0(VALU_DEP_1) | instskip(NEXT) | instid1(VALU_DEP_1)
	v_fma_f64 v[4:5], -v[48:49], v[50:51], v[4:5]
	v_fmac_f64_e32 v[50:51], v[4:5], v[52:53]
	s_delay_alu instid0(VALU_DEP_1) | instskip(NEXT) | instid1(VALU_DEP_2)
	v_cndmask_b32_e64 v5, v51, 0, s5
	v_cndmask_b32_e64 v4, v50, 0, s5
	v_cmp_neq_f64_e64 s5, 1.0, v[58:59]
	s_delay_alu instid0(VALU_DEP_2) | instskip(NEXT) | instid1(VALU_DEP_1)
	v_add_f64_e32 v[48:49], v[10:11], v[4:5]
	v_add_f64_e64 v[10:11], v[48:49], -v[10:11]
	s_delay_alu instid0(VALU_DEP_1) | instskip(NEXT) | instid1(VALU_DEP_1)
	v_add_f64_e64 v[4:5], v[4:5], -v[10:11]
	v_fmac_f64_e32 v[4:5], v[48:49], v[2:3]
	s_delay_alu instid0(VALU_DEP_1) | instskip(NEXT) | instid1(VALU_DEP_1)
	v_add_f64_e32 v[2:3], v[48:49], v[4:5]
	v_add_f64_e32 v[2:3], v[2:3], v[2:3]
	s_delay_alu instid0(VALU_DEP_1)
	v_dual_cndmask_b32 v11, 0, v3, s5 :: v_dual_cndmask_b32 v10, 0, v2, s5
.LBB42_794:                             ;   in Loop: Header=BB42_417 Depth=1
	s_or_b32 exec_lo, exec_lo, s49
                                        ; implicit-def: $vgpr58_vgpr59
.LBB42_795:                             ;   in Loop: Header=BB42_417 Depth=1
	s_and_not1_saveexec_b32 s48, s48
	s_cbranch_execz .LBB42_799
; %bb.796:                              ;   in Loop: Header=BB42_417 Depth=1
	v_fma_f64 v[4:5], |v[58:59]|, -0.5, 0.5
	v_mul_f64_e32 v[2:3], v[58:59], v[58:59]
	v_cmp_ge_f64_e64 s5, |v[58:59]|, 0.5
	s_delay_alu instid0(VALU_DEP_1) | instskip(NEXT) | instid1(VALU_DEP_1)
	v_dual_cndmask_b32 v3, v3, v5, s5 :: v_dual_cndmask_b32 v2, v2, v4, s5
	v_fmamk_f64 v[10:11], v[2:3], 0x3fa059859fea6a70, v[34:35]
	s_delay_alu instid0(VALU_DEP_1) | instskip(NEXT) | instid1(VALU_DEP_1)
	v_fmaak_f64 v[10:11], v[2:3], v[10:11], 0x3f94052137024d6a
	v_fmaak_f64 v[10:11], v[2:3], v[10:11], 0x3f7ab3a098a70509
	s_delay_alu instid0(VALU_DEP_1) | instskip(NEXT) | instid1(VALU_DEP_1)
	v_fmaak_f64 v[10:11], v[2:3], v[10:11], 0x3f88ed60a300c8d2
	v_fmaak_f64 v[10:11], v[2:3], v[10:11], 0x3f8c6fa84b77012b
	;; [unrolled: 3-line block ×5, first 2 shown]
	s_delay_alu instid0(VALU_DEP_1) | instskip(NEXT) | instid1(VALU_DEP_1)
	v_mul_f64_e32 v[2:3], v[2:3], v[10:11]
	v_fma_f64 v[10:11], -v[58:59], v[2:3], -v[58:59]
	s_delay_alu instid0(VALU_DEP_1)
	v_fma_f64 v[10:11], s[28:29], s[26:27], -v[10:11]
	s_and_saveexec_b32 s49, s5
	s_cbranch_execz .LBB42_798
; %bb.797:                              ;   in Loop: Header=BB42_417 Depth=1
	v_rsq_f64_e32 v[10:11], v[4:5]
	v_cmp_eq_f64_e64 s5, 0, v[4:5]
	s_delay_alu instid0(TRANS32_DEP_1) | instskip(SKIP_1) | instid1(VALU_DEP_1)
	v_mul_f64_e32 v[48:49], v[4:5], v[10:11]
	v_mul_f64_e32 v[10:11], 0.5, v[10:11]
	v_fma_f64 v[50:51], -v[10:11], v[48:49], 0.5
	s_delay_alu instid0(VALU_DEP_1) | instskip(SKIP_1) | instid1(VALU_DEP_2)
	v_fmac_f64_e32 v[48:49], v[48:49], v[50:51]
	v_fmac_f64_e32 v[10:11], v[10:11], v[50:51]
	v_fma_f64 v[50:51], -v[48:49], v[48:49], v[4:5]
	s_delay_alu instid0(VALU_DEP_1) | instskip(NEXT) | instid1(VALU_DEP_1)
	v_fmac_f64_e32 v[48:49], v[50:51], v[10:11]
	v_dual_cndmask_b32 v11, v49, v5, s5 :: v_dual_cndmask_b32 v10, v48, v4, s5
	s_delay_alu instid0(VALU_DEP_1) | instskip(SKIP_1) | instid1(VALU_DEP_2)
	v_add_f64_e32 v[48:49], v[10:11], v[10:11]
	v_mul_f64_e32 v[50:51], v[10:11], v[10:11]
	v_rcp_f64_e32 v[52:53], v[48:49]
	s_delay_alu instid0(VALU_DEP_1) | instskip(SKIP_1) | instid1(VALU_DEP_2)
	v_add_f64_e64 v[54:55], v[4:5], -v[50:51]
	v_fma_f64 v[60:61], v[10:11], v[10:11], -v[50:51]
	v_add_f64_e64 v[4:5], v[4:5], -v[54:55]
	s_delay_alu instid0(TRANS32_DEP_1) | instskip(NEXT) | instid1(VALU_DEP_2)
	v_fma_f64 v[56:57], -v[48:49], v[52:53], 1.0
	v_add_f64_e64 v[4:5], v[4:5], -v[50:51]
	s_delay_alu instid0(VALU_DEP_2) | instskip(NEXT) | instid1(VALU_DEP_2)
	v_fmac_f64_e32 v[52:53], v[56:57], v[52:53]
	v_add_f64_e64 v[4:5], v[4:5], -v[60:61]
	s_delay_alu instid0(VALU_DEP_2) | instskip(NEXT) | instid1(VALU_DEP_2)
	v_fma_f64 v[50:51], -v[48:49], v[52:53], 1.0
	v_add_f64_e32 v[4:5], v[54:55], v[4:5]
	s_delay_alu instid0(VALU_DEP_2) | instskip(NEXT) | instid1(VALU_DEP_1)
	v_fmac_f64_e32 v[52:53], v[50:51], v[52:53]
	v_mul_f64_e32 v[50:51], v[4:5], v[52:53]
	s_delay_alu instid0(VALU_DEP_1) | instskip(NEXT) | instid1(VALU_DEP_1)
	v_fma_f64 v[4:5], -v[48:49], v[50:51], v[4:5]
	v_fmac_f64_e32 v[50:51], v[4:5], v[52:53]
	s_delay_alu instid0(VALU_DEP_1) | instskip(NEXT) | instid1(VALU_DEP_2)
	v_cndmask_b32_e64 v5, v51, 0, s5
	v_cndmask_b32_e64 v4, v50, 0, s5
	v_cmp_lt_f64_e64 s5, 0, v[58:59]
	s_delay_alu instid0(VALU_DEP_2) | instskip(NEXT) | instid1(VALU_DEP_1)
	v_add_f64_e32 v[48:49], v[10:11], v[4:5]
	v_add_f64_e64 v[10:11], v[48:49], -v[10:11]
	s_delay_alu instid0(VALU_DEP_1) | instskip(SKIP_1) | instid1(VALU_DEP_2)
	v_add_f64_e64 v[4:5], v[4:5], -v[10:11]
	v_fma_f64 v[10:11], v[48:49], v[2:3], v[48:49]
	v_fmac_f64_e32 v[4:5], v[48:49], v[2:3]
	s_delay_alu instid0(VALU_DEP_2) | instskip(NEXT) | instid1(VALU_DEP_2)
	v_mul_f64_e32 v[2:3], -2.0, v[10:11]
	v_add_f64_e32 v[4:5], v[48:49], v[4:5]
	s_delay_alu instid0(VALU_DEP_2) | instskip(NEXT) | instid1(VALU_DEP_2)
	v_fmac_f64_e64 v[2:3], s[30:31], s[26:27]
	v_add_f64_e32 v[4:5], v[4:5], v[4:5]
	s_delay_alu instid0(VALU_DEP_1) | instskip(SKIP_1) | instid1(VALU_DEP_1)
	v_dual_cndmask_b32 v2, v4, v2, s5 :: v_dual_cndmask_b32 v3, v5, v3, s5
	v_cmp_neq_f64_e64 s5, 1.0, v[58:59]
	v_cndmask_b32_e64 v11, 0x400921fb, v3, s5
	s_delay_alu instid0(VALU_DEP_3)
	v_cndmask_b32_e64 v10, 0x54442d18, v2, s5
.LBB42_798:                             ;   in Loop: Header=BB42_417 Depth=1
	s_or_b32 exec_lo, exec_lo, s49
.LBB42_799:                             ;   in Loop: Header=BB42_417 Depth=1
	s_delay_alu instid0(SALU_CYCLE_1)
	s_or_b32 exec_lo, exec_lo, s48
                                        ; implicit-def: $vgpr60_vgpr61
                                        ; implicit-def: $vgpr62_vgpr63
.LBB42_800:                             ;   in Loop: Header=BB42_417 Depth=1
	s_and_not1_saveexec_b32 s48, s6
	s_cbranch_execz .LBB42_806
; %bb.801:                              ;   in Loop: Header=BB42_417 Depth=1
	s_delay_alu instid0(VALU_DEP_4) | instskip(NEXT) | instid1(SALU_CYCLE_1)
	s_and_saveexec_b32 s5, vcc_lo
	s_xor_b32 s49, exec_lo, s5
	s_cbranch_execz .LBB42_803
; %bb.802:                              ;   in Loop: Header=BB42_417 Depth=1
	s_delay_alu instid0(VALU_DEP_2) | instskip(NEXT) | instid1(VALU_DEP_3)
	v_max_num_f64_e64 v[2:3], |v[62:63]|, |v[62:63]|
	v_max_num_f64_e32 v[4:5], v[60:61], v[60:61]
	v_cmp_eq_f64_e64 s5, 0, v[62:63]
	v_cmp_class_f64_e64 s50, v[62:63], 0x204
	v_cmp_eq_f64_e64 s6, 0x7ff00000, v[60:61]
	s_delay_alu instid0(VALU_DEP_4) | instskip(SKIP_1) | instid1(VALU_DEP_1)
	v_max_num_f64_e32 v[10:11], v[4:5], v[2:3]
	v_min_num_f64_e32 v[2:3], v[4:5], v[2:3]
	v_div_scale_f64 v[4:5], null, v[10:11], v[10:11], v[2:3]
	v_div_scale_f64 v[52:53], vcc_lo, v[2:3], v[10:11], v[2:3]
	s_delay_alu instid0(VALU_DEP_2) | instskip(SKIP_1) | instid1(TRANS32_DEP_1)
	v_rcp_f64_e32 v[48:49], v[4:5]
	v_nop
	v_fma_f64 v[50:51], -v[4:5], v[48:49], 1.0
	s_delay_alu instid0(VALU_DEP_1) | instskip(NEXT) | instid1(VALU_DEP_1)
	v_fmac_f64_e32 v[48:49], v[48:49], v[50:51]
	v_fma_f64 v[50:51], -v[4:5], v[48:49], 1.0
	s_delay_alu instid0(VALU_DEP_1) | instskip(NEXT) | instid1(VALU_DEP_1)
	v_fmac_f64_e32 v[48:49], v[48:49], v[50:51]
	v_mul_f64_e32 v[50:51], v[52:53], v[48:49]
	s_delay_alu instid0(VALU_DEP_1) | instskip(NEXT) | instid1(VALU_DEP_1)
	v_fma_f64 v[4:5], -v[4:5], v[50:51], v[52:53]
	v_div_fmas_f64 v[4:5], v[4:5], v[48:49], v[50:51]
	v_cmp_lt_f64_e64 vcc_lo, v[60:61], |v[62:63]|
	s_delay_alu instid0(VALU_DEP_2) | instskip(NEXT) | instid1(VALU_DEP_1)
	v_div_fixup_f64 v[2:3], v[4:5], v[10:11], v[2:3]
	v_mul_f64_e32 v[4:5], v[2:3], v[2:3]
	s_delay_alu instid0(VALU_DEP_1) | instskip(NEXT) | instid1(VALU_DEP_1)
	v_fmamk_f64 v[10:11], v[4:5], 0x3eeba404b5e68a13, v[36:37]
	v_fmaak_f64 v[10:11], v[4:5], v[10:11], 0x3f4b2bb069efb384
	s_delay_alu instid0(VALU_DEP_1) | instskip(NEXT) | instid1(VALU_DEP_1)
	v_fmaak_f64 v[10:11], v[4:5], v[10:11], 0xbf67952daf56de9b
	v_fmaak_f64 v[10:11], v[4:5], v[10:11], 0x3f7d6d43a595c56f
	s_delay_alu instid0(VALU_DEP_1) | instskip(NEXT) | instid1(VALU_DEP_1)
	v_fmaak_f64 v[10:11], v[4:5], v[10:11], 0xbf8c6ea4a57d9582
	;; [unrolled: 3-line block ×9, first 2 shown]
	v_dual_mul_f64 v[4:5], v[4:5], v[10:11] :: v_dual_ashrrev_i32 v10, 31, v61
	s_delay_alu instid0(VALU_DEP_1) | instskip(NEXT) | instid1(VALU_DEP_2)
	v_and_b32_e32 v48, 0x54442d18, v10
	v_fmac_f64_e32 v[2:3], v[2:3], v[4:5]
	s_delay_alu instid0(VALU_DEP_1) | instskip(NEXT) | instid1(VALU_DEP_1)
	v_add_f64_e64 v[4:5], -v[2:3], s[34:35]
	v_dual_cndmask_b32 v3, v3, v5 :: v_dual_cndmask_b32 v2, v2, v4
	v_cmp_gt_i32_e32 vcc_lo, 0, v61
                                        ; implicit-def: $vgpr60_vgpr61
	s_delay_alu instid0(VALU_DEP_2) | instskip(SKIP_1) | instid1(VALU_DEP_2)
	v_add_f64_e64 v[4:5], -v[2:3], s[36:37]
	v_cndmask_b32_e32 v11, 0x54442d18, v65, vcc_lo
	v_dual_cndmask_b32 v3, v3, v5 :: v_dual_cndmask_b32 v2, v2, v4
	v_and_b32_e32 v4, 0x400921fb, v10
	v_cndmask_b32_e32 v5, 0x3fe921fb, v66, vcc_lo
	s_and_b32 vcc_lo, s6, s50
	s_delay_alu instid0(VALU_DEP_2) | instskip(NEXT) | instid1(VALU_DEP_1)
	v_cndmask_b32_e64 v3, v3, v4, s5
	v_dual_cndmask_b32 v2, v2, v48, s5 :: v_dual_cndmask_b32 v3, v3, v5, vcc_lo
	s_delay_alu instid0(VALU_DEP_1) | instskip(SKIP_1) | instid1(VALU_DEP_2)
	v_cndmask_b32_e32 v2, v2, v11, vcc_lo
	v_cmp_o_f64_e32 vcc_lo, v[62:63], v[62:63]
	v_cndmask_b32_e32 v10, 0, v2, vcc_lo
	s_delay_alu instid0(VALU_DEP_4) | instskip(NEXT) | instid1(VALU_DEP_1)
	v_cndmask_b32_e32 v2, 0x7ff80000, v3, vcc_lo
	v_bfi_b32 v11, 0x7fffffff, v2, v63
                                        ; implicit-def: $vgpr62_vgpr63
.LBB42_803:                             ;   in Loop: Header=BB42_417 Depth=1
	s_and_not1_saveexec_b32 s49, s49
	s_cbranch_execz .LBB42_805
; %bb.804:                              ;   in Loop: Header=BB42_417 Depth=1
	s_delay_alu instid0(VALU_DEP_2) | instskip(NEXT) | instid1(VALU_DEP_3)
	v_max_num_f64_e64 v[2:3], |v[62:63]|, |v[62:63]|
	v_max_num_f64_e32 v[4:5], v[60:61], v[60:61]
	v_cmp_eq_f64_e64 s5, 0, v[62:63]
	v_cmp_class_f64_e64 s50, v[62:63], 0x204
	v_cmp_eq_f64_e64 s6, 0x7ff00000, v[60:61]
	s_delay_alu instid0(VALU_DEP_4) | instskip(SKIP_1) | instid1(VALU_DEP_1)
	v_max_num_f64_e32 v[10:11], v[4:5], v[2:3]
	v_min_num_f64_e32 v[2:3], v[4:5], v[2:3]
	v_div_scale_f64 v[4:5], null, v[10:11], v[10:11], v[2:3]
	v_div_scale_f64 v[52:53], vcc_lo, v[2:3], v[10:11], v[2:3]
	s_delay_alu instid0(VALU_DEP_2) | instskip(SKIP_1) | instid1(TRANS32_DEP_1)
	v_rcp_f64_e32 v[48:49], v[4:5]
	v_nop
	v_fma_f64 v[50:51], -v[4:5], v[48:49], 1.0
	s_delay_alu instid0(VALU_DEP_1) | instskip(NEXT) | instid1(VALU_DEP_1)
	v_fmac_f64_e32 v[48:49], v[48:49], v[50:51]
	v_fma_f64 v[50:51], -v[4:5], v[48:49], 1.0
	s_delay_alu instid0(VALU_DEP_1) | instskip(NEXT) | instid1(VALU_DEP_1)
	v_fmac_f64_e32 v[48:49], v[48:49], v[50:51]
	v_mul_f64_e32 v[50:51], v[52:53], v[48:49]
	s_delay_alu instid0(VALU_DEP_1) | instskip(NEXT) | instid1(VALU_DEP_1)
	v_fma_f64 v[4:5], -v[4:5], v[50:51], v[52:53]
	v_div_fmas_f64 v[4:5], v[4:5], v[48:49], v[50:51]
	v_cmp_lt_f64_e64 vcc_lo, v[60:61], |v[62:63]|
	s_delay_alu instid0(VALU_DEP_2) | instskip(NEXT) | instid1(VALU_DEP_1)
	v_div_fixup_f64 v[2:3], v[4:5], v[10:11], v[2:3]
	v_mul_f64_e32 v[4:5], v[2:3], v[2:3]
	s_delay_alu instid0(VALU_DEP_1) | instskip(NEXT) | instid1(VALU_DEP_1)
	v_fmamk_f64 v[10:11], v[4:5], 0x3eeba404b5e68a13, v[36:37]
	v_fmaak_f64 v[10:11], v[4:5], v[10:11], 0x3f4b2bb069efb384
	s_delay_alu instid0(VALU_DEP_1) | instskip(NEXT) | instid1(VALU_DEP_1)
	v_fmaak_f64 v[10:11], v[4:5], v[10:11], 0xbf67952daf56de9b
	v_fmaak_f64 v[10:11], v[4:5], v[10:11], 0x3f7d6d43a595c56f
	s_delay_alu instid0(VALU_DEP_1) | instskip(NEXT) | instid1(VALU_DEP_1)
	v_fmaak_f64 v[10:11], v[4:5], v[10:11], 0xbf8c6ea4a57d9582
	;; [unrolled: 3-line block ×9, first 2 shown]
	v_mul_f64_e32 v[4:5], v[4:5], v[10:11]
	v_xor_b32_e32 v10, 0x80000000, v61
	s_delay_alu instid0(VALU_DEP_1) | instskip(NEXT) | instid1(VALU_DEP_1)
	v_ashrrev_i32_e32 v11, 31, v10
	v_and_b32_e32 v48, 0x54442d18, v11
	s_delay_alu instid0(VALU_DEP_4) | instskip(NEXT) | instid1(VALU_DEP_1)
	v_fmac_f64_e32 v[2:3], v[2:3], v[4:5]
	v_add_f64_e64 v[4:5], -v[2:3], s[34:35]
	s_delay_alu instid0(VALU_DEP_1) | instskip(SKIP_1) | instid1(VALU_DEP_2)
	v_dual_cndmask_b32 v3, v3, v5 :: v_dual_cndmask_b32 v2, v2, v4
	v_cmp_gt_i32_e32 vcc_lo, 0, v10
	v_add_f64_e64 v[4:5], -v[2:3], s[36:37]
	v_cndmask_b32_e32 v10, 0x54442d18, v65, vcc_lo
	s_delay_alu instid0(VALU_DEP_2) | instskip(SKIP_3) | instid1(VALU_DEP_2)
	v_dual_cndmask_b32 v3, v3, v5 :: v_dual_cndmask_b32 v2, v2, v4
	v_and_b32_e32 v4, 0x400921fb, v11
	v_cndmask_b32_e32 v5, 0x3fe921fb, v66, vcc_lo
	s_and_b32 vcc_lo, s6, s50
	v_cndmask_b32_e64 v3, v3, v4, s5
	v_cndmask_b32_e64 v2, v2, v48, s5
	s_delay_alu instid0(VALU_DEP_1) | instskip(SKIP_1) | instid1(VALU_DEP_2)
	v_dual_cndmask_b32 v2, v2, v10 :: v_dual_cndmask_b32 v3, v3, v5
	v_cmp_o_f64_e32 vcc_lo, v[62:63], v[62:63]
	v_cndmask_b32_e32 v10, 0, v2, vcc_lo
	s_delay_alu instid0(VALU_DEP_3) | instskip(NEXT) | instid1(VALU_DEP_1)
	v_cndmask_b32_e32 v2, 0x7ff80000, v3, vcc_lo
	v_bfi_b32 v11, 0x7fffffff, v2, v63
.LBB42_805:                             ;   in Loop: Header=BB42_417 Depth=1
	s_or_b32 exec_lo, exec_lo, s49
.LBB42_806:                             ;   in Loop: Header=BB42_417 Depth=1
	s_delay_alu instid0(SALU_CYCLE_1) | instskip(SKIP_1) | instid1(VALU_DEP_1)
	s_or_b32 exec_lo, exec_lo, s48
	v_xor_b32_e32 v2, 0x80000000, v13
	v_cndmask_b32_e64 v13, v2, v13, s4
                                        ; implicit-def: $vgpr2_vgpr3
.LBB42_807:                             ;   in Loop: Header=BB42_417 Depth=1
	s_and_not1_saveexec_b32 s5, s47
	s_cbranch_execz .LBB42_809
; %bb.808:                              ;   in Loop: Header=BB42_417 Depth=1
	flat_load_b64 v[4:5], v[24:25] scope:SCOPE_SYS
	s_wait_loadcnt_dscnt 0x0
	v_add_f64_e64 v[2:3], v[4:5], -v[2:3]
	s_delay_alu instid0(VALU_DEP_1)
	v_add_f64_e32 v[10:11], 0x3ff921fb54442d18, v[2:3]
.LBB42_809:                             ;   in Loop: Header=BB42_417 Depth=1
	s_or_b32 exec_lo, exec_lo, s5
.LBB42_810:                             ;   in Loop: Header=BB42_417 Depth=1
	s_and_not1_saveexec_b32 s5, s46
	s_cbranch_execz .LBB42_812
; %bb.811:                              ;   in Loop: Header=BB42_417 Depth=1
	s_wait_dscnt 0x0
	v_mov_b64_e32 v[10:11], 0
.LBB42_812:                             ;   in Loop: Header=BB42_417 Depth=1
	s_or_b32 exec_lo, exec_lo, s5
                                        ; implicit-def: $vgpr2_vgpr3
                                        ; implicit-def: $vgpr50_vgpr51
                                        ; implicit-def: $vgpr52_vgpr53
                                        ; implicit-def: $vgpr48_vgpr49
.LBB42_813:                             ;   in Loop: Header=BB42_417 Depth=1
	s_and_not1_saveexec_b32 s33, s33
	s_cbranch_execz .LBB42_823
; %bb.814:                              ;   in Loop: Header=BB42_417 Depth=1
	v_cmp_lt_f64_e64 s5, |v[2:3]|, |v[4:5]|
	v_and_b32_e32 v56, 0x7fffffff, v3
	v_and_b32_e32 v57, 0x7fffffff, v5
                                        ; implicit-def: $sgpr46
                                        ; implicit-def: $vgpr12_vgpr13
                                        ; implicit-def: $vgpr10_vgpr11
	s_mov_b32 s6, exec_lo
	s_delay_alu instid0(VALU_DEP_1) | instskip(NEXT) | instid1(VALU_DEP_1)
	v_dual_cndmask_b32 v55, v56, v57, s5 :: v_dual_cndmask_b32 v54, v2, v4, s5
	v_cmpx_nlt_f64_e32 s[38:39], v[54:55]
	s_xor_b32 s47, exec_lo, s6
	s_cbranch_execz .LBB42_820
; %bb.815:                              ;   in Loop: Header=BB42_417 Depth=1
	v_dual_cndmask_b32 v57, v57, v56, s5 :: v_dual_cndmask_b32 v56, v4, v2, s5
	v_cmp_nlt_f64_e32 vcc_lo, 0x20200000, v[54:55]
                                        ; implicit-def: $sgpr46
                                        ; implicit-def: $vgpr12_vgpr13
                                        ; implicit-def: $vgpr10_vgpr11
	s_delay_alu instid0(VALU_DEP_2) | instskip(SKIP_1) | instid1(SALU_CYCLE_1)
	v_cmp_ngt_f64_e64 s6, 0x20000000, v[56:57]
	s_and_b32 s6, vcc_lo, s6
	s_and_saveexec_b32 s48, s6
	s_delay_alu instid0(SALU_CYCLE_1)
	s_xor_b32 s6, exec_lo, s48
	s_cbranch_execz .LBB42_817
; %bb.816:                              ;   in Loop: Header=BB42_417 Depth=1
	v_mul_f64_e32 v[12:13], v[56:57], v[56:57]
	v_min_num_f64_e32 v[50:51], v[50:51], v[52:53]
	v_cmp_class_f64_e64 s46, v[4:5], 0x204
	v_cmp_class_f64_e64 s48, v[2:3], 0x204
	s_delay_alu instid0(VALU_DEP_4) | instskip(SKIP_2) | instid1(VALU_DEP_1)
	v_fmac_f64_e32 v[12:13], v[54:55], v[54:55]
	s_and_b32 s46, s46, s48
	s_wait_dscnt 0x0
	v_frexp_mant_f64_e32 v[10:11], v[12:13]
	s_delay_alu instid0(VALU_DEP_1) | instskip(SKIP_1) | instid1(VALU_DEP_1)
	v_cmp_gt_f64_e32 vcc_lo, s[16:17], v[10:11]
	v_cndmask_b32_e64 v54, 0, 1, vcc_lo
	v_ldexp_f64 v[10:11], v[10:11], v54
	s_delay_alu instid0(VALU_DEP_1) | instskip(SKIP_1) | instid1(VALU_DEP_2)
	v_add_f64_e32 v[54:55], 1.0, v[10:11]
	v_add_f64_e32 v[60:61], -1.0, v[10:11]
	v_rcp_f64_e32 v[56:57], v[54:55]
	v_add_f64_e32 v[62:63], -1.0, v[54:55]
	s_delay_alu instid0(VALU_DEP_1) | instskip(NEXT) | instid1(TRANS32_DEP_1)
	v_add_f64_e64 v[10:11], v[10:11], -v[62:63]
	v_fma_f64 v[58:59], -v[54:55], v[56:57], 1.0
	s_delay_alu instid0(VALU_DEP_1) | instskip(NEXT) | instid1(VALU_DEP_1)
	v_fmac_f64_e32 v[56:57], v[58:59], v[56:57]
	v_fma_f64 v[58:59], -v[54:55], v[56:57], 1.0
	s_delay_alu instid0(VALU_DEP_1) | instskip(NEXT) | instid1(VALU_DEP_1)
	v_fmac_f64_e32 v[56:57], v[58:59], v[56:57]
	v_mul_f64_e32 v[58:59], v[60:61], v[56:57]
	s_delay_alu instid0(VALU_DEP_1) | instskip(NEXT) | instid1(VALU_DEP_1)
	v_mul_f64_e32 v[68:69], v[54:55], v[58:59]
	v_fma_f64 v[54:55], v[58:59], v[54:55], -v[68:69]
	s_delay_alu instid0(VALU_DEP_1) | instskip(NEXT) | instid1(VALU_DEP_1)
	v_fmac_f64_e32 v[54:55], v[58:59], v[10:11]
	v_add_f64_e32 v[10:11], v[68:69], v[54:55]
	s_delay_alu instid0(VALU_DEP_1) | instskip(SKIP_1) | instid1(VALU_DEP_2)
	v_add_f64_e64 v[62:63], v[60:61], -v[10:11]
	v_add_f64_e64 v[68:69], v[10:11], -v[68:69]
	;; [unrolled: 1-line block ×3, first 2 shown]
	s_delay_alu instid0(VALU_DEP_2) | instskip(NEXT) | instid1(VALU_DEP_2)
	v_add_f64_e64 v[54:55], v[68:69], -v[54:55]
	v_add_f64_e64 v[10:11], v[60:61], -v[10:11]
	s_delay_alu instid0(VALU_DEP_1) | instskip(NEXT) | instid1(VALU_DEP_1)
	v_add_f64_e32 v[10:11], v[54:55], v[10:11]
	v_add_f64_e32 v[10:11], v[62:63], v[10:11]
	s_delay_alu instid0(VALU_DEP_1) | instskip(NEXT) | instid1(VALU_DEP_1)
	v_mul_f64_e32 v[10:11], v[56:57], v[10:11]
	v_add_f64_e32 v[54:55], v[58:59], v[10:11]
	s_delay_alu instid0(VALU_DEP_1) | instskip(SKIP_1) | instid1(VALU_DEP_2)
	v_mul_f64_e32 v[56:57], v[54:55], v[54:55]
	v_ldexp_f64 v[52:53], v[54:55], 1
	v_fmamk_f64 v[60:61], v[56:57], 0x3fc3ab76bf559e2b, v[32:33]
	v_mul_f64_e32 v[62:63], v[54:55], v[56:57]
	v_add_f64_e64 v[54:55], v[54:55], -v[58:59]
	s_delay_alu instid0(VALU_DEP_3) | instskip(NEXT) | instid1(VALU_DEP_1)
	v_fmaak_f64 v[60:61], v[56:57], v[60:61], 0x3fc7474dd7f4df2e
	v_fmaak_f64 v[60:61], v[56:57], v[60:61], 0x3fcc71c016291751
	s_delay_alu instid0(VALU_DEP_1) | instskip(NEXT) | instid1(VALU_DEP_1)
	v_fmaak_f64 v[60:61], v[56:57], v[60:61], 0x3fd249249b27acf1
	v_fmaak_f64 v[60:61], v[56:57], v[60:61], 0x3fd99999998ef7b6
	v_add_f64_e64 v[10:11], v[10:11], -v[54:55]
	s_delay_alu instid0(VALU_DEP_2) | instskip(SKIP_1) | instid1(VALU_DEP_2)
	v_fmaak_f64 v[56:57], v[56:57], v[60:61], 0x3fe5555555555780
	v_frexp_exp_i32_f64_e32 v60, v[12:13]
	v_mul_f64_e32 v[56:57], v[62:63], v[56:57]
	s_delay_alu instid0(VALU_DEP_4) | instskip(NEXT) | instid1(VALU_DEP_3)
	v_ldexp_f64 v[10:11], v[10:11], 1
	v_subrev_co_ci_u32_e64 v62, null, 0, v60, vcc_lo
	v_div_scale_f64 v[60:61], null, v[48:49], v[48:49], v[50:51]
	v_div_scale_f64 v[74:75], vcc_lo, v[50:51], v[48:49], v[50:51]
	s_delay_alu instid0(VALU_DEP_3) | instskip(SKIP_1) | instid1(VALU_DEP_4)
	v_cvt_f64_i32_e32 v[62:63], v62
	v_add_f64_e32 v[58:59], v[52:53], v[56:57]
	v_rcp_f64_e32 v[68:69], v[60:61]
	s_delay_alu instid0(VALU_DEP_2) | instskip(NEXT) | instid1(VALU_DEP_2)
	v_mul_f64_e32 v[70:71], 0x3fe62e42fefa39ef, v[62:63]
	v_add_f64_e64 v[52:53], v[58:59], -v[52:53]
	s_delay_alu instid0(VALU_DEP_2) | instskip(NEXT) | instid1(VALU_DEP_2)
	v_fma_f64 v[54:55], v[62:63], s[22:23], -v[70:71]
	v_add_f64_e64 v[52:53], v[56:57], -v[52:53]
	s_delay_alu instid0(TRANS32_DEP_1) | instskip(NEXT) | instid1(VALU_DEP_3)
	v_fma_f64 v[56:57], -v[60:61], v[68:69], 1.0
	v_fmac_f64_e32 v[54:55], 0x3c7abc9e3b39803f, v[62:63]
	s_delay_alu instid0(VALU_DEP_3) | instskip(NEXT) | instid1(VALU_DEP_3)
	v_add_f64_e32 v[10:11], v[10:11], v[52:53]
	v_fmac_f64_e32 v[68:69], v[68:69], v[56:57]
	s_delay_alu instid0(VALU_DEP_3) | instskip(NEXT) | instid1(VALU_DEP_3)
	v_add_f64_e32 v[52:53], v[70:71], v[54:55]
	v_add_f64_e32 v[56:57], v[58:59], v[10:11]
	s_delay_alu instid0(VALU_DEP_3) | instskip(NEXT) | instid1(VALU_DEP_3)
	v_fma_f64 v[62:63], -v[60:61], v[68:69], 1.0
	v_add_f64_e64 v[70:71], v[52:53], -v[70:71]
	s_delay_alu instid0(VALU_DEP_3) | instskip(NEXT) | instid1(VALU_DEP_3)
	v_add_f64_e32 v[72:73], v[52:53], v[56:57]
	v_fmac_f64_e32 v[68:69], v[68:69], v[62:63]
	v_add_f64_e64 v[58:59], v[56:57], -v[58:59]
	s_delay_alu instid0(VALU_DEP_4) | instskip(NEXT) | instid1(VALU_DEP_4)
	v_add_f64_e64 v[54:55], v[54:55], -v[70:71]
	v_add_f64_e64 v[62:63], v[72:73], -v[52:53]
	s_delay_alu instid0(VALU_DEP_4) | instskip(NEXT) | instid1(VALU_DEP_4)
	v_mul_f64_e32 v[76:77], v[74:75], v[68:69]
	v_add_f64_e64 v[58:59], v[10:11], -v[58:59]
	s_delay_alu instid0(VALU_DEP_3) | instskip(NEXT) | instid1(VALU_DEP_3)
	v_add_f64_e64 v[78:79], v[72:73], -v[62:63]
	v_fma_f64 v[60:61], -v[60:61], v[76:77], v[74:75]
	v_add_f64_e64 v[10:11], v[56:57], -v[62:63]
	s_delay_alu instid0(VALU_DEP_3) | instskip(NEXT) | instid1(VALU_DEP_3)
	v_add_f64_e64 v[52:53], v[52:53], -v[78:79]
	v_div_fmas_f64 v[56:57], v[60:61], v[68:69], v[76:77]
	v_add_f64_e32 v[60:61], v[54:55], v[58:59]
	v_cmp_class_f64_e64 vcc_lo, v[12:13], 0x204
	s_delay_alu instid0(VALU_DEP_4) | instskip(NEXT) | instid1(VALU_DEP_4)
	v_add_f64_e32 v[52:53], v[10:11], v[52:53]
	v_div_fixup_f64 v[10:11], v[56:57], v[48:49], v[50:51]
	s_delay_alu instid0(VALU_DEP_4) | instskip(NEXT) | instid1(VALU_DEP_3)
	v_add_f64_e64 v[48:49], v[60:61], -v[54:55]
	v_add_f64_e32 v[50:51], v[60:61], v[52:53]
	s_delay_alu instid0(VALU_DEP_3) | instskip(NEXT) | instid1(VALU_DEP_3)
	v_mul_f64_e32 v[52:53], v[10:11], v[10:11]
	v_add_f64_e64 v[56:57], v[60:61], -v[48:49]
	v_add_f64_e64 v[48:49], v[58:59], -v[48:49]
	s_delay_alu instid0(VALU_DEP_4) | instskip(NEXT) | instid1(VALU_DEP_4)
	v_add_f64_e32 v[60:61], v[72:73], v[50:51]
	v_fmamk_f64 v[62:63], v[52:53], 0x3eeba404b5e68a13, v[36:37]
	s_delay_alu instid0(VALU_DEP_4) | instskip(NEXT) | instid1(VALU_DEP_2)
	v_add_f64_e64 v[54:55], v[54:55], -v[56:57]
	v_fmaak_f64 v[62:63], v[52:53], v[62:63], 0x3f4b2bb069efb384
	s_delay_alu instid0(VALU_DEP_1) | instskip(NEXT) | instid1(VALU_DEP_1)
	v_fmaak_f64 v[62:63], v[52:53], v[62:63], 0xbf67952daf56de9b
	v_fmaak_f64 v[62:63], v[52:53], v[62:63], 0x3f7d6d43a595c56f
	s_delay_alu instid0(VALU_DEP_1) | instskip(SKIP_2) | instid1(VALU_DEP_3)
	v_fmaak_f64 v[58:59], v[52:53], v[62:63], 0xbf8c6ea4a57d9582
	v_add_f64_e64 v[56:57], v[60:61], -v[72:73]
	v_add_f64_e32 v[48:49], v[48:49], v[54:55]
	v_fmaak_f64 v[58:59], v[52:53], v[58:59], 0x3f967e295f08b19f
	s_delay_alu instid0(VALU_DEP_1) | instskip(NEXT) | instid1(VALU_DEP_1)
	v_fmaak_f64 v[58:59], v[52:53], v[58:59], 0xbf9e9ae6fc27006a
	v_fmaak_f64 v[58:59], v[52:53], v[58:59], 0x3fa2c15b5711927a
	s_delay_alu instid0(VALU_DEP_1) | instskip(NEXT) | instid1(VALU_DEP_1)
	v_fmaak_f64 v[58:59], v[52:53], v[58:59], 0xbfa59976e82d3ff0
	v_fmaak_f64 v[54:55], v[52:53], v[58:59], 0x3fa82d5d6ef28734
	v_add_f64_e64 v[50:51], v[50:51], -v[56:57]
	s_delay_alu instid0(VALU_DEP_2) | instskip(NEXT) | instid1(VALU_DEP_1)
	v_fmaak_f64 v[54:55], v[52:53], v[54:55], 0xbfaae5ce6a214619
	v_fmaak_f64 v[54:55], v[52:53], v[54:55], 0x3fae1bb48427b883
	s_delay_alu instid0(VALU_DEP_1) | instskip(NEXT) | instid1(VALU_DEP_4)
	v_fmaak_f64 v[54:55], v[52:53], v[54:55], 0xbfb110e48b207f05
	v_add_f64_e32 v[48:49], v[48:49], v[50:51]
	s_delay_alu instid0(VALU_DEP_2) | instskip(NEXT) | instid1(VALU_DEP_1)
	v_fmaak_f64 v[50:51], v[52:53], v[54:55], 0x3fb3b13657b87036
	v_fmaak_f64 v[50:51], v[52:53], v[50:51], 0xbfb745d119378e4f
	s_delay_alu instid0(VALU_DEP_1) | instskip(NEXT) | instid1(VALU_DEP_1)
	v_fmaak_f64 v[50:51], v[52:53], v[50:51], 0x3fbc71c717e1913c
	v_fmaak_f64 v[50:51], v[52:53], v[50:51], 0xbfc2492492376b7d
	s_delay_alu instid0(VALU_DEP_1) | instskip(SKIP_1) | instid1(VALU_DEP_2)
	v_fmaak_f64 v[50:51], v[52:53], v[50:51], 0x3fc99999999952cc
	v_add_f64_e32 v[48:49], v[60:61], v[48:49]
	v_fmaak_f64 v[50:51], v[52:53], v[50:51], 0xbfd5555555555523
	s_delay_alu instid0(VALU_DEP_1) | instskip(NEXT) | instid1(VALU_DEP_3)
	v_mul_f64_e32 v[50:51], v[52:53], v[50:51]
                                        ; implicit-def: $vgpr52_vgpr53
	v_dual_cndmask_b32 v49, v49, v13 :: v_dual_cndmask_b32 v48, v48, v12
	v_cmp_neq_f64_e32 vcc_lo, 0, v[12:13]
	s_delay_alu instid0(VALU_DEP_2) | instskip(NEXT) | instid1(VALU_DEP_4)
	v_mul_f64_e32 v[48:49], 0.5, v[48:49]
	v_fmac_f64_e32 v[10:11], v[10:11], v[50:51]
                                        ; implicit-def: $vgpr50_vgpr51
	s_delay_alu instid0(VALU_DEP_2) | instskip(NEXT) | instid1(VALU_DEP_3)
	v_cndmask_b32_e32 v13, 0xfff00000, v49, vcc_lo
	v_cndmask_b32_e32 v12, 0, v48, vcc_lo
                                        ; implicit-def: $vgpr48_vgpr49
.LBB42_817:                             ;   in Loop: Header=BB42_417 Depth=1
	s_and_not1_saveexec_b32 s6, s6
	s_cbranch_execz .LBB42_819
; %bb.818:                              ;   in Loop: Header=BB42_417 Depth=1
	v_frexp_exp_i32_f64_e32 v58, v[48:49]
	v_cmp_class_f64_e64 s48, v[2:3], 0x204
	v_cmp_class_f64_e64 s49, v[4:5], 0x204
	v_min_num_f64_e32 v[50:51], v[50:51], v[52:53]
	s_and_not1_b32 s46, s46, exec_lo
	v_sub_nc_u32_e32 v12, 0, v58
	s_or_b32 s50, s49, s48
	s_and_b32 s48, s49, s48
	s_delay_alu instid0(SALU_CYCLE_1) | instskip(SKIP_4) | instid1(VALU_DEP_2)
	s_and_b32 s48, s48, exec_lo
	s_wait_dscnt 0x0
	v_ldexp_f64 v[10:11], |v[4:5]|, v12
	v_ldexp_f64 v[12:13], |v[2:3]|, v12
	s_or_b32 s46, s46, s48
	v_mul_f64_e32 v[10:11], v[10:11], v[10:11]
	s_delay_alu instid0(VALU_DEP_1) | instskip(NEXT) | instid1(VALU_DEP_1)
	v_fmac_f64_e32 v[10:11], v[12:13], v[12:13]
	v_rsq_f64_e32 v[12:13], v[10:11]
	v_cmp_eq_f64_e32 vcc_lo, 0, v[10:11]
	s_delay_alu instid0(TRANS32_DEP_1) | instskip(SKIP_1) | instid1(VALU_DEP_1)
	v_mul_f64_e32 v[54:55], v[10:11], v[12:13]
	v_mul_f64_e32 v[12:13], 0.5, v[12:13]
	v_fma_f64 v[56:57], -v[12:13], v[54:55], 0.5
	s_delay_alu instid0(VALU_DEP_1) | instskip(SKIP_1) | instid1(VALU_DEP_2)
	v_fmac_f64_e32 v[54:55], v[54:55], v[56:57]
	v_fmac_f64_e32 v[12:13], v[12:13], v[56:57]
	v_fma_f64 v[56:57], -v[54:55], v[54:55], v[10:11]
	s_delay_alu instid0(VALU_DEP_1) | instskip(NEXT) | instid1(VALU_DEP_1)
	v_fmac_f64_e32 v[54:55], v[56:57], v[12:13]
	v_dual_cndmask_b32 v11, v55, v11 :: v_dual_cndmask_b32 v10, v54, v10
	s_delay_alu instid0(VALU_DEP_1) | instskip(NEXT) | instid1(VALU_DEP_1)
	v_ldexp_f64 v[10:11], v[10:11], v58
	v_cndmask_b32_e64 v55, v11, 0x7ff00000, s50
	s_delay_alu instid0(VALU_DEP_2) | instskip(NEXT) | instid1(VALU_DEP_1)
	v_cndmask_b32_e64 v54, v10, 0, s50
	v_frexp_mant_f64_e32 v[10:11], v[54:55]
	v_frexp_exp_i32_f64_e32 v67, v[54:55]
	s_delay_alu instid0(VALU_DEP_2) | instskip(SKIP_1) | instid1(VALU_DEP_1)
	v_cmp_gt_f64_e32 vcc_lo, s[16:17], v[10:11]
	v_cndmask_b32_e64 v12, 0, 1, vcc_lo
	v_ldexp_f64 v[10:11], v[10:11], v12
	s_delay_alu instid0(VALU_DEP_1) | instskip(SKIP_1) | instid1(VALU_DEP_2)
	v_add_f64_e32 v[12:13], 1.0, v[10:11]
	v_add_f64_e32 v[60:61], -1.0, v[10:11]
	v_rcp_f64_e32 v[56:57], v[12:13]
	v_add_f64_e32 v[62:63], -1.0, v[12:13]
	s_delay_alu instid0(VALU_DEP_1) | instskip(NEXT) | instid1(TRANS32_DEP_1)
	v_add_f64_e64 v[10:11], v[10:11], -v[62:63]
	v_fma_f64 v[58:59], -v[12:13], v[56:57], 1.0
	s_delay_alu instid0(VALU_DEP_1) | instskip(NEXT) | instid1(VALU_DEP_1)
	v_fmac_f64_e32 v[56:57], v[58:59], v[56:57]
	v_fma_f64 v[58:59], -v[12:13], v[56:57], 1.0
	s_delay_alu instid0(VALU_DEP_1) | instskip(NEXT) | instid1(VALU_DEP_1)
	v_fmac_f64_e32 v[56:57], v[58:59], v[56:57]
	v_mul_f64_e32 v[58:59], v[60:61], v[56:57]
	s_delay_alu instid0(VALU_DEP_1) | instskip(NEXT) | instid1(VALU_DEP_1)
	v_mul_f64_e32 v[68:69], v[12:13], v[58:59]
	v_fma_f64 v[12:13], v[58:59], v[12:13], -v[68:69]
	s_delay_alu instid0(VALU_DEP_1) | instskip(NEXT) | instid1(VALU_DEP_1)
	v_fmac_f64_e32 v[12:13], v[58:59], v[10:11]
	v_add_f64_e32 v[10:11], v[68:69], v[12:13]
	s_delay_alu instid0(VALU_DEP_1) | instskip(SKIP_1) | instid1(VALU_DEP_2)
	v_add_f64_e64 v[62:63], v[60:61], -v[10:11]
	v_add_f64_e64 v[68:69], v[10:11], -v[68:69]
	;; [unrolled: 1-line block ×3, first 2 shown]
	s_delay_alu instid0(VALU_DEP_2) | instskip(NEXT) | instid1(VALU_DEP_2)
	v_add_f64_e64 v[12:13], v[68:69], -v[12:13]
	v_add_f64_e64 v[10:11], v[60:61], -v[10:11]
	s_delay_alu instid0(VALU_DEP_1) | instskip(NEXT) | instid1(VALU_DEP_1)
	v_add_f64_e32 v[10:11], v[12:13], v[10:11]
	v_add_f64_e32 v[10:11], v[62:63], v[10:11]
	s_delay_alu instid0(VALU_DEP_1) | instskip(NEXT) | instid1(VALU_DEP_1)
	v_mul_f64_e32 v[10:11], v[56:57], v[10:11]
	v_add_f64_e32 v[12:13], v[58:59], v[10:11]
	s_delay_alu instid0(VALU_DEP_1) | instskip(NEXT) | instid1(VALU_DEP_1)
	v_mul_f64_e32 v[56:57], v[12:13], v[12:13]
	v_fmamk_f64 v[60:61], v[56:57], 0x3fc3ab76bf559e2b, v[32:33]
	v_mul_f64_e32 v[62:63], v[12:13], v[56:57]
	s_delay_alu instid0(VALU_DEP_2) | instskip(NEXT) | instid1(VALU_DEP_1)
	v_fmaak_f64 v[60:61], v[56:57], v[60:61], 0x3fc7474dd7f4df2e
	v_fmaak_f64 v[52:53], v[56:57], v[60:61], 0x3fcc71c016291751
	v_div_scale_f64 v[60:61], null, v[48:49], v[48:49], v[50:51]
	s_delay_alu instid0(VALU_DEP_2) | instskip(NEXT) | instid1(VALU_DEP_1)
	v_fmaak_f64 v[52:53], v[56:57], v[52:53], 0x3fd249249b27acf1
	v_fmaak_f64 v[52:53], v[56:57], v[52:53], 0x3fd99999998ef7b6
	s_delay_alu instid0(VALU_DEP_1) | instskip(SKIP_2) | instid1(VALU_DEP_3)
	v_fmaak_f64 v[52:53], v[56:57], v[52:53], 0x3fe5555555555780
	v_ldexp_f64 v[56:57], v[12:13], 1
	v_add_f64_e64 v[12:13], v[12:13], -v[58:59]
	v_mul_f64_e32 v[52:53], v[62:63], v[52:53]
	v_subrev_co_ci_u32_e64 v62, null, 0, v67, vcc_lo
	v_rcp_f64_e32 v[68:69], v[60:61]
	s_delay_alu instid0(VALU_DEP_1) | instskip(NEXT) | instid1(VALU_DEP_4)
	v_cvt_f64_i32_e32 v[62:63], v62
	v_add_f64_e64 v[10:11], v[10:11], -v[12:13]
	s_delay_alu instid0(VALU_DEP_4) | instskip(NEXT) | instid1(VALU_DEP_3)
	v_add_f64_e32 v[58:59], v[56:57], v[52:53]
	v_mul_f64_e32 v[70:71], 0x3fe62e42fefa39ef, v[62:63]
	s_delay_alu instid0(VALU_DEP_3) | instskip(NEXT) | instid1(VALU_DEP_3)
	v_ldexp_f64 v[10:11], v[10:11], 1
	v_add_f64_e64 v[12:13], v[58:59], -v[56:57]
	s_delay_alu instid0(TRANS32_DEP_1) | instskip(NEXT) | instid1(VALU_DEP_4)
	v_fma_f64 v[56:57], -v[60:61], v[68:69], 1.0
	v_fma_f64 v[72:73], v[62:63], s[22:23], -v[70:71]
	s_delay_alu instid0(VALU_DEP_3) | instskip(NEXT) | instid1(VALU_DEP_3)
	v_add_f64_e64 v[12:13], v[52:53], -v[12:13]
	v_fmac_f64_e32 v[68:69], v[68:69], v[56:57]
	s_delay_alu instid0(VALU_DEP_3) | instskip(SKIP_1) | instid1(VALU_DEP_4)
	v_fmac_f64_e32 v[72:73], 0x3c7abc9e3b39803f, v[62:63]
	v_div_scale_f64 v[62:63], vcc_lo, v[50:51], v[48:49], v[50:51]
	v_add_f64_e32 v[10:11], v[10:11], v[12:13]
	s_delay_alu instid0(VALU_DEP_4) | instskip(NEXT) | instid1(VALU_DEP_4)
	v_fma_f64 v[12:13], -v[60:61], v[68:69], 1.0
	v_add_f64_e32 v[52:53], v[70:71], v[72:73]
	s_delay_alu instid0(VALU_DEP_3) | instskip(NEXT) | instid1(VALU_DEP_3)
	v_add_f64_e32 v[56:57], v[58:59], v[10:11]
	v_fmac_f64_e32 v[68:69], v[68:69], v[12:13]
	s_delay_alu instid0(VALU_DEP_2) | instskip(NEXT) | instid1(VALU_DEP_2)
	v_add_f64_e32 v[12:13], v[52:53], v[56:57]
	v_mul_f64_e32 v[74:75], v[62:63], v[68:69]
	v_add_f64_e64 v[58:59], v[56:57], -v[58:59]
	s_delay_alu instid0(VALU_DEP_3) | instskip(NEXT) | instid1(VALU_DEP_3)
	v_add_f64_e64 v[76:77], v[12:13], -v[52:53]
	v_fma_f64 v[60:61], -v[60:61], v[74:75], v[62:63]
	v_add_f64_e64 v[62:63], v[52:53], -v[70:71]
	s_delay_alu instid0(VALU_DEP_4) | instskip(NEXT) | instid1(VALU_DEP_4)
	v_add_f64_e64 v[58:59], v[10:11], -v[58:59]
	v_add_f64_e64 v[70:71], v[12:13], -v[76:77]
	s_delay_alu instid0(VALU_DEP_4) | instskip(NEXT) | instid1(VALU_DEP_4)
	v_div_fmas_f64 v[60:61], v[60:61], v[68:69], v[74:75]
	v_add_f64_e64 v[62:63], v[72:73], -v[62:63]
	v_add_f64_e64 v[56:57], v[56:57], -v[76:77]
	v_cmp_class_f64_e64 vcc_lo, v[54:55], 0x204
	v_add_f64_e64 v[52:53], v[52:53], -v[70:71]
	v_div_fixup_f64 v[10:11], v[60:61], v[48:49], v[50:51]
	v_add_f64_e32 v[48:49], v[62:63], v[58:59]
	s_delay_alu instid0(VALU_DEP_3) | instskip(NEXT) | instid1(VALU_DEP_3)
	v_add_f64_e32 v[50:51], v[56:57], v[52:53]
	v_mul_f64_e32 v[52:53], v[10:11], v[10:11]
	s_delay_alu instid0(VALU_DEP_3) | instskip(NEXT) | instid1(VALU_DEP_3)
	v_add_f64_e64 v[56:57], v[48:49], -v[62:63]
	v_add_f64_e32 v[50:51], v[48:49], v[50:51]
	s_delay_alu instid0(VALU_DEP_3) | instskip(NEXT) | instid1(VALU_DEP_3)
	v_fmamk_f64 v[60:61], v[52:53], 0x3eeba404b5e68a13, v[36:37]
	v_add_f64_e64 v[48:49], v[48:49], -v[56:57]
	v_add_f64_e64 v[56:57], v[58:59], -v[56:57]
	s_delay_alu instid0(VALU_DEP_3) | instskip(NEXT) | instid1(VALU_DEP_1)
	v_fmaak_f64 v[60:61], v[52:53], v[60:61], 0x3f4b2bb069efb384
	v_fmaak_f64 v[60:61], v[52:53], v[60:61], 0xbf67952daf56de9b
	s_delay_alu instid0(VALU_DEP_1) | instskip(NEXT) | instid1(VALU_DEP_1)
	v_fmaak_f64 v[60:61], v[52:53], v[60:61], 0x3f7d6d43a595c56f
	v_fmaak_f64 v[60:61], v[52:53], v[60:61], 0xbf8c6ea4a57d9582
	v_add_f64_e32 v[68:69], v[12:13], v[50:51]
	v_add_f64_e64 v[48:49], v[62:63], -v[48:49]
	s_delay_alu instid0(VALU_DEP_3) | instskip(NEXT) | instid1(VALU_DEP_1)
	v_fmaak_f64 v[60:61], v[52:53], v[60:61], 0x3f967e295f08b19f
	v_fmaak_f64 v[60:61], v[52:53], v[60:61], 0xbf9e9ae6fc27006a
	s_delay_alu instid0(VALU_DEP_1) | instskip(NEXT) | instid1(VALU_DEP_1)
	v_fmaak_f64 v[60:61], v[52:53], v[60:61], 0x3fa2c15b5711927a
	v_fmaak_f64 v[58:59], v[52:53], v[60:61], 0xbfa59976e82d3ff0
	s_delay_alu instid0(VALU_DEP_1) | instskip(SKIP_2) | instid1(VALU_DEP_3)
	v_fmaak_f64 v[58:59], v[52:53], v[58:59], 0x3fa82d5d6ef28734
	v_add_f64_e64 v[12:13], v[68:69], -v[12:13]
	v_add_f64_e32 v[48:49], v[56:57], v[48:49]
	v_fmaak_f64 v[58:59], v[52:53], v[58:59], 0xbfaae5ce6a214619
	s_delay_alu instid0(VALU_DEP_1) | instskip(NEXT) | instid1(VALU_DEP_1)
	v_fmaak_f64 v[58:59], v[52:53], v[58:59], 0x3fae1bb48427b883
	v_fmaak_f64 v[58:59], v[52:53], v[58:59], 0xbfb110e48b207f05
	v_add_f64_e64 v[12:13], v[50:51], -v[12:13]
	s_delay_alu instid0(VALU_DEP_2) | instskip(NEXT) | instid1(VALU_DEP_1)
	v_fmaak_f64 v[50:51], v[52:53], v[58:59], 0x3fb3b13657b87036
	v_fmaak_f64 v[50:51], v[52:53], v[50:51], 0xbfb745d119378e4f
	s_delay_alu instid0(VALU_DEP_1) | instskip(NEXT) | instid1(VALU_DEP_1)
	v_fmaak_f64 v[50:51], v[52:53], v[50:51], 0x3fbc71c717e1913c
	v_fmaak_f64 v[50:51], v[52:53], v[50:51], 0xbfc2492492376b7d
	v_add_f64_e32 v[12:13], v[48:49], v[12:13]
	s_delay_alu instid0(VALU_DEP_2) | instskip(NEXT) | instid1(VALU_DEP_1)
	v_fmaak_f64 v[48:49], v[52:53], v[50:51], 0x3fc99999999952cc
	v_fmaak_f64 v[48:49], v[52:53], v[48:49], 0xbfd5555555555523
	s_delay_alu instid0(VALU_DEP_1) | instskip(NEXT) | instid1(VALU_DEP_4)
	v_mul_f64_e32 v[48:49], v[52:53], v[48:49]
	v_add_f64_e32 v[12:13], v[68:69], v[12:13]
	s_delay_alu instid0(VALU_DEP_2) | instskip(NEXT) | instid1(VALU_DEP_2)
	v_fmac_f64_e32 v[10:11], v[10:11], v[48:49]
	v_dual_cndmask_b32 v12, v12, v54 :: v_dual_cndmask_b32 v13, v13, v55
	v_cmp_ngt_f64_e32 vcc_lo, 0, v[54:55]
	s_delay_alu instid0(VALU_DEP_2) | instskip(SKIP_1) | instid1(VALU_DEP_4)
	v_cndmask_b32_e32 v13, 0x7ff80000, v13, vcc_lo
	v_cmp_nge_f64_e32 vcc_lo, 0, v[54:55]
	v_cndmask_b32_e32 v12, 0, v12, vcc_lo
	v_cmp_neq_f64_e32 vcc_lo, 0, v[54:55]
	s_delay_alu instid0(VALU_DEP_4)
	v_cndmask_b32_e32 v13, 0xfff00000, v13, vcc_lo
.LBB42_819:                             ;   in Loop: Header=BB42_417 Depth=1
	s_or_b32 exec_lo, exec_lo, s6
                                        ; implicit-def: $vgpr50_vgpr51
                                        ; implicit-def: $vgpr52_vgpr53
                                        ; implicit-def: $vgpr48_vgpr49
.LBB42_820:                             ;   in Loop: Header=BB42_417 Depth=1
	s_and_not1_saveexec_b32 s47, s47
	s_cbranch_execz .LBB42_822
; %bb.821:                              ;   in Loop: Header=BB42_417 Depth=1
	s_wait_dscnt 0x0
	v_div_scale_f64 v[10:11], null, s[40:41], s[40:41], v[2:3]
	v_div_scale_f64 v[12:13], null, s[40:41], s[40:41], v[4:5]
	v_div_scale_f64 v[62:63], vcc_lo, v[2:3], s[40:41], v[2:3]
	v_min_num_f64_e32 v[50:51], v[50:51], v[52:53]
	s_and_not1_b32 s46, s46, exec_lo
	s_delay_alu instid0(VALU_DEP_4) | instskip(NEXT) | instid1(VALU_DEP_3)
	v_rcp_f64_e32 v[54:55], v[10:11]
	v_rcp_f64_e32 v[56:57], v[12:13]
	s_delay_alu instid0(TRANS32_DEP_2) | instskip(NEXT) | instid1(TRANS32_DEP_1)
	v_fma_f64 v[58:59], -v[10:11], v[54:55], 1.0
	v_fma_f64 v[60:61], -v[12:13], v[56:57], 1.0
	s_delay_alu instid0(VALU_DEP_2) | instskip(NEXT) | instid1(VALU_DEP_2)
	v_fmac_f64_e32 v[54:55], v[54:55], v[58:59]
	v_fmac_f64_e32 v[56:57], v[56:57], v[60:61]
	s_delay_alu instid0(VALU_DEP_2) | instskip(NEXT) | instid1(VALU_DEP_2)
	v_fma_f64 v[58:59], -v[10:11], v[54:55], 1.0
	v_fma_f64 v[60:61], -v[12:13], v[56:57], 1.0
	s_delay_alu instid0(VALU_DEP_2) | instskip(SKIP_1) | instid1(VALU_DEP_3)
	v_fmac_f64_e32 v[54:55], v[54:55], v[58:59]
	v_div_scale_f64 v[58:59], s6, v[4:5], s[40:41], v[4:5]
	v_fmac_f64_e32 v[56:57], v[56:57], v[60:61]
	s_delay_alu instid0(VALU_DEP_3) | instskip(NEXT) | instid1(VALU_DEP_2)
	v_mul_f64_e32 v[60:61], v[62:63], v[54:55]
	v_mul_f64_e32 v[68:69], v[58:59], v[56:57]
	s_delay_alu instid0(VALU_DEP_2) | instskip(NEXT) | instid1(VALU_DEP_2)
	v_fma_f64 v[10:11], -v[10:11], v[60:61], v[62:63]
	v_fma_f64 v[12:13], -v[12:13], v[68:69], v[58:59]
	s_delay_alu instid0(VALU_DEP_2) | instskip(SKIP_1) | instid1(VALU_DEP_2)
	v_div_fmas_f64 v[10:11], v[10:11], v[54:55], v[60:61]
	s_mov_b32 vcc_lo, s6
	v_div_fmas_f64 v[12:13], v[12:13], v[56:57], v[68:69]
	s_delay_alu instid0(VALU_DEP_2) | instskip(NEXT) | instid1(VALU_DEP_2)
	v_div_fixup_f64 v[10:11], v[10:11], s[40:41], v[2:3]
	v_div_fixup_f64 v[12:13], v[12:13], s[40:41], v[4:5]
	s_delay_alu instid0(VALU_DEP_2) | instskip(NEXT) | instid1(VALU_DEP_2)
	v_cmp_class_f64_e64 s6, v[10:11], 0x204
	v_max_num_f64_e64 v[54:55], |v[10:11]|, |v[12:13]|
	v_cmp_class_f64_e64 s48, v[12:13], 0x204
	s_delay_alu instid0(VALU_DEP_2) | instskip(SKIP_2) | instid1(VALU_DEP_2)
	v_frexp_exp_i32_f64_e32 v62, v[54:55]
	s_or_b32 s6, s48, s6
	v_cmp_class_f64_e64 s48, v[2:3], 0x204
	v_sub_nc_u32_e32 v56, 0, v62
	s_delay_alu instid0(VALU_DEP_1) | instskip(SKIP_1) | instid1(VALU_DEP_2)
	v_ldexp_f64 v[54:55], |v[12:13]|, v56
	v_ldexp_f64 v[56:57], |v[10:11]|, v56
	v_mul_f64_e32 v[54:55], v[54:55], v[54:55]
	s_delay_alu instid0(VALU_DEP_1) | instskip(NEXT) | instid1(VALU_DEP_1)
	v_fmac_f64_e32 v[54:55], v[56:57], v[56:57]
	v_rsq_f64_e32 v[56:57], v[54:55]
	v_cmp_eq_f64_e32 vcc_lo, 0, v[54:55]
	s_delay_alu instid0(TRANS32_DEP_1) | instskip(SKIP_1) | instid1(VALU_DEP_1)
	v_mul_f64_e32 v[58:59], v[54:55], v[56:57]
	v_mul_f64_e32 v[56:57], 0.5, v[56:57]
	v_fma_f64 v[60:61], -v[56:57], v[58:59], 0.5
	s_delay_alu instid0(VALU_DEP_1) | instskip(SKIP_1) | instid1(VALU_DEP_2)
	v_fmac_f64_e32 v[58:59], v[58:59], v[60:61]
	v_fmac_f64_e32 v[56:57], v[56:57], v[60:61]
	v_fma_f64 v[60:61], -v[58:59], v[58:59], v[54:55]
	s_delay_alu instid0(VALU_DEP_1) | instskip(NEXT) | instid1(VALU_DEP_1)
	v_fmac_f64_e32 v[58:59], v[60:61], v[56:57]
	v_dual_cndmask_b32 v55, v59, v55 :: v_dual_cndmask_b32 v54, v58, v54
	s_delay_alu instid0(VALU_DEP_1) | instskip(NEXT) | instid1(VALU_DEP_1)
	v_ldexp_f64 v[10:11], v[54:55], v62
	v_cndmask_b32_e64 v55, v11, 0x7ff00000, s6
	s_delay_alu instid0(VALU_DEP_2) | instskip(SKIP_1) | instid1(VALU_DEP_2)
	v_cndmask_b32_e64 v54, v10, 0, s6
	v_cmp_class_f64_e64 s6, v[4:5], 0x204
	v_frexp_mant_f64_e32 v[10:11], v[54:55]
	v_frexp_exp_i32_f64_e32 v67, v[54:55]
	s_and_b32 s6, s6, s48
	s_delay_alu instid0(SALU_CYCLE_1) | instskip(NEXT) | instid1(VALU_DEP_2)
	s_and_b32 s6, s6, exec_lo
	v_cmp_gt_f64_e32 vcc_lo, s[16:17], v[10:11]
	s_or_b32 s46, s46, s6
	v_cndmask_b32_e64 v12, 0, 1, vcc_lo
	s_delay_alu instid0(VALU_DEP_3) | instskip(SKIP_1) | instid1(VALU_DEP_3)
	v_subrev_co_ci_u32_e64 v52, null, 0, v67, vcc_lo
	v_div_scale_f64 v[74:75], vcc_lo, v[50:51], v[48:49], v[50:51]
	v_ldexp_f64 v[10:11], v[10:11], v12
	s_delay_alu instid0(VALU_DEP_3) | instskip(NEXT) | instid1(VALU_DEP_2)
	v_cvt_f64_i32_e32 v[52:53], v52
	v_add_f64_e32 v[12:13], 1.0, v[10:11]
	v_add_f64_e32 v[60:61], -1.0, v[10:11]
	s_delay_alu instid0(VALU_DEP_2) | instskip(SKIP_1) | instid1(VALU_DEP_1)
	v_rcp_f64_e32 v[56:57], v[12:13]
	v_add_f64_e32 v[62:63], -1.0, v[12:13]
	v_add_f64_e64 v[10:11], v[10:11], -v[62:63]
	s_delay_alu instid0(TRANS32_DEP_1) | instskip(NEXT) | instid1(VALU_DEP_1)
	v_fma_f64 v[58:59], -v[12:13], v[56:57], 1.0
	v_fmac_f64_e32 v[56:57], v[58:59], v[56:57]
	s_delay_alu instid0(VALU_DEP_1) | instskip(NEXT) | instid1(VALU_DEP_1)
	v_fma_f64 v[58:59], -v[12:13], v[56:57], 1.0
	v_fmac_f64_e32 v[56:57], v[58:59], v[56:57]
	s_delay_alu instid0(VALU_DEP_1) | instskip(NEXT) | instid1(VALU_DEP_1)
	v_mul_f64_e32 v[58:59], v[60:61], v[56:57]
	v_mul_f64_e32 v[68:69], v[12:13], v[58:59]
	s_delay_alu instid0(VALU_DEP_1) | instskip(NEXT) | instid1(VALU_DEP_1)
	v_fma_f64 v[12:13], v[58:59], v[12:13], -v[68:69]
	v_fmac_f64_e32 v[12:13], v[58:59], v[10:11]
	s_delay_alu instid0(VALU_DEP_1) | instskip(NEXT) | instid1(VALU_DEP_1)
	v_add_f64_e32 v[10:11], v[68:69], v[12:13]
	v_add_f64_e64 v[62:63], v[60:61], -v[10:11]
	v_add_f64_e64 v[68:69], v[10:11], -v[68:69]
	s_delay_alu instid0(VALU_DEP_2) | instskip(NEXT) | instid1(VALU_DEP_2)
	v_add_f64_e64 v[60:61], v[60:61], -v[62:63]
	v_add_f64_e64 v[12:13], v[68:69], -v[12:13]
	v_mul_f64_e32 v[68:69], 0x3fe62e42fefa39ef, v[52:53]
	s_delay_alu instid0(VALU_DEP_3) | instskip(NEXT) | instid1(VALU_DEP_2)
	v_add_f64_e64 v[10:11], v[60:61], -v[10:11]
	v_fma_f64 v[70:71], v[52:53], s[22:23], -v[68:69]
	s_delay_alu instid0(VALU_DEP_2) | instskip(NEXT) | instid1(VALU_DEP_2)
	v_add_f64_e32 v[10:11], v[12:13], v[10:11]
	v_fmac_f64_e32 v[70:71], 0x3c7abc9e3b39803f, v[52:53]
	s_delay_alu instid0(VALU_DEP_2) | instskip(NEXT) | instid1(VALU_DEP_1)
	v_add_f64_e32 v[10:11], v[62:63], v[10:11]
	v_mul_f64_e32 v[10:11], v[56:57], v[10:11]
	s_delay_alu instid0(VALU_DEP_1) | instskip(NEXT) | instid1(VALU_DEP_1)
	v_add_f64_e32 v[12:13], v[58:59], v[10:11]
	v_mul_f64_e32 v[56:57], v[12:13], v[12:13]
	s_delay_alu instid0(VALU_DEP_1) | instskip(SKIP_1) | instid1(VALU_DEP_2)
	v_fmamk_f64 v[60:61], v[56:57], 0x3fc3ab76bf559e2b, v[32:33]
	v_mul_f64_e32 v[62:63], v[12:13], v[56:57]
	v_fmaak_f64 v[60:61], v[56:57], v[60:61], 0x3fc7474dd7f4df2e
	s_delay_alu instid0(VALU_DEP_1) | instskip(NEXT) | instid1(VALU_DEP_1)
	v_fmaak_f64 v[60:61], v[56:57], v[60:61], 0x3fcc71c016291751
	v_fmaak_f64 v[60:61], v[56:57], v[60:61], 0x3fd249249b27acf1
	s_delay_alu instid0(VALU_DEP_1) | instskip(NEXT) | instid1(VALU_DEP_1)
	v_fmaak_f64 v[60:61], v[56:57], v[60:61], 0x3fd99999998ef7b6
	v_fmaak_f64 v[56:57], v[56:57], v[60:61], 0x3fe5555555555780
	v_ldexp_f64 v[60:61], v[12:13], 1
	v_add_f64_e64 v[12:13], v[12:13], -v[58:59]
	s_delay_alu instid0(VALU_DEP_3) | instskip(SKIP_1) | instid1(VALU_DEP_3)
	v_mul_f64_e32 v[56:57], v[62:63], v[56:57]
	v_div_scale_f64 v[62:63], null, v[48:49], v[48:49], v[50:51]
	v_add_f64_e64 v[10:11], v[10:11], -v[12:13]
	s_delay_alu instid0(VALU_DEP_3) | instskip(NEXT) | instid1(VALU_DEP_2)
	v_add_f64_e32 v[58:59], v[60:61], v[56:57]
	v_ldexp_f64 v[10:11], v[10:11], 1
	s_delay_alu instid0(VALU_DEP_2) | instskip(SKIP_1) | instid1(VALU_DEP_1)
	v_add_f64_e64 v[12:13], v[58:59], -v[60:61]
	v_rcp_f64_e32 v[60:61], v[62:63]
	v_add_f64_e64 v[12:13], v[56:57], -v[12:13]
	s_delay_alu instid0(TRANS32_DEP_1) | instskip(NEXT) | instid1(VALU_DEP_2)
	v_fma_f64 v[56:57], -v[62:63], v[60:61], 1.0
	v_add_f64_e32 v[10:11], v[10:11], v[12:13]
	v_add_f64_e32 v[12:13], v[68:69], v[70:71]
	s_delay_alu instid0(VALU_DEP_3) | instskip(NEXT) | instid1(VALU_DEP_3)
	v_fmac_f64_e32 v[60:61], v[60:61], v[56:57]
	v_add_f64_e32 v[52:53], v[58:59], v[10:11]
	s_delay_alu instid0(VALU_DEP_3) | instskip(NEXT) | instid1(VALU_DEP_3)
	v_add_f64_e64 v[68:69], v[12:13], -v[68:69]
	v_fma_f64 v[56:57], -v[62:63], v[60:61], 1.0
	s_delay_alu instid0(VALU_DEP_3) | instskip(SKIP_1) | instid1(VALU_DEP_4)
	v_add_f64_e32 v[72:73], v[12:13], v[52:53]
	v_add_f64_e64 v[58:59], v[52:53], -v[58:59]
	v_add_f64_e64 v[68:69], v[70:71], -v[68:69]
	s_delay_alu instid0(VALU_DEP_4) | instskip(NEXT) | instid1(VALU_DEP_4)
	v_fmac_f64_e32 v[60:61], v[60:61], v[56:57]
	v_add_f64_e64 v[56:57], v[72:73], -v[12:13]
	s_delay_alu instid0(VALU_DEP_4) | instskip(NEXT) | instid1(VALU_DEP_3)
	v_add_f64_e64 v[58:59], v[10:11], -v[58:59]
	v_mul_f64_e32 v[76:77], v[74:75], v[60:61]
	s_delay_alu instid0(VALU_DEP_3) | instskip(SKIP_1) | instid1(VALU_DEP_4)
	v_add_f64_e64 v[78:79], v[72:73], -v[56:57]
	v_add_f64_e64 v[10:11], v[52:53], -v[56:57]
	v_add_f64_e32 v[56:57], v[68:69], v[58:59]
	s_delay_alu instid0(VALU_DEP_4) | instskip(NEXT) | instid1(VALU_DEP_4)
	v_fma_f64 v[62:63], -v[62:63], v[76:77], v[74:75]
	v_add_f64_e64 v[12:13], v[12:13], -v[78:79]
	s_delay_alu instid0(VALU_DEP_2) | instskip(SKIP_1) | instid1(VALU_DEP_3)
	v_div_fmas_f64 v[52:53], v[62:63], v[60:61], v[76:77]
	v_cmp_class_f64_e64 vcc_lo, v[54:55], 0x204
	v_add_f64_e32 v[12:13], v[10:11], v[12:13]
	s_delay_alu instid0(VALU_DEP_3) | instskip(SKIP_1) | instid1(VALU_DEP_3)
	v_div_fixup_f64 v[10:11], v[52:53], v[48:49], v[50:51]
	v_add_f64_e64 v[48:49], v[56:57], -v[68:69]
	v_add_f64_e32 v[12:13], v[56:57], v[12:13]
	s_delay_alu instid0(VALU_DEP_3) | instskip(NEXT) | instid1(VALU_DEP_3)
	v_mul_f64_e32 v[50:51], v[10:11], v[10:11]
	v_add_f64_e64 v[52:53], v[56:57], -v[48:49]
	v_add_f64_e64 v[48:49], v[58:59], -v[48:49]
	s_delay_alu instid0(VALU_DEP_4) | instskip(NEXT) | instid1(VALU_DEP_4)
	v_add_f64_e32 v[56:57], v[72:73], v[12:13]
	v_fmamk_f64 v[60:61], v[50:51], 0x3eeba404b5e68a13, v[36:37]
	s_delay_alu instid0(VALU_DEP_4) | instskip(NEXT) | instid1(VALU_DEP_2)
	v_add_f64_e64 v[52:53], v[68:69], -v[52:53]
	v_fmaak_f64 v[60:61], v[50:51], v[60:61], 0x3f4b2bb069efb384
	s_delay_alu instid0(VALU_DEP_1) | instskip(NEXT) | instid1(VALU_DEP_1)
	v_fmaak_f64 v[60:61], v[50:51], v[60:61], 0xbf67952daf56de9b
	v_fmaak_f64 v[60:61], v[50:51], v[60:61], 0x3f7d6d43a595c56f
	v_add_f64_e64 v[58:59], v[56:57], -v[72:73]
	s_delay_alu instid0(VALU_DEP_2) | instskip(SKIP_1) | instid1(VALU_DEP_2)
	v_fmaak_f64 v[60:61], v[50:51], v[60:61], 0xbf8c6ea4a57d9582
	v_add_f64_e32 v[48:49], v[48:49], v[52:53]
	v_fmaak_f64 v[60:61], v[50:51], v[60:61], 0x3f967e295f08b19f
	s_delay_alu instid0(VALU_DEP_1) | instskip(NEXT) | instid1(VALU_DEP_1)
	v_fmaak_f64 v[60:61], v[50:51], v[60:61], 0xbf9e9ae6fc27006a
	v_fmaak_f64 v[60:61], v[50:51], v[60:61], 0x3fa2c15b5711927a
	s_delay_alu instid0(VALU_DEP_1) | instskip(SKIP_1) | instid1(VALU_DEP_2)
	v_fmaak_f64 v[52:53], v[50:51], v[60:61], 0xbfa59976e82d3ff0
	v_add_f64_e64 v[12:13], v[12:13], -v[58:59]
	v_fmaak_f64 v[52:53], v[50:51], v[52:53], 0x3fa82d5d6ef28734
	s_delay_alu instid0(VALU_DEP_1) | instskip(NEXT) | instid1(VALU_DEP_1)
	v_fmaak_f64 v[52:53], v[50:51], v[52:53], 0xbfaae5ce6a214619
	v_fmaak_f64 v[52:53], v[50:51], v[52:53], 0x3fae1bb48427b883
	s_delay_alu instid0(VALU_DEP_1) | instskip(SKIP_1) | instid1(VALU_DEP_2)
	v_fmaak_f64 v[52:53], v[50:51], v[52:53], 0xbfb110e48b207f05
	v_add_f64_e32 v[12:13], v[48:49], v[12:13]
	v_fmaak_f64 v[48:49], v[50:51], v[52:53], 0x3fb3b13657b87036
	s_delay_alu instid0(VALU_DEP_1) | instskip(NEXT) | instid1(VALU_DEP_1)
	v_fmaak_f64 v[48:49], v[50:51], v[48:49], 0xbfb745d119378e4f
	v_fmaak_f64 v[48:49], v[50:51], v[48:49], 0x3fbc71c717e1913c
	s_delay_alu instid0(VALU_DEP_1) | instskip(NEXT) | instid1(VALU_DEP_1)
	v_fmaak_f64 v[48:49], v[50:51], v[48:49], 0xbfc2492492376b7d
	v_fmaak_f64 v[48:49], v[50:51], v[48:49], 0x3fc99999999952cc
	v_add_f64_e32 v[12:13], v[56:57], v[12:13]
	s_delay_alu instid0(VALU_DEP_2) | instskip(NEXT) | instid1(VALU_DEP_1)
	v_fmaak_f64 v[48:49], v[50:51], v[48:49], 0xbfd5555555555523
	v_dual_mul_f64 v[48:49], v[50:51], v[48:49] :: v_dual_cndmask_b32 v13, v13, v55, vcc_lo
	s_delay_alu instid0(VALU_DEP_3) | instskip(SKIP_1) | instid1(VALU_DEP_2)
	v_cndmask_b32_e32 v12, v12, v54, vcc_lo
	v_cmp_ngt_f64_e32 vcc_lo, 0, v[54:55]
	v_add_f64_e32 v[12:13], 1.0, v[12:13]
	s_delay_alu instid0(VALU_DEP_4) | instskip(NEXT) | instid1(VALU_DEP_2)
	v_fmac_f64_e32 v[10:11], v[10:11], v[48:49]
	v_cndmask_b32_e32 v2, 0x7ff80000, v13, vcc_lo
	v_cmp_nge_f64_e32 vcc_lo, 0, v[54:55]
	s_delay_alu instid0(VALU_DEP_4) | instskip(SKIP_1) | instid1(VALU_DEP_4)
	v_cndmask_b32_e32 v12, 0, v12, vcc_lo
	v_cmp_neq_f64_e32 vcc_lo, 0, v[54:55]
	v_cndmask_b32_e32 v13, 0xfff00000, v2, vcc_lo
.LBB42_822:                             ;   in Loop: Header=BB42_417 Depth=1
	s_or_b32 exec_lo, exec_lo, s47
	s_wait_dscnt 0x0
	s_delay_alu instid0(VALU_DEP_3) | instskip(NEXT) | instid1(VALU_DEP_2)
	v_add_f64_e64 v[48:49], -v[10:11], s[34:35]
	v_add_f64_e32 v[12:13], 0x3fe62e42fefa39ef, v[12:13]
	v_cmp_gt_i32_e32 vcc_lo, 0, v3
	v_dual_cndmask_b32 v3, 0x54442d18, v65 :: v_dual_ashrrev_i32 v2, 31, v3
	s_delay_alu instid0(VALU_DEP_1) | instskip(SKIP_4) | instid1(VALU_DEP_3)
	v_and_b32_e32 v50, 0x54442d18, v2
	v_and_b32_e32 v2, 0x400921fb, v2
	v_dual_cndmask_b32 v11, v11, v49, s5 :: v_dual_cndmask_b32 v10, v10, v48, s5
	v_cmp_eq_f64_e64 s5, 0, v[4:5]
	v_cndmask_b32_e32 v4, 0x3fe921fb, v66, vcc_lo
	v_add_f64_e64 v[48:49], -v[10:11], s[36:37]
	s_delay_alu instid0(VALU_DEP_2) | instskip(NEXT) | instid1(VALU_DEP_2)
	v_bfi_b32 v4, 0x7fffffff, v4, v5
	v_dual_cndmask_b32 v10, v10, v48 :: v_dual_cndmask_b32 v11, v11, v49
	s_delay_alu instid0(VALU_DEP_1) | instskip(NEXT) | instid1(VALU_DEP_1)
	v_cndmask_b32_e64 v2, v11, v2, s5
	v_cndmask_b32_e64 v2, v2, v4, s46
	v_xor_b32_e32 v4, 0x80000000, v13
	s_delay_alu instid0(VALU_DEP_4) | instskip(NEXT) | instid1(VALU_DEP_3)
	v_cndmask_b32_e64 v5, v10, v50, s5
	v_and_b32_e32 v11, 0x7fffffff, v2
	s_delay_alu instid0(VALU_DEP_2)
	v_dual_cndmask_b32 v13, v4, v13, s4 :: v_dual_cndmask_b32 v10, v5, v3, s46
.LBB42_823:                             ;   in Loop: Header=BB42_417 Depth=1
	s_or_b32 exec_lo, exec_lo, s33
                                        ; implicit-def: $vgpr4_vgpr5
	s_and_not1_saveexec_b32 s4, s7
	s_cbranch_execz .LBB42_733
.LBB42_824:                             ;   in Loop: Header=BB42_417 Depth=1
	v_cmp_neq_f64_e64 s5, 0x7ff00000, |v[2:3]|
                                        ; implicit-def: $vgpr12_vgpr13
	s_and_saveexec_b32 s6, s5
	s_delay_alu instid0(SALU_CYCLE_1)
	s_xor_b32 s5, exec_lo, s6
	s_cbranch_execz .LBB42_834
; %bb.825:                              ;   in Loop: Header=BB42_417 Depth=1
	v_cmp_neq_f64_e64 s6, 0x7ff00000, |v[4:5]|
	s_wait_dscnt 0x0
	v_xor_b32_e32 v13, 0x80000000, v5
	v_mov_b32_e32 v12, v4
	s_and_saveexec_b32 s7, s6
	s_delay_alu instid0(SALU_CYCLE_1)
	s_xor_b32 s6, exec_lo, s7
	s_cbranch_execz .LBB42_831
; %bb.826:                              ;   in Loop: Header=BB42_417 Depth=1
	s_mov_b32 s7, exec_lo
                                        ; implicit-def: $vgpr12_vgpr13
	v_cmpx_neq_f64_e32 0, v[2:3]
	s_xor_b32 s7, exec_lo, s7
	s_cbranch_execz .LBB42_828
; %bb.827:                              ;   in Loop: Header=BB42_417 Depth=1
	v_add_f64_e32 v[4:5], 0, v[4:5]
	s_delay_alu instid0(VALU_DEP_1)
	v_add_f64_e32 v[12:13], v[2:3], v[4:5]
                                        ; implicit-def: $vgpr4_vgpr5
.LBB42_828:                             ;   in Loop: Header=BB42_417 Depth=1
	s_or_saveexec_b32 s7, s7
	s_delay_alu instid0(VALU_DEP_1)
	v_mov_b64_e32 v[10:11], v[12:13]
	s_xor_b32 exec_lo, exec_lo, s7
	s_cbranch_execz .LBB42_830
; %bb.829:                              ;   in Loop: Header=BB42_417 Depth=1
	flat_load_b64 v[2:3], v[24:25] scope:SCOPE_SYS
	s_wait_loadcnt 0x0
	v_add_f64_e32 v[12:13], v[4:5], v[4:5]
	s_wait_dscnt 0x0
	v_add_f64_e32 v[10:11], 0x3ff921fb54442d18, v[2:3]
.LBB42_830:                             ;   in Loop: Header=BB42_417 Depth=1
	s_wait_xcnt 0x0
	s_or_b32 exec_lo, exec_lo, s7
                                        ; implicit-def: $vgpr2_vgpr3
.LBB42_831:                             ;   in Loop: Header=BB42_417 Depth=1
	s_and_not1_saveexec_b32 s6, s6
; %bb.832:                              ;   in Loop: Header=BB42_417 Depth=1
	v_add_f64_e32 v[10:11], v[2:3], v[2:3]
; %bb.833:                              ;   in Loop: Header=BB42_417 Depth=1
	s_or_b32 exec_lo, exec_lo, s6
                                        ; implicit-def: $vgpr4_vgpr5
.LBB42_834:                             ;   in Loop: Header=BB42_417 Depth=1
	s_and_not1_saveexec_b32 s5, s5
	s_cbranch_execz .LBB42_836
; %bb.835:                              ;   in Loop: Header=BB42_417 Depth=1
	s_wait_dscnt 0x0
	v_add_f64_e32 v[10:11], v[4:5], v[4:5]
	v_mov_b64_e32 v[12:13], 0xfff0000000000000
.LBB42_836:                             ;   in Loop: Header=BB42_417 Depth=1
	s_or_b32 exec_lo, exec_lo, s5
	s_delay_alu instid0(SALU_CYCLE_1) | instskip(SKIP_1) | instid1(SALU_CYCLE_1)
	s_or_b32 exec_lo, exec_lo, s4
	s_and_saveexec_b32 s4, s0
	s_xor_b32 s0, exec_lo, s4
	s_cbranch_execz .LBB42_734
.LBB42_837:                             ;   in Loop: Header=BB42_417 Depth=1
	v_lshl_add_u64 v[2:3], v[40:41], 4, s[10:11]
	s_wait_dscnt 0x3
	global_store_b128 v[2:3], v[6:9], off
	s_wait_xcnt 0x0
	s_or_b32 exec_lo, exec_lo, s0
	s_and_saveexec_b32 s0, s1
	s_cbranch_execz .LBB42_735
.LBB42_838:                             ;   in Loop: Header=BB42_417 Depth=1
	v_lshl_add_u64 v[2:3], v[42:43], 4, s[10:11]
	s_wait_dscnt 0x2
	global_store_b128 v[2:3], v[14:17], off
	s_wait_xcnt 0x0
	s_or_b32 exec_lo, exec_lo, s0
	s_and_saveexec_b32 s0, s2
	s_cbranch_execz .LBB42_736
.LBB42_839:                             ;   in Loop: Header=BB42_417 Depth=1
	v_lshl_add_u64 v[2:3], v[44:45], 4, s[10:11]
	s_wait_dscnt 0x1
	global_store_b128 v[2:3], v[18:21], off
	s_wait_xcnt 0x0
	s_or_b32 exec_lo, exec_lo, s0
	s_and_saveexec_b32 s0, s3
	s_cbranch_execz .LBB42_416
.LBB42_840:                             ;   in Loop: Header=BB42_417 Depth=1
	v_lshl_add_u64 v[2:3], v[46:47], 4, s[10:11]
	s_wait_dscnt 0x0
	global_store_b128 v[2:3], v[10:13], off
	s_branch .LBB42_416
.LBB42_841:
	s_sendmsg sendmsg(MSG_DEALLOC_VGPRS)
	s_endpgm
	.section	.rodata,"a",@progbits
	.p2align	6, 0x0
	.amdhsa_kernel _ZN2at6native12_GLOBAL__N_125multi_tensor_apply_kernelINS1_18TensorListMetadataILi2EEENS1_14UnaryOpFunctorIN3c107complexIdEELi2ELi1ELi1EEEJNS0_4AcosIS8_EEEEEvT_T0_DpT1_
		.amdhsa_group_segment_fixed_size 0
		.amdhsa_private_segment_fixed_size 24
		.amdhsa_kernarg_size 3408
		.amdhsa_user_sgpr_count 2
		.amdhsa_user_sgpr_dispatch_ptr 0
		.amdhsa_user_sgpr_queue_ptr 0
		.amdhsa_user_sgpr_kernarg_segment_ptr 1
		.amdhsa_user_sgpr_dispatch_id 0
		.amdhsa_user_sgpr_kernarg_preload_length 0
		.amdhsa_user_sgpr_kernarg_preload_offset 0
		.amdhsa_user_sgpr_private_segment_size 0
		.amdhsa_wavefront_size32 1
		.amdhsa_uses_dynamic_stack 0
		.amdhsa_enable_private_segment 1
		.amdhsa_system_sgpr_workgroup_id_x 1
		.amdhsa_system_sgpr_workgroup_id_y 0
		.amdhsa_system_sgpr_workgroup_id_z 0
		.amdhsa_system_sgpr_workgroup_info 0
		.amdhsa_system_vgpr_workitem_id 0
		.amdhsa_next_free_vgpr 84
		.amdhsa_next_free_sgpr 52
		.amdhsa_named_barrier_count 0
		.amdhsa_reserve_vcc 1
		.amdhsa_float_round_mode_32 0
		.amdhsa_float_round_mode_16_64 0
		.amdhsa_float_denorm_mode_32 3
		.amdhsa_float_denorm_mode_16_64 3
		.amdhsa_fp16_overflow 0
		.amdhsa_memory_ordered 1
		.amdhsa_forward_progress 1
		.amdhsa_inst_pref_size 255
		.amdhsa_round_robin_scheduling 0
		.amdhsa_exception_fp_ieee_invalid_op 0
		.amdhsa_exception_fp_denorm_src 0
		.amdhsa_exception_fp_ieee_div_zero 0
		.amdhsa_exception_fp_ieee_overflow 0
		.amdhsa_exception_fp_ieee_underflow 0
		.amdhsa_exception_fp_ieee_inexact 0
		.amdhsa_exception_int_div_zero 0
	.end_amdhsa_kernel
	.section	.text._ZN2at6native12_GLOBAL__N_125multi_tensor_apply_kernelINS1_18TensorListMetadataILi2EEENS1_14UnaryOpFunctorIN3c107complexIdEELi2ELi1ELi1EEEJNS0_4AcosIS8_EEEEEvT_T0_DpT1_,"axG",@progbits,_ZN2at6native12_GLOBAL__N_125multi_tensor_apply_kernelINS1_18TensorListMetadataILi2EEENS1_14UnaryOpFunctorIN3c107complexIdEELi2ELi1ELi1EEEJNS0_4AcosIS8_EEEEEvT_T0_DpT1_,comdat
.Lfunc_end42:
	.size	_ZN2at6native12_GLOBAL__N_125multi_tensor_apply_kernelINS1_18TensorListMetadataILi2EEENS1_14UnaryOpFunctorIN3c107complexIdEELi2ELi1ELi1EEEJNS0_4AcosIS8_EEEEEvT_T0_DpT1_, .Lfunc_end42-_ZN2at6native12_GLOBAL__N_125multi_tensor_apply_kernelINS1_18TensorListMetadataILi2EEENS1_14UnaryOpFunctorIN3c107complexIdEELi2ELi1ELi1EEEJNS0_4AcosIS8_EEEEEvT_T0_DpT1_
                                        ; -- End function
	.set _ZN2at6native12_GLOBAL__N_125multi_tensor_apply_kernelINS1_18TensorListMetadataILi2EEENS1_14UnaryOpFunctorIN3c107complexIdEELi2ELi1ELi1EEEJNS0_4AcosIS8_EEEEEvT_T0_DpT1_.num_vgpr, 84
	.set _ZN2at6native12_GLOBAL__N_125multi_tensor_apply_kernelINS1_18TensorListMetadataILi2EEENS1_14UnaryOpFunctorIN3c107complexIdEELi2ELi1ELi1EEEJNS0_4AcosIS8_EEEEEvT_T0_DpT1_.num_agpr, 0
	.set _ZN2at6native12_GLOBAL__N_125multi_tensor_apply_kernelINS1_18TensorListMetadataILi2EEENS1_14UnaryOpFunctorIN3c107complexIdEELi2ELi1ELi1EEEJNS0_4AcosIS8_EEEEEvT_T0_DpT1_.numbered_sgpr, 52
	.set _ZN2at6native12_GLOBAL__N_125multi_tensor_apply_kernelINS1_18TensorListMetadataILi2EEENS1_14UnaryOpFunctorIN3c107complexIdEELi2ELi1ELi1EEEJNS0_4AcosIS8_EEEEEvT_T0_DpT1_.num_named_barrier, 0
	.set _ZN2at6native12_GLOBAL__N_125multi_tensor_apply_kernelINS1_18TensorListMetadataILi2EEENS1_14UnaryOpFunctorIN3c107complexIdEELi2ELi1ELi1EEEJNS0_4AcosIS8_EEEEEvT_T0_DpT1_.private_seg_size, 24
	.set _ZN2at6native12_GLOBAL__N_125multi_tensor_apply_kernelINS1_18TensorListMetadataILi2EEENS1_14UnaryOpFunctorIN3c107complexIdEELi2ELi1ELi1EEEJNS0_4AcosIS8_EEEEEvT_T0_DpT1_.uses_vcc, 1
	.set _ZN2at6native12_GLOBAL__N_125multi_tensor_apply_kernelINS1_18TensorListMetadataILi2EEENS1_14UnaryOpFunctorIN3c107complexIdEELi2ELi1ELi1EEEJNS0_4AcosIS8_EEEEEvT_T0_DpT1_.uses_flat_scratch, 0
	.set _ZN2at6native12_GLOBAL__N_125multi_tensor_apply_kernelINS1_18TensorListMetadataILi2EEENS1_14UnaryOpFunctorIN3c107complexIdEELi2ELi1ELi1EEEJNS0_4AcosIS8_EEEEEvT_T0_DpT1_.has_dyn_sized_stack, 0
	.set _ZN2at6native12_GLOBAL__N_125multi_tensor_apply_kernelINS1_18TensorListMetadataILi2EEENS1_14UnaryOpFunctorIN3c107complexIdEELi2ELi1ELi1EEEJNS0_4AcosIS8_EEEEEvT_T0_DpT1_.has_recursion, 0
	.set _ZN2at6native12_GLOBAL__N_125multi_tensor_apply_kernelINS1_18TensorListMetadataILi2EEENS1_14UnaryOpFunctorIN3c107complexIdEELi2ELi1ELi1EEEJNS0_4AcosIS8_EEEEEvT_T0_DpT1_.has_indirect_call, 0
	.section	.AMDGPU.csdata,"",@progbits
; Kernel info:
; codeLenInByte = 104964
; TotalNumSgprs: 54
; NumVgprs: 84
; ScratchSize: 24
; MemoryBound: 1
; FloatMode: 240
; IeeeMode: 1
; LDSByteSize: 0 bytes/workgroup (compile time only)
; SGPRBlocks: 0
; VGPRBlocks: 5
; NumSGPRsForWavesPerEU: 54
; NumVGPRsForWavesPerEU: 84
; NamedBarCnt: 0
; Occupancy: 10
; WaveLimiterHint : 0
; COMPUTE_PGM_RSRC2:SCRATCH_EN: 1
; COMPUTE_PGM_RSRC2:USER_SGPR: 2
; COMPUTE_PGM_RSRC2:TRAP_HANDLER: 0
; COMPUTE_PGM_RSRC2:TGID_X_EN: 1
; COMPUTE_PGM_RSRC2:TGID_Y_EN: 0
; COMPUTE_PGM_RSRC2:TGID_Z_EN: 0
; COMPUTE_PGM_RSRC2:TIDIG_COMP_CNT: 0
	.section	.text._ZN2at6native12_GLOBAL__N_125multi_tensor_apply_kernelINS1_18TensorListMetadataILi2EEENS1_14UnaryOpFunctorIN3c107complexIfEELi2ELi1ELi1EEEJNS0_4AcosIS8_EEEEEvT_T0_DpT1_,"axG",@progbits,_ZN2at6native12_GLOBAL__N_125multi_tensor_apply_kernelINS1_18TensorListMetadataILi2EEENS1_14UnaryOpFunctorIN3c107complexIfEELi2ELi1ELi1EEEJNS0_4AcosIS8_EEEEEvT_T0_DpT1_,comdat
	.globl	_ZN2at6native12_GLOBAL__N_125multi_tensor_apply_kernelINS1_18TensorListMetadataILi2EEENS1_14UnaryOpFunctorIN3c107complexIfEELi2ELi1ELi1EEEJNS0_4AcosIS8_EEEEEvT_T0_DpT1_ ; -- Begin function _ZN2at6native12_GLOBAL__N_125multi_tensor_apply_kernelINS1_18TensorListMetadataILi2EEENS1_14UnaryOpFunctorIN3c107complexIfEELi2ELi1ELi1EEEJNS0_4AcosIS8_EEEEEvT_T0_DpT1_
	.p2align	8
	.type	_ZN2at6native12_GLOBAL__N_125multi_tensor_apply_kernelINS1_18TensorListMetadataILi2EEENS1_14UnaryOpFunctorIN3c107complexIfEELi2ELi1ELi1EEEJNS0_4AcosIS8_EEEEEvT_T0_DpT1_,@function
_ZN2at6native12_GLOBAL__N_125multi_tensor_apply_kernelINS1_18TensorListMetadataILi2EEENS1_14UnaryOpFunctorIN3c107complexIfEELi2ELi1ELi1EEEJNS0_4AcosIS8_EEEEEvT_T0_DpT1_: ; @_ZN2at6native12_GLOBAL__N_125multi_tensor_apply_kernelINS1_18TensorListMetadataILi2EEENS1_14UnaryOpFunctorIN3c107complexIfEELi2ELi1ELi1EEEJNS0_4AcosIS8_EEEEEvT_T0_DpT1_
; %bb.0:
	s_bfe_u32 s2, ttmp6, 0x4000c
	s_and_b32 s3, ttmp6, 15
	s_add_co_i32 s2, s2, 1
	s_getreg_b32 s4, hwreg(HW_REG_IB_STS2, 6, 4)
	s_mul_i32 s2, ttmp9, s2
	s_delay_alu instid0(SALU_CYCLE_1)
	s_add_co_i32 s3, s3, s2
	s_cmp_eq_u32 s4, 0
	s_cselect_b32 s2, ttmp9, s3
	s_mov_b32 s3, 0
	s_load_u8 s10, s[0:1], s2 offset:0x600
	s_add_nc_u64 s[4:5], s[0:1], s[2:3]
	s_mul_u64 s[6:7], s[2:3], 3
	s_delay_alu instid0(SALU_CYCLE_1)
	s_add_nc_u64 s[4:5], s[4:5], s[6:7]
	s_load_b32 s6, s[4:5], 0x740
	s_wait_kmcnt 0x0
	s_clause 0x2
	s_load_b64 s[8:9], s[0:1], s10 offset:0x0 scale_offset
	s_load_b64 s[12:13], s[0:1], s10 offset:0x200 scale_offset
	;; [unrolled: 1-line block ×3, first 2 shown]
	s_ashr_i32 s7, s6, 31
	s_delay_alu instid0(SALU_CYCLE_1)
	s_lshl_b64 s[4:5], s[6:7], 19
	s_lshl_b64 s[6:7], s[6:7], 16
	s_wait_kmcnt 0x0
	s_add_nc_u64 s[12:13], s[12:13], s[4:5]
	s_add_nc_u64 s[10:11], s[8:9], s[4:5]
	s_and_b32 s4, s14, 3
	s_and_b64 s[8:9], s[12:13], 31
	s_mov_b32 s5, s3
	s_and_b32 s2, s10, 31
	s_or_b64 s[4:5], s[8:9], s[4:5]
	s_sub_nc_u64 s[8:9], s[14:15], s[6:7]
	s_or_b64 s[2:3], s[4:5], s[2:3]
	s_delay_alu instid0(SALU_CYCLE_1)
	s_cmp_eq_u64 s[2:3], 0
	s_mov_b32 s2, -1
	s_cbranch_scc0 .LBB43_397
; %bb.1:
	v_min_i64 v[14:15], 0x10000, s[8:9]
	v_dual_mov_b32 v3, 0 :: v_dual_lshlrev_b32 v2, 2, v0
	s_mov_b32 s17, exec_lo
	s_delay_alu instid0(VALU_DEP_1)
	v_cmpx_lt_i64_e64 v[2:3], v[14:15]
	s_cbranch_execz .LBB43_396
; %bb.2:
	v_mbcnt_lo_u32_b32 v1, -1, 0
	v_mov_b32_e32 v4, 8
	v_mov_b32_e32 v32, 0x248d3132
	v_mov_b32_e32 v20, 1.0
	s_delay_alu instid0(VALU_DEP_4)
	v_dual_mov_b32 v24, 0x3f317218 :: v_dual_lshlrev_b32 v5, 20, v1
	v_mov_b32_e32 v34, 0x4016cbe4
	s_add_nc_u64 s[14:15], s[0:1], 0xc50
	s_mov_b32 s7, 0
	s_mov_b32 s18, 0x3e9b6dac
	v_add_nc_u64_e32 v[16:17], src_flat_scratch_base_lo, v[4:5]
	v_dual_mov_b32 v4, 0 :: v_dual_mov_b32 v1, v3
	s_mov_b32 s16, 0x4b800000
	s_mov_b32 s19, 0x3d1c21a7
	v_mov_b32_e32 v33, 0xd800000
	s_delay_alu instid0(VALU_DEP_2) | instskip(SKIP_4) | instid1(VALU_DEP_2)
	v_add_nc_u64_e32 v[18:19], src_flat_scratch_base_lo, v[4:5]
	v_mov_b32_e32 v4, 4
	v_mov_b64_e32 v[26:27], v[0:1]
	s_mov_b32 s20, 0x3b2d2a58
	s_mov_b32 s21, 0
	v_add_nc_u64_e32 v[22:23], src_flat_scratch_base_lo, v[4:5]
	s_branch .LBB43_5
.LBB43_3:                               ;   in Loop: Header=BB43_5 Depth=1
	s_or_b32 exec_lo, exec_lo, s3
.LBB43_4:                               ;   in Loop: Header=BB43_5 Depth=1
	s_delay_alu instid0(SALU_CYCLE_1)
	s_or_b32 exec_lo, exec_lo, s2
	v_add_nc_u64_e32 v[2:3], s[12:13], v[28:29]
	s_clause 0x1
	global_store_b128 v[2:3], v[6:9], off
	global_store_b128 v[2:3], v[10:13], off offset:16
	s_load_b32 s2, s[14:15], 0xc
	s_wait_kmcnt 0x0
	s_and_b32 s6, s2, 0xffff
	s_delay_alu instid0(SALU_CYCLE_1) | instskip(NEXT) | instid1(VALU_DEP_1)
	v_add_nc_u64_e32 v[26:27], s[6:7], v[26:27]
	v_lshlrev_b64_e32 v[2:3], 2, v[26:27]
	s_delay_alu instid0(VALU_DEP_1) | instskip(SKIP_1) | instid1(SALU_CYCLE_1)
	v_cmp_ge_i64_e32 vcc_lo, v[2:3], v[14:15]
	s_or_b32 s21, vcc_lo, s21
	s_and_not1_b32 exec_lo, exec_lo, s21
	s_cbranch_execz .LBB43_396
.LBB43_5:                               ; =>This Inner Loop Header: Depth=1
	s_delay_alu instid0(VALU_DEP_2) | instskip(SKIP_1) | instid1(VALU_DEP_1)
	v_lshlrev_b64_e32 v[28:29], 5, v[26:27]
	s_mov_b32 s2, exec_lo
	v_add_nc_u64_e32 v[6:7], s[10:11], v[28:29]
	s_clause 0x1
	global_load_b128 v[10:13], v[6:7], off
	global_load_b128 v[2:5], v[6:7], off offset:16
	flat_store_b32 v[16:17], v32 scope:SCOPE_SYS
	s_wait_storecnt 0x0
                                        ; implicit-def: $vgpr7
	s_wait_loadcnt 0x1
	s_wait_xcnt 0x0
	v_cmpx_o_f32_e32 v10, v11
	s_xor_b32 s22, exec_lo, s2
	s_cbranch_execz .LBB43_89
; %bb.6:                                ;   in Loop: Header=BB43_5 Depth=1
	v_max_num_f32_e64 v8, |v11|, |v11|
	v_max_num_f32_e64 v9, |v10|, |v10|
	v_cmp_gt_i32_e64 s3, 0, v10
	v_cmp_lt_i32_e64 s4, -1, v10
	v_cmp_gt_i32_e64 s2, 0, v11
                                        ; implicit-def: $vgpr7
	s_mov_b32 s5, exec_lo
	s_wait_dscnt 0x1
	v_max_num_f32_e32 v1, v9, v8
	s_delay_alu instid0(VALU_DEP_1)
	v_cmpx_nlt_f32_e32 0x4b000000, v1
	s_xor_b32 s23, exec_lo, s5
	s_cbranch_execz .LBB43_78
; %bb.7:                                ;   in Loop: Header=BB43_5 Depth=1
	v_cmp_neq_f32_e32 vcc_lo, 1.0, v10
	v_cmp_neq_f32_e64 s5, 0, v11
	v_xor_b32_e32 v7, 0x80000000, v11
	s_or_b32 s5, vcc_lo, s5
	s_delay_alu instid0(SALU_CYCLE_1) | instskip(NEXT) | instid1(SALU_CYCLE_1)
	s_and_saveexec_b32 s6, s5
	s_xor_b32 s24, exec_lo, s6
	s_cbranch_execz .LBB43_75
; %bb.8:                                ;   in Loop: Header=BB43_5 Depth=1
	flat_store_b32 v[18:19], v33 scope:SCOPE_SYS
	s_wait_storecnt 0x0
	flat_load_b32 v1, v[18:19] scope:SCOPE_SYS
	s_wait_loadcnt 0x0
	v_cmp_ngt_f32_e64 s5, 0x395db3d7, |v10|
	v_cmp_ngt_f32_e64 s6, 0x395db3d7, |v11|
	v_xor_b32_e32 v7, 0x80000000, v11
	s_or_b32 s5, s5, s6
	s_wait_dscnt 0x0
	v_add_f32_e32 v1, 1.0, v1
	flat_store_b32 v[22:23], v1 scope:SCOPE_SYS
	s_wait_storecnt 0x0
	flat_load_b32 v1, v[22:23] scope:SCOPE_SYS
	s_wait_loadcnt 0x0
	s_wait_xcnt 0x0
	s_and_saveexec_b32 s6, s5
	s_delay_alu instid0(SALU_CYCLE_1)
	s_xor_b32 s25, exec_lo, s6
	s_cbranch_execz .LBB43_72
; %bb.9:                                ;   in Loop: Header=BB43_5 Depth=1
	v_add_f32_e64 v30, |v10|, 1.0
	s_wait_dscnt 0x0
	v_add_f32_e64 v1, |v10|, -1.0
	s_mov_b32 s5, exec_lo
	s_delay_alu instid0(VALU_DEP_2) | instskip(NEXT) | instid1(VALU_DEP_2)
	v_max_num_f32_e32 v21, v8, v30
	v_max_num_f32_e64 v25, v8, |v1|
	s_delay_alu instid0(VALU_DEP_2) | instskip(NEXT) | instid1(VALU_DEP_2)
	v_cvt_f64_f32_e32 v[6:7], v21
	v_cvt_f64_f32_e32 v[8:9], v25
	s_delay_alu instid0(VALU_DEP_2) | instskip(NEXT) | instid1(VALU_DEP_2)
	v_frexp_exp_i32_f64_e32 v6, v[6:7]
	v_frexp_exp_i32_f64_e32 v7, v[8:9]
	s_delay_alu instid0(VALU_DEP_1) | instskip(SKIP_1) | instid1(VALU_DEP_2)
	v_dual_sub_nc_u32 v8, 0, v6 :: v_dual_sub_nc_u32 v9, 0, v7
	v_cmp_neq_f32_e32 vcc_lo, 0x7f800000, v21
                                        ; implicit-def: $vgpr21
	v_ldexp_f32 v31, v30, v8
	s_delay_alu instid0(VALU_DEP_3) | instskip(SKIP_1) | instid1(VALU_DEP_3)
	v_ldexp_f32 v35, |v1|, v9
	v_ldexp_f32 v9, |v11|, v9
	v_mul_f32_e32 v31, v31, v31
	v_ldexp_f32 v8, |v11|, v8
	s_delay_alu instid0(VALU_DEP_1) | instskip(NEXT) | instid1(VALU_DEP_1)
	v_dual_mul_f32 v35, v35, v35 :: v_dual_fmac_f32 v31, v8, v8
	v_sqrt_f32_e32 v8, v31
	v_nop
	s_delay_alu instid0(TRANS32_DEP_1) | instskip(NEXT) | instid1(VALU_DEP_1)
	v_ldexp_f32 v6, v8, v6
	v_dual_fmac_f32 v35, v9, v9 :: v_dual_cndmask_b32 v36, 0x7f800000, v6
	s_delay_alu instid0(VALU_DEP_1) | instskip(SKIP_1) | instid1(TRANS32_DEP_1)
	v_sqrt_f32_e32 v9, v35
	v_cmp_neq_f32_e32 vcc_lo, 0x7f800000, v25
	v_ldexp_f32 v7, v9, v7
	s_delay_alu instid0(VALU_DEP_1) | instskip(NEXT) | instid1(VALU_DEP_1)
	v_cndmask_b32_e32 v31, 0x7f800000, v7, vcc_lo
	v_add_f32_e32 v6, v36, v31
	s_delay_alu instid0(VALU_DEP_1) | instskip(NEXT) | instid1(VALU_DEP_1)
	v_mul_f32_e32 v6, 0.5, v6
	v_cmp_ngt_f32_e32 vcc_lo, 1.0, v6
	v_cndmask_b32_e32 v6, 1.0, v6, vcc_lo
	s_delay_alu instid0(VALU_DEP_1)
	v_cmpx_ngt_f32_e32 0x41200000, v6
	s_xor_b32 s6, exec_lo, s5
	s_cbranch_execz .LBB43_11
; %bb.10:                               ;   in Loop: Header=BB43_5 Depth=1
	v_fma_f32 v7, v6, v6, -1.0
	s_delay_alu instid0(VALU_DEP_1) | instskip(SKIP_1) | instid1(VALU_DEP_2)
	v_mul_f32_e32 v8, 0x4f800000, v7
	v_cmp_gt_f32_e32 vcc_lo, 0xf800000, v7
	v_cndmask_b32_e32 v7, v7, v8, vcc_lo
	s_delay_alu instid0(VALU_DEP_1) | instskip(SKIP_1) | instid1(TRANS32_DEP_1)
	v_sqrt_f32_e32 v8, v7
	v_nop
	v_dual_add_nc_u32 v9, -1, v8 :: v_dual_add_nc_u32 v21, 1, v8
	s_delay_alu instid0(VALU_DEP_1) | instskip(NEXT) | instid1(VALU_DEP_1)
	v_fma_f32 v25, -v9, v8, v7
	v_cmp_ge_f32_e64 s5, 0, v25
	s_delay_alu instid0(VALU_DEP_1) | instskip(NEXT) | instid1(VALU_DEP_1)
	v_dual_fma_f32 v35, -v21, v8, v7 :: v_dual_cndmask_b32 v8, v8, v9, s5
	v_cmp_lt_f32_e64 s5, 0, v35
	s_delay_alu instid0(VALU_DEP_1) | instskip(NEXT) | instid1(VALU_DEP_1)
	v_cndmask_b32_e64 v8, v8, v21, s5
	v_mul_f32_e32 v9, 0x37800000, v8
	s_delay_alu instid0(VALU_DEP_1) | instskip(SKIP_1) | instid1(VALU_DEP_2)
	v_cndmask_b32_e32 v8, v8, v9, vcc_lo
	v_cmp_class_f32_e64 vcc_lo, v7, 0x260
	v_cndmask_b32_e32 v7, v8, v7, vcc_lo
	s_delay_alu instid0(VALU_DEP_1) | instskip(NEXT) | instid1(VALU_DEP_1)
	v_add_f32_e32 v7, v6, v7
	v_cmp_gt_f32_e32 vcc_lo, 0x800000, v7
	s_delay_alu instid0(VALU_DEP_4) | instskip(NEXT) | instid1(VALU_DEP_1)
	v_cndmask_b32_e64 v8, 0, 32, vcc_lo
	v_ldexp_f32 v7, v7, v8
	s_delay_alu instid0(VALU_DEP_1) | instskip(SKIP_1) | instid1(TRANS32_DEP_1)
	v_log_f32_e32 v7, v7
	v_nop
	v_mul_f32_e32 v8, 0x3f317217, v7
	v_cmp_gt_f32_e64 s5, 0x7f800000, |v7|
	s_delay_alu instid0(VALU_DEP_2) | instskip(NEXT) | instid1(VALU_DEP_1)
	v_fma_f32 v8, 0x3f317217, v7, -v8
	v_fmac_f32_e32 v8, 0x3377d1cf, v7
	s_delay_alu instid0(VALU_DEP_1) | instskip(NEXT) | instid1(VALU_DEP_1)
	v_fmac_f32_e32 v8, 0x3f317217, v7
	v_cndmask_b32_e64 v7, v7, v8, s5
	v_cndmask_b32_e64 v8, 0, 0x41b17218, vcc_lo
	s_delay_alu instid0(VALU_DEP_1)
	v_sub_f32_e32 v21, v7, v8
.LBB43_11:                              ;   in Loop: Header=BB43_5 Depth=1
	s_or_saveexec_b32 s6, s6
	v_and_b32_e32 v35, 0x7fffffff, v11
	s_xor_b32 exec_lo, exec_lo, s6
	s_cbranch_execz .LBB43_33
; %bb.12:                               ;   in Loop: Header=BB43_5 Depth=1
	v_cmp_neq_f32_e64 s5, |v10|, 1.0
	v_cmp_ngt_f32_e64 s26, 0x25000000, |v11|
                                        ; implicit-def: $vgpr21
	s_or_b32 s5, s5, s26
	s_delay_alu instid0(SALU_CYCLE_1) | instskip(NEXT) | instid1(SALU_CYCLE_1)
	s_and_saveexec_b32 s26, s5
	s_xor_b32 s26, exec_lo, s26
	s_cbranch_execz .LBB43_30
; %bb.13:                               ;   in Loop: Header=BB43_5 Depth=1
	v_mul_f32_e64 v7, 0x34000000, |v1|
	s_mov_b32 s27, exec_lo
                                        ; implicit-def: $vgpr21
	s_delay_alu instid0(VALU_DEP_1)
	v_cmpx_ge_f32_e64 |v11|, v7
	s_xor_b32 s27, exec_lo, s27
	s_cbranch_execz .LBB43_23
; %bb.14:                               ;   in Loop: Header=BB43_5 Depth=1
	v_mov_b32_e32 v7, v35
	s_mov_b32 s5, exec_lo
	v_cmpx_neq_f32_e32 0, v30
	s_cbranch_execz .LBB43_16
; %bb.15:                               ;   in Loop: Header=BB43_5 Depth=1
	v_dual_mul_f32 v7, v11, v11 :: v_dual_add_f32 v8, v30, v36
	s_delay_alu instid0(VALU_DEP_1) | instskip(NEXT) | instid1(VALU_DEP_1)
	v_div_scale_f32 v9, null, v8, v8, v7
	v_rcp_f32_e32 v21, v9
	v_nop
	s_delay_alu instid0(TRANS32_DEP_1) | instskip(NEXT) | instid1(VALU_DEP_1)
	v_fma_f32 v25, -v9, v21, 1.0
	v_fmac_f32_e32 v21, v25, v21
	v_div_scale_f32 v25, vcc_lo, v7, v8, v7
	s_delay_alu instid0(VALU_DEP_1) | instskip(NEXT) | instid1(VALU_DEP_1)
	v_mul_f32_e32 v37, v25, v21
	v_fma_f32 v38, -v9, v37, v25
	s_delay_alu instid0(VALU_DEP_1) | instskip(NEXT) | instid1(VALU_DEP_1)
	v_fmac_f32_e32 v37, v38, v21
	v_fma_f32 v9, -v9, v37, v25
	s_delay_alu instid0(VALU_DEP_1) | instskip(NEXT) | instid1(VALU_DEP_1)
	v_div_fmas_f32 v9, v9, v21, v37
	v_div_fixup_f32 v7, v9, v8, v7
.LBB43_16:                              ;   in Loop: Header=BB43_5 Depth=1
	s_or_b32 exec_lo, exec_lo, s5
	v_sub_f32_e64 v9, 1.0, |v10|
	s_mov_b32 s5, exec_lo
                                        ; implicit-def: $vgpr8
	s_delay_alu instid0(VALU_DEP_1)
	v_cmpx_ngt_f32_e32 0, v9
	s_xor_b32 s5, exec_lo, s5
	s_cbranch_execz .LBB43_20
; %bb.17:                               ;   in Loop: Header=BB43_5 Depth=1
	v_mov_b32_e32 v8, v35
	s_mov_b32 s28, exec_lo
	v_cmpx_neq_f32_e32 0, v9
	s_cbranch_execz .LBB43_19
; %bb.18:                               ;   in Loop: Header=BB43_5 Depth=1
	v_mul_f32_e32 v8, v11, v11
	v_add_f32_e32 v9, v9, v31
	s_delay_alu instid0(VALU_DEP_1) | instskip(NEXT) | instid1(VALU_DEP_1)
	v_div_scale_f32 v21, null, v9, v9, v8
	v_rcp_f32_e32 v25, v21
	v_nop
	s_delay_alu instid0(TRANS32_DEP_1) | instskip(NEXT) | instid1(VALU_DEP_1)
	v_fma_f32 v37, -v21, v25, 1.0
	v_fmac_f32_e32 v25, v37, v25
	v_div_scale_f32 v37, vcc_lo, v8, v9, v8
	s_delay_alu instid0(VALU_DEP_1) | instskip(NEXT) | instid1(VALU_DEP_1)
	v_mul_f32_e32 v38, v37, v25
	v_fma_f32 v39, -v21, v38, v37
	s_delay_alu instid0(VALU_DEP_1) | instskip(NEXT) | instid1(VALU_DEP_1)
	v_fmac_f32_e32 v38, v39, v25
	v_fma_f32 v21, -v21, v38, v37
	s_delay_alu instid0(VALU_DEP_1) | instskip(NEXT) | instid1(VALU_DEP_1)
	v_div_fmas_f32 v21, v21, v25, v38
	v_div_fixup_f32 v8, v21, v9, v8
.LBB43_19:                              ;   in Loop: Header=BB43_5 Depth=1
	s_or_b32 exec_lo, exec_lo, s28
                                        ; implicit-def: $vgpr9
.LBB43_20:                              ;   in Loop: Header=BB43_5 Depth=1
	s_and_not1_saveexec_b32 s5, s5
; %bb.21:                               ;   in Loop: Header=BB43_5 Depth=1
	v_sub_f32_e32 v8, v31, v9
; %bb.22:                               ;   in Loop: Header=BB43_5 Depth=1
	s_or_b32 exec_lo, exec_lo, s5
	s_delay_alu instid0(VALU_DEP_1) | instskip(NEXT) | instid1(VALU_DEP_1)
	v_dual_mul_f32 v7, 0.5, v7 :: v_dual_mul_f32 v21, 0.5, v8
	v_pk_add_f32 v[8:9], v[6:7], v[20:21]
	s_delay_alu instid0(VALU_DEP_1) | instskip(NEXT) | instid1(VALU_DEP_1)
	v_mul_f32_e32 v7, v8, v9
	v_mul_f32_e32 v8, 0x4f800000, v7
	v_cmp_gt_f32_e32 vcc_lo, 0xf800000, v7
	s_delay_alu instid0(VALU_DEP_2) | instskip(NEXT) | instid1(VALU_DEP_1)
	v_cndmask_b32_e32 v7, v7, v8, vcc_lo
	v_sqrt_f32_e32 v8, v7
	v_nop
	s_delay_alu instid0(TRANS32_DEP_1) | instskip(NEXT) | instid1(VALU_DEP_1)
	v_dual_add_nc_u32 v21, -1, v8 :: v_dual_add_nc_u32 v25, 1, v8
	v_fma_f32 v37, -v21, v8, v7
	s_delay_alu instid0(VALU_DEP_2) | instskip(NEXT) | instid1(VALU_DEP_2)
	v_fma_f32 v38, -v25, v8, v7
	v_cmp_ge_f32_e64 s5, 0, v37
	s_delay_alu instid0(VALU_DEP_1) | instskip(NEXT) | instid1(VALU_DEP_3)
	v_cndmask_b32_e64 v8, v8, v21, s5
	v_cmp_lt_f32_e64 s5, 0, v38
	s_delay_alu instid0(VALU_DEP_1) | instskip(NEXT) | instid1(VALU_DEP_1)
	v_cndmask_b32_e64 v8, v8, v25, s5
	v_mul_f32_e32 v21, 0x37800000, v8
	s_delay_alu instid0(VALU_DEP_1) | instskip(SKIP_1) | instid1(VALU_DEP_2)
	v_cndmask_b32_e32 v8, v8, v21, vcc_lo
	v_cmp_class_f32_e64 vcc_lo, v7, 0x260
	v_cndmask_b32_e32 v7, v8, v7, vcc_lo
	s_delay_alu instid0(VALU_DEP_1) | instskip(NEXT) | instid1(VALU_DEP_1)
	v_add_f32_e32 v8, v9, v7
	v_add_f32_e32 v39, 1.0, v8
	s_delay_alu instid0(VALU_DEP_1) | instskip(SKIP_2) | instid1(VALU_DEP_2)
	v_cvt_f64_f32_e32 v[40:41], v39
	v_frexp_mant_f32_e32 v21, v39
	v_add_f32_e32 v9, -1.0, v39
	v_cmp_gt_f32_e32 vcc_lo, 0x3f2aaaab, v21
	s_delay_alu instid0(VALU_DEP_2) | instskip(SKIP_1) | instid1(VALU_DEP_2)
	v_mov_b32_e32 v38, v9
	v_frexp_exp_i32_f64_e32 v7, v[40:41]
	v_pk_add_f32 v[40:41], v[8:9], v[38:39] neg_lo:[0,1] neg_hi:[0,1]
	s_delay_alu instid0(VALU_DEP_1) | instskip(NEXT) | instid1(VALU_DEP_3)
	v_add_f32_e32 v25, 1.0, v41
	v_subrev_co_ci_u32_e64 v7, null, 0, v7, vcc_lo
	v_cmp_neq_f32_e32 vcc_lo, 0x7f800000, v8
	s_delay_alu instid0(VALU_DEP_2) | instskip(NEXT) | instid1(VALU_DEP_1)
	v_sub_nc_u32_e32 v21, 0, v7
	v_ldexp_f32 v9, v39, v21
	s_delay_alu instid0(VALU_DEP_1) | instskip(SKIP_1) | instid1(VALU_DEP_2)
	v_dual_add_f32 v37, 1.0, v9 :: v_dual_add_f32 v43, -1.0, v9
	v_add_f32_e32 v25, v40, v25
	v_add_f32_e32 v38, -1.0, v37
	s_delay_alu instid0(VALU_DEP_2) | instskip(NEXT) | instid1(VALU_DEP_2)
	v_ldexp_f32 v21, v25, v21
	v_dual_sub_f32 v25, v9, v38 :: v_dual_add_f32 v38, 1.0, v43
	s_delay_alu instid0(VALU_DEP_1) | instskip(NEXT) | instid1(VALU_DEP_2)
	v_sub_f32_e32 v9, v9, v38
	v_add_f32_e32 v25, v21, v25
	s_delay_alu instid0(VALU_DEP_2) | instskip(NEXT) | instid1(VALU_DEP_1)
	v_add_f32_e32 v9, v21, v9
	v_add_f32_e32 v39, v43, v9
	s_delay_alu instid0(VALU_DEP_3) | instskip(NEXT) | instid1(VALU_DEP_1)
	v_add_f32_e32 v44, v37, v25
	v_rcp_f32_e32 v21, v44
	v_sub_f32_e32 v37, v44, v37
	s_delay_alu instid0(VALU_DEP_1) | instskip(NEXT) | instid1(TRANS32_DEP_1)
	v_sub_f32_e32 v25, v25, v37
	v_mul_f32_e32 v45, v39, v21
	s_delay_alu instid0(VALU_DEP_1) | instskip(NEXT) | instid1(VALU_DEP_1)
	v_mul_f32_e32 v40, v44, v45
	v_dual_fma_f32 v42, v45, v44, -v40 :: v_dual_sub_f32 v37, v39, v43
	s_delay_alu instid0(VALU_DEP_1) | instskip(NEXT) | instid1(VALU_DEP_1)
	v_fmac_f32_e32 v42, v45, v25
	v_dual_sub_f32 v9, v9, v37 :: v_dual_add_f32 v38, v40, v42
	s_delay_alu instid0(VALU_DEP_1) | instskip(NEXT) | instid1(VALU_DEP_1)
	v_dual_sub_f32 v41, v39, v38 :: v_dual_mov_b32 v43, v38
	v_pk_add_f32 v[38:39], v[38:39], v[40:41] neg_lo:[0,1] neg_hi:[0,1]
	s_delay_alu instid0(VALU_DEP_1) | instskip(NEXT) | instid1(VALU_DEP_1)
	v_pk_add_f32 v[38:39], v[38:39], v[42:43] neg_lo:[0,1] neg_hi:[0,1]
	v_add_f32_e32 v9, v9, v39
	s_delay_alu instid0(VALU_DEP_1) | instskip(NEXT) | instid1(VALU_DEP_1)
	v_add_f32_e32 v9, v38, v9
	v_add_f32_e32 v39, v41, v9
	s_delay_alu instid0(VALU_DEP_1) | instskip(NEXT) | instid1(VALU_DEP_1)
	v_mul_f32_e32 v37, v21, v39
	v_mul_f32_e32 v42, v44, v37
	s_delay_alu instid0(VALU_DEP_1) | instskip(SKIP_1) | instid1(VALU_DEP_2)
	v_fma_f32 v40, v37, v44, -v42
	v_add_f32_e32 v44, v45, v37
	v_fmac_f32_e32 v40, v37, v25
	v_sub_f32_e32 v25, v41, v39
	s_delay_alu instid0(VALU_DEP_1) | instskip(NEXT) | instid1(VALU_DEP_4)
	v_add_f32_e32 v9, v9, v25
	v_sub_f32_e32 v25, v44, v45
	s_delay_alu instid0(VALU_DEP_1) | instskip(NEXT) | instid1(VALU_DEP_1)
	v_dual_sub_f32 v25, v37, v25 :: v_dual_add_f32 v38, v42, v40
	v_dual_mov_b32 v41, v38 :: v_dual_sub_f32 v43, v39, v38
	s_delay_alu instid0(VALU_DEP_1) | instskip(NEXT) | instid1(VALU_DEP_1)
	v_pk_add_f32 v[38:39], v[38:39], v[42:43] neg_lo:[0,1] neg_hi:[0,1]
	v_pk_add_f32 v[38:39], v[38:39], v[40:41] neg_lo:[0,1] neg_hi:[0,1]
	s_delay_alu instid0(VALU_DEP_1) | instskip(NEXT) | instid1(VALU_DEP_1)
	v_add_f32_e32 v9, v9, v39
	v_add_f32_e32 v9, v38, v9
	v_cvt_f32_i32_e32 v38, v7
	s_delay_alu instid0(VALU_DEP_2) | instskip(NEXT) | instid1(VALU_DEP_1)
	v_add_f32_e32 v9, v43, v9
	v_mul_f32_e32 v9, v21, v9
	s_delay_alu instid0(VALU_DEP_1) | instskip(NEXT) | instid1(VALU_DEP_1)
	v_add_f32_e32 v9, v25, v9
	v_add_f32_e32 v21, v44, v9
	s_delay_alu instid0(VALU_DEP_1) | instskip(NEXT) | instid1(VALU_DEP_1)
	v_sub_f32_e32 v7, v21, v44
	v_sub_f32_e32 v7, v9, v7
	v_mul_f32_e32 v25, v21, v21
	v_ldexp_f32 v43, v21, 1
	s_delay_alu instid0(VALU_DEP_3) | instskip(NEXT) | instid1(VALU_DEP_3)
	v_ldexp_f32 v7, v7, 1
	v_fmaak_f32 v37, s18, v25, 0x3ecc95a3
	v_mul_f32_e32 v39, v21, v25
	s_delay_alu instid0(VALU_DEP_2) | instskip(NEXT) | instid1(VALU_DEP_1)
	v_fmaak_f32 v25, v25, v37, 0x3f2aaada
	v_pk_mul_f32 v[40:41], v[38:39], v[24:25]
	s_delay_alu instid0(VALU_DEP_1) | instskip(SKIP_1) | instid1(VALU_DEP_2)
	v_fma_f32 v42, 0x3f317218, v38, -v40
	v_mov_b32_e32 v44, v40
	v_fmac_f32_e32 v42, 0xb102e308, v38
	s_delay_alu instid0(VALU_DEP_1) | instskip(NEXT) | instid1(VALU_DEP_1)
	v_pk_add_f32 v[38:39], v[40:41], v[42:43]
	v_dual_sub_f32 v9, v39, v43 :: v_dual_mov_b32 v43, v38
	s_delay_alu instid0(VALU_DEP_1) | instskip(SKIP_1) | instid1(VALU_DEP_2)
	v_dual_mov_b32 v52, v39 :: v_dual_sub_f32 v9, v41, v9
	v_pk_add_f32 v[40:41], v[38:39], v[40:41] neg_lo:[0,1] neg_hi:[0,1]
	v_add_f32_e32 v45, v7, v9
	s_delay_alu instid0(VALU_DEP_1) | instskip(NEXT) | instid1(VALU_DEP_1)
	v_pk_add_f32 v[46:47], v[38:39], v[44:45]
	v_mov_b32_e32 v41, v47
	s_delay_alu instid0(VALU_DEP_1) | instskip(SKIP_2) | instid1(VALU_DEP_3)
	v_pk_add_f32 v[48:49], v[42:43], v[40:41]
	v_mov_b32_e32 v48, v47
	v_pk_add_f32 v[40:41], v[42:43], v[40:41] neg_lo:[0,1] neg_hi:[0,1]
	v_dual_mov_b32 v44, v49 :: v_dual_mov_b32 v41, v49
	s_delay_alu instid0(VALU_DEP_1) | instskip(SKIP_1) | instid1(VALU_DEP_2)
	v_pk_add_f32 v[50:51], v[44:45], v[38:39] neg_lo:[0,1] neg_hi:[0,1]
	v_dual_mov_b32 v39, v38 :: v_dual_mov_b32 v38, v45
	v_dual_mov_b32 v7, v50 :: v_dual_mov_b32 v53, v50
	s_delay_alu instid0(VALU_DEP_1) | instskip(NEXT) | instid1(VALU_DEP_2)
	v_pk_add_f32 v[42:43], v[46:47], v[6:7] neg_lo:[0,1] neg_hi:[0,1]
	v_pk_add_f32 v[50:51], v[48:49], v[52:53] neg_lo:[0,1] neg_hi:[0,1]
	v_mov_b32_e32 v42, v40
	s_delay_alu instid0(VALU_DEP_2) | instskip(NEXT) | instid1(VALU_DEP_1)
	v_pk_add_f32 v[38:39], v[38:39], v[50:51] neg_lo:[0,1] neg_hi:[0,1]
	v_pk_add_f32 v[42:43], v[42:43], v[38:39]
	s_delay_alu instid0(VALU_DEP_1) | instskip(NEXT) | instid1(VALU_DEP_1)
	v_mov_b32_e32 v46, v43
	v_pk_add_f32 v[46:47], v[42:43], v[46:47]
	s_delay_alu instid0(VALU_DEP_1) | instskip(NEXT) | instid1(VALU_DEP_1)
	v_pk_add_f32 v[44:45], v[44:45], v[46:47]
	v_dual_mov_b32 v39, v46 :: v_dual_mov_b32 v43, v44
	s_delay_alu instid0(VALU_DEP_1) | instskip(NEXT) | instid1(VALU_DEP_1)
	v_pk_add_f32 v[48:49], v[42:43], v[40:41] neg_lo:[0,1] neg_hi:[0,1]
	v_sub_f32_e32 v7, v42, v48
	s_delay_alu instid0(VALU_DEP_2) | instskip(NEXT) | instid1(VALU_DEP_2)
	v_pk_add_f32 v[38:39], v[38:39], v[48:49] neg_lo:[0,1] neg_hi:[0,1]
	v_sub_f32_e32 v7, v40, v7
	s_delay_alu instid0(VALU_DEP_1) | instskip(NEXT) | instid1(VALU_DEP_1)
	v_add_f32_e32 v7, v38, v7
	v_add_f32_e32 v7, v7, v39
	s_delay_alu instid0(VALU_DEP_1) | instskip(NEXT) | instid1(VALU_DEP_1)
	v_add_f32_e32 v7, v44, v7
	v_cndmask_b32_e32 v7, 0x7f800000, v7, vcc_lo
	v_cmp_ngt_f32_e32 vcc_lo, -1.0, v8
	s_delay_alu instid0(VALU_DEP_2) | instskip(SKIP_1) | instid1(VALU_DEP_2)
	v_cndmask_b32_e32 v7, 0x7fc00000, v7, vcc_lo
	v_cmp_neq_f32_e32 vcc_lo, -1.0, v8
	v_cndmask_b32_e32 v7, 0xff800000, v7, vcc_lo
	v_cmp_gt_f32_e64 vcc_lo, 0x33800000, |v8|
	s_delay_alu instid0(VALU_DEP_2)
	v_cndmask_b32_e32 v21, v7, v8, vcc_lo
.LBB43_23:                              ;   in Loop: Header=BB43_5 Depth=1
	s_and_not1_saveexec_b32 s27, s27
	s_cbranch_execz .LBB43_29
; %bb.24:                               ;   in Loop: Header=BB43_5 Depth=1
	s_mov_b32 s28, exec_lo
                                        ; implicit-def: $vgpr21
	v_cmpx_nlt_f32_e64 |v10|, 1.0
	s_xor_b32 s28, exec_lo, s28
	s_cbranch_execz .LBB43_26
; %bb.25:                               ;   in Loop: Header=BB43_5 Depth=1
	v_mul_f32_e32 v7, v1, v30
	s_delay_alu instid0(VALU_DEP_1) | instskip(SKIP_1) | instid1(VALU_DEP_2)
	v_mul_f32_e32 v8, 0x4f800000, v7
	v_cmp_gt_f32_e32 vcc_lo, 0xf800000, v7
	v_cndmask_b32_e32 v7, v7, v8, vcc_lo
	s_delay_alu instid0(VALU_DEP_1) | instskip(SKIP_1) | instid1(TRANS32_DEP_1)
	v_sqrt_f32_e32 v8, v7
	v_nop
	v_dual_add_nc_u32 v9, -1, v8 :: v_dual_add_nc_u32 v21, 1, v8
	s_delay_alu instid0(VALU_DEP_1) | instskip(NEXT) | instid1(VALU_DEP_2)
	v_fma_f32 v25, -v9, v8, v7
	v_fma_f32 v37, -v21, v8, v7
	s_delay_alu instid0(VALU_DEP_2) | instskip(NEXT) | instid1(VALU_DEP_1)
	v_cmp_ge_f32_e64 s5, 0, v25
	v_cndmask_b32_e64 v8, v8, v9, s5
	s_delay_alu instid0(VALU_DEP_3) | instskip(NEXT) | instid1(VALU_DEP_1)
	v_cmp_lt_f32_e64 s5, 0, v37
	v_cndmask_b32_e64 v8, v8, v21, s5
	s_delay_alu instid0(VALU_DEP_1) | instskip(NEXT) | instid1(VALU_DEP_1)
	v_mul_f32_e32 v9, 0x37800000, v8
	v_cndmask_b32_e32 v8, v8, v9, vcc_lo
	v_cmp_class_f32_e64 vcc_lo, v7, 0x260
	s_delay_alu instid0(VALU_DEP_2) | instskip(NEXT) | instid1(VALU_DEP_1)
	v_cndmask_b32_e32 v7, v8, v7, vcc_lo
	v_add_f32_e32 v8, v1, v7
	s_delay_alu instid0(VALU_DEP_1) | instskip(NEXT) | instid1(VALU_DEP_1)
	v_add_f32_e32 v39, 1.0, v8
	v_cvt_f64_f32_e32 v[40:41], v39
	v_frexp_mant_f32_e32 v21, v39
	v_add_f32_e32 v9, -1.0, v39
	s_delay_alu instid0(VALU_DEP_2) | instskip(NEXT) | instid1(VALU_DEP_2)
	v_cmp_gt_f32_e32 vcc_lo, 0x3f2aaaab, v21
	v_mov_b32_e32 v38, v9
	v_frexp_exp_i32_f64_e32 v7, v[40:41]
	s_delay_alu instid0(VALU_DEP_2) | instskip(NEXT) | instid1(VALU_DEP_1)
	v_pk_add_f32 v[40:41], v[8:9], v[38:39] neg_lo:[0,1] neg_hi:[0,1]
	v_add_f32_e32 v25, 1.0, v41
	s_delay_alu instid0(VALU_DEP_3) | instskip(SKIP_1) | instid1(VALU_DEP_2)
	v_subrev_co_ci_u32_e64 v7, null, 0, v7, vcc_lo
	v_cmp_neq_f32_e32 vcc_lo, 0x7f800000, v8
	v_sub_nc_u32_e32 v21, 0, v7
	s_delay_alu instid0(VALU_DEP_1) | instskip(NEXT) | instid1(VALU_DEP_1)
	v_ldexp_f32 v9, v39, v21
	v_dual_add_f32 v37, 1.0, v9 :: v_dual_add_f32 v43, -1.0, v9
	v_add_f32_e32 v25, v40, v25
	s_delay_alu instid0(VALU_DEP_2) | instskip(NEXT) | instid1(VALU_DEP_2)
	v_add_f32_e32 v38, -1.0, v37
	v_ldexp_f32 v21, v25, v21
	s_delay_alu instid0(VALU_DEP_2) | instskip(NEXT) | instid1(VALU_DEP_1)
	v_dual_sub_f32 v25, v9, v38 :: v_dual_add_f32 v38, 1.0, v43
	v_sub_f32_e32 v9, v9, v38
	s_delay_alu instid0(VALU_DEP_2) | instskip(NEXT) | instid1(VALU_DEP_2)
	v_add_f32_e32 v25, v21, v25
	v_add_f32_e32 v9, v21, v9
	s_delay_alu instid0(VALU_DEP_1) | instskip(NEXT) | instid1(VALU_DEP_3)
	v_add_f32_e32 v39, v43, v9
	v_add_f32_e32 v44, v37, v25
	s_delay_alu instid0(VALU_DEP_1) | instskip(SKIP_1) | instid1(VALU_DEP_1)
	v_rcp_f32_e32 v21, v44
	v_sub_f32_e32 v37, v44, v37
	v_sub_f32_e32 v25, v25, v37
	s_delay_alu instid0(TRANS32_DEP_1) | instskip(NEXT) | instid1(VALU_DEP_1)
	v_mul_f32_e32 v45, v39, v21
	v_mul_f32_e32 v40, v44, v45
	s_delay_alu instid0(VALU_DEP_1) | instskip(NEXT) | instid1(VALU_DEP_1)
	v_dual_fma_f32 v42, v45, v44, -v40 :: v_dual_sub_f32 v37, v39, v43
	v_fmac_f32_e32 v42, v45, v25
	s_delay_alu instid0(VALU_DEP_1) | instskip(NEXT) | instid1(VALU_DEP_1)
	v_dual_sub_f32 v9, v9, v37 :: v_dual_add_f32 v38, v40, v42
	v_dual_sub_f32 v41, v39, v38 :: v_dual_mov_b32 v43, v38
	s_delay_alu instid0(VALU_DEP_1) | instskip(NEXT) | instid1(VALU_DEP_1)
	v_pk_add_f32 v[38:39], v[38:39], v[40:41] neg_lo:[0,1] neg_hi:[0,1]
	v_pk_add_f32 v[38:39], v[38:39], v[42:43] neg_lo:[0,1] neg_hi:[0,1]
	s_delay_alu instid0(VALU_DEP_1) | instskip(NEXT) | instid1(VALU_DEP_1)
	v_add_f32_e32 v9, v9, v39
	v_add_f32_e32 v9, v38, v9
	s_delay_alu instid0(VALU_DEP_1) | instskip(NEXT) | instid1(VALU_DEP_1)
	v_add_f32_e32 v39, v41, v9
	v_mul_f32_e32 v37, v21, v39
	s_delay_alu instid0(VALU_DEP_1) | instskip(NEXT) | instid1(VALU_DEP_1)
	v_mul_f32_e32 v42, v44, v37
	v_fma_f32 v40, v37, v44, -v42
	v_add_f32_e32 v44, v45, v37
	s_delay_alu instid0(VALU_DEP_2) | instskip(SKIP_1) | instid1(VALU_DEP_1)
	v_fmac_f32_e32 v40, v37, v25
	v_sub_f32_e32 v25, v41, v39
	v_add_f32_e32 v9, v9, v25
	s_delay_alu instid0(VALU_DEP_4) | instskip(NEXT) | instid1(VALU_DEP_1)
	v_sub_f32_e32 v25, v44, v45
	v_dual_sub_f32 v25, v37, v25 :: v_dual_add_f32 v38, v42, v40
	s_delay_alu instid0(VALU_DEP_1) | instskip(NEXT) | instid1(VALU_DEP_1)
	v_dual_mov_b32 v41, v38 :: v_dual_sub_f32 v43, v39, v38
	v_pk_add_f32 v[38:39], v[38:39], v[42:43] neg_lo:[0,1] neg_hi:[0,1]
	s_delay_alu instid0(VALU_DEP_1) | instskip(NEXT) | instid1(VALU_DEP_1)
	v_pk_add_f32 v[38:39], v[38:39], v[40:41] neg_lo:[0,1] neg_hi:[0,1]
	v_add_f32_e32 v9, v9, v39
	s_delay_alu instid0(VALU_DEP_1) | instskip(SKIP_1) | instid1(VALU_DEP_2)
	v_add_f32_e32 v9, v38, v9
	v_cvt_f32_i32_e32 v38, v7
	v_add_f32_e32 v9, v43, v9
	s_delay_alu instid0(VALU_DEP_1) | instskip(NEXT) | instid1(VALU_DEP_1)
	v_mul_f32_e32 v9, v21, v9
	v_add_f32_e32 v9, v25, v9
	s_delay_alu instid0(VALU_DEP_1) | instskip(NEXT) | instid1(VALU_DEP_1)
	v_add_f32_e32 v21, v44, v9
	v_sub_f32_e32 v7, v21, v44
	s_delay_alu instid0(VALU_DEP_1) | instskip(SKIP_2) | instid1(VALU_DEP_3)
	v_sub_f32_e32 v7, v9, v7
	v_mul_f32_e32 v25, v21, v21
	v_ldexp_f32 v43, v21, 1
	v_ldexp_f32 v7, v7, 1
	s_delay_alu instid0(VALU_DEP_3) | instskip(SKIP_1) | instid1(VALU_DEP_2)
	v_fmaak_f32 v37, s18, v25, 0x3ecc95a3
	v_mul_f32_e32 v39, v21, v25
	v_fmaak_f32 v25, v25, v37, 0x3f2aaada
	s_delay_alu instid0(VALU_DEP_1) | instskip(NEXT) | instid1(VALU_DEP_1)
	v_pk_mul_f32 v[40:41], v[38:39], v[24:25]
	v_fma_f32 v42, 0x3f317218, v38, -v40
	v_mov_b32_e32 v44, v40
	s_delay_alu instid0(VALU_DEP_2) | instskip(NEXT) | instid1(VALU_DEP_1)
	v_fmac_f32_e32 v42, 0xb102e308, v38
	v_pk_add_f32 v[38:39], v[40:41], v[42:43]
	s_delay_alu instid0(VALU_DEP_1) | instskip(NEXT) | instid1(VALU_DEP_1)
	v_dual_sub_f32 v9, v39, v43 :: v_dual_mov_b32 v43, v38
	v_dual_mov_b32 v52, v39 :: v_dual_sub_f32 v9, v41, v9
	v_pk_add_f32 v[40:41], v[38:39], v[40:41] neg_lo:[0,1] neg_hi:[0,1]
	s_delay_alu instid0(VALU_DEP_2) | instskip(NEXT) | instid1(VALU_DEP_1)
	v_add_f32_e32 v45, v7, v9
	v_pk_add_f32 v[46:47], v[38:39], v[44:45]
	s_delay_alu instid0(VALU_DEP_1) | instskip(NEXT) | instid1(VALU_DEP_1)
	v_mov_b32_e32 v41, v47
	v_pk_add_f32 v[48:49], v[42:43], v[40:41]
	v_mov_b32_e32 v48, v47
	v_pk_add_f32 v[40:41], v[42:43], v[40:41] neg_lo:[0,1] neg_hi:[0,1]
	s_delay_alu instid0(VALU_DEP_3) | instskip(NEXT) | instid1(VALU_DEP_1)
	v_dual_mov_b32 v44, v49 :: v_dual_mov_b32 v41, v49
	v_pk_add_f32 v[50:51], v[44:45], v[38:39] neg_lo:[0,1] neg_hi:[0,1]
	v_dual_mov_b32 v39, v38 :: v_dual_mov_b32 v38, v45
	s_delay_alu instid0(VALU_DEP_2) | instskip(NEXT) | instid1(VALU_DEP_1)
	v_dual_mov_b32 v7, v50 :: v_dual_mov_b32 v53, v50
	v_pk_add_f32 v[42:43], v[46:47], v[6:7] neg_lo:[0,1] neg_hi:[0,1]
	s_delay_alu instid0(VALU_DEP_2) | instskip(SKIP_1) | instid1(VALU_DEP_2)
	v_pk_add_f32 v[50:51], v[48:49], v[52:53] neg_lo:[0,1] neg_hi:[0,1]
	v_mov_b32_e32 v42, v40
	v_pk_add_f32 v[38:39], v[38:39], v[50:51] neg_lo:[0,1] neg_hi:[0,1]
	s_delay_alu instid0(VALU_DEP_1) | instskip(NEXT) | instid1(VALU_DEP_1)
	v_pk_add_f32 v[42:43], v[42:43], v[38:39]
	v_mov_b32_e32 v46, v43
	s_delay_alu instid0(VALU_DEP_1) | instskip(NEXT) | instid1(VALU_DEP_1)
	v_pk_add_f32 v[46:47], v[42:43], v[46:47]
	v_pk_add_f32 v[44:45], v[44:45], v[46:47]
	s_delay_alu instid0(VALU_DEP_1) | instskip(NEXT) | instid1(VALU_DEP_1)
	v_dual_mov_b32 v39, v46 :: v_dual_mov_b32 v43, v44
	v_pk_add_f32 v[48:49], v[42:43], v[40:41] neg_lo:[0,1] neg_hi:[0,1]
	s_delay_alu instid0(VALU_DEP_1) | instskip(NEXT) | instid1(VALU_DEP_2)
	v_sub_f32_e32 v7, v42, v48
	v_pk_add_f32 v[38:39], v[38:39], v[48:49] neg_lo:[0,1] neg_hi:[0,1]
	s_delay_alu instid0(VALU_DEP_2) | instskip(NEXT) | instid1(VALU_DEP_1)
	v_sub_f32_e32 v7, v40, v7
	v_add_f32_e32 v7, v38, v7
	s_delay_alu instid0(VALU_DEP_1) | instskip(NEXT) | instid1(VALU_DEP_1)
	v_add_f32_e32 v7, v7, v39
	v_add_f32_e32 v7, v44, v7
	s_delay_alu instid0(VALU_DEP_1) | instskip(SKIP_1) | instid1(VALU_DEP_2)
	v_cndmask_b32_e32 v7, 0x7f800000, v7, vcc_lo
	v_cmp_ngt_f32_e32 vcc_lo, -1.0, v8
	v_cndmask_b32_e32 v7, 0x7fc00000, v7, vcc_lo
	v_cmp_neq_f32_e32 vcc_lo, -1.0, v8
	s_delay_alu instid0(VALU_DEP_2) | instskip(SKIP_1) | instid1(VALU_DEP_2)
	v_cndmask_b32_e32 v7, 0xff800000, v7, vcc_lo
	v_cmp_gt_f32_e64 vcc_lo, 0x33800000, |v8|
	v_cndmask_b32_e32 v21, v7, v8, vcc_lo
.LBB43_26:                              ;   in Loop: Header=BB43_5 Depth=1
	s_and_not1_saveexec_b32 s28, s28
	s_cbranch_execz .LBB43_28
; %bb.27:                               ;   in Loop: Header=BB43_5 Depth=1
	v_sub_f32_e64 v7, 1.0, |v10|
	s_delay_alu instid0(VALU_DEP_1) | instskip(NEXT) | instid1(VALU_DEP_1)
	v_mul_f32_e32 v7, v7, v30
	v_mul_f32_e32 v8, 0x4f800000, v7
	v_cmp_gt_f32_e32 vcc_lo, 0xf800000, v7
	s_delay_alu instid0(VALU_DEP_2) | instskip(NEXT) | instid1(VALU_DEP_1)
	v_cndmask_b32_e32 v7, v7, v8, vcc_lo
	v_sqrt_f32_e32 v8, v7
	v_nop
	s_delay_alu instid0(TRANS32_DEP_1) | instskip(NEXT) | instid1(VALU_DEP_1)
	v_dual_add_nc_u32 v9, -1, v8 :: v_dual_add_nc_u32 v21, 1, v8
	v_fma_f32 v25, -v9, v8, v7
	s_delay_alu instid0(VALU_DEP_2) | instskip(NEXT) | instid1(VALU_DEP_2)
	v_fma_f32 v37, -v21, v8, v7
	v_cmp_ge_f32_e64 s5, 0, v25
	s_delay_alu instid0(VALU_DEP_1) | instskip(NEXT) | instid1(VALU_DEP_3)
	v_cndmask_b32_e64 v8, v8, v9, s5
	v_cmp_lt_f32_e64 s5, 0, v37
	s_delay_alu instid0(VALU_DEP_1) | instskip(NEXT) | instid1(VALU_DEP_1)
	v_cndmask_b32_e64 v8, v8, v21, s5
	v_mul_f32_e32 v9, 0x37800000, v8
	s_delay_alu instid0(VALU_DEP_1) | instskip(SKIP_2) | instid1(VALU_DEP_3)
	v_cndmask_b32_e32 v8, v8, v9, vcc_lo
	v_cmp_class_f32_e64 vcc_lo, v7, 0x260
	v_and_b32_e32 v9, 0x7fffffff, v11
	v_cndmask_b32_e32 v7, v8, v7, vcc_lo
	s_delay_alu instid0(VALU_DEP_1) | instskip(SKIP_1) | instid1(VALU_DEP_2)
	v_div_scale_f32 v8, null, v7, v7, v9
	v_div_scale_f32 v9, vcc_lo, v9, v7, v9
	v_rcp_f32_e32 v21, v8
	v_nop
	s_delay_alu instid0(TRANS32_DEP_1) | instskip(NEXT) | instid1(VALU_DEP_1)
	v_fma_f32 v25, -v8, v21, 1.0
	v_fmac_f32_e32 v21, v25, v21
	s_delay_alu instid0(VALU_DEP_1) | instskip(NEXT) | instid1(VALU_DEP_1)
	v_mul_f32_e32 v25, v9, v21
	v_fma_f32 v37, -v8, v25, v9
	s_delay_alu instid0(VALU_DEP_1) | instskip(NEXT) | instid1(VALU_DEP_1)
	v_fmac_f32_e32 v25, v37, v21
	v_fma_f32 v8, -v8, v25, v9
	s_delay_alu instid0(VALU_DEP_1) | instskip(NEXT) | instid1(VALU_DEP_1)
	v_div_fmas_f32 v8, v8, v21, v25
	v_div_fixup_f32 v21, v8, v7, |v11|
.LBB43_28:                              ;   in Loop: Header=BB43_5 Depth=1
	s_or_b32 exec_lo, exec_lo, s28
.LBB43_29:                              ;   in Loop: Header=BB43_5 Depth=1
	s_delay_alu instid0(SALU_CYCLE_1)
	s_or_b32 exec_lo, exec_lo, s27
.LBB43_30:                              ;   in Loop: Header=BB43_5 Depth=1
	s_and_not1_saveexec_b32 s26, s26
	s_cbranch_execz .LBB43_32
; %bb.31:                               ;   in Loop: Header=BB43_5 Depth=1
	v_mul_f32_e64 v7, 0x4f800000, |v11|
	v_cmp_gt_f32_e64 vcc_lo, 0xf800000, |v11|
	s_delay_alu instid0(VALU_DEP_1) | instskip(NEXT) | instid1(VALU_DEP_1)
	v_cndmask_b32_e64 v7, |v11|, v7, vcc_lo
	v_sqrt_f32_e32 v8, v7
	v_nop
	s_delay_alu instid0(TRANS32_DEP_1) | instskip(NEXT) | instid1(VALU_DEP_1)
	v_dual_add_nc_u32 v9, -1, v8 :: v_dual_add_nc_u32 v21, 1, v8
	v_fma_f32 v25, -v9, v8, v7
	s_delay_alu instid0(VALU_DEP_2) | instskip(NEXT) | instid1(VALU_DEP_2)
	v_fma_f32 v37, -v21, v8, v7
	v_cmp_ge_f32_e64 s5, 0, v25
	s_delay_alu instid0(VALU_DEP_1) | instskip(NEXT) | instid1(VALU_DEP_3)
	v_cndmask_b32_e64 v8, v8, v9, s5
	v_cmp_lt_f32_e64 s5, 0, v37
	s_delay_alu instid0(VALU_DEP_1) | instskip(NEXT) | instid1(VALU_DEP_1)
	v_cndmask_b32_e64 v8, v8, v21, s5
	v_mul_f32_e32 v9, 0x37800000, v8
	s_delay_alu instid0(VALU_DEP_1) | instskip(SKIP_1) | instid1(VALU_DEP_2)
	v_cndmask_b32_e32 v8, v8, v9, vcc_lo
	v_cmp_class_f32_e64 vcc_lo, v7, 0x260
	v_cndmask_b32_e32 v21, v8, v7, vcc_lo
.LBB43_32:                              ;   in Loop: Header=BB43_5 Depth=1
	s_or_b32 exec_lo, exec_lo, s26
.LBB43_33:                              ;   in Loop: Header=BB43_5 Depth=1
	s_delay_alu instid0(SALU_CYCLE_1) | instskip(NEXT) | instid1(SALU_CYCLE_1)
	s_or_b32 exec_lo, exec_lo, s6
	s_mov_b32 s26, exec_lo
                                        ; implicit-def: $sgpr5
                                        ; implicit-def: $vgpr9
                                        ; implicit-def: $vgpr25
	v_cmpx_ngt_f32_e64 0x21000000, |v10|
	s_xor_b32 s26, exec_lo, s26
	s_cbranch_execz .LBB43_57
; %bb.34:                               ;   in Loop: Header=BB43_5 Depth=1
	v_and_b32_e32 v8, 0x7fffffff, v10
	s_mov_b32 s5, 0
	s_mov_b32 s27, exec_lo
	s_delay_alu instid0(VALU_DEP_1) | instskip(NEXT) | instid1(VALU_DEP_1)
	v_div_scale_f32 v7, null, v6, v6, v8
	v_rcp_f32_e32 v9, v7
	v_nop
	s_delay_alu instid0(TRANS32_DEP_1) | instskip(NEXT) | instid1(VALU_DEP_1)
	v_fma_f32 v25, -v7, v9, 1.0
	v_fmac_f32_e32 v9, v25, v9
	v_div_scale_f32 v25, vcc_lo, v8, v6, v8
	s_delay_alu instid0(VALU_DEP_1) | instskip(NEXT) | instid1(VALU_DEP_1)
	v_mul_f32_e32 v37, v25, v9
	v_fma_f32 v38, -v7, v37, v25
	s_delay_alu instid0(VALU_DEP_1) | instskip(NEXT) | instid1(VALU_DEP_1)
	v_fmac_f32_e32 v37, v38, v9
	v_fma_f32 v7, -v7, v37, v25
	s_delay_alu instid0(VALU_DEP_1) | instskip(NEXT) | instid1(VALU_DEP_1)
	v_div_fmas_f32 v7, v7, v9, v37
	v_div_fixup_f32 v25, v7, v6, |v10|
	s_delay_alu instid0(VALU_DEP_1)
	v_cmpx_lt_f32_e32 0x3f244674, v25
	s_cbranch_execz .LBB43_56
; %bb.35:                               ;   in Loop: Header=BB43_5 Depth=1
	v_cmp_neq_f32_e64 s5, |v10|, 1.0
	v_cmp_ngt_f32_e64 s6, 0x30800000, |v11|
	s_or_b32 s5, s5, s6
	s_delay_alu instid0(SALU_CYCLE_1) | instskip(NEXT) | instid1(SALU_CYCLE_1)
	s_and_saveexec_b32 s6, s5
	s_xor_b32 s6, exec_lo, s6
	s_cbranch_execz .LBB43_53
; %bb.36:                               ;   in Loop: Header=BB43_5 Depth=1
	v_mul_f32_e64 v7, 0x34000000, |v1|
	s_mov_b32 s28, exec_lo
	s_delay_alu instid0(VALU_DEP_1)
	v_cmpx_ge_f32_e64 |v11|, v7
	s_xor_b32 s28, exec_lo, s28
	s_cbranch_execz .LBB43_46
; %bb.37:                               ;   in Loop: Header=BB43_5 Depth=1
	v_mov_b32_e32 v7, v35
	s_mov_b32 s5, exec_lo
	v_cmpx_neq_f32_e32 0, v30
	s_cbranch_execz .LBB43_39
; %bb.38:                               ;   in Loop: Header=BB43_5 Depth=1
	v_dual_mul_f32 v7, v11, v11 :: v_dual_add_f32 v9, v30, v36
	s_delay_alu instid0(VALU_DEP_1) | instskip(NEXT) | instid1(VALU_DEP_1)
	v_div_scale_f32 v30, null, v9, v9, v7
	v_rcp_f32_e32 v36, v30
	v_nop
	s_delay_alu instid0(TRANS32_DEP_1) | instskip(NEXT) | instid1(VALU_DEP_1)
	v_fma_f32 v37, -v30, v36, 1.0
	v_fmac_f32_e32 v36, v37, v36
	v_div_scale_f32 v37, vcc_lo, v7, v9, v7
	s_delay_alu instid0(VALU_DEP_1) | instskip(NEXT) | instid1(VALU_DEP_1)
	v_mul_f32_e32 v38, v37, v36
	v_fma_f32 v39, -v30, v38, v37
	s_delay_alu instid0(VALU_DEP_1) | instskip(NEXT) | instid1(VALU_DEP_1)
	v_fmac_f32_e32 v38, v39, v36
	v_fma_f32 v30, -v30, v38, v37
	s_delay_alu instid0(VALU_DEP_1) | instskip(NEXT) | instid1(VALU_DEP_1)
	v_div_fmas_f32 v30, v30, v36, v38
	v_div_fixup_f32 v7, v30, v9, v7
.LBB43_39:                              ;   in Loop: Header=BB43_5 Depth=1
	s_or_b32 exec_lo, exec_lo, s5
	s_delay_alu instid0(SALU_CYCLE_1)
	s_mov_b32 s5, exec_lo
	v_cmpx_ngt_f32_e32 0, v1
	s_xor_b32 s5, exec_lo, s5
	s_cbranch_execz .LBB43_43
; %bb.40:                               ;   in Loop: Header=BB43_5 Depth=1
	s_mov_b32 s29, exec_lo
	v_cmpx_neq_f32_e32 0, v1
	s_cbranch_execz .LBB43_42
; %bb.41:                               ;   in Loop: Header=BB43_5 Depth=1
	v_mul_f32_e32 v9, v11, v11
	v_add_f32_e32 v1, v1, v31
	s_delay_alu instid0(VALU_DEP_1) | instskip(NEXT) | instid1(VALU_DEP_1)
	v_div_scale_f32 v30, null, v1, v1, v9
	v_rcp_f32_e32 v31, v30
	v_nop
	s_delay_alu instid0(TRANS32_DEP_1) | instskip(NEXT) | instid1(VALU_DEP_1)
	v_fma_f32 v35, -v30, v31, 1.0
	v_fmac_f32_e32 v31, v35, v31
	v_div_scale_f32 v35, vcc_lo, v9, v1, v9
	s_delay_alu instid0(VALU_DEP_1) | instskip(NEXT) | instid1(VALU_DEP_1)
	v_mul_f32_e32 v36, v35, v31
	v_fma_f32 v37, -v30, v36, v35
	s_delay_alu instid0(VALU_DEP_1) | instskip(NEXT) | instid1(VALU_DEP_1)
	v_fmac_f32_e32 v36, v37, v31
	v_fma_f32 v30, -v30, v36, v35
	s_delay_alu instid0(VALU_DEP_1) | instskip(NEXT) | instid1(VALU_DEP_1)
	v_div_fmas_f32 v30, v30, v31, v36
	v_div_fixup_f32 v35, v30, v1, v9
.LBB43_42:                              ;   in Loop: Header=BB43_5 Depth=1
	s_or_b32 exec_lo, exec_lo, s29
                                        ; implicit-def: $vgpr31
                                        ; implicit-def: $vgpr1
.LBB43_43:                              ;   in Loop: Header=BB43_5 Depth=1
	s_and_not1_saveexec_b32 s5, s5
; %bb.44:                               ;   in Loop: Header=BB43_5 Depth=1
	v_sub_f32_e32 v35, v31, v1
; %bb.45:                               ;   in Loop: Header=BB43_5 Depth=1
	s_or_b32 exec_lo, exec_lo, s5
	v_mul_f32_e32 v31, 0.5, v7
	s_delay_alu instid0(VALU_DEP_2) | instskip(SKIP_1) | instid1(VALU_DEP_1)
	v_mul_f32_e32 v7, 0.5, v35
	v_and_b32_e32 v30, 0x7fffffff, v10
	v_pk_add_f32 v[6:7], v[30:31], v[6:7]
	s_delay_alu instid0(VALU_DEP_1) | instskip(NEXT) | instid1(VALU_DEP_1)
	v_mul_f32_e32 v1, v6, v7
	v_mul_f32_e32 v6, 0x4f800000, v1
	v_cmp_gt_f32_e32 vcc_lo, 0xf800000, v1
	s_delay_alu instid0(VALU_DEP_2) | instskip(NEXT) | instid1(VALU_DEP_1)
	v_cndmask_b32_e32 v1, v1, v6, vcc_lo
	v_sqrt_f32_e32 v6, v1
	v_nop
	s_delay_alu instid0(TRANS32_DEP_1) | instskip(NEXT) | instid1(VALU_DEP_1)
	v_dual_add_nc_u32 v7, -1, v6 :: v_dual_add_nc_u32 v9, 1, v6
	v_fma_f32 v30, -v7, v6, v1
	s_delay_alu instid0(VALU_DEP_1) | instskip(NEXT) | instid1(VALU_DEP_3)
	v_cmp_ge_f32_e64 s5, 0, v30
	v_fma_f32 v31, -v9, v6, v1
                                        ; implicit-def: $vgpr30
	s_delay_alu instid0(VALU_DEP_2) | instskip(NEXT) | instid1(VALU_DEP_2)
	v_cndmask_b32_e64 v6, v6, v7, s5
	v_cmp_lt_f32_e64 s5, 0, v31
	s_delay_alu instid0(VALU_DEP_1) | instskip(NEXT) | instid1(VALU_DEP_1)
	v_cndmask_b32_e64 v6, v6, v9, s5
	v_mul_f32_e32 v7, 0x37800000, v6
	s_delay_alu instid0(VALU_DEP_1) | instskip(SKIP_1) | instid1(VALU_DEP_2)
	v_cndmask_b32_e32 v6, v6, v7, vcc_lo
	v_cmp_class_f32_e64 vcc_lo, v1, 0x260
	v_cndmask_b32_e32 v9, v6, v1, vcc_lo
                                        ; implicit-def: $vgpr1
.LBB43_46:                              ;   in Loop: Header=BB43_5 Depth=1
	s_and_not1_saveexec_b32 s28, s28
	s_cbranch_execz .LBB43_52
; %bb.47:                               ;   in Loop: Header=BB43_5 Depth=1
	s_mov_b32 s29, exec_lo
	v_cmpx_ngt_f32_e64 |v10|, 1.0
	s_xor_b32 s29, exec_lo, s29
	s_cbranch_execz .LBB43_49
; %bb.48:                               ;   in Loop: Header=BB43_5 Depth=1
	v_sub_f32_e64 v1, 1.0, |v10|
	s_delay_alu instid0(VALU_DEP_1) | instskip(NEXT) | instid1(VALU_DEP_1)
	v_mul_f32_e32 v1, v1, v30
	v_mul_f32_e32 v6, 0x4f800000, v1
	v_cmp_gt_f32_e32 vcc_lo, 0xf800000, v1
	s_delay_alu instid0(VALU_DEP_2) | instskip(NEXT) | instid1(VALU_DEP_1)
	v_cndmask_b32_e32 v1, v1, v6, vcc_lo
	v_sqrt_f32_e32 v6, v1
	v_nop
	s_delay_alu instid0(TRANS32_DEP_1) | instskip(NEXT) | instid1(VALU_DEP_1)
	v_dual_add_nc_u32 v7, -1, v6 :: v_dual_add_nc_u32 v9, 1, v6
	v_dual_fma_f32 v30, -v7, v6, v1 :: v_dual_fma_f32 v31, -v9, v6, v1
	s_delay_alu instid0(VALU_DEP_1) | instskip(NEXT) | instid1(VALU_DEP_1)
	v_cmp_ge_f32_e64 s5, 0, v30
                                        ; implicit-def: $vgpr30
	v_cndmask_b32_e64 v6, v6, v7, s5
	s_delay_alu instid0(VALU_DEP_3) | instskip(NEXT) | instid1(VALU_DEP_1)
	v_cmp_lt_f32_e64 s5, 0, v31
	v_cndmask_b32_e64 v6, v6, v9, s5
	s_delay_alu instid0(VALU_DEP_1) | instskip(NEXT) | instid1(VALU_DEP_1)
	v_mul_f32_e32 v7, 0x37800000, v6
	v_cndmask_b32_e32 v6, v6, v7, vcc_lo
	v_cmp_class_f32_e64 vcc_lo, v1, 0x260
	s_delay_alu instid0(VALU_DEP_2)
	v_cndmask_b32_e32 v9, v6, v1, vcc_lo
                                        ; implicit-def: $vgpr1
.LBB43_49:                              ;   in Loop: Header=BB43_5 Depth=1
	s_and_not1_saveexec_b32 s29, s29
	s_cbranch_execz .LBB43_51
; %bb.50:                               ;   in Loop: Header=BB43_5 Depth=1
	v_mul_f32_e32 v1, v30, v1
	s_delay_alu instid0(VALU_DEP_1) | instskip(SKIP_1) | instid1(VALU_DEP_2)
	v_mul_f32_e32 v6, 0x4f800000, v1
	v_cmp_gt_f32_e32 vcc_lo, 0xf800000, v1
	v_cndmask_b32_e32 v1, v1, v6, vcc_lo
	s_delay_alu instid0(VALU_DEP_1) | instskip(SKIP_1) | instid1(TRANS32_DEP_1)
	v_sqrt_f32_e32 v6, v1
	v_nop
	v_dual_add_nc_u32 v7, -1, v6 :: v_dual_add_nc_u32 v8, 1, v6
	s_delay_alu instid0(VALU_DEP_1) | instskip(NEXT) | instid1(VALU_DEP_1)
	v_dual_fma_f32 v9, -v7, v6, v1 :: v_dual_fma_f32 v30, -v8, v6, v1
	v_cmp_ge_f32_e64 s5, 0, v9
	s_delay_alu instid0(VALU_DEP_1) | instskip(NEXT) | instid1(VALU_DEP_3)
	v_cndmask_b32_e64 v6, v6, v7, s5
	v_cmp_lt_f32_e64 s5, 0, v30
	s_delay_alu instid0(VALU_DEP_1) | instskip(SKIP_1) | instid1(VALU_DEP_2)
	v_cndmask_b32_e64 v6, v6, v8, s5
	v_mul_f32_e64 v8, 0x57800000, |v11|
	v_mul_f32_e32 v7, 0x37800000, v6
	s_delay_alu instid0(VALU_DEP_1) | instskip(SKIP_1) | instid1(VALU_DEP_4)
	v_cndmask_b32_e32 v6, v6, v7, vcc_lo
	v_cmp_class_f32_e64 vcc_lo, v1, 0x260
	v_mul_f32_e64 v7, |v10|, v8
	s_delay_alu instid0(VALU_DEP_3) | instskip(NEXT) | instid1(VALU_DEP_1)
	v_cndmask_b32_e32 v1, v6, v1, vcc_lo
	v_div_scale_f32 v6, null, v1, v1, v7
	v_div_scale_f32 v30, vcc_lo, v7, v1, v7
	s_delay_alu instid0(VALU_DEP_2) | instskip(SKIP_1) | instid1(TRANS32_DEP_1)
	v_rcp_f32_e32 v8, v6
	v_nop
	v_fma_f32 v9, -v6, v8, 1.0
	s_delay_alu instid0(VALU_DEP_1) | instskip(NEXT) | instid1(VALU_DEP_1)
	v_fmac_f32_e32 v8, v9, v8
	v_mul_f32_e32 v9, v30, v8
	s_delay_alu instid0(VALU_DEP_1) | instskip(NEXT) | instid1(VALU_DEP_1)
	v_fma_f32 v31, -v6, v9, v30
	v_fmac_f32_e32 v9, v31, v8
	s_delay_alu instid0(VALU_DEP_1) | instskip(NEXT) | instid1(VALU_DEP_1)
	v_fma_f32 v6, -v6, v9, v30
	v_div_fmas_f32 v6, v6, v8, v9
	v_mul_f32_e64 v8, 0x57800000, |v10|
	s_delay_alu instid0(VALU_DEP_2)
	v_div_fixup_f32 v9, v6, v1, v7
.LBB43_51:                              ;   in Loop: Header=BB43_5 Depth=1
	s_or_b32 exec_lo, exec_lo, s29
.LBB43_52:                              ;   in Loop: Header=BB43_5 Depth=1
	s_delay_alu instid0(SALU_CYCLE_1)
	s_or_b32 exec_lo, exec_lo, s28
                                        ; implicit-def: $vgpr6
.LBB43_53:                              ;   in Loop: Header=BB43_5 Depth=1
	s_and_not1_saveexec_b32 s28, s6
	s_cbranch_execz .LBB43_55
; %bb.54:                               ;   in Loop: Header=BB43_5 Depth=1
	v_add_f32_e32 v1, 1.0, v6
	v_mul_f32_e64 v6, 0x4f800000, |v11|
	v_cmp_gt_f32_e64 vcc_lo, 0xf800000, |v11|
	s_delay_alu instid0(VALU_DEP_3) | instskip(NEXT) | instid1(VALU_DEP_2)
	v_mul_f32_e32 v1, 0.5, v1
	v_cndmask_b32_e64 v6, |v11|, v6, vcc_lo
	s_delay_alu instid0(VALU_DEP_2) | instskip(SKIP_1) | instid1(VALU_DEP_1)
	v_mul_f32_e32 v7, 0x4f800000, v1
	v_cmp_gt_f32_e64 s5, 0xf800000, v1
	v_cndmask_b32_e64 v1, v1, v7, s5
	s_delay_alu instid0(VALU_DEP_4) | instskip(SKIP_1) | instid1(TRANS32_DEP_1)
	v_sqrt_f32_e32 v7, v6
	v_nop
	v_add_nc_u32_e32 v31, 1, v7
	s_delay_alu instid0(VALU_DEP_3) | instskip(SKIP_1) | instid1(TRANS32_DEP_1)
	v_sqrt_f32_e32 v8, v1
	v_nop
	v_dual_add_nc_u32 v9, -1, v7 :: v_dual_add_nc_u32 v30, -1, v8
	s_delay_alu instid0(VALU_DEP_1) | instskip(NEXT) | instid1(VALU_DEP_2)
	v_dual_fma_f32 v35, -v9, v7, v6 :: v_dual_add_nc_u32 v36, 1, v8
	v_dual_fma_f32 v38, -v31, v7, v6 :: v_dual_fma_f32 v37, -v30, v8, v1
	s_delay_alu instid0(VALU_DEP_2) | instskip(NEXT) | instid1(VALU_DEP_1)
	v_cmp_ge_f32_e64 s6, 0, v35
	v_cndmask_b32_e64 v7, v7, v9, s6
	s_delay_alu instid0(VALU_DEP_3) | instskip(SKIP_1) | instid1(VALU_DEP_2)
	v_cmp_ge_f32_e64 s6, 0, v37
	v_fma_f32 v9, -v36, v8, v1
	v_cndmask_b32_e64 v8, v8, v30, s6
	v_cmp_lt_f32_e64 s6, 0, v38
	s_delay_alu instid0(VALU_DEP_1) | instskip(NEXT) | instid1(VALU_DEP_4)
	v_cndmask_b32_e64 v7, v7, v31, s6
	v_cmp_lt_f32_e64 s6, 0, v9
	s_delay_alu instid0(VALU_DEP_1) | instskip(NEXT) | instid1(VALU_DEP_1)
	v_cndmask_b32_e64 v8, v8, v36, s6
	v_dual_mul_f32 v9, 0x37800000, v7 :: v_dual_mul_f32 v30, 0x37800000, v8
	s_delay_alu instid0(VALU_DEP_1) | instskip(SKIP_1) | instid1(VALU_DEP_3)
	v_cndmask_b32_e32 v7, v7, v9, vcc_lo
	v_cmp_class_f32_e64 vcc_lo, v6, 0x260
	v_cndmask_b32_e64 v8, v8, v30, s5
	s_delay_alu instid0(VALU_DEP_3) | instskip(SKIP_1) | instid1(VALU_DEP_3)
	v_cndmask_b32_e32 v6, v7, v6, vcc_lo
	v_cmp_class_f32_e64 vcc_lo, v1, 0x260
	v_dual_cndmask_b32 v1, v8, v1 :: v_dual_mov_b32 v8, 1.0
	s_delay_alu instid0(VALU_DEP_1)
	v_mul_f32_e32 v9, v6, v1
.LBB43_55:                              ;   in Loop: Header=BB43_5 Depth=1
	s_or_b32 exec_lo, exec_lo, s28
	s_delay_alu instid0(SALU_CYCLE_1)
	s_mov_b32 s5, exec_lo
.LBB43_56:                              ;   in Loop: Header=BB43_5 Depth=1
	s_or_b32 exec_lo, exec_lo, s27
                                        ; implicit-def: $vgpr6
.LBB43_57:                              ;   in Loop: Header=BB43_5 Depth=1
	s_and_not1_saveexec_b32 s6, s26
; %bb.58:                               ;   in Loop: Header=BB43_5 Depth=1
	v_and_b32_e32 v8, 0x7fffffff, v10
	v_mov_b32_e32 v9, v6
	s_or_b32 s5, s5, exec_lo
                                        ; implicit-def: $vgpr25
	s_delay_alu instid0(VALU_DEP_1)
	v_pk_mul_f32 v[8:9], v[8:9], s[16:17] op_sel_hi:[1,0]
; %bb.59:                               ;   in Loop: Header=BB43_5 Depth=1
	s_or_b32 exec_lo, exec_lo, s6
	s_xor_b32 s5, s5, -1
                                        ; implicit-def: $vgpr6
	s_delay_alu instid0(SALU_CYCLE_1) | instskip(NEXT) | instid1(SALU_CYCLE_1)
	s_and_saveexec_b32 s6, s5
	s_xor_b32 s6, exec_lo, s6
	s_cbranch_execz .LBB43_65
; %bb.60:                               ;   in Loop: Header=BB43_5 Depth=1
                                        ; implicit-def: $vgpr6
	s_and_saveexec_b32 s5, s4
	s_delay_alu instid0(SALU_CYCLE_1)
	s_xor_b32 s5, exec_lo, s5
	s_cbranch_execz .LBB43_62
; %bb.61:                               ;   in Loop: Header=BB43_5 Depth=1
	v_fma_f32 v1, |v25|, -0.5, 0.5
	v_mul_f32_e32 v6, v25, v25
	v_cmp_gt_f32_e64 vcc_lo, |v25|, 0.5
	s_delay_alu instid0(VALU_DEP_2) | instskip(NEXT) | instid1(VALU_DEP_1)
	v_cndmask_b32_e32 v1, v6, v1, vcc_lo
	v_sqrt_f32_e32 v7, v1
	v_fmaak_f32 v6, s19, v1, 0x3c5fc5da
	s_delay_alu instid0(VALU_DEP_1) | instskip(NEXT) | instid1(VALU_DEP_1)
	v_fmaak_f32 v6, v1, v6, 0x3d034c3c
	v_fmaak_f32 v6, v1, v6, 0x3d3641b1
	s_delay_alu instid0(VALU_DEP_1) | instskip(NEXT) | instid1(VALU_DEP_1)
	v_fmaak_f32 v6, v1, v6, 0x3d999bc8
	v_fmaak_f32 v6, v1, v6, 0x3e2aaaac
	s_delay_alu instid0(VALU_DEP_1) | instskip(NEXT) | instid1(VALU_DEP_1)
	v_mul_f32_e32 v1, v1, v6
	v_fmac_f32_e32 v25, v25, v1
	s_delay_alu instid0(VALU_DEP_1) | instskip(SKIP_1) | instid1(VALU_DEP_1)
	v_sub_f32_e32 v6, 0x3fc90fdb, v25
	v_fmac_f32_e32 v7, v7, v1
                                        ; implicit-def: $vgpr25
	v_add_f32_e32 v1, v7, v7
	s_delay_alu instid0(VALU_DEP_1)
	v_cndmask_b32_e32 v6, v6, v1, vcc_lo
.LBB43_62:                              ;   in Loop: Header=BB43_5 Depth=1
	s_and_not1_saveexec_b32 s26, s5
	s_cbranch_execz .LBB43_64
; %bb.63:                               ;   in Loop: Header=BB43_5 Depth=1
	v_fma_f32 v1, |v25|, -0.5, 0.5
	v_mul_f32_e32 v6, v25, v25
	v_cmp_gt_f32_e64 vcc_lo, |v25|, 0.5
	v_cmp_lt_f32_e64 s5, 0, v25
	s_delay_alu instid0(VALU_DEP_3) | instskip(NEXT) | instid1(VALU_DEP_1)
	v_cndmask_b32_e32 v1, v6, v1, vcc_lo
	v_sqrt_f32_e32 v7, v1
	v_fmaak_f32 v6, s19, v1, 0x3c5fc5da
	s_delay_alu instid0(VALU_DEP_1) | instskip(NEXT) | instid1(VALU_DEP_1)
	v_fmaak_f32 v6, v1, v6, 0x3d034c3c
	v_fmaak_f32 v6, v1, v6, 0x3d3641b1
	s_delay_alu instid0(VALU_DEP_1) | instskip(NEXT) | instid1(VALU_DEP_1)
	v_fmaak_f32 v6, v1, v6, 0x3d999bc8
	v_fmaak_f32 v6, v1, v6, 0x3e2aaaac
	s_delay_alu instid0(VALU_DEP_1) | instskip(NEXT) | instid1(VALU_DEP_1)
	v_mul_f32_e32 v1, v1, v6
	v_fmac_f32_e32 v7, v7, v1
	s_delay_alu instid0(VALU_DEP_1) | instskip(NEXT) | instid1(VALU_DEP_1)
	v_add_f32_e32 v6, v7, v7
	v_sub_f32_e32 v7, 0x40490fdb, v6
	s_delay_alu instid0(VALU_DEP_1) | instskip(NEXT) | instid1(VALU_DEP_1)
	v_dual_cndmask_b32 v6, v6, v7, s5 :: v_dual_fma_f32 v1, -v25, v1, -v25
	v_sub_f32_e32 v1, 0x3fc90fdb, v1
	s_delay_alu instid0(VALU_DEP_1)
	v_cndmask_b32_e32 v6, v1, v6, vcc_lo
.LBB43_64:                              ;   in Loop: Header=BB43_5 Depth=1
	s_or_b32 exec_lo, exec_lo, s26
                                        ; implicit-def: $vgpr8
.LBB43_65:                              ;   in Loop: Header=BB43_5 Depth=1
	s_and_not1_saveexec_b32 s5, s6
	s_cbranch_execz .LBB43_71
; %bb.66:                               ;   in Loop: Header=BB43_5 Depth=1
	v_max_num_f32_e64 v1, |v9|, |v9|
	v_max_num_f32_e32 v6, v8, v8
	v_cmp_gt_f32_e64 vcc_lo, |v9|, v8
	s_delay_alu instid0(VALU_DEP_2) | instskip(NEXT) | instid1(VALU_DEP_1)
	v_dual_max_num_f32 v7, v6, v1 :: v_dual_min_num_f32 v1, v6, v1
	v_frexp_mant_f32_e32 v25, v7
	v_frexp_exp_i32_f32_e32 v7, v7
	s_delay_alu instid0(VALU_DEP_2) | instskip(SKIP_3) | instid1(VALU_DEP_1)
	v_rcp_f32_e32 v6, v25
	v_nop
	v_frexp_mant_f32_e32 v25, v1
	v_frexp_exp_i32_f32_e32 v1, v1
	v_sub_nc_u32_e32 v1, v1, v7
	s_delay_alu instid0(TRANS32_DEP_1) | instid1(VALU_DEP_3)
	v_mul_f32_e32 v6, v25, v6
	s_delay_alu instid0(VALU_DEP_1) | instskip(NEXT) | instid1(VALU_DEP_1)
	v_ldexp_f32 v1, v6, v1
	v_mul_f32_e32 v6, v1, v1
	s_delay_alu instid0(VALU_DEP_1) | instskip(NEXT) | instid1(VALU_DEP_1)
	v_fmaak_f32 v7, s20, v6, 0xbc7a590c
	v_fmaak_f32 v7, v6, v7, 0x3d29fb3f
	s_delay_alu instid0(VALU_DEP_1) | instskip(NEXT) | instid1(VALU_DEP_1)
	v_fmaak_f32 v7, v6, v7, 0xbd97d4d7
	v_fmaak_f32 v7, v6, v7, 0x3dd931b2
	;; [unrolled: 3-line block ×3, first 2 shown]
	s_delay_alu instid0(VALU_DEP_1) | instskip(NEXT) | instid1(VALU_DEP_1)
	v_fmaak_f32 v7, v6, v7, 0xbeaaaa62
	v_mul_f32_e32 v6, v6, v7
	s_delay_alu instid0(VALU_DEP_1) | instskip(NEXT) | instid1(VALU_DEP_1)
	v_fmac_f32_e32 v1, v1, v6
	v_sub_f32_e32 v6, 0x3fc90fdb, v1
	s_delay_alu instid0(VALU_DEP_1) | instskip(SKIP_1) | instid1(SALU_CYCLE_1)
	v_cndmask_b32_e32 v1, v1, v6, vcc_lo
                                        ; implicit-def: $vgpr6
	s_and_saveexec_b32 s6, s4
	s_xor_b32 s6, exec_lo, s6
	s_cbranch_execz .LBB43_68
; %bb.67:                               ;   in Loop: Header=BB43_5 Depth=1
	v_cmp_neq_f32_e64 s4, 0, v9
	v_cmp_eq_f32_e32 vcc_lo, 0x7f800000, v8
	v_cmp_class_f32_e64 s26, v9, 0x204
	s_delay_alu instid0(VALU_DEP_3) | instskip(SKIP_2) | instid1(VALU_DEP_2)
	v_cndmask_b32_e64 v1, 0, v1, s4
	s_and_b32 s4, vcc_lo, s26
	v_cmp_o_f32_e32 vcc_lo, v9, v9
	v_cndmask_b32_e64 v1, v1, 0x3f490fdb, s4
	s_delay_alu instid0(VALU_DEP_1) | instskip(NEXT) | instid1(VALU_DEP_1)
	v_cndmask_b32_e32 v1, 0x7fc00000, v1, vcc_lo
	v_bfi_b32 v6, 0x7fffffff, v1, v9
                                        ; implicit-def: $vgpr1
                                        ; implicit-def: $vgpr8
.LBB43_68:                              ;   in Loop: Header=BB43_5 Depth=1
	s_and_not1_saveexec_b32 s6, s6
	s_cbranch_execz .LBB43_70
; %bb.69:                               ;   in Loop: Header=BB43_5 Depth=1
	v_sub_f32_e32 v6, 0x40490fdb, v1
	v_cmp_lt_f32_e32 vcc_lo, 0, v8
	v_cmp_neq_f32_e64 s4, 0, v9
	v_cmp_class_f32_e64 s26, v9, 0x204
	s_delay_alu instid0(VALU_DEP_4) | instskip(SKIP_1) | instid1(VALU_DEP_2)
	v_cndmask_b32_e32 v1, v1, v6, vcc_lo
	v_cmp_eq_f32_e32 vcc_lo, 0x7f800000, v8
	v_cndmask_b32_e64 v1, 0x40490fdb, v1, s4
	s_and_b32 s4, vcc_lo, s26
	v_cmp_o_f32_e32 vcc_lo, v9, v9
	s_delay_alu instid0(VALU_DEP_2) | instskip(NEXT) | instid1(VALU_DEP_1)
	v_cndmask_b32_e64 v1, v1, 0x4016cbe4, s4
	v_cndmask_b32_e32 v1, 0x7fc00000, v1, vcc_lo
	s_delay_alu instid0(VALU_DEP_1)
	v_bfi_b32 v6, 0x7fffffff, v1, v9
.LBB43_70:                              ;   in Loop: Header=BB43_5 Depth=1
	s_or_b32 exec_lo, exec_lo, s6
.LBB43_71:                              ;   in Loop: Header=BB43_5 Depth=1
	s_delay_alu instid0(SALU_CYCLE_1)
	s_or_b32 exec_lo, exec_lo, s5
	v_cndmask_b32_e64 v7, -v21, v21, s2
.LBB43_72:                              ;   in Loop: Header=BB43_5 Depth=1
	s_and_not1_saveexec_b32 s4, s25
	s_cbranch_execz .LBB43_74
; %bb.73:                               ;   in Loop: Header=BB43_5 Depth=1
	s_wait_dscnt 0x0
	flat_load_b32 v1, v[16:17] scope:SCOPE_SYS
	s_wait_loadcnt_dscnt 0x0
	v_sub_f32_e32 v1, v1, v10
	s_delay_alu instid0(VALU_DEP_1)
	v_add_f32_e32 v6, 0x3fc90fdb, v1
.LBB43_74:                              ;   in Loop: Header=BB43_5 Depth=1
	s_or_b32 exec_lo, exec_lo, s4
.LBB43_75:                              ;   in Loop: Header=BB43_5 Depth=1
	s_and_not1_saveexec_b32 s4, s24
; %bb.76:                               ;   in Loop: Header=BB43_5 Depth=1
	v_mov_b32_e32 v6, 0
; %bb.77:                               ;   in Loop: Header=BB43_5 Depth=1
	s_or_b32 exec_lo, exec_lo, s4
                                        ; implicit-def: $vgpr9
                                        ; implicit-def: $vgpr8
                                        ; implicit-def: $vgpr1
.LBB43_78:                              ;   in Loop: Header=BB43_5 Depth=1
	s_and_not1_saveexec_b32 s6, s23
	s_cbranch_execz .LBB43_88
; %bb.79:                               ;   in Loop: Header=BB43_5 Depth=1
	v_cmp_lt_f32_e64 s4, |v10|, |v11|
                                        ; implicit-def: $vgpr7
                                        ; implicit-def: $vgpr6
	s_mov_b32 s5, exec_lo
	v_cndmask_b32_e64 v21, |v10|, |v11|, s4
	s_delay_alu instid0(VALU_DEP_1)
	v_cmpx_nlt_f32_e32 0x7effffff, v21
	s_xor_b32 s23, exec_lo, s5
	s_cbranch_execz .LBB43_85
; %bb.80:                               ;   in Loop: Header=BB43_5 Depth=1
	v_cndmask_b32_e64 v25, |v11|, |v10|, s4
	v_cmp_nlt_f32_e32 vcc_lo, 0x5e000000, v21
                                        ; implicit-def: $vgpr7
                                        ; implicit-def: $vgpr6
	s_delay_alu instid0(VALU_DEP_2) | instskip(SKIP_1) | instid1(SALU_CYCLE_1)
	v_cmp_ngt_f32_e64 s5, 0x20000000, v25
	s_and_b32 s5, vcc_lo, s5
	s_and_saveexec_b32 s24, s5
	s_delay_alu instid0(SALU_CYCLE_1)
	s_xor_b32 s24, exec_lo, s24
	s_cbranch_execz .LBB43_82
; %bb.81:                               ;   in Loop: Header=BB43_5 Depth=1
	s_wait_dscnt 0x0
	v_frexp_mant_f32_e32 v6, v1
	v_frexp_exp_i32_f32_e32 v1, v1
	v_min_num_f32_e32 v7, v9, v8
	s_delay_alu instid0(VALU_DEP_3) | instskip(NEXT) | instid1(VALU_DEP_1)
	v_rcp_f32_e32 v6, v6
	v_frexp_exp_i32_f32_e32 v8, v7
	s_delay_alu instid0(VALU_DEP_1)
	v_sub_nc_u32_e32 v1, v8, v1
	v_frexp_mant_f32_e32 v7, v7
	s_delay_alu instid0(TRANS32_DEP_1) | instid1(VALU_DEP_1)
	v_dual_mul_f32 v9, v25, v25 :: v_dual_mul_f32 v6, v7, v6
	s_delay_alu instid0(VALU_DEP_1) | instskip(NEXT) | instid1(VALU_DEP_1)
	v_ldexp_f32 v6, v6, v1
	v_dual_fmac_f32 v9, v21, v21 :: v_dual_mul_f32 v7, v6, v6
	s_delay_alu instid0(VALU_DEP_1) | instskip(SKIP_1) | instid1(VALU_DEP_1)
	v_cmp_gt_f32_e32 vcc_lo, 0x800000, v9
	v_cndmask_b32_e64 v1, 0, 32, vcc_lo
	v_ldexp_f32 v1, v9, v1
	s_delay_alu instid0(VALU_DEP_1) | instskip(SKIP_1) | instid1(TRANS32_DEP_1)
	v_log_f32_e32 v1, v1
	v_nop
	v_mul_f32_e32 v9, 0x3f317217, v1
	v_cmp_gt_f32_e64 s5, 0x7f800000, |v1|
	s_delay_alu instid0(VALU_DEP_2) | instskip(NEXT) | instid1(VALU_DEP_1)
	v_fma_f32 v9, 0x3f317217, v1, -v9
	v_fmac_f32_e32 v9, 0x3377d1cf, v1
	s_delay_alu instid0(VALU_DEP_1) | instskip(NEXT) | instid1(VALU_DEP_1)
	v_fmac_f32_e32 v9, 0x3f317217, v1
	v_cndmask_b32_e64 v1, v1, v9, s5
	v_cndmask_b32_e64 v9, 0, 0x41b17218, vcc_lo
	s_delay_alu instid0(VALU_DEP_1) | instskip(NEXT) | instid1(VALU_DEP_1)
	v_dual_fmaak_f32 v8, s20, v7, 0xbc7a590c :: v_dual_sub_f32 v1, v1, v9
	v_fmaak_f32 v8, v7, v8, 0x3d29fb3f
                                        ; implicit-def: $vgpr9
	s_delay_alu instid0(VALU_DEP_1) | instskip(NEXT) | instid1(VALU_DEP_1)
	v_fmaak_f32 v8, v7, v8, 0xbd97d4d7
	v_fmaak_f32 v8, v7, v8, 0x3dd931b2
	s_delay_alu instid0(VALU_DEP_1) | instskip(NEXT) | instid1(VALU_DEP_1)
	v_fmaak_f32 v8, v7, v8, 0xbe1160e6
	v_fmaak_f32 v8, v7, v8, 0x3e4cb8bf
	s_delay_alu instid0(VALU_DEP_1) | instskip(NEXT) | instid1(VALU_DEP_1)
	v_fmaak_f32 v8, v7, v8, 0xbeaaaa62
	v_dual_mul_f32 v8, v7, v8 :: v_dual_mul_f32 v7, 0.5, v1
                                        ; implicit-def: $vgpr1
	s_delay_alu instid0(VALU_DEP_1)
	v_fmac_f32_e32 v6, v6, v8
                                        ; implicit-def: $vgpr8
.LBB43_82:                              ;   in Loop: Header=BB43_5 Depth=1
	s_and_not1_saveexec_b32 s5, s24
	s_cbranch_execz .LBB43_84
; %bb.83:                               ;   in Loop: Header=BB43_5 Depth=1
	s_wait_dscnt 0x0
	v_cvt_f64_f32_e32 v[6:7], v1
	v_frexp_mant_f32_e32 v25, v1
	v_cmp_neq_f32_e32 vcc_lo, 0x7f800000, v1
	s_delay_alu instid0(VALU_DEP_3) | instskip(NEXT) | instid1(VALU_DEP_1)
	v_frexp_exp_i32_f64_e32 v6, v[6:7]
	v_sub_nc_u32_e32 v7, 0, v6
	s_delay_alu instid0(VALU_DEP_1) | instskip(NEXT) | instid1(VALU_DEP_1)
	v_ldexp_f32 v21, |v11|, v7
	v_mul_f32_e32 v21, v21, v21
	v_ldexp_f32 v7, |v10|, v7
	v_min_num_f32_e32 v8, v9, v8
	v_rcp_f32_e32 v9, v25
	s_delay_alu instid0(VALU_DEP_2) | instskip(SKIP_1) | instid1(VALU_DEP_3)
	v_fmac_f32_e32 v21, v7, v7
	v_frexp_exp_i32_f32_e32 v7, v1
	v_frexp_exp_i32_f32_e32 v25, v8
	v_frexp_mant_f32_e32 v8, v8
	s_delay_alu instid0(VALU_DEP_4)
	v_sqrt_f32_e32 v21, v21
	s_delay_alu instid0(TRANS32_DEP_2) | instid1(VALU_DEP_1)
	v_dual_mul_f32 v8, v8, v9 :: v_dual_sub_nc_u32 v7, v25, v7
	s_delay_alu instid0(TRANS32_DEP_1) | instskip(NEXT) | instid1(VALU_DEP_2)
	v_ldexp_f32 v9, v21, v6
	v_ldexp_f32 v6, v8, v7
	s_delay_alu instid0(VALU_DEP_1) | instskip(NEXT) | instid1(VALU_DEP_3)
	v_mul_f32_e32 v7, v6, v6
	v_cndmask_b32_e32 v1, 0x7f800000, v9, vcc_lo
	s_delay_alu instid0(VALU_DEP_2) | instskip(NEXT) | instid1(VALU_DEP_2)
	v_fmaak_f32 v9, s20, v7, 0xbc7a590c
	v_cmp_gt_f32_e32 vcc_lo, 0x800000, v1
	v_cndmask_b32_e64 v8, 0, 32, vcc_lo
	v_cndmask_b32_e64 v21, 0, 0x41b17218, vcc_lo
	s_delay_alu instid0(VALU_DEP_2) | instskip(SKIP_1) | instid1(VALU_DEP_2)
	v_ldexp_f32 v1, v1, v8
	v_fmaak_f32 v8, v7, v9, 0x3d29fb3f
	v_log_f32_e32 v1, v1
	v_nop
	s_delay_alu instid0(TRANS32_DEP_1) | instskip(SKIP_1) | instid1(VALU_DEP_2)
	v_mul_f32_e32 v9, 0x3f317217, v1
	v_cmp_gt_f32_e64 vcc_lo, 0x7f800000, |v1|
	v_fma_f32 v9, 0x3f317217, v1, -v9
	s_delay_alu instid0(VALU_DEP_1) | instskip(NEXT) | instid1(VALU_DEP_1)
	v_fmac_f32_e32 v9, 0x3377d1cf, v1
	v_fmac_f32_e32 v9, 0x3f317217, v1
	s_delay_alu instid0(VALU_DEP_1) | instskip(NEXT) | instid1(VALU_DEP_1)
	v_dual_cndmask_b32 v1, v1, v9 :: v_dual_fmaak_f32 v8, v7, v8, 0xbd97d4d7
	v_fmaak_f32 v8, v7, v8, 0x3dd931b2
	s_delay_alu instid0(VALU_DEP_1) | instskip(NEXT) | instid1(VALU_DEP_1)
	v_fmaak_f32 v8, v7, v8, 0xbe1160e6
	v_fmaak_f32 v8, v7, v8, 0x3e4cb8bf
	s_delay_alu instid0(VALU_DEP_1) | instskip(NEXT) | instid1(VALU_DEP_1)
	v_fmaak_f32 v8, v7, v8, 0xbeaaaa62
	v_dual_mul_f32 v8, v7, v8 :: v_dual_sub_f32 v7, v1, v21
	s_delay_alu instid0(VALU_DEP_1)
	v_fmac_f32_e32 v6, v6, v8
.LBB43_84:                              ;   in Loop: Header=BB43_5 Depth=1
	s_or_b32 exec_lo, exec_lo, s5
                                        ; implicit-def: $vgpr9
                                        ; implicit-def: $vgpr8
                                        ; implicit-def: $vgpr1
.LBB43_85:                              ;   in Loop: Header=BB43_5 Depth=1
	s_and_not1_saveexec_b32 s23, s23
	s_cbranch_execz .LBB43_87
; %bb.86:                               ;   in Loop: Header=BB43_5 Depth=1
	v_div_scale_f32 v6, null, 0x402df854, 0x402df854, v10
	v_div_scale_f32 v7, null, 0x402df854, 0x402df854, v11
	v_div_scale_f32 v35, vcc_lo, v10, 0x402df854, v10
	s_delay_alu instid0(VALU_DEP_3) | instskip(NEXT) | instid1(VALU_DEP_2)
	v_rcp_f32_e32 v21, v6
	v_rcp_f32_e32 v25, v7
	v_min_num_f32_e32 v8, v9, v8
	s_delay_alu instid0(TRANS32_DEP_2) | instskip(NEXT) | instid1(TRANS32_DEP_1)
	v_fma_f32 v30, -v6, v21, 1.0
	v_fma_f32 v31, -v7, v25, 1.0
	s_delay_alu instid0(VALU_DEP_2) | instskip(SKIP_1) | instid1(VALU_DEP_3)
	v_fmac_f32_e32 v21, v30, v21
	v_div_scale_f32 v30, s5, v11, 0x402df854, v11
	v_fmac_f32_e32 v25, v31, v25
	s_delay_alu instid0(VALU_DEP_1) | instskip(NEXT) | instid1(VALU_DEP_1)
	v_mul_f32_e32 v36, v30, v25
	v_fma_f32 v38, -v7, v36, v30
	v_mul_f32_e32 v31, v35, v21
	s_delay_alu instid0(VALU_DEP_1) | instskip(NEXT) | instid1(VALU_DEP_3)
	v_fma_f32 v37, -v6, v31, v35
	v_fmac_f32_e32 v36, v38, v25
	s_delay_alu instid0(VALU_DEP_1) | instskip(NEXT) | instid1(VALU_DEP_1)
	v_dual_fmac_f32 v31, v37, v21 :: v_dual_fma_f32 v7, -v7, v36, v30
	v_fma_f32 v6, -v6, v31, v35
	s_delay_alu instid0(VALU_DEP_1) | instskip(SKIP_1) | instid1(VALU_DEP_3)
	v_div_fmas_f32 v6, v6, v21, v31
	s_mov_b32 vcc_lo, s5
	v_div_fmas_f32 v7, v7, v25, v36
	s_delay_alu instid0(VALU_DEP_2) | instskip(NEXT) | instid1(VALU_DEP_2)
	v_div_fixup_f32 v21, v6, 0x402df854, v10
	v_div_fixup_f32 v25, v7, 0x402df854, v11
	s_delay_alu instid0(VALU_DEP_1) | instskip(NEXT) | instid1(VALU_DEP_1)
	v_max_num_f32_e64 v30, |v21|, |v25|
	v_cvt_f64_f32_e32 v[6:7], v30
	v_cmp_neq_f32_e32 vcc_lo, 0x7f800000, v30
	s_delay_alu instid0(VALU_DEP_2) | instskip(NEXT) | instid1(VALU_DEP_1)
	v_frexp_exp_i32_f64_e32 v6, v[6:7]
	v_sub_nc_u32_e32 v7, 0, v6
	s_delay_alu instid0(VALU_DEP_1) | instskip(SKIP_1) | instid1(VALU_DEP_2)
	v_ldexp_f32 v25, |v25|, v7
	v_ldexp_f32 v7, |v21|, v7
	v_mul_f32_e32 v21, v25, v25
	s_delay_alu instid0(VALU_DEP_1) | instskip(SKIP_3) | instid1(VALU_DEP_3)
	v_fmac_f32_e32 v21, v7, v7
	s_wait_dscnt 0x0
	v_frexp_mant_f32_e32 v7, v1
	v_frexp_exp_i32_f32_e32 v1, v1
	v_sqrt_f32_e32 v9, v21
	s_delay_alu instid0(VALU_DEP_2) | instskip(SKIP_2) | instid1(TRANS32_DEP_2)
	v_rcp_f32_e32 v7, v7
	v_frexp_exp_i32_f32_e32 v21, v8
	v_frexp_mant_f32_e32 v8, v8
	v_ldexp_f32 v6, v9, v6
	s_delay_alu instid0(TRANS32_DEP_1) | instid1(VALU_DEP_2)
	v_dual_sub_nc_u32 v1, v21, v1 :: v_dual_mul_f32 v7, v8, v7
	s_delay_alu instid0(VALU_DEP_2) | instskip(NEXT) | instid1(VALU_DEP_2)
	v_cndmask_b32_e32 v8, 0x7f800000, v6, vcc_lo
	v_ldexp_f32 v6, v7, v1
	s_delay_alu instid0(VALU_DEP_1) | instskip(NEXT) | instid1(VALU_DEP_3)
	v_mul_f32_e32 v7, v6, v6
	v_cmp_gt_f32_e32 vcc_lo, 0x800000, v8
	v_cndmask_b32_e64 v1, 0, 32, vcc_lo
	v_cndmask_b32_e64 v21, 0, 0x41b17218, vcc_lo
	s_delay_alu instid0(VALU_DEP_2) | instskip(NEXT) | instid1(VALU_DEP_1)
	v_ldexp_f32 v1, v8, v1
	v_log_f32_e32 v1, v1
	v_nop
	s_delay_alu instid0(TRANS32_DEP_1) | instskip(SKIP_1) | instid1(VALU_DEP_2)
	v_mul_f32_e32 v9, 0x3f317217, v1
	v_cmp_gt_f32_e64 vcc_lo, 0x7f800000, |v1|
	v_fma_f32 v9, 0x3f317217, v1, -v9
	s_delay_alu instid0(VALU_DEP_1) | instskip(NEXT) | instid1(VALU_DEP_1)
	v_fmac_f32_e32 v9, 0x3377d1cf, v1
	v_fmac_f32_e32 v9, 0x3f317217, v1
	s_delay_alu instid0(VALU_DEP_1) | instskip(NEXT) | instid1(VALU_DEP_1)
	v_cndmask_b32_e32 v1, v1, v9, vcc_lo
	v_dual_fmaak_f32 v8, s20, v7, 0xbc7a590c :: v_dual_sub_f32 v1, v1, v21
	s_delay_alu instid0(VALU_DEP_1) | instskip(NEXT) | instid1(VALU_DEP_1)
	v_fmaak_f32 v8, v7, v8, 0x3d29fb3f
	v_fmaak_f32 v8, v7, v8, 0xbd97d4d7
	s_delay_alu instid0(VALU_DEP_1) | instskip(NEXT) | instid1(VALU_DEP_1)
	v_fmaak_f32 v8, v7, v8, 0x3dd931b2
	v_fmaak_f32 v8, v7, v8, 0xbe1160e6
	;; [unrolled: 3-line block ×3, first 2 shown]
	s_delay_alu instid0(VALU_DEP_1) | instskip(NEXT) | instid1(VALU_DEP_1)
	v_dual_mul_f32 v8, v7, v8 :: v_dual_add_f32 v7, 1.0, v1
	v_fmac_f32_e32 v6, v6, v8
.LBB43_87:                              ;   in Loop: Header=BB43_5 Depth=1
	s_or_b32 exec_lo, exec_lo, s23
	s_wait_dscnt 0x0
	s_delay_alu instid0(VALU_DEP_1) | instskip(SKIP_4) | instid1(VALU_DEP_4)
	v_sub_f32_e32 v1, 0x3fc90fdb, v6
	v_add_f32_e32 v7, 0x3f317218, v7
	v_cmp_gt_f32_e32 vcc_lo, 0, v10
	v_cndmask_b32_e64 v8, 0, 0x40490fdb, s3
	v_cmp_class_f32_e64 s3, v10, 0x204
	v_dual_cndmask_b32 v1, v6, v1, s4 :: v_dual_cndmask_b32 v7, -v7, v7, s2
	v_cmp_class_f32_e64 s4, v11, 0x204
	s_delay_alu instid0(VALU_DEP_2) | instskip(NEXT) | instid1(VALU_DEP_1)
	v_sub_f32_e32 v6, 0x40490fdb, v1
	v_cndmask_b32_e32 v1, v1, v6, vcc_lo
	v_cndmask_b32_e32 v6, 0x3f490fdb, v34, vcc_lo
	v_cmp_eq_f32_e32 vcc_lo, 0, v11
	s_delay_alu instid0(VALU_DEP_3) | instskip(SKIP_1) | instid1(VALU_DEP_1)
	v_cndmask_b32_e64 v1, |v1|, v8, vcc_lo
	s_and_b32 vcc_lo, s3, s4
	v_cndmask_b32_e32 v6, v1, v6, vcc_lo
.LBB43_88:                              ;   in Loop: Header=BB43_5 Depth=1
	s_or_b32 exec_lo, exec_lo, s6
.LBB43_89:                              ;   in Loop: Header=BB43_5 Depth=1
	s_and_not1_saveexec_b32 s2, s22
	s_cbranch_execz .LBB43_103
; %bb.90:                               ;   in Loop: Header=BB43_5 Depth=1
	v_cmp_neq_f32_e64 s3, 0x7f800000, |v10|
                                        ; implicit-def: $vgpr7
	s_and_saveexec_b32 s4, s3
	s_delay_alu instid0(SALU_CYCLE_1)
	s_xor_b32 s3, exec_lo, s4
	s_cbranch_execz .LBB43_100
; %bb.91:                               ;   in Loop: Header=BB43_5 Depth=1
	v_cmp_neq_f32_e64 s4, 0x7f800000, |v11|
	v_xor_b32_e32 v7, 0x80000000, v11
	s_and_saveexec_b32 s5, s4
	s_delay_alu instid0(SALU_CYCLE_1)
	s_xor_b32 s4, exec_lo, s5
	s_cbranch_execz .LBB43_97
; %bb.92:                               ;   in Loop: Header=BB43_5 Depth=1
	s_mov_b32 s5, exec_lo
                                        ; implicit-def: $vgpr7
	v_cmpx_neq_f32_e32 0, v10
	s_xor_b32 s5, exec_lo, s5
	s_cbranch_execz .LBB43_94
; %bb.93:                               ;   in Loop: Header=BB43_5 Depth=1
	s_wait_dscnt 0x0
	v_add_f32_e32 v1, 0, v11
	s_delay_alu instid0(VALU_DEP_1)
	v_add_f32_e32 v7, v10, v1
.LBB43_94:                              ;   in Loop: Header=BB43_5 Depth=1
	s_or_saveexec_b32 s5, s5
	s_delay_alu instid0(VALU_DEP_1)
	v_mov_b32_e32 v6, v7
	s_xor_b32 exec_lo, exec_lo, s5
	s_cbranch_execz .LBB43_96
; %bb.95:                               ;   in Loop: Header=BB43_5 Depth=1
	s_wait_dscnt 0x0
	flat_load_b32 v1, v[16:17] scope:SCOPE_SYS
	s_wait_loadcnt_dscnt 0x0
	v_dual_add_f32 v7, v11, v11 :: v_dual_add_f32 v6, 0x3fc90fdb, v1
.LBB43_96:                              ;   in Loop: Header=BB43_5 Depth=1
	s_or_b32 exec_lo, exec_lo, s5
.LBB43_97:                              ;   in Loop: Header=BB43_5 Depth=1
	s_and_not1_saveexec_b32 s4, s4
; %bb.98:                               ;   in Loop: Header=BB43_5 Depth=1
	v_add_f32_e32 v6, v10, v10
; %bb.99:                               ;   in Loop: Header=BB43_5 Depth=1
	s_or_b32 exec_lo, exec_lo, s4
.LBB43_100:                             ;   in Loop: Header=BB43_5 Depth=1
	s_and_not1_saveexec_b32 s3, s3
; %bb.101:                              ;   in Loop: Header=BB43_5 Depth=1
	v_dual_add_f32 v6, v11, v11 :: v_dual_mov_b32 v7, 0xff800000
; %bb.102:                              ;   in Loop: Header=BB43_5 Depth=1
	s_or_b32 exec_lo, exec_lo, s3
.LBB43_103:                             ;   in Loop: Header=BB43_5 Depth=1
	s_delay_alu instid0(SALU_CYCLE_1)
	s_or_b32 exec_lo, exec_lo, s2
	flat_store_b32 v[16:17], v32 scope:SCOPE_SYS
	s_wait_storecnt 0x0
	s_mov_b32 s2, exec_lo
	s_wait_xcnt 0x0
	v_cmpx_o_f32_e32 v12, v13
	s_xor_b32 s22, exec_lo, s2
	s_cbranch_execz .LBB43_187
; %bb.104:                              ;   in Loop: Header=BB43_5 Depth=1
	v_max_num_f32_e64 v11, |v13|, |v13|
	v_max_num_f32_e64 v10, |v12|, |v12|
	v_cmp_gt_i32_e64 s3, 0, v12
	v_cmp_lt_i32_e64 s4, -1, v12
	v_cmp_gt_i32_e64 s2, 0, v13
	s_mov_b32 s5, exec_lo
	s_wait_dscnt 0x1
	v_max_num_f32_e32 v1, v10, v11
	s_delay_alu instid0(VALU_DEP_1)
	v_cmpx_nlt_f32_e32 0x4b000000, v1
	s_xor_b32 s23, exec_lo, s5
	s_cbranch_execz .LBB43_176
; %bb.105:                              ;   in Loop: Header=BB43_5 Depth=1
	v_cmp_neq_f32_e32 vcc_lo, 1.0, v12
	v_cmp_neq_f32_e64 s5, 0, v13
	v_xor_b32_e32 v9, 0x80000000, v13
	s_or_b32 s5, vcc_lo, s5
	s_delay_alu instid0(SALU_CYCLE_1) | instskip(NEXT) | instid1(SALU_CYCLE_1)
	s_and_saveexec_b32 s6, s5
	s_xor_b32 s24, exec_lo, s6
	s_cbranch_execz .LBB43_173
; %bb.106:                              ;   in Loop: Header=BB43_5 Depth=1
	flat_store_b32 v[18:19], v33 scope:SCOPE_SYS
	s_wait_storecnt 0x0
	flat_load_b32 v1, v[18:19] scope:SCOPE_SYS
	s_wait_loadcnt 0x0
	v_cmp_ngt_f32_e64 s5, 0x395db3d7, |v12|
	v_cmp_ngt_f32_e64 s6, 0x395db3d7, |v13|
	v_xor_b32_e32 v9, 0x80000000, v13
	s_or_b32 s5, s5, s6
	s_wait_dscnt 0x0
	v_add_f32_e32 v1, 1.0, v1
	flat_store_b32 v[22:23], v1 scope:SCOPE_SYS
	s_wait_storecnt 0x0
	flat_load_b32 v1, v[22:23] scope:SCOPE_SYS
	s_wait_loadcnt 0x0
	s_wait_xcnt 0x0
	s_and_saveexec_b32 s6, s5
	s_delay_alu instid0(SALU_CYCLE_1)
	s_xor_b32 s25, exec_lo, s6
	s_cbranch_execz .LBB43_170
; %bb.107:                              ;   in Loop: Header=BB43_5 Depth=1
	v_add_f32_e64 v10, |v12|, 1.0
	s_wait_dscnt 0x0
	v_add_f32_e64 v1, |v12|, -1.0
	s_mov_b32 s5, exec_lo
	s_delay_alu instid0(VALU_DEP_2) | instskip(NEXT) | instid1(VALU_DEP_2)
	v_max_num_f32_e32 v21, v11, v10
	v_max_num_f32_e64 v11, v11, |v1|
	s_delay_alu instid0(VALU_DEP_2) | instskip(NEXT) | instid1(VALU_DEP_2)
	v_cvt_f64_f32_e32 v[8:9], v21
	v_cvt_f64_f32_e32 v[30:31], v11
	s_delay_alu instid0(VALU_DEP_2) | instskip(NEXT) | instid1(VALU_DEP_2)
	v_frexp_exp_i32_f64_e32 v8, v[8:9]
	v_frexp_exp_i32_f64_e32 v9, v[30:31]
	s_delay_alu instid0(VALU_DEP_2) | instskip(SKIP_1) | instid1(VALU_DEP_2)
	v_sub_nc_u32_e32 v25, 0, v8
	v_cmp_neq_f32_e32 vcc_lo, 0x7f800000, v21
                                        ; implicit-def: $vgpr21
	v_ldexp_f32 v31, v10, v25
	s_delay_alu instid0(VALU_DEP_4) | instskip(SKIP_1) | instid1(VALU_DEP_3)
	v_sub_nc_u32_e32 v30, 0, v9
	v_ldexp_f32 v25, |v13|, v25
	v_mul_f32_e32 v31, v31, v31
	s_delay_alu instid0(VALU_DEP_3) | instskip(SKIP_1) | instid1(VALU_DEP_2)
	v_ldexp_f32 v35, |v1|, v30
	v_ldexp_f32 v30, |v13|, v30
	v_dual_fmac_f32 v31, v25, v25 :: v_dual_mul_f32 v35, v35, v35
	s_delay_alu instid0(VALU_DEP_1) | instskip(SKIP_1) | instid1(TRANS32_DEP_1)
	v_sqrt_f32_e32 v25, v31
	v_nop
	v_ldexp_f32 v8, v25, v8
	s_delay_alu instid0(VALU_DEP_1) | instskip(NEXT) | instid1(VALU_DEP_1)
	v_dual_fmac_f32 v35, v30, v30 :: v_dual_cndmask_b32 v36, 0x7f800000, v8
	v_sqrt_f32_e32 v30, v35
	v_cmp_neq_f32_e32 vcc_lo, 0x7f800000, v11
	s_delay_alu instid0(TRANS32_DEP_1) | instskip(NEXT) | instid1(VALU_DEP_1)
	v_ldexp_f32 v9, v30, v9
	v_cndmask_b32_e32 v11, 0x7f800000, v9, vcc_lo
	s_delay_alu instid0(VALU_DEP_1) | instskip(NEXT) | instid1(VALU_DEP_1)
	v_add_f32_e32 v8, v36, v11
	v_mul_f32_e32 v8, 0.5, v8
	s_delay_alu instid0(VALU_DEP_1) | instskip(SKIP_1) | instid1(VALU_DEP_1)
	v_cmp_ngt_f32_e32 vcc_lo, 1.0, v8
	v_cndmask_b32_e32 v8, 1.0, v8, vcc_lo
	v_cmpx_ngt_f32_e32 0x41200000, v8
	s_xor_b32 s6, exec_lo, s5
	s_cbranch_execz .LBB43_109
; %bb.108:                              ;   in Loop: Header=BB43_5 Depth=1
	v_fma_f32 v9, v8, v8, -1.0
	s_delay_alu instid0(VALU_DEP_1) | instskip(SKIP_1) | instid1(VALU_DEP_2)
	v_mul_f32_e32 v21, 0x4f800000, v9
	v_cmp_gt_f32_e32 vcc_lo, 0xf800000, v9
	v_cndmask_b32_e32 v9, v9, v21, vcc_lo
	s_delay_alu instid0(VALU_DEP_1) | instskip(SKIP_1) | instid1(TRANS32_DEP_1)
	v_sqrt_f32_e32 v21, v9
	v_nop
	v_dual_add_nc_u32 v25, -1, v21 :: v_dual_add_nc_u32 v30, 1, v21
	s_delay_alu instid0(VALU_DEP_1) | instskip(NEXT) | instid1(VALU_DEP_1)
	v_dual_fma_f32 v31, -v25, v21, v9 :: v_dual_fma_f32 v35, -v30, v21, v9
	v_cmp_ge_f32_e64 s5, 0, v31
	s_delay_alu instid0(VALU_DEP_1) | instskip(NEXT) | instid1(VALU_DEP_3)
	v_cndmask_b32_e64 v21, v21, v25, s5
	v_cmp_lt_f32_e64 s5, 0, v35
	s_delay_alu instid0(VALU_DEP_1) | instskip(NEXT) | instid1(VALU_DEP_1)
	v_cndmask_b32_e64 v21, v21, v30, s5
	v_mul_f32_e32 v25, 0x37800000, v21
	s_delay_alu instid0(VALU_DEP_1) | instskip(SKIP_1) | instid1(VALU_DEP_2)
	v_cndmask_b32_e32 v21, v21, v25, vcc_lo
	v_cmp_class_f32_e64 vcc_lo, v9, 0x260
	v_cndmask_b32_e32 v9, v21, v9, vcc_lo
	s_delay_alu instid0(VALU_DEP_1) | instskip(NEXT) | instid1(VALU_DEP_1)
	v_add_f32_e32 v9, v8, v9
	v_cmp_gt_f32_e32 vcc_lo, 0x800000, v9
	s_delay_alu instid0(VALU_DEP_4) | instskip(NEXT) | instid1(VALU_DEP_1)
	v_cndmask_b32_e64 v21, 0, 32, vcc_lo
	v_ldexp_f32 v9, v9, v21
	s_delay_alu instid0(VALU_DEP_1) | instskip(SKIP_1) | instid1(TRANS32_DEP_1)
	v_log_f32_e32 v9, v9
	v_nop
	v_mul_f32_e32 v21, 0x3f317217, v9
	v_cmp_gt_f32_e64 s5, 0x7f800000, |v9|
	s_delay_alu instid0(VALU_DEP_2) | instskip(NEXT) | instid1(VALU_DEP_1)
	v_fma_f32 v21, 0x3f317217, v9, -v21
	v_fmac_f32_e32 v21, 0x3377d1cf, v9
	s_delay_alu instid0(VALU_DEP_1) | instskip(NEXT) | instid1(VALU_DEP_1)
	v_fmac_f32_e32 v21, 0x3f317217, v9
	v_cndmask_b32_e64 v9, v9, v21, s5
	v_cndmask_b32_e64 v21, 0, 0x41b17218, vcc_lo
	s_delay_alu instid0(VALU_DEP_1)
	v_sub_f32_e32 v21, v9, v21
.LBB43_109:                             ;   in Loop: Header=BB43_5 Depth=1
	s_or_saveexec_b32 s6, s6
	v_and_b32_e32 v35, 0x7fffffff, v13
	s_xor_b32 exec_lo, exec_lo, s6
	s_cbranch_execz .LBB43_131
; %bb.110:                              ;   in Loop: Header=BB43_5 Depth=1
	v_cmp_neq_f32_e64 s5, |v12|, 1.0
	v_cmp_ngt_f32_e64 s26, 0x25000000, |v13|
                                        ; implicit-def: $vgpr21
	s_or_b32 s5, s5, s26
	s_delay_alu instid0(SALU_CYCLE_1) | instskip(NEXT) | instid1(SALU_CYCLE_1)
	s_and_saveexec_b32 s26, s5
	s_xor_b32 s26, exec_lo, s26
	s_cbranch_execz .LBB43_128
; %bb.111:                              ;   in Loop: Header=BB43_5 Depth=1
	v_mul_f32_e64 v9, 0x34000000, |v1|
	s_mov_b32 s27, exec_lo
                                        ; implicit-def: $vgpr21
	s_delay_alu instid0(VALU_DEP_1)
	v_cmpx_ge_f32_e64 |v13|, v9
	s_xor_b32 s27, exec_lo, s27
	s_cbranch_execz .LBB43_121
; %bb.112:                              ;   in Loop: Header=BB43_5 Depth=1
	v_mov_b32_e32 v9, v35
	s_mov_b32 s5, exec_lo
	v_cmpx_neq_f32_e32 0, v10
	s_cbranch_execz .LBB43_114
; %bb.113:                              ;   in Loop: Header=BB43_5 Depth=1
	v_dual_mul_f32 v9, v13, v13 :: v_dual_add_f32 v21, v10, v36
	s_delay_alu instid0(VALU_DEP_1) | instskip(NEXT) | instid1(VALU_DEP_1)
	v_div_scale_f32 v25, null, v21, v21, v9
	v_rcp_f32_e32 v30, v25
	v_nop
	s_delay_alu instid0(TRANS32_DEP_1) | instskip(NEXT) | instid1(VALU_DEP_1)
	v_fma_f32 v31, -v25, v30, 1.0
	v_fmac_f32_e32 v30, v31, v30
	v_div_scale_f32 v31, vcc_lo, v9, v21, v9
	s_delay_alu instid0(VALU_DEP_1) | instskip(NEXT) | instid1(VALU_DEP_1)
	v_mul_f32_e32 v37, v31, v30
	v_fma_f32 v38, -v25, v37, v31
	s_delay_alu instid0(VALU_DEP_1) | instskip(NEXT) | instid1(VALU_DEP_1)
	v_fmac_f32_e32 v37, v38, v30
	v_fma_f32 v25, -v25, v37, v31
	s_delay_alu instid0(VALU_DEP_1) | instskip(NEXT) | instid1(VALU_DEP_1)
	v_div_fmas_f32 v25, v25, v30, v37
	v_div_fixup_f32 v9, v25, v21, v9
.LBB43_114:                             ;   in Loop: Header=BB43_5 Depth=1
	s_or_b32 exec_lo, exec_lo, s5
	v_sub_f32_e64 v25, 1.0, |v12|
	s_mov_b32 s5, exec_lo
                                        ; implicit-def: $vgpr21
	s_delay_alu instid0(VALU_DEP_1)
	v_cmpx_ngt_f32_e32 0, v25
	s_xor_b32 s5, exec_lo, s5
	s_cbranch_execz .LBB43_118
; %bb.115:                              ;   in Loop: Header=BB43_5 Depth=1
	v_mov_b32_e32 v21, v35
	s_mov_b32 s28, exec_lo
	v_cmpx_neq_f32_e32 0, v25
	s_cbranch_execz .LBB43_117
; %bb.116:                              ;   in Loop: Header=BB43_5 Depth=1
	v_mul_f32_e32 v21, v13, v13
	v_add_f32_e32 v25, v25, v11
	s_delay_alu instid0(VALU_DEP_1) | instskip(NEXT) | instid1(VALU_DEP_1)
	v_div_scale_f32 v30, null, v25, v25, v21
	v_rcp_f32_e32 v31, v30
	v_nop
	s_delay_alu instid0(TRANS32_DEP_1) | instskip(NEXT) | instid1(VALU_DEP_1)
	v_fma_f32 v37, -v30, v31, 1.0
	v_fmac_f32_e32 v31, v37, v31
	v_div_scale_f32 v37, vcc_lo, v21, v25, v21
	s_delay_alu instid0(VALU_DEP_1) | instskip(NEXT) | instid1(VALU_DEP_1)
	v_mul_f32_e32 v38, v37, v31
	v_fma_f32 v39, -v30, v38, v37
	s_delay_alu instid0(VALU_DEP_1) | instskip(NEXT) | instid1(VALU_DEP_1)
	v_fmac_f32_e32 v38, v39, v31
	v_fma_f32 v30, -v30, v38, v37
	s_delay_alu instid0(VALU_DEP_1) | instskip(NEXT) | instid1(VALU_DEP_1)
	v_div_fmas_f32 v30, v30, v31, v38
	v_div_fixup_f32 v21, v30, v25, v21
.LBB43_117:                             ;   in Loop: Header=BB43_5 Depth=1
	s_or_b32 exec_lo, exec_lo, s28
                                        ; implicit-def: $vgpr25
.LBB43_118:                             ;   in Loop: Header=BB43_5 Depth=1
	s_and_not1_saveexec_b32 s5, s5
; %bb.119:                              ;   in Loop: Header=BB43_5 Depth=1
	v_sub_f32_e32 v21, v11, v25
; %bb.120:                              ;   in Loop: Header=BB43_5 Depth=1
	s_or_b32 exec_lo, exec_lo, s5
	v_mul_f32_e32 v9, 0.5, v9
	s_delay_alu instid0(VALU_DEP_2) | instskip(NEXT) | instid1(VALU_DEP_1)
	v_mul_f32_e32 v21, 0.5, v21
	v_pk_add_f32 v[30:31], v[8:9], v[20:21]
	s_delay_alu instid0(VALU_DEP_1) | instskip(NEXT) | instid1(VALU_DEP_1)
	v_mul_f32_e32 v9, v30, v31
	v_mul_f32_e32 v21, 0x4f800000, v9
	v_cmp_gt_f32_e32 vcc_lo, 0xf800000, v9
	s_delay_alu instid0(VALU_DEP_2) | instskip(NEXT) | instid1(VALU_DEP_1)
	v_cndmask_b32_e32 v9, v9, v21, vcc_lo
	v_sqrt_f32_e32 v21, v9
	v_nop
	s_delay_alu instid0(TRANS32_DEP_1) | instskip(NEXT) | instid1(VALU_DEP_1)
	v_dual_add_nc_u32 v25, -1, v21 :: v_dual_add_nc_u32 v30, 1, v21
	v_dual_fma_f32 v37, -v25, v21, v9 :: v_dual_fma_f32 v38, -v30, v21, v9
	s_delay_alu instid0(VALU_DEP_1) | instskip(NEXT) | instid1(VALU_DEP_1)
	v_cmp_ge_f32_e64 s5, 0, v37
	v_cndmask_b32_e64 v21, v21, v25, s5
	s_delay_alu instid0(VALU_DEP_3) | instskip(NEXT) | instid1(VALU_DEP_1)
	v_cmp_lt_f32_e64 s5, 0, v38
	v_cndmask_b32_e64 v21, v21, v30, s5
	s_delay_alu instid0(VALU_DEP_1) | instskip(NEXT) | instid1(VALU_DEP_1)
	v_mul_f32_e32 v25, 0x37800000, v21
	v_cndmask_b32_e32 v21, v21, v25, vcc_lo
	v_cmp_class_f32_e64 vcc_lo, v9, 0x260
	s_delay_alu instid0(VALU_DEP_2) | instskip(NEXT) | instid1(VALU_DEP_1)
	v_cndmask_b32_e32 v9, v21, v9, vcc_lo
	v_add_f32_e32 v30, v31, v9
	s_delay_alu instid0(VALU_DEP_1) | instskip(NEXT) | instid1(VALU_DEP_1)
	v_add_f32_e32 v39, 1.0, v30
	v_cvt_f64_f32_e32 v[40:41], v39
	v_frexp_mant_f32_e32 v21, v39
	v_add_f32_e32 v31, -1.0, v39
	s_delay_alu instid0(VALU_DEP_2) | instskip(NEXT) | instid1(VALU_DEP_2)
	v_cmp_gt_f32_e32 vcc_lo, 0x3f2aaaab, v21
	v_mov_b32_e32 v38, v31
	v_frexp_exp_i32_f64_e32 v9, v[40:41]
	s_delay_alu instid0(VALU_DEP_2) | instskip(NEXT) | instid1(VALU_DEP_2)
	v_pk_add_f32 v[40:41], v[30:31], v[38:39] neg_lo:[0,1] neg_hi:[0,1]
	v_subrev_co_ci_u32_e64 v9, null, 0, v9, vcc_lo
	v_cmp_neq_f32_e32 vcc_lo, 0x7f800000, v30
	s_delay_alu instid0(VALU_DEP_2) | instskip(NEXT) | instid1(VALU_DEP_1)
	v_sub_nc_u32_e32 v21, 0, v9
	v_ldexp_f32 v25, v39, v21
	s_delay_alu instid0(VALU_DEP_1) | instskip(SKIP_1) | instid1(VALU_DEP_1)
	v_add_f32_e32 v43, -1.0, v25
	v_add_f32_e32 v31, 1.0, v41
	v_dual_add_f32 v37, 1.0, v25 :: v_dual_add_f32 v31, v40, v31
	s_delay_alu instid0(VALU_DEP_1) | instskip(NEXT) | instid1(VALU_DEP_2)
	v_ldexp_f32 v21, v31, v21
	v_add_f32_e32 v38, -1.0, v37
	s_delay_alu instid0(VALU_DEP_1) | instskip(NEXT) | instid1(VALU_DEP_1)
	v_dual_sub_f32 v31, v25, v38 :: v_dual_add_f32 v38, 1.0, v43
	v_add_f32_e32 v31, v21, v31
	s_delay_alu instid0(VALU_DEP_2) | instskip(NEXT) | instid1(VALU_DEP_1)
	v_sub_f32_e32 v25, v25, v38
	v_add_f32_e32 v21, v21, v25
	s_delay_alu instid0(VALU_DEP_1) | instskip(NEXT) | instid1(VALU_DEP_1)
	v_dual_add_f32 v44, v37, v31 :: v_dual_add_f32 v39, v43, v21
	v_rcp_f32_e32 v25, v44
	v_nop
	s_delay_alu instid0(TRANS32_DEP_1) | instskip(NEXT) | instid1(VALU_DEP_1)
	v_mul_f32_e32 v45, v39, v25
	v_mul_f32_e32 v40, v44, v45
	s_delay_alu instid0(VALU_DEP_1) | instskip(NEXT) | instid1(VALU_DEP_1)
	v_dual_sub_f32 v37, v44, v37 :: v_dual_fma_f32 v42, v45, v44, -v40
	v_sub_f32_e32 v31, v31, v37
	v_sub_f32_e32 v37, v39, v43
	s_delay_alu instid0(VALU_DEP_2) | instskip(NEXT) | instid1(VALU_DEP_1)
	v_fmac_f32_e32 v42, v45, v31
	v_dual_sub_f32 v21, v21, v37 :: v_dual_add_f32 v38, v40, v42
	s_delay_alu instid0(VALU_DEP_1) | instskip(NEXT) | instid1(VALU_DEP_1)
	v_dual_sub_f32 v41, v39, v38 :: v_dual_mov_b32 v43, v38
	v_pk_add_f32 v[38:39], v[38:39], v[40:41] neg_lo:[0,1] neg_hi:[0,1]
	s_delay_alu instid0(VALU_DEP_1) | instskip(NEXT) | instid1(VALU_DEP_1)
	v_pk_add_f32 v[38:39], v[38:39], v[42:43] neg_lo:[0,1] neg_hi:[0,1]
	v_add_f32_e32 v21, v21, v39
	s_delay_alu instid0(VALU_DEP_1) | instskip(NEXT) | instid1(VALU_DEP_1)
	v_add_f32_e32 v21, v38, v21
	v_add_f32_e32 v39, v41, v21
	s_delay_alu instid0(VALU_DEP_1) | instskip(NEXT) | instid1(VALU_DEP_1)
	v_mul_f32_e32 v37, v25, v39
	v_mul_f32_e32 v42, v44, v37
	s_delay_alu instid0(VALU_DEP_1) | instskip(NEXT) | instid1(VALU_DEP_1)
	v_fma_f32 v40, v37, v44, -v42
	v_fmac_f32_e32 v40, v37, v31
	s_delay_alu instid0(VALU_DEP_1) | instskip(NEXT) | instid1(VALU_DEP_1)
	v_dual_add_f32 v38, v42, v40 :: v_dual_sub_f32 v31, v41, v39
	v_dual_sub_f32 v43, v39, v38 :: v_dual_mov_b32 v41, v38
	s_delay_alu instid0(VALU_DEP_2) | instskip(SKIP_1) | instid1(VALU_DEP_3)
	v_add_f32_e32 v21, v21, v31
	v_add_f32_e32 v31, v45, v37
	v_pk_add_f32 v[38:39], v[38:39], v[42:43] neg_lo:[0,1] neg_hi:[0,1]
	s_delay_alu instid0(VALU_DEP_1) | instskip(NEXT) | instid1(VALU_DEP_1)
	v_pk_add_f32 v[38:39], v[38:39], v[40:41] neg_lo:[0,1] neg_hi:[0,1]
	v_add_f32_e32 v21, v21, v39
	s_delay_alu instid0(VALU_DEP_1) | instskip(SKIP_1) | instid1(VALU_DEP_1)
	v_add_f32_e32 v21, v38, v21
	v_sub_f32_e32 v38, v31, v45
	v_dual_add_f32 v21, v43, v21 :: v_dual_sub_f32 v37, v37, v38
	v_cvt_f32_i32_e32 v38, v9
	s_delay_alu instid0(VALU_DEP_2) | instskip(NEXT) | instid1(VALU_DEP_1)
	v_mul_f32_e32 v21, v25, v21
	v_add_f32_e32 v21, v37, v21
	s_delay_alu instid0(VALU_DEP_1) | instskip(NEXT) | instid1(VALU_DEP_1)
	v_add_f32_e32 v37, v31, v21
	v_ldexp_f32 v43, v37, 1
	v_mul_f32_e32 v25, v37, v37
	s_delay_alu instid0(VALU_DEP_1) | instskip(NEXT) | instid1(VALU_DEP_1)
	v_dual_fmaak_f32 v40, s18, v25, 0x3ecc95a3 :: v_dual_mul_f32 v39, v37, v25
	v_fmaak_f32 v25, v25, v40, 0x3f2aaada
	s_delay_alu instid0(VALU_DEP_1) | instskip(NEXT) | instid1(VALU_DEP_1)
	v_pk_mul_f32 v[40:41], v[38:39], v[24:25]
	v_fma_f32 v42, 0x3f317218, v38, -v40
	v_mov_b32_e32 v44, v40
	s_delay_alu instid0(VALU_DEP_2) | instskip(NEXT) | instid1(VALU_DEP_1)
	v_dual_fmac_f32 v42, 0xb102e308, v38 :: v_dual_sub_f32 v9, v37, v31
	v_pk_add_f32 v[38:39], v[40:41], v[42:43]
	s_delay_alu instid0(VALU_DEP_1) | instskip(NEXT) | instid1(VALU_DEP_1)
	v_dual_sub_f32 v9, v21, v9 :: v_dual_sub_f32 v21, v39, v43
	v_ldexp_f32 v9, v9, 1
	s_delay_alu instid0(VALU_DEP_3) | instskip(NEXT) | instid1(VALU_DEP_3)
	v_dual_mov_b32 v43, v38 :: v_dual_mov_b32 v52, v39
	v_sub_f32_e32 v21, v41, v21
	v_pk_add_f32 v[40:41], v[38:39], v[40:41] neg_lo:[0,1] neg_hi:[0,1]
	s_delay_alu instid0(VALU_DEP_2) | instskip(NEXT) | instid1(VALU_DEP_1)
	v_add_f32_e32 v45, v9, v21
	v_pk_add_f32 v[46:47], v[38:39], v[44:45]
	s_delay_alu instid0(VALU_DEP_1) | instskip(NEXT) | instid1(VALU_DEP_1)
	v_mov_b32_e32 v41, v47
	v_pk_add_f32 v[48:49], v[42:43], v[40:41]
	v_mov_b32_e32 v48, v47
	v_pk_add_f32 v[40:41], v[42:43], v[40:41] neg_lo:[0,1] neg_hi:[0,1]
	s_delay_alu instid0(VALU_DEP_3) | instskip(NEXT) | instid1(VALU_DEP_1)
	v_dual_mov_b32 v44, v49 :: v_dual_mov_b32 v41, v49
	v_pk_add_f32 v[50:51], v[44:45], v[38:39] neg_lo:[0,1] neg_hi:[0,1]
	v_dual_mov_b32 v39, v38 :: v_dual_mov_b32 v38, v45
	s_delay_alu instid0(VALU_DEP_2) | instskip(NEXT) | instid1(VALU_DEP_1)
	v_dual_mov_b32 v53, v50 :: v_dual_mov_b32 v9, v50
	v_pk_add_f32 v[50:51], v[48:49], v[52:53] neg_lo:[0,1] neg_hi:[0,1]
	s_delay_alu instid0(VALU_DEP_2) | instskip(SKIP_1) | instid1(VALU_DEP_3)
	v_pk_add_f32 v[42:43], v[46:47], v[8:9] neg_lo:[0,1] neg_hi:[0,1]
	v_mov_b32_e32 v42, v40
	v_pk_add_f32 v[38:39], v[38:39], v[50:51] neg_lo:[0,1] neg_hi:[0,1]
	s_delay_alu instid0(VALU_DEP_1) | instskip(NEXT) | instid1(VALU_DEP_1)
	v_pk_add_f32 v[42:43], v[42:43], v[38:39]
	v_mov_b32_e32 v46, v43
	s_delay_alu instid0(VALU_DEP_1) | instskip(NEXT) | instid1(VALU_DEP_1)
	v_pk_add_f32 v[46:47], v[42:43], v[46:47]
	v_pk_add_f32 v[44:45], v[44:45], v[46:47]
	s_delay_alu instid0(VALU_DEP_1) | instskip(NEXT) | instid1(VALU_DEP_1)
	v_dual_mov_b32 v39, v46 :: v_dual_mov_b32 v43, v44
	v_pk_add_f32 v[48:49], v[42:43], v[40:41] neg_lo:[0,1] neg_hi:[0,1]
	s_delay_alu instid0(VALU_DEP_1) | instskip(NEXT) | instid1(VALU_DEP_2)
	v_sub_f32_e32 v9, v42, v48
	v_pk_add_f32 v[38:39], v[38:39], v[48:49] neg_lo:[0,1] neg_hi:[0,1]
	s_delay_alu instid0(VALU_DEP_2) | instskip(NEXT) | instid1(VALU_DEP_1)
	v_sub_f32_e32 v9, v40, v9
	v_add_f32_e32 v9, v38, v9
	s_delay_alu instid0(VALU_DEP_1) | instskip(NEXT) | instid1(VALU_DEP_1)
	v_add_f32_e32 v9, v9, v39
	v_add_f32_e32 v9, v44, v9
	s_delay_alu instid0(VALU_DEP_1) | instskip(SKIP_1) | instid1(VALU_DEP_2)
	v_cndmask_b32_e32 v9, 0x7f800000, v9, vcc_lo
	v_cmp_ngt_f32_e32 vcc_lo, -1.0, v30
	v_cndmask_b32_e32 v9, 0x7fc00000, v9, vcc_lo
	v_cmp_neq_f32_e32 vcc_lo, -1.0, v30
	s_delay_alu instid0(VALU_DEP_2) | instskip(SKIP_1) | instid1(VALU_DEP_2)
	v_cndmask_b32_e32 v9, 0xff800000, v9, vcc_lo
	v_cmp_gt_f32_e64 vcc_lo, 0x33800000, |v30|
	v_cndmask_b32_e32 v21, v9, v30, vcc_lo
.LBB43_121:                             ;   in Loop: Header=BB43_5 Depth=1
	s_and_not1_saveexec_b32 s27, s27
	s_cbranch_execz .LBB43_127
; %bb.122:                              ;   in Loop: Header=BB43_5 Depth=1
	s_mov_b32 s28, exec_lo
                                        ; implicit-def: $vgpr21
	v_cmpx_nlt_f32_e64 |v12|, 1.0
	s_xor_b32 s28, exec_lo, s28
	s_cbranch_execz .LBB43_124
; %bb.123:                              ;   in Loop: Header=BB43_5 Depth=1
	v_mul_f32_e32 v9, v1, v10
	s_delay_alu instid0(VALU_DEP_1) | instskip(SKIP_1) | instid1(VALU_DEP_2)
	v_mul_f32_e32 v21, 0x4f800000, v9
	v_cmp_gt_f32_e32 vcc_lo, 0xf800000, v9
	v_cndmask_b32_e32 v9, v9, v21, vcc_lo
	s_delay_alu instid0(VALU_DEP_1) | instskip(SKIP_1) | instid1(TRANS32_DEP_1)
	v_sqrt_f32_e32 v21, v9
	v_nop
	v_dual_add_nc_u32 v25, -1, v21 :: v_dual_add_nc_u32 v30, 1, v21
	s_delay_alu instid0(VALU_DEP_1) | instskip(NEXT) | instid1(VALU_DEP_1)
	v_dual_fma_f32 v31, -v25, v21, v9 :: v_dual_fma_f32 v37, -v30, v21, v9
	v_cmp_ge_f32_e64 s5, 0, v31
	s_delay_alu instid0(VALU_DEP_1) | instskip(NEXT) | instid1(VALU_DEP_3)
	v_cndmask_b32_e64 v21, v21, v25, s5
	v_cmp_lt_f32_e64 s5, 0, v37
	s_delay_alu instid0(VALU_DEP_1) | instskip(NEXT) | instid1(VALU_DEP_1)
	v_cndmask_b32_e64 v21, v21, v30, s5
	v_mul_f32_e32 v25, 0x37800000, v21
	s_delay_alu instid0(VALU_DEP_1) | instskip(SKIP_1) | instid1(VALU_DEP_2)
	v_cndmask_b32_e32 v21, v21, v25, vcc_lo
	v_cmp_class_f32_e64 vcc_lo, v9, 0x260
	v_cndmask_b32_e32 v9, v21, v9, vcc_lo
	s_delay_alu instid0(VALU_DEP_1) | instskip(NEXT) | instid1(VALU_DEP_1)
	v_add_f32_e32 v30, v1, v9
	v_add_f32_e32 v39, 1.0, v30
	s_delay_alu instid0(VALU_DEP_1) | instskip(SKIP_2) | instid1(VALU_DEP_2)
	v_cvt_f64_f32_e32 v[40:41], v39
	v_frexp_mant_f32_e32 v21, v39
	v_add_f32_e32 v31, -1.0, v39
	v_cmp_gt_f32_e32 vcc_lo, 0x3f2aaaab, v21
	s_delay_alu instid0(VALU_DEP_2) | instskip(SKIP_1) | instid1(VALU_DEP_2)
	v_mov_b32_e32 v38, v31
	v_frexp_exp_i32_f64_e32 v9, v[40:41]
	v_pk_add_f32 v[40:41], v[30:31], v[38:39] neg_lo:[0,1] neg_hi:[0,1]
	s_delay_alu instid0(VALU_DEP_2) | instskip(SKIP_1) | instid1(VALU_DEP_2)
	v_subrev_co_ci_u32_e64 v9, null, 0, v9, vcc_lo
	v_cmp_neq_f32_e32 vcc_lo, 0x7f800000, v30
	v_sub_nc_u32_e32 v21, 0, v9
	s_delay_alu instid0(VALU_DEP_1) | instskip(NEXT) | instid1(VALU_DEP_1)
	v_ldexp_f32 v25, v39, v21
	v_add_f32_e32 v43, -1.0, v25
	v_add_f32_e32 v31, 1.0, v41
	s_delay_alu instid0(VALU_DEP_1) | instskip(NEXT) | instid1(VALU_DEP_1)
	v_dual_add_f32 v37, 1.0, v25 :: v_dual_add_f32 v31, v40, v31
	v_ldexp_f32 v21, v31, v21
	s_delay_alu instid0(VALU_DEP_2) | instskip(NEXT) | instid1(VALU_DEP_1)
	v_add_f32_e32 v38, -1.0, v37
	v_dual_sub_f32 v31, v25, v38 :: v_dual_add_f32 v38, 1.0, v43
	s_delay_alu instid0(VALU_DEP_1) | instskip(NEXT) | instid1(VALU_DEP_2)
	v_add_f32_e32 v31, v21, v31
	v_sub_f32_e32 v25, v25, v38
	s_delay_alu instid0(VALU_DEP_1) | instskip(NEXT) | instid1(VALU_DEP_1)
	v_add_f32_e32 v21, v21, v25
	v_dual_add_f32 v44, v37, v31 :: v_dual_add_f32 v39, v43, v21
	s_delay_alu instid0(VALU_DEP_1) | instskip(SKIP_1) | instid1(TRANS32_DEP_1)
	v_rcp_f32_e32 v25, v44
	v_nop
	v_mul_f32_e32 v45, v39, v25
	s_delay_alu instid0(VALU_DEP_1) | instskip(NEXT) | instid1(VALU_DEP_1)
	v_mul_f32_e32 v40, v44, v45
	v_dual_sub_f32 v37, v44, v37 :: v_dual_fma_f32 v42, v45, v44, -v40
	s_delay_alu instid0(VALU_DEP_1) | instskip(SKIP_1) | instid1(VALU_DEP_2)
	v_sub_f32_e32 v31, v31, v37
	v_sub_f32_e32 v37, v39, v43
	v_fmac_f32_e32 v42, v45, v31
	s_delay_alu instid0(VALU_DEP_1) | instskip(NEXT) | instid1(VALU_DEP_1)
	v_dual_sub_f32 v21, v21, v37 :: v_dual_add_f32 v38, v40, v42
	v_dual_sub_f32 v41, v39, v38 :: v_dual_mov_b32 v43, v38
	s_delay_alu instid0(VALU_DEP_1) | instskip(NEXT) | instid1(VALU_DEP_1)
	v_pk_add_f32 v[38:39], v[38:39], v[40:41] neg_lo:[0,1] neg_hi:[0,1]
	v_pk_add_f32 v[38:39], v[38:39], v[42:43] neg_lo:[0,1] neg_hi:[0,1]
	s_delay_alu instid0(VALU_DEP_1) | instskip(NEXT) | instid1(VALU_DEP_1)
	v_add_f32_e32 v21, v21, v39
	v_add_f32_e32 v21, v38, v21
	s_delay_alu instid0(VALU_DEP_1) | instskip(NEXT) | instid1(VALU_DEP_1)
	v_add_f32_e32 v39, v41, v21
	v_mul_f32_e32 v37, v25, v39
	s_delay_alu instid0(VALU_DEP_1) | instskip(NEXT) | instid1(VALU_DEP_1)
	v_mul_f32_e32 v42, v44, v37
	v_fma_f32 v40, v37, v44, -v42
	s_delay_alu instid0(VALU_DEP_1) | instskip(NEXT) | instid1(VALU_DEP_1)
	v_fmac_f32_e32 v40, v37, v31
	v_dual_add_f32 v38, v42, v40 :: v_dual_sub_f32 v31, v41, v39
	s_delay_alu instid0(VALU_DEP_1) | instskip(NEXT) | instid1(VALU_DEP_2)
	v_dual_sub_f32 v43, v39, v38 :: v_dual_mov_b32 v41, v38
	v_add_f32_e32 v21, v21, v31
	v_add_f32_e32 v31, v45, v37
	s_delay_alu instid0(VALU_DEP_3) | instskip(NEXT) | instid1(VALU_DEP_1)
	v_pk_add_f32 v[38:39], v[38:39], v[42:43] neg_lo:[0,1] neg_hi:[0,1]
	v_pk_add_f32 v[38:39], v[38:39], v[40:41] neg_lo:[0,1] neg_hi:[0,1]
	s_delay_alu instid0(VALU_DEP_1) | instskip(NEXT) | instid1(VALU_DEP_1)
	v_add_f32_e32 v21, v21, v39
	v_add_f32_e32 v21, v38, v21
	v_sub_f32_e32 v38, v31, v45
	s_delay_alu instid0(VALU_DEP_1) | instskip(SKIP_1) | instid1(VALU_DEP_2)
	v_dual_add_f32 v21, v43, v21 :: v_dual_sub_f32 v37, v37, v38
	v_cvt_f32_i32_e32 v38, v9
	v_mul_f32_e32 v21, v25, v21
	s_delay_alu instid0(VALU_DEP_1) | instskip(NEXT) | instid1(VALU_DEP_1)
	v_add_f32_e32 v21, v37, v21
	v_add_f32_e32 v37, v31, v21
	s_delay_alu instid0(VALU_DEP_1) | instskip(SKIP_1) | instid1(VALU_DEP_1)
	v_ldexp_f32 v43, v37, 1
	v_mul_f32_e32 v25, v37, v37
	v_dual_fmaak_f32 v40, s18, v25, 0x3ecc95a3 :: v_dual_mul_f32 v39, v37, v25
	s_delay_alu instid0(VALU_DEP_1) | instskip(NEXT) | instid1(VALU_DEP_1)
	v_fmaak_f32 v25, v25, v40, 0x3f2aaada
	v_pk_mul_f32 v[40:41], v[38:39], v[24:25]
	s_delay_alu instid0(VALU_DEP_1) | instskip(SKIP_1) | instid1(VALU_DEP_2)
	v_fma_f32 v42, 0x3f317218, v38, -v40
	v_mov_b32_e32 v44, v40
	v_dual_fmac_f32 v42, 0xb102e308, v38 :: v_dual_sub_f32 v9, v37, v31
	s_delay_alu instid0(VALU_DEP_1) | instskip(NEXT) | instid1(VALU_DEP_1)
	v_pk_add_f32 v[38:39], v[40:41], v[42:43]
	v_dual_sub_f32 v9, v21, v9 :: v_dual_sub_f32 v21, v39, v43
	s_delay_alu instid0(VALU_DEP_1) | instskip(NEXT) | instid1(VALU_DEP_3)
	v_ldexp_f32 v9, v9, 1
	v_dual_mov_b32 v43, v38 :: v_dual_mov_b32 v52, v39
	s_delay_alu instid0(VALU_DEP_3) | instskip(SKIP_1) | instid1(VALU_DEP_2)
	v_sub_f32_e32 v21, v41, v21
	v_pk_add_f32 v[40:41], v[38:39], v[40:41] neg_lo:[0,1] neg_hi:[0,1]
	v_add_f32_e32 v45, v9, v21
	s_delay_alu instid0(VALU_DEP_1) | instskip(NEXT) | instid1(VALU_DEP_1)
	v_pk_add_f32 v[46:47], v[38:39], v[44:45]
	v_mov_b32_e32 v41, v47
	s_delay_alu instid0(VALU_DEP_1) | instskip(SKIP_2) | instid1(VALU_DEP_3)
	v_pk_add_f32 v[48:49], v[42:43], v[40:41]
	v_mov_b32_e32 v48, v47
	v_pk_add_f32 v[40:41], v[42:43], v[40:41] neg_lo:[0,1] neg_hi:[0,1]
	v_dual_mov_b32 v44, v49 :: v_dual_mov_b32 v41, v49
	s_delay_alu instid0(VALU_DEP_1) | instskip(SKIP_1) | instid1(VALU_DEP_2)
	v_pk_add_f32 v[50:51], v[44:45], v[38:39] neg_lo:[0,1] neg_hi:[0,1]
	v_dual_mov_b32 v39, v38 :: v_dual_mov_b32 v38, v45
	v_dual_mov_b32 v53, v50 :: v_dual_mov_b32 v9, v50
	s_delay_alu instid0(VALU_DEP_1) | instskip(NEXT) | instid1(VALU_DEP_2)
	v_pk_add_f32 v[50:51], v[48:49], v[52:53] neg_lo:[0,1] neg_hi:[0,1]
	v_pk_add_f32 v[42:43], v[46:47], v[8:9] neg_lo:[0,1] neg_hi:[0,1]
	v_mov_b32_e32 v42, v40
	s_delay_alu instid0(VALU_DEP_3) | instskip(NEXT) | instid1(VALU_DEP_1)
	v_pk_add_f32 v[38:39], v[38:39], v[50:51] neg_lo:[0,1] neg_hi:[0,1]
	v_pk_add_f32 v[42:43], v[42:43], v[38:39]
	s_delay_alu instid0(VALU_DEP_1) | instskip(NEXT) | instid1(VALU_DEP_1)
	v_mov_b32_e32 v46, v43
	v_pk_add_f32 v[46:47], v[42:43], v[46:47]
	s_delay_alu instid0(VALU_DEP_1) | instskip(NEXT) | instid1(VALU_DEP_1)
	v_pk_add_f32 v[44:45], v[44:45], v[46:47]
	v_dual_mov_b32 v39, v46 :: v_dual_mov_b32 v43, v44
	s_delay_alu instid0(VALU_DEP_1) | instskip(NEXT) | instid1(VALU_DEP_1)
	v_pk_add_f32 v[48:49], v[42:43], v[40:41] neg_lo:[0,1] neg_hi:[0,1]
	v_sub_f32_e32 v9, v42, v48
	s_delay_alu instid0(VALU_DEP_2) | instskip(NEXT) | instid1(VALU_DEP_2)
	v_pk_add_f32 v[38:39], v[38:39], v[48:49] neg_lo:[0,1] neg_hi:[0,1]
	v_sub_f32_e32 v9, v40, v9
	s_delay_alu instid0(VALU_DEP_1) | instskip(NEXT) | instid1(VALU_DEP_1)
	v_add_f32_e32 v9, v38, v9
	v_add_f32_e32 v9, v9, v39
	s_delay_alu instid0(VALU_DEP_1) | instskip(NEXT) | instid1(VALU_DEP_1)
	v_add_f32_e32 v9, v44, v9
	v_cndmask_b32_e32 v9, 0x7f800000, v9, vcc_lo
	v_cmp_ngt_f32_e32 vcc_lo, -1.0, v30
	s_delay_alu instid0(VALU_DEP_2) | instskip(SKIP_1) | instid1(VALU_DEP_2)
	v_cndmask_b32_e32 v9, 0x7fc00000, v9, vcc_lo
	v_cmp_neq_f32_e32 vcc_lo, -1.0, v30
	v_cndmask_b32_e32 v9, 0xff800000, v9, vcc_lo
	v_cmp_gt_f32_e64 vcc_lo, 0x33800000, |v30|
	s_delay_alu instid0(VALU_DEP_2)
	v_cndmask_b32_e32 v21, v9, v30, vcc_lo
.LBB43_124:                             ;   in Loop: Header=BB43_5 Depth=1
	s_and_not1_saveexec_b32 s28, s28
	s_cbranch_execz .LBB43_126
; %bb.125:                              ;   in Loop: Header=BB43_5 Depth=1
	v_sub_f32_e64 v9, 1.0, |v12|
	s_delay_alu instid0(VALU_DEP_1) | instskip(NEXT) | instid1(VALU_DEP_1)
	v_mul_f32_e32 v9, v9, v10
	v_mul_f32_e32 v21, 0x4f800000, v9
	v_cmp_gt_f32_e32 vcc_lo, 0xf800000, v9
	s_delay_alu instid0(VALU_DEP_2) | instskip(NEXT) | instid1(VALU_DEP_1)
	v_cndmask_b32_e32 v9, v9, v21, vcc_lo
	v_sqrt_f32_e32 v21, v9
	v_nop
	s_delay_alu instid0(TRANS32_DEP_1) | instskip(NEXT) | instid1(VALU_DEP_1)
	v_dual_add_nc_u32 v25, -1, v21 :: v_dual_add_nc_u32 v30, 1, v21
	v_dual_fma_f32 v31, -v25, v21, v9 :: v_dual_fma_f32 v37, -v30, v21, v9
	s_delay_alu instid0(VALU_DEP_1) | instskip(NEXT) | instid1(VALU_DEP_1)
	v_cmp_ge_f32_e64 s5, 0, v31
	v_cndmask_b32_e64 v21, v21, v25, s5
	s_delay_alu instid0(VALU_DEP_3) | instskip(NEXT) | instid1(VALU_DEP_1)
	v_cmp_lt_f32_e64 s5, 0, v37
	v_cndmask_b32_e64 v21, v21, v30, s5
	s_delay_alu instid0(VALU_DEP_1) | instskip(NEXT) | instid1(VALU_DEP_1)
	v_mul_f32_e32 v25, 0x37800000, v21
	v_cndmask_b32_e32 v21, v21, v25, vcc_lo
	v_cmp_class_f32_e64 vcc_lo, v9, 0x260
	v_and_b32_e32 v25, 0x7fffffff, v13
	s_delay_alu instid0(VALU_DEP_3) | instskip(NEXT) | instid1(VALU_DEP_1)
	v_cndmask_b32_e32 v9, v21, v9, vcc_lo
	v_div_scale_f32 v21, null, v9, v9, v25
	v_div_scale_f32 v25, vcc_lo, v25, v9, v25
	s_delay_alu instid0(VALU_DEP_2) | instskip(SKIP_1) | instid1(TRANS32_DEP_1)
	v_rcp_f32_e32 v30, v21
	v_nop
	v_fma_f32 v31, -v21, v30, 1.0
	s_delay_alu instid0(VALU_DEP_1) | instskip(NEXT) | instid1(VALU_DEP_1)
	v_fmac_f32_e32 v30, v31, v30
	v_mul_f32_e32 v31, v25, v30
	s_delay_alu instid0(VALU_DEP_1) | instskip(NEXT) | instid1(VALU_DEP_1)
	v_fma_f32 v37, -v21, v31, v25
	v_fmac_f32_e32 v31, v37, v30
	s_delay_alu instid0(VALU_DEP_1) | instskip(NEXT) | instid1(VALU_DEP_1)
	v_fma_f32 v21, -v21, v31, v25
	v_div_fmas_f32 v21, v21, v30, v31
	s_delay_alu instid0(VALU_DEP_1)
	v_div_fixup_f32 v21, v21, v9, |v13|
.LBB43_126:                             ;   in Loop: Header=BB43_5 Depth=1
	s_or_b32 exec_lo, exec_lo, s28
.LBB43_127:                             ;   in Loop: Header=BB43_5 Depth=1
	s_delay_alu instid0(SALU_CYCLE_1)
	s_or_b32 exec_lo, exec_lo, s27
.LBB43_128:                             ;   in Loop: Header=BB43_5 Depth=1
	s_and_not1_saveexec_b32 s26, s26
	s_cbranch_execz .LBB43_130
; %bb.129:                              ;   in Loop: Header=BB43_5 Depth=1
	v_mul_f32_e64 v9, 0x4f800000, |v13|
	v_cmp_gt_f32_e64 vcc_lo, 0xf800000, |v13|
	s_delay_alu instid0(VALU_DEP_1) | instskip(NEXT) | instid1(VALU_DEP_1)
	v_cndmask_b32_e64 v9, |v13|, v9, vcc_lo
	v_sqrt_f32_e32 v21, v9
	v_nop
	s_delay_alu instid0(TRANS32_DEP_1) | instskip(NEXT) | instid1(VALU_DEP_1)
	v_dual_add_nc_u32 v25, -1, v21 :: v_dual_add_nc_u32 v30, 1, v21
	v_dual_fma_f32 v31, -v25, v21, v9 :: v_dual_fma_f32 v37, -v30, v21, v9
	s_delay_alu instid0(VALU_DEP_1) | instskip(NEXT) | instid1(VALU_DEP_1)
	v_cmp_ge_f32_e64 s5, 0, v31
	v_cndmask_b32_e64 v21, v21, v25, s5
	s_delay_alu instid0(VALU_DEP_3) | instskip(NEXT) | instid1(VALU_DEP_1)
	v_cmp_lt_f32_e64 s5, 0, v37
	v_cndmask_b32_e64 v21, v21, v30, s5
	s_delay_alu instid0(VALU_DEP_1) | instskip(NEXT) | instid1(VALU_DEP_1)
	v_mul_f32_e32 v25, 0x37800000, v21
	v_cndmask_b32_e32 v21, v21, v25, vcc_lo
	v_cmp_class_f32_e64 vcc_lo, v9, 0x260
	s_delay_alu instid0(VALU_DEP_2)
	v_cndmask_b32_e32 v21, v21, v9, vcc_lo
.LBB43_130:                             ;   in Loop: Header=BB43_5 Depth=1
	s_or_b32 exec_lo, exec_lo, s26
.LBB43_131:                             ;   in Loop: Header=BB43_5 Depth=1
	s_delay_alu instid0(SALU_CYCLE_1) | instskip(NEXT) | instid1(SALU_CYCLE_1)
	s_or_b32 exec_lo, exec_lo, s6
	s_mov_b32 s26, exec_lo
                                        ; implicit-def: $sgpr5
                                        ; implicit-def: $vgpr31
                                        ; implicit-def: $vgpr25
	v_cmpx_ngt_f32_e64 0x21000000, |v12|
	s_xor_b32 s26, exec_lo, s26
	s_cbranch_execz .LBB43_155
; %bb.132:                              ;   in Loop: Header=BB43_5 Depth=1
	v_and_b32_e32 v30, 0x7fffffff, v12
	s_mov_b32 s5, 0
	s_mov_b32 s27, exec_lo
	s_delay_alu instid0(VALU_DEP_1) | instskip(NEXT) | instid1(VALU_DEP_1)
	v_div_scale_f32 v9, null, v8, v8, v30
	v_rcp_f32_e32 v25, v9
	v_nop
	s_delay_alu instid0(TRANS32_DEP_1) | instskip(NEXT) | instid1(VALU_DEP_1)
	v_fma_f32 v31, -v9, v25, 1.0
	v_fmac_f32_e32 v25, v31, v25
	v_div_scale_f32 v31, vcc_lo, v30, v8, v30
	s_delay_alu instid0(VALU_DEP_1) | instskip(NEXT) | instid1(VALU_DEP_1)
	v_mul_f32_e32 v37, v31, v25
	v_fma_f32 v38, -v9, v37, v31
	s_delay_alu instid0(VALU_DEP_1) | instskip(NEXT) | instid1(VALU_DEP_1)
	v_fmac_f32_e32 v37, v38, v25
	v_fma_f32 v9, -v9, v37, v31
	s_delay_alu instid0(VALU_DEP_1) | instskip(NEXT) | instid1(VALU_DEP_1)
	v_div_fmas_f32 v9, v9, v25, v37
	v_div_fixup_f32 v25, v9, v8, |v12|
	s_delay_alu instid0(VALU_DEP_1)
	v_cmpx_lt_f32_e32 0x3f244674, v25
	s_cbranch_execz .LBB43_154
; %bb.133:                              ;   in Loop: Header=BB43_5 Depth=1
	v_cmp_neq_f32_e64 s5, |v12|, 1.0
	v_cmp_ngt_f32_e64 s6, 0x30800000, |v13|
	s_or_b32 s5, s5, s6
	s_delay_alu instid0(SALU_CYCLE_1) | instskip(NEXT) | instid1(SALU_CYCLE_1)
	s_and_saveexec_b32 s6, s5
	s_xor_b32 s6, exec_lo, s6
	s_cbranch_execz .LBB43_151
; %bb.134:                              ;   in Loop: Header=BB43_5 Depth=1
	v_mul_f32_e64 v9, 0x34000000, |v1|
	s_mov_b32 s28, exec_lo
	s_delay_alu instid0(VALU_DEP_1)
	v_cmpx_ge_f32_e64 |v13|, v9
	s_xor_b32 s28, exec_lo, s28
	s_cbranch_execz .LBB43_144
; %bb.135:                              ;   in Loop: Header=BB43_5 Depth=1
	v_mov_b32_e32 v9, v35
	s_mov_b32 s5, exec_lo
	v_cmpx_neq_f32_e32 0, v10
	s_cbranch_execz .LBB43_137
; %bb.136:                              ;   in Loop: Header=BB43_5 Depth=1
	v_dual_mul_f32 v9, v13, v13 :: v_dual_add_f32 v10, v10, v36
	s_delay_alu instid0(VALU_DEP_1) | instskip(NEXT) | instid1(VALU_DEP_1)
	v_div_scale_f32 v31, null, v10, v10, v9
	v_rcp_f32_e32 v36, v31
	v_nop
	s_delay_alu instid0(TRANS32_DEP_1) | instskip(NEXT) | instid1(VALU_DEP_1)
	v_fma_f32 v37, -v31, v36, 1.0
	v_fmac_f32_e32 v36, v37, v36
	v_div_scale_f32 v37, vcc_lo, v9, v10, v9
	s_delay_alu instid0(VALU_DEP_1) | instskip(NEXT) | instid1(VALU_DEP_1)
	v_mul_f32_e32 v38, v37, v36
	v_fma_f32 v39, -v31, v38, v37
	s_delay_alu instid0(VALU_DEP_1) | instskip(NEXT) | instid1(VALU_DEP_1)
	v_fmac_f32_e32 v38, v39, v36
	v_fma_f32 v31, -v31, v38, v37
	s_delay_alu instid0(VALU_DEP_1) | instskip(NEXT) | instid1(VALU_DEP_1)
	v_div_fmas_f32 v31, v31, v36, v38
	v_div_fixup_f32 v9, v31, v10, v9
.LBB43_137:                             ;   in Loop: Header=BB43_5 Depth=1
	s_or_b32 exec_lo, exec_lo, s5
	s_delay_alu instid0(SALU_CYCLE_1)
	s_mov_b32 s5, exec_lo
	v_cmpx_ngt_f32_e32 0, v1
	s_xor_b32 s5, exec_lo, s5
	s_cbranch_execz .LBB43_141
; %bb.138:                              ;   in Loop: Header=BB43_5 Depth=1
	s_mov_b32 s29, exec_lo
	v_cmpx_neq_f32_e32 0, v1
	s_cbranch_execz .LBB43_140
; %bb.139:                              ;   in Loop: Header=BB43_5 Depth=1
	v_mul_f32_e32 v10, v13, v13
	v_add_f32_e32 v1, v1, v11
	s_delay_alu instid0(VALU_DEP_1) | instskip(NEXT) | instid1(VALU_DEP_1)
	v_div_scale_f32 v11, null, v1, v1, v10
	v_rcp_f32_e32 v13, v11
	v_nop
	s_delay_alu instid0(TRANS32_DEP_1) | instskip(NEXT) | instid1(VALU_DEP_1)
	v_fma_f32 v31, -v11, v13, 1.0
	v_fmac_f32_e32 v13, v31, v13
	v_div_scale_f32 v31, vcc_lo, v10, v1, v10
	s_delay_alu instid0(VALU_DEP_1) | instskip(NEXT) | instid1(VALU_DEP_1)
	v_mul_f32_e32 v35, v31, v13
	v_fma_f32 v36, -v11, v35, v31
	s_delay_alu instid0(VALU_DEP_1) | instskip(NEXT) | instid1(VALU_DEP_1)
	v_fmac_f32_e32 v35, v36, v13
	v_fma_f32 v11, -v11, v35, v31
	s_delay_alu instid0(VALU_DEP_1) | instskip(NEXT) | instid1(VALU_DEP_1)
	v_div_fmas_f32 v11, v11, v13, v35
	v_div_fixup_f32 v35, v11, v1, v10
.LBB43_140:                             ;   in Loop: Header=BB43_5 Depth=1
	s_or_b32 exec_lo, exec_lo, s29
                                        ; implicit-def: $vgpr11
                                        ; implicit-def: $vgpr1
.LBB43_141:                             ;   in Loop: Header=BB43_5 Depth=1
	s_and_not1_saveexec_b32 s5, s5
; %bb.142:                              ;   in Loop: Header=BB43_5 Depth=1
	v_sub_f32_e32 v35, v11, v1
; %bb.143:                              ;   in Loop: Header=BB43_5 Depth=1
	s_or_b32 exec_lo, exec_lo, s5
	s_delay_alu instid0(VALU_DEP_1) | instskip(SKIP_1) | instid1(VALU_DEP_1)
	v_dual_mul_f32 v11, 0.5, v9 :: v_dual_mul_f32 v9, 0.5, v35
	v_and_b32_e32 v10, 0x7fffffff, v12
	v_pk_add_f32 v[8:9], v[10:11], v[8:9]
	s_delay_alu instid0(VALU_DEP_1) | instskip(NEXT) | instid1(VALU_DEP_1)
	v_mul_f32_e32 v1, v8, v9
	v_mul_f32_e32 v8, 0x4f800000, v1
	v_cmp_gt_f32_e32 vcc_lo, 0xf800000, v1
	s_delay_alu instid0(VALU_DEP_2) | instskip(NEXT) | instid1(VALU_DEP_1)
	v_cndmask_b32_e32 v1, v1, v8, vcc_lo
	v_sqrt_f32_e32 v8, v1
	v_nop
	s_delay_alu instid0(TRANS32_DEP_1) | instskip(NEXT) | instid1(VALU_DEP_1)
	v_dual_add_nc_u32 v9, -1, v8 :: v_dual_add_nc_u32 v10, 1, v8
	v_dual_fma_f32 v11, -v9, v8, v1 :: v_dual_fma_f32 v12, -v10, v8, v1
	s_delay_alu instid0(VALU_DEP_1) | instskip(NEXT) | instid1(VALU_DEP_1)
	v_cmp_ge_f32_e64 s5, 0, v11
	v_cndmask_b32_e64 v8, v8, v9, s5
	s_delay_alu instid0(VALU_DEP_3) | instskip(NEXT) | instid1(VALU_DEP_1)
	v_cmp_lt_f32_e64 s5, 0, v12
	v_cndmask_b32_e64 v8, v8, v10, s5
                                        ; implicit-def: $vgpr10_vgpr11_vgpr12_vgpr13
                                        ; implicit-def: $vgpr10
	s_delay_alu instid0(VALU_DEP_1) | instskip(NEXT) | instid1(VALU_DEP_1)
	v_mul_f32_e32 v9, 0x37800000, v8
	v_cndmask_b32_e32 v8, v8, v9, vcc_lo
	v_cmp_class_f32_e64 vcc_lo, v1, 0x260
	s_delay_alu instid0(VALU_DEP_2)
	v_cndmask_b32_e32 v31, v8, v1, vcc_lo
                                        ; implicit-def: $vgpr1
.LBB43_144:                             ;   in Loop: Header=BB43_5 Depth=1
	s_and_not1_saveexec_b32 s28, s28
	s_cbranch_execz .LBB43_150
; %bb.145:                              ;   in Loop: Header=BB43_5 Depth=1
	s_mov_b32 s29, exec_lo
	v_cmpx_ngt_f32_e64 |v12|, 1.0
	s_xor_b32 s29, exec_lo, s29
	s_cbranch_execz .LBB43_147
; %bb.146:                              ;   in Loop: Header=BB43_5 Depth=1
	v_sub_f32_e64 v1, 1.0, |v12|
	s_delay_alu instid0(VALU_DEP_1) | instskip(NEXT) | instid1(VALU_DEP_1)
	v_mul_f32_e32 v1, v1, v10
	v_mul_f32_e32 v8, 0x4f800000, v1
	v_cmp_gt_f32_e32 vcc_lo, 0xf800000, v1
	s_delay_alu instid0(VALU_DEP_2) | instskip(NEXT) | instid1(VALU_DEP_1)
	v_cndmask_b32_e32 v1, v1, v8, vcc_lo
	v_sqrt_f32_e32 v8, v1
	v_nop
	s_delay_alu instid0(TRANS32_DEP_1) | instskip(NEXT) | instid1(VALU_DEP_1)
	v_dual_add_nc_u32 v9, -1, v8 :: v_dual_add_nc_u32 v10, 1, v8
	v_dual_fma_f32 v11, -v9, v8, v1 :: v_dual_fma_f32 v12, -v10, v8, v1
	s_delay_alu instid0(VALU_DEP_1) | instskip(NEXT) | instid1(VALU_DEP_1)
	v_cmp_ge_f32_e64 s5, 0, v11
	v_cndmask_b32_e64 v8, v8, v9, s5
	s_delay_alu instid0(VALU_DEP_3) | instskip(NEXT) | instid1(VALU_DEP_1)
	v_cmp_lt_f32_e64 s5, 0, v12
	v_cndmask_b32_e64 v8, v8, v10, s5
                                        ; implicit-def: $vgpr10_vgpr11_vgpr12_vgpr13
                                        ; implicit-def: $vgpr10
	s_delay_alu instid0(VALU_DEP_1) | instskip(NEXT) | instid1(VALU_DEP_1)
	v_mul_f32_e32 v9, 0x37800000, v8
	v_cndmask_b32_e32 v8, v8, v9, vcc_lo
	v_cmp_class_f32_e64 vcc_lo, v1, 0x260
	s_delay_alu instid0(VALU_DEP_2)
	v_cndmask_b32_e32 v31, v8, v1, vcc_lo
                                        ; implicit-def: $vgpr1
.LBB43_147:                             ;   in Loop: Header=BB43_5 Depth=1
	s_and_not1_saveexec_b32 s29, s29
	s_cbranch_execz .LBB43_149
; %bb.148:                              ;   in Loop: Header=BB43_5 Depth=1
	v_mul_f32_e32 v1, v10, v1
	s_delay_alu instid0(VALU_DEP_1) | instskip(SKIP_1) | instid1(VALU_DEP_2)
	v_mul_f32_e32 v8, 0x4f800000, v1
	v_cmp_gt_f32_e32 vcc_lo, 0xf800000, v1
	v_cndmask_b32_e32 v1, v1, v8, vcc_lo
	s_delay_alu instid0(VALU_DEP_1) | instskip(SKIP_1) | instid1(TRANS32_DEP_1)
	v_sqrt_f32_e32 v8, v1
	v_nop
	v_dual_add_nc_u32 v9, -1, v8 :: v_dual_add_nc_u32 v10, 1, v8
	s_delay_alu instid0(VALU_DEP_1) | instskip(NEXT) | instid1(VALU_DEP_1)
	v_dual_fma_f32 v11, -v9, v8, v1 :: v_dual_fma_f32 v30, -v10, v8, v1
	v_cmp_ge_f32_e64 s5, 0, v11
	s_delay_alu instid0(VALU_DEP_1) | instskip(NEXT) | instid1(VALU_DEP_3)
	v_cndmask_b32_e64 v8, v8, v9, s5
	v_cmp_lt_f32_e64 s5, 0, v30
	s_delay_alu instid0(VALU_DEP_1) | instskip(SKIP_1) | instid1(VALU_DEP_2)
	v_cndmask_b32_e64 v8, v8, v10, s5
	v_mul_f32_e64 v10, 0x57800000, |v13|
	v_mul_f32_e32 v9, 0x37800000, v8
	s_delay_alu instid0(VALU_DEP_1) | instskip(SKIP_1) | instid1(VALU_DEP_4)
	v_cndmask_b32_e32 v8, v8, v9, vcc_lo
	v_cmp_class_f32_e64 vcc_lo, v1, 0x260
	v_mul_f32_e64 v9, |v12|, v10
	s_delay_alu instid0(VALU_DEP_3) | instskip(NEXT) | instid1(VALU_DEP_1)
	v_cndmask_b32_e32 v1, v8, v1, vcc_lo
	v_div_scale_f32 v8, null, v1, v1, v9
	v_div_scale_f32 v13, vcc_lo, v9, v1, v9
	s_delay_alu instid0(VALU_DEP_2) | instskip(SKIP_1) | instid1(TRANS32_DEP_1)
	v_rcp_f32_e32 v10, v8
	v_nop
	v_fma_f32 v11, -v8, v10, 1.0
	s_delay_alu instid0(VALU_DEP_1) | instskip(NEXT) | instid1(VALU_DEP_1)
	v_fmac_f32_e32 v10, v11, v10
	v_mul_f32_e32 v11, v13, v10
	s_delay_alu instid0(VALU_DEP_1) | instskip(NEXT) | instid1(VALU_DEP_1)
	v_fma_f32 v30, -v8, v11, v13
	v_fmac_f32_e32 v11, v30, v10
	v_mul_f32_e64 v30, 0x57800000, |v12|
	s_delay_alu instid0(VALU_DEP_2) | instskip(NEXT) | instid1(VALU_DEP_1)
	v_fma_f32 v8, -v8, v11, v13
	v_div_fmas_f32 v8, v8, v10, v11
	s_delay_alu instid0(VALU_DEP_1)
	v_div_fixup_f32 v31, v8, v1, v9
.LBB43_149:                             ;   in Loop: Header=BB43_5 Depth=1
	s_or_b32 exec_lo, exec_lo, s29
.LBB43_150:                             ;   in Loop: Header=BB43_5 Depth=1
	s_delay_alu instid0(SALU_CYCLE_1)
	s_or_b32 exec_lo, exec_lo, s28
                                        ; implicit-def: $vgpr10_vgpr11_vgpr12_vgpr13
                                        ; implicit-def: $vgpr8
.LBB43_151:                             ;   in Loop: Header=BB43_5 Depth=1
	s_and_not1_saveexec_b32 s28, s6
	s_cbranch_execz .LBB43_153
; %bb.152:                              ;   in Loop: Header=BB43_5 Depth=1
	v_add_f32_e32 v1, 1.0, v8
	v_mul_f32_e64 v8, 0x4f800000, |v13|
	v_cmp_gt_f32_e64 vcc_lo, 0xf800000, |v13|
	s_delay_alu instid0(VALU_DEP_3) | instskip(NEXT) | instid1(VALU_DEP_2)
	v_mul_f32_e32 v1, 0.5, v1
	v_cndmask_b32_e64 v8, |v13|, v8, vcc_lo
	s_delay_alu instid0(VALU_DEP_2) | instskip(SKIP_1) | instid1(VALU_DEP_1)
	v_mul_f32_e32 v9, 0x4f800000, v1
	v_cmp_gt_f32_e64 s5, 0xf800000, v1
	v_cndmask_b32_e64 v1, v1, v9, s5
	s_delay_alu instid0(VALU_DEP_4) | instskip(SKIP_1) | instid1(TRANS32_DEP_1)
	v_sqrt_f32_e32 v9, v8
	v_nop
	v_add_nc_u32_e32 v13, 1, v9
	s_delay_alu instid0(VALU_DEP_3) | instskip(NEXT) | instid1(VALU_DEP_1)
	v_sqrt_f32_e32 v10, v1
	v_dual_add_nc_u32 v11, -1, v9 :: v_dual_fma_f32 v36, -v13, v9, v8
	s_delay_alu instid0(TRANS32_DEP_1) | instid1(VALU_DEP_1)
	v_dual_fma_f32 v30, -v11, v9, v8 :: v_dual_add_nc_u32 v31, 1, v10
	v_add_nc_u32_e32 v12, -1, v10
	s_delay_alu instid0(VALU_DEP_2) | instskip(NEXT) | instid1(VALU_DEP_2)
	v_cmp_ge_f32_e64 s6, 0, v30
	v_dual_mov_b32 v30, 1.0 :: v_dual_fma_f32 v35, -v12, v10, v1
	s_delay_alu instid0(VALU_DEP_2) | instskip(NEXT) | instid1(VALU_DEP_2)
	v_dual_cndmask_b32 v9, v9, v11, s6 :: v_dual_fma_f32 v11, -v31, v10, v1
	v_cmp_ge_f32_e64 s6, 0, v35
	s_delay_alu instid0(VALU_DEP_1) | instskip(SKIP_1) | instid1(VALU_DEP_1)
	v_cndmask_b32_e64 v10, v10, v12, s6
	v_cmp_lt_f32_e64 s6, 0, v36
	v_cndmask_b32_e64 v9, v9, v13, s6
	v_cmp_lt_f32_e64 s6, 0, v11
	s_delay_alu instid0(VALU_DEP_2) | instskip(NEXT) | instid1(VALU_DEP_1)
	v_mul_f32_e32 v11, 0x37800000, v9
	v_cndmask_b32_e32 v9, v9, v11, vcc_lo
	v_cmp_class_f32_e64 vcc_lo, v8, 0x260
	s_delay_alu instid0(VALU_DEP_1) | instskip(NEXT) | instid1(VALU_DEP_1)
	v_dual_cndmask_b32 v10, v10, v31, s6 :: v_dual_cndmask_b32 v8, v9, v8, vcc_lo
	v_mul_f32_e32 v12, 0x37800000, v10
	v_cmp_class_f32_e64 vcc_lo, v1, 0x260
	s_delay_alu instid0(VALU_DEP_2) | instskip(NEXT) | instid1(VALU_DEP_1)
	v_cndmask_b32_e64 v10, v10, v12, s5
	v_cndmask_b32_e32 v1, v10, v1, vcc_lo
	s_delay_alu instid0(VALU_DEP_1)
	v_mul_f32_e32 v31, v8, v1
.LBB43_153:                             ;   in Loop: Header=BB43_5 Depth=1
	s_or_b32 exec_lo, exec_lo, s28
	s_delay_alu instid0(SALU_CYCLE_1)
	s_mov_b32 s5, exec_lo
.LBB43_154:                             ;   in Loop: Header=BB43_5 Depth=1
	s_or_b32 exec_lo, exec_lo, s27
                                        ; implicit-def: $vgpr10_vgpr11_vgpr12_vgpr13
                                        ; implicit-def: $vgpr8
.LBB43_155:                             ;   in Loop: Header=BB43_5 Depth=1
	s_and_not1_saveexec_b32 s6, s26
; %bb.156:                              ;   in Loop: Header=BB43_5 Depth=1
	v_and_b32_e32 v10, 0x7fffffff, v12
	v_mov_b32_e32 v11, v8
	s_or_b32 s5, s5, exec_lo
                                        ; implicit-def: $vgpr25
	s_delay_alu instid0(VALU_DEP_1)
	v_pk_mul_f32 v[30:31], v[10:11], s[16:17] op_sel_hi:[1,0]
; %bb.157:                              ;   in Loop: Header=BB43_5 Depth=1
	s_or_b32 exec_lo, exec_lo, s6
	s_xor_b32 s5, s5, -1
	s_delay_alu instid0(SALU_CYCLE_1) | instskip(NEXT) | instid1(SALU_CYCLE_1)
	s_and_saveexec_b32 s6, s5
	s_xor_b32 s6, exec_lo, s6
	s_cbranch_execz .LBB43_163
; %bb.158:                              ;   in Loop: Header=BB43_5 Depth=1
	s_and_saveexec_b32 s5, s4
	s_delay_alu instid0(SALU_CYCLE_1)
	s_xor_b32 s5, exec_lo, s5
	s_cbranch_execz .LBB43_160
; %bb.159:                              ;   in Loop: Header=BB43_5 Depth=1
	v_fma_f32 v1, |v25|, -0.5, 0.5
	v_mul_f32_e32 v8, v25, v25
	v_cmp_gt_f32_e64 vcc_lo, |v25|, 0.5
	s_delay_alu instid0(VALU_DEP_2) | instskip(NEXT) | instid1(VALU_DEP_1)
	v_cndmask_b32_e32 v1, v8, v1, vcc_lo
	v_sqrt_f32_e32 v9, v1
	v_fmaak_f32 v8, s19, v1, 0x3c5fc5da
	s_delay_alu instid0(VALU_DEP_1) | instskip(NEXT) | instid1(VALU_DEP_1)
	v_fmaak_f32 v8, v1, v8, 0x3d034c3c
	v_fmaak_f32 v8, v1, v8, 0x3d3641b1
	s_delay_alu instid0(VALU_DEP_1) | instskip(NEXT) | instid1(VALU_DEP_1)
	v_fmaak_f32 v8, v1, v8, 0x3d999bc8
	v_fmaak_f32 v8, v1, v8, 0x3e2aaaac
	s_delay_alu instid0(VALU_DEP_1) | instskip(NEXT) | instid1(VALU_DEP_1)
	v_mul_f32_e32 v1, v1, v8
	v_fmac_f32_e32 v25, v25, v1
	s_delay_alu instid0(VALU_DEP_1) | instskip(SKIP_1) | instid1(VALU_DEP_1)
	v_sub_f32_e32 v8, 0x3fc90fdb, v25
	v_fmac_f32_e32 v9, v9, v1
                                        ; implicit-def: $vgpr25
	v_add_f32_e32 v1, v9, v9
	s_delay_alu instid0(VALU_DEP_1)
	v_cndmask_b32_e32 v8, v8, v1, vcc_lo
.LBB43_160:                             ;   in Loop: Header=BB43_5 Depth=1
	s_and_not1_saveexec_b32 s26, s5
	s_cbranch_execz .LBB43_162
; %bb.161:                              ;   in Loop: Header=BB43_5 Depth=1
	v_fma_f32 v1, |v25|, -0.5, 0.5
	v_mul_f32_e32 v8, v25, v25
	v_cmp_gt_f32_e64 vcc_lo, |v25|, 0.5
	v_cmp_lt_f32_e64 s5, 0, v25
	s_delay_alu instid0(VALU_DEP_3) | instskip(NEXT) | instid1(VALU_DEP_1)
	v_cndmask_b32_e32 v1, v8, v1, vcc_lo
	v_sqrt_f32_e32 v9, v1
	v_fmaak_f32 v8, s19, v1, 0x3c5fc5da
	s_delay_alu instid0(VALU_DEP_1) | instskip(NEXT) | instid1(VALU_DEP_1)
	v_fmaak_f32 v8, v1, v8, 0x3d034c3c
	v_fmaak_f32 v8, v1, v8, 0x3d3641b1
	s_delay_alu instid0(VALU_DEP_1) | instskip(NEXT) | instid1(VALU_DEP_1)
	v_fmaak_f32 v8, v1, v8, 0x3d999bc8
	v_fmaak_f32 v8, v1, v8, 0x3e2aaaac
	s_delay_alu instid0(VALU_DEP_1) | instskip(NEXT) | instid1(VALU_DEP_1)
	v_mul_f32_e32 v1, v1, v8
	v_fmac_f32_e32 v9, v9, v1
	s_delay_alu instid0(VALU_DEP_1) | instskip(NEXT) | instid1(VALU_DEP_1)
	v_add_f32_e32 v8, v9, v9
	v_sub_f32_e32 v9, 0x40490fdb, v8
	s_delay_alu instid0(VALU_DEP_1) | instskip(SKIP_1) | instid1(VALU_DEP_1)
	v_cndmask_b32_e64 v8, v8, v9, s5
	v_fma_f32 v1, -v25, v1, -v25
	v_sub_f32_e32 v1, 0x3fc90fdb, v1
	s_delay_alu instid0(VALU_DEP_1)
	v_cndmask_b32_e32 v8, v1, v8, vcc_lo
.LBB43_162:                             ;   in Loop: Header=BB43_5 Depth=1
	s_or_b32 exec_lo, exec_lo, s26
                                        ; implicit-def: $vgpr30
.LBB43_163:                             ;   in Loop: Header=BB43_5 Depth=1
	s_and_not1_saveexec_b32 s5, s6
	s_cbranch_execz .LBB43_169
; %bb.164:                              ;   in Loop: Header=BB43_5 Depth=1
	v_max_num_f32_e64 v1, |v31|, |v31|
	v_max_num_f32_e32 v8, v30, v30
	v_cmp_gt_f32_e64 vcc_lo, |v31|, v30
	s_delay_alu instid0(VALU_DEP_2) | instskip(NEXT) | instid1(VALU_DEP_1)
	v_dual_max_num_f32 v9, v8, v1 :: v_dual_min_num_f32 v1, v8, v1
	v_frexp_mant_f32_e32 v10, v9
	v_frexp_exp_i32_f32_e32 v9, v9
	s_delay_alu instid0(VALU_DEP_2)
	v_rcp_f32_e32 v8, v10
	v_nop
	v_frexp_mant_f32_e32 v10, v1
	v_frexp_exp_i32_f32_e32 v1, v1
	s_delay_alu instid0(TRANS32_DEP_1) | instid1(VALU_DEP_1)
	v_dual_mul_f32 v8, v10, v8 :: v_dual_sub_nc_u32 v1, v1, v9
	s_delay_alu instid0(VALU_DEP_1) | instskip(NEXT) | instid1(VALU_DEP_1)
	v_ldexp_f32 v1, v8, v1
	v_mul_f32_e32 v8, v1, v1
	s_delay_alu instid0(VALU_DEP_1) | instskip(NEXT) | instid1(VALU_DEP_1)
	v_fmaak_f32 v9, s20, v8, 0xbc7a590c
	v_fmaak_f32 v9, v8, v9, 0x3d29fb3f
	s_delay_alu instid0(VALU_DEP_1) | instskip(NEXT) | instid1(VALU_DEP_1)
	v_fmaak_f32 v9, v8, v9, 0xbd97d4d7
	v_fmaak_f32 v9, v8, v9, 0x3dd931b2
	;; [unrolled: 3-line block ×3, first 2 shown]
	s_delay_alu instid0(VALU_DEP_1) | instskip(NEXT) | instid1(VALU_DEP_1)
	v_fmaak_f32 v9, v8, v9, 0xbeaaaa62
	v_mul_f32_e32 v8, v8, v9
	s_delay_alu instid0(VALU_DEP_1) | instskip(NEXT) | instid1(VALU_DEP_1)
	v_fmac_f32_e32 v1, v1, v8
	v_sub_f32_e32 v8, 0x3fc90fdb, v1
	s_delay_alu instid0(VALU_DEP_1) | instskip(SKIP_1) | instid1(SALU_CYCLE_1)
	v_cndmask_b32_e32 v1, v1, v8, vcc_lo
	s_and_saveexec_b32 s6, s4
	s_xor_b32 s6, exec_lo, s6
	s_cbranch_execz .LBB43_166
; %bb.165:                              ;   in Loop: Header=BB43_5 Depth=1
	v_cmp_neq_f32_e64 s4, 0, v31
	v_cmp_eq_f32_e32 vcc_lo, 0x7f800000, v30
	v_cmp_class_f32_e64 s26, v31, 0x204
	s_delay_alu instid0(VALU_DEP_3) | instskip(SKIP_2) | instid1(VALU_DEP_2)
	v_cndmask_b32_e64 v1, 0, v1, s4
	s_and_b32 s4, vcc_lo, s26
	v_cmp_o_f32_e32 vcc_lo, v31, v31
	v_cndmask_b32_e64 v1, v1, 0x3f490fdb, s4
	s_delay_alu instid0(VALU_DEP_1) | instskip(NEXT) | instid1(VALU_DEP_1)
	v_cndmask_b32_e32 v1, 0x7fc00000, v1, vcc_lo
	v_bfi_b32 v8, 0x7fffffff, v1, v31
                                        ; implicit-def: $vgpr1
                                        ; implicit-def: $vgpr30
.LBB43_166:                             ;   in Loop: Header=BB43_5 Depth=1
	s_and_not1_saveexec_b32 s6, s6
	s_cbranch_execz .LBB43_168
; %bb.167:                              ;   in Loop: Header=BB43_5 Depth=1
	v_sub_f32_e32 v8, 0x40490fdb, v1
	v_cmp_lt_f32_e32 vcc_lo, 0, v30
	v_cmp_neq_f32_e64 s4, 0, v31
	v_cmp_class_f32_e64 s26, v31, 0x204
	s_delay_alu instid0(VALU_DEP_4) | instskip(SKIP_1) | instid1(VALU_DEP_2)
	v_cndmask_b32_e32 v1, v1, v8, vcc_lo
	v_cmp_eq_f32_e32 vcc_lo, 0x7f800000, v30
	v_cndmask_b32_e64 v1, 0x40490fdb, v1, s4
	s_and_b32 s4, vcc_lo, s26
	v_cmp_o_f32_e32 vcc_lo, v31, v31
	s_delay_alu instid0(VALU_DEP_2) | instskip(NEXT) | instid1(VALU_DEP_1)
	v_cndmask_b32_e64 v1, v1, 0x4016cbe4, s4
	v_cndmask_b32_e32 v1, 0x7fc00000, v1, vcc_lo
	s_delay_alu instid0(VALU_DEP_1)
	v_bfi_b32 v8, 0x7fffffff, v1, v31
.LBB43_168:                             ;   in Loop: Header=BB43_5 Depth=1
	s_or_b32 exec_lo, exec_lo, s6
.LBB43_169:                             ;   in Loop: Header=BB43_5 Depth=1
	s_delay_alu instid0(SALU_CYCLE_1)
	s_or_b32 exec_lo, exec_lo, s5
	v_cndmask_b32_e64 v9, -v21, v21, s2
                                        ; implicit-def: $vgpr10_vgpr11_vgpr12_vgpr13
.LBB43_170:                             ;   in Loop: Header=BB43_5 Depth=1
	s_and_not1_saveexec_b32 s4, s25
	s_cbranch_execz .LBB43_172
; %bb.171:                              ;   in Loop: Header=BB43_5 Depth=1
	s_wait_dscnt 0x0
	flat_load_b32 v1, v[16:17] scope:SCOPE_SYS
	s_wait_loadcnt_dscnt 0x0
	v_sub_f32_e32 v1, v1, v12
	s_delay_alu instid0(VALU_DEP_1)
	v_add_f32_e32 v8, 0x3fc90fdb, v1
.LBB43_172:                             ;   in Loop: Header=BB43_5 Depth=1
	s_or_b32 exec_lo, exec_lo, s4
.LBB43_173:                             ;   in Loop: Header=BB43_5 Depth=1
	s_and_not1_saveexec_b32 s4, s24
; %bb.174:                              ;   in Loop: Header=BB43_5 Depth=1
	v_mov_b32_e32 v8, 0
; %bb.175:                              ;   in Loop: Header=BB43_5 Depth=1
	s_or_b32 exec_lo, exec_lo, s4
                                        ; implicit-def: $vgpr10_vgpr11_vgpr12_vgpr13
                                        ; implicit-def: $vgpr1
                                        ; implicit-def: $vgpr10
                                        ; implicit-def: $vgpr11
.LBB43_176:                             ;   in Loop: Header=BB43_5 Depth=1
	s_and_not1_saveexec_b32 s6, s23
	s_cbranch_execz .LBB43_186
; %bb.177:                              ;   in Loop: Header=BB43_5 Depth=1
	v_cmp_lt_f32_e64 s4, |v12|, |v13|
                                        ; implicit-def: $vgpr9
                                        ; implicit-def: $vgpr8
	s_mov_b32 s5, exec_lo
	v_cndmask_b32_e64 v21, |v12|, |v13|, s4
	s_delay_alu instid0(VALU_DEP_1)
	v_cmpx_nlt_f32_e32 0x7effffff, v21
	s_xor_b32 s23, exec_lo, s5
	s_cbranch_execz .LBB43_183
; %bb.178:                              ;   in Loop: Header=BB43_5 Depth=1
	v_cndmask_b32_e64 v25, |v13|, |v12|, s4
	v_cmp_nlt_f32_e32 vcc_lo, 0x5e000000, v21
                                        ; implicit-def: $vgpr9
                                        ; implicit-def: $vgpr8
	s_delay_alu instid0(VALU_DEP_2) | instskip(SKIP_1) | instid1(SALU_CYCLE_1)
	v_cmp_ngt_f32_e64 s5, 0x20000000, v25
	s_and_b32 s5, vcc_lo, s5
	s_and_saveexec_b32 s24, s5
	s_delay_alu instid0(SALU_CYCLE_1)
	s_xor_b32 s24, exec_lo, s24
	s_cbranch_execz .LBB43_180
; %bb.179:                              ;   in Loop: Header=BB43_5 Depth=1
	s_wait_dscnt 0x0
	v_frexp_mant_f32_e32 v8, v1
	v_dual_min_num_f32 v9, v10, v11 :: v_dual_mul_f32 v11, v25, v25
	v_frexp_exp_i32_f32_e32 v1, v1
	s_delay_alu instid0(VALU_DEP_3) | instskip(NEXT) | instid1(VALU_DEP_2)
	v_rcp_f32_e32 v8, v8
	v_frexp_exp_i32_f32_e32 v10, v9
	v_frexp_mant_f32_e32 v9, v9
	s_delay_alu instid0(TRANS32_DEP_1) | instid1(VALU_DEP_1)
	v_dual_mul_f32 v8, v9, v8 :: v_dual_sub_nc_u32 v1, v10, v1
	s_delay_alu instid0(VALU_DEP_1) | instskip(NEXT) | instid1(VALU_DEP_1)
	v_ldexp_f32 v8, v8, v1
	v_dual_fmac_f32 v11, v21, v21 :: v_dual_mul_f32 v9, v8, v8
	s_delay_alu instid0(VALU_DEP_1) | instskip(SKIP_1) | instid1(VALU_DEP_1)
	v_cmp_gt_f32_e32 vcc_lo, 0x800000, v11
	v_cndmask_b32_e64 v1, 0, 32, vcc_lo
	v_ldexp_f32 v1, v11, v1
	s_delay_alu instid0(VALU_DEP_1) | instskip(SKIP_1) | instid1(TRANS32_DEP_1)
	v_log_f32_e32 v1, v1
	v_nop
	v_mul_f32_e32 v11, 0x3f317217, v1
	v_cmp_gt_f32_e64 s5, 0x7f800000, |v1|
	s_delay_alu instid0(VALU_DEP_2) | instskip(NEXT) | instid1(VALU_DEP_1)
	v_fma_f32 v11, 0x3f317217, v1, -v11
	v_fmac_f32_e32 v11, 0x3377d1cf, v1
	s_delay_alu instid0(VALU_DEP_1) | instskip(NEXT) | instid1(VALU_DEP_1)
	v_fmac_f32_e32 v11, 0x3f317217, v1
	v_cndmask_b32_e64 v1, v1, v11, s5
	v_cndmask_b32_e64 v11, 0, 0x41b17218, vcc_lo
	s_delay_alu instid0(VALU_DEP_1) | instskip(NEXT) | instid1(VALU_DEP_1)
	v_dual_fmaak_f32 v10, s20, v9, 0xbc7a590c :: v_dual_sub_f32 v1, v1, v11
	v_fmaak_f32 v10, v9, v10, 0x3d29fb3f
                                        ; implicit-def: $vgpr11
	s_delay_alu instid0(VALU_DEP_1) | instskip(NEXT) | instid1(VALU_DEP_1)
	v_fmaak_f32 v10, v9, v10, 0xbd97d4d7
	v_fmaak_f32 v10, v9, v10, 0x3dd931b2
	s_delay_alu instid0(VALU_DEP_1) | instskip(NEXT) | instid1(VALU_DEP_1)
	v_fmaak_f32 v10, v9, v10, 0xbe1160e6
	v_fmaak_f32 v10, v9, v10, 0x3e4cb8bf
	s_delay_alu instid0(VALU_DEP_1) | instskip(NEXT) | instid1(VALU_DEP_1)
	v_fmaak_f32 v10, v9, v10, 0xbeaaaa62
	v_dual_mul_f32 v10, v9, v10 :: v_dual_mul_f32 v9, 0.5, v1
                                        ; implicit-def: $vgpr1
	s_delay_alu instid0(VALU_DEP_1)
	v_fmac_f32_e32 v8, v8, v10
                                        ; implicit-def: $vgpr10
.LBB43_180:                             ;   in Loop: Header=BB43_5 Depth=1
	s_and_not1_saveexec_b32 s5, s24
	s_cbranch_execz .LBB43_182
; %bb.181:                              ;   in Loop: Header=BB43_5 Depth=1
	s_wait_dscnt 0x0
	v_cvt_f64_f32_e32 v[8:9], v1
	v_frexp_mant_f32_e32 v25, v1
	v_cmp_neq_f32_e32 vcc_lo, 0x7f800000, v1
	s_delay_alu instid0(VALU_DEP_3) | instskip(NEXT) | instid1(VALU_DEP_1)
	v_frexp_exp_i32_f64_e32 v8, v[8:9]
	v_sub_nc_u32_e32 v9, 0, v8
	s_delay_alu instid0(VALU_DEP_1) | instskip(NEXT) | instid1(VALU_DEP_1)
	v_ldexp_f32 v21, |v13|, v9
	v_mul_f32_e32 v21, v21, v21
	v_ldexp_f32 v9, |v12|, v9
	v_min_num_f32_e32 v10, v10, v11
	v_rcp_f32_e32 v11, v25
	s_delay_alu instid0(VALU_DEP_2) | instskip(SKIP_1) | instid1(VALU_DEP_3)
	v_fmac_f32_e32 v21, v9, v9
	v_frexp_exp_i32_f32_e32 v9, v1
	v_frexp_exp_i32_f32_e32 v25, v10
	v_frexp_mant_f32_e32 v10, v10
	s_delay_alu instid0(VALU_DEP_4)
	v_sqrt_f32_e32 v21, v21
	s_delay_alu instid0(TRANS32_DEP_2) | instid1(VALU_DEP_1)
	v_dual_mul_f32 v10, v10, v11 :: v_dual_sub_nc_u32 v9, v25, v9
	s_delay_alu instid0(TRANS32_DEP_1) | instskip(NEXT) | instid1(VALU_DEP_2)
	v_ldexp_f32 v11, v21, v8
	v_ldexp_f32 v8, v10, v9
	s_delay_alu instid0(VALU_DEP_1) | instskip(NEXT) | instid1(VALU_DEP_3)
	v_mul_f32_e32 v9, v8, v8
	v_cndmask_b32_e32 v1, 0x7f800000, v11, vcc_lo
	s_delay_alu instid0(VALU_DEP_2) | instskip(NEXT) | instid1(VALU_DEP_2)
	v_fmaak_f32 v11, s20, v9, 0xbc7a590c
	v_cmp_gt_f32_e32 vcc_lo, 0x800000, v1
	v_cndmask_b32_e64 v10, 0, 32, vcc_lo
	v_cndmask_b32_e64 v21, 0, 0x41b17218, vcc_lo
	s_delay_alu instid0(VALU_DEP_2) | instskip(SKIP_1) | instid1(VALU_DEP_2)
	v_ldexp_f32 v1, v1, v10
	v_fmaak_f32 v10, v9, v11, 0x3d29fb3f
	v_log_f32_e32 v1, v1
	v_nop
	s_delay_alu instid0(TRANS32_DEP_1) | instskip(SKIP_1) | instid1(VALU_DEP_2)
	v_mul_f32_e32 v11, 0x3f317217, v1
	v_cmp_gt_f32_e64 vcc_lo, 0x7f800000, |v1|
	v_fma_f32 v11, 0x3f317217, v1, -v11
	s_delay_alu instid0(VALU_DEP_1) | instskip(NEXT) | instid1(VALU_DEP_1)
	v_fmac_f32_e32 v11, 0x3377d1cf, v1
	v_fmac_f32_e32 v11, 0x3f317217, v1
	s_delay_alu instid0(VALU_DEP_1) | instskip(SKIP_1) | instid1(VALU_DEP_1)
	v_cndmask_b32_e32 v1, v1, v11, vcc_lo
	v_fmaak_f32 v10, v9, v10, 0xbd97d4d7
	v_fmaak_f32 v10, v9, v10, 0x3dd931b2
	s_delay_alu instid0(VALU_DEP_1) | instskip(NEXT) | instid1(VALU_DEP_1)
	v_fmaak_f32 v10, v9, v10, 0xbe1160e6
	v_fmaak_f32 v10, v9, v10, 0x3e4cb8bf
	s_delay_alu instid0(VALU_DEP_1) | instskip(NEXT) | instid1(VALU_DEP_1)
	v_fmaak_f32 v10, v9, v10, 0xbeaaaa62
	v_mul_f32_e32 v10, v9, v10
	s_delay_alu instid0(VALU_DEP_1)
	v_dual_sub_f32 v9, v1, v21 :: v_dual_fmac_f32 v8, v8, v10
.LBB43_182:                             ;   in Loop: Header=BB43_5 Depth=1
	s_or_b32 exec_lo, exec_lo, s5
                                        ; implicit-def: $vgpr10
                                        ; implicit-def: $vgpr11
                                        ; implicit-def: $vgpr1
.LBB43_183:                             ;   in Loop: Header=BB43_5 Depth=1
	s_and_not1_saveexec_b32 s23, s23
	s_cbranch_execz .LBB43_185
; %bb.184:                              ;   in Loop: Header=BB43_5 Depth=1
	v_div_scale_f32 v8, null, 0x402df854, 0x402df854, v12
	v_div_scale_f32 v9, null, 0x402df854, 0x402df854, v13
	v_div_scale_f32 v35, vcc_lo, v12, 0x402df854, v12
	s_delay_alu instid0(VALU_DEP_3) | instskip(NEXT) | instid1(VALU_DEP_2)
	v_rcp_f32_e32 v21, v8
	v_rcp_f32_e32 v25, v9
	v_min_num_f32_e32 v10, v10, v11
	s_delay_alu instid0(TRANS32_DEP_2) | instskip(NEXT) | instid1(TRANS32_DEP_1)
	v_fma_f32 v30, -v8, v21, 1.0
	v_fma_f32 v31, -v9, v25, 1.0
	s_delay_alu instid0(VALU_DEP_2) | instskip(SKIP_1) | instid1(VALU_DEP_3)
	v_fmac_f32_e32 v21, v30, v21
	v_div_scale_f32 v30, s5, v13, 0x402df854, v13
	v_fmac_f32_e32 v25, v31, v25
	s_delay_alu instid0(VALU_DEP_1) | instskip(NEXT) | instid1(VALU_DEP_1)
	v_mul_f32_e32 v36, v30, v25
	v_fma_f32 v38, -v9, v36, v30
	s_delay_alu instid0(VALU_DEP_1) | instskip(NEXT) | instid1(VALU_DEP_1)
	v_fmac_f32_e32 v36, v38, v25
	v_dual_mul_f32 v31, v35, v21 :: v_dual_fma_f32 v9, -v9, v36, v30
	s_delay_alu instid0(VALU_DEP_1) | instskip(NEXT) | instid1(VALU_DEP_1)
	v_fma_f32 v37, -v8, v31, v35
	v_fmac_f32_e32 v31, v37, v21
	s_delay_alu instid0(VALU_DEP_1) | instskip(NEXT) | instid1(VALU_DEP_1)
	v_fma_f32 v8, -v8, v31, v35
	v_div_fmas_f32 v8, v8, v21, v31
	s_mov_b32 vcc_lo, s5
	v_div_fmas_f32 v9, v9, v25, v36
	s_delay_alu instid0(VALU_DEP_2) | instskip(NEXT) | instid1(VALU_DEP_2)
	v_div_fixup_f32 v21, v8, 0x402df854, v12
	v_div_fixup_f32 v25, v9, 0x402df854, v13
	s_delay_alu instid0(VALU_DEP_1) | instskip(NEXT) | instid1(VALU_DEP_1)
	v_max_num_f32_e64 v30, |v21|, |v25|
	v_cvt_f64_f32_e32 v[8:9], v30
	v_cmp_neq_f32_e32 vcc_lo, 0x7f800000, v30
	s_delay_alu instid0(VALU_DEP_2) | instskip(NEXT) | instid1(VALU_DEP_1)
	v_frexp_exp_i32_f64_e32 v8, v[8:9]
	v_sub_nc_u32_e32 v9, 0, v8
	s_delay_alu instid0(VALU_DEP_1) | instskip(SKIP_1) | instid1(VALU_DEP_2)
	v_ldexp_f32 v25, |v25|, v9
	v_ldexp_f32 v9, |v21|, v9
	v_mul_f32_e32 v21, v25, v25
	s_delay_alu instid0(VALU_DEP_1) | instskip(SKIP_3) | instid1(VALU_DEP_3)
	v_fmac_f32_e32 v21, v9, v9
	s_wait_dscnt 0x0
	v_frexp_mant_f32_e32 v9, v1
	v_frexp_exp_i32_f32_e32 v1, v1
	v_sqrt_f32_e32 v11, v21
	s_delay_alu instid0(VALU_DEP_2) | instskip(SKIP_2) | instid1(TRANS32_DEP_2)
	v_rcp_f32_e32 v9, v9
	v_frexp_exp_i32_f32_e32 v21, v10
	v_frexp_mant_f32_e32 v10, v10
	v_ldexp_f32 v8, v11, v8
	s_delay_alu instid0(VALU_DEP_3)
	v_sub_nc_u32_e32 v1, v21, v1
	s_delay_alu instid0(TRANS32_DEP_1) | instid1(VALU_DEP_2)
	v_dual_mul_f32 v9, v10, v9 :: v_dual_cndmask_b32 v10, 0x7f800000, v8
	s_delay_alu instid0(VALU_DEP_1) | instskip(NEXT) | instid1(VALU_DEP_2)
	v_ldexp_f32 v8, v9, v1
	v_cmp_gt_f32_e32 vcc_lo, 0x800000, v10
	v_cndmask_b32_e64 v1, 0, 32, vcc_lo
	v_cndmask_b32_e64 v21, 0, 0x41b17218, vcc_lo
	s_delay_alu instid0(VALU_DEP_2) | instskip(NEXT) | instid1(VALU_DEP_1)
	v_ldexp_f32 v1, v10, v1
	v_log_f32_e32 v1, v1
	v_nop
	s_delay_alu instid0(TRANS32_DEP_1) | instskip(SKIP_1) | instid1(VALU_DEP_2)
	v_mul_f32_e32 v11, 0x3f317217, v1
	v_cmp_gt_f32_e64 vcc_lo, 0x7f800000, |v1|
	v_fma_f32 v11, 0x3f317217, v1, -v11
	s_delay_alu instid0(VALU_DEP_1) | instskip(NEXT) | instid1(VALU_DEP_1)
	v_fmac_f32_e32 v11, 0x3377d1cf, v1
	v_fmac_f32_e32 v11, 0x3f317217, v1
	s_delay_alu instid0(VALU_DEP_1) | instskip(NEXT) | instid1(VALU_DEP_1)
	v_dual_cndmask_b32 v1, v1, v11, vcc_lo :: v_dual_mul_f32 v9, v8, v8
	v_sub_f32_e32 v1, v1, v21
	s_delay_alu instid0(VALU_DEP_2) | instskip(NEXT) | instid1(VALU_DEP_1)
	v_fmaak_f32 v10, s20, v9, 0xbc7a590c
	v_fmaak_f32 v10, v9, v10, 0x3d29fb3f
	s_delay_alu instid0(VALU_DEP_1) | instskip(NEXT) | instid1(VALU_DEP_1)
	v_fmaak_f32 v10, v9, v10, 0xbd97d4d7
	v_fmaak_f32 v10, v9, v10, 0x3dd931b2
	s_delay_alu instid0(VALU_DEP_1) | instskip(NEXT) | instid1(VALU_DEP_1)
	;; [unrolled: 3-line block ×3, first 2 shown]
	v_fmaak_f32 v10, v9, v10, 0xbeaaaa62
	v_dual_mul_f32 v10, v9, v10 :: v_dual_add_f32 v9, 1.0, v1
	s_delay_alu instid0(VALU_DEP_1)
	v_fmac_f32_e32 v8, v8, v10
.LBB43_185:                             ;   in Loop: Header=BB43_5 Depth=1
	s_or_b32 exec_lo, exec_lo, s23
	s_wait_dscnt 0x0
	s_delay_alu instid0(VALU_DEP_1) | instskip(SKIP_3) | instid1(VALU_DEP_4)
	v_sub_f32_e32 v1, 0x3fc90fdb, v8
	v_cmp_gt_f32_e32 vcc_lo, 0, v12
	v_cndmask_b32_e64 v10, 0, 0x40490fdb, s3
	v_cmp_class_f32_e64 s3, v12, 0x204
	v_cndmask_b32_e64 v1, v8, v1, s4
	v_cmp_class_f32_e64 s4, v13, 0x204
	s_delay_alu instid0(VALU_DEP_2) | instskip(NEXT) | instid1(VALU_DEP_1)
	v_sub_f32_e32 v8, 0x40490fdb, v1
	v_cndmask_b32_e32 v1, v1, v8, vcc_lo
	v_cndmask_b32_e32 v8, 0x3f490fdb, v34, vcc_lo
	v_cmp_eq_f32_e32 vcc_lo, 0, v13
	s_delay_alu instid0(VALU_DEP_3) | instskip(SKIP_1) | instid1(VALU_DEP_1)
	v_cndmask_b32_e64 v1, |v1|, v10, vcc_lo
	s_and_b32 vcc_lo, s3, s4
	v_dual_add_f32 v9, 0x3f317218, v9 :: v_dual_cndmask_b32 v8, v1, v8
	s_delay_alu instid0(VALU_DEP_1)
	v_cndmask_b32_e64 v9, -v9, v9, s2
.LBB43_186:                             ;   in Loop: Header=BB43_5 Depth=1
	s_or_b32 exec_lo, exec_lo, s6
                                        ; implicit-def: $vgpr10_vgpr11_vgpr12_vgpr13
.LBB43_187:                             ;   in Loop: Header=BB43_5 Depth=1
	s_and_not1_saveexec_b32 s2, s22
	s_cbranch_execz .LBB43_201
; %bb.188:                              ;   in Loop: Header=BB43_5 Depth=1
	v_cmp_neq_f32_e64 s3, 0x7f800000, |v12|
	s_and_saveexec_b32 s4, s3
	s_delay_alu instid0(SALU_CYCLE_1)
	s_xor_b32 s3, exec_lo, s4
	s_cbranch_execz .LBB43_198
; %bb.189:                              ;   in Loop: Header=BB43_5 Depth=1
	v_cmp_neq_f32_e64 s4, 0x7f800000, |v13|
	v_xor_b32_e32 v9, 0x80000000, v13
	s_and_saveexec_b32 s5, s4
	s_delay_alu instid0(SALU_CYCLE_1)
	s_xor_b32 s4, exec_lo, s5
	s_cbranch_execz .LBB43_195
; %bb.190:                              ;   in Loop: Header=BB43_5 Depth=1
	s_mov_b32 s5, exec_lo
	v_cmpx_neq_f32_e32 0, v12
	s_xor_b32 s5, exec_lo, s5
	s_cbranch_execz .LBB43_192
; %bb.191:                              ;   in Loop: Header=BB43_5 Depth=1
	s_wait_dscnt 0x0
	v_add_f32_e32 v1, 0, v13
	s_delay_alu instid0(VALU_DEP_1)
	v_add_f32_e32 v9, v12, v1
                                        ; implicit-def: $vgpr10_vgpr11_vgpr12_vgpr13
.LBB43_192:                             ;   in Loop: Header=BB43_5 Depth=1
	s_or_saveexec_b32 s5, s5
	s_delay_alu instid0(VALU_DEP_1)
	v_mov_b32_e32 v8, v9
	s_xor_b32 exec_lo, exec_lo, s5
	s_cbranch_execz .LBB43_194
; %bb.193:                              ;   in Loop: Header=BB43_5 Depth=1
	s_wait_dscnt 0x0
	flat_load_b32 v1, v[16:17] scope:SCOPE_SYS
	s_wait_loadcnt 0x0
	v_add_f32_e32 v9, v13, v13
	s_wait_dscnt 0x0
	v_add_f32_e32 v8, 0x3fc90fdb, v1
.LBB43_194:                             ;   in Loop: Header=BB43_5 Depth=1
	s_wait_xcnt 0x0
	s_or_b32 exec_lo, exec_lo, s5
                                        ; implicit-def: $vgpr10_vgpr11_vgpr12_vgpr13
.LBB43_195:                             ;   in Loop: Header=BB43_5 Depth=1
	s_and_not1_saveexec_b32 s4, s4
; %bb.196:                              ;   in Loop: Header=BB43_5 Depth=1
	v_add_f32_e32 v8, v12, v12
; %bb.197:                              ;   in Loop: Header=BB43_5 Depth=1
	s_or_b32 exec_lo, exec_lo, s4
                                        ; implicit-def: $vgpr10_vgpr11_vgpr12_vgpr13
.LBB43_198:                             ;   in Loop: Header=BB43_5 Depth=1
	s_and_not1_saveexec_b32 s3, s3
; %bb.199:                              ;   in Loop: Header=BB43_5 Depth=1
	v_dual_add_f32 v8, v13, v13 :: v_dual_mov_b32 v9, 0xff800000
; %bb.200:                              ;   in Loop: Header=BB43_5 Depth=1
	s_or_b32 exec_lo, exec_lo, s3
.LBB43_201:                             ;   in Loop: Header=BB43_5 Depth=1
	s_delay_alu instid0(SALU_CYCLE_1)
	s_or_b32 exec_lo, exec_lo, s2
	flat_store_b32 v[16:17], v32 scope:SCOPE_SYS
	s_wait_storecnt 0x0
                                        ; implicit-def: $vgpr11
	s_mov_b32 s2, exec_lo
	s_wait_loadcnt 0x0
	v_cmpx_o_f32_e32 v2, v3
	s_xor_b32 s22, exec_lo, s2
	s_cbranch_execz .LBB43_285
; %bb.202:                              ;   in Loop: Header=BB43_5 Depth=1
	v_max_num_f32_e64 v12, |v3|, |v3|
	v_max_num_f32_e64 v13, |v2|, |v2|
	v_cmp_gt_i32_e64 s3, 0, v2
	v_cmp_lt_i32_e64 s4, -1, v2
	v_cmp_gt_i32_e64 s2, 0, v3
                                        ; implicit-def: $vgpr11
	s_mov_b32 s5, exec_lo
	s_wait_dscnt 0x1
	v_max_num_f32_e32 v1, v13, v12
	s_delay_alu instid0(VALU_DEP_1)
	v_cmpx_nlt_f32_e32 0x4b000000, v1
	s_xor_b32 s23, exec_lo, s5
	s_cbranch_execz .LBB43_274
; %bb.203:                              ;   in Loop: Header=BB43_5 Depth=1
	v_cmp_neq_f32_e32 vcc_lo, 1.0, v2
	v_cmp_neq_f32_e64 s5, 0, v3
	v_xor_b32_e32 v11, 0x80000000, v3
	s_or_b32 s5, vcc_lo, s5
	s_delay_alu instid0(SALU_CYCLE_1) | instskip(NEXT) | instid1(SALU_CYCLE_1)
	s_and_saveexec_b32 s6, s5
	s_xor_b32 s24, exec_lo, s6
	s_cbranch_execz .LBB43_271
; %bb.204:                              ;   in Loop: Header=BB43_5 Depth=1
	flat_store_b32 v[18:19], v33 scope:SCOPE_SYS
	s_wait_storecnt 0x0
	flat_load_b32 v1, v[18:19] scope:SCOPE_SYS
	s_wait_loadcnt 0x0
	v_cmp_ngt_f32_e64 s5, 0x395db3d7, |v2|
	v_cmp_ngt_f32_e64 s6, 0x395db3d7, |v3|
	v_xor_b32_e32 v11, 0x80000000, v3
	s_or_b32 s5, s5, s6
	s_wait_dscnt 0x0
	v_add_f32_e32 v1, 1.0, v1
	flat_store_b32 v[22:23], v1 scope:SCOPE_SYS
	s_wait_storecnt 0x0
	flat_load_b32 v1, v[22:23] scope:SCOPE_SYS
	s_wait_loadcnt 0x0
	s_wait_xcnt 0x0
	s_and_saveexec_b32 s6, s5
	s_delay_alu instid0(SALU_CYCLE_1)
	s_xor_b32 s25, exec_lo, s6
	s_cbranch_execz .LBB43_268
; %bb.205:                              ;   in Loop: Header=BB43_5 Depth=1
	v_add_f32_e64 v30, |v2|, 1.0
	s_wait_dscnt 0x0
	v_add_f32_e64 v1, |v2|, -1.0
	s_mov_b32 s5, exec_lo
	s_delay_alu instid0(VALU_DEP_2) | instskip(NEXT) | instid1(VALU_DEP_2)
	v_max_num_f32_e32 v21, v12, v30
	v_max_num_f32_e64 v25, v12, |v1|
	s_delay_alu instid0(VALU_DEP_2) | instskip(NEXT) | instid1(VALU_DEP_2)
	v_cvt_f64_f32_e32 v[10:11], v21
	v_cvt_f64_f32_e32 v[12:13], v25
	s_delay_alu instid0(VALU_DEP_2) | instskip(NEXT) | instid1(VALU_DEP_2)
	v_frexp_exp_i32_f64_e32 v10, v[10:11]
	v_frexp_exp_i32_f64_e32 v11, v[12:13]
	s_delay_alu instid0(VALU_DEP_1) | instskip(SKIP_1) | instid1(VALU_DEP_2)
	v_dual_sub_nc_u32 v12, 0, v10 :: v_dual_sub_nc_u32 v13, 0, v11
	v_cmp_neq_f32_e32 vcc_lo, 0x7f800000, v21
                                        ; implicit-def: $vgpr21
	v_ldexp_f32 v31, v30, v12
	s_delay_alu instid0(VALU_DEP_3) | instskip(SKIP_1) | instid1(VALU_DEP_3)
	v_ldexp_f32 v35, |v1|, v13
	v_ldexp_f32 v13, |v3|, v13
	v_mul_f32_e32 v31, v31, v31
	v_ldexp_f32 v12, |v3|, v12
	s_delay_alu instid0(VALU_DEP_1) | instskip(NEXT) | instid1(VALU_DEP_1)
	v_dual_mul_f32 v35, v35, v35 :: v_dual_fmac_f32 v31, v12, v12
	v_sqrt_f32_e32 v12, v31
	v_nop
	s_delay_alu instid0(TRANS32_DEP_1) | instskip(NEXT) | instid1(VALU_DEP_1)
	v_ldexp_f32 v10, v12, v10
	v_dual_fmac_f32 v35, v13, v13 :: v_dual_cndmask_b32 v36, 0x7f800000, v10
	s_delay_alu instid0(VALU_DEP_1) | instskip(SKIP_1) | instid1(TRANS32_DEP_1)
	v_sqrt_f32_e32 v13, v35
	v_cmp_neq_f32_e32 vcc_lo, 0x7f800000, v25
	v_ldexp_f32 v11, v13, v11
	s_delay_alu instid0(VALU_DEP_1) | instskip(NEXT) | instid1(VALU_DEP_1)
	v_cndmask_b32_e32 v31, 0x7f800000, v11, vcc_lo
	v_add_f32_e32 v10, v36, v31
	s_delay_alu instid0(VALU_DEP_1) | instskip(NEXT) | instid1(VALU_DEP_1)
	v_mul_f32_e32 v10, 0.5, v10
	v_cmp_ngt_f32_e32 vcc_lo, 1.0, v10
	v_cndmask_b32_e32 v10, 1.0, v10, vcc_lo
	s_delay_alu instid0(VALU_DEP_1)
	v_cmpx_ngt_f32_e32 0x41200000, v10
	s_xor_b32 s6, exec_lo, s5
	s_cbranch_execz .LBB43_207
; %bb.206:                              ;   in Loop: Header=BB43_5 Depth=1
	v_fma_f32 v11, v10, v10, -1.0
	s_delay_alu instid0(VALU_DEP_1) | instskip(SKIP_1) | instid1(VALU_DEP_2)
	v_mul_f32_e32 v12, 0x4f800000, v11
	v_cmp_gt_f32_e32 vcc_lo, 0xf800000, v11
	v_cndmask_b32_e32 v11, v11, v12, vcc_lo
	s_delay_alu instid0(VALU_DEP_1) | instskip(SKIP_1) | instid1(TRANS32_DEP_1)
	v_sqrt_f32_e32 v12, v11
	v_nop
	v_dual_add_nc_u32 v13, -1, v12 :: v_dual_add_nc_u32 v21, 1, v12
	s_delay_alu instid0(VALU_DEP_1) | instskip(NEXT) | instid1(VALU_DEP_1)
	v_fma_f32 v25, -v13, v12, v11
	v_cmp_ge_f32_e64 s5, 0, v25
	s_delay_alu instid0(VALU_DEP_1) | instskip(NEXT) | instid1(VALU_DEP_1)
	v_dual_fma_f32 v35, -v21, v12, v11 :: v_dual_cndmask_b32 v12, v12, v13, s5
	v_cmp_lt_f32_e64 s5, 0, v35
	s_delay_alu instid0(VALU_DEP_1) | instskip(NEXT) | instid1(VALU_DEP_1)
	v_cndmask_b32_e64 v12, v12, v21, s5
	v_mul_f32_e32 v13, 0x37800000, v12
	s_delay_alu instid0(VALU_DEP_1) | instskip(SKIP_1) | instid1(VALU_DEP_2)
	v_cndmask_b32_e32 v12, v12, v13, vcc_lo
	v_cmp_class_f32_e64 vcc_lo, v11, 0x260
	v_cndmask_b32_e32 v11, v12, v11, vcc_lo
	s_delay_alu instid0(VALU_DEP_1) | instskip(NEXT) | instid1(VALU_DEP_1)
	v_add_f32_e32 v11, v10, v11
	v_cmp_gt_f32_e32 vcc_lo, 0x800000, v11
	s_delay_alu instid0(VALU_DEP_4) | instskip(NEXT) | instid1(VALU_DEP_1)
	v_cndmask_b32_e64 v12, 0, 32, vcc_lo
	v_ldexp_f32 v11, v11, v12
	s_delay_alu instid0(VALU_DEP_1) | instskip(SKIP_1) | instid1(TRANS32_DEP_1)
	v_log_f32_e32 v11, v11
	v_nop
	v_mul_f32_e32 v12, 0x3f317217, v11
	v_cmp_gt_f32_e64 s5, 0x7f800000, |v11|
	s_delay_alu instid0(VALU_DEP_2) | instskip(NEXT) | instid1(VALU_DEP_1)
	v_fma_f32 v12, 0x3f317217, v11, -v12
	v_fmac_f32_e32 v12, 0x3377d1cf, v11
	s_delay_alu instid0(VALU_DEP_1) | instskip(NEXT) | instid1(VALU_DEP_1)
	v_fmac_f32_e32 v12, 0x3f317217, v11
	v_cndmask_b32_e64 v11, v11, v12, s5
	v_cndmask_b32_e64 v12, 0, 0x41b17218, vcc_lo
	s_delay_alu instid0(VALU_DEP_1)
	v_sub_f32_e32 v21, v11, v12
.LBB43_207:                             ;   in Loop: Header=BB43_5 Depth=1
	s_or_saveexec_b32 s6, s6
	v_and_b32_e32 v35, 0x7fffffff, v3
	s_xor_b32 exec_lo, exec_lo, s6
	s_cbranch_execz .LBB43_229
; %bb.208:                              ;   in Loop: Header=BB43_5 Depth=1
	v_cmp_neq_f32_e64 s5, |v2|, 1.0
	v_cmp_ngt_f32_e64 s26, 0x25000000, |v3|
                                        ; implicit-def: $vgpr21
	s_or_b32 s5, s5, s26
	s_delay_alu instid0(SALU_CYCLE_1) | instskip(NEXT) | instid1(SALU_CYCLE_1)
	s_and_saveexec_b32 s26, s5
	s_xor_b32 s26, exec_lo, s26
	s_cbranch_execz .LBB43_226
; %bb.209:                              ;   in Loop: Header=BB43_5 Depth=1
	v_mul_f32_e64 v11, 0x34000000, |v1|
	s_mov_b32 s27, exec_lo
                                        ; implicit-def: $vgpr21
	s_delay_alu instid0(VALU_DEP_1)
	v_cmpx_ge_f32_e64 |v3|, v11
	s_xor_b32 s27, exec_lo, s27
	s_cbranch_execz .LBB43_219
; %bb.210:                              ;   in Loop: Header=BB43_5 Depth=1
	v_mov_b32_e32 v11, v35
	s_mov_b32 s5, exec_lo
	v_cmpx_neq_f32_e32 0, v30
	s_cbranch_execz .LBB43_212
; %bb.211:                              ;   in Loop: Header=BB43_5 Depth=1
	v_dual_mul_f32 v11, v3, v3 :: v_dual_add_f32 v12, v30, v36
	s_delay_alu instid0(VALU_DEP_1) | instskip(NEXT) | instid1(VALU_DEP_1)
	v_div_scale_f32 v13, null, v12, v12, v11
	v_rcp_f32_e32 v21, v13
	v_nop
	s_delay_alu instid0(TRANS32_DEP_1) | instskip(NEXT) | instid1(VALU_DEP_1)
	v_fma_f32 v25, -v13, v21, 1.0
	v_fmac_f32_e32 v21, v25, v21
	v_div_scale_f32 v25, vcc_lo, v11, v12, v11
	s_delay_alu instid0(VALU_DEP_1) | instskip(NEXT) | instid1(VALU_DEP_1)
	v_mul_f32_e32 v37, v25, v21
	v_fma_f32 v38, -v13, v37, v25
	s_delay_alu instid0(VALU_DEP_1) | instskip(NEXT) | instid1(VALU_DEP_1)
	v_fmac_f32_e32 v37, v38, v21
	v_fma_f32 v13, -v13, v37, v25
	s_delay_alu instid0(VALU_DEP_1) | instskip(NEXT) | instid1(VALU_DEP_1)
	v_div_fmas_f32 v13, v13, v21, v37
	v_div_fixup_f32 v11, v13, v12, v11
.LBB43_212:                             ;   in Loop: Header=BB43_5 Depth=1
	s_or_b32 exec_lo, exec_lo, s5
	v_sub_f32_e64 v13, 1.0, |v2|
	s_mov_b32 s5, exec_lo
                                        ; implicit-def: $vgpr12
	s_delay_alu instid0(VALU_DEP_1)
	v_cmpx_ngt_f32_e32 0, v13
	s_xor_b32 s5, exec_lo, s5
	s_cbranch_execz .LBB43_216
; %bb.213:                              ;   in Loop: Header=BB43_5 Depth=1
	v_mov_b32_e32 v12, v35
	s_mov_b32 s28, exec_lo
	v_cmpx_neq_f32_e32 0, v13
	s_cbranch_execz .LBB43_215
; %bb.214:                              ;   in Loop: Header=BB43_5 Depth=1
	v_mul_f32_e32 v12, v3, v3
	v_add_f32_e32 v13, v13, v31
	s_delay_alu instid0(VALU_DEP_1) | instskip(NEXT) | instid1(VALU_DEP_1)
	v_div_scale_f32 v21, null, v13, v13, v12
	v_rcp_f32_e32 v25, v21
	v_nop
	s_delay_alu instid0(TRANS32_DEP_1) | instskip(NEXT) | instid1(VALU_DEP_1)
	v_fma_f32 v37, -v21, v25, 1.0
	v_fmac_f32_e32 v25, v37, v25
	v_div_scale_f32 v37, vcc_lo, v12, v13, v12
	s_delay_alu instid0(VALU_DEP_1) | instskip(NEXT) | instid1(VALU_DEP_1)
	v_mul_f32_e32 v38, v37, v25
	v_fma_f32 v39, -v21, v38, v37
	s_delay_alu instid0(VALU_DEP_1) | instskip(NEXT) | instid1(VALU_DEP_1)
	v_fmac_f32_e32 v38, v39, v25
	v_fma_f32 v21, -v21, v38, v37
	s_delay_alu instid0(VALU_DEP_1) | instskip(NEXT) | instid1(VALU_DEP_1)
	v_div_fmas_f32 v21, v21, v25, v38
	v_div_fixup_f32 v12, v21, v13, v12
.LBB43_215:                             ;   in Loop: Header=BB43_5 Depth=1
	s_or_b32 exec_lo, exec_lo, s28
                                        ; implicit-def: $vgpr13
.LBB43_216:                             ;   in Loop: Header=BB43_5 Depth=1
	s_and_not1_saveexec_b32 s5, s5
; %bb.217:                              ;   in Loop: Header=BB43_5 Depth=1
	v_sub_f32_e32 v12, v31, v13
; %bb.218:                              ;   in Loop: Header=BB43_5 Depth=1
	s_or_b32 exec_lo, exec_lo, s5
	s_delay_alu instid0(VALU_DEP_1) | instskip(NEXT) | instid1(VALU_DEP_1)
	v_dual_mul_f32 v11, 0.5, v11 :: v_dual_mul_f32 v21, 0.5, v12
	v_pk_add_f32 v[12:13], v[10:11], v[20:21]
	s_delay_alu instid0(VALU_DEP_1) | instskip(NEXT) | instid1(VALU_DEP_1)
	v_mul_f32_e32 v11, v12, v13
	v_mul_f32_e32 v12, 0x4f800000, v11
	v_cmp_gt_f32_e32 vcc_lo, 0xf800000, v11
	s_delay_alu instid0(VALU_DEP_2) | instskip(NEXT) | instid1(VALU_DEP_1)
	v_cndmask_b32_e32 v11, v11, v12, vcc_lo
	v_sqrt_f32_e32 v12, v11
	v_nop
	s_delay_alu instid0(TRANS32_DEP_1) | instskip(NEXT) | instid1(VALU_DEP_1)
	v_dual_add_nc_u32 v21, -1, v12 :: v_dual_add_nc_u32 v25, 1, v12
	v_fma_f32 v37, -v21, v12, v11
	s_delay_alu instid0(VALU_DEP_2) | instskip(NEXT) | instid1(VALU_DEP_2)
	v_fma_f32 v38, -v25, v12, v11
	v_cmp_ge_f32_e64 s5, 0, v37
	s_delay_alu instid0(VALU_DEP_1) | instskip(NEXT) | instid1(VALU_DEP_3)
	v_cndmask_b32_e64 v12, v12, v21, s5
	v_cmp_lt_f32_e64 s5, 0, v38
	s_delay_alu instid0(VALU_DEP_1) | instskip(NEXT) | instid1(VALU_DEP_1)
	v_cndmask_b32_e64 v12, v12, v25, s5
	v_mul_f32_e32 v21, 0x37800000, v12
	s_delay_alu instid0(VALU_DEP_1) | instskip(SKIP_1) | instid1(VALU_DEP_2)
	v_cndmask_b32_e32 v12, v12, v21, vcc_lo
	v_cmp_class_f32_e64 vcc_lo, v11, 0x260
	v_cndmask_b32_e32 v11, v12, v11, vcc_lo
	s_delay_alu instid0(VALU_DEP_1) | instskip(NEXT) | instid1(VALU_DEP_1)
	v_add_f32_e32 v12, v13, v11
	v_add_f32_e32 v39, 1.0, v12
	s_delay_alu instid0(VALU_DEP_1) | instskip(SKIP_2) | instid1(VALU_DEP_2)
	v_cvt_f64_f32_e32 v[40:41], v39
	v_frexp_mant_f32_e32 v21, v39
	v_add_f32_e32 v13, -1.0, v39
	v_cmp_gt_f32_e32 vcc_lo, 0x3f2aaaab, v21
	s_delay_alu instid0(VALU_DEP_2) | instskip(SKIP_1) | instid1(VALU_DEP_2)
	v_mov_b32_e32 v38, v13
	v_frexp_exp_i32_f64_e32 v11, v[40:41]
	v_pk_add_f32 v[40:41], v[12:13], v[38:39] neg_lo:[0,1] neg_hi:[0,1]
	s_delay_alu instid0(VALU_DEP_1) | instskip(NEXT) | instid1(VALU_DEP_3)
	v_add_f32_e32 v25, 1.0, v41
	v_subrev_co_ci_u32_e64 v11, null, 0, v11, vcc_lo
	v_cmp_neq_f32_e32 vcc_lo, 0x7f800000, v12
	s_delay_alu instid0(VALU_DEP_2) | instskip(NEXT) | instid1(VALU_DEP_1)
	v_sub_nc_u32_e32 v21, 0, v11
	v_ldexp_f32 v13, v39, v21
	s_delay_alu instid0(VALU_DEP_1) | instskip(SKIP_1) | instid1(VALU_DEP_2)
	v_dual_add_f32 v37, 1.0, v13 :: v_dual_add_f32 v43, -1.0, v13
	v_add_f32_e32 v25, v40, v25
	v_add_f32_e32 v38, -1.0, v37
	s_delay_alu instid0(VALU_DEP_2) | instskip(NEXT) | instid1(VALU_DEP_2)
	v_ldexp_f32 v21, v25, v21
	v_dual_sub_f32 v25, v13, v38 :: v_dual_add_f32 v38, 1.0, v43
	s_delay_alu instid0(VALU_DEP_1) | instskip(NEXT) | instid1(VALU_DEP_2)
	v_sub_f32_e32 v13, v13, v38
	v_add_f32_e32 v25, v21, v25
	s_delay_alu instid0(VALU_DEP_2) | instskip(NEXT) | instid1(VALU_DEP_1)
	v_add_f32_e32 v13, v21, v13
	v_add_f32_e32 v39, v43, v13
	s_delay_alu instid0(VALU_DEP_3) | instskip(NEXT) | instid1(VALU_DEP_1)
	v_add_f32_e32 v44, v37, v25
	v_rcp_f32_e32 v21, v44
	v_sub_f32_e32 v37, v44, v37
	s_delay_alu instid0(VALU_DEP_1) | instskip(NEXT) | instid1(TRANS32_DEP_1)
	v_sub_f32_e32 v25, v25, v37
	v_mul_f32_e32 v45, v39, v21
	s_delay_alu instid0(VALU_DEP_1) | instskip(NEXT) | instid1(VALU_DEP_1)
	v_mul_f32_e32 v40, v44, v45
	v_dual_fma_f32 v42, v45, v44, -v40 :: v_dual_sub_f32 v37, v39, v43
	s_delay_alu instid0(VALU_DEP_1) | instskip(NEXT) | instid1(VALU_DEP_1)
	v_fmac_f32_e32 v42, v45, v25
	v_dual_sub_f32 v13, v13, v37 :: v_dual_add_f32 v38, v40, v42
	s_delay_alu instid0(VALU_DEP_1) | instskip(NEXT) | instid1(VALU_DEP_1)
	v_dual_sub_f32 v41, v39, v38 :: v_dual_mov_b32 v43, v38
	v_pk_add_f32 v[38:39], v[38:39], v[40:41] neg_lo:[0,1] neg_hi:[0,1]
	s_delay_alu instid0(VALU_DEP_1) | instskip(NEXT) | instid1(VALU_DEP_1)
	v_pk_add_f32 v[38:39], v[38:39], v[42:43] neg_lo:[0,1] neg_hi:[0,1]
	v_add_f32_e32 v13, v13, v39
	s_delay_alu instid0(VALU_DEP_1) | instskip(NEXT) | instid1(VALU_DEP_1)
	v_add_f32_e32 v13, v38, v13
	v_add_f32_e32 v39, v41, v13
	s_delay_alu instid0(VALU_DEP_1) | instskip(NEXT) | instid1(VALU_DEP_1)
	v_mul_f32_e32 v37, v21, v39
	v_mul_f32_e32 v42, v44, v37
	s_delay_alu instid0(VALU_DEP_1) | instskip(SKIP_1) | instid1(VALU_DEP_2)
	v_fma_f32 v40, v37, v44, -v42
	v_add_f32_e32 v44, v45, v37
	v_fmac_f32_e32 v40, v37, v25
	v_sub_f32_e32 v25, v41, v39
	s_delay_alu instid0(VALU_DEP_1) | instskip(NEXT) | instid1(VALU_DEP_4)
	v_add_f32_e32 v13, v13, v25
	v_sub_f32_e32 v25, v44, v45
	s_delay_alu instid0(VALU_DEP_1) | instskip(NEXT) | instid1(VALU_DEP_1)
	v_dual_sub_f32 v25, v37, v25 :: v_dual_add_f32 v38, v42, v40
	v_dual_mov_b32 v41, v38 :: v_dual_sub_f32 v43, v39, v38
	s_delay_alu instid0(VALU_DEP_1) | instskip(NEXT) | instid1(VALU_DEP_1)
	v_pk_add_f32 v[38:39], v[38:39], v[42:43] neg_lo:[0,1] neg_hi:[0,1]
	v_pk_add_f32 v[38:39], v[38:39], v[40:41] neg_lo:[0,1] neg_hi:[0,1]
	s_delay_alu instid0(VALU_DEP_1) | instskip(NEXT) | instid1(VALU_DEP_1)
	v_add_f32_e32 v13, v13, v39
	v_add_f32_e32 v13, v38, v13
	v_cvt_f32_i32_e32 v38, v11
	s_delay_alu instid0(VALU_DEP_2) | instskip(NEXT) | instid1(VALU_DEP_1)
	v_add_f32_e32 v13, v43, v13
	v_mul_f32_e32 v13, v21, v13
	s_delay_alu instid0(VALU_DEP_1) | instskip(NEXT) | instid1(VALU_DEP_1)
	v_add_f32_e32 v13, v25, v13
	v_add_f32_e32 v21, v44, v13
	s_delay_alu instid0(VALU_DEP_1) | instskip(NEXT) | instid1(VALU_DEP_1)
	v_sub_f32_e32 v11, v21, v44
	v_sub_f32_e32 v11, v13, v11
	v_mul_f32_e32 v25, v21, v21
	v_ldexp_f32 v43, v21, 1
	s_delay_alu instid0(VALU_DEP_3) | instskip(NEXT) | instid1(VALU_DEP_3)
	v_ldexp_f32 v11, v11, 1
	v_fmaak_f32 v37, s18, v25, 0x3ecc95a3
	v_mul_f32_e32 v39, v21, v25
	s_delay_alu instid0(VALU_DEP_2) | instskip(NEXT) | instid1(VALU_DEP_1)
	v_fmaak_f32 v25, v25, v37, 0x3f2aaada
	v_pk_mul_f32 v[40:41], v[38:39], v[24:25]
	s_delay_alu instid0(VALU_DEP_1) | instskip(SKIP_1) | instid1(VALU_DEP_2)
	v_fma_f32 v42, 0x3f317218, v38, -v40
	v_mov_b32_e32 v44, v40
	v_fmac_f32_e32 v42, 0xb102e308, v38
	s_delay_alu instid0(VALU_DEP_1) | instskip(NEXT) | instid1(VALU_DEP_1)
	v_pk_add_f32 v[38:39], v[40:41], v[42:43]
	v_dual_sub_f32 v13, v39, v43 :: v_dual_mov_b32 v43, v38
	s_delay_alu instid0(VALU_DEP_1) | instskip(SKIP_1) | instid1(VALU_DEP_2)
	v_dual_mov_b32 v52, v39 :: v_dual_sub_f32 v13, v41, v13
	v_pk_add_f32 v[40:41], v[38:39], v[40:41] neg_lo:[0,1] neg_hi:[0,1]
	v_add_f32_e32 v45, v11, v13
	s_delay_alu instid0(VALU_DEP_1) | instskip(NEXT) | instid1(VALU_DEP_1)
	v_pk_add_f32 v[46:47], v[38:39], v[44:45]
	v_mov_b32_e32 v41, v47
	s_delay_alu instid0(VALU_DEP_1) | instskip(SKIP_2) | instid1(VALU_DEP_3)
	v_pk_add_f32 v[48:49], v[42:43], v[40:41]
	v_mov_b32_e32 v48, v47
	v_pk_add_f32 v[40:41], v[42:43], v[40:41] neg_lo:[0,1] neg_hi:[0,1]
	v_dual_mov_b32 v44, v49 :: v_dual_mov_b32 v41, v49
	s_delay_alu instid0(VALU_DEP_1) | instskip(SKIP_1) | instid1(VALU_DEP_2)
	v_pk_add_f32 v[50:51], v[44:45], v[38:39] neg_lo:[0,1] neg_hi:[0,1]
	v_dual_mov_b32 v39, v38 :: v_dual_mov_b32 v38, v45
	v_dual_mov_b32 v11, v50 :: v_dual_mov_b32 v53, v50
	s_delay_alu instid0(VALU_DEP_1) | instskip(NEXT) | instid1(VALU_DEP_2)
	v_pk_add_f32 v[42:43], v[46:47], v[10:11] neg_lo:[0,1] neg_hi:[0,1]
	v_pk_add_f32 v[50:51], v[48:49], v[52:53] neg_lo:[0,1] neg_hi:[0,1]
	v_mov_b32_e32 v42, v40
	s_delay_alu instid0(VALU_DEP_2) | instskip(NEXT) | instid1(VALU_DEP_1)
	v_pk_add_f32 v[38:39], v[38:39], v[50:51] neg_lo:[0,1] neg_hi:[0,1]
	v_pk_add_f32 v[42:43], v[42:43], v[38:39]
	s_delay_alu instid0(VALU_DEP_1) | instskip(NEXT) | instid1(VALU_DEP_1)
	v_mov_b32_e32 v46, v43
	v_pk_add_f32 v[46:47], v[42:43], v[46:47]
	s_delay_alu instid0(VALU_DEP_1) | instskip(NEXT) | instid1(VALU_DEP_1)
	v_pk_add_f32 v[44:45], v[44:45], v[46:47]
	v_dual_mov_b32 v39, v46 :: v_dual_mov_b32 v43, v44
	s_delay_alu instid0(VALU_DEP_1) | instskip(NEXT) | instid1(VALU_DEP_1)
	v_pk_add_f32 v[48:49], v[42:43], v[40:41] neg_lo:[0,1] neg_hi:[0,1]
	v_sub_f32_e32 v11, v42, v48
	s_delay_alu instid0(VALU_DEP_2) | instskip(NEXT) | instid1(VALU_DEP_2)
	v_pk_add_f32 v[38:39], v[38:39], v[48:49] neg_lo:[0,1] neg_hi:[0,1]
	v_sub_f32_e32 v11, v40, v11
	s_delay_alu instid0(VALU_DEP_1) | instskip(NEXT) | instid1(VALU_DEP_1)
	v_add_f32_e32 v11, v38, v11
	v_add_f32_e32 v11, v11, v39
	s_delay_alu instid0(VALU_DEP_1) | instskip(NEXT) | instid1(VALU_DEP_1)
	v_add_f32_e32 v11, v44, v11
	v_cndmask_b32_e32 v11, 0x7f800000, v11, vcc_lo
	v_cmp_ngt_f32_e32 vcc_lo, -1.0, v12
	s_delay_alu instid0(VALU_DEP_2) | instskip(SKIP_1) | instid1(VALU_DEP_2)
	v_cndmask_b32_e32 v11, 0x7fc00000, v11, vcc_lo
	v_cmp_neq_f32_e32 vcc_lo, -1.0, v12
	v_cndmask_b32_e32 v11, 0xff800000, v11, vcc_lo
	v_cmp_gt_f32_e64 vcc_lo, 0x33800000, |v12|
	s_delay_alu instid0(VALU_DEP_2)
	v_cndmask_b32_e32 v21, v11, v12, vcc_lo
.LBB43_219:                             ;   in Loop: Header=BB43_5 Depth=1
	s_and_not1_saveexec_b32 s27, s27
	s_cbranch_execz .LBB43_225
; %bb.220:                              ;   in Loop: Header=BB43_5 Depth=1
	s_mov_b32 s28, exec_lo
                                        ; implicit-def: $vgpr21
	v_cmpx_nlt_f32_e64 |v2|, 1.0
	s_xor_b32 s28, exec_lo, s28
	s_cbranch_execz .LBB43_222
; %bb.221:                              ;   in Loop: Header=BB43_5 Depth=1
	v_mul_f32_e32 v11, v1, v30
	s_delay_alu instid0(VALU_DEP_1) | instskip(SKIP_1) | instid1(VALU_DEP_2)
	v_mul_f32_e32 v12, 0x4f800000, v11
	v_cmp_gt_f32_e32 vcc_lo, 0xf800000, v11
	v_cndmask_b32_e32 v11, v11, v12, vcc_lo
	s_delay_alu instid0(VALU_DEP_1) | instskip(SKIP_1) | instid1(TRANS32_DEP_1)
	v_sqrt_f32_e32 v12, v11
	v_nop
	v_dual_add_nc_u32 v13, -1, v12 :: v_dual_add_nc_u32 v21, 1, v12
	s_delay_alu instid0(VALU_DEP_1) | instskip(NEXT) | instid1(VALU_DEP_2)
	v_fma_f32 v25, -v13, v12, v11
	v_fma_f32 v37, -v21, v12, v11
	s_delay_alu instid0(VALU_DEP_2) | instskip(NEXT) | instid1(VALU_DEP_1)
	v_cmp_ge_f32_e64 s5, 0, v25
	v_cndmask_b32_e64 v12, v12, v13, s5
	s_delay_alu instid0(VALU_DEP_3) | instskip(NEXT) | instid1(VALU_DEP_1)
	v_cmp_lt_f32_e64 s5, 0, v37
	v_cndmask_b32_e64 v12, v12, v21, s5
	s_delay_alu instid0(VALU_DEP_1) | instskip(NEXT) | instid1(VALU_DEP_1)
	v_mul_f32_e32 v13, 0x37800000, v12
	v_cndmask_b32_e32 v12, v12, v13, vcc_lo
	v_cmp_class_f32_e64 vcc_lo, v11, 0x260
	s_delay_alu instid0(VALU_DEP_2) | instskip(NEXT) | instid1(VALU_DEP_1)
	v_cndmask_b32_e32 v11, v12, v11, vcc_lo
	v_add_f32_e32 v12, v1, v11
	s_delay_alu instid0(VALU_DEP_1) | instskip(NEXT) | instid1(VALU_DEP_1)
	v_add_f32_e32 v39, 1.0, v12
	v_cvt_f64_f32_e32 v[40:41], v39
	v_frexp_mant_f32_e32 v21, v39
	v_add_f32_e32 v13, -1.0, v39
	s_delay_alu instid0(VALU_DEP_2) | instskip(NEXT) | instid1(VALU_DEP_2)
	v_cmp_gt_f32_e32 vcc_lo, 0x3f2aaaab, v21
	v_mov_b32_e32 v38, v13
	v_frexp_exp_i32_f64_e32 v11, v[40:41]
	s_delay_alu instid0(VALU_DEP_2) | instskip(NEXT) | instid1(VALU_DEP_1)
	v_pk_add_f32 v[40:41], v[12:13], v[38:39] neg_lo:[0,1] neg_hi:[0,1]
	v_add_f32_e32 v25, 1.0, v41
	s_delay_alu instid0(VALU_DEP_3) | instskip(SKIP_1) | instid1(VALU_DEP_2)
	v_subrev_co_ci_u32_e64 v11, null, 0, v11, vcc_lo
	v_cmp_neq_f32_e32 vcc_lo, 0x7f800000, v12
	v_sub_nc_u32_e32 v21, 0, v11
	s_delay_alu instid0(VALU_DEP_1) | instskip(NEXT) | instid1(VALU_DEP_1)
	v_ldexp_f32 v13, v39, v21
	v_dual_add_f32 v37, 1.0, v13 :: v_dual_add_f32 v43, -1.0, v13
	v_add_f32_e32 v25, v40, v25
	s_delay_alu instid0(VALU_DEP_2) | instskip(NEXT) | instid1(VALU_DEP_2)
	v_add_f32_e32 v38, -1.0, v37
	v_ldexp_f32 v21, v25, v21
	s_delay_alu instid0(VALU_DEP_2) | instskip(NEXT) | instid1(VALU_DEP_1)
	v_dual_sub_f32 v25, v13, v38 :: v_dual_add_f32 v38, 1.0, v43
	v_sub_f32_e32 v13, v13, v38
	s_delay_alu instid0(VALU_DEP_2) | instskip(NEXT) | instid1(VALU_DEP_2)
	v_add_f32_e32 v25, v21, v25
	v_add_f32_e32 v13, v21, v13
	s_delay_alu instid0(VALU_DEP_1) | instskip(NEXT) | instid1(VALU_DEP_3)
	v_add_f32_e32 v39, v43, v13
	v_add_f32_e32 v44, v37, v25
	s_delay_alu instid0(VALU_DEP_1) | instskip(SKIP_1) | instid1(VALU_DEP_1)
	v_rcp_f32_e32 v21, v44
	v_sub_f32_e32 v37, v44, v37
	v_sub_f32_e32 v25, v25, v37
	s_delay_alu instid0(TRANS32_DEP_1) | instskip(NEXT) | instid1(VALU_DEP_1)
	v_mul_f32_e32 v45, v39, v21
	v_mul_f32_e32 v40, v44, v45
	s_delay_alu instid0(VALU_DEP_1) | instskip(NEXT) | instid1(VALU_DEP_1)
	v_dual_fma_f32 v42, v45, v44, -v40 :: v_dual_sub_f32 v37, v39, v43
	v_fmac_f32_e32 v42, v45, v25
	s_delay_alu instid0(VALU_DEP_1) | instskip(NEXT) | instid1(VALU_DEP_1)
	v_dual_sub_f32 v13, v13, v37 :: v_dual_add_f32 v38, v40, v42
	v_dual_sub_f32 v41, v39, v38 :: v_dual_mov_b32 v43, v38
	s_delay_alu instid0(VALU_DEP_1) | instskip(NEXT) | instid1(VALU_DEP_1)
	v_pk_add_f32 v[38:39], v[38:39], v[40:41] neg_lo:[0,1] neg_hi:[0,1]
	v_pk_add_f32 v[38:39], v[38:39], v[42:43] neg_lo:[0,1] neg_hi:[0,1]
	s_delay_alu instid0(VALU_DEP_1) | instskip(NEXT) | instid1(VALU_DEP_1)
	v_add_f32_e32 v13, v13, v39
	v_add_f32_e32 v13, v38, v13
	s_delay_alu instid0(VALU_DEP_1) | instskip(NEXT) | instid1(VALU_DEP_1)
	v_add_f32_e32 v39, v41, v13
	v_mul_f32_e32 v37, v21, v39
	s_delay_alu instid0(VALU_DEP_1) | instskip(NEXT) | instid1(VALU_DEP_1)
	v_mul_f32_e32 v42, v44, v37
	v_fma_f32 v40, v37, v44, -v42
	v_add_f32_e32 v44, v45, v37
	s_delay_alu instid0(VALU_DEP_2) | instskip(SKIP_1) | instid1(VALU_DEP_1)
	v_fmac_f32_e32 v40, v37, v25
	v_sub_f32_e32 v25, v41, v39
	v_add_f32_e32 v13, v13, v25
	s_delay_alu instid0(VALU_DEP_4) | instskip(NEXT) | instid1(VALU_DEP_1)
	v_sub_f32_e32 v25, v44, v45
	v_dual_sub_f32 v25, v37, v25 :: v_dual_add_f32 v38, v42, v40
	s_delay_alu instid0(VALU_DEP_1) | instskip(NEXT) | instid1(VALU_DEP_1)
	v_dual_mov_b32 v41, v38 :: v_dual_sub_f32 v43, v39, v38
	v_pk_add_f32 v[38:39], v[38:39], v[42:43] neg_lo:[0,1] neg_hi:[0,1]
	s_delay_alu instid0(VALU_DEP_1) | instskip(NEXT) | instid1(VALU_DEP_1)
	v_pk_add_f32 v[38:39], v[38:39], v[40:41] neg_lo:[0,1] neg_hi:[0,1]
	v_add_f32_e32 v13, v13, v39
	s_delay_alu instid0(VALU_DEP_1) | instskip(SKIP_1) | instid1(VALU_DEP_2)
	v_add_f32_e32 v13, v38, v13
	v_cvt_f32_i32_e32 v38, v11
	v_add_f32_e32 v13, v43, v13
	s_delay_alu instid0(VALU_DEP_1) | instskip(NEXT) | instid1(VALU_DEP_1)
	v_mul_f32_e32 v13, v21, v13
	v_add_f32_e32 v13, v25, v13
	s_delay_alu instid0(VALU_DEP_1) | instskip(NEXT) | instid1(VALU_DEP_1)
	v_add_f32_e32 v21, v44, v13
	v_sub_f32_e32 v11, v21, v44
	s_delay_alu instid0(VALU_DEP_1) | instskip(SKIP_2) | instid1(VALU_DEP_3)
	v_sub_f32_e32 v11, v13, v11
	v_mul_f32_e32 v25, v21, v21
	v_ldexp_f32 v43, v21, 1
	v_ldexp_f32 v11, v11, 1
	s_delay_alu instid0(VALU_DEP_3) | instskip(SKIP_1) | instid1(VALU_DEP_2)
	v_fmaak_f32 v37, s18, v25, 0x3ecc95a3
	v_mul_f32_e32 v39, v21, v25
	v_fmaak_f32 v25, v25, v37, 0x3f2aaada
	s_delay_alu instid0(VALU_DEP_1) | instskip(NEXT) | instid1(VALU_DEP_1)
	v_pk_mul_f32 v[40:41], v[38:39], v[24:25]
	v_fma_f32 v42, 0x3f317218, v38, -v40
	v_mov_b32_e32 v44, v40
	s_delay_alu instid0(VALU_DEP_2) | instskip(NEXT) | instid1(VALU_DEP_1)
	v_fmac_f32_e32 v42, 0xb102e308, v38
	v_pk_add_f32 v[38:39], v[40:41], v[42:43]
	s_delay_alu instid0(VALU_DEP_1) | instskip(NEXT) | instid1(VALU_DEP_1)
	v_dual_sub_f32 v13, v39, v43 :: v_dual_mov_b32 v43, v38
	v_dual_mov_b32 v52, v39 :: v_dual_sub_f32 v13, v41, v13
	v_pk_add_f32 v[40:41], v[38:39], v[40:41] neg_lo:[0,1] neg_hi:[0,1]
	s_delay_alu instid0(VALU_DEP_2) | instskip(NEXT) | instid1(VALU_DEP_1)
	v_add_f32_e32 v45, v11, v13
	v_pk_add_f32 v[46:47], v[38:39], v[44:45]
	s_delay_alu instid0(VALU_DEP_1) | instskip(NEXT) | instid1(VALU_DEP_1)
	v_mov_b32_e32 v41, v47
	v_pk_add_f32 v[48:49], v[42:43], v[40:41]
	v_mov_b32_e32 v48, v47
	v_pk_add_f32 v[40:41], v[42:43], v[40:41] neg_lo:[0,1] neg_hi:[0,1]
	s_delay_alu instid0(VALU_DEP_3) | instskip(NEXT) | instid1(VALU_DEP_1)
	v_dual_mov_b32 v44, v49 :: v_dual_mov_b32 v41, v49
	v_pk_add_f32 v[50:51], v[44:45], v[38:39] neg_lo:[0,1] neg_hi:[0,1]
	v_dual_mov_b32 v39, v38 :: v_dual_mov_b32 v38, v45
	s_delay_alu instid0(VALU_DEP_2) | instskip(NEXT) | instid1(VALU_DEP_1)
	v_dual_mov_b32 v11, v50 :: v_dual_mov_b32 v53, v50
	v_pk_add_f32 v[42:43], v[46:47], v[10:11] neg_lo:[0,1] neg_hi:[0,1]
	s_delay_alu instid0(VALU_DEP_2) | instskip(SKIP_1) | instid1(VALU_DEP_2)
	v_pk_add_f32 v[50:51], v[48:49], v[52:53] neg_lo:[0,1] neg_hi:[0,1]
	v_mov_b32_e32 v42, v40
	v_pk_add_f32 v[38:39], v[38:39], v[50:51] neg_lo:[0,1] neg_hi:[0,1]
	s_delay_alu instid0(VALU_DEP_1) | instskip(NEXT) | instid1(VALU_DEP_1)
	v_pk_add_f32 v[42:43], v[42:43], v[38:39]
	v_mov_b32_e32 v46, v43
	s_delay_alu instid0(VALU_DEP_1) | instskip(NEXT) | instid1(VALU_DEP_1)
	v_pk_add_f32 v[46:47], v[42:43], v[46:47]
	v_pk_add_f32 v[44:45], v[44:45], v[46:47]
	s_delay_alu instid0(VALU_DEP_1) | instskip(NEXT) | instid1(VALU_DEP_1)
	v_dual_mov_b32 v39, v46 :: v_dual_mov_b32 v43, v44
	v_pk_add_f32 v[48:49], v[42:43], v[40:41] neg_lo:[0,1] neg_hi:[0,1]
	s_delay_alu instid0(VALU_DEP_1) | instskip(NEXT) | instid1(VALU_DEP_2)
	v_sub_f32_e32 v11, v42, v48
	v_pk_add_f32 v[38:39], v[38:39], v[48:49] neg_lo:[0,1] neg_hi:[0,1]
	s_delay_alu instid0(VALU_DEP_2) | instskip(NEXT) | instid1(VALU_DEP_1)
	v_sub_f32_e32 v11, v40, v11
	v_add_f32_e32 v11, v38, v11
	s_delay_alu instid0(VALU_DEP_1) | instskip(NEXT) | instid1(VALU_DEP_1)
	v_add_f32_e32 v11, v11, v39
	v_add_f32_e32 v11, v44, v11
	s_delay_alu instid0(VALU_DEP_1) | instskip(SKIP_1) | instid1(VALU_DEP_2)
	v_cndmask_b32_e32 v11, 0x7f800000, v11, vcc_lo
	v_cmp_ngt_f32_e32 vcc_lo, -1.0, v12
	v_cndmask_b32_e32 v11, 0x7fc00000, v11, vcc_lo
	v_cmp_neq_f32_e32 vcc_lo, -1.0, v12
	s_delay_alu instid0(VALU_DEP_2) | instskip(SKIP_1) | instid1(VALU_DEP_2)
	v_cndmask_b32_e32 v11, 0xff800000, v11, vcc_lo
	v_cmp_gt_f32_e64 vcc_lo, 0x33800000, |v12|
	v_cndmask_b32_e32 v21, v11, v12, vcc_lo
.LBB43_222:                             ;   in Loop: Header=BB43_5 Depth=1
	s_and_not1_saveexec_b32 s28, s28
	s_cbranch_execz .LBB43_224
; %bb.223:                              ;   in Loop: Header=BB43_5 Depth=1
	v_sub_f32_e64 v11, 1.0, |v2|
	s_delay_alu instid0(VALU_DEP_1) | instskip(NEXT) | instid1(VALU_DEP_1)
	v_mul_f32_e32 v11, v11, v30
	v_mul_f32_e32 v12, 0x4f800000, v11
	v_cmp_gt_f32_e32 vcc_lo, 0xf800000, v11
	s_delay_alu instid0(VALU_DEP_2) | instskip(NEXT) | instid1(VALU_DEP_1)
	v_cndmask_b32_e32 v11, v11, v12, vcc_lo
	v_sqrt_f32_e32 v12, v11
	v_nop
	s_delay_alu instid0(TRANS32_DEP_1) | instskip(NEXT) | instid1(VALU_DEP_1)
	v_dual_add_nc_u32 v13, -1, v12 :: v_dual_add_nc_u32 v21, 1, v12
	v_fma_f32 v25, -v13, v12, v11
	s_delay_alu instid0(VALU_DEP_2) | instskip(NEXT) | instid1(VALU_DEP_2)
	v_fma_f32 v37, -v21, v12, v11
	v_cmp_ge_f32_e64 s5, 0, v25
	s_delay_alu instid0(VALU_DEP_1) | instskip(NEXT) | instid1(VALU_DEP_3)
	v_cndmask_b32_e64 v12, v12, v13, s5
	v_cmp_lt_f32_e64 s5, 0, v37
	s_delay_alu instid0(VALU_DEP_1) | instskip(NEXT) | instid1(VALU_DEP_1)
	v_cndmask_b32_e64 v12, v12, v21, s5
	v_mul_f32_e32 v13, 0x37800000, v12
	s_delay_alu instid0(VALU_DEP_1) | instskip(SKIP_2) | instid1(VALU_DEP_3)
	v_cndmask_b32_e32 v12, v12, v13, vcc_lo
	v_cmp_class_f32_e64 vcc_lo, v11, 0x260
	v_and_b32_e32 v13, 0x7fffffff, v3
	v_cndmask_b32_e32 v11, v12, v11, vcc_lo
	s_delay_alu instid0(VALU_DEP_1) | instskip(SKIP_1) | instid1(VALU_DEP_2)
	v_div_scale_f32 v12, null, v11, v11, v13
	v_div_scale_f32 v13, vcc_lo, v13, v11, v13
	v_rcp_f32_e32 v21, v12
	v_nop
	s_delay_alu instid0(TRANS32_DEP_1) | instskip(NEXT) | instid1(VALU_DEP_1)
	v_fma_f32 v25, -v12, v21, 1.0
	v_fmac_f32_e32 v21, v25, v21
	s_delay_alu instid0(VALU_DEP_1) | instskip(NEXT) | instid1(VALU_DEP_1)
	v_mul_f32_e32 v25, v13, v21
	v_fma_f32 v37, -v12, v25, v13
	s_delay_alu instid0(VALU_DEP_1) | instskip(NEXT) | instid1(VALU_DEP_1)
	v_fmac_f32_e32 v25, v37, v21
	v_fma_f32 v12, -v12, v25, v13
	s_delay_alu instid0(VALU_DEP_1) | instskip(NEXT) | instid1(VALU_DEP_1)
	v_div_fmas_f32 v12, v12, v21, v25
	v_div_fixup_f32 v21, v12, v11, |v3|
.LBB43_224:                             ;   in Loop: Header=BB43_5 Depth=1
	s_or_b32 exec_lo, exec_lo, s28
.LBB43_225:                             ;   in Loop: Header=BB43_5 Depth=1
	s_delay_alu instid0(SALU_CYCLE_1)
	s_or_b32 exec_lo, exec_lo, s27
.LBB43_226:                             ;   in Loop: Header=BB43_5 Depth=1
	s_and_not1_saveexec_b32 s26, s26
	s_cbranch_execz .LBB43_228
; %bb.227:                              ;   in Loop: Header=BB43_5 Depth=1
	v_mul_f32_e64 v11, 0x4f800000, |v3|
	v_cmp_gt_f32_e64 vcc_lo, 0xf800000, |v3|
	s_delay_alu instid0(VALU_DEP_1) | instskip(NEXT) | instid1(VALU_DEP_1)
	v_cndmask_b32_e64 v11, |v3|, v11, vcc_lo
	v_sqrt_f32_e32 v12, v11
	v_nop
	s_delay_alu instid0(TRANS32_DEP_1) | instskip(NEXT) | instid1(VALU_DEP_1)
	v_dual_add_nc_u32 v13, -1, v12 :: v_dual_add_nc_u32 v21, 1, v12
	v_fma_f32 v25, -v13, v12, v11
	s_delay_alu instid0(VALU_DEP_2) | instskip(NEXT) | instid1(VALU_DEP_2)
	v_fma_f32 v37, -v21, v12, v11
	v_cmp_ge_f32_e64 s5, 0, v25
	s_delay_alu instid0(VALU_DEP_1) | instskip(NEXT) | instid1(VALU_DEP_3)
	v_cndmask_b32_e64 v12, v12, v13, s5
	v_cmp_lt_f32_e64 s5, 0, v37
	s_delay_alu instid0(VALU_DEP_1) | instskip(NEXT) | instid1(VALU_DEP_1)
	v_cndmask_b32_e64 v12, v12, v21, s5
	v_mul_f32_e32 v13, 0x37800000, v12
	s_delay_alu instid0(VALU_DEP_1) | instskip(SKIP_1) | instid1(VALU_DEP_2)
	v_cndmask_b32_e32 v12, v12, v13, vcc_lo
	v_cmp_class_f32_e64 vcc_lo, v11, 0x260
	v_cndmask_b32_e32 v21, v12, v11, vcc_lo
.LBB43_228:                             ;   in Loop: Header=BB43_5 Depth=1
	s_or_b32 exec_lo, exec_lo, s26
.LBB43_229:                             ;   in Loop: Header=BB43_5 Depth=1
	s_delay_alu instid0(SALU_CYCLE_1) | instskip(NEXT) | instid1(SALU_CYCLE_1)
	s_or_b32 exec_lo, exec_lo, s6
	s_mov_b32 s26, exec_lo
                                        ; implicit-def: $sgpr5
                                        ; implicit-def: $vgpr13
                                        ; implicit-def: $vgpr25
	v_cmpx_ngt_f32_e64 0x21000000, |v2|
	s_xor_b32 s26, exec_lo, s26
	s_cbranch_execz .LBB43_253
; %bb.230:                              ;   in Loop: Header=BB43_5 Depth=1
	v_and_b32_e32 v12, 0x7fffffff, v2
	s_mov_b32 s5, 0
	s_mov_b32 s27, exec_lo
	s_delay_alu instid0(VALU_DEP_1) | instskip(NEXT) | instid1(VALU_DEP_1)
	v_div_scale_f32 v11, null, v10, v10, v12
	v_rcp_f32_e32 v13, v11
	v_nop
	s_delay_alu instid0(TRANS32_DEP_1) | instskip(NEXT) | instid1(VALU_DEP_1)
	v_fma_f32 v25, -v11, v13, 1.0
	v_fmac_f32_e32 v13, v25, v13
	v_div_scale_f32 v25, vcc_lo, v12, v10, v12
	s_delay_alu instid0(VALU_DEP_1) | instskip(NEXT) | instid1(VALU_DEP_1)
	v_mul_f32_e32 v37, v25, v13
	v_fma_f32 v38, -v11, v37, v25
	s_delay_alu instid0(VALU_DEP_1) | instskip(NEXT) | instid1(VALU_DEP_1)
	v_fmac_f32_e32 v37, v38, v13
	v_fma_f32 v11, -v11, v37, v25
	s_delay_alu instid0(VALU_DEP_1) | instskip(NEXT) | instid1(VALU_DEP_1)
	v_div_fmas_f32 v11, v11, v13, v37
	v_div_fixup_f32 v25, v11, v10, |v2|
	s_delay_alu instid0(VALU_DEP_1)
	v_cmpx_lt_f32_e32 0x3f244674, v25
	s_cbranch_execz .LBB43_252
; %bb.231:                              ;   in Loop: Header=BB43_5 Depth=1
	v_cmp_neq_f32_e64 s5, |v2|, 1.0
	v_cmp_ngt_f32_e64 s6, 0x30800000, |v3|
	s_or_b32 s5, s5, s6
	s_delay_alu instid0(SALU_CYCLE_1) | instskip(NEXT) | instid1(SALU_CYCLE_1)
	s_and_saveexec_b32 s6, s5
	s_xor_b32 s6, exec_lo, s6
	s_cbranch_execz .LBB43_249
; %bb.232:                              ;   in Loop: Header=BB43_5 Depth=1
	v_mul_f32_e64 v11, 0x34000000, |v1|
	s_mov_b32 s28, exec_lo
	s_delay_alu instid0(VALU_DEP_1)
	v_cmpx_ge_f32_e64 |v3|, v11
	s_xor_b32 s28, exec_lo, s28
	s_cbranch_execz .LBB43_242
; %bb.233:                              ;   in Loop: Header=BB43_5 Depth=1
	v_mov_b32_e32 v11, v35
	s_mov_b32 s5, exec_lo
	v_cmpx_neq_f32_e32 0, v30
	s_cbranch_execz .LBB43_235
; %bb.234:                              ;   in Loop: Header=BB43_5 Depth=1
	v_dual_mul_f32 v11, v3, v3 :: v_dual_add_f32 v13, v30, v36
	s_delay_alu instid0(VALU_DEP_1) | instskip(NEXT) | instid1(VALU_DEP_1)
	v_div_scale_f32 v30, null, v13, v13, v11
	v_rcp_f32_e32 v36, v30
	v_nop
	s_delay_alu instid0(TRANS32_DEP_1) | instskip(NEXT) | instid1(VALU_DEP_1)
	v_fma_f32 v37, -v30, v36, 1.0
	v_fmac_f32_e32 v36, v37, v36
	v_div_scale_f32 v37, vcc_lo, v11, v13, v11
	s_delay_alu instid0(VALU_DEP_1) | instskip(NEXT) | instid1(VALU_DEP_1)
	v_mul_f32_e32 v38, v37, v36
	v_fma_f32 v39, -v30, v38, v37
	s_delay_alu instid0(VALU_DEP_1) | instskip(NEXT) | instid1(VALU_DEP_1)
	v_fmac_f32_e32 v38, v39, v36
	v_fma_f32 v30, -v30, v38, v37
	s_delay_alu instid0(VALU_DEP_1) | instskip(NEXT) | instid1(VALU_DEP_1)
	v_div_fmas_f32 v30, v30, v36, v38
	v_div_fixup_f32 v11, v30, v13, v11
.LBB43_235:                             ;   in Loop: Header=BB43_5 Depth=1
	s_or_b32 exec_lo, exec_lo, s5
	s_delay_alu instid0(SALU_CYCLE_1)
	s_mov_b32 s5, exec_lo
	v_cmpx_ngt_f32_e32 0, v1
	s_xor_b32 s5, exec_lo, s5
	s_cbranch_execz .LBB43_239
; %bb.236:                              ;   in Loop: Header=BB43_5 Depth=1
	s_mov_b32 s29, exec_lo
	v_cmpx_neq_f32_e32 0, v1
	s_cbranch_execz .LBB43_238
; %bb.237:                              ;   in Loop: Header=BB43_5 Depth=1
	v_mul_f32_e32 v13, v3, v3
	v_add_f32_e32 v1, v1, v31
	s_delay_alu instid0(VALU_DEP_1) | instskip(NEXT) | instid1(VALU_DEP_1)
	v_div_scale_f32 v30, null, v1, v1, v13
	v_rcp_f32_e32 v31, v30
	v_nop
	s_delay_alu instid0(TRANS32_DEP_1) | instskip(NEXT) | instid1(VALU_DEP_1)
	v_fma_f32 v35, -v30, v31, 1.0
	v_fmac_f32_e32 v31, v35, v31
	v_div_scale_f32 v35, vcc_lo, v13, v1, v13
	s_delay_alu instid0(VALU_DEP_1) | instskip(NEXT) | instid1(VALU_DEP_1)
	v_mul_f32_e32 v36, v35, v31
	v_fma_f32 v37, -v30, v36, v35
	s_delay_alu instid0(VALU_DEP_1) | instskip(NEXT) | instid1(VALU_DEP_1)
	v_fmac_f32_e32 v36, v37, v31
	v_fma_f32 v30, -v30, v36, v35
	s_delay_alu instid0(VALU_DEP_1) | instskip(NEXT) | instid1(VALU_DEP_1)
	v_div_fmas_f32 v30, v30, v31, v36
	v_div_fixup_f32 v35, v30, v1, v13
.LBB43_238:                             ;   in Loop: Header=BB43_5 Depth=1
	s_or_b32 exec_lo, exec_lo, s29
                                        ; implicit-def: $vgpr31
                                        ; implicit-def: $vgpr1
.LBB43_239:                             ;   in Loop: Header=BB43_5 Depth=1
	s_and_not1_saveexec_b32 s5, s5
; %bb.240:                              ;   in Loop: Header=BB43_5 Depth=1
	v_sub_f32_e32 v35, v31, v1
; %bb.241:                              ;   in Loop: Header=BB43_5 Depth=1
	s_or_b32 exec_lo, exec_lo, s5
	v_mul_f32_e32 v31, 0.5, v11
	s_delay_alu instid0(VALU_DEP_2) | instskip(SKIP_1) | instid1(VALU_DEP_1)
	v_mul_f32_e32 v11, 0.5, v35
	v_and_b32_e32 v30, 0x7fffffff, v2
	v_pk_add_f32 v[10:11], v[30:31], v[10:11]
	s_delay_alu instid0(VALU_DEP_1) | instskip(NEXT) | instid1(VALU_DEP_1)
	v_mul_f32_e32 v1, v10, v11
	v_mul_f32_e32 v10, 0x4f800000, v1
	v_cmp_gt_f32_e32 vcc_lo, 0xf800000, v1
	s_delay_alu instid0(VALU_DEP_2) | instskip(NEXT) | instid1(VALU_DEP_1)
	v_cndmask_b32_e32 v1, v1, v10, vcc_lo
	v_sqrt_f32_e32 v10, v1
	v_nop
	s_delay_alu instid0(TRANS32_DEP_1) | instskip(NEXT) | instid1(VALU_DEP_1)
	v_dual_add_nc_u32 v11, -1, v10 :: v_dual_add_nc_u32 v13, 1, v10
	v_fma_f32 v30, -v11, v10, v1
	s_delay_alu instid0(VALU_DEP_1) | instskip(NEXT) | instid1(VALU_DEP_3)
	v_cmp_ge_f32_e64 s5, 0, v30
	v_fma_f32 v31, -v13, v10, v1
                                        ; implicit-def: $vgpr30
	s_delay_alu instid0(VALU_DEP_2) | instskip(NEXT) | instid1(VALU_DEP_2)
	v_cndmask_b32_e64 v10, v10, v11, s5
	v_cmp_lt_f32_e64 s5, 0, v31
	s_delay_alu instid0(VALU_DEP_1) | instskip(NEXT) | instid1(VALU_DEP_1)
	v_cndmask_b32_e64 v10, v10, v13, s5
	v_mul_f32_e32 v11, 0x37800000, v10
	s_delay_alu instid0(VALU_DEP_1) | instskip(SKIP_1) | instid1(VALU_DEP_2)
	v_cndmask_b32_e32 v10, v10, v11, vcc_lo
	v_cmp_class_f32_e64 vcc_lo, v1, 0x260
	v_cndmask_b32_e32 v13, v10, v1, vcc_lo
                                        ; implicit-def: $vgpr1
.LBB43_242:                             ;   in Loop: Header=BB43_5 Depth=1
	s_and_not1_saveexec_b32 s28, s28
	s_cbranch_execz .LBB43_248
; %bb.243:                              ;   in Loop: Header=BB43_5 Depth=1
	s_mov_b32 s29, exec_lo
	v_cmpx_ngt_f32_e64 |v2|, 1.0
	s_xor_b32 s29, exec_lo, s29
	s_cbranch_execz .LBB43_245
; %bb.244:                              ;   in Loop: Header=BB43_5 Depth=1
	v_sub_f32_e64 v1, 1.0, |v2|
	s_delay_alu instid0(VALU_DEP_1) | instskip(NEXT) | instid1(VALU_DEP_1)
	v_mul_f32_e32 v1, v1, v30
	v_mul_f32_e32 v10, 0x4f800000, v1
	v_cmp_gt_f32_e32 vcc_lo, 0xf800000, v1
	s_delay_alu instid0(VALU_DEP_2) | instskip(NEXT) | instid1(VALU_DEP_1)
	v_cndmask_b32_e32 v1, v1, v10, vcc_lo
	v_sqrt_f32_e32 v10, v1
	v_nop
	s_delay_alu instid0(TRANS32_DEP_1) | instskip(NEXT) | instid1(VALU_DEP_1)
	v_dual_add_nc_u32 v11, -1, v10 :: v_dual_add_nc_u32 v13, 1, v10
	v_dual_fma_f32 v30, -v11, v10, v1 :: v_dual_fma_f32 v31, -v13, v10, v1
	s_delay_alu instid0(VALU_DEP_1) | instskip(NEXT) | instid1(VALU_DEP_1)
	v_cmp_ge_f32_e64 s5, 0, v30
                                        ; implicit-def: $vgpr30
	v_cndmask_b32_e64 v10, v10, v11, s5
	s_delay_alu instid0(VALU_DEP_3) | instskip(NEXT) | instid1(VALU_DEP_1)
	v_cmp_lt_f32_e64 s5, 0, v31
	v_cndmask_b32_e64 v10, v10, v13, s5
	s_delay_alu instid0(VALU_DEP_1) | instskip(NEXT) | instid1(VALU_DEP_1)
	v_mul_f32_e32 v11, 0x37800000, v10
	v_cndmask_b32_e32 v10, v10, v11, vcc_lo
	v_cmp_class_f32_e64 vcc_lo, v1, 0x260
	s_delay_alu instid0(VALU_DEP_2)
	v_cndmask_b32_e32 v13, v10, v1, vcc_lo
                                        ; implicit-def: $vgpr1
.LBB43_245:                             ;   in Loop: Header=BB43_5 Depth=1
	s_and_not1_saveexec_b32 s29, s29
	s_cbranch_execz .LBB43_247
; %bb.246:                              ;   in Loop: Header=BB43_5 Depth=1
	v_mul_f32_e32 v1, v30, v1
	s_delay_alu instid0(VALU_DEP_1) | instskip(SKIP_1) | instid1(VALU_DEP_2)
	v_mul_f32_e32 v10, 0x4f800000, v1
	v_cmp_gt_f32_e32 vcc_lo, 0xf800000, v1
	v_cndmask_b32_e32 v1, v1, v10, vcc_lo
	s_delay_alu instid0(VALU_DEP_1) | instskip(SKIP_1) | instid1(TRANS32_DEP_1)
	v_sqrt_f32_e32 v10, v1
	v_nop
	v_dual_add_nc_u32 v11, -1, v10 :: v_dual_add_nc_u32 v12, 1, v10
	s_delay_alu instid0(VALU_DEP_1) | instskip(NEXT) | instid1(VALU_DEP_1)
	v_dual_fma_f32 v13, -v11, v10, v1 :: v_dual_fma_f32 v30, -v12, v10, v1
	v_cmp_ge_f32_e64 s5, 0, v13
	s_delay_alu instid0(VALU_DEP_1) | instskip(NEXT) | instid1(VALU_DEP_3)
	v_cndmask_b32_e64 v10, v10, v11, s5
	v_cmp_lt_f32_e64 s5, 0, v30
	s_delay_alu instid0(VALU_DEP_1) | instskip(SKIP_1) | instid1(VALU_DEP_2)
	v_cndmask_b32_e64 v10, v10, v12, s5
	v_mul_f32_e64 v12, 0x57800000, |v3|
	v_mul_f32_e32 v11, 0x37800000, v10
	s_delay_alu instid0(VALU_DEP_1) | instskip(SKIP_1) | instid1(VALU_DEP_4)
	v_cndmask_b32_e32 v10, v10, v11, vcc_lo
	v_cmp_class_f32_e64 vcc_lo, v1, 0x260
	v_mul_f32_e64 v11, |v2|, v12
	s_delay_alu instid0(VALU_DEP_3) | instskip(NEXT) | instid1(VALU_DEP_1)
	v_cndmask_b32_e32 v1, v10, v1, vcc_lo
	v_div_scale_f32 v10, null, v1, v1, v11
	v_div_scale_f32 v30, vcc_lo, v11, v1, v11
	s_delay_alu instid0(VALU_DEP_2) | instskip(SKIP_1) | instid1(TRANS32_DEP_1)
	v_rcp_f32_e32 v12, v10
	v_nop
	v_fma_f32 v13, -v10, v12, 1.0
	s_delay_alu instid0(VALU_DEP_1) | instskip(NEXT) | instid1(VALU_DEP_1)
	v_fmac_f32_e32 v12, v13, v12
	v_mul_f32_e32 v13, v30, v12
	s_delay_alu instid0(VALU_DEP_1) | instskip(NEXT) | instid1(VALU_DEP_1)
	v_fma_f32 v31, -v10, v13, v30
	v_fmac_f32_e32 v13, v31, v12
	s_delay_alu instid0(VALU_DEP_1) | instskip(NEXT) | instid1(VALU_DEP_1)
	v_fma_f32 v10, -v10, v13, v30
	v_div_fmas_f32 v10, v10, v12, v13
	v_mul_f32_e64 v12, 0x57800000, |v2|
	s_delay_alu instid0(VALU_DEP_2)
	v_div_fixup_f32 v13, v10, v1, v11
.LBB43_247:                             ;   in Loop: Header=BB43_5 Depth=1
	s_or_b32 exec_lo, exec_lo, s29
.LBB43_248:                             ;   in Loop: Header=BB43_5 Depth=1
	s_delay_alu instid0(SALU_CYCLE_1)
	s_or_b32 exec_lo, exec_lo, s28
                                        ; implicit-def: $vgpr10
.LBB43_249:                             ;   in Loop: Header=BB43_5 Depth=1
	s_and_not1_saveexec_b32 s28, s6
	s_cbranch_execz .LBB43_251
; %bb.250:                              ;   in Loop: Header=BB43_5 Depth=1
	v_add_f32_e32 v1, 1.0, v10
	v_mul_f32_e64 v10, 0x4f800000, |v3|
	v_cmp_gt_f32_e64 vcc_lo, 0xf800000, |v3|
	s_delay_alu instid0(VALU_DEP_3) | instskip(NEXT) | instid1(VALU_DEP_2)
	v_mul_f32_e32 v1, 0.5, v1
	v_cndmask_b32_e64 v10, |v3|, v10, vcc_lo
	s_delay_alu instid0(VALU_DEP_2) | instskip(SKIP_1) | instid1(VALU_DEP_1)
	v_mul_f32_e32 v11, 0x4f800000, v1
	v_cmp_gt_f32_e64 s5, 0xf800000, v1
	v_cndmask_b32_e64 v1, v1, v11, s5
	s_delay_alu instid0(VALU_DEP_4) | instskip(SKIP_1) | instid1(TRANS32_DEP_1)
	v_sqrt_f32_e32 v11, v10
	v_nop
	v_add_nc_u32_e32 v31, 1, v11
	s_delay_alu instid0(VALU_DEP_3) | instskip(SKIP_1) | instid1(TRANS32_DEP_1)
	v_sqrt_f32_e32 v12, v1
	v_nop
	v_dual_add_nc_u32 v13, -1, v11 :: v_dual_add_nc_u32 v30, -1, v12
	s_delay_alu instid0(VALU_DEP_1) | instskip(NEXT) | instid1(VALU_DEP_2)
	v_dual_fma_f32 v35, -v13, v11, v10 :: v_dual_add_nc_u32 v36, 1, v12
	v_dual_fma_f32 v38, -v31, v11, v10 :: v_dual_fma_f32 v37, -v30, v12, v1
	s_delay_alu instid0(VALU_DEP_2) | instskip(NEXT) | instid1(VALU_DEP_1)
	v_cmp_ge_f32_e64 s6, 0, v35
	v_cndmask_b32_e64 v11, v11, v13, s6
	s_delay_alu instid0(VALU_DEP_3) | instskip(SKIP_1) | instid1(VALU_DEP_2)
	v_cmp_ge_f32_e64 s6, 0, v37
	v_fma_f32 v13, -v36, v12, v1
	v_cndmask_b32_e64 v12, v12, v30, s6
	v_cmp_lt_f32_e64 s6, 0, v38
	s_delay_alu instid0(VALU_DEP_1) | instskip(NEXT) | instid1(VALU_DEP_4)
	v_cndmask_b32_e64 v11, v11, v31, s6
	v_cmp_lt_f32_e64 s6, 0, v13
	s_delay_alu instid0(VALU_DEP_1) | instskip(NEXT) | instid1(VALU_DEP_1)
	v_cndmask_b32_e64 v12, v12, v36, s6
	v_dual_mul_f32 v13, 0x37800000, v11 :: v_dual_mul_f32 v30, 0x37800000, v12
	s_delay_alu instid0(VALU_DEP_1) | instskip(SKIP_1) | instid1(VALU_DEP_3)
	v_cndmask_b32_e32 v11, v11, v13, vcc_lo
	v_cmp_class_f32_e64 vcc_lo, v10, 0x260
	v_cndmask_b32_e64 v12, v12, v30, s5
	s_delay_alu instid0(VALU_DEP_3) | instskip(SKIP_1) | instid1(VALU_DEP_3)
	v_cndmask_b32_e32 v10, v11, v10, vcc_lo
	v_cmp_class_f32_e64 vcc_lo, v1, 0x260
	v_dual_cndmask_b32 v1, v12, v1 :: v_dual_mov_b32 v12, 1.0
	s_delay_alu instid0(VALU_DEP_1)
	v_mul_f32_e32 v13, v10, v1
.LBB43_251:                             ;   in Loop: Header=BB43_5 Depth=1
	s_or_b32 exec_lo, exec_lo, s28
	s_delay_alu instid0(SALU_CYCLE_1)
	s_mov_b32 s5, exec_lo
.LBB43_252:                             ;   in Loop: Header=BB43_5 Depth=1
	s_or_b32 exec_lo, exec_lo, s27
                                        ; implicit-def: $vgpr10
.LBB43_253:                             ;   in Loop: Header=BB43_5 Depth=1
	s_and_not1_saveexec_b32 s6, s26
; %bb.254:                              ;   in Loop: Header=BB43_5 Depth=1
	v_and_b32_e32 v12, 0x7fffffff, v2
	v_mov_b32_e32 v13, v10
	s_or_b32 s5, s5, exec_lo
                                        ; implicit-def: $vgpr25
	s_delay_alu instid0(VALU_DEP_1)
	v_pk_mul_f32 v[12:13], v[12:13], s[16:17] op_sel_hi:[1,0]
; %bb.255:                              ;   in Loop: Header=BB43_5 Depth=1
	s_or_b32 exec_lo, exec_lo, s6
	s_xor_b32 s5, s5, -1
                                        ; implicit-def: $vgpr10
	s_delay_alu instid0(SALU_CYCLE_1) | instskip(NEXT) | instid1(SALU_CYCLE_1)
	s_and_saveexec_b32 s6, s5
	s_xor_b32 s6, exec_lo, s6
	s_cbranch_execz .LBB43_261
; %bb.256:                              ;   in Loop: Header=BB43_5 Depth=1
                                        ; implicit-def: $vgpr10
	s_and_saveexec_b32 s5, s4
	s_delay_alu instid0(SALU_CYCLE_1)
	s_xor_b32 s5, exec_lo, s5
	s_cbranch_execz .LBB43_258
; %bb.257:                              ;   in Loop: Header=BB43_5 Depth=1
	v_fma_f32 v1, |v25|, -0.5, 0.5
	v_mul_f32_e32 v10, v25, v25
	v_cmp_gt_f32_e64 vcc_lo, |v25|, 0.5
	s_delay_alu instid0(VALU_DEP_2) | instskip(NEXT) | instid1(VALU_DEP_1)
	v_cndmask_b32_e32 v1, v10, v1, vcc_lo
	v_sqrt_f32_e32 v11, v1
	v_fmaak_f32 v10, s19, v1, 0x3c5fc5da
	s_delay_alu instid0(VALU_DEP_1) | instskip(NEXT) | instid1(VALU_DEP_1)
	v_fmaak_f32 v10, v1, v10, 0x3d034c3c
	v_fmaak_f32 v10, v1, v10, 0x3d3641b1
	s_delay_alu instid0(VALU_DEP_1) | instskip(NEXT) | instid1(VALU_DEP_1)
	v_fmaak_f32 v10, v1, v10, 0x3d999bc8
	v_fmaak_f32 v10, v1, v10, 0x3e2aaaac
	s_delay_alu instid0(VALU_DEP_1) | instskip(NEXT) | instid1(VALU_DEP_1)
	v_mul_f32_e32 v1, v1, v10
	v_fmac_f32_e32 v25, v25, v1
	s_delay_alu instid0(VALU_DEP_1) | instskip(SKIP_1) | instid1(VALU_DEP_1)
	v_sub_f32_e32 v10, 0x3fc90fdb, v25
	v_fmac_f32_e32 v11, v11, v1
                                        ; implicit-def: $vgpr25
	v_add_f32_e32 v1, v11, v11
	s_delay_alu instid0(VALU_DEP_1)
	v_cndmask_b32_e32 v10, v10, v1, vcc_lo
.LBB43_258:                             ;   in Loop: Header=BB43_5 Depth=1
	s_and_not1_saveexec_b32 s26, s5
	s_cbranch_execz .LBB43_260
; %bb.259:                              ;   in Loop: Header=BB43_5 Depth=1
	v_fma_f32 v1, |v25|, -0.5, 0.5
	v_mul_f32_e32 v10, v25, v25
	v_cmp_gt_f32_e64 vcc_lo, |v25|, 0.5
	v_cmp_lt_f32_e64 s5, 0, v25
	s_delay_alu instid0(VALU_DEP_3) | instskip(NEXT) | instid1(VALU_DEP_1)
	v_cndmask_b32_e32 v1, v10, v1, vcc_lo
	v_sqrt_f32_e32 v11, v1
	v_fmaak_f32 v10, s19, v1, 0x3c5fc5da
	s_delay_alu instid0(VALU_DEP_1) | instskip(NEXT) | instid1(VALU_DEP_1)
	v_fmaak_f32 v10, v1, v10, 0x3d034c3c
	v_fmaak_f32 v10, v1, v10, 0x3d3641b1
	s_delay_alu instid0(VALU_DEP_1) | instskip(NEXT) | instid1(VALU_DEP_1)
	v_fmaak_f32 v10, v1, v10, 0x3d999bc8
	v_fmaak_f32 v10, v1, v10, 0x3e2aaaac
	s_delay_alu instid0(VALU_DEP_1) | instskip(NEXT) | instid1(VALU_DEP_1)
	v_mul_f32_e32 v1, v1, v10
	v_fmac_f32_e32 v11, v11, v1
	s_delay_alu instid0(VALU_DEP_1) | instskip(NEXT) | instid1(VALU_DEP_1)
	v_add_f32_e32 v10, v11, v11
	v_sub_f32_e32 v11, 0x40490fdb, v10
	s_delay_alu instid0(VALU_DEP_1) | instskip(NEXT) | instid1(VALU_DEP_1)
	v_dual_cndmask_b32 v10, v10, v11, s5 :: v_dual_fma_f32 v1, -v25, v1, -v25
	v_sub_f32_e32 v1, 0x3fc90fdb, v1
	s_delay_alu instid0(VALU_DEP_1)
	v_cndmask_b32_e32 v10, v1, v10, vcc_lo
.LBB43_260:                             ;   in Loop: Header=BB43_5 Depth=1
	s_or_b32 exec_lo, exec_lo, s26
                                        ; implicit-def: $vgpr12
.LBB43_261:                             ;   in Loop: Header=BB43_5 Depth=1
	s_and_not1_saveexec_b32 s5, s6
	s_cbranch_execz .LBB43_267
; %bb.262:                              ;   in Loop: Header=BB43_5 Depth=1
	v_max_num_f32_e64 v1, |v13|, |v13|
	v_max_num_f32_e32 v10, v12, v12
	v_cmp_gt_f32_e64 vcc_lo, |v13|, v12
	s_delay_alu instid0(VALU_DEP_2) | instskip(NEXT) | instid1(VALU_DEP_1)
	v_dual_max_num_f32 v11, v10, v1 :: v_dual_min_num_f32 v1, v10, v1
	v_frexp_mant_f32_e32 v25, v11
	v_frexp_exp_i32_f32_e32 v11, v11
	s_delay_alu instid0(VALU_DEP_2) | instskip(SKIP_3) | instid1(VALU_DEP_1)
	v_rcp_f32_e32 v10, v25
	v_nop
	v_frexp_mant_f32_e32 v25, v1
	v_frexp_exp_i32_f32_e32 v1, v1
	v_sub_nc_u32_e32 v1, v1, v11
	s_delay_alu instid0(TRANS32_DEP_1) | instid1(VALU_DEP_3)
	v_mul_f32_e32 v10, v25, v10
	s_delay_alu instid0(VALU_DEP_1) | instskip(NEXT) | instid1(VALU_DEP_1)
	v_ldexp_f32 v1, v10, v1
	v_mul_f32_e32 v10, v1, v1
	s_delay_alu instid0(VALU_DEP_1) | instskip(NEXT) | instid1(VALU_DEP_1)
	v_fmaak_f32 v11, s20, v10, 0xbc7a590c
	v_fmaak_f32 v11, v10, v11, 0x3d29fb3f
	s_delay_alu instid0(VALU_DEP_1) | instskip(NEXT) | instid1(VALU_DEP_1)
	v_fmaak_f32 v11, v10, v11, 0xbd97d4d7
	v_fmaak_f32 v11, v10, v11, 0x3dd931b2
	;; [unrolled: 3-line block ×3, first 2 shown]
	s_delay_alu instid0(VALU_DEP_1) | instskip(NEXT) | instid1(VALU_DEP_1)
	v_fmaak_f32 v11, v10, v11, 0xbeaaaa62
	v_mul_f32_e32 v10, v10, v11
	s_delay_alu instid0(VALU_DEP_1) | instskip(NEXT) | instid1(VALU_DEP_1)
	v_fmac_f32_e32 v1, v1, v10
	v_sub_f32_e32 v10, 0x3fc90fdb, v1
	s_delay_alu instid0(VALU_DEP_1) | instskip(SKIP_1) | instid1(SALU_CYCLE_1)
	v_cndmask_b32_e32 v1, v1, v10, vcc_lo
                                        ; implicit-def: $vgpr10
	s_and_saveexec_b32 s6, s4
	s_xor_b32 s6, exec_lo, s6
	s_cbranch_execz .LBB43_264
; %bb.263:                              ;   in Loop: Header=BB43_5 Depth=1
	v_cmp_neq_f32_e64 s4, 0, v13
	v_cmp_eq_f32_e32 vcc_lo, 0x7f800000, v12
	v_cmp_class_f32_e64 s26, v13, 0x204
	s_delay_alu instid0(VALU_DEP_3) | instskip(SKIP_2) | instid1(VALU_DEP_2)
	v_cndmask_b32_e64 v1, 0, v1, s4
	s_and_b32 s4, vcc_lo, s26
	v_cmp_o_f32_e32 vcc_lo, v13, v13
	v_cndmask_b32_e64 v1, v1, 0x3f490fdb, s4
	s_delay_alu instid0(VALU_DEP_1) | instskip(NEXT) | instid1(VALU_DEP_1)
	v_cndmask_b32_e32 v1, 0x7fc00000, v1, vcc_lo
	v_bfi_b32 v10, 0x7fffffff, v1, v13
                                        ; implicit-def: $vgpr1
                                        ; implicit-def: $vgpr12
.LBB43_264:                             ;   in Loop: Header=BB43_5 Depth=1
	s_and_not1_saveexec_b32 s6, s6
	s_cbranch_execz .LBB43_266
; %bb.265:                              ;   in Loop: Header=BB43_5 Depth=1
	v_sub_f32_e32 v10, 0x40490fdb, v1
	v_cmp_lt_f32_e32 vcc_lo, 0, v12
	v_cmp_neq_f32_e64 s4, 0, v13
	v_cmp_class_f32_e64 s26, v13, 0x204
	s_delay_alu instid0(VALU_DEP_4) | instskip(SKIP_1) | instid1(VALU_DEP_2)
	v_cndmask_b32_e32 v1, v1, v10, vcc_lo
	v_cmp_eq_f32_e32 vcc_lo, 0x7f800000, v12
	v_cndmask_b32_e64 v1, 0x40490fdb, v1, s4
	s_and_b32 s4, vcc_lo, s26
	v_cmp_o_f32_e32 vcc_lo, v13, v13
	s_delay_alu instid0(VALU_DEP_2) | instskip(NEXT) | instid1(VALU_DEP_1)
	v_cndmask_b32_e64 v1, v1, 0x4016cbe4, s4
	v_cndmask_b32_e32 v1, 0x7fc00000, v1, vcc_lo
	s_delay_alu instid0(VALU_DEP_1)
	v_bfi_b32 v10, 0x7fffffff, v1, v13
.LBB43_266:                             ;   in Loop: Header=BB43_5 Depth=1
	s_or_b32 exec_lo, exec_lo, s6
.LBB43_267:                             ;   in Loop: Header=BB43_5 Depth=1
	s_delay_alu instid0(SALU_CYCLE_1)
	s_or_b32 exec_lo, exec_lo, s5
	v_cndmask_b32_e64 v11, -v21, v21, s2
.LBB43_268:                             ;   in Loop: Header=BB43_5 Depth=1
	s_and_not1_saveexec_b32 s4, s25
	s_cbranch_execz .LBB43_270
; %bb.269:                              ;   in Loop: Header=BB43_5 Depth=1
	s_wait_dscnt 0x0
	flat_load_b32 v1, v[16:17] scope:SCOPE_SYS
	s_wait_loadcnt_dscnt 0x0
	v_sub_f32_e32 v1, v1, v2
	s_delay_alu instid0(VALU_DEP_1)
	v_add_f32_e32 v10, 0x3fc90fdb, v1
.LBB43_270:                             ;   in Loop: Header=BB43_5 Depth=1
	s_or_b32 exec_lo, exec_lo, s4
.LBB43_271:                             ;   in Loop: Header=BB43_5 Depth=1
	s_and_not1_saveexec_b32 s4, s24
; %bb.272:                              ;   in Loop: Header=BB43_5 Depth=1
	v_mov_b32_e32 v10, 0
; %bb.273:                              ;   in Loop: Header=BB43_5 Depth=1
	s_or_b32 exec_lo, exec_lo, s4
                                        ; implicit-def: $vgpr13
                                        ; implicit-def: $vgpr12
                                        ; implicit-def: $vgpr1
.LBB43_274:                             ;   in Loop: Header=BB43_5 Depth=1
	s_and_not1_saveexec_b32 s6, s23
	s_cbranch_execz .LBB43_284
; %bb.275:                              ;   in Loop: Header=BB43_5 Depth=1
	v_cmp_lt_f32_e64 s4, |v2|, |v3|
                                        ; implicit-def: $vgpr11
                                        ; implicit-def: $vgpr10
	s_mov_b32 s5, exec_lo
	v_cndmask_b32_e64 v21, |v2|, |v3|, s4
	s_delay_alu instid0(VALU_DEP_1)
	v_cmpx_nlt_f32_e32 0x7effffff, v21
	s_xor_b32 s23, exec_lo, s5
	s_cbranch_execz .LBB43_281
; %bb.276:                              ;   in Loop: Header=BB43_5 Depth=1
	v_cndmask_b32_e64 v25, |v3|, |v2|, s4
	v_cmp_nlt_f32_e32 vcc_lo, 0x5e000000, v21
                                        ; implicit-def: $vgpr11
                                        ; implicit-def: $vgpr10
	s_delay_alu instid0(VALU_DEP_2) | instskip(SKIP_1) | instid1(SALU_CYCLE_1)
	v_cmp_ngt_f32_e64 s5, 0x20000000, v25
	s_and_b32 s5, vcc_lo, s5
	s_and_saveexec_b32 s24, s5
	s_delay_alu instid0(SALU_CYCLE_1)
	s_xor_b32 s24, exec_lo, s24
	s_cbranch_execz .LBB43_278
; %bb.277:                              ;   in Loop: Header=BB43_5 Depth=1
	s_wait_dscnt 0x0
	v_frexp_mant_f32_e32 v10, v1
	v_frexp_exp_i32_f32_e32 v1, v1
	v_min_num_f32_e32 v11, v13, v12
	s_delay_alu instid0(VALU_DEP_3) | instskip(NEXT) | instid1(VALU_DEP_1)
	v_rcp_f32_e32 v10, v10
	v_frexp_exp_i32_f32_e32 v12, v11
	s_delay_alu instid0(VALU_DEP_1)
	v_sub_nc_u32_e32 v1, v12, v1
	v_frexp_mant_f32_e32 v11, v11
	s_delay_alu instid0(TRANS32_DEP_1) | instid1(VALU_DEP_1)
	v_dual_mul_f32 v13, v25, v25 :: v_dual_mul_f32 v10, v11, v10
	s_delay_alu instid0(VALU_DEP_1) | instskip(NEXT) | instid1(VALU_DEP_1)
	v_ldexp_f32 v10, v10, v1
	v_dual_fmac_f32 v13, v21, v21 :: v_dual_mul_f32 v11, v10, v10
	s_delay_alu instid0(VALU_DEP_1) | instskip(SKIP_1) | instid1(VALU_DEP_1)
	v_cmp_gt_f32_e32 vcc_lo, 0x800000, v13
	v_cndmask_b32_e64 v1, 0, 32, vcc_lo
	v_ldexp_f32 v1, v13, v1
	s_delay_alu instid0(VALU_DEP_1) | instskip(SKIP_1) | instid1(TRANS32_DEP_1)
	v_log_f32_e32 v1, v1
	v_nop
	v_mul_f32_e32 v13, 0x3f317217, v1
	v_cmp_gt_f32_e64 s5, 0x7f800000, |v1|
	s_delay_alu instid0(VALU_DEP_2) | instskip(NEXT) | instid1(VALU_DEP_1)
	v_fma_f32 v13, 0x3f317217, v1, -v13
	v_fmac_f32_e32 v13, 0x3377d1cf, v1
	s_delay_alu instid0(VALU_DEP_1) | instskip(NEXT) | instid1(VALU_DEP_1)
	v_fmac_f32_e32 v13, 0x3f317217, v1
	v_cndmask_b32_e64 v1, v1, v13, s5
	v_cndmask_b32_e64 v13, 0, 0x41b17218, vcc_lo
	s_delay_alu instid0(VALU_DEP_1) | instskip(NEXT) | instid1(VALU_DEP_1)
	v_dual_fmaak_f32 v12, s20, v11, 0xbc7a590c :: v_dual_sub_f32 v1, v1, v13
	v_fmaak_f32 v12, v11, v12, 0x3d29fb3f
                                        ; implicit-def: $vgpr13
	s_delay_alu instid0(VALU_DEP_1) | instskip(NEXT) | instid1(VALU_DEP_1)
	v_fmaak_f32 v12, v11, v12, 0xbd97d4d7
	v_fmaak_f32 v12, v11, v12, 0x3dd931b2
	s_delay_alu instid0(VALU_DEP_1) | instskip(NEXT) | instid1(VALU_DEP_1)
	v_fmaak_f32 v12, v11, v12, 0xbe1160e6
	v_fmaak_f32 v12, v11, v12, 0x3e4cb8bf
	s_delay_alu instid0(VALU_DEP_1) | instskip(NEXT) | instid1(VALU_DEP_1)
	v_fmaak_f32 v12, v11, v12, 0xbeaaaa62
	v_dual_mul_f32 v12, v11, v12 :: v_dual_mul_f32 v11, 0.5, v1
                                        ; implicit-def: $vgpr1
	s_delay_alu instid0(VALU_DEP_1)
	v_fmac_f32_e32 v10, v10, v12
                                        ; implicit-def: $vgpr12
.LBB43_278:                             ;   in Loop: Header=BB43_5 Depth=1
	s_and_not1_saveexec_b32 s5, s24
	s_cbranch_execz .LBB43_280
; %bb.279:                              ;   in Loop: Header=BB43_5 Depth=1
	s_wait_dscnt 0x0
	v_cvt_f64_f32_e32 v[10:11], v1
	v_frexp_mant_f32_e32 v25, v1
	v_cmp_neq_f32_e32 vcc_lo, 0x7f800000, v1
	s_delay_alu instid0(VALU_DEP_3) | instskip(NEXT) | instid1(VALU_DEP_1)
	v_frexp_exp_i32_f64_e32 v10, v[10:11]
	v_sub_nc_u32_e32 v11, 0, v10
	s_delay_alu instid0(VALU_DEP_1) | instskip(NEXT) | instid1(VALU_DEP_1)
	v_ldexp_f32 v21, |v3|, v11
	v_mul_f32_e32 v21, v21, v21
	v_ldexp_f32 v11, |v2|, v11
	v_min_num_f32_e32 v12, v13, v12
	v_rcp_f32_e32 v13, v25
	s_delay_alu instid0(VALU_DEP_2) | instskip(SKIP_1) | instid1(VALU_DEP_3)
	v_fmac_f32_e32 v21, v11, v11
	v_frexp_exp_i32_f32_e32 v11, v1
	v_frexp_exp_i32_f32_e32 v25, v12
	v_frexp_mant_f32_e32 v12, v12
	s_delay_alu instid0(VALU_DEP_4)
	v_sqrt_f32_e32 v21, v21
	s_delay_alu instid0(TRANS32_DEP_2) | instid1(VALU_DEP_1)
	v_dual_mul_f32 v12, v12, v13 :: v_dual_sub_nc_u32 v11, v25, v11
	s_delay_alu instid0(TRANS32_DEP_1) | instskip(NEXT) | instid1(VALU_DEP_2)
	v_ldexp_f32 v13, v21, v10
	v_ldexp_f32 v10, v12, v11
	s_delay_alu instid0(VALU_DEP_1) | instskip(NEXT) | instid1(VALU_DEP_3)
	v_mul_f32_e32 v11, v10, v10
	v_cndmask_b32_e32 v1, 0x7f800000, v13, vcc_lo
	s_delay_alu instid0(VALU_DEP_2) | instskip(NEXT) | instid1(VALU_DEP_2)
	v_fmaak_f32 v13, s20, v11, 0xbc7a590c
	v_cmp_gt_f32_e32 vcc_lo, 0x800000, v1
	v_cndmask_b32_e64 v12, 0, 32, vcc_lo
	v_cndmask_b32_e64 v21, 0, 0x41b17218, vcc_lo
	s_delay_alu instid0(VALU_DEP_2) | instskip(SKIP_1) | instid1(VALU_DEP_2)
	v_ldexp_f32 v1, v1, v12
	v_fmaak_f32 v12, v11, v13, 0x3d29fb3f
	v_log_f32_e32 v1, v1
	v_nop
	s_delay_alu instid0(TRANS32_DEP_1) | instskip(SKIP_1) | instid1(VALU_DEP_2)
	v_mul_f32_e32 v13, 0x3f317217, v1
	v_cmp_gt_f32_e64 vcc_lo, 0x7f800000, |v1|
	v_fma_f32 v13, 0x3f317217, v1, -v13
	s_delay_alu instid0(VALU_DEP_1) | instskip(NEXT) | instid1(VALU_DEP_1)
	v_fmac_f32_e32 v13, 0x3377d1cf, v1
	v_fmac_f32_e32 v13, 0x3f317217, v1
	s_delay_alu instid0(VALU_DEP_1) | instskip(NEXT) | instid1(VALU_DEP_1)
	v_dual_cndmask_b32 v1, v1, v13 :: v_dual_fmaak_f32 v12, v11, v12, 0xbd97d4d7
	v_fmaak_f32 v12, v11, v12, 0x3dd931b2
	s_delay_alu instid0(VALU_DEP_1) | instskip(NEXT) | instid1(VALU_DEP_1)
	v_fmaak_f32 v12, v11, v12, 0xbe1160e6
	v_fmaak_f32 v12, v11, v12, 0x3e4cb8bf
	s_delay_alu instid0(VALU_DEP_1) | instskip(NEXT) | instid1(VALU_DEP_1)
	v_fmaak_f32 v12, v11, v12, 0xbeaaaa62
	v_dual_mul_f32 v12, v11, v12 :: v_dual_sub_f32 v11, v1, v21
	s_delay_alu instid0(VALU_DEP_1)
	v_fmac_f32_e32 v10, v10, v12
.LBB43_280:                             ;   in Loop: Header=BB43_5 Depth=1
	s_or_b32 exec_lo, exec_lo, s5
                                        ; implicit-def: $vgpr13
                                        ; implicit-def: $vgpr12
                                        ; implicit-def: $vgpr1
.LBB43_281:                             ;   in Loop: Header=BB43_5 Depth=1
	s_and_not1_saveexec_b32 s23, s23
	s_cbranch_execz .LBB43_283
; %bb.282:                              ;   in Loop: Header=BB43_5 Depth=1
	v_div_scale_f32 v10, null, 0x402df854, 0x402df854, v2
	v_div_scale_f32 v11, null, 0x402df854, 0x402df854, v3
	v_div_scale_f32 v35, vcc_lo, v2, 0x402df854, v2
	s_delay_alu instid0(VALU_DEP_3) | instskip(NEXT) | instid1(VALU_DEP_2)
	v_rcp_f32_e32 v21, v10
	v_rcp_f32_e32 v25, v11
	v_min_num_f32_e32 v12, v13, v12
	s_delay_alu instid0(TRANS32_DEP_2) | instskip(NEXT) | instid1(TRANS32_DEP_1)
	v_fma_f32 v30, -v10, v21, 1.0
	v_fma_f32 v31, -v11, v25, 1.0
	s_delay_alu instid0(VALU_DEP_2) | instskip(SKIP_1) | instid1(VALU_DEP_3)
	v_fmac_f32_e32 v21, v30, v21
	v_div_scale_f32 v30, s5, v3, 0x402df854, v3
	v_fmac_f32_e32 v25, v31, v25
	s_delay_alu instid0(VALU_DEP_1) | instskip(NEXT) | instid1(VALU_DEP_1)
	v_mul_f32_e32 v36, v30, v25
	v_fma_f32 v38, -v11, v36, v30
	v_mul_f32_e32 v31, v35, v21
	s_delay_alu instid0(VALU_DEP_1) | instskip(NEXT) | instid1(VALU_DEP_3)
	v_fma_f32 v37, -v10, v31, v35
	v_fmac_f32_e32 v36, v38, v25
	s_delay_alu instid0(VALU_DEP_1) | instskip(NEXT) | instid1(VALU_DEP_1)
	v_dual_fmac_f32 v31, v37, v21 :: v_dual_fma_f32 v11, -v11, v36, v30
	v_fma_f32 v10, -v10, v31, v35
	s_delay_alu instid0(VALU_DEP_1) | instskip(SKIP_1) | instid1(VALU_DEP_3)
	v_div_fmas_f32 v10, v10, v21, v31
	s_mov_b32 vcc_lo, s5
	v_div_fmas_f32 v11, v11, v25, v36
	s_delay_alu instid0(VALU_DEP_2) | instskip(NEXT) | instid1(VALU_DEP_2)
	v_div_fixup_f32 v21, v10, 0x402df854, v2
	v_div_fixup_f32 v25, v11, 0x402df854, v3
	s_delay_alu instid0(VALU_DEP_1) | instskip(NEXT) | instid1(VALU_DEP_1)
	v_max_num_f32_e64 v30, |v21|, |v25|
	v_cvt_f64_f32_e32 v[10:11], v30
	v_cmp_neq_f32_e32 vcc_lo, 0x7f800000, v30
	s_delay_alu instid0(VALU_DEP_2) | instskip(NEXT) | instid1(VALU_DEP_1)
	v_frexp_exp_i32_f64_e32 v10, v[10:11]
	v_sub_nc_u32_e32 v11, 0, v10
	s_delay_alu instid0(VALU_DEP_1) | instskip(SKIP_1) | instid1(VALU_DEP_2)
	v_ldexp_f32 v25, |v25|, v11
	v_ldexp_f32 v11, |v21|, v11
	v_mul_f32_e32 v21, v25, v25
	s_delay_alu instid0(VALU_DEP_1) | instskip(SKIP_3) | instid1(VALU_DEP_3)
	v_fmac_f32_e32 v21, v11, v11
	s_wait_dscnt 0x0
	v_frexp_mant_f32_e32 v11, v1
	v_frexp_exp_i32_f32_e32 v1, v1
	v_sqrt_f32_e32 v13, v21
	s_delay_alu instid0(VALU_DEP_2) | instskip(SKIP_2) | instid1(TRANS32_DEP_2)
	v_rcp_f32_e32 v11, v11
	v_frexp_exp_i32_f32_e32 v21, v12
	v_frexp_mant_f32_e32 v12, v12
	v_ldexp_f32 v10, v13, v10
	s_delay_alu instid0(TRANS32_DEP_1) | instid1(VALU_DEP_2)
	v_dual_sub_nc_u32 v1, v21, v1 :: v_dual_mul_f32 v11, v12, v11
	s_delay_alu instid0(VALU_DEP_2) | instskip(NEXT) | instid1(VALU_DEP_2)
	v_cndmask_b32_e32 v12, 0x7f800000, v10, vcc_lo
	v_ldexp_f32 v10, v11, v1
	s_delay_alu instid0(VALU_DEP_1) | instskip(NEXT) | instid1(VALU_DEP_3)
	v_mul_f32_e32 v11, v10, v10
	v_cmp_gt_f32_e32 vcc_lo, 0x800000, v12
	v_cndmask_b32_e64 v1, 0, 32, vcc_lo
	v_cndmask_b32_e64 v21, 0, 0x41b17218, vcc_lo
	s_delay_alu instid0(VALU_DEP_2) | instskip(NEXT) | instid1(VALU_DEP_1)
	v_ldexp_f32 v1, v12, v1
	v_log_f32_e32 v1, v1
	v_nop
	s_delay_alu instid0(TRANS32_DEP_1) | instskip(SKIP_1) | instid1(VALU_DEP_2)
	v_mul_f32_e32 v13, 0x3f317217, v1
	v_cmp_gt_f32_e64 vcc_lo, 0x7f800000, |v1|
	v_fma_f32 v13, 0x3f317217, v1, -v13
	s_delay_alu instid0(VALU_DEP_1) | instskip(NEXT) | instid1(VALU_DEP_1)
	v_fmac_f32_e32 v13, 0x3377d1cf, v1
	v_fmac_f32_e32 v13, 0x3f317217, v1
	s_delay_alu instid0(VALU_DEP_1) | instskip(NEXT) | instid1(VALU_DEP_1)
	v_cndmask_b32_e32 v1, v1, v13, vcc_lo
	v_dual_fmaak_f32 v12, s20, v11, 0xbc7a590c :: v_dual_sub_f32 v1, v1, v21
	s_delay_alu instid0(VALU_DEP_1) | instskip(NEXT) | instid1(VALU_DEP_1)
	v_fmaak_f32 v12, v11, v12, 0x3d29fb3f
	v_fmaak_f32 v12, v11, v12, 0xbd97d4d7
	s_delay_alu instid0(VALU_DEP_1) | instskip(NEXT) | instid1(VALU_DEP_1)
	v_fmaak_f32 v12, v11, v12, 0x3dd931b2
	v_fmaak_f32 v12, v11, v12, 0xbe1160e6
	;; [unrolled: 3-line block ×3, first 2 shown]
	s_delay_alu instid0(VALU_DEP_1) | instskip(NEXT) | instid1(VALU_DEP_1)
	v_dual_mul_f32 v12, v11, v12 :: v_dual_add_f32 v11, 1.0, v1
	v_fmac_f32_e32 v10, v10, v12
.LBB43_283:                             ;   in Loop: Header=BB43_5 Depth=1
	s_or_b32 exec_lo, exec_lo, s23
	s_wait_dscnt 0x0
	s_delay_alu instid0(VALU_DEP_1) | instskip(SKIP_4) | instid1(VALU_DEP_4)
	v_sub_f32_e32 v1, 0x3fc90fdb, v10
	v_add_f32_e32 v11, 0x3f317218, v11
	v_cmp_gt_f32_e32 vcc_lo, 0, v2
	v_cndmask_b32_e64 v12, 0, 0x40490fdb, s3
	v_cmp_class_f32_e64 s3, v2, 0x204
	v_dual_cndmask_b32 v1, v10, v1, s4 :: v_dual_cndmask_b32 v11, -v11, v11, s2
	v_cmp_class_f32_e64 s4, v3, 0x204
	s_delay_alu instid0(VALU_DEP_2) | instskip(NEXT) | instid1(VALU_DEP_1)
	v_sub_f32_e32 v10, 0x40490fdb, v1
	v_cndmask_b32_e32 v1, v1, v10, vcc_lo
	v_cndmask_b32_e32 v10, 0x3f490fdb, v34, vcc_lo
	v_cmp_eq_f32_e32 vcc_lo, 0, v3
	s_delay_alu instid0(VALU_DEP_3) | instskip(SKIP_1) | instid1(VALU_DEP_1)
	v_cndmask_b32_e64 v1, |v1|, v12, vcc_lo
	s_and_b32 vcc_lo, s3, s4
	v_cndmask_b32_e32 v10, v1, v10, vcc_lo
.LBB43_284:                             ;   in Loop: Header=BB43_5 Depth=1
	s_or_b32 exec_lo, exec_lo, s6
.LBB43_285:                             ;   in Loop: Header=BB43_5 Depth=1
	s_and_not1_saveexec_b32 s2, s22
	s_cbranch_execz .LBB43_299
; %bb.286:                              ;   in Loop: Header=BB43_5 Depth=1
	v_cmp_neq_f32_e64 s3, 0x7f800000, |v2|
                                        ; implicit-def: $vgpr11
	s_and_saveexec_b32 s4, s3
	s_delay_alu instid0(SALU_CYCLE_1)
	s_xor_b32 s3, exec_lo, s4
	s_cbranch_execz .LBB43_296
; %bb.287:                              ;   in Loop: Header=BB43_5 Depth=1
	v_cmp_neq_f32_e64 s4, 0x7f800000, |v3|
	v_xor_b32_e32 v11, 0x80000000, v3
	s_and_saveexec_b32 s5, s4
	s_delay_alu instid0(SALU_CYCLE_1)
	s_xor_b32 s4, exec_lo, s5
	s_cbranch_execz .LBB43_293
; %bb.288:                              ;   in Loop: Header=BB43_5 Depth=1
	s_mov_b32 s5, exec_lo
                                        ; implicit-def: $vgpr11
	v_cmpx_neq_f32_e32 0, v2
	s_xor_b32 s5, exec_lo, s5
	s_cbranch_execz .LBB43_290
; %bb.289:                              ;   in Loop: Header=BB43_5 Depth=1
	s_wait_dscnt 0x0
	v_add_f32_e32 v1, 0, v3
	s_delay_alu instid0(VALU_DEP_1)
	v_add_f32_e32 v11, v2, v1
.LBB43_290:                             ;   in Loop: Header=BB43_5 Depth=1
	s_or_saveexec_b32 s5, s5
	s_delay_alu instid0(VALU_DEP_1)
	v_mov_b32_e32 v10, v11
	s_xor_b32 exec_lo, exec_lo, s5
	s_cbranch_execz .LBB43_292
; %bb.291:                              ;   in Loop: Header=BB43_5 Depth=1
	s_wait_dscnt 0x0
	flat_load_b32 v1, v[16:17] scope:SCOPE_SYS
	s_wait_loadcnt_dscnt 0x0
	v_dual_add_f32 v11, v3, v3 :: v_dual_add_f32 v10, 0x3fc90fdb, v1
.LBB43_292:                             ;   in Loop: Header=BB43_5 Depth=1
	s_or_b32 exec_lo, exec_lo, s5
.LBB43_293:                             ;   in Loop: Header=BB43_5 Depth=1
	s_and_not1_saveexec_b32 s4, s4
; %bb.294:                              ;   in Loop: Header=BB43_5 Depth=1
	v_add_f32_e32 v10, v2, v2
; %bb.295:                              ;   in Loop: Header=BB43_5 Depth=1
	s_or_b32 exec_lo, exec_lo, s4
.LBB43_296:                             ;   in Loop: Header=BB43_5 Depth=1
	s_and_not1_saveexec_b32 s3, s3
; %bb.297:                              ;   in Loop: Header=BB43_5 Depth=1
	v_dual_add_f32 v10, v3, v3 :: v_dual_mov_b32 v11, 0xff800000
; %bb.298:                              ;   in Loop: Header=BB43_5 Depth=1
	s_or_b32 exec_lo, exec_lo, s3
.LBB43_299:                             ;   in Loop: Header=BB43_5 Depth=1
	s_delay_alu instid0(SALU_CYCLE_1)
	s_or_b32 exec_lo, exec_lo, s2
	flat_store_b32 v[16:17], v32 scope:SCOPE_SYS
	s_wait_storecnt 0x0
	s_mov_b32 s2, exec_lo
	s_wait_xcnt 0x0
	v_cmpx_o_f32_e32 v4, v5
	s_xor_b32 s22, exec_lo, s2
	s_cbranch_execz .LBB43_383
; %bb.300:                              ;   in Loop: Header=BB43_5 Depth=1
	v_max_num_f32_e64 v2, |v5|, |v5|
	v_max_num_f32_e64 v3, |v4|, |v4|
	v_cmp_gt_i32_e64 s3, 0, v4
	v_cmp_lt_i32_e64 s4, -1, v4
	v_cmp_gt_i32_e64 s2, 0, v5
	s_mov_b32 s5, exec_lo
	s_wait_dscnt 0x1
	v_max_num_f32_e32 v1, v3, v2
	s_delay_alu instid0(VALU_DEP_1)
	v_cmpx_nlt_f32_e32 0x4b000000, v1
	s_xor_b32 s23, exec_lo, s5
	s_cbranch_execz .LBB43_372
; %bb.301:                              ;   in Loop: Header=BB43_5 Depth=1
	v_cmp_neq_f32_e32 vcc_lo, 1.0, v4
	v_cmp_neq_f32_e64 s5, 0, v5
	v_xor_b32_e32 v13, 0x80000000, v5
	s_or_b32 s5, vcc_lo, s5
	s_delay_alu instid0(SALU_CYCLE_1) | instskip(NEXT) | instid1(SALU_CYCLE_1)
	s_and_saveexec_b32 s6, s5
	s_xor_b32 s24, exec_lo, s6
	s_cbranch_execz .LBB43_369
; %bb.302:                              ;   in Loop: Header=BB43_5 Depth=1
	flat_store_b32 v[18:19], v33 scope:SCOPE_SYS
	s_wait_storecnt 0x0
	flat_load_b32 v1, v[18:19] scope:SCOPE_SYS
	s_wait_loadcnt 0x0
	v_cmp_ngt_f32_e64 s5, 0x395db3d7, |v4|
	v_cmp_ngt_f32_e64 s6, 0x395db3d7, |v5|
	v_xor_b32_e32 v13, 0x80000000, v5
	s_or_b32 s5, s5, s6
	s_wait_dscnt 0x0
	v_add_f32_e32 v1, 1.0, v1
	flat_store_b32 v[22:23], v1 scope:SCOPE_SYS
	s_wait_storecnt 0x0
	flat_load_b32 v1, v[22:23] scope:SCOPE_SYS
	s_wait_loadcnt 0x0
	s_wait_xcnt 0x0
	s_and_saveexec_b32 s6, s5
	s_delay_alu instid0(SALU_CYCLE_1)
	s_xor_b32 s25, exec_lo, s6
	s_cbranch_execz .LBB43_366
; %bb.303:                              ;   in Loop: Header=BB43_5 Depth=1
	v_add_f32_e64 v12, |v4|, 1.0
	s_wait_dscnt 0x0
	v_add_f32_e64 v1, |v4|, -1.0
	s_mov_b32 s5, exec_lo
	s_delay_alu instid0(VALU_DEP_2) | instskip(NEXT) | instid1(VALU_DEP_2)
	v_max_num_f32_e32 v13, v2, v12
	v_max_num_f32_e64 v21, v2, |v1|
	s_delay_alu instid0(VALU_DEP_2) | instskip(NEXT) | instid1(VALU_DEP_2)
	v_cvt_f64_f32_e32 v[2:3], v13
	v_cvt_f64_f32_e32 v[30:31], v21
	s_delay_alu instid0(VALU_DEP_2) | instskip(NEXT) | instid1(VALU_DEP_2)
	v_frexp_exp_i32_f64_e32 v2, v[2:3]
	v_frexp_exp_i32_f64_e32 v3, v[30:31]
	s_delay_alu instid0(VALU_DEP_2) | instskip(SKIP_1) | instid1(VALU_DEP_2)
	v_sub_nc_u32_e32 v25, 0, v2
	v_cmp_neq_f32_e32 vcc_lo, 0x7f800000, v13
	v_ldexp_f32 v31, v12, v25
	v_ldexp_f32 v25, |v5|, v25
	s_delay_alu instid0(VALU_DEP_2) | instskip(NEXT) | instid1(VALU_DEP_1)
	v_mul_f32_e32 v31, v31, v31
	v_dual_fmac_f32 v31, v25, v25 :: v_dual_sub_nc_u32 v30, 0, v3
	s_delay_alu instid0(VALU_DEP_1) | instskip(SKIP_1) | instid1(VALU_DEP_3)
	v_ldexp_f32 v35, |v1|, v30
	v_ldexp_f32 v30, |v5|, v30
	v_sqrt_f32_e32 v25, v31
	v_nop
	s_delay_alu instid0(TRANS32_DEP_1) | instskip(NEXT) | instid1(VALU_DEP_1)
	v_ldexp_f32 v2, v25, v2
	v_dual_mul_f32 v35, v35, v35 :: v_dual_cndmask_b32 v36, 0x7f800000, v2
	s_delay_alu instid0(VALU_DEP_1) | instskip(SKIP_1) | instid1(VALU_DEP_2)
	v_fmac_f32_e32 v35, v30, v30
	v_cmp_neq_f32_e32 vcc_lo, 0x7f800000, v21
                                        ; implicit-def: $vgpr21
	v_sqrt_f32_e32 v30, v35
	v_nop
	s_delay_alu instid0(TRANS32_DEP_1) | instskip(NEXT) | instid1(VALU_DEP_1)
	v_ldexp_f32 v3, v30, v3
	v_cndmask_b32_e32 v13, 0x7f800000, v3, vcc_lo
	s_delay_alu instid0(VALU_DEP_1) | instskip(NEXT) | instid1(VALU_DEP_1)
	v_add_f32_e32 v2, v36, v13
	v_mul_f32_e32 v2, 0.5, v2
	s_delay_alu instid0(VALU_DEP_1) | instskip(SKIP_1) | instid1(VALU_DEP_1)
	v_cmp_ngt_f32_e32 vcc_lo, 1.0, v2
	v_cndmask_b32_e32 v2, 1.0, v2, vcc_lo
	v_cmpx_ngt_f32_e32 0x41200000, v2
	s_xor_b32 s6, exec_lo, s5
	s_cbranch_execz .LBB43_305
; %bb.304:                              ;   in Loop: Header=BB43_5 Depth=1
	v_fma_f32 v3, v2, v2, -1.0
	s_delay_alu instid0(VALU_DEP_1) | instskip(SKIP_1) | instid1(VALU_DEP_2)
	v_mul_f32_e32 v21, 0x4f800000, v3
	v_cmp_gt_f32_e32 vcc_lo, 0xf800000, v3
	v_cndmask_b32_e32 v3, v3, v21, vcc_lo
	s_delay_alu instid0(VALU_DEP_1) | instskip(SKIP_1) | instid1(TRANS32_DEP_1)
	v_sqrt_f32_e32 v21, v3
	v_nop
	v_dual_add_nc_u32 v25, -1, v21 :: v_dual_add_nc_u32 v30, 1, v21
	s_delay_alu instid0(VALU_DEP_1) | instskip(NEXT) | instid1(VALU_DEP_1)
	v_dual_fma_f32 v31, -v25, v21, v3 :: v_dual_fma_f32 v35, -v30, v21, v3
	v_cmp_ge_f32_e64 s5, 0, v31
	s_delay_alu instid0(VALU_DEP_1) | instskip(NEXT) | instid1(VALU_DEP_3)
	v_cndmask_b32_e64 v21, v21, v25, s5
	v_cmp_lt_f32_e64 s5, 0, v35
	s_delay_alu instid0(VALU_DEP_1) | instskip(NEXT) | instid1(VALU_DEP_1)
	v_cndmask_b32_e64 v21, v21, v30, s5
	v_mul_f32_e32 v25, 0x37800000, v21
	s_delay_alu instid0(VALU_DEP_1) | instskip(SKIP_1) | instid1(VALU_DEP_2)
	v_cndmask_b32_e32 v21, v21, v25, vcc_lo
	v_cmp_class_f32_e64 vcc_lo, v3, 0x260
	v_cndmask_b32_e32 v3, v21, v3, vcc_lo
	s_delay_alu instid0(VALU_DEP_1) | instskip(NEXT) | instid1(VALU_DEP_1)
	v_add_f32_e32 v3, v2, v3
	v_cmp_gt_f32_e32 vcc_lo, 0x800000, v3
	s_delay_alu instid0(VALU_DEP_4) | instskip(NEXT) | instid1(VALU_DEP_1)
	v_cndmask_b32_e64 v21, 0, 32, vcc_lo
	v_ldexp_f32 v3, v3, v21
	s_delay_alu instid0(VALU_DEP_1) | instskip(SKIP_1) | instid1(TRANS32_DEP_1)
	v_log_f32_e32 v3, v3
	v_nop
	v_mul_f32_e32 v21, 0x3f317217, v3
	v_cmp_gt_f32_e64 s5, 0x7f800000, |v3|
	s_delay_alu instid0(VALU_DEP_2) | instskip(NEXT) | instid1(VALU_DEP_1)
	v_fma_f32 v21, 0x3f317217, v3, -v21
	v_fmac_f32_e32 v21, 0x3377d1cf, v3
	s_delay_alu instid0(VALU_DEP_1) | instskip(NEXT) | instid1(VALU_DEP_1)
	v_fmac_f32_e32 v21, 0x3f317217, v3
	v_cndmask_b32_e64 v3, v3, v21, s5
	v_cndmask_b32_e64 v21, 0, 0x41b17218, vcc_lo
	s_delay_alu instid0(VALU_DEP_1)
	v_sub_f32_e32 v21, v3, v21
.LBB43_305:                             ;   in Loop: Header=BB43_5 Depth=1
	s_or_saveexec_b32 s6, s6
	v_and_b32_e32 v35, 0x7fffffff, v5
	s_xor_b32 exec_lo, exec_lo, s6
	s_cbranch_execz .LBB43_327
; %bb.306:                              ;   in Loop: Header=BB43_5 Depth=1
	v_cmp_neq_f32_e64 s5, |v4|, 1.0
	v_cmp_ngt_f32_e64 s26, 0x25000000, |v5|
                                        ; implicit-def: $vgpr21
	s_or_b32 s5, s5, s26
	s_delay_alu instid0(SALU_CYCLE_1) | instskip(NEXT) | instid1(SALU_CYCLE_1)
	s_and_saveexec_b32 s26, s5
	s_xor_b32 s26, exec_lo, s26
	s_cbranch_execz .LBB43_324
; %bb.307:                              ;   in Loop: Header=BB43_5 Depth=1
	v_mul_f32_e64 v3, 0x34000000, |v1|
	s_mov_b32 s27, exec_lo
                                        ; implicit-def: $vgpr21
	s_delay_alu instid0(VALU_DEP_1)
	v_cmpx_ge_f32_e64 |v5|, v3
	s_xor_b32 s27, exec_lo, s27
	s_cbranch_execz .LBB43_317
; %bb.308:                              ;   in Loop: Header=BB43_5 Depth=1
	v_mov_b32_e32 v3, v35
	s_mov_b32 s5, exec_lo
	v_cmpx_neq_f32_e32 0, v12
	s_cbranch_execz .LBB43_310
; %bb.309:                              ;   in Loop: Header=BB43_5 Depth=1
	v_dual_mul_f32 v3, v5, v5 :: v_dual_add_f32 v21, v12, v36
	s_delay_alu instid0(VALU_DEP_1) | instskip(NEXT) | instid1(VALU_DEP_1)
	v_div_scale_f32 v25, null, v21, v21, v3
	v_rcp_f32_e32 v30, v25
	v_nop
	s_delay_alu instid0(TRANS32_DEP_1) | instskip(NEXT) | instid1(VALU_DEP_1)
	v_fma_f32 v31, -v25, v30, 1.0
	v_fmac_f32_e32 v30, v31, v30
	v_div_scale_f32 v31, vcc_lo, v3, v21, v3
	s_delay_alu instid0(VALU_DEP_1) | instskip(NEXT) | instid1(VALU_DEP_1)
	v_mul_f32_e32 v37, v31, v30
	v_fma_f32 v38, -v25, v37, v31
	s_delay_alu instid0(VALU_DEP_1) | instskip(NEXT) | instid1(VALU_DEP_1)
	v_fmac_f32_e32 v37, v38, v30
	v_fma_f32 v25, -v25, v37, v31
	s_delay_alu instid0(VALU_DEP_1) | instskip(NEXT) | instid1(VALU_DEP_1)
	v_div_fmas_f32 v25, v25, v30, v37
	v_div_fixup_f32 v3, v25, v21, v3
.LBB43_310:                             ;   in Loop: Header=BB43_5 Depth=1
	s_or_b32 exec_lo, exec_lo, s5
	v_sub_f32_e64 v25, 1.0, |v4|
	s_mov_b32 s5, exec_lo
                                        ; implicit-def: $vgpr21
	s_delay_alu instid0(VALU_DEP_1)
	v_cmpx_ngt_f32_e32 0, v25
	s_xor_b32 s5, exec_lo, s5
	s_cbranch_execz .LBB43_314
; %bb.311:                              ;   in Loop: Header=BB43_5 Depth=1
	v_mov_b32_e32 v21, v35
	s_mov_b32 s28, exec_lo
	v_cmpx_neq_f32_e32 0, v25
	s_cbranch_execz .LBB43_313
; %bb.312:                              ;   in Loop: Header=BB43_5 Depth=1
	v_mul_f32_e32 v21, v5, v5
	v_add_f32_e32 v25, v25, v13
	s_delay_alu instid0(VALU_DEP_1) | instskip(NEXT) | instid1(VALU_DEP_1)
	v_div_scale_f32 v30, null, v25, v25, v21
	v_rcp_f32_e32 v31, v30
	v_nop
	s_delay_alu instid0(TRANS32_DEP_1) | instskip(NEXT) | instid1(VALU_DEP_1)
	v_fma_f32 v37, -v30, v31, 1.0
	v_fmac_f32_e32 v31, v37, v31
	v_div_scale_f32 v37, vcc_lo, v21, v25, v21
	s_delay_alu instid0(VALU_DEP_1) | instskip(NEXT) | instid1(VALU_DEP_1)
	v_mul_f32_e32 v38, v37, v31
	v_fma_f32 v39, -v30, v38, v37
	s_delay_alu instid0(VALU_DEP_1) | instskip(NEXT) | instid1(VALU_DEP_1)
	v_fmac_f32_e32 v38, v39, v31
	v_fma_f32 v30, -v30, v38, v37
	s_delay_alu instid0(VALU_DEP_1) | instskip(NEXT) | instid1(VALU_DEP_1)
	v_div_fmas_f32 v30, v30, v31, v38
	v_div_fixup_f32 v21, v30, v25, v21
.LBB43_313:                             ;   in Loop: Header=BB43_5 Depth=1
	s_or_b32 exec_lo, exec_lo, s28
                                        ; implicit-def: $vgpr25
.LBB43_314:                             ;   in Loop: Header=BB43_5 Depth=1
	s_and_not1_saveexec_b32 s5, s5
; %bb.315:                              ;   in Loop: Header=BB43_5 Depth=1
	v_sub_f32_e32 v21, v13, v25
; %bb.316:                              ;   in Loop: Header=BB43_5 Depth=1
	s_or_b32 exec_lo, exec_lo, s5
	s_delay_alu instid0(VALU_DEP_1) | instskip(NEXT) | instid1(VALU_DEP_1)
	v_dual_mul_f32 v3, 0.5, v3 :: v_dual_mul_f32 v21, 0.5, v21
	v_pk_add_f32 v[30:31], v[2:3], v[20:21]
	s_delay_alu instid0(VALU_DEP_1) | instskip(NEXT) | instid1(VALU_DEP_1)
	v_mul_f32_e32 v3, v30, v31
	v_mul_f32_e32 v21, 0x4f800000, v3
	v_cmp_gt_f32_e32 vcc_lo, 0xf800000, v3
	s_delay_alu instid0(VALU_DEP_2) | instskip(NEXT) | instid1(VALU_DEP_1)
	v_cndmask_b32_e32 v3, v3, v21, vcc_lo
	v_sqrt_f32_e32 v21, v3
	v_nop
	s_delay_alu instid0(TRANS32_DEP_1) | instskip(NEXT) | instid1(VALU_DEP_1)
	v_dual_add_nc_u32 v25, -1, v21 :: v_dual_add_nc_u32 v30, 1, v21
	v_dual_fma_f32 v37, -v25, v21, v3 :: v_dual_fma_f32 v38, -v30, v21, v3
	s_delay_alu instid0(VALU_DEP_1) | instskip(NEXT) | instid1(VALU_DEP_1)
	v_cmp_ge_f32_e64 s5, 0, v37
	v_cndmask_b32_e64 v21, v21, v25, s5
	s_delay_alu instid0(VALU_DEP_3) | instskip(NEXT) | instid1(VALU_DEP_1)
	v_cmp_lt_f32_e64 s5, 0, v38
	v_cndmask_b32_e64 v21, v21, v30, s5
	s_delay_alu instid0(VALU_DEP_1) | instskip(NEXT) | instid1(VALU_DEP_1)
	v_mul_f32_e32 v25, 0x37800000, v21
	v_cndmask_b32_e32 v21, v21, v25, vcc_lo
	v_cmp_class_f32_e64 vcc_lo, v3, 0x260
	s_delay_alu instid0(VALU_DEP_2) | instskip(NEXT) | instid1(VALU_DEP_1)
	v_cndmask_b32_e32 v3, v21, v3, vcc_lo
	v_add_f32_e32 v30, v31, v3
	s_delay_alu instid0(VALU_DEP_1) | instskip(NEXT) | instid1(VALU_DEP_1)
	v_add_f32_e32 v39, 1.0, v30
	v_cvt_f64_f32_e32 v[40:41], v39
	v_frexp_mant_f32_e32 v21, v39
	v_add_f32_e32 v31, -1.0, v39
	s_delay_alu instid0(VALU_DEP_2) | instskip(NEXT) | instid1(VALU_DEP_2)
	v_cmp_gt_f32_e32 vcc_lo, 0x3f2aaaab, v21
	v_mov_b32_e32 v38, v31
	v_frexp_exp_i32_f64_e32 v3, v[40:41]
	s_delay_alu instid0(VALU_DEP_2) | instskip(NEXT) | instid1(VALU_DEP_1)
	v_pk_add_f32 v[40:41], v[30:31], v[38:39] neg_lo:[0,1] neg_hi:[0,1]
	v_add_f32_e32 v31, 1.0, v41
	s_delay_alu instid0(VALU_DEP_3) | instskip(SKIP_1) | instid1(VALU_DEP_2)
	v_subrev_co_ci_u32_e64 v3, null, 0, v3, vcc_lo
	v_cmp_neq_f32_e32 vcc_lo, 0x7f800000, v30
	v_sub_nc_u32_e32 v21, 0, v3
	s_delay_alu instid0(VALU_DEP_1) | instskip(NEXT) | instid1(VALU_DEP_1)
	v_ldexp_f32 v25, v39, v21
	v_dual_add_f32 v31, v40, v31 :: v_dual_add_f32 v43, -1.0, v25
	v_add_f32_e32 v37, 1.0, v25
	s_delay_alu instid0(VALU_DEP_1) | instskip(NEXT) | instid1(VALU_DEP_3)
	v_add_f32_e32 v38, -1.0, v37
	v_ldexp_f32 v21, v31, v21
	s_delay_alu instid0(VALU_DEP_2) | instskip(NEXT) | instid1(VALU_DEP_1)
	v_dual_sub_f32 v31, v25, v38 :: v_dual_add_f32 v38, 1.0, v43
	v_sub_f32_e32 v25, v25, v38
	s_delay_alu instid0(VALU_DEP_1) | instskip(NEXT) | instid1(VALU_DEP_1)
	v_dual_add_f32 v31, v21, v31 :: v_dual_add_f32 v21, v21, v25
	v_dual_add_f32 v39, v43, v21 :: v_dual_add_f32 v44, v37, v31
	s_delay_alu instid0(VALU_DEP_1) | instskip(SKIP_1) | instid1(TRANS32_DEP_1)
	v_rcp_f32_e32 v25, v44
	v_nop
	v_mul_f32_e32 v45, v39, v25
	s_delay_alu instid0(VALU_DEP_1) | instskip(NEXT) | instid1(VALU_DEP_1)
	v_mul_f32_e32 v40, v44, v45
	v_dual_sub_f32 v37, v44, v37 :: v_dual_fma_f32 v42, v45, v44, -v40
	s_delay_alu instid0(VALU_DEP_1) | instskip(SKIP_1) | instid1(VALU_DEP_2)
	v_sub_f32_e32 v31, v31, v37
	v_sub_f32_e32 v37, v39, v43
	v_fmac_f32_e32 v42, v45, v31
	s_delay_alu instid0(VALU_DEP_1) | instskip(NEXT) | instid1(VALU_DEP_1)
	v_dual_sub_f32 v21, v21, v37 :: v_dual_add_f32 v38, v40, v42
	v_dual_sub_f32 v41, v39, v38 :: v_dual_mov_b32 v43, v38
	s_delay_alu instid0(VALU_DEP_1) | instskip(NEXT) | instid1(VALU_DEP_1)
	v_pk_add_f32 v[38:39], v[38:39], v[40:41] neg_lo:[0,1] neg_hi:[0,1]
	v_pk_add_f32 v[38:39], v[38:39], v[42:43] neg_lo:[0,1] neg_hi:[0,1]
	s_delay_alu instid0(VALU_DEP_1) | instskip(NEXT) | instid1(VALU_DEP_1)
	v_add_f32_e32 v21, v21, v39
	v_add_f32_e32 v21, v38, v21
	s_delay_alu instid0(VALU_DEP_1) | instskip(NEXT) | instid1(VALU_DEP_1)
	v_add_f32_e32 v39, v41, v21
	v_mul_f32_e32 v37, v25, v39
	s_delay_alu instid0(VALU_DEP_1) | instskip(NEXT) | instid1(VALU_DEP_1)
	v_mul_f32_e32 v42, v44, v37
	v_fma_f32 v40, v37, v44, -v42
	s_delay_alu instid0(VALU_DEP_1) | instskip(NEXT) | instid1(VALU_DEP_1)
	v_fmac_f32_e32 v40, v37, v31
	v_dual_add_f32 v38, v42, v40 :: v_dual_sub_f32 v31, v41, v39
	s_delay_alu instid0(VALU_DEP_1) | instskip(NEXT) | instid1(VALU_DEP_2)
	v_dual_sub_f32 v43, v39, v38 :: v_dual_mov_b32 v41, v38
	v_add_f32_e32 v21, v21, v31
	v_add_f32_e32 v31, v45, v37
	s_delay_alu instid0(VALU_DEP_3) | instskip(NEXT) | instid1(VALU_DEP_1)
	v_pk_add_f32 v[38:39], v[38:39], v[42:43] neg_lo:[0,1] neg_hi:[0,1]
	v_pk_add_f32 v[38:39], v[38:39], v[40:41] neg_lo:[0,1] neg_hi:[0,1]
	s_delay_alu instid0(VALU_DEP_1) | instskip(NEXT) | instid1(VALU_DEP_1)
	v_add_f32_e32 v21, v21, v39
	v_add_f32_e32 v21, v38, v21
	v_sub_f32_e32 v38, v31, v45
	s_delay_alu instid0(VALU_DEP_1) | instskip(SKIP_1) | instid1(VALU_DEP_2)
	v_dual_add_f32 v21, v43, v21 :: v_dual_sub_f32 v37, v37, v38
	v_cvt_f32_i32_e32 v38, v3
	v_mul_f32_e32 v21, v25, v21
	s_delay_alu instid0(VALU_DEP_1) | instskip(NEXT) | instid1(VALU_DEP_1)
	v_add_f32_e32 v21, v37, v21
	v_add_f32_e32 v37, v31, v21
	s_delay_alu instid0(VALU_DEP_1) | instskip(NEXT) | instid1(VALU_DEP_1)
	v_mul_f32_e32 v25, v37, v37
	v_dual_fmaak_f32 v40, s18, v25, 0x3ecc95a3 :: v_dual_mul_f32 v39, v37, v25
	s_delay_alu instid0(VALU_DEP_1) | instskip(NEXT) | instid1(VALU_DEP_1)
	v_fmaak_f32 v25, v25, v40, 0x3f2aaada
	v_pk_mul_f32 v[40:41], v[38:39], v[24:25]
	s_delay_alu instid0(VALU_DEP_1) | instskip(SKIP_1) | instid1(VALU_DEP_2)
	v_fma_f32 v42, 0x3f317218, v38, -v40
	v_mov_b32_e32 v44, v40
	v_dual_fmac_f32 v42, 0xb102e308, v38 :: v_dual_sub_f32 v3, v37, v31
	s_delay_alu instid0(VALU_DEP_1) | instskip(SKIP_1) | instid1(VALU_DEP_2)
	v_sub_f32_e32 v3, v21, v3
	v_ldexp_f32 v43, v37, 1
	v_ldexp_f32 v3, v3, 1
	s_delay_alu instid0(VALU_DEP_2) | instskip(NEXT) | instid1(VALU_DEP_1)
	v_pk_add_f32 v[38:39], v[40:41], v[42:43]
	v_dual_sub_f32 v21, v39, v43 :: v_dual_mov_b32 v43, v38
	s_delay_alu instid0(VALU_DEP_1) | instskip(SKIP_1) | instid1(VALU_DEP_2)
	v_dual_mov_b32 v52, v39 :: v_dual_sub_f32 v21, v41, v21
	v_pk_add_f32 v[40:41], v[38:39], v[40:41] neg_lo:[0,1] neg_hi:[0,1]
	v_add_f32_e32 v45, v3, v21
	s_delay_alu instid0(VALU_DEP_1) | instskip(NEXT) | instid1(VALU_DEP_1)
	v_pk_add_f32 v[46:47], v[38:39], v[44:45]
	v_mov_b32_e32 v41, v47
	s_delay_alu instid0(VALU_DEP_1) | instskip(SKIP_1) | instid1(VALU_DEP_2)
	v_pk_add_f32 v[48:49], v[42:43], v[40:41]
	v_pk_add_f32 v[40:41], v[42:43], v[40:41] neg_lo:[0,1] neg_hi:[0,1]
	v_dual_mov_b32 v44, v49 :: v_dual_mov_b32 v41, v49
	s_delay_alu instid0(VALU_DEP_1) | instskip(SKIP_1) | instid1(VALU_DEP_2)
	v_pk_add_f32 v[50:51], v[44:45], v[38:39] neg_lo:[0,1] neg_hi:[0,1]
	v_dual_mov_b32 v48, v47 :: v_dual_mov_b32 v39, v38
	v_dual_mov_b32 v38, v45 :: v_dual_mov_b32 v53, v50
	v_mov_b32_e32 v3, v50
	s_delay_alu instid0(VALU_DEP_2) | instskip(NEXT) | instid1(VALU_DEP_2)
	v_pk_add_f32 v[50:51], v[48:49], v[52:53] neg_lo:[0,1] neg_hi:[0,1]
	v_pk_add_f32 v[42:43], v[46:47], v[2:3] neg_lo:[0,1] neg_hi:[0,1]
	v_mov_b32_e32 v42, v40
	s_delay_alu instid0(VALU_DEP_3) | instskip(NEXT) | instid1(VALU_DEP_1)
	v_pk_add_f32 v[38:39], v[38:39], v[50:51] neg_lo:[0,1] neg_hi:[0,1]
	v_pk_add_f32 v[42:43], v[42:43], v[38:39]
	s_delay_alu instid0(VALU_DEP_1) | instskip(NEXT) | instid1(VALU_DEP_1)
	v_mov_b32_e32 v46, v43
	v_pk_add_f32 v[46:47], v[42:43], v[46:47]
	s_delay_alu instid0(VALU_DEP_1) | instskip(NEXT) | instid1(VALU_DEP_1)
	v_pk_add_f32 v[44:45], v[44:45], v[46:47]
	v_dual_mov_b32 v39, v46 :: v_dual_mov_b32 v43, v44
	s_delay_alu instid0(VALU_DEP_1) | instskip(NEXT) | instid1(VALU_DEP_1)
	v_pk_add_f32 v[48:49], v[42:43], v[40:41] neg_lo:[0,1] neg_hi:[0,1]
	v_sub_f32_e32 v3, v42, v48
	s_delay_alu instid0(VALU_DEP_2) | instskip(NEXT) | instid1(VALU_DEP_2)
	v_pk_add_f32 v[38:39], v[38:39], v[48:49] neg_lo:[0,1] neg_hi:[0,1]
	v_sub_f32_e32 v3, v40, v3
	s_delay_alu instid0(VALU_DEP_1) | instskip(NEXT) | instid1(VALU_DEP_1)
	v_add_f32_e32 v3, v38, v3
	v_add_f32_e32 v3, v3, v39
	s_delay_alu instid0(VALU_DEP_1) | instskip(NEXT) | instid1(VALU_DEP_1)
	v_add_f32_e32 v3, v44, v3
	v_cndmask_b32_e32 v3, 0x7f800000, v3, vcc_lo
	v_cmp_ngt_f32_e32 vcc_lo, -1.0, v30
	s_delay_alu instid0(VALU_DEP_2) | instskip(SKIP_1) | instid1(VALU_DEP_2)
	v_cndmask_b32_e32 v3, 0x7fc00000, v3, vcc_lo
	v_cmp_neq_f32_e32 vcc_lo, -1.0, v30
	v_cndmask_b32_e32 v3, 0xff800000, v3, vcc_lo
	v_cmp_gt_f32_e64 vcc_lo, 0x33800000, |v30|
	s_delay_alu instid0(VALU_DEP_2)
	v_cndmask_b32_e32 v21, v3, v30, vcc_lo
.LBB43_317:                             ;   in Loop: Header=BB43_5 Depth=1
	s_and_not1_saveexec_b32 s27, s27
	s_cbranch_execz .LBB43_323
; %bb.318:                              ;   in Loop: Header=BB43_5 Depth=1
	s_mov_b32 s28, exec_lo
                                        ; implicit-def: $vgpr21
	v_cmpx_nlt_f32_e64 |v4|, 1.0
	s_xor_b32 s28, exec_lo, s28
	s_cbranch_execz .LBB43_320
; %bb.319:                              ;   in Loop: Header=BB43_5 Depth=1
	v_mul_f32_e32 v3, v1, v12
	s_delay_alu instid0(VALU_DEP_1) | instskip(SKIP_1) | instid1(VALU_DEP_2)
	v_mul_f32_e32 v21, 0x4f800000, v3
	v_cmp_gt_f32_e32 vcc_lo, 0xf800000, v3
	v_cndmask_b32_e32 v3, v3, v21, vcc_lo
	s_delay_alu instid0(VALU_DEP_1) | instskip(SKIP_1) | instid1(TRANS32_DEP_1)
	v_sqrt_f32_e32 v21, v3
	v_nop
	v_dual_add_nc_u32 v25, -1, v21 :: v_dual_add_nc_u32 v30, 1, v21
	s_delay_alu instid0(VALU_DEP_1) | instskip(NEXT) | instid1(VALU_DEP_1)
	v_dual_fma_f32 v31, -v25, v21, v3 :: v_dual_fma_f32 v37, -v30, v21, v3
	v_cmp_ge_f32_e64 s5, 0, v31
	s_delay_alu instid0(VALU_DEP_1) | instskip(NEXT) | instid1(VALU_DEP_3)
	v_cndmask_b32_e64 v21, v21, v25, s5
	v_cmp_lt_f32_e64 s5, 0, v37
	s_delay_alu instid0(VALU_DEP_1) | instskip(NEXT) | instid1(VALU_DEP_1)
	v_cndmask_b32_e64 v21, v21, v30, s5
	v_mul_f32_e32 v25, 0x37800000, v21
	s_delay_alu instid0(VALU_DEP_1) | instskip(SKIP_1) | instid1(VALU_DEP_2)
	v_cndmask_b32_e32 v21, v21, v25, vcc_lo
	v_cmp_class_f32_e64 vcc_lo, v3, 0x260
	v_cndmask_b32_e32 v3, v21, v3, vcc_lo
	s_delay_alu instid0(VALU_DEP_1) | instskip(NEXT) | instid1(VALU_DEP_1)
	v_add_f32_e32 v30, v1, v3
	v_add_f32_e32 v39, 1.0, v30
	s_delay_alu instid0(VALU_DEP_1) | instskip(SKIP_2) | instid1(VALU_DEP_2)
	v_cvt_f64_f32_e32 v[40:41], v39
	v_frexp_mant_f32_e32 v21, v39
	v_add_f32_e32 v31, -1.0, v39
	v_cmp_gt_f32_e32 vcc_lo, 0x3f2aaaab, v21
	s_delay_alu instid0(VALU_DEP_2) | instskip(SKIP_1) | instid1(VALU_DEP_2)
	v_mov_b32_e32 v38, v31
	v_frexp_exp_i32_f64_e32 v3, v[40:41]
	v_pk_add_f32 v[40:41], v[30:31], v[38:39] neg_lo:[0,1] neg_hi:[0,1]
	s_delay_alu instid0(VALU_DEP_1) | instskip(NEXT) | instid1(VALU_DEP_3)
	v_add_f32_e32 v31, 1.0, v41
	v_subrev_co_ci_u32_e64 v3, null, 0, v3, vcc_lo
	v_cmp_neq_f32_e32 vcc_lo, 0x7f800000, v30
	s_delay_alu instid0(VALU_DEP_2) | instskip(NEXT) | instid1(VALU_DEP_1)
	v_sub_nc_u32_e32 v21, 0, v3
	v_ldexp_f32 v25, v39, v21
	s_delay_alu instid0(VALU_DEP_1) | instskip(SKIP_1) | instid1(VALU_DEP_1)
	v_dual_add_f32 v31, v40, v31 :: v_dual_add_f32 v43, -1.0, v25
	v_add_f32_e32 v37, 1.0, v25
	v_add_f32_e32 v38, -1.0, v37
	s_delay_alu instid0(VALU_DEP_3) | instskip(NEXT) | instid1(VALU_DEP_2)
	v_ldexp_f32 v21, v31, v21
	v_dual_sub_f32 v31, v25, v38 :: v_dual_add_f32 v38, 1.0, v43
	s_delay_alu instid0(VALU_DEP_1) | instskip(NEXT) | instid1(VALU_DEP_1)
	v_sub_f32_e32 v25, v25, v38
	v_dual_add_f32 v31, v21, v31 :: v_dual_add_f32 v21, v21, v25
	s_delay_alu instid0(VALU_DEP_1) | instskip(NEXT) | instid1(VALU_DEP_1)
	v_dual_add_f32 v39, v43, v21 :: v_dual_add_f32 v44, v37, v31
	v_rcp_f32_e32 v25, v44
	v_nop
	s_delay_alu instid0(TRANS32_DEP_1) | instskip(NEXT) | instid1(VALU_DEP_1)
	v_mul_f32_e32 v45, v39, v25
	v_mul_f32_e32 v40, v44, v45
	s_delay_alu instid0(VALU_DEP_1) | instskip(NEXT) | instid1(VALU_DEP_1)
	v_dual_sub_f32 v37, v44, v37 :: v_dual_fma_f32 v42, v45, v44, -v40
	v_sub_f32_e32 v31, v31, v37
	v_sub_f32_e32 v37, v39, v43
	s_delay_alu instid0(VALU_DEP_2) | instskip(NEXT) | instid1(VALU_DEP_1)
	v_fmac_f32_e32 v42, v45, v31
	v_dual_sub_f32 v21, v21, v37 :: v_dual_add_f32 v38, v40, v42
	s_delay_alu instid0(VALU_DEP_1) | instskip(NEXT) | instid1(VALU_DEP_1)
	v_dual_sub_f32 v41, v39, v38 :: v_dual_mov_b32 v43, v38
	v_pk_add_f32 v[38:39], v[38:39], v[40:41] neg_lo:[0,1] neg_hi:[0,1]
	s_delay_alu instid0(VALU_DEP_1) | instskip(NEXT) | instid1(VALU_DEP_1)
	v_pk_add_f32 v[38:39], v[38:39], v[42:43] neg_lo:[0,1] neg_hi:[0,1]
	v_add_f32_e32 v21, v21, v39
	s_delay_alu instid0(VALU_DEP_1) | instskip(NEXT) | instid1(VALU_DEP_1)
	v_add_f32_e32 v21, v38, v21
	v_add_f32_e32 v39, v41, v21
	s_delay_alu instid0(VALU_DEP_1) | instskip(NEXT) | instid1(VALU_DEP_1)
	v_mul_f32_e32 v37, v25, v39
	v_mul_f32_e32 v42, v44, v37
	s_delay_alu instid0(VALU_DEP_1) | instskip(NEXT) | instid1(VALU_DEP_1)
	v_fma_f32 v40, v37, v44, -v42
	v_fmac_f32_e32 v40, v37, v31
	s_delay_alu instid0(VALU_DEP_1) | instskip(NEXT) | instid1(VALU_DEP_1)
	v_dual_add_f32 v38, v42, v40 :: v_dual_sub_f32 v31, v41, v39
	v_dual_sub_f32 v43, v39, v38 :: v_dual_mov_b32 v41, v38
	s_delay_alu instid0(VALU_DEP_2) | instskip(SKIP_1) | instid1(VALU_DEP_3)
	v_add_f32_e32 v21, v21, v31
	v_add_f32_e32 v31, v45, v37
	v_pk_add_f32 v[38:39], v[38:39], v[42:43] neg_lo:[0,1] neg_hi:[0,1]
	s_delay_alu instid0(VALU_DEP_1) | instskip(NEXT) | instid1(VALU_DEP_1)
	v_pk_add_f32 v[38:39], v[38:39], v[40:41] neg_lo:[0,1] neg_hi:[0,1]
	v_add_f32_e32 v21, v21, v39
	s_delay_alu instid0(VALU_DEP_1) | instskip(SKIP_1) | instid1(VALU_DEP_1)
	v_add_f32_e32 v21, v38, v21
	v_sub_f32_e32 v38, v31, v45
	v_dual_add_f32 v21, v43, v21 :: v_dual_sub_f32 v37, v37, v38
	v_cvt_f32_i32_e32 v38, v3
	s_delay_alu instid0(VALU_DEP_2) | instskip(NEXT) | instid1(VALU_DEP_1)
	v_mul_f32_e32 v21, v25, v21
	v_add_f32_e32 v21, v37, v21
	s_delay_alu instid0(VALU_DEP_1) | instskip(NEXT) | instid1(VALU_DEP_1)
	v_add_f32_e32 v37, v31, v21
	v_mul_f32_e32 v25, v37, v37
	s_delay_alu instid0(VALU_DEP_1) | instskip(NEXT) | instid1(VALU_DEP_1)
	v_dual_fmaak_f32 v40, s18, v25, 0x3ecc95a3 :: v_dual_mul_f32 v39, v37, v25
	v_fmaak_f32 v25, v25, v40, 0x3f2aaada
	s_delay_alu instid0(VALU_DEP_1) | instskip(NEXT) | instid1(VALU_DEP_1)
	v_pk_mul_f32 v[40:41], v[38:39], v[24:25]
	v_fma_f32 v42, 0x3f317218, v38, -v40
	v_mov_b32_e32 v44, v40
	s_delay_alu instid0(VALU_DEP_2) | instskip(NEXT) | instid1(VALU_DEP_1)
	v_dual_fmac_f32 v42, 0xb102e308, v38 :: v_dual_sub_f32 v3, v37, v31
	v_sub_f32_e32 v3, v21, v3
	v_ldexp_f32 v43, v37, 1
	s_delay_alu instid0(VALU_DEP_2) | instskip(NEXT) | instid1(VALU_DEP_2)
	v_ldexp_f32 v3, v3, 1
	v_pk_add_f32 v[38:39], v[40:41], v[42:43]
	s_delay_alu instid0(VALU_DEP_1) | instskip(NEXT) | instid1(VALU_DEP_1)
	v_dual_sub_f32 v21, v39, v43 :: v_dual_mov_b32 v43, v38
	v_dual_mov_b32 v52, v39 :: v_dual_sub_f32 v21, v41, v21
	v_pk_add_f32 v[40:41], v[38:39], v[40:41] neg_lo:[0,1] neg_hi:[0,1]
	s_delay_alu instid0(VALU_DEP_2) | instskip(NEXT) | instid1(VALU_DEP_1)
	v_add_f32_e32 v45, v3, v21
	v_pk_add_f32 v[46:47], v[38:39], v[44:45]
	s_delay_alu instid0(VALU_DEP_1) | instskip(NEXT) | instid1(VALU_DEP_1)
	v_mov_b32_e32 v41, v47
	v_pk_add_f32 v[48:49], v[42:43], v[40:41]
	v_pk_add_f32 v[40:41], v[42:43], v[40:41] neg_lo:[0,1] neg_hi:[0,1]
	s_delay_alu instid0(VALU_DEP_2) | instskip(NEXT) | instid1(VALU_DEP_1)
	v_dual_mov_b32 v44, v49 :: v_dual_mov_b32 v41, v49
	v_pk_add_f32 v[50:51], v[44:45], v[38:39] neg_lo:[0,1] neg_hi:[0,1]
	v_dual_mov_b32 v48, v47 :: v_dual_mov_b32 v39, v38
	s_delay_alu instid0(VALU_DEP_2) | instskip(SKIP_1) | instid1(VALU_DEP_2)
	v_dual_mov_b32 v38, v45 :: v_dual_mov_b32 v53, v50
	v_mov_b32_e32 v3, v50
	v_pk_add_f32 v[50:51], v[48:49], v[52:53] neg_lo:[0,1] neg_hi:[0,1]
	s_delay_alu instid0(VALU_DEP_2) | instskip(SKIP_1) | instid1(VALU_DEP_3)
	v_pk_add_f32 v[42:43], v[46:47], v[2:3] neg_lo:[0,1] neg_hi:[0,1]
	v_mov_b32_e32 v42, v40
	v_pk_add_f32 v[38:39], v[38:39], v[50:51] neg_lo:[0,1] neg_hi:[0,1]
	s_delay_alu instid0(VALU_DEP_1) | instskip(NEXT) | instid1(VALU_DEP_1)
	v_pk_add_f32 v[42:43], v[42:43], v[38:39]
	v_mov_b32_e32 v46, v43
	s_delay_alu instid0(VALU_DEP_1) | instskip(NEXT) | instid1(VALU_DEP_1)
	v_pk_add_f32 v[46:47], v[42:43], v[46:47]
	v_pk_add_f32 v[44:45], v[44:45], v[46:47]
	s_delay_alu instid0(VALU_DEP_1) | instskip(NEXT) | instid1(VALU_DEP_1)
	v_dual_mov_b32 v39, v46 :: v_dual_mov_b32 v43, v44
	v_pk_add_f32 v[48:49], v[42:43], v[40:41] neg_lo:[0,1] neg_hi:[0,1]
	s_delay_alu instid0(VALU_DEP_1) | instskip(NEXT) | instid1(VALU_DEP_2)
	v_sub_f32_e32 v3, v42, v48
	v_pk_add_f32 v[38:39], v[38:39], v[48:49] neg_lo:[0,1] neg_hi:[0,1]
	s_delay_alu instid0(VALU_DEP_2) | instskip(NEXT) | instid1(VALU_DEP_1)
	v_sub_f32_e32 v3, v40, v3
	v_add_f32_e32 v3, v38, v3
	s_delay_alu instid0(VALU_DEP_1) | instskip(NEXT) | instid1(VALU_DEP_1)
	v_add_f32_e32 v3, v3, v39
	v_add_f32_e32 v3, v44, v3
	s_delay_alu instid0(VALU_DEP_1) | instskip(SKIP_1) | instid1(VALU_DEP_2)
	v_cndmask_b32_e32 v3, 0x7f800000, v3, vcc_lo
	v_cmp_ngt_f32_e32 vcc_lo, -1.0, v30
	v_cndmask_b32_e32 v3, 0x7fc00000, v3, vcc_lo
	v_cmp_neq_f32_e32 vcc_lo, -1.0, v30
	s_delay_alu instid0(VALU_DEP_2) | instskip(SKIP_1) | instid1(VALU_DEP_2)
	v_cndmask_b32_e32 v3, 0xff800000, v3, vcc_lo
	v_cmp_gt_f32_e64 vcc_lo, 0x33800000, |v30|
	v_cndmask_b32_e32 v21, v3, v30, vcc_lo
.LBB43_320:                             ;   in Loop: Header=BB43_5 Depth=1
	s_and_not1_saveexec_b32 s28, s28
	s_cbranch_execz .LBB43_322
; %bb.321:                              ;   in Loop: Header=BB43_5 Depth=1
	v_sub_f32_e64 v3, 1.0, |v4|
	s_delay_alu instid0(VALU_DEP_1) | instskip(NEXT) | instid1(VALU_DEP_1)
	v_mul_f32_e32 v3, v3, v12
	v_mul_f32_e32 v21, 0x4f800000, v3
	v_cmp_gt_f32_e32 vcc_lo, 0xf800000, v3
	s_delay_alu instid0(VALU_DEP_2) | instskip(NEXT) | instid1(VALU_DEP_1)
	v_cndmask_b32_e32 v3, v3, v21, vcc_lo
	v_sqrt_f32_e32 v21, v3
	v_nop
	s_delay_alu instid0(TRANS32_DEP_1) | instskip(NEXT) | instid1(VALU_DEP_1)
	v_dual_add_nc_u32 v25, -1, v21 :: v_dual_add_nc_u32 v30, 1, v21
	v_dual_fma_f32 v31, -v25, v21, v3 :: v_dual_fma_f32 v37, -v30, v21, v3
	s_delay_alu instid0(VALU_DEP_1) | instskip(NEXT) | instid1(VALU_DEP_1)
	v_cmp_ge_f32_e64 s5, 0, v31
	v_cndmask_b32_e64 v21, v21, v25, s5
	s_delay_alu instid0(VALU_DEP_3) | instskip(NEXT) | instid1(VALU_DEP_1)
	v_cmp_lt_f32_e64 s5, 0, v37
	v_cndmask_b32_e64 v21, v21, v30, s5
	s_delay_alu instid0(VALU_DEP_1) | instskip(NEXT) | instid1(VALU_DEP_1)
	v_mul_f32_e32 v25, 0x37800000, v21
	v_cndmask_b32_e32 v21, v21, v25, vcc_lo
	v_cmp_class_f32_e64 vcc_lo, v3, 0x260
	v_and_b32_e32 v25, 0x7fffffff, v5
	s_delay_alu instid0(VALU_DEP_3) | instskip(NEXT) | instid1(VALU_DEP_1)
	v_cndmask_b32_e32 v3, v21, v3, vcc_lo
	v_div_scale_f32 v21, null, v3, v3, v25
	v_div_scale_f32 v25, vcc_lo, v25, v3, v25
	s_delay_alu instid0(VALU_DEP_2) | instskip(SKIP_1) | instid1(TRANS32_DEP_1)
	v_rcp_f32_e32 v30, v21
	v_nop
	v_fma_f32 v31, -v21, v30, 1.0
	s_delay_alu instid0(VALU_DEP_1) | instskip(NEXT) | instid1(VALU_DEP_1)
	v_fmac_f32_e32 v30, v31, v30
	v_mul_f32_e32 v31, v25, v30
	s_delay_alu instid0(VALU_DEP_1) | instskip(NEXT) | instid1(VALU_DEP_1)
	v_fma_f32 v37, -v21, v31, v25
	v_fmac_f32_e32 v31, v37, v30
	s_delay_alu instid0(VALU_DEP_1) | instskip(NEXT) | instid1(VALU_DEP_1)
	v_fma_f32 v21, -v21, v31, v25
	v_div_fmas_f32 v21, v21, v30, v31
	s_delay_alu instid0(VALU_DEP_1)
	v_div_fixup_f32 v21, v21, v3, |v5|
.LBB43_322:                             ;   in Loop: Header=BB43_5 Depth=1
	s_or_b32 exec_lo, exec_lo, s28
.LBB43_323:                             ;   in Loop: Header=BB43_5 Depth=1
	s_delay_alu instid0(SALU_CYCLE_1)
	s_or_b32 exec_lo, exec_lo, s27
.LBB43_324:                             ;   in Loop: Header=BB43_5 Depth=1
	s_and_not1_saveexec_b32 s26, s26
	s_cbranch_execz .LBB43_326
; %bb.325:                              ;   in Loop: Header=BB43_5 Depth=1
	v_mul_f32_e64 v3, 0x4f800000, |v5|
	v_cmp_gt_f32_e64 vcc_lo, 0xf800000, |v5|
	s_delay_alu instid0(VALU_DEP_1) | instskip(NEXT) | instid1(VALU_DEP_1)
	v_cndmask_b32_e64 v3, |v5|, v3, vcc_lo
	v_sqrt_f32_e32 v21, v3
	v_nop
	s_delay_alu instid0(TRANS32_DEP_1) | instskip(NEXT) | instid1(VALU_DEP_1)
	v_dual_add_nc_u32 v25, -1, v21 :: v_dual_add_nc_u32 v30, 1, v21
	v_dual_fma_f32 v31, -v25, v21, v3 :: v_dual_fma_f32 v37, -v30, v21, v3
	s_delay_alu instid0(VALU_DEP_1) | instskip(NEXT) | instid1(VALU_DEP_1)
	v_cmp_ge_f32_e64 s5, 0, v31
	v_cndmask_b32_e64 v21, v21, v25, s5
	s_delay_alu instid0(VALU_DEP_3) | instskip(NEXT) | instid1(VALU_DEP_1)
	v_cmp_lt_f32_e64 s5, 0, v37
	v_cndmask_b32_e64 v21, v21, v30, s5
	s_delay_alu instid0(VALU_DEP_1) | instskip(NEXT) | instid1(VALU_DEP_1)
	v_mul_f32_e32 v25, 0x37800000, v21
	v_cndmask_b32_e32 v21, v21, v25, vcc_lo
	v_cmp_class_f32_e64 vcc_lo, v3, 0x260
	s_delay_alu instid0(VALU_DEP_2)
	v_cndmask_b32_e32 v21, v21, v3, vcc_lo
.LBB43_326:                             ;   in Loop: Header=BB43_5 Depth=1
	s_or_b32 exec_lo, exec_lo, s26
.LBB43_327:                             ;   in Loop: Header=BB43_5 Depth=1
	s_delay_alu instid0(SALU_CYCLE_1) | instskip(NEXT) | instid1(SALU_CYCLE_1)
	s_or_b32 exec_lo, exec_lo, s6
	s_mov_b32 s26, exec_lo
                                        ; implicit-def: $sgpr5
                                        ; implicit-def: $vgpr31
                                        ; implicit-def: $vgpr25
	v_cmpx_ngt_f32_e64 0x21000000, |v4|
	s_xor_b32 s26, exec_lo, s26
	s_cbranch_execz .LBB43_351
; %bb.328:                              ;   in Loop: Header=BB43_5 Depth=1
	v_and_b32_e32 v30, 0x7fffffff, v4
	s_mov_b32 s5, 0
	s_mov_b32 s27, exec_lo
	s_delay_alu instid0(VALU_DEP_1) | instskip(NEXT) | instid1(VALU_DEP_1)
	v_div_scale_f32 v3, null, v2, v2, v30
	v_rcp_f32_e32 v25, v3
	v_nop
	s_delay_alu instid0(TRANS32_DEP_1) | instskip(NEXT) | instid1(VALU_DEP_1)
	v_fma_f32 v31, -v3, v25, 1.0
	v_fmac_f32_e32 v25, v31, v25
	v_div_scale_f32 v31, vcc_lo, v30, v2, v30
	s_delay_alu instid0(VALU_DEP_1) | instskip(NEXT) | instid1(VALU_DEP_1)
	v_mul_f32_e32 v37, v31, v25
	v_fma_f32 v38, -v3, v37, v31
	s_delay_alu instid0(VALU_DEP_1) | instskip(NEXT) | instid1(VALU_DEP_1)
	v_fmac_f32_e32 v37, v38, v25
	v_fma_f32 v3, -v3, v37, v31
	s_delay_alu instid0(VALU_DEP_1) | instskip(NEXT) | instid1(VALU_DEP_1)
	v_div_fmas_f32 v3, v3, v25, v37
	v_div_fixup_f32 v25, v3, v2, |v4|
	s_delay_alu instid0(VALU_DEP_1)
	v_cmpx_lt_f32_e32 0x3f244674, v25
	s_cbranch_execz .LBB43_350
; %bb.329:                              ;   in Loop: Header=BB43_5 Depth=1
	v_cmp_neq_f32_e64 s5, |v4|, 1.0
	v_cmp_ngt_f32_e64 s6, 0x30800000, |v5|
	s_or_b32 s5, s5, s6
	s_delay_alu instid0(SALU_CYCLE_1) | instskip(NEXT) | instid1(SALU_CYCLE_1)
	s_and_saveexec_b32 s6, s5
	s_xor_b32 s6, exec_lo, s6
	s_cbranch_execz .LBB43_347
; %bb.330:                              ;   in Loop: Header=BB43_5 Depth=1
	v_mul_f32_e64 v3, 0x34000000, |v1|
	s_mov_b32 s28, exec_lo
	s_delay_alu instid0(VALU_DEP_1)
	v_cmpx_ge_f32_e64 |v5|, v3
	s_xor_b32 s28, exec_lo, s28
	s_cbranch_execz .LBB43_340
; %bb.331:                              ;   in Loop: Header=BB43_5 Depth=1
	v_mov_b32_e32 v3, v35
	s_mov_b32 s5, exec_lo
	v_cmpx_neq_f32_e32 0, v12
	s_cbranch_execz .LBB43_333
; %bb.332:                              ;   in Loop: Header=BB43_5 Depth=1
	v_dual_mul_f32 v3, v5, v5 :: v_dual_add_f32 v12, v12, v36
	s_delay_alu instid0(VALU_DEP_1) | instskip(NEXT) | instid1(VALU_DEP_1)
	v_div_scale_f32 v31, null, v12, v12, v3
	v_rcp_f32_e32 v36, v31
	v_nop
	s_delay_alu instid0(TRANS32_DEP_1) | instskip(NEXT) | instid1(VALU_DEP_1)
	v_fma_f32 v37, -v31, v36, 1.0
	v_fmac_f32_e32 v36, v37, v36
	v_div_scale_f32 v37, vcc_lo, v3, v12, v3
	s_delay_alu instid0(VALU_DEP_1) | instskip(NEXT) | instid1(VALU_DEP_1)
	v_mul_f32_e32 v38, v37, v36
	v_fma_f32 v39, -v31, v38, v37
	s_delay_alu instid0(VALU_DEP_1) | instskip(NEXT) | instid1(VALU_DEP_1)
	v_fmac_f32_e32 v38, v39, v36
	v_fma_f32 v31, -v31, v38, v37
	s_delay_alu instid0(VALU_DEP_1) | instskip(NEXT) | instid1(VALU_DEP_1)
	v_div_fmas_f32 v31, v31, v36, v38
	v_div_fixup_f32 v3, v31, v12, v3
.LBB43_333:                             ;   in Loop: Header=BB43_5 Depth=1
	s_or_b32 exec_lo, exec_lo, s5
	s_delay_alu instid0(SALU_CYCLE_1)
	s_mov_b32 s5, exec_lo
	v_cmpx_ngt_f32_e32 0, v1
	s_xor_b32 s5, exec_lo, s5
	s_cbranch_execz .LBB43_337
; %bb.334:                              ;   in Loop: Header=BB43_5 Depth=1
	s_mov_b32 s29, exec_lo
	v_cmpx_neq_f32_e32 0, v1
	s_cbranch_execz .LBB43_336
; %bb.335:                              ;   in Loop: Header=BB43_5 Depth=1
	v_mul_f32_e32 v5, v5, v5
	v_add_f32_e32 v1, v1, v13
	s_delay_alu instid0(VALU_DEP_1) | instskip(NEXT) | instid1(VALU_DEP_1)
	v_div_scale_f32 v12, null, v1, v1, v5
	v_rcp_f32_e32 v13, v12
	v_nop
	s_delay_alu instid0(TRANS32_DEP_1) | instskip(NEXT) | instid1(VALU_DEP_1)
	v_fma_f32 v31, -v12, v13, 1.0
	v_fmac_f32_e32 v13, v31, v13
	v_div_scale_f32 v31, vcc_lo, v5, v1, v5
	s_delay_alu instid0(VALU_DEP_1) | instskip(NEXT) | instid1(VALU_DEP_1)
	v_mul_f32_e32 v35, v31, v13
	v_fma_f32 v36, -v12, v35, v31
	s_delay_alu instid0(VALU_DEP_1) | instskip(NEXT) | instid1(VALU_DEP_1)
	v_fmac_f32_e32 v35, v36, v13
	v_fma_f32 v12, -v12, v35, v31
	s_delay_alu instid0(VALU_DEP_1) | instskip(NEXT) | instid1(VALU_DEP_1)
	v_div_fmas_f32 v12, v12, v13, v35
	v_div_fixup_f32 v35, v12, v1, v5
.LBB43_336:                             ;   in Loop: Header=BB43_5 Depth=1
	s_or_b32 exec_lo, exec_lo, s29
                                        ; implicit-def: $vgpr13
                                        ; implicit-def: $vgpr1
.LBB43_337:                             ;   in Loop: Header=BB43_5 Depth=1
	s_and_not1_saveexec_b32 s5, s5
; %bb.338:                              ;   in Loop: Header=BB43_5 Depth=1
	v_sub_f32_e32 v35, v13, v1
; %bb.339:                              ;   in Loop: Header=BB43_5 Depth=1
	s_or_b32 exec_lo, exec_lo, s5
	v_mul_f32_e32 v5, 0.5, v3
	s_delay_alu instid0(VALU_DEP_2) | instskip(SKIP_1) | instid1(VALU_DEP_1)
	v_mul_f32_e32 v3, 0.5, v35
	v_and_b32_e32 v4, 0x7fffffff, v4
	v_pk_add_f32 v[2:3], v[4:5], v[2:3]
	s_delay_alu instid0(VALU_DEP_1) | instskip(NEXT) | instid1(VALU_DEP_1)
	v_mul_f32_e32 v1, v2, v3
	v_mul_f32_e32 v2, 0x4f800000, v1
	v_cmp_gt_f32_e32 vcc_lo, 0xf800000, v1
	s_delay_alu instid0(VALU_DEP_2) | instskip(NEXT) | instid1(VALU_DEP_1)
	v_cndmask_b32_e32 v1, v1, v2, vcc_lo
	v_sqrt_f32_e32 v2, v1
	v_nop
	s_delay_alu instid0(TRANS32_DEP_1) | instskip(NEXT) | instid1(VALU_DEP_1)
	v_dual_add_nc_u32 v3, -1, v2 :: v_dual_add_nc_u32 v4, 1, v2
	v_fma_f32 v5, -v3, v2, v1
	s_delay_alu instid0(VALU_DEP_1) | instskip(NEXT) | instid1(VALU_DEP_1)
	v_cmp_ge_f32_e64 s5, 0, v5
	v_dual_fma_f32 v12, -v4, v2, v1 :: v_dual_cndmask_b32 v2, v2, v3, s5
	s_delay_alu instid0(VALU_DEP_1) | instskip(NEXT) | instid1(VALU_DEP_1)
	v_cmp_lt_f32_e64 s5, 0, v12
                                        ; implicit-def: $vgpr12
	v_cndmask_b32_e64 v2, v2, v4, s5
	s_delay_alu instid0(VALU_DEP_1) | instskip(NEXT) | instid1(VALU_DEP_1)
	v_mul_f32_e32 v3, 0x37800000, v2
	v_cndmask_b32_e32 v2, v2, v3, vcc_lo
	v_cmp_class_f32_e64 vcc_lo, v1, 0x260
	s_delay_alu instid0(VALU_DEP_2)
	v_cndmask_b32_e32 v31, v2, v1, vcc_lo
                                        ; implicit-def: $vgpr2_vgpr3_vgpr4_vgpr5
                                        ; implicit-def: $vgpr1
.LBB43_340:                             ;   in Loop: Header=BB43_5 Depth=1
	s_and_not1_saveexec_b32 s28, s28
	s_cbranch_execz .LBB43_346
; %bb.341:                              ;   in Loop: Header=BB43_5 Depth=1
	s_mov_b32 s29, exec_lo
	v_cmpx_ngt_f32_e64 |v4|, 1.0
	s_xor_b32 s29, exec_lo, s29
	s_cbranch_execz .LBB43_343
; %bb.342:                              ;   in Loop: Header=BB43_5 Depth=1
	v_sub_f32_e64 v1, 1.0, |v4|
	s_delay_alu instid0(VALU_DEP_1) | instskip(NEXT) | instid1(VALU_DEP_1)
	v_mul_f32_e32 v1, v1, v12
	v_mul_f32_e32 v2, 0x4f800000, v1
	v_cmp_gt_f32_e32 vcc_lo, 0xf800000, v1
	s_delay_alu instid0(VALU_DEP_2) | instskip(NEXT) | instid1(VALU_DEP_1)
	v_cndmask_b32_e32 v1, v1, v2, vcc_lo
	v_sqrt_f32_e32 v2, v1
	v_nop
	s_delay_alu instid0(TRANS32_DEP_1) | instskip(NEXT) | instid1(VALU_DEP_1)
	v_dual_add_nc_u32 v3, -1, v2 :: v_dual_add_nc_u32 v4, 1, v2
	v_dual_fma_f32 v5, -v3, v2, v1 :: v_dual_fma_f32 v12, -v4, v2, v1
	s_delay_alu instid0(VALU_DEP_1) | instskip(NEXT) | instid1(VALU_DEP_1)
	v_cmp_ge_f32_e64 s5, 0, v5
	v_cndmask_b32_e64 v2, v2, v3, s5
	s_delay_alu instid0(VALU_DEP_3) | instskip(NEXT) | instid1(VALU_DEP_1)
	v_cmp_lt_f32_e64 s5, 0, v12
                                        ; implicit-def: $vgpr12
	v_cndmask_b32_e64 v2, v2, v4, s5
	s_delay_alu instid0(VALU_DEP_1) | instskip(NEXT) | instid1(VALU_DEP_1)
	v_mul_f32_e32 v3, 0x37800000, v2
	v_cndmask_b32_e32 v2, v2, v3, vcc_lo
	v_cmp_class_f32_e64 vcc_lo, v1, 0x260
	s_delay_alu instid0(VALU_DEP_2)
	v_cndmask_b32_e32 v31, v2, v1, vcc_lo
                                        ; implicit-def: $vgpr2_vgpr3_vgpr4_vgpr5
                                        ; implicit-def: $vgpr1
.LBB43_343:                             ;   in Loop: Header=BB43_5 Depth=1
	s_and_not1_saveexec_b32 s29, s29
	s_cbranch_execz .LBB43_345
; %bb.344:                              ;   in Loop: Header=BB43_5 Depth=1
	v_mul_f32_e32 v1, v12, v1
	v_mul_f32_e64 v5, 0x57800000, |v5|
	s_delay_alu instid0(VALU_DEP_2) | instskip(SKIP_1) | instid1(VALU_DEP_2)
	v_mul_f32_e32 v2, 0x4f800000, v1
	v_cmp_gt_f32_e32 vcc_lo, 0xf800000, v1
	v_cndmask_b32_e32 v1, v1, v2, vcc_lo
	s_delay_alu instid0(VALU_DEP_1) | instskip(SKIP_1) | instid1(TRANS32_DEP_1)
	v_sqrt_f32_e32 v2, v1
	v_nop
	v_dual_add_nc_u32 v3, -1, v2 :: v_dual_add_nc_u32 v12, 1, v2
	s_delay_alu instid0(VALU_DEP_1) | instskip(NEXT) | instid1(VALU_DEP_1)
	v_dual_fma_f32 v13, -v3, v2, v1 :: v_dual_fma_f32 v30, -v12, v2, v1
	v_cmp_ge_f32_e64 s5, 0, v13
	s_delay_alu instid0(VALU_DEP_1) | instskip(NEXT) | instid1(VALU_DEP_3)
	v_cndmask_b32_e64 v2, v2, v3, s5
	v_cmp_lt_f32_e64 s5, 0, v30
	s_delay_alu instid0(VALU_DEP_1) | instskip(NEXT) | instid1(VALU_DEP_1)
	v_cndmask_b32_e64 v2, v2, v12, s5
	v_mul_f32_e32 v3, 0x37800000, v2
	s_delay_alu instid0(VALU_DEP_1) | instskip(SKIP_2) | instid1(VALU_DEP_3)
	v_cndmask_b32_e32 v2, v2, v3, vcc_lo
	v_cmp_class_f32_e64 vcc_lo, v1, 0x260
	v_mul_f32_e64 v3, |v4|, v5
	v_cndmask_b32_e32 v1, v2, v1, vcc_lo
	s_delay_alu instid0(VALU_DEP_1) | instskip(SKIP_1) | instid1(VALU_DEP_2)
	v_div_scale_f32 v2, null, v1, v1, v3
	v_div_scale_f32 v13, vcc_lo, v3, v1, v3
	v_rcp_f32_e32 v5, v2
	v_nop
	s_delay_alu instid0(TRANS32_DEP_1) | instskip(NEXT) | instid1(VALU_DEP_1)
	v_fma_f32 v12, -v2, v5, 1.0
	v_fmac_f32_e32 v5, v12, v5
	s_delay_alu instid0(VALU_DEP_1) | instskip(NEXT) | instid1(VALU_DEP_1)
	v_mul_f32_e32 v12, v13, v5
	v_fma_f32 v30, -v2, v12, v13
	s_delay_alu instid0(VALU_DEP_1) | instskip(SKIP_1) | instid1(VALU_DEP_2)
	v_fmac_f32_e32 v12, v30, v5
	v_mul_f32_e64 v30, 0x57800000, |v4|
	v_fma_f32 v2, -v2, v12, v13
	s_delay_alu instid0(VALU_DEP_1) | instskip(NEXT) | instid1(VALU_DEP_1)
	v_div_fmas_f32 v2, v2, v5, v12
	v_div_fixup_f32 v31, v2, v1, v3
.LBB43_345:                             ;   in Loop: Header=BB43_5 Depth=1
	s_or_b32 exec_lo, exec_lo, s29
.LBB43_346:                             ;   in Loop: Header=BB43_5 Depth=1
	s_delay_alu instid0(SALU_CYCLE_1)
	s_or_b32 exec_lo, exec_lo, s28
                                        ; implicit-def: $vgpr2_vgpr3_vgpr4_vgpr5
                                        ; implicit-def: $vgpr2
.LBB43_347:                             ;   in Loop: Header=BB43_5 Depth=1
	s_and_not1_saveexec_b32 s28, s6
	s_cbranch_execz .LBB43_349
; %bb.348:                              ;   in Loop: Header=BB43_5 Depth=1
	v_add_f32_e32 v1, 1.0, v2
	v_mul_f32_e64 v2, 0x4f800000, |v5|
	v_cmp_gt_f32_e64 vcc_lo, 0xf800000, |v5|
	s_delay_alu instid0(VALU_DEP_3) | instskip(NEXT) | instid1(VALU_DEP_2)
	v_mul_f32_e32 v1, 0.5, v1
	v_cndmask_b32_e64 v2, |v5|, v2, vcc_lo
	s_delay_alu instid0(VALU_DEP_2) | instskip(SKIP_1) | instid1(VALU_DEP_1)
	v_mul_f32_e32 v3, 0x4f800000, v1
	v_cmp_gt_f32_e64 s5, 0xf800000, v1
	v_cndmask_b32_e64 v1, v1, v3, s5
	s_delay_alu instid0(VALU_DEP_4) | instskip(SKIP_1) | instid1(TRANS32_DEP_1)
	v_sqrt_f32_e32 v3, v2
	v_nop
	v_add_nc_u32_e32 v13, 1, v3
	s_delay_alu instid0(VALU_DEP_3) | instskip(NEXT) | instid1(VALU_DEP_1)
	v_sqrt_f32_e32 v4, v1
	v_dual_add_nc_u32 v5, -1, v3 :: v_dual_fma_f32 v36, -v13, v3, v2
	s_delay_alu instid0(TRANS32_DEP_1) | instid1(VALU_DEP_1)
	v_dual_fma_f32 v30, -v5, v3, v2 :: v_dual_add_nc_u32 v31, 1, v4
	v_add_nc_u32_e32 v12, -1, v4
	s_delay_alu instid0(VALU_DEP_2) | instskip(NEXT) | instid1(VALU_DEP_2)
	v_cmp_ge_f32_e64 s6, 0, v30
	v_dual_mov_b32 v30, 1.0 :: v_dual_fma_f32 v35, -v12, v4, v1
	s_delay_alu instid0(VALU_DEP_2) | instskip(SKIP_1) | instid1(VALU_DEP_3)
	v_cndmask_b32_e64 v3, v3, v5, s6
	v_fma_f32 v5, -v31, v4, v1
	v_cmp_ge_f32_e64 s6, 0, v35
	s_delay_alu instid0(VALU_DEP_1) | instskip(SKIP_1) | instid1(VALU_DEP_1)
	v_cndmask_b32_e64 v4, v4, v12, s6
	v_cmp_lt_f32_e64 s6, 0, v36
	v_cndmask_b32_e64 v3, v3, v13, s6
	v_cmp_lt_f32_e64 s6, 0, v5
	s_delay_alu instid0(VALU_DEP_1) | instskip(NEXT) | instid1(VALU_DEP_1)
	v_cndmask_b32_e64 v4, v4, v31, s6
	v_mul_f32_e32 v12, 0x37800000, v4
	s_delay_alu instid0(VALU_DEP_1) | instskip(SKIP_1) | instid1(VALU_DEP_1)
	v_cndmask_b32_e64 v4, v4, v12, s5
	v_mul_f32_e32 v5, 0x37800000, v3
	v_cndmask_b32_e32 v3, v3, v5, vcc_lo
	v_cmp_class_f32_e64 vcc_lo, v2, 0x260
	s_delay_alu instid0(VALU_DEP_2) | instskip(SKIP_2) | instid1(VALU_DEP_1)
	v_cndmask_b32_e32 v2, v3, v2, vcc_lo
	v_cmp_class_f32_e64 vcc_lo, v1, 0x260
	v_cndmask_b32_e32 v1, v4, v1, vcc_lo
	v_mul_f32_e32 v31, v2, v1
.LBB43_349:                             ;   in Loop: Header=BB43_5 Depth=1
	s_or_b32 exec_lo, exec_lo, s28
	s_delay_alu instid0(SALU_CYCLE_1)
	s_mov_b32 s5, exec_lo
.LBB43_350:                             ;   in Loop: Header=BB43_5 Depth=1
	s_or_b32 exec_lo, exec_lo, s27
                                        ; implicit-def: $vgpr2_vgpr3_vgpr4_vgpr5
                                        ; implicit-def: $vgpr2
.LBB43_351:                             ;   in Loop: Header=BB43_5 Depth=1
	s_and_not1_saveexec_b32 s6, s26
; %bb.352:                              ;   in Loop: Header=BB43_5 Depth=1
	v_and_b32_e32 v4, 0x7fffffff, v4
	v_mov_b32_e32 v5, v2
	s_or_b32 s5, s5, exec_lo
                                        ; implicit-def: $vgpr25
	s_delay_alu instid0(VALU_DEP_1)
	v_pk_mul_f32 v[30:31], v[4:5], s[16:17] op_sel_hi:[1,0]
; %bb.353:                              ;   in Loop: Header=BB43_5 Depth=1
	s_or_b32 exec_lo, exec_lo, s6
	s_xor_b32 s5, s5, -1
	s_delay_alu instid0(SALU_CYCLE_1) | instskip(NEXT) | instid1(SALU_CYCLE_1)
	s_and_saveexec_b32 s6, s5
	s_xor_b32 s6, exec_lo, s6
	s_cbranch_execz .LBB43_359
; %bb.354:                              ;   in Loop: Header=BB43_5 Depth=1
	s_and_saveexec_b32 s5, s4
	s_delay_alu instid0(SALU_CYCLE_1)
	s_xor_b32 s5, exec_lo, s5
	s_cbranch_execz .LBB43_356
; %bb.355:                              ;   in Loop: Header=BB43_5 Depth=1
	v_fma_f32 v1, |v25|, -0.5, 0.5
	v_mul_f32_e32 v2, v25, v25
	v_cmp_gt_f32_e64 vcc_lo, |v25|, 0.5
	s_delay_alu instid0(VALU_DEP_2) | instskip(NEXT) | instid1(VALU_DEP_1)
	v_cndmask_b32_e32 v1, v2, v1, vcc_lo
	v_sqrt_f32_e32 v3, v1
	v_fmaak_f32 v2, s19, v1, 0x3c5fc5da
	s_delay_alu instid0(VALU_DEP_1) | instskip(NEXT) | instid1(VALU_DEP_1)
	v_fmaak_f32 v2, v1, v2, 0x3d034c3c
	v_fmaak_f32 v2, v1, v2, 0x3d3641b1
	s_delay_alu instid0(VALU_DEP_1) | instskip(NEXT) | instid1(VALU_DEP_1)
	v_fmaak_f32 v2, v1, v2, 0x3d999bc8
	v_fmaak_f32 v2, v1, v2, 0x3e2aaaac
	s_delay_alu instid0(VALU_DEP_1) | instskip(NEXT) | instid1(VALU_DEP_1)
	v_mul_f32_e32 v1, v1, v2
	v_fmac_f32_e32 v25, v25, v1
	s_delay_alu instid0(VALU_DEP_1) | instskip(SKIP_1) | instid1(VALU_DEP_1)
	v_sub_f32_e32 v2, 0x3fc90fdb, v25
	v_fmac_f32_e32 v3, v3, v1
                                        ; implicit-def: $vgpr25
	v_add_f32_e32 v1, v3, v3
	s_delay_alu instid0(VALU_DEP_1)
	v_cndmask_b32_e32 v12, v2, v1, vcc_lo
.LBB43_356:                             ;   in Loop: Header=BB43_5 Depth=1
	s_and_not1_saveexec_b32 s26, s5
	s_cbranch_execz .LBB43_358
; %bb.357:                              ;   in Loop: Header=BB43_5 Depth=1
	v_fma_f32 v1, |v25|, -0.5, 0.5
	v_mul_f32_e32 v2, v25, v25
	v_cmp_gt_f32_e64 vcc_lo, |v25|, 0.5
	v_cmp_lt_f32_e64 s5, 0, v25
	s_delay_alu instid0(VALU_DEP_3) | instskip(NEXT) | instid1(VALU_DEP_1)
	v_cndmask_b32_e32 v1, v2, v1, vcc_lo
	v_sqrt_f32_e32 v3, v1
	v_fmaak_f32 v2, s19, v1, 0x3c5fc5da
	s_delay_alu instid0(VALU_DEP_1) | instskip(NEXT) | instid1(VALU_DEP_1)
	v_fmaak_f32 v2, v1, v2, 0x3d034c3c
	v_fmaak_f32 v2, v1, v2, 0x3d3641b1
	s_delay_alu instid0(VALU_DEP_1) | instskip(NEXT) | instid1(VALU_DEP_1)
	v_fmaak_f32 v2, v1, v2, 0x3d999bc8
	v_fmaak_f32 v2, v1, v2, 0x3e2aaaac
	s_delay_alu instid0(VALU_DEP_1) | instskip(NEXT) | instid1(VALU_DEP_1)
	v_mul_f32_e32 v1, v1, v2
	v_fmac_f32_e32 v3, v3, v1
	s_delay_alu instid0(VALU_DEP_1) | instskip(NEXT) | instid1(VALU_DEP_1)
	v_add_f32_e32 v2, v3, v3
	v_sub_f32_e32 v3, 0x40490fdb, v2
	s_delay_alu instid0(VALU_DEP_1) | instskip(NEXT) | instid1(VALU_DEP_1)
	v_dual_cndmask_b32 v2, v2, v3, s5 :: v_dual_fma_f32 v1, -v25, v1, -v25
	v_sub_f32_e32 v1, 0x3fc90fdb, v1
	s_delay_alu instid0(VALU_DEP_1)
	v_cndmask_b32_e32 v12, v1, v2, vcc_lo
.LBB43_358:                             ;   in Loop: Header=BB43_5 Depth=1
	s_or_b32 exec_lo, exec_lo, s26
                                        ; implicit-def: $vgpr30
.LBB43_359:                             ;   in Loop: Header=BB43_5 Depth=1
	s_and_not1_saveexec_b32 s5, s6
	s_cbranch_execz .LBB43_365
; %bb.360:                              ;   in Loop: Header=BB43_5 Depth=1
	v_max_num_f32_e64 v1, |v31|, |v31|
	v_max_num_f32_e32 v2, v30, v30
	v_cmp_gt_f32_e64 vcc_lo, |v31|, v30
	s_delay_alu instid0(VALU_DEP_2) | instskip(NEXT) | instid1(VALU_DEP_1)
	v_dual_max_num_f32 v3, v2, v1 :: v_dual_min_num_f32 v1, v2, v1
	v_frexp_mant_f32_e32 v4, v3
	v_frexp_exp_i32_f32_e32 v3, v3
	s_delay_alu instid0(VALU_DEP_2)
	v_rcp_f32_e32 v2, v4
	v_nop
	v_frexp_mant_f32_e32 v4, v1
	v_frexp_exp_i32_f32_e32 v1, v1
	s_delay_alu instid0(TRANS32_DEP_1) | instid1(VALU_DEP_1)
	v_dual_mul_f32 v2, v4, v2 :: v_dual_sub_nc_u32 v1, v1, v3
	s_delay_alu instid0(VALU_DEP_1) | instskip(NEXT) | instid1(VALU_DEP_1)
	v_ldexp_f32 v1, v2, v1
	v_mul_f32_e32 v2, v1, v1
	s_delay_alu instid0(VALU_DEP_1) | instskip(NEXT) | instid1(VALU_DEP_1)
	v_fmaak_f32 v3, s20, v2, 0xbc7a590c
	v_fmaak_f32 v3, v2, v3, 0x3d29fb3f
	s_delay_alu instid0(VALU_DEP_1) | instskip(NEXT) | instid1(VALU_DEP_1)
	v_fmaak_f32 v3, v2, v3, 0xbd97d4d7
	v_fmaak_f32 v3, v2, v3, 0x3dd931b2
	s_delay_alu instid0(VALU_DEP_1) | instskip(NEXT) | instid1(VALU_DEP_1)
	v_fmaak_f32 v3, v2, v3, 0xbe1160e6
	v_fmaak_f32 v3, v2, v3, 0x3e4cb8bf
	s_delay_alu instid0(VALU_DEP_1) | instskip(NEXT) | instid1(VALU_DEP_1)
	v_fmaak_f32 v3, v2, v3, 0xbeaaaa62
	v_mul_f32_e32 v2, v2, v3
	s_delay_alu instid0(VALU_DEP_1) | instskip(NEXT) | instid1(VALU_DEP_1)
	v_fmac_f32_e32 v1, v1, v2
	v_sub_f32_e32 v2, 0x3fc90fdb, v1
	s_delay_alu instid0(VALU_DEP_1) | instskip(SKIP_1) | instid1(SALU_CYCLE_1)
	v_cndmask_b32_e32 v1, v1, v2, vcc_lo
	s_and_saveexec_b32 s6, s4
	s_xor_b32 s6, exec_lo, s6
	s_cbranch_execz .LBB43_362
; %bb.361:                              ;   in Loop: Header=BB43_5 Depth=1
	v_cmp_neq_f32_e64 s4, 0, v31
	v_cmp_eq_f32_e32 vcc_lo, 0x7f800000, v30
	v_cmp_class_f32_e64 s26, v31, 0x204
	s_delay_alu instid0(VALU_DEP_3) | instskip(SKIP_2) | instid1(VALU_DEP_2)
	v_cndmask_b32_e64 v1, 0, v1, s4
	s_and_b32 s4, vcc_lo, s26
	v_cmp_o_f32_e32 vcc_lo, v31, v31
	v_cndmask_b32_e64 v1, v1, 0x3f490fdb, s4
	s_delay_alu instid0(VALU_DEP_1) | instskip(NEXT) | instid1(VALU_DEP_1)
	v_cndmask_b32_e32 v1, 0x7fc00000, v1, vcc_lo
	v_bfi_b32 v12, 0x7fffffff, v1, v31
                                        ; implicit-def: $vgpr1
                                        ; implicit-def: $vgpr30
.LBB43_362:                             ;   in Loop: Header=BB43_5 Depth=1
	s_and_not1_saveexec_b32 s6, s6
	s_cbranch_execz .LBB43_364
; %bb.363:                              ;   in Loop: Header=BB43_5 Depth=1
	v_sub_f32_e32 v2, 0x40490fdb, v1
	v_cmp_lt_f32_e32 vcc_lo, 0, v30
	v_cmp_neq_f32_e64 s4, 0, v31
	v_cmp_class_f32_e64 s26, v31, 0x204
	s_delay_alu instid0(VALU_DEP_4) | instskip(SKIP_1) | instid1(VALU_DEP_2)
	v_cndmask_b32_e32 v1, v1, v2, vcc_lo
	v_cmp_eq_f32_e32 vcc_lo, 0x7f800000, v30
	v_cndmask_b32_e64 v1, 0x40490fdb, v1, s4
	s_and_b32 s4, vcc_lo, s26
	v_cmp_o_f32_e32 vcc_lo, v31, v31
	s_delay_alu instid0(VALU_DEP_2) | instskip(NEXT) | instid1(VALU_DEP_1)
	v_cndmask_b32_e64 v1, v1, 0x4016cbe4, s4
	v_cndmask_b32_e32 v1, 0x7fc00000, v1, vcc_lo
	s_delay_alu instid0(VALU_DEP_1)
	v_bfi_b32 v12, 0x7fffffff, v1, v31
.LBB43_364:                             ;   in Loop: Header=BB43_5 Depth=1
	s_or_b32 exec_lo, exec_lo, s6
.LBB43_365:                             ;   in Loop: Header=BB43_5 Depth=1
	s_delay_alu instid0(SALU_CYCLE_1)
	s_or_b32 exec_lo, exec_lo, s5
	v_cndmask_b32_e64 v13, -v21, v21, s2
                                        ; implicit-def: $vgpr2_vgpr3_vgpr4_vgpr5
.LBB43_366:                             ;   in Loop: Header=BB43_5 Depth=1
	s_and_not1_saveexec_b32 s4, s25
	s_cbranch_execz .LBB43_368
; %bb.367:                              ;   in Loop: Header=BB43_5 Depth=1
	s_wait_dscnt 0x0
	flat_load_b32 v1, v[16:17] scope:SCOPE_SYS
	s_wait_loadcnt_dscnt 0x0
	v_sub_f32_e32 v1, v1, v4
	s_delay_alu instid0(VALU_DEP_1)
	v_add_f32_e32 v12, 0x3fc90fdb, v1
.LBB43_368:                             ;   in Loop: Header=BB43_5 Depth=1
	s_or_b32 exec_lo, exec_lo, s4
.LBB43_369:                             ;   in Loop: Header=BB43_5 Depth=1
	s_and_not1_saveexec_b32 s4, s24
; %bb.370:                              ;   in Loop: Header=BB43_5 Depth=1
	v_mov_b32_e32 v12, 0
; %bb.371:                              ;   in Loop: Header=BB43_5 Depth=1
	s_or_b32 exec_lo, exec_lo, s4
                                        ; implicit-def: $vgpr2_vgpr3_vgpr4_vgpr5
                                        ; implicit-def: $vgpr1
                                        ; implicit-def: $vgpr3
                                        ; implicit-def: $vgpr2
.LBB43_372:                             ;   in Loop: Header=BB43_5 Depth=1
	s_and_not1_saveexec_b32 s6, s23
	s_cbranch_execz .LBB43_382
; %bb.373:                              ;   in Loop: Header=BB43_5 Depth=1
	v_cmp_lt_f32_e64 s4, |v4|, |v5|
                                        ; implicit-def: $vgpr13
                                        ; implicit-def: $vgpr12
	s_mov_b32 s5, exec_lo
	v_cndmask_b32_e64 v21, |v4|, |v5|, s4
	s_delay_alu instid0(VALU_DEP_1)
	v_cmpx_nlt_f32_e32 0x7effffff, v21
	s_xor_b32 s23, exec_lo, s5
	s_cbranch_execz .LBB43_379
; %bb.374:                              ;   in Loop: Header=BB43_5 Depth=1
	v_cndmask_b32_e64 v25, |v5|, |v4|, s4
	v_cmp_nlt_f32_e32 vcc_lo, 0x5e000000, v21
                                        ; implicit-def: $vgpr13
                                        ; implicit-def: $vgpr12
	s_delay_alu instid0(VALU_DEP_2) | instskip(SKIP_1) | instid1(SALU_CYCLE_1)
	v_cmp_ngt_f32_e64 s5, 0x20000000, v25
	s_and_b32 s5, vcc_lo, s5
	s_and_saveexec_b32 s24, s5
	s_delay_alu instid0(SALU_CYCLE_1)
	s_xor_b32 s24, exec_lo, s24
	s_cbranch_execz .LBB43_376
; %bb.375:                              ;   in Loop: Header=BB43_5 Depth=1
	s_wait_dscnt 0x0
	v_frexp_mant_f32_e32 v12, v1
	v_dual_min_num_f32 v2, v3, v2 :: v_dual_mul_f32 v13, v25, v25
	v_frexp_exp_i32_f32_e32 v1, v1
	s_delay_alu instid0(VALU_DEP_3) | instskip(SKIP_1) | instid1(VALU_DEP_3)
	v_rcp_f32_e32 v3, v12
	v_nop
	v_frexp_exp_i32_f32_e32 v12, v2
	v_frexp_mant_f32_e32 v2, v2
	s_delay_alu instid0(TRANS32_DEP_1) | instid1(VALU_DEP_1)
	v_dual_mul_f32 v2, v2, v3 :: v_dual_sub_nc_u32 v1, v12, v1
	s_delay_alu instid0(VALU_DEP_1) | instskip(NEXT) | instid1(VALU_DEP_1)
	v_ldexp_f32 v12, v2, v1
	v_dual_fmac_f32 v13, v21, v21 :: v_dual_mul_f32 v2, v12, v12
	s_delay_alu instid0(VALU_DEP_1) | instskip(NEXT) | instid1(VALU_DEP_2)
	v_cmp_gt_f32_e32 vcc_lo, 0x800000, v13
	v_fmaak_f32 v3, s20, v2, 0xbc7a590c
	v_cndmask_b32_e64 v1, 0, 32, vcc_lo
	s_delay_alu instid0(VALU_DEP_2) | instskip(NEXT) | instid1(VALU_DEP_2)
	v_fmaak_f32 v3, v2, v3, 0x3d29fb3f
	v_ldexp_f32 v1, v13, v1
	s_delay_alu instid0(VALU_DEP_2) | instskip(NEXT) | instid1(VALU_DEP_2)
	v_fmaak_f32 v3, v2, v3, 0xbd97d4d7
	v_log_f32_e32 v1, v1
	s_delay_alu instid0(VALU_DEP_1) | instskip(NEXT) | instid1(TRANS32_DEP_1)
	v_fmaak_f32 v3, v2, v3, 0x3dd931b2
	v_cmp_gt_f32_e64 s5, 0x7f800000, |v1|
	s_delay_alu instid0(VALU_DEP_2) | instskip(NEXT) | instid1(VALU_DEP_1)
	v_fmaak_f32 v3, v2, v3, 0xbe1160e6
	v_fmaak_f32 v3, v2, v3, 0x3e4cb8bf
	s_delay_alu instid0(VALU_DEP_1) | instskip(NEXT) | instid1(VALU_DEP_1)
	v_fmaak_f32 v3, v2, v3, 0xbeaaaa62
	v_dual_mul_f32 v13, 0x3f317217, v1 :: v_dual_mul_f32 v2, v2, v3
	s_delay_alu instid0(VALU_DEP_1) | instskip(NEXT) | instid1(VALU_DEP_1)
	v_fma_f32 v13, 0x3f317217, v1, -v13
                                        ; implicit-def: $vgpr3
	v_dual_fmac_f32 v12, v12, v2 :: v_dual_fmac_f32 v13, 0x3377d1cf, v1
                                        ; implicit-def: $vgpr2
	s_delay_alu instid0(VALU_DEP_1) | instskip(NEXT) | instid1(VALU_DEP_1)
	v_fmac_f32_e32 v13, 0x3f317217, v1
	v_cndmask_b32_e64 v1, v1, v13, s5
	v_cndmask_b32_e64 v13, 0, 0x41b17218, vcc_lo
	s_delay_alu instid0(VALU_DEP_1) | instskip(NEXT) | instid1(VALU_DEP_1)
	v_sub_f32_e32 v1, v1, v13
	v_mul_f32_e32 v13, 0.5, v1
                                        ; implicit-def: $vgpr1
.LBB43_376:                             ;   in Loop: Header=BB43_5 Depth=1
	s_and_not1_saveexec_b32 s5, s24
	s_cbranch_execz .LBB43_378
; %bb.377:                              ;   in Loop: Header=BB43_5 Depth=1
	s_wait_dscnt 0x0
	v_cvt_f64_f32_e32 v[12:13], v1
	v_frexp_mant_f32_e32 v25, v1
	v_cmp_neq_f32_e32 vcc_lo, 0x7f800000, v1
	s_delay_alu instid0(VALU_DEP_3) | instskip(NEXT) | instid1(VALU_DEP_1)
	v_frexp_exp_i32_f64_e32 v12, v[12:13]
	v_sub_nc_u32_e32 v13, 0, v12
	s_delay_alu instid0(VALU_DEP_1) | instskip(NEXT) | instid1(VALU_DEP_1)
	v_ldexp_f32 v21, |v5|, v13
	v_mul_f32_e32 v21, v21, v21
	v_ldexp_f32 v13, |v4|, v13
	v_min_num_f32_e32 v2, v3, v2
	v_frexp_exp_i32_f32_e32 v3, v1
	s_delay_alu instid0(VALU_DEP_3)
	v_fmac_f32_e32 v21, v13, v13
	v_rcp_f32_e32 v13, v25
	v_nop
	v_frexp_exp_i32_f32_e32 v25, v2
	v_frexp_mant_f32_e32 v2, v2
	v_sqrt_f32_e32 v21, v21
	s_delay_alu instid0(TRANS32_DEP_2) | instid1(VALU_DEP_1)
	v_dual_mul_f32 v2, v2, v13 :: v_dual_sub_nc_u32 v3, v25, v3
	s_delay_alu instid0(TRANS32_DEP_1) | instskip(NEXT) | instid1(VALU_DEP_2)
	v_ldexp_f32 v13, v21, v12
	v_ldexp_f32 v12, v2, v3
	s_delay_alu instid0(VALU_DEP_1) | instskip(NEXT) | instid1(VALU_DEP_1)
	v_dual_cndmask_b32 v1, 0x7f800000, v13 :: v_dual_mul_f32 v2, v12, v12
	v_cmp_gt_f32_e32 vcc_lo, 0x800000, v1
	s_delay_alu instid0(VALU_DEP_2) | instskip(SKIP_2) | instid1(VALU_DEP_2)
	v_fmaak_f32 v13, s20, v2, 0xbc7a590c
	v_cndmask_b32_e64 v3, 0, 32, vcc_lo
	v_cndmask_b32_e64 v21, 0, 0x41b17218, vcc_lo
	v_ldexp_f32 v1, v1, v3
	s_delay_alu instid0(VALU_DEP_4) | instskip(NEXT) | instid1(VALU_DEP_2)
	v_fmaak_f32 v3, v2, v13, 0x3d29fb3f
	v_log_f32_e32 v1, v1
	s_delay_alu instid0(VALU_DEP_1) | instskip(NEXT) | instid1(VALU_DEP_1)
	v_fmaak_f32 v3, v2, v3, 0xbd97d4d7
	v_fmaak_f32 v3, v2, v3, 0x3dd931b2
	s_delay_alu instid0(TRANS32_DEP_1) | instskip(SKIP_1) | instid1(VALU_DEP_3)
	v_mul_f32_e32 v13, 0x3f317217, v1
	v_cmp_gt_f32_e64 vcc_lo, 0x7f800000, |v1|
	v_fmaak_f32 v3, v2, v3, 0xbe1160e6
	s_delay_alu instid0(VALU_DEP_3) | instskip(NEXT) | instid1(VALU_DEP_2)
	v_fma_f32 v13, 0x3f317217, v1, -v13
	v_fmaak_f32 v3, v2, v3, 0x3e4cb8bf
	s_delay_alu instid0(VALU_DEP_2) | instskip(NEXT) | instid1(VALU_DEP_2)
	v_fmac_f32_e32 v13, 0x3377d1cf, v1
	v_fmaak_f32 v3, v2, v3, 0xbeaaaa62
	s_delay_alu instid0(VALU_DEP_1) | instskip(NEXT) | instid1(VALU_DEP_1)
	v_dual_fmac_f32 v13, 0x3f317217, v1 :: v_dual_mul_f32 v2, v2, v3
	v_dual_cndmask_b32 v1, v1, v13 :: v_dual_fmac_f32 v12, v12, v2
	s_delay_alu instid0(VALU_DEP_1)
	v_sub_f32_e32 v13, v1, v21
.LBB43_378:                             ;   in Loop: Header=BB43_5 Depth=1
	s_or_b32 exec_lo, exec_lo, s5
                                        ; implicit-def: $vgpr3
                                        ; implicit-def: $vgpr2
                                        ; implicit-def: $vgpr1
.LBB43_379:                             ;   in Loop: Header=BB43_5 Depth=1
	s_and_not1_saveexec_b32 s23, s23
	s_cbranch_execz .LBB43_381
; %bb.380:                              ;   in Loop: Header=BB43_5 Depth=1
	v_div_scale_f32 v12, null, 0x402df854, 0x402df854, v4
	v_div_scale_f32 v13, null, 0x402df854, 0x402df854, v5
	v_div_scale_f32 v35, vcc_lo, v4, 0x402df854, v4
	s_delay_alu instid0(VALU_DEP_3) | instskip(NEXT) | instid1(VALU_DEP_2)
	v_rcp_f32_e32 v21, v12
	v_rcp_f32_e32 v25, v13
	v_min_num_f32_e32 v2, v3, v2
	s_delay_alu instid0(TRANS32_DEP_2) | instskip(NEXT) | instid1(TRANS32_DEP_1)
	v_fma_f32 v30, -v12, v21, 1.0
	v_fma_f32 v31, -v13, v25, 1.0
	s_delay_alu instid0(VALU_DEP_2) | instskip(SKIP_1) | instid1(VALU_DEP_3)
	v_fmac_f32_e32 v21, v30, v21
	v_div_scale_f32 v30, s5, v5, 0x402df854, v5
	v_fmac_f32_e32 v25, v31, v25
	s_delay_alu instid0(VALU_DEP_1) | instskip(NEXT) | instid1(VALU_DEP_1)
	v_mul_f32_e32 v36, v30, v25
	v_fma_f32 v38, -v13, v36, v30
	s_delay_alu instid0(VALU_DEP_1) | instskip(NEXT) | instid1(VALU_DEP_1)
	v_fmac_f32_e32 v36, v38, v25
	v_dual_mul_f32 v31, v35, v21 :: v_dual_fma_f32 v13, -v13, v36, v30
	s_delay_alu instid0(VALU_DEP_1) | instskip(NEXT) | instid1(VALU_DEP_1)
	v_fma_f32 v37, -v12, v31, v35
	v_fmac_f32_e32 v31, v37, v21
	s_delay_alu instid0(VALU_DEP_1) | instskip(NEXT) | instid1(VALU_DEP_1)
	v_fma_f32 v12, -v12, v31, v35
	v_div_fmas_f32 v12, v12, v21, v31
	s_mov_b32 vcc_lo, s5
	v_div_fmas_f32 v13, v13, v25, v36
	s_delay_alu instid0(VALU_DEP_2) | instskip(NEXT) | instid1(VALU_DEP_2)
	v_div_fixup_f32 v21, v12, 0x402df854, v4
	v_div_fixup_f32 v25, v13, 0x402df854, v5
	s_delay_alu instid0(VALU_DEP_1) | instskip(NEXT) | instid1(VALU_DEP_1)
	v_max_num_f32_e64 v30, |v21|, |v25|
	v_cvt_f64_f32_e32 v[12:13], v30
	v_cmp_neq_f32_e32 vcc_lo, 0x7f800000, v30
	s_delay_alu instid0(VALU_DEP_2) | instskip(NEXT) | instid1(VALU_DEP_1)
	v_frexp_exp_i32_f64_e32 v12, v[12:13]
	v_sub_nc_u32_e32 v13, 0, v12
	s_delay_alu instid0(VALU_DEP_1) | instskip(SKIP_1) | instid1(VALU_DEP_2)
	v_ldexp_f32 v25, |v25|, v13
	v_ldexp_f32 v13, |v21|, v13
	v_mul_f32_e32 v21, v25, v25
	s_delay_alu instid0(VALU_DEP_1) | instskip(SKIP_3) | instid1(VALU_DEP_3)
	v_fmac_f32_e32 v21, v13, v13
	s_wait_dscnt 0x0
	v_frexp_mant_f32_e32 v13, v1
	v_frexp_exp_i32_f32_e32 v1, v1
	v_sqrt_f32_e32 v3, v21
	s_delay_alu instid0(VALU_DEP_2) | instskip(SKIP_2) | instid1(TRANS32_DEP_2)
	v_rcp_f32_e32 v13, v13
	v_frexp_exp_i32_f32_e32 v21, v2
	v_frexp_mant_f32_e32 v2, v2
	v_ldexp_f32 v3, v3, v12
	s_delay_alu instid0(VALU_DEP_3)
	v_sub_nc_u32_e32 v1, v21, v1
	s_delay_alu instid0(TRANS32_DEP_1) | instid1(VALU_DEP_2)
	v_dual_mul_f32 v2, v2, v13 :: v_dual_cndmask_b32 v3, 0x7f800000, v3
	s_delay_alu instid0(VALU_DEP_1) | instskip(NEXT) | instid1(VALU_DEP_2)
	v_ldexp_f32 v12, v2, v1
	v_cmp_gt_f32_e32 vcc_lo, 0x800000, v3
	s_delay_alu instid0(VALU_DEP_2) | instskip(SKIP_2) | instid1(VALU_DEP_2)
	v_mul_f32_e32 v2, v12, v12
	v_cndmask_b32_e64 v1, 0, 32, vcc_lo
	v_cndmask_b32_e64 v21, 0, 0x41b17218, vcc_lo
	v_ldexp_f32 v1, v3, v1
	s_delay_alu instid0(VALU_DEP_4) | instskip(NEXT) | instid1(VALU_DEP_2)
	v_fmaak_f32 v3, s20, v2, 0xbc7a590c
	v_log_f32_e32 v1, v1
	s_delay_alu instid0(VALU_DEP_1) | instskip(NEXT) | instid1(VALU_DEP_1)
	v_fmaak_f32 v3, v2, v3, 0x3d29fb3f
	v_fmaak_f32 v3, v2, v3, 0xbd97d4d7
	s_delay_alu instid0(TRANS32_DEP_1) | instskip(NEXT) | instid1(VALU_DEP_2)
	v_cmp_gt_f32_e64 vcc_lo, 0x7f800000, |v1|
	v_fmaak_f32 v3, v2, v3, 0x3dd931b2
	s_delay_alu instid0(VALU_DEP_1) | instskip(NEXT) | instid1(VALU_DEP_1)
	v_fmaak_f32 v3, v2, v3, 0xbe1160e6
	v_fmaak_f32 v3, v2, v3, 0x3e4cb8bf
	s_delay_alu instid0(VALU_DEP_1) | instskip(NEXT) | instid1(VALU_DEP_1)
	v_fmaak_f32 v3, v2, v3, 0xbeaaaa62
	v_dual_mul_f32 v13, 0x3f317217, v1 :: v_dual_mul_f32 v2, v2, v3
	s_delay_alu instid0(VALU_DEP_1) | instskip(NEXT) | instid1(VALU_DEP_1)
	v_fma_f32 v13, 0x3f317217, v1, -v13
	v_dual_fmac_f32 v12, v12, v2 :: v_dual_fmac_f32 v13, 0x3377d1cf, v1
	s_delay_alu instid0(VALU_DEP_1) | instskip(NEXT) | instid1(VALU_DEP_1)
	v_fmac_f32_e32 v13, 0x3f317217, v1
	v_cndmask_b32_e32 v1, v1, v13, vcc_lo
	s_delay_alu instid0(VALU_DEP_1) | instskip(NEXT) | instid1(VALU_DEP_1)
	v_sub_f32_e32 v1, v1, v21
	v_add_f32_e32 v13, 1.0, v1
.LBB43_381:                             ;   in Loop: Header=BB43_5 Depth=1
	s_or_b32 exec_lo, exec_lo, s23
	s_wait_dscnt 0x0
	v_sub_f32_e32 v1, 0x3fc90fdb, v12
	v_cmp_gt_f32_e32 vcc_lo, 0, v4
	v_cndmask_b32_e64 v3, 0, 0x40490fdb, s3
	v_cmp_class_f32_e64 s3, v4, 0x204
	s_delay_alu instid0(VALU_DEP_4) | instskip(SKIP_1) | instid1(VALU_DEP_2)
	v_cndmask_b32_e64 v1, v12, v1, s4
	v_cmp_class_f32_e64 s4, v5, 0x204
	v_sub_f32_e32 v2, 0x40490fdb, v1
	s_delay_alu instid0(VALU_DEP_1) | instskip(SKIP_2) | instid1(VALU_DEP_3)
	v_cndmask_b32_e32 v1, v1, v2, vcc_lo
	v_cndmask_b32_e32 v2, 0x3f490fdb, v34, vcc_lo
	v_cmp_eq_f32_e32 vcc_lo, 0, v5
	v_cndmask_b32_e64 v1, |v1|, v3, vcc_lo
	s_and_b32 vcc_lo, s3, s4
	s_delay_alu instid0(VALU_DEP_1) | instskip(NEXT) | instid1(VALU_DEP_1)
	v_dual_add_f32 v3, 0x3f317218, v13 :: v_dual_cndmask_b32 v12, v1, v2
	v_cndmask_b32_e64 v13, -v3, v3, s2
.LBB43_382:                             ;   in Loop: Header=BB43_5 Depth=1
	s_or_b32 exec_lo, exec_lo, s6
                                        ; implicit-def: $vgpr2_vgpr3_vgpr4_vgpr5
.LBB43_383:                             ;   in Loop: Header=BB43_5 Depth=1
	s_and_not1_saveexec_b32 s2, s22
	s_cbranch_execz .LBB43_4
; %bb.384:                              ;   in Loop: Header=BB43_5 Depth=1
	v_cmp_neq_f32_e64 s3, 0x7f800000, |v4|
	s_and_saveexec_b32 s4, s3
	s_delay_alu instid0(SALU_CYCLE_1)
	s_xor_b32 s3, exec_lo, s4
	s_cbranch_execz .LBB43_394
; %bb.385:                              ;   in Loop: Header=BB43_5 Depth=1
	v_cmp_neq_f32_e64 s4, 0x7f800000, |v5|
	v_xor_b32_e32 v13, 0x80000000, v5
	s_and_saveexec_b32 s5, s4
	s_delay_alu instid0(SALU_CYCLE_1)
	s_xor_b32 s4, exec_lo, s5
	s_cbranch_execz .LBB43_391
; %bb.386:                              ;   in Loop: Header=BB43_5 Depth=1
	s_mov_b32 s5, exec_lo
	v_cmpx_neq_f32_e32 0, v4
	s_xor_b32 s5, exec_lo, s5
	s_cbranch_execz .LBB43_388
; %bb.387:                              ;   in Loop: Header=BB43_5 Depth=1
	s_wait_dscnt 0x0
	v_add_f32_e32 v1, 0, v5
	s_delay_alu instid0(VALU_DEP_1)
	v_add_f32_e32 v13, v4, v1
                                        ; implicit-def: $vgpr2_vgpr3_vgpr4_vgpr5
.LBB43_388:                             ;   in Loop: Header=BB43_5 Depth=1
	s_or_saveexec_b32 s5, s5
	s_delay_alu instid0(VALU_DEP_1)
	v_mov_b32_e32 v12, v13
	s_xor_b32 exec_lo, exec_lo, s5
	s_cbranch_execz .LBB43_390
; %bb.389:                              ;   in Loop: Header=BB43_5 Depth=1
	s_wait_dscnt 0x0
	flat_load_b32 v1, v[16:17] scope:SCOPE_SYS
	s_wait_loadcnt 0x0
	v_add_f32_e32 v13, v5, v5
	s_wait_dscnt 0x0
	v_add_f32_e32 v12, 0x3fc90fdb, v1
.LBB43_390:                             ;   in Loop: Header=BB43_5 Depth=1
	s_wait_xcnt 0x0
	s_or_b32 exec_lo, exec_lo, s5
                                        ; implicit-def: $vgpr2_vgpr3_vgpr4_vgpr5
.LBB43_391:                             ;   in Loop: Header=BB43_5 Depth=1
	s_and_not1_saveexec_b32 s4, s4
; %bb.392:                              ;   in Loop: Header=BB43_5 Depth=1
	v_add_f32_e32 v12, v4, v4
; %bb.393:                              ;   in Loop: Header=BB43_5 Depth=1
	s_or_b32 exec_lo, exec_lo, s4
                                        ; implicit-def: $vgpr2_vgpr3_vgpr4_vgpr5
.LBB43_394:                             ;   in Loop: Header=BB43_5 Depth=1
	s_and_not1_saveexec_b32 s3, s3
	s_cbranch_execz .LBB43_3
; %bb.395:                              ;   in Loop: Header=BB43_5 Depth=1
	v_dual_add_f32 v12, v5, v5 :: v_dual_mov_b32 v13, 0xff800000
	s_branch .LBB43_3
.LBB43_396:
	s_or_b32 exec_lo, exec_lo, s17
	s_mov_b32 s2, 0
.LBB43_397:
	s_delay_alu instid0(SALU_CYCLE_1)
	s_and_not1_b32 vcc_lo, exec_lo, s2
	s_cbranch_vccnz .LBB43_809
; %bb.398:
	v_cmp_lt_i64_e64 s2, s[8:9], 1
	s_and_b32 vcc_lo, exec_lo, s2
	s_cbranch_vccnz .LBB43_809
; %bb.399:
	v_min_i64 v[2:3], 0x10000, s[8:9]
	v_min_u64 v[4:5], 0x10000, s[8:9]
	s_wait_dscnt 0x0
	v_mbcnt_lo_u32_b32 v1, -1, 0
	s_load_b32 s0, s[0:1], 0xc5c
	v_mov_b32_e32 v10, 8
	v_mov_b32_e32 v36, 0x248d3132
	s_delay_alu instid0(VALU_DEP_3) | instskip(SKIP_3) | instid1(VALU_DEP_3)
	v_dual_mov_b32 v12, 1.0 :: v_dual_lshlrev_b32 v11, 20, v1
	v_mov_b32_e32 v14, 0x3f317218
	v_dual_mov_b32 v38, 0x4016cbe4 :: v_dual_mov_b32 v1, 0
	s_mov_b32 s15, 0
	v_add_nc_u64_e32 v[6:7], src_flat_scratch_base_lo, v[10:11]
	v_mov_b32_e32 v10, 0
	s_mov_b64 s[16:17], 0
	v_mov_b32_e32 v37, 0xd800000
	s_mov_b32 s19, s15
	s_mov_b32 s21, s15
	v_add_nc_u64_e32 v[8:9], src_flat_scratch_base_lo, v[10:11]
	v_mov_b32_e32 v10, 4
	s_mov_b32 s23, s15
	s_mov_b32 s9, 0x3e9b6dac
	;; [unrolled: 1-line block ×3, first 2 shown]
	s_wait_kmcnt 0x0
	s_and_b32 s14, s0, 0xffff
	v_add_nc_u64_e32 v[10:11], src_flat_scratch_base_lo, v[10:11]
	s_lshl_b32 s18, s14, 1
	s_mul_i32 s20, s14, 3
	s_lshl_b32 s22, s14, 2
	s_mov_b32 s25, 0x3d1c21a7
	s_mov_b32 s26, 0x3b2d2a58
	s_branch .LBB43_401
.LBB43_400:                             ;   in Loop: Header=BB43_401 Depth=1
	s_wait_xcnt 0x0
	s_or_b32 exec_lo, exec_lo, s0
	s_add_nc_u64 s[16:17], s[16:17], s[22:23]
	s_delay_alu instid0(SALU_CYCLE_1)
	v_cmp_ge_i64_e32 vcc_lo, s[16:17], v[2:3]
	s_cbranch_vccnz .LBB43_809
.LBB43_401:                             ; =>This Inner Loop Header: Depth=1
	v_add_nc_u64_e32 v[16:17], s[16:17], v[0:1]
	v_dual_mov_b32 v30, 0 :: v_dual_mov_b32 v31, 0
	s_delay_alu instid0(VALU_DEP_2)
	v_cmp_lt_u64_e64 s0, v[16:17], v[4:5]
	s_and_saveexec_b32 s1, s0
	s_cbranch_execz .LBB43_403
; %bb.402:                              ;   in Loop: Header=BB43_401 Depth=1
	v_lshl_add_u64 v[18:19], v[16:17], 3, s[10:11]
	global_load_b64 v[30:31], v[18:19], off
.LBB43_403:                             ;   in Loop: Header=BB43_401 Depth=1
	s_wait_xcnt 0x0
	s_or_b32 exec_lo, exec_lo, s1
	v_add_nc_u64_e32 v[18:19], s[14:15], v[16:17]
	v_dual_mov_b32 v28, 0 :: v_dual_mov_b32 v32, 0
	v_mov_b32_e32 v33, 0
	s_delay_alu instid0(VALU_DEP_3)
	v_cmp_lt_u64_e64 s1, v[18:19], v[4:5]
	s_and_saveexec_b32 s2, s1
	s_cbranch_execz .LBB43_405
; %bb.404:                              ;   in Loop: Header=BB43_401 Depth=1
	v_lshl_add_u64 v[20:21], v[18:19], 3, s[10:11]
	global_load_b64 v[32:33], v[20:21], off
.LBB43_405:                             ;   in Loop: Header=BB43_401 Depth=1
	s_wait_xcnt 0x0
	s_or_b32 exec_lo, exec_lo, s2
	v_add_nc_u64_e32 v[20:21], s[18:19], v[16:17]
	v_mov_b32_e32 v29, 0
	s_delay_alu instid0(VALU_DEP_2)
	v_cmp_lt_u64_e64 s2, v[20:21], v[4:5]
	s_and_saveexec_b32 s3, s2
	s_cbranch_execz .LBB43_407
; %bb.406:                              ;   in Loop: Header=BB43_401 Depth=1
	v_lshl_add_u64 v[22:23], v[20:21], 3, s[10:11]
	global_load_b64 v[28:29], v[22:23], off
.LBB43_407:                             ;   in Loop: Header=BB43_401 Depth=1
	s_wait_xcnt 0x0
	s_or_b32 exec_lo, exec_lo, s3
	v_add_nc_u64_e32 v[22:23], s[20:21], v[16:17]
	v_dual_mov_b32 v24, 0 :: v_dual_mov_b32 v25, 0
	s_delay_alu instid0(VALU_DEP_2)
	v_cmp_lt_u64_e64 s3, v[22:23], v[4:5]
	s_and_saveexec_b32 s4, s3
	s_cbranch_execz .LBB43_409
; %bb.408:                              ;   in Loop: Header=BB43_401 Depth=1
	v_lshl_add_u64 v[24:25], v[22:23], 3, s[10:11]
	global_load_b64 v[24:25], v[24:25], off
.LBB43_409:                             ;   in Loop: Header=BB43_401 Depth=1
	s_wait_xcnt 0x0
	s_or_b32 exec_lo, exec_lo, s4
	flat_store_b32 v[6:7], v36 scope:SCOPE_SYS
	s_wait_storecnt 0x0
                                        ; implicit-def: $vgpr27
	s_mov_b32 s4, exec_lo
	s_wait_loadcnt 0x0
	s_wait_xcnt 0x0
	v_cmpx_o_f32_e32 v30, v31
	s_xor_b32 s27, exec_lo, s4
	s_cbranch_execz .LBB43_493
; %bb.410:                              ;   in Loop: Header=BB43_401 Depth=1
	v_max_num_f32_e64 v34, |v30|, |v30|
	v_max_num_f32_e64 v13, |v31|, |v31|
	v_cmp_gt_i32_e64 s5, 0, v30
	v_cmp_lt_i32_e64 s6, -1, v30
	v_cmp_gt_i32_e64 s4, 0, v31
                                        ; implicit-def: $vgpr27
	s_mov_b32 s7, exec_lo
	s_wait_dscnt 0x1
	v_max_num_f32_e32 v15, v13, v34
	s_delay_alu instid0(VALU_DEP_1)
	v_cmpx_nlt_f32_e32 0x4b000000, v15
	s_xor_b32 s28, exec_lo, s7
	s_cbranch_execz .LBB43_482
; %bb.411:                              ;   in Loop: Header=BB43_401 Depth=1
	v_cmp_neq_f32_e32 vcc_lo, 1.0, v30
	v_cmp_neq_f32_e64 s7, 0, v31
	v_xor_b32_e32 v27, 0x80000000, v31
	s_or_b32 s7, s7, vcc_lo
	s_delay_alu instid0(SALU_CYCLE_1) | instskip(NEXT) | instid1(SALU_CYCLE_1)
	s_and_saveexec_b32 s8, s7
	s_xor_b32 s29, exec_lo, s8
	s_cbranch_execz .LBB43_479
; %bb.412:                              ;   in Loop: Header=BB43_401 Depth=1
	flat_store_b32 v[8:9], v37 scope:SCOPE_SYS
	s_wait_storecnt 0x0
	flat_load_b32 v15, v[8:9] scope:SCOPE_SYS
	s_wait_loadcnt 0x0
	v_cmp_ngt_f32_e64 s7, 0x395db3d7, |v30|
	v_cmp_ngt_f32_e64 s8, 0x395db3d7, |v31|
	v_xor_b32_e32 v27, 0x80000000, v31
	s_or_b32 s7, s8, s7
	s_wait_dscnt 0x0
	v_add_f32_e32 v15, 1.0, v15
	flat_store_b32 v[10:11], v15 scope:SCOPE_SYS
	s_wait_storecnt 0x0
	flat_load_b32 v15, v[10:11] scope:SCOPE_SYS
	s_wait_loadcnt 0x0
	s_wait_xcnt 0x0
	s_and_saveexec_b32 s8, s7
	s_delay_alu instid0(SALU_CYCLE_1)
	s_xor_b32 s30, exec_lo, s8
	s_cbranch_execz .LBB43_476
; %bb.413:                              ;   in Loop: Header=BB43_401 Depth=1
	v_add_f32_e64 v40, |v30|, 1.0
	v_add_f32_e64 v39, |v30|, -1.0
	s_mov_b32 s7, exec_lo
	s_wait_dscnt 0x0
	s_delay_alu instid0(VALU_DEP_2) | instskip(NEXT) | instid1(VALU_DEP_2)
	v_max_num_f32_e32 v15, v13, v40
	v_max_num_f32_e64 v13, v13, |v39|
	s_delay_alu instid0(VALU_DEP_2) | instskip(NEXT) | instid1(VALU_DEP_2)
	v_cvt_f64_f32_e32 v[26:27], v15
	v_cvt_f64_f32_e32 v[34:35], v13
	s_delay_alu instid0(VALU_DEP_2) | instskip(NEXT) | instid1(VALU_DEP_2)
	v_frexp_exp_i32_f64_e32 v26, v[26:27]
	v_frexp_exp_i32_f64_e32 v27, v[34:35]
	s_delay_alu instid0(VALU_DEP_2) | instskip(SKIP_1) | instid1(VALU_DEP_2)
	v_sub_nc_u32_e32 v34, 0, v26
	v_cmp_neq_f32_e32 vcc_lo, 0x7f800000, v15
	v_ldexp_f32 v41, v40, v34
	s_delay_alu instid0(VALU_DEP_4) | instskip(SKIP_1) | instid1(VALU_DEP_3)
	v_sub_nc_u32_e32 v35, 0, v27
	v_ldexp_f32 v34, |v31|, v34
	v_mul_f32_e32 v41, v41, v41
	s_delay_alu instid0(VALU_DEP_3) | instskip(SKIP_1) | instid1(VALU_DEP_3)
	v_ldexp_f32 v42, |v39|, v35
	v_ldexp_f32 v35, |v31|, v35
	v_fmac_f32_e32 v41, v34, v34
	s_delay_alu instid0(VALU_DEP_1) | instskip(SKIP_1) | instid1(TRANS32_DEP_1)
	v_sqrt_f32_e32 v34, v41
	v_nop
	v_ldexp_f32 v26, v34, v26
	s_delay_alu instid0(VALU_DEP_1) | instskip(SKIP_2) | instid1(VALU_DEP_1)
	v_cndmask_b32_e32 v43, 0x7f800000, v26, vcc_lo
	v_cmp_neq_f32_e32 vcc_lo, 0x7f800000, v13
	v_mul_f32_e32 v42, v42, v42
	v_fmac_f32_e32 v42, v35, v35
	s_delay_alu instid0(VALU_DEP_1) | instskip(SKIP_1) | instid1(TRANS32_DEP_1)
	v_sqrt_f32_e32 v35, v42
	v_nop
	v_ldexp_f32 v27, v35, v27
	s_delay_alu instid0(VALU_DEP_1) | instskip(NEXT) | instid1(VALU_DEP_1)
	v_cndmask_b32_e32 v41, 0x7f800000, v27, vcc_lo
	v_add_f32_e32 v13, v43, v41
	s_delay_alu instid0(VALU_DEP_1) | instskip(NEXT) | instid1(VALU_DEP_1)
	v_mul_f32_e32 v13, 0.5, v13
	v_cmp_ngt_f32_e32 vcc_lo, 1.0, v13
	v_cndmask_b32_e32 v26, 1.0, v13, vcc_lo
                                        ; implicit-def: $vgpr13
	s_delay_alu instid0(VALU_DEP_1)
	v_cmpx_ngt_f32_e32 0x41200000, v26
	s_xor_b32 s8, exec_lo, s7
	s_cbranch_execz .LBB43_415
; %bb.414:                              ;   in Loop: Header=BB43_401 Depth=1
	v_fma_f32 v13, v26, v26, -1.0
	s_delay_alu instid0(VALU_DEP_1) | instskip(SKIP_1) | instid1(VALU_DEP_2)
	v_mul_f32_e32 v15, 0x4f800000, v13
	v_cmp_gt_f32_e32 vcc_lo, 0xf800000, v13
	v_cndmask_b32_e32 v13, v13, v15, vcc_lo
	s_delay_alu instid0(VALU_DEP_1) | instskip(SKIP_1) | instid1(TRANS32_DEP_1)
	v_sqrt_f32_e32 v15, v13
	v_nop
	v_dual_add_nc_u32 v27, -1, v15 :: v_dual_add_nc_u32 v34, 1, v15
	s_delay_alu instid0(VALU_DEP_1) | instskip(NEXT) | instid1(VALU_DEP_1)
	v_dual_fma_f32 v35, -v27, v15, v13 :: v_dual_fma_f32 v42, -v34, v15, v13
	v_cmp_ge_f32_e64 s7, 0, v35
	s_delay_alu instid0(VALU_DEP_1) | instskip(NEXT) | instid1(VALU_DEP_3)
	v_cndmask_b32_e64 v15, v15, v27, s7
	v_cmp_lt_f32_e64 s7, 0, v42
	s_delay_alu instid0(VALU_DEP_1) | instskip(NEXT) | instid1(VALU_DEP_1)
	v_cndmask_b32_e64 v15, v15, v34, s7
	v_mul_f32_e32 v27, 0x37800000, v15
	s_delay_alu instid0(VALU_DEP_1) | instskip(SKIP_1) | instid1(VALU_DEP_2)
	v_cndmask_b32_e32 v15, v15, v27, vcc_lo
	v_cmp_class_f32_e64 vcc_lo, v13, 0x260
	v_cndmask_b32_e32 v13, v15, v13, vcc_lo
	s_delay_alu instid0(VALU_DEP_1) | instskip(NEXT) | instid1(VALU_DEP_1)
	v_add_f32_e32 v13, v26, v13
	v_cmp_gt_f32_e32 vcc_lo, 0x800000, v13
	s_delay_alu instid0(VALU_DEP_4) | instskip(NEXT) | instid1(VALU_DEP_1)
	v_cndmask_b32_e64 v15, 0, 32, vcc_lo
	v_ldexp_f32 v13, v13, v15
	s_delay_alu instid0(VALU_DEP_1) | instskip(SKIP_1) | instid1(TRANS32_DEP_1)
	v_log_f32_e32 v13, v13
	v_nop
	v_mul_f32_e32 v15, 0x3f317217, v13
	v_cmp_gt_f32_e64 s7, 0x7f800000, |v13|
	s_delay_alu instid0(VALU_DEP_2) | instskip(NEXT) | instid1(VALU_DEP_1)
	v_fma_f32 v15, 0x3f317217, v13, -v15
	v_fmac_f32_e32 v15, 0x3377d1cf, v13
	s_delay_alu instid0(VALU_DEP_1) | instskip(NEXT) | instid1(VALU_DEP_1)
	v_fmac_f32_e32 v15, 0x3f317217, v13
	v_cndmask_b32_e64 v13, v13, v15, s7
	v_cndmask_b32_e64 v15, 0, 0x41b17218, vcc_lo
	s_delay_alu instid0(VALU_DEP_1)
	v_sub_f32_e32 v13, v13, v15
.LBB43_415:                             ;   in Loop: Header=BB43_401 Depth=1
	s_or_saveexec_b32 s8, s8
	v_and_b32_e32 v42, 0x7fffffff, v31
	s_xor_b32 exec_lo, exec_lo, s8
	s_cbranch_execz .LBB43_437
; %bb.416:                              ;   in Loop: Header=BB43_401 Depth=1
	v_cmp_neq_f32_e64 s7, |v30|, 1.0
	v_cmp_ngt_f32_e64 s31, 0x25000000, |v31|
                                        ; implicit-def: $vgpr13
	s_or_b32 s7, s31, s7
	s_delay_alu instid0(SALU_CYCLE_1) | instskip(NEXT) | instid1(SALU_CYCLE_1)
	s_and_saveexec_b32 s31, s7
	s_xor_b32 s31, exec_lo, s31
	s_cbranch_execz .LBB43_434
; %bb.417:                              ;   in Loop: Header=BB43_401 Depth=1
	v_mul_f32_e64 v13, 0x34000000, |v39|
	s_delay_alu instid0(VALU_DEP_1) | instskip(SKIP_1) | instid1(SALU_CYCLE_1)
	v_cmp_ge_f32_e64 s7, |v31|, v13
                                        ; implicit-def: $vgpr13
	s_and_saveexec_b32 s33, s7
	s_xor_b32 s33, exec_lo, s33
	s_cbranch_execz .LBB43_427
; %bb.418:                              ;   in Loop: Header=BB43_401 Depth=1
	v_mov_b32_e32 v13, v42
	s_mov_b32 s7, exec_lo
	v_cmpx_neq_f32_e32 0, v40
	s_cbranch_execz .LBB43_420
; %bb.419:                              ;   in Loop: Header=BB43_401 Depth=1
	v_mul_f32_e32 v13, v31, v31
	v_add_f32_e32 v15, v40, v43
	s_delay_alu instid0(VALU_DEP_1) | instskip(NEXT) | instid1(VALU_DEP_1)
	v_div_scale_f32 v27, null, v15, v15, v13
	v_rcp_f32_e32 v34, v27
	v_nop
	s_delay_alu instid0(TRANS32_DEP_1) | instskip(NEXT) | instid1(VALU_DEP_1)
	v_fma_f32 v35, -v27, v34, 1.0
	v_fmac_f32_e32 v34, v35, v34
	v_div_scale_f32 v35, vcc_lo, v13, v15, v13
	s_delay_alu instid0(VALU_DEP_1) | instskip(NEXT) | instid1(VALU_DEP_1)
	v_mul_f32_e32 v44, v35, v34
	v_fma_f32 v45, -v27, v44, v35
	s_delay_alu instid0(VALU_DEP_1) | instskip(NEXT) | instid1(VALU_DEP_1)
	v_fmac_f32_e32 v44, v45, v34
	v_fma_f32 v27, -v27, v44, v35
	s_delay_alu instid0(VALU_DEP_1) | instskip(NEXT) | instid1(VALU_DEP_1)
	v_div_fmas_f32 v27, v27, v34, v44
	v_div_fixup_f32 v13, v27, v15, v13
.LBB43_420:                             ;   in Loop: Header=BB43_401 Depth=1
	s_or_b32 exec_lo, exec_lo, s7
	v_sub_f32_e64 v27, 1.0, |v30|
	s_mov_b32 s7, exec_lo
                                        ; implicit-def: $vgpr15
	s_delay_alu instid0(VALU_DEP_1)
	v_cmpx_ngt_f32_e32 0, v27
	s_xor_b32 s7, exec_lo, s7
	s_cbranch_execz .LBB43_424
; %bb.421:                              ;   in Loop: Header=BB43_401 Depth=1
	v_mov_b32_e32 v15, v42
	s_mov_b32 s34, exec_lo
	v_cmpx_neq_f32_e32 0, v27
	s_cbranch_execz .LBB43_423
; %bb.422:                              ;   in Loop: Header=BB43_401 Depth=1
	v_mul_f32_e32 v15, v31, v31
	v_add_f32_e32 v27, v27, v41
	s_delay_alu instid0(VALU_DEP_1) | instskip(NEXT) | instid1(VALU_DEP_1)
	v_div_scale_f32 v34, null, v27, v27, v15
	v_rcp_f32_e32 v35, v34
	v_nop
	s_delay_alu instid0(TRANS32_DEP_1) | instskip(NEXT) | instid1(VALU_DEP_1)
	v_fma_f32 v44, -v34, v35, 1.0
	v_fmac_f32_e32 v35, v44, v35
	v_div_scale_f32 v44, vcc_lo, v15, v27, v15
	s_delay_alu instid0(VALU_DEP_1) | instskip(NEXT) | instid1(VALU_DEP_1)
	v_mul_f32_e32 v45, v44, v35
	v_fma_f32 v46, -v34, v45, v44
	s_delay_alu instid0(VALU_DEP_1) | instskip(NEXT) | instid1(VALU_DEP_1)
	v_fmac_f32_e32 v45, v46, v35
	v_fma_f32 v34, -v34, v45, v44
	s_delay_alu instid0(VALU_DEP_1) | instskip(NEXT) | instid1(VALU_DEP_1)
	v_div_fmas_f32 v34, v34, v35, v45
	v_div_fixup_f32 v15, v34, v27, v15
.LBB43_423:                             ;   in Loop: Header=BB43_401 Depth=1
	s_or_b32 exec_lo, exec_lo, s34
                                        ; implicit-def: $vgpr27
.LBB43_424:                             ;   in Loop: Header=BB43_401 Depth=1
	s_and_not1_saveexec_b32 s7, s7
; %bb.425:                              ;   in Loop: Header=BB43_401 Depth=1
	v_sub_f32_e32 v15, v41, v27
; %bb.426:                              ;   in Loop: Header=BB43_401 Depth=1
	s_or_b32 exec_lo, exec_lo, s7
	s_delay_alu instid0(VALU_DEP_1) | instskip(NEXT) | instid1(VALU_DEP_1)
	v_dual_mul_f32 v27, 0.5, v13 :: v_dual_mul_f32 v13, 0.5, v15
	v_pk_add_f32 v[34:35], v[26:27], v[12:13]
	s_delay_alu instid0(VALU_DEP_1) | instskip(NEXT) | instid1(VALU_DEP_1)
	v_mul_f32_e32 v13, v34, v35
	v_mul_f32_e32 v15, 0x4f800000, v13
	v_cmp_gt_f32_e32 vcc_lo, 0xf800000, v13
	s_delay_alu instid0(VALU_DEP_2) | instskip(NEXT) | instid1(VALU_DEP_1)
	v_cndmask_b32_e32 v13, v13, v15, vcc_lo
	v_sqrt_f32_e32 v15, v13
	v_nop
	s_delay_alu instid0(TRANS32_DEP_1) | instskip(NEXT) | instid1(VALU_DEP_1)
	v_dual_add_nc_u32 v27, -1, v15 :: v_dual_add_nc_u32 v34, 1, v15
	v_dual_fma_f32 v44, -v27, v15, v13 :: v_dual_fma_f32 v45, -v34, v15, v13
	s_delay_alu instid0(VALU_DEP_1) | instskip(NEXT) | instid1(VALU_DEP_1)
	v_cmp_ge_f32_e64 s7, 0, v44
	v_cndmask_b32_e64 v15, v15, v27, s7
	s_delay_alu instid0(VALU_DEP_3) | instskip(NEXT) | instid1(VALU_DEP_1)
	v_cmp_lt_f32_e64 s7, 0, v45
	v_cndmask_b32_e64 v15, v15, v34, s7
	s_delay_alu instid0(VALU_DEP_1) | instskip(NEXT) | instid1(VALU_DEP_1)
	v_mul_f32_e32 v27, 0x37800000, v15
	v_cndmask_b32_e32 v15, v15, v27, vcc_lo
	v_cmp_class_f32_e64 vcc_lo, v13, 0x260
	s_delay_alu instid0(VALU_DEP_2) | instskip(NEXT) | instid1(VALU_DEP_1)
	v_cndmask_b32_e32 v13, v15, v13, vcc_lo
	v_add_f32_e32 v34, v35, v13
	s_delay_alu instid0(VALU_DEP_1) | instskip(NEXT) | instid1(VALU_DEP_1)
	v_add_f32_e32 v45, 1.0, v34
	v_cvt_f64_f32_e32 v[46:47], v45
	v_frexp_mant_f32_e32 v15, v45
	v_add_f32_e32 v35, -1.0, v45
	s_delay_alu instid0(VALU_DEP_2) | instskip(NEXT) | instid1(VALU_DEP_2)
	v_cmp_gt_f32_e32 vcc_lo, 0x3f2aaaab, v15
	v_mov_b32_e32 v44, v35
	v_frexp_exp_i32_f64_e32 v13, v[46:47]
	s_delay_alu instid0(VALU_DEP_2) | instskip(NEXT) | instid1(VALU_DEP_1)
	v_pk_add_f32 v[46:47], v[34:35], v[44:45] neg_lo:[0,1] neg_hi:[0,1]
	v_add_f32_e32 v35, 1.0, v47
	s_delay_alu instid0(VALU_DEP_3) | instskip(SKIP_1) | instid1(VALU_DEP_2)
	v_subrev_co_ci_u32_e64 v13, null, 0, v13, vcc_lo
	v_cmp_neq_f32_e32 vcc_lo, 0x7f800000, v34
	v_sub_nc_u32_e32 v15, 0, v13
	s_delay_alu instid0(VALU_DEP_1) | instskip(NEXT) | instid1(VALU_DEP_1)
	v_ldexp_f32 v27, v45, v15
	v_dual_add_f32 v44, 1.0, v27 :: v_dual_add_f32 v49, -1.0, v27
	s_delay_alu instid0(VALU_DEP_1) | instskip(NEXT) | instid1(VALU_DEP_1)
	v_dual_add_f32 v35, v46, v35 :: v_dual_add_f32 v45, -1.0, v44
	v_ldexp_f32 v15, v35, v15
	s_delay_alu instid0(VALU_DEP_2) | instskip(NEXT) | instid1(VALU_DEP_4)
	v_sub_f32_e32 v35, v27, v45
	v_add_f32_e32 v45, 1.0, v49
	s_delay_alu instid0(VALU_DEP_1) | instskip(NEXT) | instid1(VALU_DEP_3)
	v_sub_f32_e32 v27, v27, v45
	v_add_f32_e32 v35, v15, v35
	s_delay_alu instid0(VALU_DEP_2) | instskip(NEXT) | instid1(VALU_DEP_2)
	v_add_f32_e32 v15, v15, v27
	v_add_f32_e32 v50, v44, v35
	s_delay_alu instid0(VALU_DEP_1) | instskip(NEXT) | instid1(VALU_DEP_1)
	v_dual_add_f32 v45, v49, v15 :: v_dual_sub_f32 v44, v50, v44
	v_dual_sub_f32 v52, v45, v49 :: v_dual_sub_f32 v35, v35, v44
	v_rcp_f32_e32 v27, v50
	v_nop
	s_delay_alu instid0(TRANS32_DEP_1) | instskip(NEXT) | instid1(VALU_DEP_1)
	v_dual_mul_f32 v51, v45, v27 :: v_dual_sub_f32 v15, v15, v52
	v_mul_f32_e32 v46, v50, v51
	s_delay_alu instid0(VALU_DEP_1) | instskip(NEXT) | instid1(VALU_DEP_1)
	v_fma_f32 v48, v51, v50, -v46
	v_fmac_f32_e32 v48, v51, v35
	s_delay_alu instid0(VALU_DEP_1) | instskip(NEXT) | instid1(VALU_DEP_1)
	v_add_f32_e32 v44, v46, v48
	v_dual_sub_f32 v47, v45, v44 :: v_dual_mov_b32 v49, v44
	s_delay_alu instid0(VALU_DEP_1) | instskip(NEXT) | instid1(VALU_DEP_1)
	v_pk_add_f32 v[44:45], v[44:45], v[46:47] neg_lo:[0,1] neg_hi:[0,1]
	v_pk_add_f32 v[44:45], v[44:45], v[48:49] neg_lo:[0,1] neg_hi:[0,1]
	s_delay_alu instid0(VALU_DEP_1) | instskip(NEXT) | instid1(VALU_DEP_1)
	v_add_f32_e32 v15, v15, v45
	v_add_f32_e32 v15, v44, v15
	s_delay_alu instid0(VALU_DEP_1) | instskip(NEXT) | instid1(VALU_DEP_1)
	v_add_f32_e32 v45, v47, v15
	v_mul_f32_e32 v52, v27, v45
	s_delay_alu instid0(VALU_DEP_1) | instskip(NEXT) | instid1(VALU_DEP_1)
	v_mul_f32_e32 v48, v50, v52
	v_fma_f32 v46, v52, v50, -v48
	s_delay_alu instid0(VALU_DEP_1) | instskip(NEXT) | instid1(VALU_DEP_1)
	v_dual_fmac_f32 v46, v52, v35 :: v_dual_sub_f32 v35, v47, v45
	v_dual_add_f32 v44, v48, v46 :: v_dual_add_f32 v15, v15, v35
	s_delay_alu instid0(VALU_DEP_1) | instskip(NEXT) | instid1(VALU_DEP_1)
	v_dual_mov_b32 v47, v44 :: v_dual_sub_f32 v49, v45, v44
	v_pk_add_f32 v[44:45], v[44:45], v[48:49] neg_lo:[0,1] neg_hi:[0,1]
	s_delay_alu instid0(VALU_DEP_1) | instskip(NEXT) | instid1(VALU_DEP_1)
	v_pk_add_f32 v[44:45], v[44:45], v[46:47] neg_lo:[0,1] neg_hi:[0,1]
	v_add_f32_e32 v15, v15, v45
	s_delay_alu instid0(VALU_DEP_1) | instskip(NEXT) | instid1(VALU_DEP_1)
	v_dual_add_f32 v35, v51, v52 :: v_dual_add_f32 v15, v44, v15
	v_sub_f32_e32 v44, v35, v51
	s_delay_alu instid0(VALU_DEP_1) | instskip(NEXT) | instid1(VALU_DEP_1)
	v_dual_add_f32 v15, v49, v15 :: v_dual_sub_f32 v44, v52, v44
	v_mul_f32_e32 v15, v27, v15
	s_delay_alu instid0(VALU_DEP_1) | instskip(SKIP_1) | instid1(VALU_DEP_2)
	v_add_f32_e32 v27, v44, v15
	v_cvt_f32_i32_e32 v44, v13
	v_add_f32_e32 v50, v35, v27
	s_delay_alu instid0(VALU_DEP_1) | instskip(SKIP_1) | instid1(VALU_DEP_2)
	v_mul_f32_e32 v15, v50, v50
	v_ldexp_f32 v49, v50, 1
	v_dual_fmaak_f32 v46, s9, v15, 0x3ecc95a3 :: v_dual_mul_f32 v45, v50, v15
	s_delay_alu instid0(VALU_DEP_1) | instskip(NEXT) | instid1(VALU_DEP_1)
	v_fmaak_f32 v15, v15, v46, 0x3f2aaada
	v_pk_mul_f32 v[46:47], v[44:45], v[14:15]
	s_delay_alu instid0(VALU_DEP_1) | instskip(NEXT) | instid1(VALU_DEP_1)
	v_fma_f32 v48, 0x3f317218, v44, -v46
	v_fmac_f32_e32 v48, 0xb102e308, v44
	s_delay_alu instid0(VALU_DEP_1) | instskip(NEXT) | instid1(VALU_DEP_1)
	v_pk_add_f32 v[44:45], v[46:47], v[48:49]
	v_dual_sub_f32 v15, v45, v49 :: v_dual_sub_f32 v13, v50, v35
	s_delay_alu instid0(VALU_DEP_2) | instskip(NEXT) | instid1(VALU_DEP_2)
	v_dual_mov_b32 v49, v44 :: v_dual_mov_b32 v50, v46
	v_dual_mov_b32 v58, v45 :: v_dual_sub_f32 v15, v47, v15
	s_delay_alu instid0(VALU_DEP_3) | instskip(SKIP_1) | instid1(VALU_DEP_2)
	v_sub_f32_e32 v13, v27, v13
	v_pk_add_f32 v[46:47], v[44:45], v[46:47] neg_lo:[0,1] neg_hi:[0,1]
	v_ldexp_f32 v13, v13, 1
	s_delay_alu instid0(VALU_DEP_1) | instskip(NEXT) | instid1(VALU_DEP_1)
	v_add_f32_e32 v51, v13, v15
	v_pk_add_f32 v[52:53], v[44:45], v[50:51]
	s_delay_alu instid0(VALU_DEP_1) | instskip(NEXT) | instid1(VALU_DEP_1)
	v_mov_b32_e32 v47, v53
	v_pk_add_f32 v[54:55], v[48:49], v[46:47]
	v_pk_add_f32 v[46:47], v[48:49], v[46:47] neg_lo:[0,1] neg_hi:[0,1]
	s_delay_alu instid0(VALU_DEP_2) | instskip(NEXT) | instid1(VALU_DEP_1)
	v_dual_mov_b32 v50, v55 :: v_dual_mov_b32 v47, v55
	v_pk_add_f32 v[56:57], v[50:51], v[44:45] neg_lo:[0,1] neg_hi:[0,1]
	v_dual_mov_b32 v54, v53 :: v_dual_mov_b32 v45, v44
	s_delay_alu instid0(VALU_DEP_2) | instskip(SKIP_1) | instid1(VALU_DEP_2)
	v_dual_mov_b32 v44, v51 :: v_dual_mov_b32 v59, v56
	v_mov_b32_e32 v13, v56
	v_pk_add_f32 v[56:57], v[54:55], v[58:59] neg_lo:[0,1] neg_hi:[0,1]
	s_delay_alu instid0(VALU_DEP_2) | instskip(SKIP_1) | instid1(VALU_DEP_3)
	v_pk_add_f32 v[48:49], v[52:53], v[12:13] neg_lo:[0,1] neg_hi:[0,1]
	v_mov_b32_e32 v48, v46
	v_pk_add_f32 v[44:45], v[44:45], v[56:57] neg_lo:[0,1] neg_hi:[0,1]
	s_delay_alu instid0(VALU_DEP_1) | instskip(NEXT) | instid1(VALU_DEP_1)
	v_pk_add_f32 v[48:49], v[48:49], v[44:45]
	v_mov_b32_e32 v52, v49
	s_delay_alu instid0(VALU_DEP_1) | instskip(NEXT) | instid1(VALU_DEP_1)
	v_pk_add_f32 v[52:53], v[48:49], v[52:53]
	v_pk_add_f32 v[50:51], v[50:51], v[52:53]
	s_delay_alu instid0(VALU_DEP_1) | instskip(NEXT) | instid1(VALU_DEP_1)
	v_dual_mov_b32 v45, v52 :: v_dual_mov_b32 v49, v50
	v_pk_add_f32 v[54:55], v[48:49], v[46:47] neg_lo:[0,1] neg_hi:[0,1]
	s_delay_alu instid0(VALU_DEP_1) | instskip(NEXT) | instid1(VALU_DEP_2)
	v_sub_f32_e32 v13, v48, v54
	v_pk_add_f32 v[44:45], v[44:45], v[54:55] neg_lo:[0,1] neg_hi:[0,1]
	s_delay_alu instid0(VALU_DEP_2) | instskip(NEXT) | instid1(VALU_DEP_1)
	v_sub_f32_e32 v13, v46, v13
	v_add_f32_e32 v13, v44, v13
	s_delay_alu instid0(VALU_DEP_1) | instskip(NEXT) | instid1(VALU_DEP_1)
	v_add_f32_e32 v13, v13, v45
	v_add_f32_e32 v13, v50, v13
	s_delay_alu instid0(VALU_DEP_1) | instskip(SKIP_1) | instid1(VALU_DEP_2)
	v_cndmask_b32_e32 v13, 0x7f800000, v13, vcc_lo
	v_cmp_ngt_f32_e32 vcc_lo, -1.0, v34
	v_cndmask_b32_e32 v13, 0x7fc00000, v13, vcc_lo
	v_cmp_neq_f32_e32 vcc_lo, -1.0, v34
	s_delay_alu instid0(VALU_DEP_2) | instskip(SKIP_1) | instid1(VALU_DEP_2)
	v_cndmask_b32_e32 v13, 0xff800000, v13, vcc_lo
	v_cmp_gt_f32_e64 vcc_lo, 0x33800000, |v34|
	v_cndmask_b32_e32 v13, v13, v34, vcc_lo
.LBB43_427:                             ;   in Loop: Header=BB43_401 Depth=1
	s_and_not1_saveexec_b32 s33, s33
	s_cbranch_execz .LBB43_433
; %bb.428:                              ;   in Loop: Header=BB43_401 Depth=1
	s_mov_b32 s34, exec_lo
                                        ; implicit-def: $vgpr13
	v_cmpx_nlt_f32_e64 |v30|, 1.0
	s_xor_b32 s34, exec_lo, s34
	s_cbranch_execz .LBB43_430
; %bb.429:                              ;   in Loop: Header=BB43_401 Depth=1
	v_mul_f32_e32 v13, v39, v40
	s_delay_alu instid0(VALU_DEP_1) | instskip(SKIP_1) | instid1(VALU_DEP_2)
	v_mul_f32_e32 v15, 0x4f800000, v13
	v_cmp_gt_f32_e32 vcc_lo, 0xf800000, v13
	v_cndmask_b32_e32 v13, v13, v15, vcc_lo
	s_delay_alu instid0(VALU_DEP_1) | instskip(SKIP_1) | instid1(TRANS32_DEP_1)
	v_sqrt_f32_e32 v15, v13
	v_nop
	v_dual_add_nc_u32 v27, -1, v15 :: v_dual_add_nc_u32 v34, 1, v15
	s_delay_alu instid0(VALU_DEP_1) | instskip(NEXT) | instid1(VALU_DEP_1)
	v_dual_fma_f32 v35, -v27, v15, v13 :: v_dual_fma_f32 v44, -v34, v15, v13
	v_cmp_ge_f32_e64 s7, 0, v35
	s_delay_alu instid0(VALU_DEP_1) | instskip(NEXT) | instid1(VALU_DEP_3)
	v_cndmask_b32_e64 v15, v15, v27, s7
	v_cmp_lt_f32_e64 s7, 0, v44
	s_delay_alu instid0(VALU_DEP_1) | instskip(NEXT) | instid1(VALU_DEP_1)
	v_cndmask_b32_e64 v15, v15, v34, s7
	v_mul_f32_e32 v27, 0x37800000, v15
	s_delay_alu instid0(VALU_DEP_1) | instskip(SKIP_1) | instid1(VALU_DEP_2)
	v_cndmask_b32_e32 v15, v15, v27, vcc_lo
	v_cmp_class_f32_e64 vcc_lo, v13, 0x260
	v_cndmask_b32_e32 v13, v15, v13, vcc_lo
	s_delay_alu instid0(VALU_DEP_1) | instskip(NEXT) | instid1(VALU_DEP_1)
	v_add_f32_e32 v34, v39, v13
	v_add_f32_e32 v45, 1.0, v34
	s_delay_alu instid0(VALU_DEP_1) | instskip(SKIP_2) | instid1(VALU_DEP_2)
	v_cvt_f64_f32_e32 v[46:47], v45
	v_frexp_mant_f32_e32 v15, v45
	v_add_f32_e32 v35, -1.0, v45
	v_cmp_gt_f32_e32 vcc_lo, 0x3f2aaaab, v15
	s_delay_alu instid0(VALU_DEP_2) | instskip(SKIP_1) | instid1(VALU_DEP_2)
	v_mov_b32_e32 v44, v35
	v_frexp_exp_i32_f64_e32 v13, v[46:47]
	v_pk_add_f32 v[46:47], v[34:35], v[44:45] neg_lo:[0,1] neg_hi:[0,1]
	s_delay_alu instid0(VALU_DEP_1) | instskip(NEXT) | instid1(VALU_DEP_1)
	v_add_f32_e32 v35, 1.0, v47
	v_add_f32_e32 v35, v46, v35
	s_delay_alu instid0(VALU_DEP_4) | instskip(SKIP_1) | instid1(VALU_DEP_2)
	v_subrev_co_ci_u32_e64 v13, null, 0, v13, vcc_lo
	v_cmp_neq_f32_e32 vcc_lo, 0x7f800000, v34
	v_sub_nc_u32_e32 v15, 0, v13
	s_delay_alu instid0(VALU_DEP_1) | instskip(SKIP_1) | instid1(VALU_DEP_2)
	v_ldexp_f32 v27, v45, v15
	v_ldexp_f32 v15, v35, v15
	v_dual_add_f32 v44, 1.0, v27 :: v_dual_add_f32 v49, -1.0, v27
	s_delay_alu instid0(VALU_DEP_1) | instskip(NEXT) | instid1(VALU_DEP_1)
	v_add_f32_e32 v45, -1.0, v44
	v_sub_f32_e32 v35, v27, v45
	s_delay_alu instid0(VALU_DEP_3) | instskip(NEXT) | instid1(VALU_DEP_1)
	v_add_f32_e32 v45, 1.0, v49
	v_sub_f32_e32 v27, v27, v45
	s_delay_alu instid0(VALU_DEP_3) | instskip(NEXT) | instid1(VALU_DEP_2)
	v_add_f32_e32 v35, v15, v35
	v_add_f32_e32 v15, v15, v27
	s_delay_alu instid0(VALU_DEP_2) | instskip(NEXT) | instid1(VALU_DEP_1)
	v_add_f32_e32 v50, v44, v35
	v_dual_add_f32 v45, v49, v15 :: v_dual_sub_f32 v44, v50, v44
	s_delay_alu instid0(VALU_DEP_1) | instskip(SKIP_2) | instid1(TRANS32_DEP_1)
	v_dual_sub_f32 v52, v45, v49 :: v_dual_sub_f32 v35, v35, v44
	v_rcp_f32_e32 v27, v50
	v_nop
	v_dual_mul_f32 v51, v45, v27 :: v_dual_sub_f32 v15, v15, v52
	s_delay_alu instid0(VALU_DEP_1) | instskip(NEXT) | instid1(VALU_DEP_1)
	v_mul_f32_e32 v46, v50, v51
	v_fma_f32 v48, v51, v50, -v46
	s_delay_alu instid0(VALU_DEP_1) | instskip(NEXT) | instid1(VALU_DEP_1)
	v_fmac_f32_e32 v48, v51, v35
	v_add_f32_e32 v44, v46, v48
	s_delay_alu instid0(VALU_DEP_1) | instskip(NEXT) | instid1(VALU_DEP_1)
	v_dual_sub_f32 v47, v45, v44 :: v_dual_mov_b32 v49, v44
	v_pk_add_f32 v[44:45], v[44:45], v[46:47] neg_lo:[0,1] neg_hi:[0,1]
	s_delay_alu instid0(VALU_DEP_1) | instskip(NEXT) | instid1(VALU_DEP_1)
	v_pk_add_f32 v[44:45], v[44:45], v[48:49] neg_lo:[0,1] neg_hi:[0,1]
	v_add_f32_e32 v15, v15, v45
	s_delay_alu instid0(VALU_DEP_1) | instskip(NEXT) | instid1(VALU_DEP_1)
	v_add_f32_e32 v15, v44, v15
	v_add_f32_e32 v45, v47, v15
	s_delay_alu instid0(VALU_DEP_1) | instskip(NEXT) | instid1(VALU_DEP_1)
	v_mul_f32_e32 v52, v27, v45
	v_mul_f32_e32 v48, v50, v52
	s_delay_alu instid0(VALU_DEP_1) | instskip(NEXT) | instid1(VALU_DEP_1)
	v_fma_f32 v46, v52, v50, -v48
	v_dual_fmac_f32 v46, v52, v35 :: v_dual_sub_f32 v35, v47, v45
	s_delay_alu instid0(VALU_DEP_1) | instskip(NEXT) | instid1(VALU_DEP_1)
	v_dual_add_f32 v44, v48, v46 :: v_dual_add_f32 v15, v15, v35
	v_dual_mov_b32 v47, v44 :: v_dual_sub_f32 v49, v45, v44
	s_delay_alu instid0(VALU_DEP_1) | instskip(NEXT) | instid1(VALU_DEP_1)
	v_pk_add_f32 v[44:45], v[44:45], v[48:49] neg_lo:[0,1] neg_hi:[0,1]
	v_pk_add_f32 v[44:45], v[44:45], v[46:47] neg_lo:[0,1] neg_hi:[0,1]
	s_delay_alu instid0(VALU_DEP_1) | instskip(NEXT) | instid1(VALU_DEP_1)
	v_add_f32_e32 v15, v15, v45
	v_dual_add_f32 v35, v51, v52 :: v_dual_add_f32 v15, v44, v15
	s_delay_alu instid0(VALU_DEP_1) | instskip(NEXT) | instid1(VALU_DEP_1)
	v_sub_f32_e32 v44, v35, v51
	v_dual_add_f32 v15, v49, v15 :: v_dual_sub_f32 v44, v52, v44
	s_delay_alu instid0(VALU_DEP_1) | instskip(NEXT) | instid1(VALU_DEP_1)
	v_mul_f32_e32 v15, v27, v15
	v_add_f32_e32 v27, v44, v15
	v_cvt_f32_i32_e32 v44, v13
	s_delay_alu instid0(VALU_DEP_2) | instskip(NEXT) | instid1(VALU_DEP_1)
	v_add_f32_e32 v50, v35, v27
	v_mul_f32_e32 v15, v50, v50
	v_ldexp_f32 v49, v50, 1
	s_delay_alu instid0(VALU_DEP_2) | instskip(NEXT) | instid1(VALU_DEP_1)
	v_dual_fmaak_f32 v46, s9, v15, 0x3ecc95a3 :: v_dual_mul_f32 v45, v50, v15
	v_fmaak_f32 v15, v15, v46, 0x3f2aaada
	s_delay_alu instid0(VALU_DEP_1) | instskip(NEXT) | instid1(VALU_DEP_1)
	v_pk_mul_f32 v[46:47], v[44:45], v[14:15]
	v_fma_f32 v48, 0x3f317218, v44, -v46
	s_delay_alu instid0(VALU_DEP_1) | instskip(NEXT) | instid1(VALU_DEP_1)
	v_fmac_f32_e32 v48, 0xb102e308, v44
	v_pk_add_f32 v[44:45], v[46:47], v[48:49]
	s_delay_alu instid0(VALU_DEP_1) | instskip(NEXT) | instid1(VALU_DEP_2)
	v_dual_sub_f32 v15, v45, v49 :: v_dual_sub_f32 v13, v50, v35
	v_dual_mov_b32 v49, v44 :: v_dual_mov_b32 v50, v46
	s_delay_alu instid0(VALU_DEP_2) | instskip(NEXT) | instid1(VALU_DEP_3)
	v_dual_mov_b32 v58, v45 :: v_dual_sub_f32 v15, v47, v15
	v_sub_f32_e32 v13, v27, v13
	v_pk_add_f32 v[46:47], v[44:45], v[46:47] neg_lo:[0,1] neg_hi:[0,1]
	s_delay_alu instid0(VALU_DEP_2) | instskip(NEXT) | instid1(VALU_DEP_1)
	v_ldexp_f32 v13, v13, 1
	v_add_f32_e32 v51, v13, v15
	s_delay_alu instid0(VALU_DEP_1) | instskip(NEXT) | instid1(VALU_DEP_1)
	v_pk_add_f32 v[52:53], v[44:45], v[50:51]
	v_mov_b32_e32 v47, v53
	s_delay_alu instid0(VALU_DEP_1) | instskip(SKIP_1) | instid1(VALU_DEP_2)
	v_pk_add_f32 v[54:55], v[48:49], v[46:47]
	v_pk_add_f32 v[46:47], v[48:49], v[46:47] neg_lo:[0,1] neg_hi:[0,1]
	v_dual_mov_b32 v50, v55 :: v_dual_mov_b32 v47, v55
	s_delay_alu instid0(VALU_DEP_1) | instskip(SKIP_1) | instid1(VALU_DEP_2)
	v_pk_add_f32 v[56:57], v[50:51], v[44:45] neg_lo:[0,1] neg_hi:[0,1]
	v_dual_mov_b32 v54, v53 :: v_dual_mov_b32 v45, v44
	v_dual_mov_b32 v44, v51 :: v_dual_mov_b32 v59, v56
	v_mov_b32_e32 v13, v56
	s_delay_alu instid0(VALU_DEP_2) | instskip(NEXT) | instid1(VALU_DEP_2)
	v_pk_add_f32 v[56:57], v[54:55], v[58:59] neg_lo:[0,1] neg_hi:[0,1]
	v_pk_add_f32 v[48:49], v[52:53], v[12:13] neg_lo:[0,1] neg_hi:[0,1]
	v_mov_b32_e32 v48, v46
	s_delay_alu instid0(VALU_DEP_3) | instskip(NEXT) | instid1(VALU_DEP_1)
	v_pk_add_f32 v[44:45], v[44:45], v[56:57] neg_lo:[0,1] neg_hi:[0,1]
	v_pk_add_f32 v[48:49], v[48:49], v[44:45]
	s_delay_alu instid0(VALU_DEP_1) | instskip(NEXT) | instid1(VALU_DEP_1)
	v_mov_b32_e32 v52, v49
	v_pk_add_f32 v[52:53], v[48:49], v[52:53]
	s_delay_alu instid0(VALU_DEP_1) | instskip(NEXT) | instid1(VALU_DEP_1)
	v_pk_add_f32 v[50:51], v[50:51], v[52:53]
	v_dual_mov_b32 v45, v52 :: v_dual_mov_b32 v49, v50
	s_delay_alu instid0(VALU_DEP_1) | instskip(NEXT) | instid1(VALU_DEP_1)
	v_pk_add_f32 v[54:55], v[48:49], v[46:47] neg_lo:[0,1] neg_hi:[0,1]
	v_sub_f32_e32 v13, v48, v54
	s_delay_alu instid0(VALU_DEP_2) | instskip(NEXT) | instid1(VALU_DEP_2)
	v_pk_add_f32 v[44:45], v[44:45], v[54:55] neg_lo:[0,1] neg_hi:[0,1]
	v_sub_f32_e32 v13, v46, v13
	s_delay_alu instid0(VALU_DEP_1) | instskip(NEXT) | instid1(VALU_DEP_1)
	v_add_f32_e32 v13, v44, v13
	v_add_f32_e32 v13, v13, v45
	s_delay_alu instid0(VALU_DEP_1) | instskip(NEXT) | instid1(VALU_DEP_1)
	v_add_f32_e32 v13, v50, v13
	v_cndmask_b32_e32 v13, 0x7f800000, v13, vcc_lo
	v_cmp_ngt_f32_e32 vcc_lo, -1.0, v34
	s_delay_alu instid0(VALU_DEP_2) | instskip(SKIP_1) | instid1(VALU_DEP_2)
	v_cndmask_b32_e32 v13, 0x7fc00000, v13, vcc_lo
	v_cmp_neq_f32_e32 vcc_lo, -1.0, v34
	v_cndmask_b32_e32 v13, 0xff800000, v13, vcc_lo
	v_cmp_gt_f32_e64 vcc_lo, 0x33800000, |v34|
	s_delay_alu instid0(VALU_DEP_2)
	v_cndmask_b32_e32 v13, v13, v34, vcc_lo
.LBB43_430:                             ;   in Loop: Header=BB43_401 Depth=1
	s_and_not1_saveexec_b32 s34, s34
	s_cbranch_execz .LBB43_432
; %bb.431:                              ;   in Loop: Header=BB43_401 Depth=1
	v_sub_f32_e64 v13, 1.0, |v30|
	s_delay_alu instid0(VALU_DEP_1) | instskip(NEXT) | instid1(VALU_DEP_1)
	v_mul_f32_e32 v13, v13, v40
	v_mul_f32_e32 v15, 0x4f800000, v13
	v_cmp_gt_f32_e32 vcc_lo, 0xf800000, v13
	s_delay_alu instid0(VALU_DEP_2) | instskip(NEXT) | instid1(VALU_DEP_1)
	v_cndmask_b32_e32 v13, v13, v15, vcc_lo
	v_sqrt_f32_e32 v15, v13
	v_nop
	s_delay_alu instid0(TRANS32_DEP_1) | instskip(NEXT) | instid1(VALU_DEP_1)
	v_dual_add_nc_u32 v27, -1, v15 :: v_dual_add_nc_u32 v34, 1, v15
	v_dual_fma_f32 v35, -v27, v15, v13 :: v_dual_fma_f32 v44, -v34, v15, v13
	s_delay_alu instid0(VALU_DEP_1) | instskip(NEXT) | instid1(VALU_DEP_1)
	v_cmp_ge_f32_e64 s7, 0, v35
	v_cndmask_b32_e64 v15, v15, v27, s7
	s_delay_alu instid0(VALU_DEP_3) | instskip(NEXT) | instid1(VALU_DEP_1)
	v_cmp_lt_f32_e64 s7, 0, v44
	v_cndmask_b32_e64 v15, v15, v34, s7
	s_delay_alu instid0(VALU_DEP_1) | instskip(NEXT) | instid1(VALU_DEP_1)
	v_mul_f32_e32 v27, 0x37800000, v15
	v_cndmask_b32_e32 v15, v15, v27, vcc_lo
	v_cmp_class_f32_e64 vcc_lo, v13, 0x260
	v_and_b32_e32 v27, 0x7fffffff, v31
	s_delay_alu instid0(VALU_DEP_3) | instskip(NEXT) | instid1(VALU_DEP_1)
	v_cndmask_b32_e32 v13, v15, v13, vcc_lo
	v_div_scale_f32 v15, null, v13, v13, v27
	v_div_scale_f32 v27, vcc_lo, v27, v13, v27
	s_delay_alu instid0(VALU_DEP_2) | instskip(SKIP_1) | instid1(TRANS32_DEP_1)
	v_rcp_f32_e32 v34, v15
	v_nop
	v_fma_f32 v35, -v15, v34, 1.0
	s_delay_alu instid0(VALU_DEP_1) | instskip(NEXT) | instid1(VALU_DEP_1)
	v_fmac_f32_e32 v34, v35, v34
	v_mul_f32_e32 v35, v27, v34
	s_delay_alu instid0(VALU_DEP_1) | instskip(NEXT) | instid1(VALU_DEP_1)
	v_fma_f32 v44, -v15, v35, v27
	v_fmac_f32_e32 v35, v44, v34
	s_delay_alu instid0(VALU_DEP_1) | instskip(NEXT) | instid1(VALU_DEP_1)
	v_fma_f32 v15, -v15, v35, v27
	v_div_fmas_f32 v15, v15, v34, v35
	s_delay_alu instid0(VALU_DEP_1)
	v_div_fixup_f32 v13, v15, v13, |v31|
.LBB43_432:                             ;   in Loop: Header=BB43_401 Depth=1
	s_or_b32 exec_lo, exec_lo, s34
.LBB43_433:                             ;   in Loop: Header=BB43_401 Depth=1
	s_delay_alu instid0(SALU_CYCLE_1)
	s_or_b32 exec_lo, exec_lo, s33
.LBB43_434:                             ;   in Loop: Header=BB43_401 Depth=1
	s_and_not1_saveexec_b32 s31, s31
	s_cbranch_execz .LBB43_436
; %bb.435:                              ;   in Loop: Header=BB43_401 Depth=1
	v_mul_f32_e64 v13, 0x4f800000, |v31|
	v_cmp_gt_f32_e64 vcc_lo, 0xf800000, |v31|
	s_delay_alu instid0(VALU_DEP_1) | instskip(NEXT) | instid1(VALU_DEP_1)
	v_cndmask_b32_e64 v13, |v31|, v13, vcc_lo
	v_sqrt_f32_e32 v15, v13
	v_nop
	s_delay_alu instid0(TRANS32_DEP_1) | instskip(NEXT) | instid1(VALU_DEP_1)
	v_dual_add_nc_u32 v27, -1, v15 :: v_dual_add_nc_u32 v34, 1, v15
	v_dual_fma_f32 v35, -v27, v15, v13 :: v_dual_fma_f32 v44, -v34, v15, v13
	s_delay_alu instid0(VALU_DEP_1) | instskip(NEXT) | instid1(VALU_DEP_1)
	v_cmp_ge_f32_e64 s7, 0, v35
	v_cndmask_b32_e64 v15, v15, v27, s7
	s_delay_alu instid0(VALU_DEP_3) | instskip(NEXT) | instid1(VALU_DEP_1)
	v_cmp_lt_f32_e64 s7, 0, v44
	v_cndmask_b32_e64 v15, v15, v34, s7
	s_delay_alu instid0(VALU_DEP_1) | instskip(NEXT) | instid1(VALU_DEP_1)
	v_mul_f32_e32 v27, 0x37800000, v15
	v_cndmask_b32_e32 v15, v15, v27, vcc_lo
	v_cmp_class_f32_e64 vcc_lo, v13, 0x260
	s_delay_alu instid0(VALU_DEP_2)
	v_cndmask_b32_e32 v13, v15, v13, vcc_lo
.LBB43_436:                             ;   in Loop: Header=BB43_401 Depth=1
	s_or_b32 exec_lo, exec_lo, s31
.LBB43_437:                             ;   in Loop: Header=BB43_401 Depth=1
	s_delay_alu instid0(SALU_CYCLE_1) | instskip(NEXT) | instid1(SALU_CYCLE_1)
	s_or_b32 exec_lo, exec_lo, s8
	s_mov_b32 s31, exec_lo
                                        ; implicit-def: $sgpr7
                                        ; implicit-def: $vgpr35
                                        ; implicit-def: $vgpr15
	v_cmpx_ngt_f32_e64 0x21000000, |v30|
	s_xor_b32 s31, exec_lo, s31
	s_cbranch_execz .LBB43_461
; %bb.438:                              ;   in Loop: Header=BB43_401 Depth=1
	v_and_b32_e32 v34, 0x7fffffff, v30
	s_mov_b32 s7, 0
	s_mov_b32 s33, exec_lo
	s_delay_alu instid0(VALU_DEP_1) | instskip(NEXT) | instid1(VALU_DEP_1)
	v_div_scale_f32 v15, null, v26, v26, v34
	v_rcp_f32_e32 v27, v15
	v_nop
	s_delay_alu instid0(TRANS32_DEP_1) | instskip(NEXT) | instid1(VALU_DEP_1)
	v_fma_f32 v35, -v15, v27, 1.0
	v_fmac_f32_e32 v27, v35, v27
	v_div_scale_f32 v35, vcc_lo, v34, v26, v34
	s_delay_alu instid0(VALU_DEP_1) | instskip(NEXT) | instid1(VALU_DEP_1)
	v_mul_f32_e32 v44, v35, v27
	v_fma_f32 v45, -v15, v44, v35
	s_delay_alu instid0(VALU_DEP_1) | instskip(NEXT) | instid1(VALU_DEP_1)
	v_fmac_f32_e32 v44, v45, v27
	v_fma_f32 v15, -v15, v44, v35
	s_delay_alu instid0(VALU_DEP_1) | instskip(NEXT) | instid1(VALU_DEP_1)
	v_div_fmas_f32 v15, v15, v27, v44
	v_div_fixup_f32 v15, v15, v26, |v30|
	s_delay_alu instid0(VALU_DEP_1)
	v_cmpx_lt_f32_e32 0x3f244674, v15
	s_cbranch_execz .LBB43_460
; %bb.439:                              ;   in Loop: Header=BB43_401 Depth=1
	v_cmp_neq_f32_e64 s7, |v30|, 1.0
	v_cmp_ngt_f32_e64 s8, 0x30800000, |v31|
	s_or_b32 s7, s8, s7
	s_delay_alu instid0(SALU_CYCLE_1) | instskip(NEXT) | instid1(SALU_CYCLE_1)
	s_and_saveexec_b32 s8, s7
	s_xor_b32 s8, exec_lo, s8
	s_cbranch_execz .LBB43_457
; %bb.440:                              ;   in Loop: Header=BB43_401 Depth=1
	v_mul_f32_e64 v27, 0x34000000, |v39|
	s_mov_b32 s34, exec_lo
	s_delay_alu instid0(VALU_DEP_1)
	v_cmpx_ge_f32_e64 |v31|, v27
	s_xor_b32 s34, exec_lo, s34
	s_cbranch_execz .LBB43_450
; %bb.441:                              ;   in Loop: Header=BB43_401 Depth=1
	v_mov_b32_e32 v27, v42
	s_mov_b32 s7, exec_lo
	v_cmpx_neq_f32_e32 0, v40
	s_cbranch_execz .LBB43_443
; %bb.442:                              ;   in Loop: Header=BB43_401 Depth=1
	v_mul_f32_e32 v27, v31, v31
	v_add_f32_e32 v35, v40, v43
	s_delay_alu instid0(VALU_DEP_1) | instskip(NEXT) | instid1(VALU_DEP_1)
	v_div_scale_f32 v40, null, v35, v35, v27
	v_rcp_f32_e32 v43, v40
	v_nop
	s_delay_alu instid0(TRANS32_DEP_1) | instskip(NEXT) | instid1(VALU_DEP_1)
	v_fma_f32 v44, -v40, v43, 1.0
	v_fmac_f32_e32 v43, v44, v43
	v_div_scale_f32 v44, vcc_lo, v27, v35, v27
	s_delay_alu instid0(VALU_DEP_1) | instskip(NEXT) | instid1(VALU_DEP_1)
	v_mul_f32_e32 v45, v44, v43
	v_fma_f32 v46, -v40, v45, v44
	s_delay_alu instid0(VALU_DEP_1) | instskip(NEXT) | instid1(VALU_DEP_1)
	v_fmac_f32_e32 v45, v46, v43
	v_fma_f32 v40, -v40, v45, v44
	s_delay_alu instid0(VALU_DEP_1) | instskip(NEXT) | instid1(VALU_DEP_1)
	v_div_fmas_f32 v40, v40, v43, v45
	v_div_fixup_f32 v27, v40, v35, v27
.LBB43_443:                             ;   in Loop: Header=BB43_401 Depth=1
	s_or_b32 exec_lo, exec_lo, s7
	s_delay_alu instid0(SALU_CYCLE_1)
	s_mov_b32 s7, exec_lo
	v_cmpx_ngt_f32_e32 0, v39
	s_xor_b32 s7, exec_lo, s7
	s_cbranch_execz .LBB43_447
; %bb.444:                              ;   in Loop: Header=BB43_401 Depth=1
	s_mov_b32 s35, exec_lo
	v_cmpx_neq_f32_e32 0, v39
	s_cbranch_execz .LBB43_446
; %bb.445:                              ;   in Loop: Header=BB43_401 Depth=1
	v_mul_f32_e32 v31, v31, v31
	v_add_f32_e32 v35, v39, v41
	s_delay_alu instid0(VALU_DEP_1) | instskip(NEXT) | instid1(VALU_DEP_1)
	v_div_scale_f32 v39, null, v35, v35, v31
	v_rcp_f32_e32 v40, v39
	v_nop
	s_delay_alu instid0(TRANS32_DEP_1) | instskip(NEXT) | instid1(VALU_DEP_1)
	v_fma_f32 v41, -v39, v40, 1.0
	v_fmac_f32_e32 v40, v41, v40
	v_div_scale_f32 v41, vcc_lo, v31, v35, v31
	s_delay_alu instid0(VALU_DEP_1) | instskip(NEXT) | instid1(VALU_DEP_1)
	v_mul_f32_e32 v42, v41, v40
	v_fma_f32 v43, -v39, v42, v41
	s_delay_alu instid0(VALU_DEP_1) | instskip(NEXT) | instid1(VALU_DEP_1)
	v_fmac_f32_e32 v42, v43, v40
	v_fma_f32 v39, -v39, v42, v41
	s_delay_alu instid0(VALU_DEP_1) | instskip(NEXT) | instid1(VALU_DEP_1)
	v_div_fmas_f32 v39, v39, v40, v42
	v_div_fixup_f32 v42, v39, v35, v31
.LBB43_446:                             ;   in Loop: Header=BB43_401 Depth=1
	s_or_b32 exec_lo, exec_lo, s35
                                        ; implicit-def: $vgpr41
                                        ; implicit-def: $vgpr39
.LBB43_447:                             ;   in Loop: Header=BB43_401 Depth=1
	s_and_not1_saveexec_b32 s7, s7
; %bb.448:                              ;   in Loop: Header=BB43_401 Depth=1
	v_sub_f32_e32 v42, v41, v39
; %bb.449:                              ;   in Loop: Header=BB43_401 Depth=1
	s_or_b32 exec_lo, exec_lo, s7
	s_delay_alu instid0(VALU_DEP_1) | instskip(SKIP_1) | instid1(VALU_DEP_1)
	v_dual_mul_f32 v31, 0.5, v27 :: v_dual_mul_f32 v27, 0.5, v42
	v_and_b32_e32 v30, 0x7fffffff, v30
                                        ; implicit-def: $vgpr40
	v_pk_add_f32 v[26:27], v[30:31], v[26:27]
	s_delay_alu instid0(VALU_DEP_1) | instskip(NEXT) | instid1(VALU_DEP_1)
	v_mul_f32_e32 v26, v26, v27
	v_mul_f32_e32 v27, 0x4f800000, v26
	v_cmp_gt_f32_e32 vcc_lo, 0xf800000, v26
	s_delay_alu instid0(VALU_DEP_2) | instskip(NEXT) | instid1(VALU_DEP_1)
	v_cndmask_b32_e32 v26, v26, v27, vcc_lo
	v_sqrt_f32_e32 v27, v26
	v_nop
	s_delay_alu instid0(TRANS32_DEP_1) | instskip(NEXT) | instid1(VALU_DEP_1)
	v_dual_add_nc_u32 v30, -1, v27 :: v_dual_add_nc_u32 v31, 1, v27
	v_dual_fma_f32 v35, -v30, v27, v26 :: v_dual_fma_f32 v39, -v31, v27, v26
	s_delay_alu instid0(VALU_DEP_1) | instskip(NEXT) | instid1(VALU_DEP_1)
	v_cmp_ge_f32_e64 s7, 0, v35
	v_cndmask_b32_e64 v27, v27, v30, s7
	s_delay_alu instid0(VALU_DEP_3) | instskip(NEXT) | instid1(VALU_DEP_1)
	v_cmp_lt_f32_e64 s7, 0, v39
                                        ; implicit-def: $vgpr39
	v_cndmask_b32_e64 v27, v27, v31, s7
	s_delay_alu instid0(VALU_DEP_1) | instskip(NEXT) | instid1(VALU_DEP_1)
	v_mul_f32_e32 v30, 0x37800000, v27
	v_cndmask_b32_e32 v27, v27, v30, vcc_lo
	v_cmp_class_f32_e64 vcc_lo, v26, 0x260
                                        ; implicit-def: $vgpr31
	s_delay_alu instid0(VALU_DEP_2)
	v_cndmask_b32_e32 v35, v27, v26, vcc_lo
.LBB43_450:                             ;   in Loop: Header=BB43_401 Depth=1
	s_and_not1_saveexec_b32 s34, s34
	s_cbranch_execz .LBB43_456
; %bb.451:                              ;   in Loop: Header=BB43_401 Depth=1
	s_mov_b32 s35, exec_lo
	v_cmpx_ngt_f32_e64 |v30|, 1.0
	s_xor_b32 s35, exec_lo, s35
	s_cbranch_execz .LBB43_453
; %bb.452:                              ;   in Loop: Header=BB43_401 Depth=1
	v_sub_f32_e64 v26, 1.0, |v30|
	s_delay_alu instid0(VALU_DEP_1) | instskip(NEXT) | instid1(VALU_DEP_1)
	v_mul_f32_e32 v26, v26, v40
                                        ; implicit-def: $vgpr40
	v_mul_f32_e32 v27, 0x4f800000, v26
	v_cmp_gt_f32_e32 vcc_lo, 0xf800000, v26
	s_delay_alu instid0(VALU_DEP_2) | instskip(NEXT) | instid1(VALU_DEP_1)
	v_cndmask_b32_e32 v26, v26, v27, vcc_lo
	v_sqrt_f32_e32 v27, v26
	v_nop
	s_delay_alu instid0(TRANS32_DEP_1) | instskip(NEXT) | instid1(VALU_DEP_1)
	v_dual_add_nc_u32 v30, -1, v27 :: v_dual_add_nc_u32 v31, 1, v27
	v_dual_fma_f32 v35, -v30, v27, v26 :: v_dual_fma_f32 v39, -v31, v27, v26
	s_delay_alu instid0(VALU_DEP_1) | instskip(NEXT) | instid1(VALU_DEP_1)
	v_cmp_ge_f32_e64 s7, 0, v35
	v_cndmask_b32_e64 v27, v27, v30, s7
	s_delay_alu instid0(VALU_DEP_3) | instskip(NEXT) | instid1(VALU_DEP_1)
	v_cmp_lt_f32_e64 s7, 0, v39
                                        ; implicit-def: $vgpr39
	v_cndmask_b32_e64 v27, v27, v31, s7
	s_delay_alu instid0(VALU_DEP_1) | instskip(NEXT) | instid1(VALU_DEP_1)
	v_mul_f32_e32 v30, 0x37800000, v27
	v_cndmask_b32_e32 v27, v27, v30, vcc_lo
	v_cmp_class_f32_e64 vcc_lo, v26, 0x260
                                        ; implicit-def: $vgpr31
	s_delay_alu instid0(VALU_DEP_2)
	v_cndmask_b32_e32 v35, v27, v26, vcc_lo
.LBB43_453:                             ;   in Loop: Header=BB43_401 Depth=1
	s_and_not1_saveexec_b32 s35, s35
	s_cbranch_execz .LBB43_455
; %bb.454:                              ;   in Loop: Header=BB43_401 Depth=1
	v_mul_f32_e32 v26, v40, v39
	v_mul_f32_e64 v31, 0x57800000, |v31|
	s_delay_alu instid0(VALU_DEP_2) | instskip(SKIP_1) | instid1(VALU_DEP_3)
	v_mul_f32_e32 v27, 0x4f800000, v26
	v_cmp_gt_f32_e32 vcc_lo, 0xf800000, v26
	v_mul_f32_e64 v31, |v30|, v31
	s_delay_alu instid0(VALU_DEP_3) | instskip(NEXT) | instid1(VALU_DEP_1)
	v_cndmask_b32_e32 v26, v26, v27, vcc_lo
	v_sqrt_f32_e32 v27, v26
	v_nop
	s_delay_alu instid0(TRANS32_DEP_1) | instskip(NEXT) | instid1(VALU_DEP_1)
	v_dual_add_nc_u32 v34, -1, v27 :: v_dual_add_nc_u32 v35, 1, v27
	v_dual_fma_f32 v39, -v34, v27, v26 :: v_dual_fma_f32 v40, -v35, v27, v26
	s_delay_alu instid0(VALU_DEP_1) | instskip(NEXT) | instid1(VALU_DEP_1)
	v_cmp_ge_f32_e64 s7, 0, v39
	v_cndmask_b32_e64 v27, v27, v34, s7
	s_delay_alu instid0(VALU_DEP_3) | instskip(NEXT) | instid1(VALU_DEP_1)
	v_cmp_lt_f32_e64 s7, 0, v40
	v_cndmask_b32_e64 v27, v27, v35, s7
	s_delay_alu instid0(VALU_DEP_1) | instskip(NEXT) | instid1(VALU_DEP_1)
	v_mul_f32_e32 v34, 0x37800000, v27
	v_cndmask_b32_e32 v27, v27, v34, vcc_lo
	v_cmp_class_f32_e64 vcc_lo, v26, 0x260
	s_delay_alu instid0(VALU_DEP_2) | instskip(NEXT) | instid1(VALU_DEP_1)
	v_cndmask_b32_e32 v26, v27, v26, vcc_lo
	v_div_scale_f32 v27, null, v26, v26, v31
	v_div_scale_f32 v39, vcc_lo, v31, v26, v31
	s_delay_alu instid0(VALU_DEP_2) | instskip(SKIP_1) | instid1(TRANS32_DEP_1)
	v_rcp_f32_e32 v34, v27
	v_nop
	v_fma_f32 v35, -v27, v34, 1.0
	s_delay_alu instid0(VALU_DEP_1) | instskip(NEXT) | instid1(VALU_DEP_1)
	v_fmac_f32_e32 v34, v35, v34
	v_mul_f32_e32 v35, v39, v34
	s_delay_alu instid0(VALU_DEP_1) | instskip(NEXT) | instid1(VALU_DEP_1)
	v_fma_f32 v40, -v27, v35, v39
	v_fmac_f32_e32 v35, v40, v34
	s_delay_alu instid0(VALU_DEP_1) | instskip(NEXT) | instid1(VALU_DEP_1)
	v_fma_f32 v27, -v27, v35, v39
	v_div_fmas_f32 v27, v27, v34, v35
	v_mul_f32_e64 v34, 0x57800000, |v30|
	s_delay_alu instid0(VALU_DEP_2)
	v_div_fixup_f32 v35, v27, v26, v31
.LBB43_455:                             ;   in Loop: Header=BB43_401 Depth=1
	s_or_b32 exec_lo, exec_lo, s35
.LBB43_456:                             ;   in Loop: Header=BB43_401 Depth=1
	s_delay_alu instid0(SALU_CYCLE_1)
	s_or_b32 exec_lo, exec_lo, s34
                                        ; implicit-def: $vgpr31
                                        ; implicit-def: $vgpr26
.LBB43_457:                             ;   in Loop: Header=BB43_401 Depth=1
	s_and_not1_saveexec_b32 s34, s8
	s_cbranch_execz .LBB43_459
; %bb.458:                              ;   in Loop: Header=BB43_401 Depth=1
	v_add_f32_e32 v26, 1.0, v26
	v_mul_f32_e64 v27, 0x4f800000, |v31|
	v_cmp_gt_f32_e64 vcc_lo, 0xf800000, |v31|
	s_delay_alu instid0(VALU_DEP_3) | instskip(NEXT) | instid1(VALU_DEP_2)
	v_mul_f32_e32 v26, 0.5, v26
	v_cndmask_b32_e64 v27, |v31|, v27, vcc_lo
	s_delay_alu instid0(VALU_DEP_2) | instskip(SKIP_1) | instid1(VALU_DEP_1)
	v_mul_f32_e32 v30, 0x4f800000, v26
	v_cmp_gt_f32_e64 s7, 0xf800000, v26
	v_cndmask_b32_e64 v26, v26, v30, s7
	s_delay_alu instid0(VALU_DEP_4) | instskip(SKIP_1) | instid1(TRANS32_DEP_1)
	v_sqrt_f32_e32 v30, v27
	v_nop
	v_add_nc_u32_e32 v34, -1, v30
	s_delay_alu instid0(VALU_DEP_3) | instskip(NEXT) | instid1(VALU_DEP_1)
	v_sqrt_f32_e32 v31, v26
	v_dual_add_nc_u32 v39, 1, v30 :: v_dual_fma_f32 v40, -v34, v30, v27
	s_delay_alu instid0(TRANS32_DEP_1) | instskip(NEXT) | instid1(VALU_DEP_2)
	v_dual_add_nc_u32 v35, -1, v31 :: v_dual_add_nc_u32 v41, 1, v31
	v_cmp_ge_f32_e64 s8, 0, v40
	s_delay_alu instid0(VALU_DEP_3) | instskip(NEXT) | instid1(VALU_DEP_2)
	v_fma_f32 v43, -v39, v30, v27
	v_dual_fma_f32 v42, -v35, v31, v26 :: v_dual_cndmask_b32 v30, v30, v34, s8
	s_delay_alu instid0(VALU_DEP_4) | instskip(NEXT) | instid1(VALU_DEP_2)
	v_fma_f32 v34, -v41, v31, v26
	v_cmp_ge_f32_e64 s8, 0, v42
	s_delay_alu instid0(VALU_DEP_1) | instskip(SKIP_1) | instid1(VALU_DEP_1)
	v_cndmask_b32_e64 v31, v31, v35, s8
	v_cmp_lt_f32_e64 s8, 0, v43
	v_cndmask_b32_e64 v30, v30, v39, s8
	v_cmp_lt_f32_e64 s8, 0, v34
	s_delay_alu instid0(VALU_DEP_2) | instskip(NEXT) | instid1(VALU_DEP_1)
	v_mul_f32_e32 v34, 0x37800000, v30
	v_dual_cndmask_b32 v30, v30, v34, vcc_lo :: v_dual_cndmask_b32 v31, v31, v41, s8
	v_cmp_class_f32_e64 vcc_lo, v27, 0x260
	s_delay_alu instid0(VALU_DEP_2) | instskip(NEXT) | instid1(VALU_DEP_1)
	v_dual_mov_b32 v34, 1.0 :: v_dual_mul_f32 v35, 0x37800000, v31
	v_cndmask_b32_e64 v31, v31, v35, s7
	s_delay_alu instid0(VALU_DEP_4) | instskip(SKIP_1) | instid1(VALU_DEP_3)
	v_cndmask_b32_e32 v27, v30, v27, vcc_lo
	v_cmp_class_f32_e64 vcc_lo, v26, 0x260
	v_cndmask_b32_e32 v26, v31, v26, vcc_lo
	s_delay_alu instid0(VALU_DEP_1)
	v_mul_f32_e32 v35, v27, v26
.LBB43_459:                             ;   in Loop: Header=BB43_401 Depth=1
	s_or_b32 exec_lo, exec_lo, s34
	s_delay_alu instid0(SALU_CYCLE_1)
	s_mov_b32 s7, exec_lo
.LBB43_460:                             ;   in Loop: Header=BB43_401 Depth=1
	s_or_b32 exec_lo, exec_lo, s33
                                        ; implicit-def: $vgpr30
                                        ; implicit-def: $vgpr26
.LBB43_461:                             ;   in Loop: Header=BB43_401 Depth=1
	s_and_not1_saveexec_b32 s8, s31
; %bb.462:                              ;   in Loop: Header=BB43_401 Depth=1
	v_and_b32_e32 v30, 0x7fffffff, v30
	v_mov_b32_e32 v31, v26
	s_or_b32 s7, s7, exec_lo
                                        ; implicit-def: $vgpr15
	s_delay_alu instid0(VALU_DEP_1)
	v_pk_mul_f32 v[34:35], v[30:31], s[24:25] op_sel_hi:[1,0]
; %bb.463:                              ;   in Loop: Header=BB43_401 Depth=1
	s_or_b32 exec_lo, exec_lo, s8
	s_xor_b32 s7, s7, -1
                                        ; implicit-def: $vgpr26
	s_delay_alu instid0(SALU_CYCLE_1) | instskip(NEXT) | instid1(SALU_CYCLE_1)
	s_and_saveexec_b32 s8, s7
	s_xor_b32 s8, exec_lo, s8
	s_cbranch_execz .LBB43_469
; %bb.464:                              ;   in Loop: Header=BB43_401 Depth=1
                                        ; implicit-def: $vgpr26
	s_and_saveexec_b32 s7, s6
	s_delay_alu instid0(SALU_CYCLE_1)
	s_xor_b32 s7, exec_lo, s7
	s_cbranch_execz .LBB43_466
; %bb.465:                              ;   in Loop: Header=BB43_401 Depth=1
	v_fma_f32 v26, |v15|, -0.5, 0.5
	v_mul_f32_e32 v27, v15, v15
	v_cmp_gt_f32_e64 vcc_lo, |v15|, 0.5
	s_delay_alu instid0(VALU_DEP_2) | instskip(NEXT) | instid1(VALU_DEP_1)
	v_cndmask_b32_e32 v26, v27, v26, vcc_lo
	v_fmaak_f32 v27, s25, v26, 0x3c5fc5da
	v_sqrt_f32_e32 v30, v26
	s_delay_alu instid0(VALU_DEP_1) | instskip(NEXT) | instid1(VALU_DEP_1)
	v_fmaak_f32 v27, v26, v27, 0x3d034c3c
	v_fmaak_f32 v27, v26, v27, 0x3d3641b1
	s_delay_alu instid0(VALU_DEP_1) | instskip(NEXT) | instid1(VALU_DEP_1)
	v_fmaak_f32 v27, v26, v27, 0x3d999bc8
	v_fmaak_f32 v27, v26, v27, 0x3e2aaaac
	s_delay_alu instid0(VALU_DEP_1)
	v_mul_f32_e32 v26, v26, v27
	s_delay_alu instid0(TRANS32_DEP_1) | instid1(VALU_DEP_1)
	v_dual_fmac_f32 v30, v30, v26 :: v_dual_fmac_f32 v15, v15, v26
	s_delay_alu instid0(VALU_DEP_1) | instskip(NEXT) | instid1(VALU_DEP_1)
	v_dual_add_f32 v26, v30, v30 :: v_dual_sub_f32 v15, 0x3fc90fdb, v15
	v_cndmask_b32_e32 v26, v15, v26, vcc_lo
                                        ; implicit-def: $vgpr15
.LBB43_466:                             ;   in Loop: Header=BB43_401 Depth=1
	s_and_not1_saveexec_b32 s31, s7
	s_cbranch_execz .LBB43_468
; %bb.467:                              ;   in Loop: Header=BB43_401 Depth=1
	v_fma_f32 v26, |v15|, -0.5, 0.5
	v_mul_f32_e32 v27, v15, v15
	v_cmp_gt_f32_e64 vcc_lo, |v15|, 0.5
	v_cmp_lt_f32_e64 s7, 0, v15
	s_delay_alu instid0(VALU_DEP_3) | instskip(NEXT) | instid1(VALU_DEP_1)
	v_cndmask_b32_e32 v26, v27, v26, vcc_lo
	v_fmaak_f32 v27, s25, v26, 0x3c5fc5da
	v_sqrt_f32_e32 v30, v26
	s_delay_alu instid0(VALU_DEP_1) | instskip(NEXT) | instid1(VALU_DEP_1)
	v_fmaak_f32 v27, v26, v27, 0x3d034c3c
	v_fmaak_f32 v27, v26, v27, 0x3d3641b1
	s_delay_alu instid0(VALU_DEP_1) | instskip(NEXT) | instid1(VALU_DEP_1)
	v_fmaak_f32 v27, v26, v27, 0x3d999bc8
	v_fmaak_f32 v27, v26, v27, 0x3e2aaaac
	s_delay_alu instid0(VALU_DEP_1)
	v_mul_f32_e32 v26, v26, v27
	s_delay_alu instid0(TRANS32_DEP_1) | instid1(VALU_DEP_1)
	v_dual_fmac_f32 v30, v30, v26 :: v_dual_fma_f32 v26, -v15, v26, -v15
	s_delay_alu instid0(VALU_DEP_1) | instskip(NEXT) | instid1(VALU_DEP_2)
	v_add_f32_e32 v27, v30, v30
	v_sub_f32_e32 v26, 0x3fc90fdb, v26
	s_delay_alu instid0(VALU_DEP_2) | instskip(NEXT) | instid1(VALU_DEP_1)
	v_sub_f32_e32 v30, 0x40490fdb, v27
	v_cndmask_b32_e64 v15, v27, v30, s7
	s_delay_alu instid0(VALU_DEP_1)
	v_cndmask_b32_e32 v26, v26, v15, vcc_lo
.LBB43_468:                             ;   in Loop: Header=BB43_401 Depth=1
	s_or_b32 exec_lo, exec_lo, s31
                                        ; implicit-def: $vgpr34
.LBB43_469:                             ;   in Loop: Header=BB43_401 Depth=1
	s_and_not1_saveexec_b32 s7, s8
	s_cbranch_execz .LBB43_475
; %bb.470:                              ;   in Loop: Header=BB43_401 Depth=1
	v_max_num_f32_e64 v15, |v35|, |v35|
	v_max_num_f32_e32 v26, v34, v34
	v_cmp_gt_f32_e64 vcc_lo, |v35|, v34
	s_delay_alu instid0(VALU_DEP_2) | instskip(NEXT) | instid1(VALU_DEP_1)
	v_dual_max_num_f32 v27, v26, v15 :: v_dual_min_num_f32 v15, v26, v15
	v_frexp_mant_f32_e32 v30, v27
	v_frexp_exp_i32_f32_e32 v27, v27
	s_delay_alu instid0(VALU_DEP_2)
	v_rcp_f32_e32 v26, v30
	v_nop
	v_frexp_mant_f32_e32 v30, v15
	v_frexp_exp_i32_f32_e32 v15, v15
	s_delay_alu instid0(TRANS32_DEP_1) | instid1(VALU_DEP_1)
	v_dual_mul_f32 v26, v30, v26 :: v_dual_sub_nc_u32 v15, v15, v27
	s_delay_alu instid0(VALU_DEP_1) | instskip(NEXT) | instid1(VALU_DEP_1)
	v_ldexp_f32 v15, v26, v15
	v_mul_f32_e32 v26, v15, v15
	s_delay_alu instid0(VALU_DEP_1) | instskip(NEXT) | instid1(VALU_DEP_1)
	v_fmaak_f32 v27, s26, v26, 0xbc7a590c
	v_fmaak_f32 v27, v26, v27, 0x3d29fb3f
	s_delay_alu instid0(VALU_DEP_1) | instskip(NEXT) | instid1(VALU_DEP_1)
	v_fmaak_f32 v27, v26, v27, 0xbd97d4d7
	v_fmaak_f32 v27, v26, v27, 0x3dd931b2
	;; [unrolled: 3-line block ×3, first 2 shown]
	s_delay_alu instid0(VALU_DEP_1) | instskip(NEXT) | instid1(VALU_DEP_1)
	v_fmaak_f32 v27, v26, v27, 0xbeaaaa62
	v_mul_f32_e32 v26, v26, v27
	s_delay_alu instid0(VALU_DEP_1) | instskip(NEXT) | instid1(VALU_DEP_1)
	v_fmac_f32_e32 v15, v15, v26
	v_sub_f32_e32 v26, 0x3fc90fdb, v15
	s_delay_alu instid0(VALU_DEP_1) | instskip(SKIP_1) | instid1(SALU_CYCLE_1)
	v_cndmask_b32_e32 v15, v15, v26, vcc_lo
                                        ; implicit-def: $vgpr26
	s_and_saveexec_b32 s8, s6
	s_xor_b32 s8, exec_lo, s8
	s_cbranch_execz .LBB43_472
; %bb.471:                              ;   in Loop: Header=BB43_401 Depth=1
	v_cmp_neq_f32_e64 s6, 0, v35
	v_cmp_eq_f32_e32 vcc_lo, 0x7f800000, v34
	v_cmp_class_f32_e64 s31, v35, 0x204
	s_delay_alu instid0(VALU_DEP_3) | instskip(SKIP_2) | instid1(VALU_DEP_2)
	v_cndmask_b32_e64 v15, 0, v15, s6
	s_and_b32 s6, vcc_lo, s31
	v_cmp_o_f32_e32 vcc_lo, v35, v35
	v_cndmask_b32_e64 v15, v15, 0x3f490fdb, s6
	s_delay_alu instid0(VALU_DEP_1) | instskip(NEXT) | instid1(VALU_DEP_1)
	v_cndmask_b32_e32 v15, 0x7fc00000, v15, vcc_lo
	v_bfi_b32 v26, 0x7fffffff, v15, v35
                                        ; implicit-def: $vgpr15
                                        ; implicit-def: $vgpr34
.LBB43_472:                             ;   in Loop: Header=BB43_401 Depth=1
	s_and_not1_saveexec_b32 s8, s8
	s_cbranch_execz .LBB43_474
; %bb.473:                              ;   in Loop: Header=BB43_401 Depth=1
	v_sub_f32_e32 v26, 0x40490fdb, v15
	v_cmp_lt_f32_e32 vcc_lo, 0, v34
	v_cmp_neq_f32_e64 s6, 0, v35
	v_cmp_class_f32_e64 s31, v35, 0x204
	s_delay_alu instid0(VALU_DEP_4) | instskip(SKIP_1) | instid1(VALU_DEP_2)
	v_cndmask_b32_e32 v15, v15, v26, vcc_lo
	v_cmp_eq_f32_e32 vcc_lo, 0x7f800000, v34
	v_cndmask_b32_e64 v15, 0x40490fdb, v15, s6
	s_and_b32 s6, vcc_lo, s31
	v_cmp_o_f32_e32 vcc_lo, v35, v35
	s_delay_alu instid0(VALU_DEP_2) | instskip(NEXT) | instid1(VALU_DEP_1)
	v_cndmask_b32_e64 v15, v15, 0x4016cbe4, s6
	v_cndmask_b32_e32 v15, 0x7fc00000, v15, vcc_lo
	s_delay_alu instid0(VALU_DEP_1)
	v_bfi_b32 v26, 0x7fffffff, v15, v35
.LBB43_474:                             ;   in Loop: Header=BB43_401 Depth=1
	s_or_b32 exec_lo, exec_lo, s8
.LBB43_475:                             ;   in Loop: Header=BB43_401 Depth=1
	s_delay_alu instid0(SALU_CYCLE_1)
	s_or_b32 exec_lo, exec_lo, s7
	v_cndmask_b32_e64 v27, -v13, v13, s4
                                        ; implicit-def: $vgpr30
.LBB43_476:                             ;   in Loop: Header=BB43_401 Depth=1
	s_and_not1_saveexec_b32 s6, s30
	s_cbranch_execz .LBB43_478
; %bb.477:                              ;   in Loop: Header=BB43_401 Depth=1
	flat_load_b32 v13, v[6:7] scope:SCOPE_SYS
	s_wait_loadcnt_dscnt 0x0
	v_sub_f32_e32 v13, v13, v30
	s_delay_alu instid0(VALU_DEP_1)
	v_add_f32_e32 v26, 0x3fc90fdb, v13
.LBB43_478:                             ;   in Loop: Header=BB43_401 Depth=1
	s_or_b32 exec_lo, exec_lo, s6
.LBB43_479:                             ;   in Loop: Header=BB43_401 Depth=1
	s_and_not1_saveexec_b32 s6, s29
; %bb.480:                              ;   in Loop: Header=BB43_401 Depth=1
	v_mov_b32_e32 v26, 0
; %bb.481:                              ;   in Loop: Header=BB43_401 Depth=1
	s_or_b32 exec_lo, exec_lo, s6
                                        ; implicit-def: $vgpr30
                                        ; implicit-def: $vgpr34
                                        ; implicit-def: $vgpr13
                                        ; implicit-def: $vgpr15
.LBB43_482:                             ;   in Loop: Header=BB43_401 Depth=1
	s_and_not1_saveexec_b32 s8, s28
	s_cbranch_execz .LBB43_492
; %bb.483:                              ;   in Loop: Header=BB43_401 Depth=1
	v_cmp_lt_f32_e64 s6, |v30|, |v31|
                                        ; implicit-def: $vgpr27
                                        ; implicit-def: $vgpr26
	s_mov_b32 s7, exec_lo
	v_cndmask_b32_e64 v35, |v30|, |v31|, s6
	s_delay_alu instid0(VALU_DEP_1)
	v_cmpx_nlt_f32_e32 0x7effffff, v35
	s_xor_b32 s28, exec_lo, s7
	s_cbranch_execz .LBB43_489
; %bb.484:                              ;   in Loop: Header=BB43_401 Depth=1
	v_cndmask_b32_e64 v39, |v31|, |v30|, s6
	v_cmp_nlt_f32_e32 vcc_lo, 0x5e000000, v35
                                        ; implicit-def: $vgpr27
                                        ; implicit-def: $vgpr26
	s_delay_alu instid0(VALU_DEP_2) | instskip(SKIP_1) | instid1(SALU_CYCLE_1)
	v_cmp_ngt_f32_e64 s7, 0x20000000, v39
	s_and_b32 s7, vcc_lo, s7
	s_and_saveexec_b32 s29, s7
	s_delay_alu instid0(SALU_CYCLE_1)
	s_xor_b32 s29, exec_lo, s29
	s_cbranch_execz .LBB43_486
; %bb.485:                              ;   in Loop: Header=BB43_401 Depth=1
	s_wait_dscnt 0x0
	v_frexp_mant_f32_e32 v26, v15
	v_dual_min_num_f32 v13, v34, v13 :: v_dual_mul_f32 v34, v39, v39
	v_frexp_exp_i32_f32_e32 v15, v15
	s_delay_alu instid0(VALU_DEP_3) | instskip(NEXT) | instid1(VALU_DEP_2)
	v_rcp_f32_e32 v26, v26
	v_frexp_exp_i32_f32_e32 v27, v13
	v_frexp_mant_f32_e32 v13, v13
	s_delay_alu instid0(TRANS32_DEP_1) | instid1(VALU_DEP_1)
	v_dual_sub_nc_u32 v15, v27, v15 :: v_dual_mul_f32 v13, v13, v26
	s_delay_alu instid0(VALU_DEP_1) | instskip(NEXT) | instid1(VALU_DEP_1)
	v_ldexp_f32 v26, v13, v15
	v_dual_fmac_f32 v34, v35, v35 :: v_dual_mul_f32 v15, v26, v26
	s_delay_alu instid0(VALU_DEP_1) | instskip(NEXT) | instid1(VALU_DEP_2)
	v_cmp_gt_f32_e32 vcc_lo, 0x800000, v34
	v_fmaak_f32 v27, s26, v15, 0xbc7a590c
	v_cndmask_b32_e64 v13, 0, 32, vcc_lo
	s_delay_alu instid0(VALU_DEP_2) | instskip(NEXT) | instid1(VALU_DEP_2)
	v_fmaak_f32 v27, v15, v27, 0x3d29fb3f
	v_ldexp_f32 v13, v34, v13
	s_delay_alu instid0(VALU_DEP_2) | instskip(NEXT) | instid1(VALU_DEP_2)
	v_fmaak_f32 v27, v15, v27, 0xbd97d4d7
	v_log_f32_e32 v13, v13
	s_delay_alu instid0(VALU_DEP_1) | instskip(NEXT) | instid1(TRANS32_DEP_1)
	v_fmaak_f32 v27, v15, v27, 0x3dd931b2
	v_cmp_gt_f32_e64 s7, 0x7f800000, |v13|
	s_delay_alu instid0(VALU_DEP_2) | instskip(NEXT) | instid1(VALU_DEP_1)
	v_fmaak_f32 v27, v15, v27, 0xbe1160e6
	v_fmaak_f32 v27, v15, v27, 0x3e4cb8bf
	s_delay_alu instid0(VALU_DEP_1) | instskip(NEXT) | instid1(VALU_DEP_1)
	v_fmaak_f32 v27, v15, v27, 0xbeaaaa62
	v_dual_mul_f32 v34, 0x3f317217, v13 :: v_dual_mul_f32 v15, v15, v27
	s_delay_alu instid0(VALU_DEP_1) | instskip(NEXT) | instid1(VALU_DEP_2)
	v_fma_f32 v34, 0x3f317217, v13, -v34
	v_fmac_f32_e32 v26, v26, v15
	s_delay_alu instid0(VALU_DEP_2) | instskip(NEXT) | instid1(VALU_DEP_1)
	v_fmac_f32_e32 v34, 0x3377d1cf, v13
                                        ; implicit-def: $vgpr15
	v_fmac_f32_e32 v34, 0x3f317217, v13
	s_delay_alu instid0(VALU_DEP_1) | instskip(SKIP_1) | instid1(VALU_DEP_1)
	v_cndmask_b32_e64 v13, v13, v34, s7
	v_cndmask_b32_e64 v34, 0, 0x41b17218, vcc_lo
	v_sub_f32_e32 v13, v13, v34
                                        ; implicit-def: $vgpr34
	s_delay_alu instid0(VALU_DEP_1)
	v_mul_f32_e32 v27, 0.5, v13
                                        ; implicit-def: $vgpr13
.LBB43_486:                             ;   in Loop: Header=BB43_401 Depth=1
	s_and_not1_saveexec_b32 s7, s29
	s_cbranch_execz .LBB43_488
; %bb.487:                              ;   in Loop: Header=BB43_401 Depth=1
	s_wait_dscnt 0x0
	v_cvt_f64_f32_e32 v[26:27], v15
	v_frexp_mant_f32_e32 v39, v15
	v_cmp_neq_f32_e32 vcc_lo, 0x7f800000, v15
	s_delay_alu instid0(VALU_DEP_3) | instskip(NEXT) | instid1(VALU_DEP_1)
	v_frexp_exp_i32_f64_e32 v26, v[26:27]
	v_sub_nc_u32_e32 v27, 0, v26
	s_delay_alu instid0(VALU_DEP_1) | instskip(NEXT) | instid1(VALU_DEP_1)
	v_ldexp_f32 v35, |v31|, v27
	v_mul_f32_e32 v35, v35, v35
	v_ldexp_f32 v27, |v30|, v27
	v_min_num_f32_e32 v13, v34, v13
	v_rcp_f32_e32 v34, v39
	s_delay_alu instid0(VALU_DEP_2) | instskip(SKIP_1) | instid1(VALU_DEP_3)
	v_fmac_f32_e32 v35, v27, v27
	v_frexp_exp_i32_f32_e32 v27, v15
	v_frexp_exp_i32_f32_e32 v39, v13
	v_frexp_mant_f32_e32 v13, v13
	s_delay_alu instid0(VALU_DEP_4)
	v_sqrt_f32_e32 v35, v35
	s_delay_alu instid0(TRANS32_DEP_2) | instid1(VALU_DEP_1)
	v_dual_sub_nc_u32 v27, v39, v27 :: v_dual_mul_f32 v13, v13, v34
	s_delay_alu instid0(TRANS32_DEP_1) | instskip(NEXT) | instid1(VALU_DEP_2)
	v_ldexp_f32 v34, v35, v26
	v_ldexp_f32 v26, v13, v27
	s_delay_alu instid0(VALU_DEP_2) | instskip(NEXT) | instid1(VALU_DEP_1)
	v_cndmask_b32_e32 v13, 0x7f800000, v34, vcc_lo
	v_cmp_gt_f32_e32 vcc_lo, 0x800000, v13
	v_cndmask_b32_e64 v27, 0, 32, vcc_lo
	v_cndmask_b32_e64 v35, 0, 0x41b17218, vcc_lo
	s_delay_alu instid0(VALU_DEP_2) | instskip(NEXT) | instid1(VALU_DEP_1)
	v_ldexp_f32 v13, v13, v27
	v_log_f32_e32 v13, v13
	v_mul_f32_e32 v15, v26, v26
	s_delay_alu instid0(VALU_DEP_1) | instskip(NEXT) | instid1(TRANS32_DEP_1)
	v_fmaak_f32 v34, s26, v15, 0xbc7a590c
	v_cmp_gt_f32_e64 vcc_lo, 0x7f800000, |v13|
	s_delay_alu instid0(VALU_DEP_2) | instskip(SKIP_1) | instid1(VALU_DEP_2)
	v_fmaak_f32 v27, v15, v34, 0x3d29fb3f
	v_mul_f32_e32 v34, 0x3f317217, v13
	v_fmaak_f32 v27, v15, v27, 0xbd97d4d7
	s_delay_alu instid0(VALU_DEP_2) | instskip(NEXT) | instid1(VALU_DEP_2)
	v_fma_f32 v34, 0x3f317217, v13, -v34
	v_fmaak_f32 v27, v15, v27, 0x3dd931b2
	s_delay_alu instid0(VALU_DEP_1) | instskip(NEXT) | instid1(VALU_DEP_1)
	v_fmaak_f32 v27, v15, v27, 0xbe1160e6
	v_fmaak_f32 v27, v15, v27, 0x3e4cb8bf
	s_delay_alu instid0(VALU_DEP_1) | instskip(NEXT) | instid1(VALU_DEP_1)
	v_fmaak_f32 v27, v15, v27, 0xbeaaaa62
	v_dual_fmac_f32 v34, 0x3377d1cf, v13 :: v_dual_mul_f32 v15, v15, v27
	s_delay_alu instid0(VALU_DEP_1) | instskip(NEXT) | instid1(VALU_DEP_1)
	v_fmac_f32_e32 v34, 0x3f317217, v13
	v_dual_fmac_f32 v26, v26, v15 :: v_dual_cndmask_b32 v13, v13, v34
	s_delay_alu instid0(VALU_DEP_1)
	v_sub_f32_e32 v27, v13, v35
.LBB43_488:                             ;   in Loop: Header=BB43_401 Depth=1
	s_or_b32 exec_lo, exec_lo, s7
                                        ; implicit-def: $vgpr34
                                        ; implicit-def: $vgpr13
                                        ; implicit-def: $vgpr15
.LBB43_489:                             ;   in Loop: Header=BB43_401 Depth=1
	s_and_not1_saveexec_b32 s28, s28
	s_cbranch_execz .LBB43_491
; %bb.490:                              ;   in Loop: Header=BB43_401 Depth=1
	v_div_scale_f32 v26, null, 0x402df854, 0x402df854, v30
	v_div_scale_f32 v27, null, 0x402df854, 0x402df854, v31
	v_div_scale_f32 v42, vcc_lo, v30, 0x402df854, v30
	s_delay_alu instid0(VALU_DEP_3) | instskip(NEXT) | instid1(VALU_DEP_2)
	v_rcp_f32_e32 v35, v26
	v_rcp_f32_e32 v39, v27
	v_min_num_f32_e32 v13, v34, v13
	s_delay_alu instid0(TRANS32_DEP_2) | instskip(NEXT) | instid1(TRANS32_DEP_1)
	v_fma_f32 v40, -v26, v35, 1.0
	v_fma_f32 v41, -v27, v39, 1.0
	s_delay_alu instid0(VALU_DEP_2) | instskip(NEXT) | instid1(VALU_DEP_2)
	v_fmac_f32_e32 v35, v40, v35
	v_fmac_f32_e32 v39, v41, v39
	v_div_scale_f32 v40, s7, v31, 0x402df854, v31
	s_delay_alu instid0(VALU_DEP_3) | instskip(NEXT) | instid1(VALU_DEP_1)
	v_mul_f32_e32 v41, v42, v35
	v_fma_f32 v44, -v26, v41, v42
	s_delay_alu instid0(VALU_DEP_1) | instskip(NEXT) | instid1(VALU_DEP_1)
	v_fmac_f32_e32 v41, v44, v35
	v_dual_fma_f32 v26, -v26, v41, v42 :: v_dual_mul_f32 v43, v40, v39
	s_delay_alu instid0(VALU_DEP_1) | instskip(NEXT) | instid1(VALU_DEP_2)
	v_div_fmas_f32 v26, v26, v35, v41
	v_fma_f32 v45, -v27, v43, v40
	s_mov_b32 vcc_lo, s7
	s_delay_alu instid0(VALU_DEP_2) | instskip(NEXT) | instid1(VALU_DEP_2)
	v_div_fixup_f32 v35, v26, 0x402df854, v30
	v_fmac_f32_e32 v43, v45, v39
	s_delay_alu instid0(VALU_DEP_1) | instskip(NEXT) | instid1(VALU_DEP_1)
	v_fma_f32 v27, -v27, v43, v40
	v_div_fmas_f32 v27, v27, v39, v43
	s_delay_alu instid0(VALU_DEP_1) | instskip(NEXT) | instid1(VALU_DEP_1)
	v_div_fixup_f32 v39, v27, 0x402df854, v31
	v_max_num_f32_e64 v40, |v35|, |v39|
	s_delay_alu instid0(VALU_DEP_1) | instskip(SKIP_1) | instid1(VALU_DEP_2)
	v_cvt_f64_f32_e32 v[26:27], v40
	v_cmp_neq_f32_e32 vcc_lo, 0x7f800000, v40
	v_frexp_exp_i32_f64_e32 v26, v[26:27]
	s_delay_alu instid0(VALU_DEP_1) | instskip(NEXT) | instid1(VALU_DEP_1)
	v_sub_nc_u32_e32 v27, 0, v26
	v_ldexp_f32 v39, |v39|, v27
	v_ldexp_f32 v27, |v35|, v27
	s_delay_alu instid0(VALU_DEP_2) | instskip(NEXT) | instid1(VALU_DEP_1)
	v_mul_f32_e32 v35, v39, v39
	v_fmac_f32_e32 v35, v27, v27
	s_wait_dscnt 0x0
	v_frexp_mant_f32_e32 v27, v15
	v_frexp_exp_i32_f32_e32 v15, v15
	s_delay_alu instid0(VALU_DEP_3) | instskip(NEXT) | instid1(VALU_DEP_2)
	v_sqrt_f32_e32 v34, v35
	v_rcp_f32_e32 v27, v27
	v_frexp_exp_i32_f32_e32 v35, v13
	v_frexp_mant_f32_e32 v13, v13
	s_delay_alu instid0(VALU_DEP_2) | instskip(NEXT) | instid1(TRANS32_DEP_2)
	v_sub_nc_u32_e32 v15, v35, v15
	v_ldexp_f32 v26, v34, v26
	s_delay_alu instid0(TRANS32_DEP_1) | instid1(VALU_DEP_3)
	v_mul_f32_e32 v13, v13, v27
	s_delay_alu instid0(VALU_DEP_2) | instskip(NEXT) | instid1(VALU_DEP_2)
	v_cndmask_b32_e32 v27, 0x7f800000, v26, vcc_lo
	v_ldexp_f32 v26, v13, v15
	s_delay_alu instid0(VALU_DEP_2) | instskip(NEXT) | instid1(VALU_DEP_2)
	v_cmp_gt_f32_e32 vcc_lo, 0x800000, v27
	v_mul_f32_e32 v15, v26, v26
	v_cndmask_b32_e64 v13, 0, 32, vcc_lo
	v_cndmask_b32_e64 v35, 0, 0x41b17218, vcc_lo
	s_delay_alu instid0(VALU_DEP_2) | instskip(NEXT) | instid1(VALU_DEP_4)
	v_ldexp_f32 v13, v27, v13
	v_fmaak_f32 v27, s26, v15, 0xbc7a590c
	s_delay_alu instid0(VALU_DEP_2) | instskip(NEXT) | instid1(VALU_DEP_1)
	v_log_f32_e32 v13, v13
	v_fmaak_f32 v27, v15, v27, 0x3d29fb3f
	s_delay_alu instid0(VALU_DEP_1) | instskip(NEXT) | instid1(TRANS32_DEP_1)
	v_fmaak_f32 v27, v15, v27, 0xbd97d4d7
	v_mul_f32_e32 v34, 0x3f317217, v13
	v_cmp_gt_f32_e64 vcc_lo, 0x7f800000, |v13|
	s_delay_alu instid0(VALU_DEP_3) | instskip(NEXT) | instid1(VALU_DEP_3)
	v_fmaak_f32 v27, v15, v27, 0x3dd931b2
	v_fma_f32 v34, 0x3f317217, v13, -v34
	s_delay_alu instid0(VALU_DEP_2) | instskip(NEXT) | instid1(VALU_DEP_2)
	v_fmaak_f32 v27, v15, v27, 0xbe1160e6
	v_fmac_f32_e32 v34, 0x3377d1cf, v13
	s_delay_alu instid0(VALU_DEP_2) | instskip(NEXT) | instid1(VALU_DEP_1)
	v_fmaak_f32 v27, v15, v27, 0x3e4cb8bf
	v_fmaak_f32 v27, v15, v27, 0xbeaaaa62
	s_delay_alu instid0(VALU_DEP_1) | instskip(NEXT) | instid1(VALU_DEP_1)
	v_dual_fmac_f32 v34, 0x3f317217, v13 :: v_dual_mul_f32 v15, v15, v27
	v_dual_cndmask_b32 v13, v13, v34 :: v_dual_fmac_f32 v26, v26, v15
	s_delay_alu instid0(VALU_DEP_1) | instskip(NEXT) | instid1(VALU_DEP_1)
	v_sub_f32_e32 v13, v13, v35
	v_add_f32_e32 v27, 1.0, v13
.LBB43_491:                             ;   in Loop: Header=BB43_401 Depth=1
	s_or_b32 exec_lo, exec_lo, s28
	s_delay_alu instid0(VALU_DEP_3) | instskip(NEXT) | instid1(VALU_DEP_2)
	v_sub_f32_e32 v13, 0x3fc90fdb, v26
	v_add_f32_e32 v27, 0x3f317218, v27
	v_cmp_gt_f32_e32 vcc_lo, 0, v30
	s_delay_alu instid0(VALU_DEP_2)
	v_dual_cndmask_b32 v13, v26, v13, s6 :: v_dual_cndmask_b32 v27, -v27, v27, s4
	v_cndmask_b32_e64 v26, 0, 0x40490fdb, s5
	v_cmp_class_f32_e64 s5, v30, 0x204
	v_cmp_class_f32_e64 s6, v31, 0x204
	s_wait_dscnt 0x0
	v_sub_f32_e32 v15, 0x40490fdb, v13
	s_delay_alu instid0(VALU_DEP_1) | instskip(SKIP_2) | instid1(VALU_DEP_3)
	v_cndmask_b32_e32 v13, v13, v15, vcc_lo
	v_cndmask_b32_e32 v15, 0x3f490fdb, v38, vcc_lo
	v_cmp_eq_f32_e32 vcc_lo, 0, v31
	v_cndmask_b32_e64 v13, |v13|, v26, vcc_lo
	s_and_b32 vcc_lo, s6, s5
	s_delay_alu instid0(VALU_DEP_1)
	v_cndmask_b32_e32 v26, v13, v15, vcc_lo
.LBB43_492:                             ;   in Loop: Header=BB43_401 Depth=1
	s_or_b32 exec_lo, exec_lo, s8
                                        ; implicit-def: $vgpr31
.LBB43_493:                             ;   in Loop: Header=BB43_401 Depth=1
	s_and_not1_saveexec_b32 s4, s27
	s_cbranch_execz .LBB43_507
; %bb.494:                              ;   in Loop: Header=BB43_401 Depth=1
	v_cmp_neq_f32_e64 s5, 0x7f800000, |v30|
                                        ; implicit-def: $vgpr27
	s_and_saveexec_b32 s6, s5
	s_delay_alu instid0(SALU_CYCLE_1)
	s_xor_b32 s5, exec_lo, s6
	s_cbranch_execz .LBB43_504
; %bb.495:                              ;   in Loop: Header=BB43_401 Depth=1
	v_cmp_neq_f32_e64 s6, 0x7f800000, |v31|
	v_xor_b32_e32 v27, 0x80000000, v31
	s_and_saveexec_b32 s7, s6
	s_delay_alu instid0(SALU_CYCLE_1)
	s_xor_b32 s6, exec_lo, s7
	s_cbranch_execz .LBB43_501
; %bb.496:                              ;   in Loop: Header=BB43_401 Depth=1
	s_mov_b32 s7, exec_lo
                                        ; implicit-def: $vgpr27
	v_cmpx_neq_f32_e32 0, v30
	s_xor_b32 s7, exec_lo, s7
; %bb.497:                              ;   in Loop: Header=BB43_401 Depth=1
	v_add_f32_e32 v13, 0, v31
                                        ; implicit-def: $vgpr31
	s_delay_alu instid0(VALU_DEP_1)
	v_add_f32_e32 v27, v13, v30
; %bb.498:                              ;   in Loop: Header=BB43_401 Depth=1
	s_or_saveexec_b32 s7, s7
	s_delay_alu instid0(VALU_DEP_1)
	v_mov_b32_e32 v26, v27
	s_xor_b32 exec_lo, exec_lo, s7
	s_cbranch_execz .LBB43_500
; %bb.499:                              ;   in Loop: Header=BB43_401 Depth=1
	flat_load_b32 v13, v[6:7] scope:SCOPE_SYS
	s_wait_loadcnt_dscnt 0x0
	v_dual_add_f32 v27, v31, v31 :: v_dual_add_f32 v26, 0x3fc90fdb, v13
.LBB43_500:                             ;   in Loop: Header=BB43_401 Depth=1
	s_or_b32 exec_lo, exec_lo, s7
                                        ; implicit-def: $vgpr30
.LBB43_501:                             ;   in Loop: Header=BB43_401 Depth=1
	s_and_not1_saveexec_b32 s6, s6
; %bb.502:                              ;   in Loop: Header=BB43_401 Depth=1
	v_add_f32_e32 v26, v30, v30
; %bb.503:                              ;   in Loop: Header=BB43_401 Depth=1
	s_or_b32 exec_lo, exec_lo, s6
                                        ; implicit-def: $vgpr31
.LBB43_504:                             ;   in Loop: Header=BB43_401 Depth=1
	s_and_not1_saveexec_b32 s5, s5
; %bb.505:                              ;   in Loop: Header=BB43_401 Depth=1
	v_dual_add_f32 v26, v31, v31 :: v_dual_mov_b32 v27, 0xff800000
; %bb.506:                              ;   in Loop: Header=BB43_401 Depth=1
	s_or_b32 exec_lo, exec_lo, s5
.LBB43_507:                             ;   in Loop: Header=BB43_401 Depth=1
	s_delay_alu instid0(SALU_CYCLE_1)
	s_or_b32 exec_lo, exec_lo, s4
	flat_store_b32 v[6:7], v36 scope:SCOPE_SYS
	s_wait_storecnt 0x0
                                        ; implicit-def: $vgpr31
	s_mov_b32 s4, exec_lo
	s_wait_xcnt 0x0
	v_cmpx_o_f32_e32 v32, v33
	s_xor_b32 s27, exec_lo, s4
	s_cbranch_execz .LBB43_591
; %bb.508:                              ;   in Loop: Header=BB43_401 Depth=1
	v_max_num_f32_e64 v34, |v32|, |v32|
	v_max_num_f32_e64 v13, |v33|, |v33|
	v_cmp_gt_i32_e64 s5, 0, v32
	v_cmp_lt_i32_e64 s6, -1, v32
	v_cmp_gt_i32_e64 s4, 0, v33
                                        ; implicit-def: $vgpr31
	s_mov_b32 s7, exec_lo
	s_wait_dscnt 0x1
	v_max_num_f32_e32 v15, v13, v34
	s_delay_alu instid0(VALU_DEP_1)
	v_cmpx_nlt_f32_e32 0x4b000000, v15
	s_xor_b32 s28, exec_lo, s7
	s_cbranch_execz .LBB43_580
; %bb.509:                              ;   in Loop: Header=BB43_401 Depth=1
	v_cmp_neq_f32_e32 vcc_lo, 1.0, v32
	v_cmp_neq_f32_e64 s7, 0, v33
	v_xor_b32_e32 v31, 0x80000000, v33
	s_or_b32 s7, s7, vcc_lo
	s_delay_alu instid0(SALU_CYCLE_1) | instskip(NEXT) | instid1(SALU_CYCLE_1)
	s_and_saveexec_b32 s8, s7
	s_xor_b32 s29, exec_lo, s8
	s_cbranch_execz .LBB43_577
; %bb.510:                              ;   in Loop: Header=BB43_401 Depth=1
	flat_store_b32 v[8:9], v37 scope:SCOPE_SYS
	s_wait_storecnt 0x0
	flat_load_b32 v15, v[8:9] scope:SCOPE_SYS
	s_wait_loadcnt 0x0
	v_cmp_ngt_f32_e64 s7, 0x395db3d7, |v32|
	v_cmp_ngt_f32_e64 s8, 0x395db3d7, |v33|
	v_xor_b32_e32 v31, 0x80000000, v33
	s_or_b32 s7, s8, s7
	s_wait_dscnt 0x0
	v_add_f32_e32 v15, 1.0, v15
	flat_store_b32 v[10:11], v15 scope:SCOPE_SYS
	s_wait_storecnt 0x0
	flat_load_b32 v15, v[10:11] scope:SCOPE_SYS
	s_wait_loadcnt 0x0
	s_wait_xcnt 0x0
	s_and_saveexec_b32 s8, s7
	s_delay_alu instid0(SALU_CYCLE_1)
	s_xor_b32 s30, exec_lo, s8
	s_cbranch_execz .LBB43_574
; %bb.511:                              ;   in Loop: Header=BB43_401 Depth=1
	v_add_f32_e64 v40, |v32|, 1.0
	v_add_f32_e64 v39, |v32|, -1.0
	s_mov_b32 s7, exec_lo
	s_wait_dscnt 0x0
	s_delay_alu instid0(VALU_DEP_2) | instskip(NEXT) | instid1(VALU_DEP_2)
	v_max_num_f32_e32 v15, v13, v40
	v_max_num_f32_e64 v13, v13, |v39|
	s_delay_alu instid0(VALU_DEP_2) | instskip(NEXT) | instid1(VALU_DEP_2)
	v_cvt_f64_f32_e32 v[30:31], v15
	v_cvt_f64_f32_e32 v[34:35], v13
	s_delay_alu instid0(VALU_DEP_2) | instskip(NEXT) | instid1(VALU_DEP_2)
	v_frexp_exp_i32_f64_e32 v30, v[30:31]
	v_frexp_exp_i32_f64_e32 v31, v[34:35]
	s_delay_alu instid0(VALU_DEP_2) | instskip(SKIP_1) | instid1(VALU_DEP_2)
	v_sub_nc_u32_e32 v34, 0, v30
	v_cmp_neq_f32_e32 vcc_lo, 0x7f800000, v15
	v_ldexp_f32 v41, v40, v34
	s_delay_alu instid0(VALU_DEP_4) | instskip(SKIP_1) | instid1(VALU_DEP_3)
	v_sub_nc_u32_e32 v35, 0, v31
	v_ldexp_f32 v34, |v33|, v34
	v_mul_f32_e32 v41, v41, v41
	s_delay_alu instid0(VALU_DEP_3) | instskip(SKIP_1) | instid1(VALU_DEP_3)
	v_ldexp_f32 v42, |v39|, v35
	v_ldexp_f32 v35, |v33|, v35
	v_fmac_f32_e32 v41, v34, v34
	s_delay_alu instid0(VALU_DEP_1) | instskip(SKIP_1) | instid1(TRANS32_DEP_1)
	v_sqrt_f32_e32 v34, v41
	v_nop
	v_ldexp_f32 v30, v34, v30
	s_delay_alu instid0(VALU_DEP_1) | instskip(SKIP_2) | instid1(VALU_DEP_1)
	v_cndmask_b32_e32 v43, 0x7f800000, v30, vcc_lo
	v_cmp_neq_f32_e32 vcc_lo, 0x7f800000, v13
	v_mul_f32_e32 v42, v42, v42
	v_fmac_f32_e32 v42, v35, v35
	s_delay_alu instid0(VALU_DEP_1) | instskip(SKIP_1) | instid1(TRANS32_DEP_1)
	v_sqrt_f32_e32 v35, v42
	v_nop
	v_ldexp_f32 v31, v35, v31
	s_delay_alu instid0(VALU_DEP_1) | instskip(NEXT) | instid1(VALU_DEP_1)
	v_cndmask_b32_e32 v41, 0x7f800000, v31, vcc_lo
	v_add_f32_e32 v13, v43, v41
	s_delay_alu instid0(VALU_DEP_1) | instskip(NEXT) | instid1(VALU_DEP_1)
	v_mul_f32_e32 v13, 0.5, v13
	v_cmp_ngt_f32_e32 vcc_lo, 1.0, v13
	v_cndmask_b32_e32 v30, 1.0, v13, vcc_lo
                                        ; implicit-def: $vgpr13
	s_delay_alu instid0(VALU_DEP_1)
	v_cmpx_ngt_f32_e32 0x41200000, v30
	s_xor_b32 s8, exec_lo, s7
	s_cbranch_execz .LBB43_513
; %bb.512:                              ;   in Loop: Header=BB43_401 Depth=1
	v_fma_f32 v13, v30, v30, -1.0
	s_delay_alu instid0(VALU_DEP_1) | instskip(SKIP_1) | instid1(VALU_DEP_2)
	v_mul_f32_e32 v15, 0x4f800000, v13
	v_cmp_gt_f32_e32 vcc_lo, 0xf800000, v13
	v_cndmask_b32_e32 v13, v13, v15, vcc_lo
	s_delay_alu instid0(VALU_DEP_1) | instskip(SKIP_1) | instid1(TRANS32_DEP_1)
	v_sqrt_f32_e32 v15, v13
	v_nop
	v_dual_add_nc_u32 v31, -1, v15 :: v_dual_add_nc_u32 v34, 1, v15
	s_delay_alu instid0(VALU_DEP_1) | instskip(NEXT) | instid1(VALU_DEP_1)
	v_dual_fma_f32 v35, -v31, v15, v13 :: v_dual_fma_f32 v42, -v34, v15, v13
	v_cmp_ge_f32_e64 s7, 0, v35
	s_delay_alu instid0(VALU_DEP_1) | instskip(NEXT) | instid1(VALU_DEP_3)
	v_cndmask_b32_e64 v15, v15, v31, s7
	v_cmp_lt_f32_e64 s7, 0, v42
	s_delay_alu instid0(VALU_DEP_1) | instskip(NEXT) | instid1(VALU_DEP_1)
	v_cndmask_b32_e64 v15, v15, v34, s7
	v_mul_f32_e32 v31, 0x37800000, v15
	s_delay_alu instid0(VALU_DEP_1) | instskip(SKIP_1) | instid1(VALU_DEP_2)
	v_cndmask_b32_e32 v15, v15, v31, vcc_lo
	v_cmp_class_f32_e64 vcc_lo, v13, 0x260
	v_cndmask_b32_e32 v13, v15, v13, vcc_lo
	s_delay_alu instid0(VALU_DEP_1) | instskip(NEXT) | instid1(VALU_DEP_1)
	v_add_f32_e32 v13, v30, v13
	v_cmp_gt_f32_e32 vcc_lo, 0x800000, v13
	s_delay_alu instid0(VALU_DEP_4) | instskip(NEXT) | instid1(VALU_DEP_1)
	v_cndmask_b32_e64 v15, 0, 32, vcc_lo
	v_ldexp_f32 v13, v13, v15
	s_delay_alu instid0(VALU_DEP_1) | instskip(SKIP_1) | instid1(TRANS32_DEP_1)
	v_log_f32_e32 v13, v13
	v_nop
	v_mul_f32_e32 v15, 0x3f317217, v13
	v_cmp_gt_f32_e64 s7, 0x7f800000, |v13|
	s_delay_alu instid0(VALU_DEP_2) | instskip(NEXT) | instid1(VALU_DEP_1)
	v_fma_f32 v15, 0x3f317217, v13, -v15
	v_fmac_f32_e32 v15, 0x3377d1cf, v13
	s_delay_alu instid0(VALU_DEP_1) | instskip(NEXT) | instid1(VALU_DEP_1)
	v_fmac_f32_e32 v15, 0x3f317217, v13
	v_cndmask_b32_e64 v13, v13, v15, s7
	v_cndmask_b32_e64 v15, 0, 0x41b17218, vcc_lo
	s_delay_alu instid0(VALU_DEP_1)
	v_sub_f32_e32 v13, v13, v15
.LBB43_513:                             ;   in Loop: Header=BB43_401 Depth=1
	s_or_saveexec_b32 s8, s8
	v_and_b32_e32 v42, 0x7fffffff, v33
	s_xor_b32 exec_lo, exec_lo, s8
	s_cbranch_execz .LBB43_535
; %bb.514:                              ;   in Loop: Header=BB43_401 Depth=1
	v_cmp_neq_f32_e64 s7, |v32|, 1.0
	v_cmp_ngt_f32_e64 s31, 0x25000000, |v33|
                                        ; implicit-def: $vgpr13
	s_or_b32 s7, s31, s7
	s_delay_alu instid0(SALU_CYCLE_1) | instskip(NEXT) | instid1(SALU_CYCLE_1)
	s_and_saveexec_b32 s31, s7
	s_xor_b32 s31, exec_lo, s31
	s_cbranch_execz .LBB43_532
; %bb.515:                              ;   in Loop: Header=BB43_401 Depth=1
	v_mul_f32_e64 v13, 0x34000000, |v39|
	s_delay_alu instid0(VALU_DEP_1) | instskip(SKIP_1) | instid1(SALU_CYCLE_1)
	v_cmp_ge_f32_e64 s7, |v33|, v13
                                        ; implicit-def: $vgpr13
	s_and_saveexec_b32 s33, s7
	s_xor_b32 s33, exec_lo, s33
	s_cbranch_execz .LBB43_525
; %bb.516:                              ;   in Loop: Header=BB43_401 Depth=1
	v_mov_b32_e32 v13, v42
	s_mov_b32 s7, exec_lo
	v_cmpx_neq_f32_e32 0, v40
	s_cbranch_execz .LBB43_518
; %bb.517:                              ;   in Loop: Header=BB43_401 Depth=1
	v_dual_mul_f32 v13, v33, v33 :: v_dual_add_f32 v15, v40, v43
	s_delay_alu instid0(VALU_DEP_1) | instskip(NEXT) | instid1(VALU_DEP_1)
	v_div_scale_f32 v31, null, v15, v15, v13
	v_rcp_f32_e32 v34, v31
	v_nop
	s_delay_alu instid0(TRANS32_DEP_1) | instskip(NEXT) | instid1(VALU_DEP_1)
	v_fma_f32 v35, -v31, v34, 1.0
	v_fmac_f32_e32 v34, v35, v34
	v_div_scale_f32 v35, vcc_lo, v13, v15, v13
	s_delay_alu instid0(VALU_DEP_1) | instskip(NEXT) | instid1(VALU_DEP_1)
	v_mul_f32_e32 v44, v35, v34
	v_fma_f32 v45, -v31, v44, v35
	s_delay_alu instid0(VALU_DEP_1) | instskip(NEXT) | instid1(VALU_DEP_1)
	v_fmac_f32_e32 v44, v45, v34
	v_fma_f32 v31, -v31, v44, v35
	s_delay_alu instid0(VALU_DEP_1) | instskip(NEXT) | instid1(VALU_DEP_1)
	v_div_fmas_f32 v31, v31, v34, v44
	v_div_fixup_f32 v13, v31, v15, v13
.LBB43_518:                             ;   in Loop: Header=BB43_401 Depth=1
	s_or_b32 exec_lo, exec_lo, s7
	v_sub_f32_e64 v31, 1.0, |v32|
	s_mov_b32 s7, exec_lo
                                        ; implicit-def: $vgpr15
	s_delay_alu instid0(VALU_DEP_1)
	v_cmpx_ngt_f32_e32 0, v31
	s_xor_b32 s7, exec_lo, s7
	s_cbranch_execz .LBB43_522
; %bb.519:                              ;   in Loop: Header=BB43_401 Depth=1
	v_mov_b32_e32 v15, v42
	s_mov_b32 s34, exec_lo
	v_cmpx_neq_f32_e32 0, v31
	s_cbranch_execz .LBB43_521
; %bb.520:                              ;   in Loop: Header=BB43_401 Depth=1
	v_mul_f32_e32 v15, v33, v33
	v_add_f32_e32 v31, v31, v41
	s_delay_alu instid0(VALU_DEP_1) | instskip(NEXT) | instid1(VALU_DEP_1)
	v_div_scale_f32 v34, null, v31, v31, v15
	v_rcp_f32_e32 v35, v34
	v_nop
	s_delay_alu instid0(TRANS32_DEP_1) | instskip(NEXT) | instid1(VALU_DEP_1)
	v_fma_f32 v44, -v34, v35, 1.0
	v_fmac_f32_e32 v35, v44, v35
	v_div_scale_f32 v44, vcc_lo, v15, v31, v15
	s_delay_alu instid0(VALU_DEP_1) | instskip(NEXT) | instid1(VALU_DEP_1)
	v_mul_f32_e32 v45, v44, v35
	v_fma_f32 v46, -v34, v45, v44
	s_delay_alu instid0(VALU_DEP_1) | instskip(NEXT) | instid1(VALU_DEP_1)
	v_fmac_f32_e32 v45, v46, v35
	v_fma_f32 v34, -v34, v45, v44
	s_delay_alu instid0(VALU_DEP_1) | instskip(NEXT) | instid1(VALU_DEP_1)
	v_div_fmas_f32 v34, v34, v35, v45
	v_div_fixup_f32 v15, v34, v31, v15
.LBB43_521:                             ;   in Loop: Header=BB43_401 Depth=1
	s_or_b32 exec_lo, exec_lo, s34
                                        ; implicit-def: $vgpr31
.LBB43_522:                             ;   in Loop: Header=BB43_401 Depth=1
	s_and_not1_saveexec_b32 s7, s7
; %bb.523:                              ;   in Loop: Header=BB43_401 Depth=1
	v_sub_f32_e32 v15, v41, v31
; %bb.524:                              ;   in Loop: Header=BB43_401 Depth=1
	s_or_b32 exec_lo, exec_lo, s7
	s_delay_alu instid0(VALU_DEP_1) | instskip(NEXT) | instid1(VALU_DEP_1)
	v_dual_mul_f32 v31, 0.5, v13 :: v_dual_mul_f32 v13, 0.5, v15
	v_pk_add_f32 v[34:35], v[30:31], v[12:13]
	s_delay_alu instid0(VALU_DEP_1) | instskip(NEXT) | instid1(VALU_DEP_1)
	v_mul_f32_e32 v13, v34, v35
	v_mul_f32_e32 v15, 0x4f800000, v13
	v_cmp_gt_f32_e32 vcc_lo, 0xf800000, v13
	s_delay_alu instid0(VALU_DEP_2) | instskip(NEXT) | instid1(VALU_DEP_1)
	v_cndmask_b32_e32 v13, v13, v15, vcc_lo
	v_sqrt_f32_e32 v15, v13
	v_nop
	s_delay_alu instid0(TRANS32_DEP_1) | instskip(NEXT) | instid1(VALU_DEP_1)
	v_dual_add_nc_u32 v31, -1, v15 :: v_dual_add_nc_u32 v34, 1, v15
	v_dual_fma_f32 v44, -v31, v15, v13 :: v_dual_fma_f32 v45, -v34, v15, v13
	s_delay_alu instid0(VALU_DEP_1) | instskip(NEXT) | instid1(VALU_DEP_1)
	v_cmp_ge_f32_e64 s7, 0, v44
	v_cndmask_b32_e64 v15, v15, v31, s7
	s_delay_alu instid0(VALU_DEP_3) | instskip(NEXT) | instid1(VALU_DEP_1)
	v_cmp_lt_f32_e64 s7, 0, v45
	v_cndmask_b32_e64 v15, v15, v34, s7
	s_delay_alu instid0(VALU_DEP_1) | instskip(NEXT) | instid1(VALU_DEP_1)
	v_mul_f32_e32 v31, 0x37800000, v15
	v_cndmask_b32_e32 v15, v15, v31, vcc_lo
	v_cmp_class_f32_e64 vcc_lo, v13, 0x260
	s_delay_alu instid0(VALU_DEP_2) | instskip(NEXT) | instid1(VALU_DEP_1)
	v_cndmask_b32_e32 v13, v15, v13, vcc_lo
	v_add_f32_e32 v34, v35, v13
	s_delay_alu instid0(VALU_DEP_1) | instskip(NEXT) | instid1(VALU_DEP_1)
	v_add_f32_e32 v45, 1.0, v34
	v_cvt_f64_f32_e32 v[46:47], v45
	v_frexp_mant_f32_e32 v15, v45
	v_add_f32_e32 v35, -1.0, v45
	s_delay_alu instid0(VALU_DEP_2) | instskip(NEXT) | instid1(VALU_DEP_2)
	v_cmp_gt_f32_e32 vcc_lo, 0x3f2aaaab, v15
	v_mov_b32_e32 v44, v35
	v_frexp_exp_i32_f64_e32 v13, v[46:47]
	s_delay_alu instid0(VALU_DEP_2) | instskip(NEXT) | instid1(VALU_DEP_1)
	v_pk_add_f32 v[46:47], v[34:35], v[44:45] neg_lo:[0,1] neg_hi:[0,1]
	v_add_f32_e32 v35, 1.0, v47
	s_delay_alu instid0(VALU_DEP_3) | instskip(SKIP_1) | instid1(VALU_DEP_2)
	v_subrev_co_ci_u32_e64 v13, null, 0, v13, vcc_lo
	v_cmp_neq_f32_e32 vcc_lo, 0x7f800000, v34
	v_sub_nc_u32_e32 v15, 0, v13
	s_delay_alu instid0(VALU_DEP_1) | instskip(NEXT) | instid1(VALU_DEP_1)
	v_ldexp_f32 v31, v45, v15
	v_dual_add_f32 v44, 1.0, v31 :: v_dual_add_f32 v49, -1.0, v31
	s_delay_alu instid0(VALU_DEP_1) | instskip(NEXT) | instid1(VALU_DEP_1)
	v_dual_add_f32 v35, v46, v35 :: v_dual_add_f32 v45, -1.0, v44
	v_ldexp_f32 v15, v35, v15
	s_delay_alu instid0(VALU_DEP_2) | instskip(NEXT) | instid1(VALU_DEP_4)
	v_sub_f32_e32 v35, v31, v45
	v_add_f32_e32 v45, 1.0, v49
	s_delay_alu instid0(VALU_DEP_1) | instskip(NEXT) | instid1(VALU_DEP_3)
	v_sub_f32_e32 v31, v31, v45
	v_add_f32_e32 v35, v15, v35
	s_delay_alu instid0(VALU_DEP_2) | instskip(NEXT) | instid1(VALU_DEP_2)
	v_add_f32_e32 v15, v15, v31
	v_add_f32_e32 v50, v44, v35
	s_delay_alu instid0(VALU_DEP_1) | instskip(NEXT) | instid1(VALU_DEP_1)
	v_dual_add_f32 v45, v49, v15 :: v_dual_sub_f32 v44, v50, v44
	v_dual_sub_f32 v52, v45, v49 :: v_dual_sub_f32 v35, v35, v44
	v_rcp_f32_e32 v31, v50
	v_nop
	s_delay_alu instid0(TRANS32_DEP_1) | instskip(NEXT) | instid1(VALU_DEP_1)
	v_dual_mul_f32 v51, v45, v31 :: v_dual_sub_f32 v15, v15, v52
	v_mul_f32_e32 v46, v50, v51
	s_delay_alu instid0(VALU_DEP_1) | instskip(NEXT) | instid1(VALU_DEP_1)
	v_fma_f32 v48, v51, v50, -v46
	v_fmac_f32_e32 v48, v51, v35
	s_delay_alu instid0(VALU_DEP_1) | instskip(NEXT) | instid1(VALU_DEP_1)
	v_add_f32_e32 v44, v46, v48
	v_dual_sub_f32 v47, v45, v44 :: v_dual_mov_b32 v49, v44
	s_delay_alu instid0(VALU_DEP_1) | instskip(NEXT) | instid1(VALU_DEP_1)
	v_pk_add_f32 v[44:45], v[44:45], v[46:47] neg_lo:[0,1] neg_hi:[0,1]
	v_pk_add_f32 v[44:45], v[44:45], v[48:49] neg_lo:[0,1] neg_hi:[0,1]
	s_delay_alu instid0(VALU_DEP_1) | instskip(NEXT) | instid1(VALU_DEP_1)
	v_add_f32_e32 v15, v15, v45
	v_add_f32_e32 v15, v44, v15
	s_delay_alu instid0(VALU_DEP_1) | instskip(NEXT) | instid1(VALU_DEP_1)
	v_add_f32_e32 v45, v47, v15
	v_mul_f32_e32 v52, v31, v45
	s_delay_alu instid0(VALU_DEP_1) | instskip(NEXT) | instid1(VALU_DEP_1)
	v_mul_f32_e32 v48, v50, v52
	v_fma_f32 v46, v52, v50, -v48
	s_delay_alu instid0(VALU_DEP_1) | instskip(NEXT) | instid1(VALU_DEP_1)
	v_dual_fmac_f32 v46, v52, v35 :: v_dual_sub_f32 v35, v47, v45
	v_dual_add_f32 v44, v48, v46 :: v_dual_add_f32 v15, v15, v35
	s_delay_alu instid0(VALU_DEP_1) | instskip(NEXT) | instid1(VALU_DEP_1)
	v_dual_mov_b32 v47, v44 :: v_dual_sub_f32 v49, v45, v44
	v_pk_add_f32 v[44:45], v[44:45], v[48:49] neg_lo:[0,1] neg_hi:[0,1]
	s_delay_alu instid0(VALU_DEP_1) | instskip(NEXT) | instid1(VALU_DEP_1)
	v_pk_add_f32 v[44:45], v[44:45], v[46:47] neg_lo:[0,1] neg_hi:[0,1]
	v_add_f32_e32 v15, v15, v45
	s_delay_alu instid0(VALU_DEP_1) | instskip(NEXT) | instid1(VALU_DEP_1)
	v_dual_add_f32 v35, v51, v52 :: v_dual_add_f32 v15, v44, v15
	v_sub_f32_e32 v44, v35, v51
	s_delay_alu instid0(VALU_DEP_1) | instskip(NEXT) | instid1(VALU_DEP_1)
	v_dual_add_f32 v15, v49, v15 :: v_dual_sub_f32 v44, v52, v44
	v_mul_f32_e32 v15, v31, v15
	s_delay_alu instid0(VALU_DEP_1) | instskip(SKIP_1) | instid1(VALU_DEP_2)
	v_add_f32_e32 v31, v44, v15
	v_cvt_f32_i32_e32 v44, v13
	v_add_f32_e32 v50, v35, v31
	s_delay_alu instid0(VALU_DEP_1) | instskip(SKIP_1) | instid1(VALU_DEP_2)
	v_mul_f32_e32 v15, v50, v50
	v_ldexp_f32 v49, v50, 1
	v_dual_fmaak_f32 v46, s9, v15, 0x3ecc95a3 :: v_dual_mul_f32 v45, v50, v15
	s_delay_alu instid0(VALU_DEP_1) | instskip(NEXT) | instid1(VALU_DEP_1)
	v_fmaak_f32 v15, v15, v46, 0x3f2aaada
	v_pk_mul_f32 v[46:47], v[44:45], v[14:15]
	s_delay_alu instid0(VALU_DEP_1) | instskip(NEXT) | instid1(VALU_DEP_1)
	v_fma_f32 v48, 0x3f317218, v44, -v46
	v_fmac_f32_e32 v48, 0xb102e308, v44
	s_delay_alu instid0(VALU_DEP_1) | instskip(NEXT) | instid1(VALU_DEP_1)
	v_pk_add_f32 v[44:45], v[46:47], v[48:49]
	v_dual_sub_f32 v15, v45, v49 :: v_dual_sub_f32 v13, v50, v35
	s_delay_alu instid0(VALU_DEP_2) | instskip(NEXT) | instid1(VALU_DEP_2)
	v_dual_mov_b32 v49, v44 :: v_dual_mov_b32 v50, v46
	v_dual_mov_b32 v58, v45 :: v_dual_sub_f32 v15, v47, v15
	s_delay_alu instid0(VALU_DEP_3) | instskip(SKIP_1) | instid1(VALU_DEP_2)
	v_sub_f32_e32 v13, v31, v13
	v_pk_add_f32 v[46:47], v[44:45], v[46:47] neg_lo:[0,1] neg_hi:[0,1]
	v_ldexp_f32 v13, v13, 1
	s_delay_alu instid0(VALU_DEP_1) | instskip(NEXT) | instid1(VALU_DEP_1)
	v_add_f32_e32 v51, v13, v15
	v_pk_add_f32 v[52:53], v[44:45], v[50:51]
	s_delay_alu instid0(VALU_DEP_1) | instskip(NEXT) | instid1(VALU_DEP_1)
	v_mov_b32_e32 v47, v53
	v_pk_add_f32 v[54:55], v[48:49], v[46:47]
	v_pk_add_f32 v[46:47], v[48:49], v[46:47] neg_lo:[0,1] neg_hi:[0,1]
	s_delay_alu instid0(VALU_DEP_2) | instskip(NEXT) | instid1(VALU_DEP_1)
	v_dual_mov_b32 v50, v55 :: v_dual_mov_b32 v47, v55
	v_pk_add_f32 v[56:57], v[50:51], v[44:45] neg_lo:[0,1] neg_hi:[0,1]
	v_dual_mov_b32 v54, v53 :: v_dual_mov_b32 v45, v44
	s_delay_alu instid0(VALU_DEP_2) | instskip(SKIP_1) | instid1(VALU_DEP_2)
	v_dual_mov_b32 v44, v51 :: v_dual_mov_b32 v59, v56
	v_mov_b32_e32 v13, v56
	v_pk_add_f32 v[56:57], v[54:55], v[58:59] neg_lo:[0,1] neg_hi:[0,1]
	s_delay_alu instid0(VALU_DEP_2) | instskip(SKIP_1) | instid1(VALU_DEP_3)
	v_pk_add_f32 v[48:49], v[52:53], v[12:13] neg_lo:[0,1] neg_hi:[0,1]
	v_mov_b32_e32 v48, v46
	v_pk_add_f32 v[44:45], v[44:45], v[56:57] neg_lo:[0,1] neg_hi:[0,1]
	s_delay_alu instid0(VALU_DEP_1) | instskip(NEXT) | instid1(VALU_DEP_1)
	v_pk_add_f32 v[48:49], v[48:49], v[44:45]
	v_mov_b32_e32 v52, v49
	s_delay_alu instid0(VALU_DEP_1) | instskip(NEXT) | instid1(VALU_DEP_1)
	v_pk_add_f32 v[52:53], v[48:49], v[52:53]
	v_pk_add_f32 v[50:51], v[50:51], v[52:53]
	s_delay_alu instid0(VALU_DEP_1) | instskip(NEXT) | instid1(VALU_DEP_1)
	v_dual_mov_b32 v45, v52 :: v_dual_mov_b32 v49, v50
	v_pk_add_f32 v[54:55], v[48:49], v[46:47] neg_lo:[0,1] neg_hi:[0,1]
	s_delay_alu instid0(VALU_DEP_1) | instskip(NEXT) | instid1(VALU_DEP_2)
	v_sub_f32_e32 v13, v48, v54
	v_pk_add_f32 v[44:45], v[44:45], v[54:55] neg_lo:[0,1] neg_hi:[0,1]
	s_delay_alu instid0(VALU_DEP_2) | instskip(NEXT) | instid1(VALU_DEP_1)
	v_sub_f32_e32 v13, v46, v13
	v_add_f32_e32 v13, v44, v13
	s_delay_alu instid0(VALU_DEP_1) | instskip(NEXT) | instid1(VALU_DEP_1)
	v_add_f32_e32 v13, v13, v45
	v_add_f32_e32 v13, v50, v13
	s_delay_alu instid0(VALU_DEP_1) | instskip(SKIP_1) | instid1(VALU_DEP_2)
	v_cndmask_b32_e32 v13, 0x7f800000, v13, vcc_lo
	v_cmp_ngt_f32_e32 vcc_lo, -1.0, v34
	v_cndmask_b32_e32 v13, 0x7fc00000, v13, vcc_lo
	v_cmp_neq_f32_e32 vcc_lo, -1.0, v34
	s_delay_alu instid0(VALU_DEP_2) | instskip(SKIP_1) | instid1(VALU_DEP_2)
	v_cndmask_b32_e32 v13, 0xff800000, v13, vcc_lo
	v_cmp_gt_f32_e64 vcc_lo, 0x33800000, |v34|
	v_cndmask_b32_e32 v13, v13, v34, vcc_lo
.LBB43_525:                             ;   in Loop: Header=BB43_401 Depth=1
	s_and_not1_saveexec_b32 s33, s33
	s_cbranch_execz .LBB43_531
; %bb.526:                              ;   in Loop: Header=BB43_401 Depth=1
	s_mov_b32 s34, exec_lo
                                        ; implicit-def: $vgpr13
	v_cmpx_nlt_f32_e64 |v32|, 1.0
	s_xor_b32 s34, exec_lo, s34
	s_cbranch_execz .LBB43_528
; %bb.527:                              ;   in Loop: Header=BB43_401 Depth=1
	v_mul_f32_e32 v13, v39, v40
	s_delay_alu instid0(VALU_DEP_1) | instskip(SKIP_1) | instid1(VALU_DEP_2)
	v_mul_f32_e32 v15, 0x4f800000, v13
	v_cmp_gt_f32_e32 vcc_lo, 0xf800000, v13
	v_cndmask_b32_e32 v13, v13, v15, vcc_lo
	s_delay_alu instid0(VALU_DEP_1) | instskip(SKIP_1) | instid1(TRANS32_DEP_1)
	v_sqrt_f32_e32 v15, v13
	v_nop
	v_dual_add_nc_u32 v31, -1, v15 :: v_dual_add_nc_u32 v34, 1, v15
	s_delay_alu instid0(VALU_DEP_1) | instskip(NEXT) | instid1(VALU_DEP_1)
	v_dual_fma_f32 v35, -v31, v15, v13 :: v_dual_fma_f32 v44, -v34, v15, v13
	v_cmp_ge_f32_e64 s7, 0, v35
	s_delay_alu instid0(VALU_DEP_1) | instskip(NEXT) | instid1(VALU_DEP_3)
	v_cndmask_b32_e64 v15, v15, v31, s7
	v_cmp_lt_f32_e64 s7, 0, v44
	s_delay_alu instid0(VALU_DEP_1) | instskip(NEXT) | instid1(VALU_DEP_1)
	v_cndmask_b32_e64 v15, v15, v34, s7
	v_mul_f32_e32 v31, 0x37800000, v15
	s_delay_alu instid0(VALU_DEP_1) | instskip(SKIP_1) | instid1(VALU_DEP_2)
	v_cndmask_b32_e32 v15, v15, v31, vcc_lo
	v_cmp_class_f32_e64 vcc_lo, v13, 0x260
	v_cndmask_b32_e32 v13, v15, v13, vcc_lo
	s_delay_alu instid0(VALU_DEP_1) | instskip(NEXT) | instid1(VALU_DEP_1)
	v_add_f32_e32 v34, v39, v13
	v_add_f32_e32 v45, 1.0, v34
	s_delay_alu instid0(VALU_DEP_1) | instskip(SKIP_2) | instid1(VALU_DEP_2)
	v_cvt_f64_f32_e32 v[46:47], v45
	v_frexp_mant_f32_e32 v15, v45
	v_add_f32_e32 v35, -1.0, v45
	v_cmp_gt_f32_e32 vcc_lo, 0x3f2aaaab, v15
	s_delay_alu instid0(VALU_DEP_2) | instskip(SKIP_1) | instid1(VALU_DEP_2)
	v_mov_b32_e32 v44, v35
	v_frexp_exp_i32_f64_e32 v13, v[46:47]
	v_pk_add_f32 v[46:47], v[34:35], v[44:45] neg_lo:[0,1] neg_hi:[0,1]
	s_delay_alu instid0(VALU_DEP_1) | instskip(NEXT) | instid1(VALU_DEP_1)
	v_add_f32_e32 v35, 1.0, v47
	v_add_f32_e32 v35, v46, v35
	s_delay_alu instid0(VALU_DEP_4) | instskip(SKIP_1) | instid1(VALU_DEP_2)
	v_subrev_co_ci_u32_e64 v13, null, 0, v13, vcc_lo
	v_cmp_neq_f32_e32 vcc_lo, 0x7f800000, v34
	v_sub_nc_u32_e32 v15, 0, v13
	s_delay_alu instid0(VALU_DEP_1) | instskip(SKIP_1) | instid1(VALU_DEP_2)
	v_ldexp_f32 v31, v45, v15
	v_ldexp_f32 v15, v35, v15
	v_dual_add_f32 v44, 1.0, v31 :: v_dual_add_f32 v49, -1.0, v31
	s_delay_alu instid0(VALU_DEP_1) | instskip(NEXT) | instid1(VALU_DEP_1)
	v_add_f32_e32 v45, -1.0, v44
	v_sub_f32_e32 v35, v31, v45
	s_delay_alu instid0(VALU_DEP_3) | instskip(NEXT) | instid1(VALU_DEP_1)
	v_add_f32_e32 v45, 1.0, v49
	v_sub_f32_e32 v31, v31, v45
	s_delay_alu instid0(VALU_DEP_3) | instskip(NEXT) | instid1(VALU_DEP_2)
	v_add_f32_e32 v35, v15, v35
	v_add_f32_e32 v15, v15, v31
	s_delay_alu instid0(VALU_DEP_2) | instskip(NEXT) | instid1(VALU_DEP_1)
	v_add_f32_e32 v50, v44, v35
	v_dual_add_f32 v45, v49, v15 :: v_dual_sub_f32 v44, v50, v44
	s_delay_alu instid0(VALU_DEP_1) | instskip(SKIP_2) | instid1(TRANS32_DEP_1)
	v_dual_sub_f32 v52, v45, v49 :: v_dual_sub_f32 v35, v35, v44
	v_rcp_f32_e32 v31, v50
	v_nop
	v_dual_mul_f32 v51, v45, v31 :: v_dual_sub_f32 v15, v15, v52
	s_delay_alu instid0(VALU_DEP_1) | instskip(NEXT) | instid1(VALU_DEP_1)
	v_mul_f32_e32 v46, v50, v51
	v_fma_f32 v48, v51, v50, -v46
	s_delay_alu instid0(VALU_DEP_1) | instskip(NEXT) | instid1(VALU_DEP_1)
	v_fmac_f32_e32 v48, v51, v35
	v_add_f32_e32 v44, v46, v48
	s_delay_alu instid0(VALU_DEP_1) | instskip(NEXT) | instid1(VALU_DEP_1)
	v_dual_sub_f32 v47, v45, v44 :: v_dual_mov_b32 v49, v44
	v_pk_add_f32 v[44:45], v[44:45], v[46:47] neg_lo:[0,1] neg_hi:[0,1]
	s_delay_alu instid0(VALU_DEP_1) | instskip(NEXT) | instid1(VALU_DEP_1)
	v_pk_add_f32 v[44:45], v[44:45], v[48:49] neg_lo:[0,1] neg_hi:[0,1]
	v_add_f32_e32 v15, v15, v45
	s_delay_alu instid0(VALU_DEP_1) | instskip(NEXT) | instid1(VALU_DEP_1)
	v_add_f32_e32 v15, v44, v15
	v_add_f32_e32 v45, v47, v15
	s_delay_alu instid0(VALU_DEP_1) | instskip(NEXT) | instid1(VALU_DEP_1)
	v_mul_f32_e32 v52, v31, v45
	v_mul_f32_e32 v48, v50, v52
	s_delay_alu instid0(VALU_DEP_1) | instskip(NEXT) | instid1(VALU_DEP_1)
	v_fma_f32 v46, v52, v50, -v48
	v_dual_fmac_f32 v46, v52, v35 :: v_dual_sub_f32 v35, v47, v45
	s_delay_alu instid0(VALU_DEP_1) | instskip(NEXT) | instid1(VALU_DEP_1)
	v_dual_add_f32 v44, v48, v46 :: v_dual_add_f32 v15, v15, v35
	v_dual_mov_b32 v47, v44 :: v_dual_sub_f32 v49, v45, v44
	s_delay_alu instid0(VALU_DEP_1) | instskip(NEXT) | instid1(VALU_DEP_1)
	v_pk_add_f32 v[44:45], v[44:45], v[48:49] neg_lo:[0,1] neg_hi:[0,1]
	v_pk_add_f32 v[44:45], v[44:45], v[46:47] neg_lo:[0,1] neg_hi:[0,1]
	s_delay_alu instid0(VALU_DEP_1) | instskip(NEXT) | instid1(VALU_DEP_1)
	v_add_f32_e32 v15, v15, v45
	v_dual_add_f32 v35, v51, v52 :: v_dual_add_f32 v15, v44, v15
	s_delay_alu instid0(VALU_DEP_1) | instskip(NEXT) | instid1(VALU_DEP_1)
	v_sub_f32_e32 v44, v35, v51
	v_dual_add_f32 v15, v49, v15 :: v_dual_sub_f32 v44, v52, v44
	s_delay_alu instid0(VALU_DEP_1) | instskip(NEXT) | instid1(VALU_DEP_1)
	v_mul_f32_e32 v15, v31, v15
	v_add_f32_e32 v31, v44, v15
	v_cvt_f32_i32_e32 v44, v13
	s_delay_alu instid0(VALU_DEP_2) | instskip(NEXT) | instid1(VALU_DEP_1)
	v_add_f32_e32 v50, v35, v31
	v_mul_f32_e32 v15, v50, v50
	v_ldexp_f32 v49, v50, 1
	s_delay_alu instid0(VALU_DEP_2) | instskip(NEXT) | instid1(VALU_DEP_1)
	v_dual_fmaak_f32 v46, s9, v15, 0x3ecc95a3 :: v_dual_mul_f32 v45, v50, v15
	v_fmaak_f32 v15, v15, v46, 0x3f2aaada
	s_delay_alu instid0(VALU_DEP_1) | instskip(NEXT) | instid1(VALU_DEP_1)
	v_pk_mul_f32 v[46:47], v[44:45], v[14:15]
	v_fma_f32 v48, 0x3f317218, v44, -v46
	s_delay_alu instid0(VALU_DEP_1) | instskip(NEXT) | instid1(VALU_DEP_1)
	v_fmac_f32_e32 v48, 0xb102e308, v44
	v_pk_add_f32 v[44:45], v[46:47], v[48:49]
	s_delay_alu instid0(VALU_DEP_1) | instskip(NEXT) | instid1(VALU_DEP_2)
	v_dual_sub_f32 v15, v45, v49 :: v_dual_sub_f32 v13, v50, v35
	v_dual_mov_b32 v49, v44 :: v_dual_mov_b32 v50, v46
	s_delay_alu instid0(VALU_DEP_2) | instskip(NEXT) | instid1(VALU_DEP_3)
	v_dual_mov_b32 v58, v45 :: v_dual_sub_f32 v15, v47, v15
	v_sub_f32_e32 v13, v31, v13
	v_pk_add_f32 v[46:47], v[44:45], v[46:47] neg_lo:[0,1] neg_hi:[0,1]
	s_delay_alu instid0(VALU_DEP_2) | instskip(NEXT) | instid1(VALU_DEP_1)
	v_ldexp_f32 v13, v13, 1
	v_add_f32_e32 v51, v13, v15
	s_delay_alu instid0(VALU_DEP_1) | instskip(NEXT) | instid1(VALU_DEP_1)
	v_pk_add_f32 v[52:53], v[44:45], v[50:51]
	v_mov_b32_e32 v47, v53
	s_delay_alu instid0(VALU_DEP_1) | instskip(SKIP_1) | instid1(VALU_DEP_2)
	v_pk_add_f32 v[54:55], v[48:49], v[46:47]
	v_pk_add_f32 v[46:47], v[48:49], v[46:47] neg_lo:[0,1] neg_hi:[0,1]
	v_dual_mov_b32 v50, v55 :: v_dual_mov_b32 v47, v55
	s_delay_alu instid0(VALU_DEP_1) | instskip(SKIP_1) | instid1(VALU_DEP_2)
	v_pk_add_f32 v[56:57], v[50:51], v[44:45] neg_lo:[0,1] neg_hi:[0,1]
	v_dual_mov_b32 v54, v53 :: v_dual_mov_b32 v45, v44
	v_dual_mov_b32 v44, v51 :: v_dual_mov_b32 v59, v56
	v_mov_b32_e32 v13, v56
	s_delay_alu instid0(VALU_DEP_2) | instskip(NEXT) | instid1(VALU_DEP_2)
	v_pk_add_f32 v[56:57], v[54:55], v[58:59] neg_lo:[0,1] neg_hi:[0,1]
	v_pk_add_f32 v[48:49], v[52:53], v[12:13] neg_lo:[0,1] neg_hi:[0,1]
	v_mov_b32_e32 v48, v46
	s_delay_alu instid0(VALU_DEP_3) | instskip(NEXT) | instid1(VALU_DEP_1)
	v_pk_add_f32 v[44:45], v[44:45], v[56:57] neg_lo:[0,1] neg_hi:[0,1]
	v_pk_add_f32 v[48:49], v[48:49], v[44:45]
	s_delay_alu instid0(VALU_DEP_1) | instskip(NEXT) | instid1(VALU_DEP_1)
	v_mov_b32_e32 v52, v49
	v_pk_add_f32 v[52:53], v[48:49], v[52:53]
	s_delay_alu instid0(VALU_DEP_1) | instskip(NEXT) | instid1(VALU_DEP_1)
	v_pk_add_f32 v[50:51], v[50:51], v[52:53]
	v_dual_mov_b32 v45, v52 :: v_dual_mov_b32 v49, v50
	s_delay_alu instid0(VALU_DEP_1) | instskip(NEXT) | instid1(VALU_DEP_1)
	v_pk_add_f32 v[54:55], v[48:49], v[46:47] neg_lo:[0,1] neg_hi:[0,1]
	v_sub_f32_e32 v13, v48, v54
	s_delay_alu instid0(VALU_DEP_2) | instskip(NEXT) | instid1(VALU_DEP_2)
	v_pk_add_f32 v[44:45], v[44:45], v[54:55] neg_lo:[0,1] neg_hi:[0,1]
	v_sub_f32_e32 v13, v46, v13
	s_delay_alu instid0(VALU_DEP_1) | instskip(NEXT) | instid1(VALU_DEP_1)
	v_add_f32_e32 v13, v44, v13
	v_add_f32_e32 v13, v13, v45
	s_delay_alu instid0(VALU_DEP_1) | instskip(NEXT) | instid1(VALU_DEP_1)
	v_add_f32_e32 v13, v50, v13
	v_cndmask_b32_e32 v13, 0x7f800000, v13, vcc_lo
	v_cmp_ngt_f32_e32 vcc_lo, -1.0, v34
	s_delay_alu instid0(VALU_DEP_2) | instskip(SKIP_1) | instid1(VALU_DEP_2)
	v_cndmask_b32_e32 v13, 0x7fc00000, v13, vcc_lo
	v_cmp_neq_f32_e32 vcc_lo, -1.0, v34
	v_cndmask_b32_e32 v13, 0xff800000, v13, vcc_lo
	v_cmp_gt_f32_e64 vcc_lo, 0x33800000, |v34|
	s_delay_alu instid0(VALU_DEP_2)
	v_cndmask_b32_e32 v13, v13, v34, vcc_lo
.LBB43_528:                             ;   in Loop: Header=BB43_401 Depth=1
	s_and_not1_saveexec_b32 s34, s34
	s_cbranch_execz .LBB43_530
; %bb.529:                              ;   in Loop: Header=BB43_401 Depth=1
	v_sub_f32_e64 v13, 1.0, |v32|
	s_delay_alu instid0(VALU_DEP_1) | instskip(NEXT) | instid1(VALU_DEP_1)
	v_mul_f32_e32 v13, v13, v40
	v_mul_f32_e32 v15, 0x4f800000, v13
	v_cmp_gt_f32_e32 vcc_lo, 0xf800000, v13
	s_delay_alu instid0(VALU_DEP_2) | instskip(NEXT) | instid1(VALU_DEP_1)
	v_cndmask_b32_e32 v13, v13, v15, vcc_lo
	v_sqrt_f32_e32 v15, v13
	v_nop
	s_delay_alu instid0(TRANS32_DEP_1) | instskip(NEXT) | instid1(VALU_DEP_1)
	v_dual_add_nc_u32 v31, -1, v15 :: v_dual_add_nc_u32 v34, 1, v15
	v_dual_fma_f32 v35, -v31, v15, v13 :: v_dual_fma_f32 v44, -v34, v15, v13
	s_delay_alu instid0(VALU_DEP_1) | instskip(NEXT) | instid1(VALU_DEP_1)
	v_cmp_ge_f32_e64 s7, 0, v35
	v_cndmask_b32_e64 v15, v15, v31, s7
	s_delay_alu instid0(VALU_DEP_3) | instskip(NEXT) | instid1(VALU_DEP_1)
	v_cmp_lt_f32_e64 s7, 0, v44
	v_cndmask_b32_e64 v15, v15, v34, s7
	s_delay_alu instid0(VALU_DEP_1) | instskip(NEXT) | instid1(VALU_DEP_1)
	v_mul_f32_e32 v31, 0x37800000, v15
	v_cndmask_b32_e32 v15, v15, v31, vcc_lo
	v_cmp_class_f32_e64 vcc_lo, v13, 0x260
	v_and_b32_e32 v31, 0x7fffffff, v33
	s_delay_alu instid0(VALU_DEP_3) | instskip(NEXT) | instid1(VALU_DEP_1)
	v_cndmask_b32_e32 v13, v15, v13, vcc_lo
	v_div_scale_f32 v15, null, v13, v13, v31
	v_div_scale_f32 v31, vcc_lo, v31, v13, v31
	s_delay_alu instid0(VALU_DEP_2) | instskip(SKIP_1) | instid1(TRANS32_DEP_1)
	v_rcp_f32_e32 v34, v15
	v_nop
	v_fma_f32 v35, -v15, v34, 1.0
	s_delay_alu instid0(VALU_DEP_1) | instskip(NEXT) | instid1(VALU_DEP_1)
	v_fmac_f32_e32 v34, v35, v34
	v_mul_f32_e32 v35, v31, v34
	s_delay_alu instid0(VALU_DEP_1) | instskip(NEXT) | instid1(VALU_DEP_1)
	v_fma_f32 v44, -v15, v35, v31
	v_fmac_f32_e32 v35, v44, v34
	s_delay_alu instid0(VALU_DEP_1) | instskip(NEXT) | instid1(VALU_DEP_1)
	v_fma_f32 v15, -v15, v35, v31
	v_div_fmas_f32 v15, v15, v34, v35
	s_delay_alu instid0(VALU_DEP_1)
	v_div_fixup_f32 v13, v15, v13, |v33|
.LBB43_530:                             ;   in Loop: Header=BB43_401 Depth=1
	s_or_b32 exec_lo, exec_lo, s34
.LBB43_531:                             ;   in Loop: Header=BB43_401 Depth=1
	s_delay_alu instid0(SALU_CYCLE_1)
	s_or_b32 exec_lo, exec_lo, s33
.LBB43_532:                             ;   in Loop: Header=BB43_401 Depth=1
	s_and_not1_saveexec_b32 s31, s31
	s_cbranch_execz .LBB43_534
; %bb.533:                              ;   in Loop: Header=BB43_401 Depth=1
	v_mul_f32_e64 v13, 0x4f800000, |v33|
	v_cmp_gt_f32_e64 vcc_lo, 0xf800000, |v33|
	s_delay_alu instid0(VALU_DEP_1) | instskip(NEXT) | instid1(VALU_DEP_1)
	v_cndmask_b32_e64 v13, |v33|, v13, vcc_lo
	v_sqrt_f32_e32 v15, v13
	v_nop
	s_delay_alu instid0(TRANS32_DEP_1) | instskip(NEXT) | instid1(VALU_DEP_1)
	v_dual_add_nc_u32 v31, -1, v15 :: v_dual_add_nc_u32 v34, 1, v15
	v_dual_fma_f32 v35, -v31, v15, v13 :: v_dual_fma_f32 v44, -v34, v15, v13
	s_delay_alu instid0(VALU_DEP_1) | instskip(NEXT) | instid1(VALU_DEP_1)
	v_cmp_ge_f32_e64 s7, 0, v35
	v_cndmask_b32_e64 v15, v15, v31, s7
	s_delay_alu instid0(VALU_DEP_3) | instskip(NEXT) | instid1(VALU_DEP_1)
	v_cmp_lt_f32_e64 s7, 0, v44
	v_cndmask_b32_e64 v15, v15, v34, s7
	s_delay_alu instid0(VALU_DEP_1) | instskip(NEXT) | instid1(VALU_DEP_1)
	v_mul_f32_e32 v31, 0x37800000, v15
	v_cndmask_b32_e32 v15, v15, v31, vcc_lo
	v_cmp_class_f32_e64 vcc_lo, v13, 0x260
	s_delay_alu instid0(VALU_DEP_2)
	v_cndmask_b32_e32 v13, v15, v13, vcc_lo
.LBB43_534:                             ;   in Loop: Header=BB43_401 Depth=1
	s_or_b32 exec_lo, exec_lo, s31
.LBB43_535:                             ;   in Loop: Header=BB43_401 Depth=1
	s_delay_alu instid0(SALU_CYCLE_1) | instskip(NEXT) | instid1(SALU_CYCLE_1)
	s_or_b32 exec_lo, exec_lo, s8
	s_mov_b32 s31, exec_lo
                                        ; implicit-def: $sgpr7
                                        ; implicit-def: $vgpr35
                                        ; implicit-def: $vgpr15
	v_cmpx_ngt_f32_e64 0x21000000, |v32|
	s_xor_b32 s31, exec_lo, s31
	s_cbranch_execz .LBB43_559
; %bb.536:                              ;   in Loop: Header=BB43_401 Depth=1
	v_and_b32_e32 v34, 0x7fffffff, v32
	s_mov_b32 s7, 0
	s_mov_b32 s33, exec_lo
	s_delay_alu instid0(VALU_DEP_1) | instskip(NEXT) | instid1(VALU_DEP_1)
	v_div_scale_f32 v15, null, v30, v30, v34
	v_rcp_f32_e32 v31, v15
	v_nop
	s_delay_alu instid0(TRANS32_DEP_1) | instskip(NEXT) | instid1(VALU_DEP_1)
	v_fma_f32 v35, -v15, v31, 1.0
	v_fmac_f32_e32 v31, v35, v31
	v_div_scale_f32 v35, vcc_lo, v34, v30, v34
	s_delay_alu instid0(VALU_DEP_1) | instskip(NEXT) | instid1(VALU_DEP_1)
	v_mul_f32_e32 v44, v35, v31
	v_fma_f32 v45, -v15, v44, v35
	s_delay_alu instid0(VALU_DEP_1) | instskip(NEXT) | instid1(VALU_DEP_1)
	v_fmac_f32_e32 v44, v45, v31
	v_fma_f32 v15, -v15, v44, v35
	s_delay_alu instid0(VALU_DEP_1) | instskip(NEXT) | instid1(VALU_DEP_1)
	v_div_fmas_f32 v15, v15, v31, v44
	v_div_fixup_f32 v15, v15, v30, |v32|
	s_delay_alu instid0(VALU_DEP_1)
	v_cmpx_lt_f32_e32 0x3f244674, v15
	s_cbranch_execz .LBB43_558
; %bb.537:                              ;   in Loop: Header=BB43_401 Depth=1
	v_cmp_neq_f32_e64 s7, |v32|, 1.0
	v_cmp_ngt_f32_e64 s8, 0x30800000, |v33|
	s_or_b32 s7, s8, s7
	s_delay_alu instid0(SALU_CYCLE_1) | instskip(NEXT) | instid1(SALU_CYCLE_1)
	s_and_saveexec_b32 s8, s7
	s_xor_b32 s8, exec_lo, s8
	s_cbranch_execz .LBB43_555
; %bb.538:                              ;   in Loop: Header=BB43_401 Depth=1
	v_mul_f32_e64 v31, 0x34000000, |v39|
	s_mov_b32 s34, exec_lo
	s_delay_alu instid0(VALU_DEP_1)
	v_cmpx_ge_f32_e64 |v33|, v31
	s_xor_b32 s34, exec_lo, s34
	s_cbranch_execz .LBB43_548
; %bb.539:                              ;   in Loop: Header=BB43_401 Depth=1
	v_mov_b32_e32 v31, v42
	s_mov_b32 s7, exec_lo
	v_cmpx_neq_f32_e32 0, v40
	s_cbranch_execz .LBB43_541
; %bb.540:                              ;   in Loop: Header=BB43_401 Depth=1
	v_dual_mul_f32 v31, v33, v33 :: v_dual_add_f32 v35, v40, v43
	s_delay_alu instid0(VALU_DEP_1) | instskip(NEXT) | instid1(VALU_DEP_1)
	v_div_scale_f32 v40, null, v35, v35, v31
	v_rcp_f32_e32 v43, v40
	v_nop
	s_delay_alu instid0(TRANS32_DEP_1) | instskip(NEXT) | instid1(VALU_DEP_1)
	v_fma_f32 v44, -v40, v43, 1.0
	v_fmac_f32_e32 v43, v44, v43
	v_div_scale_f32 v44, vcc_lo, v31, v35, v31
	s_delay_alu instid0(VALU_DEP_1) | instskip(NEXT) | instid1(VALU_DEP_1)
	v_mul_f32_e32 v45, v44, v43
	v_fma_f32 v46, -v40, v45, v44
	s_delay_alu instid0(VALU_DEP_1) | instskip(NEXT) | instid1(VALU_DEP_1)
	v_fmac_f32_e32 v45, v46, v43
	v_fma_f32 v40, -v40, v45, v44
	s_delay_alu instid0(VALU_DEP_1) | instskip(NEXT) | instid1(VALU_DEP_1)
	v_div_fmas_f32 v40, v40, v43, v45
	v_div_fixup_f32 v31, v40, v35, v31
.LBB43_541:                             ;   in Loop: Header=BB43_401 Depth=1
	s_or_b32 exec_lo, exec_lo, s7
	s_delay_alu instid0(SALU_CYCLE_1)
	s_mov_b32 s7, exec_lo
	v_cmpx_ngt_f32_e32 0, v39
	s_xor_b32 s7, exec_lo, s7
	s_cbranch_execz .LBB43_545
; %bb.542:                              ;   in Loop: Header=BB43_401 Depth=1
	s_mov_b32 s35, exec_lo
	v_cmpx_neq_f32_e32 0, v39
	s_cbranch_execz .LBB43_544
; %bb.543:                              ;   in Loop: Header=BB43_401 Depth=1
	v_mul_f32_e32 v33, v33, v33
	v_add_f32_e32 v35, v39, v41
	s_delay_alu instid0(VALU_DEP_1) | instskip(NEXT) | instid1(VALU_DEP_1)
	v_div_scale_f32 v39, null, v35, v35, v33
	v_rcp_f32_e32 v40, v39
	v_nop
	s_delay_alu instid0(TRANS32_DEP_1) | instskip(NEXT) | instid1(VALU_DEP_1)
	v_fma_f32 v41, -v39, v40, 1.0
	v_fmac_f32_e32 v40, v41, v40
	v_div_scale_f32 v41, vcc_lo, v33, v35, v33
	s_delay_alu instid0(VALU_DEP_1) | instskip(NEXT) | instid1(VALU_DEP_1)
	v_mul_f32_e32 v42, v41, v40
	v_fma_f32 v43, -v39, v42, v41
	s_delay_alu instid0(VALU_DEP_1) | instskip(NEXT) | instid1(VALU_DEP_1)
	v_fmac_f32_e32 v42, v43, v40
	v_fma_f32 v39, -v39, v42, v41
	s_delay_alu instid0(VALU_DEP_1) | instskip(NEXT) | instid1(VALU_DEP_1)
	v_div_fmas_f32 v39, v39, v40, v42
	v_div_fixup_f32 v42, v39, v35, v33
.LBB43_544:                             ;   in Loop: Header=BB43_401 Depth=1
	s_or_b32 exec_lo, exec_lo, s35
                                        ; implicit-def: $vgpr41
                                        ; implicit-def: $vgpr39
.LBB43_545:                             ;   in Loop: Header=BB43_401 Depth=1
	s_and_not1_saveexec_b32 s7, s7
; %bb.546:                              ;   in Loop: Header=BB43_401 Depth=1
	v_sub_f32_e32 v42, v41, v39
; %bb.547:                              ;   in Loop: Header=BB43_401 Depth=1
	s_or_b32 exec_lo, exec_lo, s7
	s_delay_alu instid0(VALU_DEP_1) | instskip(SKIP_1) | instid1(VALU_DEP_1)
	v_dual_mul_f32 v33, 0.5, v31 :: v_dual_mul_f32 v31, 0.5, v42
	v_and_b32_e32 v32, 0x7fffffff, v32
                                        ; implicit-def: $vgpr40
	v_pk_add_f32 v[30:31], v[32:33], v[30:31]
	s_delay_alu instid0(VALU_DEP_1) | instskip(NEXT) | instid1(VALU_DEP_1)
	v_mul_f32_e32 v30, v30, v31
	v_mul_f32_e32 v31, 0x4f800000, v30
	v_cmp_gt_f32_e32 vcc_lo, 0xf800000, v30
	s_delay_alu instid0(VALU_DEP_2) | instskip(NEXT) | instid1(VALU_DEP_1)
	v_cndmask_b32_e32 v30, v30, v31, vcc_lo
	v_sqrt_f32_e32 v31, v30
	v_nop
	s_delay_alu instid0(TRANS32_DEP_1) | instskip(NEXT) | instid1(VALU_DEP_1)
	v_dual_add_nc_u32 v32, -1, v31 :: v_dual_add_nc_u32 v33, 1, v31
	v_dual_fma_f32 v35, -v32, v31, v30 :: v_dual_fma_f32 v39, -v33, v31, v30
	s_delay_alu instid0(VALU_DEP_1) | instskip(NEXT) | instid1(VALU_DEP_1)
	v_cmp_ge_f32_e64 s7, 0, v35
	v_cndmask_b32_e64 v31, v31, v32, s7
	s_delay_alu instid0(VALU_DEP_3) | instskip(NEXT) | instid1(VALU_DEP_1)
	v_cmp_lt_f32_e64 s7, 0, v39
                                        ; implicit-def: $vgpr39
	v_cndmask_b32_e64 v31, v31, v33, s7
	s_delay_alu instid0(VALU_DEP_1) | instskip(NEXT) | instid1(VALU_DEP_1)
	v_mul_f32_e32 v32, 0x37800000, v31
	v_cndmask_b32_e32 v31, v31, v32, vcc_lo
	v_cmp_class_f32_e64 vcc_lo, v30, 0x260
                                        ; implicit-def: $vgpr33
	s_delay_alu instid0(VALU_DEP_2)
	v_cndmask_b32_e32 v35, v31, v30, vcc_lo
.LBB43_548:                             ;   in Loop: Header=BB43_401 Depth=1
	s_and_not1_saveexec_b32 s34, s34
	s_cbranch_execz .LBB43_554
; %bb.549:                              ;   in Loop: Header=BB43_401 Depth=1
	s_mov_b32 s35, exec_lo
	v_cmpx_ngt_f32_e64 |v32|, 1.0
	s_xor_b32 s35, exec_lo, s35
	s_cbranch_execz .LBB43_551
; %bb.550:                              ;   in Loop: Header=BB43_401 Depth=1
	v_sub_f32_e64 v30, 1.0, |v32|
	s_delay_alu instid0(VALU_DEP_1) | instskip(NEXT) | instid1(VALU_DEP_1)
	v_mul_f32_e32 v30, v30, v40
                                        ; implicit-def: $vgpr40
	v_mul_f32_e32 v31, 0x4f800000, v30
	v_cmp_gt_f32_e32 vcc_lo, 0xf800000, v30
	s_delay_alu instid0(VALU_DEP_2) | instskip(NEXT) | instid1(VALU_DEP_1)
	v_cndmask_b32_e32 v30, v30, v31, vcc_lo
	v_sqrt_f32_e32 v31, v30
	v_nop
	s_delay_alu instid0(TRANS32_DEP_1) | instskip(NEXT) | instid1(VALU_DEP_1)
	v_dual_add_nc_u32 v32, -1, v31 :: v_dual_add_nc_u32 v33, 1, v31
	v_dual_fma_f32 v35, -v32, v31, v30 :: v_dual_fma_f32 v39, -v33, v31, v30
	s_delay_alu instid0(VALU_DEP_1) | instskip(NEXT) | instid1(VALU_DEP_1)
	v_cmp_ge_f32_e64 s7, 0, v35
	v_cndmask_b32_e64 v31, v31, v32, s7
	s_delay_alu instid0(VALU_DEP_3) | instskip(NEXT) | instid1(VALU_DEP_1)
	v_cmp_lt_f32_e64 s7, 0, v39
                                        ; implicit-def: $vgpr39
	v_cndmask_b32_e64 v31, v31, v33, s7
	s_delay_alu instid0(VALU_DEP_1) | instskip(NEXT) | instid1(VALU_DEP_1)
	v_mul_f32_e32 v32, 0x37800000, v31
	v_cndmask_b32_e32 v31, v31, v32, vcc_lo
	v_cmp_class_f32_e64 vcc_lo, v30, 0x260
                                        ; implicit-def: $vgpr33
	s_delay_alu instid0(VALU_DEP_2)
	v_cndmask_b32_e32 v35, v31, v30, vcc_lo
.LBB43_551:                             ;   in Loop: Header=BB43_401 Depth=1
	s_and_not1_saveexec_b32 s35, s35
	s_cbranch_execz .LBB43_553
; %bb.552:                              ;   in Loop: Header=BB43_401 Depth=1
	v_mul_f32_e32 v30, v40, v39
	v_mul_f32_e64 v33, 0x57800000, |v33|
	s_delay_alu instid0(VALU_DEP_2) | instskip(SKIP_1) | instid1(VALU_DEP_3)
	v_mul_f32_e32 v31, 0x4f800000, v30
	v_cmp_gt_f32_e32 vcc_lo, 0xf800000, v30
	v_mul_f32_e64 v33, |v32|, v33
	s_delay_alu instid0(VALU_DEP_3) | instskip(NEXT) | instid1(VALU_DEP_1)
	v_cndmask_b32_e32 v30, v30, v31, vcc_lo
	v_sqrt_f32_e32 v31, v30
	v_nop
	s_delay_alu instid0(TRANS32_DEP_1) | instskip(NEXT) | instid1(VALU_DEP_1)
	v_dual_add_nc_u32 v34, -1, v31 :: v_dual_add_nc_u32 v35, 1, v31
	v_dual_fma_f32 v39, -v34, v31, v30 :: v_dual_fma_f32 v40, -v35, v31, v30
	s_delay_alu instid0(VALU_DEP_1) | instskip(NEXT) | instid1(VALU_DEP_1)
	v_cmp_ge_f32_e64 s7, 0, v39
	v_cndmask_b32_e64 v31, v31, v34, s7
	s_delay_alu instid0(VALU_DEP_3) | instskip(NEXT) | instid1(VALU_DEP_1)
	v_cmp_lt_f32_e64 s7, 0, v40
	v_cndmask_b32_e64 v31, v31, v35, s7
	s_delay_alu instid0(VALU_DEP_1) | instskip(NEXT) | instid1(VALU_DEP_1)
	v_mul_f32_e32 v34, 0x37800000, v31
	v_cndmask_b32_e32 v31, v31, v34, vcc_lo
	v_cmp_class_f32_e64 vcc_lo, v30, 0x260
	s_delay_alu instid0(VALU_DEP_2) | instskip(NEXT) | instid1(VALU_DEP_1)
	v_cndmask_b32_e32 v30, v31, v30, vcc_lo
	v_div_scale_f32 v31, null, v30, v30, v33
	v_div_scale_f32 v39, vcc_lo, v33, v30, v33
	s_delay_alu instid0(VALU_DEP_2) | instskip(SKIP_1) | instid1(TRANS32_DEP_1)
	v_rcp_f32_e32 v34, v31
	v_nop
	v_fma_f32 v35, -v31, v34, 1.0
	s_delay_alu instid0(VALU_DEP_1) | instskip(NEXT) | instid1(VALU_DEP_1)
	v_fmac_f32_e32 v34, v35, v34
	v_mul_f32_e32 v35, v39, v34
	s_delay_alu instid0(VALU_DEP_1) | instskip(NEXT) | instid1(VALU_DEP_1)
	v_fma_f32 v40, -v31, v35, v39
	v_fmac_f32_e32 v35, v40, v34
	s_delay_alu instid0(VALU_DEP_1) | instskip(NEXT) | instid1(VALU_DEP_1)
	v_fma_f32 v31, -v31, v35, v39
	v_div_fmas_f32 v31, v31, v34, v35
	v_mul_f32_e64 v34, 0x57800000, |v32|
	s_delay_alu instid0(VALU_DEP_2)
	v_div_fixup_f32 v35, v31, v30, v33
.LBB43_553:                             ;   in Loop: Header=BB43_401 Depth=1
	s_or_b32 exec_lo, exec_lo, s35
.LBB43_554:                             ;   in Loop: Header=BB43_401 Depth=1
	s_delay_alu instid0(SALU_CYCLE_1)
	s_or_b32 exec_lo, exec_lo, s34
                                        ; implicit-def: $vgpr33
                                        ; implicit-def: $vgpr30
.LBB43_555:                             ;   in Loop: Header=BB43_401 Depth=1
	s_and_not1_saveexec_b32 s34, s8
	s_cbranch_execz .LBB43_557
; %bb.556:                              ;   in Loop: Header=BB43_401 Depth=1
	v_add_f32_e32 v30, 1.0, v30
	v_mul_f32_e64 v31, 0x4f800000, |v33|
	v_cmp_gt_f32_e64 vcc_lo, 0xf800000, |v33|
	s_delay_alu instid0(VALU_DEP_3) | instskip(NEXT) | instid1(VALU_DEP_2)
	v_mul_f32_e32 v30, 0.5, v30
	v_cndmask_b32_e64 v31, |v33|, v31, vcc_lo
	s_delay_alu instid0(VALU_DEP_2) | instskip(SKIP_1) | instid1(VALU_DEP_1)
	v_mul_f32_e32 v32, 0x4f800000, v30
	v_cmp_gt_f32_e64 s7, 0xf800000, v30
	v_cndmask_b32_e64 v30, v30, v32, s7
	s_delay_alu instid0(VALU_DEP_4) | instskip(SKIP_1) | instid1(TRANS32_DEP_1)
	v_sqrt_f32_e32 v32, v31
	v_nop
	v_add_nc_u32_e32 v39, 1, v32
	s_delay_alu instid0(VALU_DEP_3) | instskip(SKIP_1) | instid1(TRANS32_DEP_1)
	v_sqrt_f32_e32 v33, v30
	v_nop
	v_dual_add_nc_u32 v34, -1, v32 :: v_dual_add_nc_u32 v35, -1, v33
	s_delay_alu instid0(VALU_DEP_1) | instskip(NEXT) | instid1(VALU_DEP_2)
	v_dual_fma_f32 v40, -v34, v32, v31 :: v_dual_add_nc_u32 v41, 1, v33
	v_fma_f32 v42, -v35, v33, v30
	s_delay_alu instid0(VALU_DEP_2) | instskip(NEXT) | instid1(VALU_DEP_1)
	v_cmp_ge_f32_e64 s8, 0, v40
	v_dual_fma_f32 v43, -v39, v32, v31 :: v_dual_cndmask_b32 v32, v32, v34, s8
	s_delay_alu instid0(VALU_DEP_3) | instskip(SKIP_1) | instid1(VALU_DEP_2)
	v_cmp_ge_f32_e64 s8, 0, v42
	v_fma_f32 v34, -v41, v33, v30
	v_cndmask_b32_e64 v33, v33, v35, s8
	s_delay_alu instid0(VALU_DEP_4) | instskip(NEXT) | instid1(VALU_DEP_1)
	v_cmp_lt_f32_e64 s8, 0, v43
	v_cndmask_b32_e64 v32, v32, v39, s8
	s_delay_alu instid0(VALU_DEP_4) | instskip(NEXT) | instid1(VALU_DEP_2)
	v_cmp_lt_f32_e64 s8, 0, v34
	v_mul_f32_e32 v34, 0x37800000, v32
	s_delay_alu instid0(VALU_DEP_1) | instskip(SKIP_1) | instid1(VALU_DEP_4)
	v_cndmask_b32_e32 v32, v32, v34, vcc_lo
	v_cmp_class_f32_e64 vcc_lo, v31, 0x260
	v_dual_cndmask_b32 v33, v33, v41, s8 :: v_dual_mov_b32 v34, 1.0
	s_delay_alu instid0(VALU_DEP_3) | instskip(NEXT) | instid1(VALU_DEP_2)
	v_cndmask_b32_e32 v31, v32, v31, vcc_lo
	v_mul_f32_e32 v35, 0x37800000, v33
	v_cmp_class_f32_e64 vcc_lo, v30, 0x260
	s_delay_alu instid0(VALU_DEP_2) | instskip(NEXT) | instid1(VALU_DEP_1)
	v_cndmask_b32_e64 v33, v33, v35, s7
	v_cndmask_b32_e32 v30, v33, v30, vcc_lo
	s_delay_alu instid0(VALU_DEP_1)
	v_mul_f32_e32 v35, v31, v30
.LBB43_557:                             ;   in Loop: Header=BB43_401 Depth=1
	s_or_b32 exec_lo, exec_lo, s34
	s_delay_alu instid0(SALU_CYCLE_1)
	s_mov_b32 s7, exec_lo
.LBB43_558:                             ;   in Loop: Header=BB43_401 Depth=1
	s_or_b32 exec_lo, exec_lo, s33
                                        ; implicit-def: $vgpr32
                                        ; implicit-def: $vgpr30
.LBB43_559:                             ;   in Loop: Header=BB43_401 Depth=1
	s_and_not1_saveexec_b32 s8, s31
; %bb.560:                              ;   in Loop: Header=BB43_401 Depth=1
	v_and_b32_e32 v32, 0x7fffffff, v32
	v_mov_b32_e32 v33, v30
	s_or_b32 s7, s7, exec_lo
                                        ; implicit-def: $vgpr15
	s_delay_alu instid0(VALU_DEP_1)
	v_pk_mul_f32 v[34:35], v[32:33], s[24:25] op_sel_hi:[1,0]
; %bb.561:                              ;   in Loop: Header=BB43_401 Depth=1
	s_or_b32 exec_lo, exec_lo, s8
	s_xor_b32 s7, s7, -1
                                        ; implicit-def: $vgpr30
	s_delay_alu instid0(SALU_CYCLE_1) | instskip(NEXT) | instid1(SALU_CYCLE_1)
	s_and_saveexec_b32 s8, s7
	s_xor_b32 s8, exec_lo, s8
	s_cbranch_execz .LBB43_567
; %bb.562:                              ;   in Loop: Header=BB43_401 Depth=1
                                        ; implicit-def: $vgpr30
	s_and_saveexec_b32 s7, s6
	s_delay_alu instid0(SALU_CYCLE_1)
	s_xor_b32 s7, exec_lo, s7
	s_cbranch_execz .LBB43_564
; %bb.563:                              ;   in Loop: Header=BB43_401 Depth=1
	v_fma_f32 v30, |v15|, -0.5, 0.5
	v_mul_f32_e32 v31, v15, v15
	v_cmp_gt_f32_e64 vcc_lo, |v15|, 0.5
	s_delay_alu instid0(VALU_DEP_2) | instskip(NEXT) | instid1(VALU_DEP_1)
	v_cndmask_b32_e32 v30, v31, v30, vcc_lo
	v_fmaak_f32 v31, s25, v30, 0x3c5fc5da
	v_sqrt_f32_e32 v32, v30
	s_delay_alu instid0(VALU_DEP_1) | instskip(NEXT) | instid1(VALU_DEP_1)
	v_fmaak_f32 v31, v30, v31, 0x3d034c3c
	v_fmaak_f32 v31, v30, v31, 0x3d3641b1
	s_delay_alu instid0(VALU_DEP_1) | instskip(NEXT) | instid1(VALU_DEP_1)
	v_fmaak_f32 v31, v30, v31, 0x3d999bc8
	v_fmaak_f32 v31, v30, v31, 0x3e2aaaac
	s_delay_alu instid0(VALU_DEP_1)
	v_mul_f32_e32 v30, v30, v31
	s_delay_alu instid0(TRANS32_DEP_1) | instid1(VALU_DEP_1)
	v_dual_fmac_f32 v32, v32, v30 :: v_dual_fmac_f32 v15, v15, v30
	s_delay_alu instid0(VALU_DEP_1) | instskip(NEXT) | instid1(VALU_DEP_1)
	v_dual_add_f32 v30, v32, v32 :: v_dual_sub_f32 v15, 0x3fc90fdb, v15
	v_cndmask_b32_e32 v30, v15, v30, vcc_lo
                                        ; implicit-def: $vgpr15
.LBB43_564:                             ;   in Loop: Header=BB43_401 Depth=1
	s_and_not1_saveexec_b32 s31, s7
	s_cbranch_execz .LBB43_566
; %bb.565:                              ;   in Loop: Header=BB43_401 Depth=1
	v_fma_f32 v30, |v15|, -0.5, 0.5
	v_mul_f32_e32 v31, v15, v15
	v_cmp_gt_f32_e64 vcc_lo, |v15|, 0.5
	v_cmp_lt_f32_e64 s7, 0, v15
	s_delay_alu instid0(VALU_DEP_3) | instskip(NEXT) | instid1(VALU_DEP_1)
	v_cndmask_b32_e32 v30, v31, v30, vcc_lo
	v_fmaak_f32 v31, s25, v30, 0x3c5fc5da
	v_sqrt_f32_e32 v32, v30
	s_delay_alu instid0(VALU_DEP_1) | instskip(NEXT) | instid1(VALU_DEP_1)
	v_fmaak_f32 v31, v30, v31, 0x3d034c3c
	v_fmaak_f32 v31, v30, v31, 0x3d3641b1
	s_delay_alu instid0(VALU_DEP_1) | instskip(NEXT) | instid1(VALU_DEP_1)
	v_fmaak_f32 v31, v30, v31, 0x3d999bc8
	v_fmaak_f32 v31, v30, v31, 0x3e2aaaac
	s_delay_alu instid0(VALU_DEP_1)
	v_mul_f32_e32 v30, v30, v31
	s_delay_alu instid0(TRANS32_DEP_1) | instid1(VALU_DEP_1)
	v_dual_fmac_f32 v32, v32, v30 :: v_dual_fma_f32 v30, -v15, v30, -v15
	s_delay_alu instid0(VALU_DEP_1) | instskip(NEXT) | instid1(VALU_DEP_1)
	v_dual_add_f32 v31, v32, v32 :: v_dual_sub_f32 v30, 0x3fc90fdb, v30
	v_sub_f32_e32 v32, 0x40490fdb, v31
	s_delay_alu instid0(VALU_DEP_1) | instskip(NEXT) | instid1(VALU_DEP_1)
	v_cndmask_b32_e64 v15, v31, v32, s7
	v_cndmask_b32_e32 v30, v30, v15, vcc_lo
.LBB43_566:                             ;   in Loop: Header=BB43_401 Depth=1
	s_or_b32 exec_lo, exec_lo, s31
                                        ; implicit-def: $vgpr34
.LBB43_567:                             ;   in Loop: Header=BB43_401 Depth=1
	s_and_not1_saveexec_b32 s7, s8
	s_cbranch_execz .LBB43_573
; %bb.568:                              ;   in Loop: Header=BB43_401 Depth=1
	v_max_num_f32_e64 v15, |v35|, |v35|
	v_max_num_f32_e32 v30, v34, v34
	v_cmp_gt_f32_e64 vcc_lo, |v35|, v34
	s_delay_alu instid0(VALU_DEP_2) | instskip(NEXT) | instid1(VALU_DEP_1)
	v_dual_max_num_f32 v31, v30, v15 :: v_dual_min_num_f32 v15, v30, v15
	v_frexp_mant_f32_e32 v32, v31
	v_frexp_exp_i32_f32_e32 v31, v31
	s_delay_alu instid0(VALU_DEP_2)
	v_rcp_f32_e32 v30, v32
	v_nop
	v_frexp_mant_f32_e32 v32, v15
	v_frexp_exp_i32_f32_e32 v15, v15
	s_delay_alu instid0(TRANS32_DEP_1) | instid1(VALU_DEP_1)
	v_dual_mul_f32 v30, v32, v30 :: v_dual_sub_nc_u32 v15, v15, v31
	s_delay_alu instid0(VALU_DEP_1) | instskip(NEXT) | instid1(VALU_DEP_1)
	v_ldexp_f32 v15, v30, v15
	v_mul_f32_e32 v30, v15, v15
	s_delay_alu instid0(VALU_DEP_1) | instskip(NEXT) | instid1(VALU_DEP_1)
	v_fmaak_f32 v31, s26, v30, 0xbc7a590c
	v_fmaak_f32 v31, v30, v31, 0x3d29fb3f
	s_delay_alu instid0(VALU_DEP_1) | instskip(NEXT) | instid1(VALU_DEP_1)
	v_fmaak_f32 v31, v30, v31, 0xbd97d4d7
	v_fmaak_f32 v31, v30, v31, 0x3dd931b2
	;; [unrolled: 3-line block ×3, first 2 shown]
	s_delay_alu instid0(VALU_DEP_1) | instskip(NEXT) | instid1(VALU_DEP_1)
	v_fmaak_f32 v31, v30, v31, 0xbeaaaa62
	v_mul_f32_e32 v30, v30, v31
	s_delay_alu instid0(VALU_DEP_1) | instskip(NEXT) | instid1(VALU_DEP_1)
	v_fmac_f32_e32 v15, v15, v30
	v_sub_f32_e32 v30, 0x3fc90fdb, v15
	s_delay_alu instid0(VALU_DEP_1) | instskip(SKIP_1) | instid1(SALU_CYCLE_1)
	v_cndmask_b32_e32 v15, v15, v30, vcc_lo
                                        ; implicit-def: $vgpr30
	s_and_saveexec_b32 s8, s6
	s_xor_b32 s8, exec_lo, s8
	s_cbranch_execz .LBB43_570
; %bb.569:                              ;   in Loop: Header=BB43_401 Depth=1
	v_cmp_neq_f32_e64 s6, 0, v35
	v_cmp_eq_f32_e32 vcc_lo, 0x7f800000, v34
	v_cmp_class_f32_e64 s31, v35, 0x204
	s_delay_alu instid0(VALU_DEP_3) | instskip(SKIP_2) | instid1(VALU_DEP_2)
	v_cndmask_b32_e64 v15, 0, v15, s6
	s_and_b32 s6, vcc_lo, s31
	v_cmp_o_f32_e32 vcc_lo, v35, v35
	v_cndmask_b32_e64 v15, v15, 0x3f490fdb, s6
	s_delay_alu instid0(VALU_DEP_1) | instskip(NEXT) | instid1(VALU_DEP_1)
	v_cndmask_b32_e32 v15, 0x7fc00000, v15, vcc_lo
	v_bfi_b32 v30, 0x7fffffff, v15, v35
                                        ; implicit-def: $vgpr15
                                        ; implicit-def: $vgpr34
.LBB43_570:                             ;   in Loop: Header=BB43_401 Depth=1
	s_and_not1_saveexec_b32 s8, s8
	s_cbranch_execz .LBB43_572
; %bb.571:                              ;   in Loop: Header=BB43_401 Depth=1
	v_sub_f32_e32 v30, 0x40490fdb, v15
	v_cmp_lt_f32_e32 vcc_lo, 0, v34
	v_cmp_neq_f32_e64 s6, 0, v35
	v_cmp_class_f32_e64 s31, v35, 0x204
	s_delay_alu instid0(VALU_DEP_4) | instskip(SKIP_1) | instid1(VALU_DEP_2)
	v_cndmask_b32_e32 v15, v15, v30, vcc_lo
	v_cmp_eq_f32_e32 vcc_lo, 0x7f800000, v34
	v_cndmask_b32_e64 v15, 0x40490fdb, v15, s6
	s_and_b32 s6, vcc_lo, s31
	v_cmp_o_f32_e32 vcc_lo, v35, v35
	s_delay_alu instid0(VALU_DEP_2) | instskip(NEXT) | instid1(VALU_DEP_1)
	v_cndmask_b32_e64 v15, v15, 0x4016cbe4, s6
	v_cndmask_b32_e32 v15, 0x7fc00000, v15, vcc_lo
	s_delay_alu instid0(VALU_DEP_1)
	v_bfi_b32 v30, 0x7fffffff, v15, v35
.LBB43_572:                             ;   in Loop: Header=BB43_401 Depth=1
	s_or_b32 exec_lo, exec_lo, s8
.LBB43_573:                             ;   in Loop: Header=BB43_401 Depth=1
	s_delay_alu instid0(SALU_CYCLE_1)
	s_or_b32 exec_lo, exec_lo, s7
	v_cndmask_b32_e64 v31, -v13, v13, s4
                                        ; implicit-def: $vgpr32
.LBB43_574:                             ;   in Loop: Header=BB43_401 Depth=1
	s_and_not1_saveexec_b32 s6, s30
	s_cbranch_execz .LBB43_576
; %bb.575:                              ;   in Loop: Header=BB43_401 Depth=1
	flat_load_b32 v13, v[6:7] scope:SCOPE_SYS
	s_wait_loadcnt_dscnt 0x0
	v_sub_f32_e32 v13, v13, v32
	s_delay_alu instid0(VALU_DEP_1)
	v_add_f32_e32 v30, 0x3fc90fdb, v13
.LBB43_576:                             ;   in Loop: Header=BB43_401 Depth=1
	s_or_b32 exec_lo, exec_lo, s6
.LBB43_577:                             ;   in Loop: Header=BB43_401 Depth=1
	s_and_not1_saveexec_b32 s6, s29
; %bb.578:                              ;   in Loop: Header=BB43_401 Depth=1
	v_mov_b32_e32 v30, 0
; %bb.579:                              ;   in Loop: Header=BB43_401 Depth=1
	s_or_b32 exec_lo, exec_lo, s6
                                        ; implicit-def: $vgpr32
                                        ; implicit-def: $vgpr34
                                        ; implicit-def: $vgpr13
                                        ; implicit-def: $vgpr15
.LBB43_580:                             ;   in Loop: Header=BB43_401 Depth=1
	s_and_not1_saveexec_b32 s8, s28
	s_cbranch_execz .LBB43_590
; %bb.581:                              ;   in Loop: Header=BB43_401 Depth=1
	v_cmp_lt_f32_e64 s6, |v32|, |v33|
                                        ; implicit-def: $vgpr31
                                        ; implicit-def: $vgpr30
	s_mov_b32 s7, exec_lo
	v_cndmask_b32_e64 v35, |v32|, |v33|, s6
	s_delay_alu instid0(VALU_DEP_1)
	v_cmpx_nlt_f32_e32 0x7effffff, v35
	s_xor_b32 s28, exec_lo, s7
	s_cbranch_execz .LBB43_587
; %bb.582:                              ;   in Loop: Header=BB43_401 Depth=1
	v_cndmask_b32_e64 v39, |v33|, |v32|, s6
	v_cmp_nlt_f32_e32 vcc_lo, 0x5e000000, v35
                                        ; implicit-def: $vgpr31
                                        ; implicit-def: $vgpr30
	s_delay_alu instid0(VALU_DEP_2) | instskip(SKIP_1) | instid1(SALU_CYCLE_1)
	v_cmp_ngt_f32_e64 s7, 0x20000000, v39
	s_and_b32 s7, vcc_lo, s7
	s_and_saveexec_b32 s29, s7
	s_delay_alu instid0(SALU_CYCLE_1)
	s_xor_b32 s29, exec_lo, s29
	s_cbranch_execz .LBB43_584
; %bb.583:                              ;   in Loop: Header=BB43_401 Depth=1
	s_wait_dscnt 0x0
	v_frexp_mant_f32_e32 v30, v15
	v_dual_min_num_f32 v13, v34, v13 :: v_dual_mul_f32 v34, v39, v39
	v_frexp_exp_i32_f32_e32 v15, v15
	s_delay_alu instid0(VALU_DEP_3) | instskip(NEXT) | instid1(VALU_DEP_2)
	v_rcp_f32_e32 v30, v30
	v_frexp_exp_i32_f32_e32 v31, v13
	v_frexp_mant_f32_e32 v13, v13
	s_delay_alu instid0(TRANS32_DEP_1) | instid1(VALU_DEP_1)
	v_dual_sub_nc_u32 v15, v31, v15 :: v_dual_mul_f32 v13, v13, v30
	s_delay_alu instid0(VALU_DEP_1) | instskip(NEXT) | instid1(VALU_DEP_1)
	v_ldexp_f32 v30, v13, v15
	v_dual_fmac_f32 v34, v35, v35 :: v_dual_mul_f32 v15, v30, v30
	s_delay_alu instid0(VALU_DEP_1) | instskip(NEXT) | instid1(VALU_DEP_2)
	v_cmp_gt_f32_e32 vcc_lo, 0x800000, v34
	v_fmaak_f32 v31, s26, v15, 0xbc7a590c
	v_cndmask_b32_e64 v13, 0, 32, vcc_lo
	s_delay_alu instid0(VALU_DEP_2) | instskip(NEXT) | instid1(VALU_DEP_2)
	v_fmaak_f32 v31, v15, v31, 0x3d29fb3f
	v_ldexp_f32 v13, v34, v13
	s_delay_alu instid0(VALU_DEP_2) | instskip(NEXT) | instid1(VALU_DEP_2)
	v_fmaak_f32 v31, v15, v31, 0xbd97d4d7
	v_log_f32_e32 v13, v13
	s_delay_alu instid0(VALU_DEP_1) | instskip(NEXT) | instid1(TRANS32_DEP_1)
	v_fmaak_f32 v31, v15, v31, 0x3dd931b2
	v_cmp_gt_f32_e64 s7, 0x7f800000, |v13|
	s_delay_alu instid0(VALU_DEP_2) | instskip(NEXT) | instid1(VALU_DEP_1)
	v_fmaak_f32 v31, v15, v31, 0xbe1160e6
	v_fmaak_f32 v31, v15, v31, 0x3e4cb8bf
	s_delay_alu instid0(VALU_DEP_1) | instskip(NEXT) | instid1(VALU_DEP_1)
	v_fmaak_f32 v31, v15, v31, 0xbeaaaa62
	v_dual_mul_f32 v34, 0x3f317217, v13 :: v_dual_mul_f32 v15, v15, v31
	s_delay_alu instid0(VALU_DEP_1) | instskip(NEXT) | instid1(VALU_DEP_2)
	v_fma_f32 v34, 0x3f317217, v13, -v34
	v_fmac_f32_e32 v30, v30, v15
	s_delay_alu instid0(VALU_DEP_2) | instskip(NEXT) | instid1(VALU_DEP_1)
	v_fmac_f32_e32 v34, 0x3377d1cf, v13
                                        ; implicit-def: $vgpr15
	v_fmac_f32_e32 v34, 0x3f317217, v13
	s_delay_alu instid0(VALU_DEP_1) | instskip(SKIP_1) | instid1(VALU_DEP_1)
	v_cndmask_b32_e64 v13, v13, v34, s7
	v_cndmask_b32_e64 v34, 0, 0x41b17218, vcc_lo
	v_sub_f32_e32 v13, v13, v34
                                        ; implicit-def: $vgpr34
	s_delay_alu instid0(VALU_DEP_1)
	v_mul_f32_e32 v31, 0.5, v13
                                        ; implicit-def: $vgpr13
.LBB43_584:                             ;   in Loop: Header=BB43_401 Depth=1
	s_and_not1_saveexec_b32 s7, s29
	s_cbranch_execz .LBB43_586
; %bb.585:                              ;   in Loop: Header=BB43_401 Depth=1
	s_wait_dscnt 0x0
	v_cvt_f64_f32_e32 v[30:31], v15
	v_frexp_mant_f32_e32 v39, v15
	v_cmp_neq_f32_e32 vcc_lo, 0x7f800000, v15
	s_delay_alu instid0(VALU_DEP_3) | instskip(NEXT) | instid1(VALU_DEP_1)
	v_frexp_exp_i32_f64_e32 v30, v[30:31]
	v_sub_nc_u32_e32 v31, 0, v30
	s_delay_alu instid0(VALU_DEP_1) | instskip(NEXT) | instid1(VALU_DEP_1)
	v_ldexp_f32 v35, |v33|, v31
	v_mul_f32_e32 v35, v35, v35
	v_ldexp_f32 v31, |v32|, v31
	v_min_num_f32_e32 v13, v34, v13
	v_rcp_f32_e32 v34, v39
	s_delay_alu instid0(VALU_DEP_2) | instskip(SKIP_1) | instid1(VALU_DEP_3)
	v_fmac_f32_e32 v35, v31, v31
	v_frexp_exp_i32_f32_e32 v31, v15
	v_frexp_exp_i32_f32_e32 v39, v13
	v_frexp_mant_f32_e32 v13, v13
	s_delay_alu instid0(VALU_DEP_4)
	v_sqrt_f32_e32 v35, v35
	s_delay_alu instid0(TRANS32_DEP_2) | instid1(VALU_DEP_1)
	v_dual_sub_nc_u32 v31, v39, v31 :: v_dual_mul_f32 v13, v13, v34
	s_delay_alu instid0(TRANS32_DEP_1) | instskip(NEXT) | instid1(VALU_DEP_2)
	v_ldexp_f32 v34, v35, v30
	v_ldexp_f32 v30, v13, v31
	s_delay_alu instid0(VALU_DEP_2) | instskip(NEXT) | instid1(VALU_DEP_1)
	v_cndmask_b32_e32 v13, 0x7f800000, v34, vcc_lo
	v_cmp_gt_f32_e32 vcc_lo, 0x800000, v13
	v_cndmask_b32_e64 v31, 0, 32, vcc_lo
	v_cndmask_b32_e64 v35, 0, 0x41b17218, vcc_lo
	s_delay_alu instid0(VALU_DEP_2) | instskip(NEXT) | instid1(VALU_DEP_1)
	v_ldexp_f32 v13, v13, v31
	v_log_f32_e32 v13, v13
	v_mul_f32_e32 v15, v30, v30
	s_delay_alu instid0(VALU_DEP_1) | instskip(NEXT) | instid1(TRANS32_DEP_1)
	v_fmaak_f32 v34, s26, v15, 0xbc7a590c
	v_cmp_gt_f32_e64 vcc_lo, 0x7f800000, |v13|
	s_delay_alu instid0(VALU_DEP_2) | instskip(SKIP_1) | instid1(VALU_DEP_2)
	v_fmaak_f32 v31, v15, v34, 0x3d29fb3f
	v_mul_f32_e32 v34, 0x3f317217, v13
	v_fmaak_f32 v31, v15, v31, 0xbd97d4d7
	s_delay_alu instid0(VALU_DEP_2) | instskip(NEXT) | instid1(VALU_DEP_2)
	v_fma_f32 v34, 0x3f317217, v13, -v34
	v_fmaak_f32 v31, v15, v31, 0x3dd931b2
	s_delay_alu instid0(VALU_DEP_1) | instskip(NEXT) | instid1(VALU_DEP_1)
	v_fmaak_f32 v31, v15, v31, 0xbe1160e6
	v_fmaak_f32 v31, v15, v31, 0x3e4cb8bf
	s_delay_alu instid0(VALU_DEP_1) | instskip(NEXT) | instid1(VALU_DEP_1)
	v_fmaak_f32 v31, v15, v31, 0xbeaaaa62
	v_dual_fmac_f32 v34, 0x3377d1cf, v13 :: v_dual_mul_f32 v15, v15, v31
	s_delay_alu instid0(VALU_DEP_1) | instskip(NEXT) | instid1(VALU_DEP_1)
	v_fmac_f32_e32 v34, 0x3f317217, v13
	v_dual_fmac_f32 v30, v30, v15 :: v_dual_cndmask_b32 v13, v13, v34
	s_delay_alu instid0(VALU_DEP_1)
	v_sub_f32_e32 v31, v13, v35
.LBB43_586:                             ;   in Loop: Header=BB43_401 Depth=1
	s_or_b32 exec_lo, exec_lo, s7
                                        ; implicit-def: $vgpr34
                                        ; implicit-def: $vgpr13
                                        ; implicit-def: $vgpr15
.LBB43_587:                             ;   in Loop: Header=BB43_401 Depth=1
	s_and_not1_saveexec_b32 s28, s28
	s_cbranch_execz .LBB43_589
; %bb.588:                              ;   in Loop: Header=BB43_401 Depth=1
	v_div_scale_f32 v30, null, 0x402df854, 0x402df854, v32
	v_div_scale_f32 v31, null, 0x402df854, 0x402df854, v33
	v_div_scale_f32 v42, vcc_lo, v32, 0x402df854, v32
	s_delay_alu instid0(VALU_DEP_3) | instskip(NEXT) | instid1(VALU_DEP_2)
	v_rcp_f32_e32 v35, v30
	v_rcp_f32_e32 v39, v31
	v_min_num_f32_e32 v13, v34, v13
	s_delay_alu instid0(TRANS32_DEP_2) | instskip(NEXT) | instid1(TRANS32_DEP_1)
	v_fma_f32 v40, -v30, v35, 1.0
	v_fma_f32 v41, -v31, v39, 1.0
	s_delay_alu instid0(VALU_DEP_2) | instskip(NEXT) | instid1(VALU_DEP_2)
	v_fmac_f32_e32 v35, v40, v35
	v_fmac_f32_e32 v39, v41, v39
	v_div_scale_f32 v40, s7, v33, 0x402df854, v33
	s_delay_alu instid0(VALU_DEP_3) | instskip(NEXT) | instid1(VALU_DEP_1)
	v_mul_f32_e32 v41, v42, v35
	v_fma_f32 v44, -v30, v41, v42
	s_delay_alu instid0(VALU_DEP_1) | instskip(NEXT) | instid1(VALU_DEP_1)
	v_fmac_f32_e32 v41, v44, v35
	v_dual_fma_f32 v30, -v30, v41, v42 :: v_dual_mul_f32 v43, v40, v39
	s_delay_alu instid0(VALU_DEP_1) | instskip(NEXT) | instid1(VALU_DEP_2)
	v_div_fmas_f32 v30, v30, v35, v41
	v_fma_f32 v45, -v31, v43, v40
	s_mov_b32 vcc_lo, s7
	s_delay_alu instid0(VALU_DEP_2) | instskip(NEXT) | instid1(VALU_DEP_2)
	v_div_fixup_f32 v35, v30, 0x402df854, v32
	v_fmac_f32_e32 v43, v45, v39
	s_delay_alu instid0(VALU_DEP_1) | instskip(NEXT) | instid1(VALU_DEP_1)
	v_fma_f32 v31, -v31, v43, v40
	v_div_fmas_f32 v31, v31, v39, v43
	s_delay_alu instid0(VALU_DEP_1) | instskip(NEXT) | instid1(VALU_DEP_1)
	v_div_fixup_f32 v39, v31, 0x402df854, v33
	v_max_num_f32_e64 v40, |v35|, |v39|
	s_delay_alu instid0(VALU_DEP_1) | instskip(SKIP_1) | instid1(VALU_DEP_2)
	v_cvt_f64_f32_e32 v[30:31], v40
	v_cmp_neq_f32_e32 vcc_lo, 0x7f800000, v40
	v_frexp_exp_i32_f64_e32 v30, v[30:31]
	s_delay_alu instid0(VALU_DEP_1) | instskip(NEXT) | instid1(VALU_DEP_1)
	v_sub_nc_u32_e32 v31, 0, v30
	v_ldexp_f32 v39, |v39|, v31
	v_ldexp_f32 v31, |v35|, v31
	s_delay_alu instid0(VALU_DEP_2) | instskip(NEXT) | instid1(VALU_DEP_1)
	v_mul_f32_e32 v35, v39, v39
	v_fmac_f32_e32 v35, v31, v31
	s_wait_dscnt 0x0
	v_frexp_mant_f32_e32 v31, v15
	v_frexp_exp_i32_f32_e32 v15, v15
	s_delay_alu instid0(VALU_DEP_3) | instskip(NEXT) | instid1(VALU_DEP_2)
	v_sqrt_f32_e32 v34, v35
	v_rcp_f32_e32 v31, v31
	v_frexp_exp_i32_f32_e32 v35, v13
	v_frexp_mant_f32_e32 v13, v13
	s_delay_alu instid0(VALU_DEP_2) | instskip(NEXT) | instid1(TRANS32_DEP_2)
	v_sub_nc_u32_e32 v15, v35, v15
	v_ldexp_f32 v30, v34, v30
	s_delay_alu instid0(TRANS32_DEP_1) | instid1(VALU_DEP_3)
	v_mul_f32_e32 v13, v13, v31
	s_delay_alu instid0(VALU_DEP_2) | instskip(NEXT) | instid1(VALU_DEP_2)
	v_cndmask_b32_e32 v31, 0x7f800000, v30, vcc_lo
	v_ldexp_f32 v30, v13, v15
	s_delay_alu instid0(VALU_DEP_2) | instskip(NEXT) | instid1(VALU_DEP_2)
	v_cmp_gt_f32_e32 vcc_lo, 0x800000, v31
	v_mul_f32_e32 v15, v30, v30
	v_cndmask_b32_e64 v13, 0, 32, vcc_lo
	v_cndmask_b32_e64 v35, 0, 0x41b17218, vcc_lo
	s_delay_alu instid0(VALU_DEP_2) | instskip(NEXT) | instid1(VALU_DEP_4)
	v_ldexp_f32 v13, v31, v13
	v_fmaak_f32 v31, s26, v15, 0xbc7a590c
	s_delay_alu instid0(VALU_DEP_2) | instskip(NEXT) | instid1(VALU_DEP_1)
	v_log_f32_e32 v13, v13
	v_fmaak_f32 v31, v15, v31, 0x3d29fb3f
	s_delay_alu instid0(VALU_DEP_1) | instskip(NEXT) | instid1(TRANS32_DEP_1)
	v_fmaak_f32 v31, v15, v31, 0xbd97d4d7
	v_mul_f32_e32 v34, 0x3f317217, v13
	v_cmp_gt_f32_e64 vcc_lo, 0x7f800000, |v13|
	s_delay_alu instid0(VALU_DEP_3) | instskip(NEXT) | instid1(VALU_DEP_3)
	v_fmaak_f32 v31, v15, v31, 0x3dd931b2
	v_fma_f32 v34, 0x3f317217, v13, -v34
	s_delay_alu instid0(VALU_DEP_2) | instskip(NEXT) | instid1(VALU_DEP_2)
	v_fmaak_f32 v31, v15, v31, 0xbe1160e6
	v_fmac_f32_e32 v34, 0x3377d1cf, v13
	s_delay_alu instid0(VALU_DEP_2) | instskip(NEXT) | instid1(VALU_DEP_1)
	v_fmaak_f32 v31, v15, v31, 0x3e4cb8bf
	v_fmaak_f32 v31, v15, v31, 0xbeaaaa62
	s_delay_alu instid0(VALU_DEP_1) | instskip(NEXT) | instid1(VALU_DEP_1)
	v_dual_fmac_f32 v34, 0x3f317217, v13 :: v_dual_mul_f32 v15, v15, v31
	v_dual_cndmask_b32 v13, v13, v34 :: v_dual_fmac_f32 v30, v30, v15
	s_delay_alu instid0(VALU_DEP_1) | instskip(NEXT) | instid1(VALU_DEP_1)
	v_sub_f32_e32 v13, v13, v35
	v_add_f32_e32 v31, 1.0, v13
.LBB43_589:                             ;   in Loop: Header=BB43_401 Depth=1
	s_or_b32 exec_lo, exec_lo, s28
	s_delay_alu instid0(VALU_DEP_3) | instskip(NEXT) | instid1(VALU_DEP_2)
	v_sub_f32_e32 v13, 0x3fc90fdb, v30
	v_add_f32_e32 v31, 0x3f317218, v31
	v_cmp_gt_f32_e32 vcc_lo, 0, v32
	s_delay_alu instid0(VALU_DEP_2)
	v_dual_cndmask_b32 v13, v30, v13, s6 :: v_dual_cndmask_b32 v31, -v31, v31, s4
	v_cndmask_b32_e64 v30, 0, 0x40490fdb, s5
	v_cmp_class_f32_e64 s5, v32, 0x204
	v_cmp_class_f32_e64 s6, v33, 0x204
	s_wait_dscnt 0x0
	v_sub_f32_e32 v15, 0x40490fdb, v13
	s_delay_alu instid0(VALU_DEP_1) | instskip(SKIP_2) | instid1(VALU_DEP_3)
	v_cndmask_b32_e32 v13, v13, v15, vcc_lo
	v_cndmask_b32_e32 v15, 0x3f490fdb, v38, vcc_lo
	v_cmp_eq_f32_e32 vcc_lo, 0, v33
	v_cndmask_b32_e64 v13, |v13|, v30, vcc_lo
	s_and_b32 vcc_lo, s6, s5
	s_delay_alu instid0(VALU_DEP_1)
	v_cndmask_b32_e32 v30, v13, v15, vcc_lo
.LBB43_590:                             ;   in Loop: Header=BB43_401 Depth=1
	s_or_b32 exec_lo, exec_lo, s8
                                        ; implicit-def: $vgpr33
.LBB43_591:                             ;   in Loop: Header=BB43_401 Depth=1
	s_and_not1_saveexec_b32 s4, s27
	s_cbranch_execz .LBB43_605
; %bb.592:                              ;   in Loop: Header=BB43_401 Depth=1
	v_cmp_neq_f32_e64 s5, 0x7f800000, |v32|
                                        ; implicit-def: $vgpr31
	s_and_saveexec_b32 s6, s5
	s_delay_alu instid0(SALU_CYCLE_1)
	s_xor_b32 s5, exec_lo, s6
	s_cbranch_execz .LBB43_602
; %bb.593:                              ;   in Loop: Header=BB43_401 Depth=1
	v_cmp_neq_f32_e64 s6, 0x7f800000, |v33|
	v_xor_b32_e32 v31, 0x80000000, v33
	s_and_saveexec_b32 s7, s6
	s_delay_alu instid0(SALU_CYCLE_1)
	s_xor_b32 s6, exec_lo, s7
	s_cbranch_execz .LBB43_599
; %bb.594:                              ;   in Loop: Header=BB43_401 Depth=1
	s_mov_b32 s7, exec_lo
                                        ; implicit-def: $vgpr31
	v_cmpx_neq_f32_e32 0, v32
	s_xor_b32 s7, exec_lo, s7
; %bb.595:                              ;   in Loop: Header=BB43_401 Depth=1
	v_add_f32_e32 v13, 0, v33
                                        ; implicit-def: $vgpr33
	s_delay_alu instid0(VALU_DEP_1)
	v_add_f32_e32 v31, v13, v32
; %bb.596:                              ;   in Loop: Header=BB43_401 Depth=1
	s_or_saveexec_b32 s7, s7
	s_delay_alu instid0(VALU_DEP_1)
	v_mov_b32_e32 v30, v31
	s_xor_b32 exec_lo, exec_lo, s7
	s_cbranch_execz .LBB43_598
; %bb.597:                              ;   in Loop: Header=BB43_401 Depth=1
	flat_load_b32 v13, v[6:7] scope:SCOPE_SYS
	s_wait_loadcnt 0x0
	v_add_f32_e32 v31, v33, v33
	s_wait_dscnt 0x0
	v_add_f32_e32 v30, 0x3fc90fdb, v13
.LBB43_598:                             ;   in Loop: Header=BB43_401 Depth=1
	s_wait_xcnt 0x0
	s_or_b32 exec_lo, exec_lo, s7
                                        ; implicit-def: $vgpr32
.LBB43_599:                             ;   in Loop: Header=BB43_401 Depth=1
	s_and_not1_saveexec_b32 s6, s6
; %bb.600:                              ;   in Loop: Header=BB43_401 Depth=1
	v_add_f32_e32 v30, v32, v32
; %bb.601:                              ;   in Loop: Header=BB43_401 Depth=1
	s_or_b32 exec_lo, exec_lo, s6
                                        ; implicit-def: $vgpr33
.LBB43_602:                             ;   in Loop: Header=BB43_401 Depth=1
	s_and_not1_saveexec_b32 s5, s5
; %bb.603:                              ;   in Loop: Header=BB43_401 Depth=1
	v_dual_add_f32 v30, v33, v33 :: v_dual_mov_b32 v31, 0xff800000
; %bb.604:                              ;   in Loop: Header=BB43_401 Depth=1
	s_or_b32 exec_lo, exec_lo, s5
.LBB43_605:                             ;   in Loop: Header=BB43_401 Depth=1
	s_delay_alu instid0(SALU_CYCLE_1)
	s_or_b32 exec_lo, exec_lo, s4
	flat_store_b32 v[6:7], v36 scope:SCOPE_SYS
	s_wait_storecnt 0x0
                                        ; implicit-def: $vgpr33
	s_mov_b32 s4, exec_lo
	s_wait_xcnt 0x0
	v_cmpx_o_f32_e32 v28, v29
	s_xor_b32 s27, exec_lo, s4
	s_cbranch_execz .LBB43_689
; %bb.606:                              ;   in Loop: Header=BB43_401 Depth=1
	v_max_num_f32_e64 v34, |v28|, |v28|
	v_max_num_f32_e64 v13, |v29|, |v29|
	v_cmp_gt_i32_e64 s5, 0, v28
	v_cmp_lt_i32_e64 s6, -1, v28
	v_cmp_gt_i32_e64 s4, 0, v29
                                        ; implicit-def: $vgpr33
	s_mov_b32 s7, exec_lo
	s_wait_dscnt 0x1
	v_max_num_f32_e32 v15, v13, v34
	s_delay_alu instid0(VALU_DEP_1)
	v_cmpx_nlt_f32_e32 0x4b000000, v15
	s_xor_b32 s28, exec_lo, s7
	s_cbranch_execz .LBB43_678
; %bb.607:                              ;   in Loop: Header=BB43_401 Depth=1
	v_cmp_neq_f32_e32 vcc_lo, 1.0, v28
	v_cmp_neq_f32_e64 s7, 0, v29
	v_xor_b32_e32 v33, 0x80000000, v29
	s_or_b32 s7, s7, vcc_lo
	s_delay_alu instid0(SALU_CYCLE_1) | instskip(NEXT) | instid1(SALU_CYCLE_1)
	s_and_saveexec_b32 s8, s7
	s_xor_b32 s29, exec_lo, s8
	s_cbranch_execz .LBB43_675
; %bb.608:                              ;   in Loop: Header=BB43_401 Depth=1
	flat_store_b32 v[8:9], v37 scope:SCOPE_SYS
	s_wait_storecnt 0x0
	flat_load_b32 v15, v[8:9] scope:SCOPE_SYS
	s_wait_loadcnt 0x0
	v_cmp_ngt_f32_e64 s7, 0x395db3d7, |v28|
	v_cmp_ngt_f32_e64 s8, 0x395db3d7, |v29|
	v_xor_b32_e32 v33, 0x80000000, v29
	s_or_b32 s7, s8, s7
	s_wait_dscnt 0x0
	v_add_f32_e32 v15, 1.0, v15
	flat_store_b32 v[10:11], v15 scope:SCOPE_SYS
	s_wait_storecnt 0x0
	flat_load_b32 v15, v[10:11] scope:SCOPE_SYS
	s_wait_loadcnt 0x0
	s_wait_xcnt 0x0
	s_and_saveexec_b32 s8, s7
	s_delay_alu instid0(SALU_CYCLE_1)
	s_xor_b32 s30, exec_lo, s8
	s_cbranch_execz .LBB43_672
; %bb.609:                              ;   in Loop: Header=BB43_401 Depth=1
	v_add_f32_e64 v40, |v28|, 1.0
	v_add_f32_e64 v39, |v28|, -1.0
	s_mov_b32 s7, exec_lo
	s_wait_dscnt 0x0
	s_delay_alu instid0(VALU_DEP_2) | instskip(NEXT) | instid1(VALU_DEP_2)
	v_max_num_f32_e32 v15, v13, v40
	v_max_num_f32_e64 v13, v13, |v39|
	s_delay_alu instid0(VALU_DEP_2) | instskip(NEXT) | instid1(VALU_DEP_2)
	v_cvt_f64_f32_e32 v[32:33], v15
	v_cvt_f64_f32_e32 v[34:35], v13
	s_delay_alu instid0(VALU_DEP_2) | instskip(NEXT) | instid1(VALU_DEP_2)
	v_frexp_exp_i32_f64_e32 v32, v[32:33]
	v_frexp_exp_i32_f64_e32 v33, v[34:35]
	s_delay_alu instid0(VALU_DEP_1) | instskip(SKIP_1) | instid1(VALU_DEP_2)
	v_dual_sub_nc_u32 v34, 0, v32 :: v_dual_sub_nc_u32 v35, 0, v33
	v_cmp_neq_f32_e32 vcc_lo, 0x7f800000, v15
	v_ldexp_f32 v41, v40, v34
	s_delay_alu instid0(VALU_DEP_3) | instskip(SKIP_1) | instid1(VALU_DEP_3)
	v_ldexp_f32 v42, |v39|, v35
	v_ldexp_f32 v35, |v29|, v35
	v_mul_f32_e32 v41, v41, v41
	v_ldexp_f32 v34, |v29|, v34
	s_delay_alu instid0(VALU_DEP_1) | instskip(NEXT) | instid1(VALU_DEP_1)
	v_fmac_f32_e32 v41, v34, v34
	v_sqrt_f32_e32 v34, v41
	v_nop
	s_delay_alu instid0(TRANS32_DEP_1) | instskip(NEXT) | instid1(VALU_DEP_1)
	v_ldexp_f32 v32, v34, v32
	v_dual_mul_f32 v42, v42, v42 :: v_dual_cndmask_b32 v43, 0x7f800000, v32
	s_delay_alu instid0(VALU_DEP_1) | instskip(SKIP_1) | instid1(VALU_DEP_2)
	v_fmac_f32_e32 v42, v35, v35
	v_cmp_neq_f32_e32 vcc_lo, 0x7f800000, v13
	v_sqrt_f32_e32 v35, v42
	v_nop
	s_delay_alu instid0(TRANS32_DEP_1) | instskip(NEXT) | instid1(VALU_DEP_1)
	v_ldexp_f32 v33, v35, v33
	v_cndmask_b32_e32 v41, 0x7f800000, v33, vcc_lo
	s_delay_alu instid0(VALU_DEP_1) | instskip(NEXT) | instid1(VALU_DEP_1)
	v_add_f32_e32 v13, v43, v41
	v_mul_f32_e32 v13, 0.5, v13
	s_delay_alu instid0(VALU_DEP_1) | instskip(SKIP_1) | instid1(VALU_DEP_1)
	v_cmp_ngt_f32_e32 vcc_lo, 1.0, v13
	v_cndmask_b32_e32 v32, 1.0, v13, vcc_lo
                                        ; implicit-def: $vgpr13
	v_cmpx_ngt_f32_e32 0x41200000, v32
	s_xor_b32 s8, exec_lo, s7
	s_cbranch_execz .LBB43_611
; %bb.610:                              ;   in Loop: Header=BB43_401 Depth=1
	v_fma_f32 v13, v32, v32, -1.0
	s_delay_alu instid0(VALU_DEP_1) | instskip(SKIP_1) | instid1(VALU_DEP_2)
	v_mul_f32_e32 v15, 0x4f800000, v13
	v_cmp_gt_f32_e32 vcc_lo, 0xf800000, v13
	v_cndmask_b32_e32 v13, v13, v15, vcc_lo
	s_delay_alu instid0(VALU_DEP_1) | instskip(SKIP_1) | instid1(TRANS32_DEP_1)
	v_sqrt_f32_e32 v15, v13
	v_nop
	v_dual_add_nc_u32 v33, -1, v15 :: v_dual_add_nc_u32 v34, 1, v15
	s_delay_alu instid0(VALU_DEP_1) | instskip(NEXT) | instid1(VALU_DEP_1)
	v_fma_f32 v35, -v33, v15, v13
	v_cmp_ge_f32_e64 s7, 0, v35
	s_delay_alu instid0(VALU_DEP_1) | instskip(NEXT) | instid1(VALU_DEP_1)
	v_dual_fma_f32 v42, -v34, v15, v13 :: v_dual_cndmask_b32 v15, v15, v33, s7
	v_cmp_lt_f32_e64 s7, 0, v42
	s_delay_alu instid0(VALU_DEP_1) | instskip(NEXT) | instid1(VALU_DEP_1)
	v_cndmask_b32_e64 v15, v15, v34, s7
	v_mul_f32_e32 v33, 0x37800000, v15
	s_delay_alu instid0(VALU_DEP_1) | instskip(SKIP_1) | instid1(VALU_DEP_2)
	v_cndmask_b32_e32 v15, v15, v33, vcc_lo
	v_cmp_class_f32_e64 vcc_lo, v13, 0x260
	v_cndmask_b32_e32 v13, v15, v13, vcc_lo
	s_delay_alu instid0(VALU_DEP_1) | instskip(NEXT) | instid1(VALU_DEP_1)
	v_add_f32_e32 v13, v32, v13
	v_cmp_gt_f32_e32 vcc_lo, 0x800000, v13
	s_delay_alu instid0(VALU_DEP_4) | instskip(NEXT) | instid1(VALU_DEP_1)
	v_cndmask_b32_e64 v15, 0, 32, vcc_lo
	v_ldexp_f32 v13, v13, v15
	s_delay_alu instid0(VALU_DEP_1) | instskip(SKIP_1) | instid1(TRANS32_DEP_1)
	v_log_f32_e32 v13, v13
	v_nop
	v_mul_f32_e32 v15, 0x3f317217, v13
	v_cmp_gt_f32_e64 s7, 0x7f800000, |v13|
	s_delay_alu instid0(VALU_DEP_2) | instskip(NEXT) | instid1(VALU_DEP_1)
	v_fma_f32 v15, 0x3f317217, v13, -v15
	v_fmac_f32_e32 v15, 0x3377d1cf, v13
	s_delay_alu instid0(VALU_DEP_1) | instskip(NEXT) | instid1(VALU_DEP_1)
	v_fmac_f32_e32 v15, 0x3f317217, v13
	v_cndmask_b32_e64 v13, v13, v15, s7
	v_cndmask_b32_e64 v15, 0, 0x41b17218, vcc_lo
	s_delay_alu instid0(VALU_DEP_1)
	v_sub_f32_e32 v13, v13, v15
.LBB43_611:                             ;   in Loop: Header=BB43_401 Depth=1
	s_or_saveexec_b32 s8, s8
	v_and_b32_e32 v42, 0x7fffffff, v29
	s_xor_b32 exec_lo, exec_lo, s8
	s_cbranch_execz .LBB43_633
; %bb.612:                              ;   in Loop: Header=BB43_401 Depth=1
	v_cmp_neq_f32_e64 s7, |v28|, 1.0
	v_cmp_ngt_f32_e64 s31, 0x25000000, |v29|
                                        ; implicit-def: $vgpr13
	s_or_b32 s7, s31, s7
	s_delay_alu instid0(SALU_CYCLE_1) | instskip(NEXT) | instid1(SALU_CYCLE_1)
	s_and_saveexec_b32 s31, s7
	s_xor_b32 s31, exec_lo, s31
	s_cbranch_execz .LBB43_630
; %bb.613:                              ;   in Loop: Header=BB43_401 Depth=1
	v_mul_f32_e64 v13, 0x34000000, |v39|
	s_delay_alu instid0(VALU_DEP_1) | instskip(SKIP_1) | instid1(SALU_CYCLE_1)
	v_cmp_ge_f32_e64 s7, |v29|, v13
                                        ; implicit-def: $vgpr13
	s_and_saveexec_b32 s33, s7
	s_xor_b32 s33, exec_lo, s33
	s_cbranch_execz .LBB43_623
; %bb.614:                              ;   in Loop: Header=BB43_401 Depth=1
	v_mov_b32_e32 v13, v42
	s_mov_b32 s7, exec_lo
	v_cmpx_neq_f32_e32 0, v40
	s_cbranch_execz .LBB43_616
; %bb.615:                              ;   in Loop: Header=BB43_401 Depth=1
	v_dual_mul_f32 v13, v29, v29 :: v_dual_add_f32 v15, v40, v43
	s_delay_alu instid0(VALU_DEP_1) | instskip(NEXT) | instid1(VALU_DEP_1)
	v_div_scale_f32 v33, null, v15, v15, v13
	v_rcp_f32_e32 v34, v33
	v_nop
	s_delay_alu instid0(TRANS32_DEP_1) | instskip(NEXT) | instid1(VALU_DEP_1)
	v_fma_f32 v35, -v33, v34, 1.0
	v_fmac_f32_e32 v34, v35, v34
	v_div_scale_f32 v35, vcc_lo, v13, v15, v13
	s_delay_alu instid0(VALU_DEP_1) | instskip(NEXT) | instid1(VALU_DEP_1)
	v_mul_f32_e32 v44, v35, v34
	v_fma_f32 v45, -v33, v44, v35
	s_delay_alu instid0(VALU_DEP_1) | instskip(NEXT) | instid1(VALU_DEP_1)
	v_fmac_f32_e32 v44, v45, v34
	v_fma_f32 v33, -v33, v44, v35
	s_delay_alu instid0(VALU_DEP_1) | instskip(NEXT) | instid1(VALU_DEP_1)
	v_div_fmas_f32 v33, v33, v34, v44
	v_div_fixup_f32 v13, v33, v15, v13
.LBB43_616:                             ;   in Loop: Header=BB43_401 Depth=1
	s_or_b32 exec_lo, exec_lo, s7
	v_sub_f32_e64 v33, 1.0, |v28|
	s_mov_b32 s7, exec_lo
                                        ; implicit-def: $vgpr15
	s_delay_alu instid0(VALU_DEP_1)
	v_cmpx_ngt_f32_e32 0, v33
	s_xor_b32 s7, exec_lo, s7
	s_cbranch_execz .LBB43_620
; %bb.617:                              ;   in Loop: Header=BB43_401 Depth=1
	v_mov_b32_e32 v15, v42
	s_mov_b32 s34, exec_lo
	v_cmpx_neq_f32_e32 0, v33
	s_cbranch_execz .LBB43_619
; %bb.618:                              ;   in Loop: Header=BB43_401 Depth=1
	v_mul_f32_e32 v15, v29, v29
	v_add_f32_e32 v33, v33, v41
	s_delay_alu instid0(VALU_DEP_1) | instskip(NEXT) | instid1(VALU_DEP_1)
	v_div_scale_f32 v34, null, v33, v33, v15
	v_rcp_f32_e32 v35, v34
	v_nop
	s_delay_alu instid0(TRANS32_DEP_1) | instskip(NEXT) | instid1(VALU_DEP_1)
	v_fma_f32 v44, -v34, v35, 1.0
	v_fmac_f32_e32 v35, v44, v35
	v_div_scale_f32 v44, vcc_lo, v15, v33, v15
	s_delay_alu instid0(VALU_DEP_1) | instskip(NEXT) | instid1(VALU_DEP_1)
	v_mul_f32_e32 v45, v44, v35
	v_fma_f32 v46, -v34, v45, v44
	s_delay_alu instid0(VALU_DEP_1) | instskip(NEXT) | instid1(VALU_DEP_1)
	v_fmac_f32_e32 v45, v46, v35
	v_fma_f32 v34, -v34, v45, v44
	s_delay_alu instid0(VALU_DEP_1) | instskip(NEXT) | instid1(VALU_DEP_1)
	v_div_fmas_f32 v34, v34, v35, v45
	v_div_fixup_f32 v15, v34, v33, v15
.LBB43_619:                             ;   in Loop: Header=BB43_401 Depth=1
	s_or_b32 exec_lo, exec_lo, s34
                                        ; implicit-def: $vgpr33
.LBB43_620:                             ;   in Loop: Header=BB43_401 Depth=1
	s_and_not1_saveexec_b32 s7, s7
; %bb.621:                              ;   in Loop: Header=BB43_401 Depth=1
	v_sub_f32_e32 v15, v41, v33
; %bb.622:                              ;   in Loop: Header=BB43_401 Depth=1
	s_or_b32 exec_lo, exec_lo, s7
	s_delay_alu instid0(VALU_DEP_1) | instskip(NEXT) | instid1(VALU_DEP_1)
	v_dual_mul_f32 v33, 0.5, v13 :: v_dual_mul_f32 v13, 0.5, v15
	v_pk_add_f32 v[34:35], v[32:33], v[12:13]
	s_delay_alu instid0(VALU_DEP_1) | instskip(NEXT) | instid1(VALU_DEP_1)
	v_mul_f32_e32 v13, v34, v35
	v_mul_f32_e32 v15, 0x4f800000, v13
	v_cmp_gt_f32_e32 vcc_lo, 0xf800000, v13
	s_delay_alu instid0(VALU_DEP_2) | instskip(NEXT) | instid1(VALU_DEP_1)
	v_cndmask_b32_e32 v13, v13, v15, vcc_lo
	v_sqrt_f32_e32 v15, v13
	v_nop
	s_delay_alu instid0(TRANS32_DEP_1) | instskip(NEXT) | instid1(VALU_DEP_1)
	v_dual_add_nc_u32 v33, -1, v15 :: v_dual_add_nc_u32 v34, 1, v15
	v_dual_fma_f32 v44, -v33, v15, v13 :: v_dual_fma_f32 v45, -v34, v15, v13
	s_delay_alu instid0(VALU_DEP_1) | instskip(NEXT) | instid1(VALU_DEP_1)
	v_cmp_ge_f32_e64 s7, 0, v44
	v_cndmask_b32_e64 v15, v15, v33, s7
	s_delay_alu instid0(VALU_DEP_3) | instskip(NEXT) | instid1(VALU_DEP_1)
	v_cmp_lt_f32_e64 s7, 0, v45
	v_cndmask_b32_e64 v15, v15, v34, s7
	s_delay_alu instid0(VALU_DEP_1) | instskip(NEXT) | instid1(VALU_DEP_1)
	v_mul_f32_e32 v33, 0x37800000, v15
	v_cndmask_b32_e32 v15, v15, v33, vcc_lo
	v_cmp_class_f32_e64 vcc_lo, v13, 0x260
	s_delay_alu instid0(VALU_DEP_2) | instskip(NEXT) | instid1(VALU_DEP_1)
	v_cndmask_b32_e32 v13, v15, v13, vcc_lo
	v_add_f32_e32 v34, v35, v13
	s_delay_alu instid0(VALU_DEP_1) | instskip(NEXT) | instid1(VALU_DEP_1)
	v_add_f32_e32 v45, 1.0, v34
	v_cvt_f64_f32_e32 v[46:47], v45
	v_frexp_mant_f32_e32 v15, v45
	v_add_f32_e32 v35, -1.0, v45
	s_delay_alu instid0(VALU_DEP_2) | instskip(NEXT) | instid1(VALU_DEP_2)
	v_cmp_gt_f32_e32 vcc_lo, 0x3f2aaaab, v15
	v_mov_b32_e32 v44, v35
	v_frexp_exp_i32_f64_e32 v13, v[46:47]
	s_delay_alu instid0(VALU_DEP_2) | instskip(NEXT) | instid1(VALU_DEP_1)
	v_pk_add_f32 v[46:47], v[34:35], v[44:45] neg_lo:[0,1] neg_hi:[0,1]
	v_add_f32_e32 v35, 1.0, v47
	s_delay_alu instid0(VALU_DEP_1) | instskip(NEXT) | instid1(VALU_DEP_4)
	v_add_f32_e32 v35, v46, v35
	v_subrev_co_ci_u32_e64 v13, null, 0, v13, vcc_lo
	v_cmp_neq_f32_e32 vcc_lo, 0x7f800000, v34
	s_delay_alu instid0(VALU_DEP_2) | instskip(NEXT) | instid1(VALU_DEP_1)
	v_sub_nc_u32_e32 v15, 0, v13
	v_ldexp_f32 v33, v45, v15
	v_ldexp_f32 v15, v35, v15
	s_delay_alu instid0(VALU_DEP_2) | instskip(NEXT) | instid1(VALU_DEP_1)
	v_dual_add_f32 v44, 1.0, v33 :: v_dual_add_f32 v49, -1.0, v33
	v_add_f32_e32 v45, -1.0, v44
	s_delay_alu instid0(VALU_DEP_1) | instskip(NEXT) | instid1(VALU_DEP_3)
	v_sub_f32_e32 v35, v33, v45
	v_add_f32_e32 v45, 1.0, v49
	s_delay_alu instid0(VALU_DEP_1) | instskip(NEXT) | instid1(VALU_DEP_1)
	v_dual_sub_f32 v33, v33, v45 :: v_dual_add_f32 v35, v15, v35
	v_dual_add_f32 v15, v15, v33 :: v_dual_add_f32 v50, v44, v35
	s_delay_alu instid0(VALU_DEP_1) | instskip(SKIP_1) | instid1(VALU_DEP_1)
	v_dual_add_f32 v45, v49, v15 :: v_dual_sub_f32 v44, v50, v44
	v_rcp_f32_e32 v33, v50
	v_dual_sub_f32 v52, v45, v49 :: v_dual_sub_f32 v35, v35, v44
	s_delay_alu instid0(TRANS32_DEP_1) | instid1(VALU_DEP_1)
	v_dual_mul_f32 v51, v45, v33 :: v_dual_sub_f32 v15, v15, v52
	s_delay_alu instid0(VALU_DEP_1) | instskip(NEXT) | instid1(VALU_DEP_1)
	v_mul_f32_e32 v46, v50, v51
	v_fma_f32 v48, v51, v50, -v46
	s_delay_alu instid0(VALU_DEP_1) | instskip(NEXT) | instid1(VALU_DEP_1)
	v_fmac_f32_e32 v48, v51, v35
	v_add_f32_e32 v44, v46, v48
	s_delay_alu instid0(VALU_DEP_1) | instskip(NEXT) | instid1(VALU_DEP_1)
	v_dual_sub_f32 v47, v45, v44 :: v_dual_mov_b32 v49, v44
	v_pk_add_f32 v[44:45], v[44:45], v[46:47] neg_lo:[0,1] neg_hi:[0,1]
	s_delay_alu instid0(VALU_DEP_1) | instskip(NEXT) | instid1(VALU_DEP_1)
	v_pk_add_f32 v[44:45], v[44:45], v[48:49] neg_lo:[0,1] neg_hi:[0,1]
	v_add_f32_e32 v15, v15, v45
	s_delay_alu instid0(VALU_DEP_1) | instskip(NEXT) | instid1(VALU_DEP_1)
	v_add_f32_e32 v15, v44, v15
	v_add_f32_e32 v45, v47, v15
	s_delay_alu instid0(VALU_DEP_1) | instskip(NEXT) | instid1(VALU_DEP_1)
	v_mul_f32_e32 v52, v33, v45
	v_mul_f32_e32 v48, v50, v52
	s_delay_alu instid0(VALU_DEP_1) | instskip(NEXT) | instid1(VALU_DEP_1)
	v_fma_f32 v46, v52, v50, -v48
	v_dual_fmac_f32 v46, v52, v35 :: v_dual_sub_f32 v35, v47, v45
	s_delay_alu instid0(VALU_DEP_1) | instskip(NEXT) | instid1(VALU_DEP_1)
	v_dual_add_f32 v44, v48, v46 :: v_dual_add_f32 v15, v15, v35
	v_dual_mov_b32 v47, v44 :: v_dual_sub_f32 v49, v45, v44
	s_delay_alu instid0(VALU_DEP_1) | instskip(NEXT) | instid1(VALU_DEP_1)
	v_pk_add_f32 v[44:45], v[44:45], v[48:49] neg_lo:[0,1] neg_hi:[0,1]
	v_pk_add_f32 v[44:45], v[44:45], v[46:47] neg_lo:[0,1] neg_hi:[0,1]
	s_delay_alu instid0(VALU_DEP_1) | instskip(NEXT) | instid1(VALU_DEP_1)
	v_add_f32_e32 v15, v15, v45
	v_dual_add_f32 v35, v51, v52 :: v_dual_add_f32 v15, v44, v15
	s_delay_alu instid0(VALU_DEP_1) | instskip(NEXT) | instid1(VALU_DEP_1)
	v_sub_f32_e32 v44, v35, v51
	v_dual_add_f32 v15, v49, v15 :: v_dual_sub_f32 v44, v52, v44
	s_delay_alu instid0(VALU_DEP_1) | instskip(NEXT) | instid1(VALU_DEP_1)
	v_mul_f32_e32 v15, v33, v15
	v_add_f32_e32 v33, v44, v15
	v_cvt_f32_i32_e32 v44, v13
	s_delay_alu instid0(VALU_DEP_2) | instskip(NEXT) | instid1(VALU_DEP_1)
	v_add_f32_e32 v50, v35, v33
	v_mul_f32_e32 v15, v50, v50
	v_ldexp_f32 v49, v50, 1
	s_delay_alu instid0(VALU_DEP_2) | instskip(NEXT) | instid1(VALU_DEP_1)
	v_dual_fmaak_f32 v46, s9, v15, 0x3ecc95a3 :: v_dual_mul_f32 v45, v50, v15
	v_fmaak_f32 v15, v15, v46, 0x3f2aaada
	s_delay_alu instid0(VALU_DEP_1) | instskip(NEXT) | instid1(VALU_DEP_1)
	v_pk_mul_f32 v[46:47], v[44:45], v[14:15]
	v_fma_f32 v48, 0x3f317218, v44, -v46
	s_delay_alu instid0(VALU_DEP_1) | instskip(NEXT) | instid1(VALU_DEP_1)
	v_fmac_f32_e32 v48, 0xb102e308, v44
	v_pk_add_f32 v[44:45], v[46:47], v[48:49]
	v_sub_f32_e32 v13, v50, v35
	s_delay_alu instid0(VALU_DEP_2) | instskip(NEXT) | instid1(VALU_DEP_2)
	v_dual_mov_b32 v50, v46 :: v_dual_sub_f32 v15, v45, v49
	v_dual_sub_f32 v13, v33, v13 :: v_dual_mov_b32 v49, v44
	s_delay_alu instid0(VALU_DEP_2) | instskip(NEXT) | instid1(VALU_DEP_2)
	v_dual_mov_b32 v58, v45 :: v_dual_sub_f32 v15, v47, v15
	v_ldexp_f32 v13, v13, 1
	v_pk_add_f32 v[46:47], v[44:45], v[46:47] neg_lo:[0,1] neg_hi:[0,1]
	s_delay_alu instid0(VALU_DEP_2) | instskip(NEXT) | instid1(VALU_DEP_1)
	v_add_f32_e32 v51, v13, v15
	v_pk_add_f32 v[52:53], v[44:45], v[50:51]
	s_delay_alu instid0(VALU_DEP_1) | instskip(NEXT) | instid1(VALU_DEP_1)
	v_mov_b32_e32 v47, v53
	v_pk_add_f32 v[54:55], v[48:49], v[46:47]
	v_pk_add_f32 v[46:47], v[48:49], v[46:47] neg_lo:[0,1] neg_hi:[0,1]
	s_delay_alu instid0(VALU_DEP_2) | instskip(NEXT) | instid1(VALU_DEP_1)
	v_dual_mov_b32 v50, v55 :: v_dual_mov_b32 v47, v55
	v_pk_add_f32 v[56:57], v[50:51], v[44:45] neg_lo:[0,1] neg_hi:[0,1]
	v_dual_mov_b32 v54, v53 :: v_dual_mov_b32 v45, v44
	s_delay_alu instid0(VALU_DEP_2) | instskip(SKIP_1) | instid1(VALU_DEP_2)
	v_dual_mov_b32 v44, v51 :: v_dual_mov_b32 v59, v56
	v_mov_b32_e32 v13, v56
	v_pk_add_f32 v[56:57], v[54:55], v[58:59] neg_lo:[0,1] neg_hi:[0,1]
	s_delay_alu instid0(VALU_DEP_2) | instskip(SKIP_1) | instid1(VALU_DEP_3)
	v_pk_add_f32 v[48:49], v[52:53], v[12:13] neg_lo:[0,1] neg_hi:[0,1]
	v_mov_b32_e32 v48, v46
	v_pk_add_f32 v[44:45], v[44:45], v[56:57] neg_lo:[0,1] neg_hi:[0,1]
	s_delay_alu instid0(VALU_DEP_1) | instskip(NEXT) | instid1(VALU_DEP_1)
	v_pk_add_f32 v[48:49], v[48:49], v[44:45]
	v_mov_b32_e32 v52, v49
	s_delay_alu instid0(VALU_DEP_1) | instskip(NEXT) | instid1(VALU_DEP_1)
	v_pk_add_f32 v[52:53], v[48:49], v[52:53]
	v_pk_add_f32 v[50:51], v[50:51], v[52:53]
	s_delay_alu instid0(VALU_DEP_1) | instskip(NEXT) | instid1(VALU_DEP_1)
	v_dual_mov_b32 v45, v52 :: v_dual_mov_b32 v49, v50
	v_pk_add_f32 v[54:55], v[48:49], v[46:47] neg_lo:[0,1] neg_hi:[0,1]
	s_delay_alu instid0(VALU_DEP_1) | instskip(NEXT) | instid1(VALU_DEP_2)
	v_sub_f32_e32 v13, v48, v54
	v_pk_add_f32 v[44:45], v[44:45], v[54:55] neg_lo:[0,1] neg_hi:[0,1]
	s_delay_alu instid0(VALU_DEP_2) | instskip(NEXT) | instid1(VALU_DEP_1)
	v_sub_f32_e32 v13, v46, v13
	v_add_f32_e32 v13, v44, v13
	s_delay_alu instid0(VALU_DEP_1) | instskip(NEXT) | instid1(VALU_DEP_1)
	v_add_f32_e32 v13, v13, v45
	v_add_f32_e32 v13, v50, v13
	s_delay_alu instid0(VALU_DEP_1) | instskip(SKIP_1) | instid1(VALU_DEP_2)
	v_cndmask_b32_e32 v13, 0x7f800000, v13, vcc_lo
	v_cmp_ngt_f32_e32 vcc_lo, -1.0, v34
	v_cndmask_b32_e32 v13, 0x7fc00000, v13, vcc_lo
	v_cmp_neq_f32_e32 vcc_lo, -1.0, v34
	s_delay_alu instid0(VALU_DEP_2) | instskip(SKIP_1) | instid1(VALU_DEP_2)
	v_cndmask_b32_e32 v13, 0xff800000, v13, vcc_lo
	v_cmp_gt_f32_e64 vcc_lo, 0x33800000, |v34|
	v_cndmask_b32_e32 v13, v13, v34, vcc_lo
.LBB43_623:                             ;   in Loop: Header=BB43_401 Depth=1
	s_and_not1_saveexec_b32 s33, s33
	s_cbranch_execz .LBB43_629
; %bb.624:                              ;   in Loop: Header=BB43_401 Depth=1
	s_mov_b32 s34, exec_lo
                                        ; implicit-def: $vgpr13
	v_cmpx_nlt_f32_e64 |v28|, 1.0
	s_xor_b32 s34, exec_lo, s34
	s_cbranch_execz .LBB43_626
; %bb.625:                              ;   in Loop: Header=BB43_401 Depth=1
	v_mul_f32_e32 v13, v39, v40
	s_delay_alu instid0(VALU_DEP_1) | instskip(SKIP_1) | instid1(VALU_DEP_2)
	v_mul_f32_e32 v15, 0x4f800000, v13
	v_cmp_gt_f32_e32 vcc_lo, 0xf800000, v13
	v_cndmask_b32_e32 v13, v13, v15, vcc_lo
	s_delay_alu instid0(VALU_DEP_1) | instskip(SKIP_1) | instid1(TRANS32_DEP_1)
	v_sqrt_f32_e32 v15, v13
	v_nop
	v_dual_add_nc_u32 v33, -1, v15 :: v_dual_add_nc_u32 v34, 1, v15
	s_delay_alu instid0(VALU_DEP_1) | instskip(NEXT) | instid1(VALU_DEP_1)
	v_dual_fma_f32 v35, -v33, v15, v13 :: v_dual_fma_f32 v44, -v34, v15, v13
	v_cmp_ge_f32_e64 s7, 0, v35
	s_delay_alu instid0(VALU_DEP_1) | instskip(NEXT) | instid1(VALU_DEP_3)
	v_cndmask_b32_e64 v15, v15, v33, s7
	v_cmp_lt_f32_e64 s7, 0, v44
	s_delay_alu instid0(VALU_DEP_1) | instskip(NEXT) | instid1(VALU_DEP_1)
	v_cndmask_b32_e64 v15, v15, v34, s7
	v_mul_f32_e32 v33, 0x37800000, v15
	s_delay_alu instid0(VALU_DEP_1) | instskip(SKIP_1) | instid1(VALU_DEP_2)
	v_cndmask_b32_e32 v15, v15, v33, vcc_lo
	v_cmp_class_f32_e64 vcc_lo, v13, 0x260
	v_cndmask_b32_e32 v13, v15, v13, vcc_lo
	s_delay_alu instid0(VALU_DEP_1) | instskip(NEXT) | instid1(VALU_DEP_1)
	v_add_f32_e32 v34, v39, v13
	v_add_f32_e32 v45, 1.0, v34
	s_delay_alu instid0(VALU_DEP_1) | instskip(SKIP_2) | instid1(VALU_DEP_2)
	v_cvt_f64_f32_e32 v[46:47], v45
	v_frexp_mant_f32_e32 v15, v45
	v_add_f32_e32 v35, -1.0, v45
	v_cmp_gt_f32_e32 vcc_lo, 0x3f2aaaab, v15
	s_delay_alu instid0(VALU_DEP_2) | instskip(SKIP_1) | instid1(VALU_DEP_2)
	v_mov_b32_e32 v44, v35
	v_frexp_exp_i32_f64_e32 v13, v[46:47]
	v_pk_add_f32 v[46:47], v[34:35], v[44:45] neg_lo:[0,1] neg_hi:[0,1]
	s_delay_alu instid0(VALU_DEP_1) | instskip(NEXT) | instid1(VALU_DEP_1)
	v_add_f32_e32 v35, 1.0, v47
	v_add_f32_e32 v35, v46, v35
	s_delay_alu instid0(VALU_DEP_4) | instskip(SKIP_1) | instid1(VALU_DEP_2)
	v_subrev_co_ci_u32_e64 v13, null, 0, v13, vcc_lo
	v_cmp_neq_f32_e32 vcc_lo, 0x7f800000, v34
	v_sub_nc_u32_e32 v15, 0, v13
	s_delay_alu instid0(VALU_DEP_1) | instskip(NEXT) | instid1(VALU_DEP_1)
	v_ldexp_f32 v33, v45, v15
	v_dual_add_f32 v44, 1.0, v33 :: v_dual_add_f32 v49, -1.0, v33
	s_delay_alu instid0(VALU_DEP_1) | instskip(SKIP_1) | instid1(VALU_DEP_2)
	v_add_f32_e32 v45, -1.0, v44
	v_ldexp_f32 v15, v35, v15
	v_sub_f32_e32 v35, v33, v45
	s_delay_alu instid0(VALU_DEP_4) | instskip(NEXT) | instid1(VALU_DEP_1)
	v_add_f32_e32 v45, 1.0, v49
	v_dual_sub_f32 v33, v33, v45 :: v_dual_add_f32 v35, v15, v35
	s_delay_alu instid0(VALU_DEP_1) | instskip(NEXT) | instid1(VALU_DEP_1)
	v_dual_add_f32 v15, v15, v33 :: v_dual_add_f32 v50, v44, v35
	v_dual_add_f32 v45, v49, v15 :: v_dual_sub_f32 v44, v50, v44
	v_rcp_f32_e32 v33, v50
	s_delay_alu instid0(VALU_DEP_1)
	v_dual_sub_f32 v52, v45, v49 :: v_dual_sub_f32 v35, v35, v44
	s_delay_alu instid0(TRANS32_DEP_1) | instid1(VALU_DEP_1)
	v_dual_mul_f32 v51, v45, v33 :: v_dual_sub_f32 v15, v15, v52
	s_delay_alu instid0(VALU_DEP_1) | instskip(NEXT) | instid1(VALU_DEP_1)
	v_mul_f32_e32 v46, v50, v51
	v_fma_f32 v48, v51, v50, -v46
	s_delay_alu instid0(VALU_DEP_1) | instskip(NEXT) | instid1(VALU_DEP_1)
	v_fmac_f32_e32 v48, v51, v35
	v_add_f32_e32 v44, v46, v48
	s_delay_alu instid0(VALU_DEP_1) | instskip(NEXT) | instid1(VALU_DEP_1)
	v_dual_sub_f32 v47, v45, v44 :: v_dual_mov_b32 v49, v44
	v_pk_add_f32 v[44:45], v[44:45], v[46:47] neg_lo:[0,1] neg_hi:[0,1]
	s_delay_alu instid0(VALU_DEP_1) | instskip(NEXT) | instid1(VALU_DEP_1)
	v_pk_add_f32 v[44:45], v[44:45], v[48:49] neg_lo:[0,1] neg_hi:[0,1]
	v_add_f32_e32 v15, v15, v45
	s_delay_alu instid0(VALU_DEP_1) | instskip(NEXT) | instid1(VALU_DEP_1)
	v_add_f32_e32 v15, v44, v15
	v_add_f32_e32 v45, v47, v15
	s_delay_alu instid0(VALU_DEP_1) | instskip(NEXT) | instid1(VALU_DEP_1)
	v_mul_f32_e32 v52, v33, v45
	v_mul_f32_e32 v48, v50, v52
	s_delay_alu instid0(VALU_DEP_1) | instskip(NEXT) | instid1(VALU_DEP_1)
	v_fma_f32 v46, v52, v50, -v48
	v_dual_fmac_f32 v46, v52, v35 :: v_dual_sub_f32 v35, v47, v45
	s_delay_alu instid0(VALU_DEP_1) | instskip(NEXT) | instid1(VALU_DEP_1)
	v_dual_add_f32 v44, v48, v46 :: v_dual_add_f32 v15, v15, v35
	v_dual_mov_b32 v47, v44 :: v_dual_sub_f32 v49, v45, v44
	s_delay_alu instid0(VALU_DEP_1) | instskip(NEXT) | instid1(VALU_DEP_1)
	v_pk_add_f32 v[44:45], v[44:45], v[48:49] neg_lo:[0,1] neg_hi:[0,1]
	v_pk_add_f32 v[44:45], v[44:45], v[46:47] neg_lo:[0,1] neg_hi:[0,1]
	s_delay_alu instid0(VALU_DEP_1) | instskip(NEXT) | instid1(VALU_DEP_1)
	v_add_f32_e32 v15, v15, v45
	v_dual_add_f32 v35, v51, v52 :: v_dual_add_f32 v15, v44, v15
	s_delay_alu instid0(VALU_DEP_1) | instskip(NEXT) | instid1(VALU_DEP_1)
	v_sub_f32_e32 v44, v35, v51
	v_dual_add_f32 v15, v49, v15 :: v_dual_sub_f32 v44, v52, v44
	s_delay_alu instid0(VALU_DEP_1) | instskip(NEXT) | instid1(VALU_DEP_1)
	v_mul_f32_e32 v15, v33, v15
	v_add_f32_e32 v33, v44, v15
	v_cvt_f32_i32_e32 v44, v13
	s_delay_alu instid0(VALU_DEP_2) | instskip(NEXT) | instid1(VALU_DEP_1)
	v_add_f32_e32 v50, v35, v33
	v_mul_f32_e32 v15, v50, v50
	v_ldexp_f32 v49, v50, 1
	s_delay_alu instid0(VALU_DEP_2) | instskip(NEXT) | instid1(VALU_DEP_1)
	v_dual_fmaak_f32 v46, s9, v15, 0x3ecc95a3 :: v_dual_mul_f32 v45, v50, v15
	v_fmaak_f32 v15, v15, v46, 0x3f2aaada
	s_delay_alu instid0(VALU_DEP_1) | instskip(NEXT) | instid1(VALU_DEP_1)
	v_pk_mul_f32 v[46:47], v[44:45], v[14:15]
	v_fma_f32 v48, 0x3f317218, v44, -v46
	s_delay_alu instid0(VALU_DEP_1) | instskip(NEXT) | instid1(VALU_DEP_1)
	v_fmac_f32_e32 v48, 0xb102e308, v44
	v_pk_add_f32 v[44:45], v[46:47], v[48:49]
	v_sub_f32_e32 v13, v50, v35
	s_delay_alu instid0(VALU_DEP_2) | instskip(NEXT) | instid1(VALU_DEP_2)
	v_dual_mov_b32 v50, v46 :: v_dual_sub_f32 v15, v45, v49
	v_dual_sub_f32 v13, v33, v13 :: v_dual_mov_b32 v49, v44
	s_delay_alu instid0(VALU_DEP_2) | instskip(NEXT) | instid1(VALU_DEP_2)
	v_dual_mov_b32 v58, v45 :: v_dual_sub_f32 v15, v47, v15
	v_ldexp_f32 v13, v13, 1
	v_pk_add_f32 v[46:47], v[44:45], v[46:47] neg_lo:[0,1] neg_hi:[0,1]
	s_delay_alu instid0(VALU_DEP_2) | instskip(NEXT) | instid1(VALU_DEP_1)
	v_add_f32_e32 v51, v13, v15
	v_pk_add_f32 v[52:53], v[44:45], v[50:51]
	s_delay_alu instid0(VALU_DEP_1) | instskip(NEXT) | instid1(VALU_DEP_1)
	v_mov_b32_e32 v47, v53
	v_pk_add_f32 v[54:55], v[48:49], v[46:47]
	v_pk_add_f32 v[46:47], v[48:49], v[46:47] neg_lo:[0,1] neg_hi:[0,1]
	s_delay_alu instid0(VALU_DEP_2) | instskip(NEXT) | instid1(VALU_DEP_1)
	v_dual_mov_b32 v50, v55 :: v_dual_mov_b32 v47, v55
	v_pk_add_f32 v[56:57], v[50:51], v[44:45] neg_lo:[0,1] neg_hi:[0,1]
	v_dual_mov_b32 v54, v53 :: v_dual_mov_b32 v45, v44
	s_delay_alu instid0(VALU_DEP_2) | instskip(SKIP_1) | instid1(VALU_DEP_2)
	v_dual_mov_b32 v44, v51 :: v_dual_mov_b32 v59, v56
	v_mov_b32_e32 v13, v56
	v_pk_add_f32 v[56:57], v[54:55], v[58:59] neg_lo:[0,1] neg_hi:[0,1]
	s_delay_alu instid0(VALU_DEP_2) | instskip(SKIP_1) | instid1(VALU_DEP_3)
	v_pk_add_f32 v[48:49], v[52:53], v[12:13] neg_lo:[0,1] neg_hi:[0,1]
	v_mov_b32_e32 v48, v46
	v_pk_add_f32 v[44:45], v[44:45], v[56:57] neg_lo:[0,1] neg_hi:[0,1]
	s_delay_alu instid0(VALU_DEP_1) | instskip(NEXT) | instid1(VALU_DEP_1)
	v_pk_add_f32 v[48:49], v[48:49], v[44:45]
	v_mov_b32_e32 v52, v49
	s_delay_alu instid0(VALU_DEP_1) | instskip(NEXT) | instid1(VALU_DEP_1)
	v_pk_add_f32 v[52:53], v[48:49], v[52:53]
	v_pk_add_f32 v[50:51], v[50:51], v[52:53]
	s_delay_alu instid0(VALU_DEP_1) | instskip(NEXT) | instid1(VALU_DEP_1)
	v_dual_mov_b32 v45, v52 :: v_dual_mov_b32 v49, v50
	v_pk_add_f32 v[54:55], v[48:49], v[46:47] neg_lo:[0,1] neg_hi:[0,1]
	s_delay_alu instid0(VALU_DEP_1) | instskip(NEXT) | instid1(VALU_DEP_2)
	v_sub_f32_e32 v13, v48, v54
	v_pk_add_f32 v[44:45], v[44:45], v[54:55] neg_lo:[0,1] neg_hi:[0,1]
	s_delay_alu instid0(VALU_DEP_2) | instskip(NEXT) | instid1(VALU_DEP_1)
	v_sub_f32_e32 v13, v46, v13
	v_add_f32_e32 v13, v44, v13
	s_delay_alu instid0(VALU_DEP_1) | instskip(NEXT) | instid1(VALU_DEP_1)
	v_add_f32_e32 v13, v13, v45
	v_add_f32_e32 v13, v50, v13
	s_delay_alu instid0(VALU_DEP_1) | instskip(SKIP_1) | instid1(VALU_DEP_2)
	v_cndmask_b32_e32 v13, 0x7f800000, v13, vcc_lo
	v_cmp_ngt_f32_e32 vcc_lo, -1.0, v34
	v_cndmask_b32_e32 v13, 0x7fc00000, v13, vcc_lo
	v_cmp_neq_f32_e32 vcc_lo, -1.0, v34
	s_delay_alu instid0(VALU_DEP_2) | instskip(SKIP_1) | instid1(VALU_DEP_2)
	v_cndmask_b32_e32 v13, 0xff800000, v13, vcc_lo
	v_cmp_gt_f32_e64 vcc_lo, 0x33800000, |v34|
	v_cndmask_b32_e32 v13, v13, v34, vcc_lo
.LBB43_626:                             ;   in Loop: Header=BB43_401 Depth=1
	s_and_not1_saveexec_b32 s34, s34
	s_cbranch_execz .LBB43_628
; %bb.627:                              ;   in Loop: Header=BB43_401 Depth=1
	v_sub_f32_e64 v13, 1.0, |v28|
	s_delay_alu instid0(VALU_DEP_1) | instskip(NEXT) | instid1(VALU_DEP_1)
	v_mul_f32_e32 v13, v13, v40
	v_mul_f32_e32 v15, 0x4f800000, v13
	v_cmp_gt_f32_e32 vcc_lo, 0xf800000, v13
	s_delay_alu instid0(VALU_DEP_2) | instskip(NEXT) | instid1(VALU_DEP_1)
	v_cndmask_b32_e32 v13, v13, v15, vcc_lo
	v_sqrt_f32_e32 v15, v13
	v_nop
	s_delay_alu instid0(TRANS32_DEP_1) | instskip(NEXT) | instid1(VALU_DEP_1)
	v_dual_add_nc_u32 v33, -1, v15 :: v_dual_add_nc_u32 v34, 1, v15
	v_dual_fma_f32 v35, -v33, v15, v13 :: v_dual_fma_f32 v44, -v34, v15, v13
	s_delay_alu instid0(VALU_DEP_1) | instskip(NEXT) | instid1(VALU_DEP_1)
	v_cmp_ge_f32_e64 s7, 0, v35
	v_cndmask_b32_e64 v15, v15, v33, s7
	s_delay_alu instid0(VALU_DEP_3) | instskip(NEXT) | instid1(VALU_DEP_1)
	v_cmp_lt_f32_e64 s7, 0, v44
	v_cndmask_b32_e64 v15, v15, v34, s7
	s_delay_alu instid0(VALU_DEP_1) | instskip(NEXT) | instid1(VALU_DEP_1)
	v_mul_f32_e32 v33, 0x37800000, v15
	v_cndmask_b32_e32 v15, v15, v33, vcc_lo
	v_cmp_class_f32_e64 vcc_lo, v13, 0x260
	v_and_b32_e32 v33, 0x7fffffff, v29
	s_delay_alu instid0(VALU_DEP_3) | instskip(NEXT) | instid1(VALU_DEP_1)
	v_cndmask_b32_e32 v13, v15, v13, vcc_lo
	v_div_scale_f32 v15, null, v13, v13, v33
	v_div_scale_f32 v33, vcc_lo, v33, v13, v33
	s_delay_alu instid0(VALU_DEP_2) | instskip(SKIP_1) | instid1(TRANS32_DEP_1)
	v_rcp_f32_e32 v34, v15
	v_nop
	v_fma_f32 v35, -v15, v34, 1.0
	s_delay_alu instid0(VALU_DEP_1) | instskip(NEXT) | instid1(VALU_DEP_1)
	v_fmac_f32_e32 v34, v35, v34
	v_mul_f32_e32 v35, v33, v34
	s_delay_alu instid0(VALU_DEP_1) | instskip(NEXT) | instid1(VALU_DEP_1)
	v_fma_f32 v44, -v15, v35, v33
	v_fmac_f32_e32 v35, v44, v34
	s_delay_alu instid0(VALU_DEP_1) | instskip(NEXT) | instid1(VALU_DEP_1)
	v_fma_f32 v15, -v15, v35, v33
	v_div_fmas_f32 v15, v15, v34, v35
	s_delay_alu instid0(VALU_DEP_1)
	v_div_fixup_f32 v13, v15, v13, |v29|
.LBB43_628:                             ;   in Loop: Header=BB43_401 Depth=1
	s_or_b32 exec_lo, exec_lo, s34
.LBB43_629:                             ;   in Loop: Header=BB43_401 Depth=1
	s_delay_alu instid0(SALU_CYCLE_1)
	s_or_b32 exec_lo, exec_lo, s33
.LBB43_630:                             ;   in Loop: Header=BB43_401 Depth=1
	s_and_not1_saveexec_b32 s31, s31
	s_cbranch_execz .LBB43_632
; %bb.631:                              ;   in Loop: Header=BB43_401 Depth=1
	v_mul_f32_e64 v13, 0x4f800000, |v29|
	v_cmp_gt_f32_e64 vcc_lo, 0xf800000, |v29|
	s_delay_alu instid0(VALU_DEP_1) | instskip(NEXT) | instid1(VALU_DEP_1)
	v_cndmask_b32_e64 v13, |v29|, v13, vcc_lo
	v_sqrt_f32_e32 v15, v13
	v_nop
	s_delay_alu instid0(TRANS32_DEP_1) | instskip(NEXT) | instid1(VALU_DEP_1)
	v_dual_add_nc_u32 v33, -1, v15 :: v_dual_add_nc_u32 v34, 1, v15
	v_dual_fma_f32 v35, -v33, v15, v13 :: v_dual_fma_f32 v44, -v34, v15, v13
	s_delay_alu instid0(VALU_DEP_1) | instskip(NEXT) | instid1(VALU_DEP_1)
	v_cmp_ge_f32_e64 s7, 0, v35
	v_cndmask_b32_e64 v15, v15, v33, s7
	s_delay_alu instid0(VALU_DEP_3) | instskip(NEXT) | instid1(VALU_DEP_1)
	v_cmp_lt_f32_e64 s7, 0, v44
	v_cndmask_b32_e64 v15, v15, v34, s7
	s_delay_alu instid0(VALU_DEP_1) | instskip(NEXT) | instid1(VALU_DEP_1)
	v_mul_f32_e32 v33, 0x37800000, v15
	v_cndmask_b32_e32 v15, v15, v33, vcc_lo
	v_cmp_class_f32_e64 vcc_lo, v13, 0x260
	s_delay_alu instid0(VALU_DEP_2)
	v_cndmask_b32_e32 v13, v15, v13, vcc_lo
.LBB43_632:                             ;   in Loop: Header=BB43_401 Depth=1
	s_or_b32 exec_lo, exec_lo, s31
.LBB43_633:                             ;   in Loop: Header=BB43_401 Depth=1
	s_delay_alu instid0(SALU_CYCLE_1) | instskip(NEXT) | instid1(SALU_CYCLE_1)
	s_or_b32 exec_lo, exec_lo, s8
	s_mov_b32 s31, exec_lo
                                        ; implicit-def: $sgpr7
                                        ; implicit-def: $vgpr35
                                        ; implicit-def: $vgpr15
	v_cmpx_ngt_f32_e64 0x21000000, |v28|
	s_xor_b32 s31, exec_lo, s31
	s_cbranch_execz .LBB43_657
; %bb.634:                              ;   in Loop: Header=BB43_401 Depth=1
	v_and_b32_e32 v34, 0x7fffffff, v28
	s_mov_b32 s7, 0
	s_mov_b32 s33, exec_lo
	s_delay_alu instid0(VALU_DEP_1) | instskip(NEXT) | instid1(VALU_DEP_1)
	v_div_scale_f32 v15, null, v32, v32, v34
	v_rcp_f32_e32 v33, v15
	v_nop
	s_delay_alu instid0(TRANS32_DEP_1) | instskip(NEXT) | instid1(VALU_DEP_1)
	v_fma_f32 v35, -v15, v33, 1.0
	v_fmac_f32_e32 v33, v35, v33
	v_div_scale_f32 v35, vcc_lo, v34, v32, v34
	s_delay_alu instid0(VALU_DEP_1) | instskip(NEXT) | instid1(VALU_DEP_1)
	v_mul_f32_e32 v44, v35, v33
	v_fma_f32 v45, -v15, v44, v35
	s_delay_alu instid0(VALU_DEP_1) | instskip(NEXT) | instid1(VALU_DEP_1)
	v_fmac_f32_e32 v44, v45, v33
	v_fma_f32 v15, -v15, v44, v35
	s_delay_alu instid0(VALU_DEP_1) | instskip(NEXT) | instid1(VALU_DEP_1)
	v_div_fmas_f32 v15, v15, v33, v44
	v_div_fixup_f32 v15, v15, v32, |v28|
	s_delay_alu instid0(VALU_DEP_1)
	v_cmpx_lt_f32_e32 0x3f244674, v15
	s_cbranch_execz .LBB43_656
; %bb.635:                              ;   in Loop: Header=BB43_401 Depth=1
	v_cmp_neq_f32_e64 s7, |v28|, 1.0
	v_cmp_ngt_f32_e64 s8, 0x30800000, |v29|
	s_or_b32 s7, s8, s7
	s_delay_alu instid0(SALU_CYCLE_1) | instskip(NEXT) | instid1(SALU_CYCLE_1)
	s_and_saveexec_b32 s8, s7
	s_xor_b32 s8, exec_lo, s8
	s_cbranch_execz .LBB43_653
; %bb.636:                              ;   in Loop: Header=BB43_401 Depth=1
	v_mul_f32_e64 v33, 0x34000000, |v39|
	s_mov_b32 s34, exec_lo
	s_delay_alu instid0(VALU_DEP_1)
	v_cmpx_ge_f32_e64 |v29|, v33
	s_xor_b32 s34, exec_lo, s34
	s_cbranch_execz .LBB43_646
; %bb.637:                              ;   in Loop: Header=BB43_401 Depth=1
	v_mov_b32_e32 v33, v42
	s_mov_b32 s7, exec_lo
	v_cmpx_neq_f32_e32 0, v40
	s_cbranch_execz .LBB43_639
; %bb.638:                              ;   in Loop: Header=BB43_401 Depth=1
	v_dual_mul_f32 v33, v29, v29 :: v_dual_add_f32 v35, v40, v43
	s_delay_alu instid0(VALU_DEP_1) | instskip(NEXT) | instid1(VALU_DEP_1)
	v_div_scale_f32 v40, null, v35, v35, v33
	v_rcp_f32_e32 v43, v40
	v_nop
	s_delay_alu instid0(TRANS32_DEP_1) | instskip(NEXT) | instid1(VALU_DEP_1)
	v_fma_f32 v44, -v40, v43, 1.0
	v_fmac_f32_e32 v43, v44, v43
	v_div_scale_f32 v44, vcc_lo, v33, v35, v33
	s_delay_alu instid0(VALU_DEP_1) | instskip(NEXT) | instid1(VALU_DEP_1)
	v_mul_f32_e32 v45, v44, v43
	v_fma_f32 v46, -v40, v45, v44
	s_delay_alu instid0(VALU_DEP_1) | instskip(NEXT) | instid1(VALU_DEP_1)
	v_fmac_f32_e32 v45, v46, v43
	v_fma_f32 v40, -v40, v45, v44
	s_delay_alu instid0(VALU_DEP_1) | instskip(NEXT) | instid1(VALU_DEP_1)
	v_div_fmas_f32 v40, v40, v43, v45
	v_div_fixup_f32 v33, v40, v35, v33
.LBB43_639:                             ;   in Loop: Header=BB43_401 Depth=1
	s_or_b32 exec_lo, exec_lo, s7
	s_delay_alu instid0(SALU_CYCLE_1)
	s_mov_b32 s7, exec_lo
	v_cmpx_ngt_f32_e32 0, v39
	s_xor_b32 s7, exec_lo, s7
	s_cbranch_execz .LBB43_643
; %bb.640:                              ;   in Loop: Header=BB43_401 Depth=1
	s_mov_b32 s35, exec_lo
	v_cmpx_neq_f32_e32 0, v39
	s_cbranch_execz .LBB43_642
; %bb.641:                              ;   in Loop: Header=BB43_401 Depth=1
	v_mul_f32_e32 v29, v29, v29
	v_add_f32_e32 v35, v39, v41
	s_delay_alu instid0(VALU_DEP_1) | instskip(NEXT) | instid1(VALU_DEP_1)
	v_div_scale_f32 v39, null, v35, v35, v29
	v_rcp_f32_e32 v40, v39
	v_nop
	s_delay_alu instid0(TRANS32_DEP_1) | instskip(NEXT) | instid1(VALU_DEP_1)
	v_fma_f32 v41, -v39, v40, 1.0
	v_fmac_f32_e32 v40, v41, v40
	v_div_scale_f32 v41, vcc_lo, v29, v35, v29
	s_delay_alu instid0(VALU_DEP_1) | instskip(NEXT) | instid1(VALU_DEP_1)
	v_mul_f32_e32 v42, v41, v40
	v_fma_f32 v43, -v39, v42, v41
	s_delay_alu instid0(VALU_DEP_1) | instskip(NEXT) | instid1(VALU_DEP_1)
	v_fmac_f32_e32 v42, v43, v40
	v_fma_f32 v39, -v39, v42, v41
	s_delay_alu instid0(VALU_DEP_1) | instskip(NEXT) | instid1(VALU_DEP_1)
	v_div_fmas_f32 v39, v39, v40, v42
	v_div_fixup_f32 v42, v39, v35, v29
.LBB43_642:                             ;   in Loop: Header=BB43_401 Depth=1
	s_or_b32 exec_lo, exec_lo, s35
                                        ; implicit-def: $vgpr41
                                        ; implicit-def: $vgpr39
.LBB43_643:                             ;   in Loop: Header=BB43_401 Depth=1
	s_and_not1_saveexec_b32 s7, s7
; %bb.644:                              ;   in Loop: Header=BB43_401 Depth=1
	v_sub_f32_e32 v42, v41, v39
; %bb.645:                              ;   in Loop: Header=BB43_401 Depth=1
	s_or_b32 exec_lo, exec_lo, s7
	s_delay_alu instid0(VALU_DEP_1) | instskip(SKIP_1) | instid1(VALU_DEP_1)
	v_dual_mul_f32 v29, 0.5, v33 :: v_dual_mul_f32 v33, 0.5, v42
	v_and_b32_e32 v28, 0x7fffffff, v28
                                        ; implicit-def: $vgpr40
	v_pk_add_f32 v[28:29], v[28:29], v[32:33]
	s_delay_alu instid0(VALU_DEP_1) | instskip(NEXT) | instid1(VALU_DEP_1)
	v_mul_f32_e32 v28, v28, v29
	v_mul_f32_e32 v29, 0x4f800000, v28
	v_cmp_gt_f32_e32 vcc_lo, 0xf800000, v28
	s_delay_alu instid0(VALU_DEP_2) | instskip(NEXT) | instid1(VALU_DEP_1)
	v_cndmask_b32_e32 v28, v28, v29, vcc_lo
	v_sqrt_f32_e32 v29, v28
	v_nop
	s_delay_alu instid0(TRANS32_DEP_1) | instskip(NEXT) | instid1(VALU_DEP_1)
	v_dual_add_nc_u32 v32, -1, v29 :: v_dual_add_nc_u32 v33, 1, v29
	v_dual_fma_f32 v35, -v32, v29, v28 :: v_dual_fma_f32 v39, -v33, v29, v28
	s_delay_alu instid0(VALU_DEP_1) | instskip(NEXT) | instid1(VALU_DEP_1)
	v_cmp_ge_f32_e64 s7, 0, v35
	v_cndmask_b32_e64 v29, v29, v32, s7
	s_delay_alu instid0(VALU_DEP_3) | instskip(NEXT) | instid1(VALU_DEP_1)
	v_cmp_lt_f32_e64 s7, 0, v39
                                        ; implicit-def: $vgpr39
	v_cndmask_b32_e64 v29, v29, v33, s7
	s_delay_alu instid0(VALU_DEP_1) | instskip(NEXT) | instid1(VALU_DEP_1)
	v_mul_f32_e32 v32, 0x37800000, v29
	v_cndmask_b32_e32 v29, v29, v32, vcc_lo
	v_cmp_class_f32_e64 vcc_lo, v28, 0x260
	s_delay_alu instid0(VALU_DEP_2)
	v_cndmask_b32_e32 v35, v29, v28, vcc_lo
                                        ; implicit-def: $vgpr29
.LBB43_646:                             ;   in Loop: Header=BB43_401 Depth=1
	s_and_not1_saveexec_b32 s34, s34
	s_cbranch_execz .LBB43_652
; %bb.647:                              ;   in Loop: Header=BB43_401 Depth=1
	s_mov_b32 s35, exec_lo
	v_cmpx_ngt_f32_e64 |v28|, 1.0
	s_xor_b32 s35, exec_lo, s35
	s_cbranch_execz .LBB43_649
; %bb.648:                              ;   in Loop: Header=BB43_401 Depth=1
	v_sub_f32_e64 v28, 1.0, |v28|
	s_delay_alu instid0(VALU_DEP_1) | instskip(NEXT) | instid1(VALU_DEP_1)
	v_mul_f32_e32 v28, v28, v40
                                        ; implicit-def: $vgpr40
	v_mul_f32_e32 v29, 0x4f800000, v28
	v_cmp_gt_f32_e32 vcc_lo, 0xf800000, v28
	s_delay_alu instid0(VALU_DEP_2) | instskip(NEXT) | instid1(VALU_DEP_1)
	v_cndmask_b32_e32 v28, v28, v29, vcc_lo
	v_sqrt_f32_e32 v29, v28
	v_nop
	s_delay_alu instid0(TRANS32_DEP_1) | instskip(NEXT) | instid1(VALU_DEP_1)
	v_dual_add_nc_u32 v32, -1, v29 :: v_dual_add_nc_u32 v33, 1, v29
	v_dual_fma_f32 v35, -v32, v29, v28 :: v_dual_fma_f32 v39, -v33, v29, v28
	s_delay_alu instid0(VALU_DEP_1) | instskip(NEXT) | instid1(VALU_DEP_1)
	v_cmp_ge_f32_e64 s7, 0, v35
	v_cndmask_b32_e64 v29, v29, v32, s7
	s_delay_alu instid0(VALU_DEP_3) | instskip(NEXT) | instid1(VALU_DEP_1)
	v_cmp_lt_f32_e64 s7, 0, v39
                                        ; implicit-def: $vgpr39
	v_cndmask_b32_e64 v29, v29, v33, s7
	s_delay_alu instid0(VALU_DEP_1) | instskip(NEXT) | instid1(VALU_DEP_1)
	v_mul_f32_e32 v32, 0x37800000, v29
	v_cndmask_b32_e32 v29, v29, v32, vcc_lo
	v_cmp_class_f32_e64 vcc_lo, v28, 0x260
	s_delay_alu instid0(VALU_DEP_2)
	v_cndmask_b32_e32 v35, v29, v28, vcc_lo
                                        ; implicit-def: $vgpr29
.LBB43_649:                             ;   in Loop: Header=BB43_401 Depth=1
	s_and_not1_saveexec_b32 s35, s35
	s_cbranch_execz .LBB43_651
; %bb.650:                              ;   in Loop: Header=BB43_401 Depth=1
	v_mul_f32_e32 v32, v40, v39
	v_mul_f32_e64 v29, 0x57800000, |v29|
	s_delay_alu instid0(VALU_DEP_2) | instskip(SKIP_1) | instid1(VALU_DEP_3)
	v_mul_f32_e32 v33, 0x4f800000, v32
	v_cmp_gt_f32_e32 vcc_lo, 0xf800000, v32
	v_mul_f32_e64 v29, |v28|, v29
	s_delay_alu instid0(VALU_DEP_3) | instskip(NEXT) | instid1(VALU_DEP_1)
	v_cndmask_b32_e32 v32, v32, v33, vcc_lo
	v_sqrt_f32_e32 v33, v32
	v_nop
	s_delay_alu instid0(TRANS32_DEP_1) | instskip(NEXT) | instid1(VALU_DEP_1)
	v_dual_add_nc_u32 v34, -1, v33 :: v_dual_add_nc_u32 v35, 1, v33
	v_dual_fma_f32 v39, -v34, v33, v32 :: v_dual_fma_f32 v40, -v35, v33, v32
	s_delay_alu instid0(VALU_DEP_1) | instskip(NEXT) | instid1(VALU_DEP_1)
	v_cmp_ge_f32_e64 s7, 0, v39
	v_cndmask_b32_e64 v33, v33, v34, s7
	s_delay_alu instid0(VALU_DEP_3) | instskip(NEXT) | instid1(VALU_DEP_1)
	v_cmp_lt_f32_e64 s7, 0, v40
	v_cndmask_b32_e64 v33, v33, v35, s7
	s_delay_alu instid0(VALU_DEP_1) | instskip(NEXT) | instid1(VALU_DEP_1)
	v_mul_f32_e32 v34, 0x37800000, v33
	v_cndmask_b32_e32 v33, v33, v34, vcc_lo
	v_cmp_class_f32_e64 vcc_lo, v32, 0x260
	s_delay_alu instid0(VALU_DEP_2) | instskip(NEXT) | instid1(VALU_DEP_1)
	v_cndmask_b32_e32 v32, v33, v32, vcc_lo
	v_div_scale_f32 v33, null, v32, v32, v29
	v_div_scale_f32 v39, vcc_lo, v29, v32, v29
	s_delay_alu instid0(VALU_DEP_2) | instskip(SKIP_1) | instid1(TRANS32_DEP_1)
	v_rcp_f32_e32 v34, v33
	v_nop
	v_fma_f32 v35, -v33, v34, 1.0
	s_delay_alu instid0(VALU_DEP_1) | instskip(NEXT) | instid1(VALU_DEP_1)
	v_fmac_f32_e32 v34, v35, v34
	v_mul_f32_e32 v35, v39, v34
	s_delay_alu instid0(VALU_DEP_1) | instskip(NEXT) | instid1(VALU_DEP_1)
	v_fma_f32 v40, -v33, v35, v39
	v_fmac_f32_e32 v35, v40, v34
	s_delay_alu instid0(VALU_DEP_1) | instskip(NEXT) | instid1(VALU_DEP_1)
	v_fma_f32 v33, -v33, v35, v39
	v_div_fmas_f32 v33, v33, v34, v35
	v_mul_f32_e64 v34, 0x57800000, |v28|
	s_delay_alu instid0(VALU_DEP_2)
	v_div_fixup_f32 v35, v33, v32, v29
.LBB43_651:                             ;   in Loop: Header=BB43_401 Depth=1
	s_or_b32 exec_lo, exec_lo, s35
.LBB43_652:                             ;   in Loop: Header=BB43_401 Depth=1
	s_delay_alu instid0(SALU_CYCLE_1)
	s_or_b32 exec_lo, exec_lo, s34
                                        ; implicit-def: $vgpr29
                                        ; implicit-def: $vgpr32
.LBB43_653:                             ;   in Loop: Header=BB43_401 Depth=1
	s_and_not1_saveexec_b32 s34, s8
	s_cbranch_execz .LBB43_655
; %bb.654:                              ;   in Loop: Header=BB43_401 Depth=1
	v_add_f32_e32 v28, 1.0, v32
	v_mul_f32_e64 v32, 0x4f800000, |v29|
	v_cmp_gt_f32_e64 vcc_lo, 0xf800000, |v29|
	s_delay_alu instid0(VALU_DEP_1) | instskip(NEXT) | instid1(VALU_DEP_1)
	v_cndmask_b32_e64 v29, |v29|, v32, vcc_lo
	v_sqrt_f32_e32 v32, v29
	v_nop
	s_delay_alu instid0(TRANS32_DEP_1) | instskip(SKIP_2) | instid1(VALU_DEP_2)
	v_add_nc_u32_e32 v34, -1, v32
	v_mul_f32_e32 v28, 0.5, v28
	v_add_nc_u32_e32 v39, 1, v32
	v_mul_f32_e32 v33, 0x4f800000, v28
	v_cmp_gt_f32_e64 s7, 0xf800000, v28
	s_delay_alu instid0(VALU_DEP_1) | instskip(NEXT) | instid1(VALU_DEP_1)
	v_cndmask_b32_e64 v28, v28, v33, s7
	v_sqrt_f32_e32 v33, v28
	v_nop
	s_delay_alu instid0(TRANS32_DEP_1) | instskip(SKIP_1) | instid1(VALU_DEP_2)
	v_dual_fma_f32 v40, -v34, v32, v29 :: v_dual_add_nc_u32 v41, 1, v33
	v_add_nc_u32_e32 v35, -1, v33
	v_cmp_ge_f32_e64 s8, 0, v40
	v_fma_f32 v43, -v39, v32, v29
	s_delay_alu instid0(VALU_DEP_2) | instskip(SKIP_1) | instid1(VALU_DEP_2)
	v_dual_fma_f32 v42, -v35, v33, v28 :: v_dual_cndmask_b32 v32, v32, v34, s8
	v_fma_f32 v34, -v41, v33, v28
	v_cmp_ge_f32_e64 s8, 0, v42
	s_delay_alu instid0(VALU_DEP_1) | instskip(SKIP_1) | instid1(VALU_DEP_1)
	v_cndmask_b32_e64 v33, v33, v35, s8
	v_cmp_lt_f32_e64 s8, 0, v43
	v_cndmask_b32_e64 v32, v32, v39, s8
	v_cmp_lt_f32_e64 s8, 0, v34
	s_delay_alu instid0(VALU_DEP_2) | instskip(NEXT) | instid1(VALU_DEP_1)
	v_mul_f32_e32 v34, 0x37800000, v32
	v_cndmask_b32_e32 v32, v32, v34, vcc_lo
	v_cmp_class_f32_e64 vcc_lo, v29, 0x260
	s_delay_alu instid0(VALU_DEP_2) | instskip(SKIP_2) | instid1(VALU_DEP_2)
	v_dual_mov_b32 v34, 1.0 :: v_dual_cndmask_b32 v29, v32, v29
	v_cndmask_b32_e64 v33, v33, v41, s8
	v_cmp_class_f32_e64 vcc_lo, v28, 0x260
	v_mul_f32_e32 v35, 0x37800000, v33
	s_delay_alu instid0(VALU_DEP_1) | instskip(NEXT) | instid1(VALU_DEP_1)
	v_cndmask_b32_e64 v33, v33, v35, s7
	v_cndmask_b32_e32 v28, v33, v28, vcc_lo
	s_delay_alu instid0(VALU_DEP_1)
	v_mul_f32_e32 v35, v29, v28
.LBB43_655:                             ;   in Loop: Header=BB43_401 Depth=1
	s_or_b32 exec_lo, exec_lo, s34
	s_delay_alu instid0(SALU_CYCLE_1)
	s_mov_b32 s7, exec_lo
.LBB43_656:                             ;   in Loop: Header=BB43_401 Depth=1
	s_or_b32 exec_lo, exec_lo, s33
                                        ; implicit-def: $vgpr28
                                        ; implicit-def: $vgpr32
.LBB43_657:                             ;   in Loop: Header=BB43_401 Depth=1
	s_and_not1_saveexec_b32 s8, s31
; %bb.658:                              ;   in Loop: Header=BB43_401 Depth=1
	v_and_b32_e32 v28, 0x7fffffff, v28
	v_mov_b32_e32 v29, v32
	s_or_b32 s7, s7, exec_lo
                                        ; implicit-def: $vgpr15
	s_delay_alu instid0(VALU_DEP_1)
	v_pk_mul_f32 v[34:35], v[28:29], s[24:25] op_sel_hi:[1,0]
; %bb.659:                              ;   in Loop: Header=BB43_401 Depth=1
	s_or_b32 exec_lo, exec_lo, s8
	s_xor_b32 s7, s7, -1
                                        ; implicit-def: $vgpr32
	s_delay_alu instid0(SALU_CYCLE_1) | instskip(NEXT) | instid1(SALU_CYCLE_1)
	s_and_saveexec_b32 s8, s7
	s_xor_b32 s8, exec_lo, s8
	s_cbranch_execz .LBB43_665
; %bb.660:                              ;   in Loop: Header=BB43_401 Depth=1
                                        ; implicit-def: $vgpr32
	s_and_saveexec_b32 s7, s6
	s_delay_alu instid0(SALU_CYCLE_1)
	s_xor_b32 s7, exec_lo, s7
	s_cbranch_execz .LBB43_662
; %bb.661:                              ;   in Loop: Header=BB43_401 Depth=1
	v_fma_f32 v28, |v15|, -0.5, 0.5
	v_mul_f32_e32 v29, v15, v15
	v_cmp_gt_f32_e64 vcc_lo, |v15|, 0.5
	s_delay_alu instid0(VALU_DEP_2) | instskip(NEXT) | instid1(VALU_DEP_1)
	v_cndmask_b32_e32 v28, v29, v28, vcc_lo
	v_fmaak_f32 v29, s25, v28, 0x3c5fc5da
	v_sqrt_f32_e32 v32, v28
	s_delay_alu instid0(VALU_DEP_1) | instskip(NEXT) | instid1(VALU_DEP_1)
	v_fmaak_f32 v29, v28, v29, 0x3d034c3c
	v_fmaak_f32 v29, v28, v29, 0x3d3641b1
	s_delay_alu instid0(VALU_DEP_1) | instskip(NEXT) | instid1(VALU_DEP_1)
	v_fmaak_f32 v29, v28, v29, 0x3d999bc8
	v_fmaak_f32 v29, v28, v29, 0x3e2aaaac
	s_delay_alu instid0(VALU_DEP_1)
	v_mul_f32_e32 v28, v28, v29
	s_delay_alu instid0(TRANS32_DEP_1) | instid1(VALU_DEP_1)
	v_dual_fmac_f32 v32, v32, v28 :: v_dual_fmac_f32 v15, v15, v28
	s_delay_alu instid0(VALU_DEP_1) | instskip(NEXT) | instid1(VALU_DEP_1)
	v_dual_add_f32 v28, v32, v32 :: v_dual_sub_f32 v15, 0x3fc90fdb, v15
	v_cndmask_b32_e32 v32, v15, v28, vcc_lo
                                        ; implicit-def: $vgpr15
.LBB43_662:                             ;   in Loop: Header=BB43_401 Depth=1
	s_and_not1_saveexec_b32 s31, s7
	s_cbranch_execz .LBB43_664
; %bb.663:                              ;   in Loop: Header=BB43_401 Depth=1
	v_fma_f32 v28, |v15|, -0.5, 0.5
	v_mul_f32_e32 v29, v15, v15
	v_cmp_gt_f32_e64 vcc_lo, |v15|, 0.5
	v_cmp_lt_f32_e64 s7, 0, v15
	s_delay_alu instid0(VALU_DEP_3) | instskip(NEXT) | instid1(VALU_DEP_1)
	v_cndmask_b32_e32 v28, v29, v28, vcc_lo
	v_fmaak_f32 v29, s25, v28, 0x3c5fc5da
	v_sqrt_f32_e32 v32, v28
	s_delay_alu instid0(VALU_DEP_1) | instskip(NEXT) | instid1(VALU_DEP_1)
	v_fmaak_f32 v29, v28, v29, 0x3d034c3c
	v_fmaak_f32 v29, v28, v29, 0x3d3641b1
	s_delay_alu instid0(VALU_DEP_1) | instskip(NEXT) | instid1(VALU_DEP_1)
	v_fmaak_f32 v29, v28, v29, 0x3d999bc8
	v_fmaak_f32 v29, v28, v29, 0x3e2aaaac
	s_delay_alu instid0(VALU_DEP_1)
	v_mul_f32_e32 v28, v28, v29
	s_delay_alu instid0(TRANS32_DEP_1) | instid1(VALU_DEP_1)
	v_dual_fmac_f32 v32, v32, v28 :: v_dual_fma_f32 v28, -v15, v28, -v15
	s_delay_alu instid0(VALU_DEP_1) | instskip(NEXT) | instid1(VALU_DEP_2)
	v_add_f32_e32 v29, v32, v32
	v_sub_f32_e32 v28, 0x3fc90fdb, v28
	s_delay_alu instid0(VALU_DEP_2) | instskip(NEXT) | instid1(VALU_DEP_1)
	v_sub_f32_e32 v32, 0x40490fdb, v29
	v_cndmask_b32_e64 v15, v29, v32, s7
	s_delay_alu instid0(VALU_DEP_1)
	v_cndmask_b32_e32 v32, v28, v15, vcc_lo
.LBB43_664:                             ;   in Loop: Header=BB43_401 Depth=1
	s_or_b32 exec_lo, exec_lo, s31
                                        ; implicit-def: $vgpr34
.LBB43_665:                             ;   in Loop: Header=BB43_401 Depth=1
	s_and_not1_saveexec_b32 s7, s8
	s_cbranch_execz .LBB43_671
; %bb.666:                              ;   in Loop: Header=BB43_401 Depth=1
	v_max_num_f32_e64 v15, |v35|, |v35|
	v_max_num_f32_e32 v28, v34, v34
	v_cmp_gt_f32_e64 vcc_lo, |v35|, v34
	s_delay_alu instid0(VALU_DEP_2) | instskip(NEXT) | instid1(VALU_DEP_1)
	v_dual_max_num_f32 v29, v28, v15 :: v_dual_min_num_f32 v15, v28, v15
	v_frexp_mant_f32_e32 v32, v29
	v_frexp_exp_i32_f32_e32 v29, v29
	s_delay_alu instid0(VALU_DEP_2)
	v_rcp_f32_e32 v28, v32
	v_nop
	v_frexp_mant_f32_e32 v32, v15
	v_frexp_exp_i32_f32_e32 v15, v15
	s_delay_alu instid0(TRANS32_DEP_1) | instid1(VALU_DEP_1)
	v_dual_mul_f32 v28, v32, v28 :: v_dual_sub_nc_u32 v15, v15, v29
                                        ; implicit-def: $vgpr32
	s_delay_alu instid0(VALU_DEP_1) | instskip(NEXT) | instid1(VALU_DEP_1)
	v_ldexp_f32 v15, v28, v15
	v_mul_f32_e32 v28, v15, v15
	s_delay_alu instid0(VALU_DEP_1) | instskip(NEXT) | instid1(VALU_DEP_1)
	v_fmaak_f32 v29, s26, v28, 0xbc7a590c
	v_fmaak_f32 v29, v28, v29, 0x3d29fb3f
	s_delay_alu instid0(VALU_DEP_1) | instskip(NEXT) | instid1(VALU_DEP_1)
	v_fmaak_f32 v29, v28, v29, 0xbd97d4d7
	v_fmaak_f32 v29, v28, v29, 0x3dd931b2
	s_delay_alu instid0(VALU_DEP_1) | instskip(NEXT) | instid1(VALU_DEP_1)
	v_fmaak_f32 v29, v28, v29, 0xbe1160e6
	v_fmaak_f32 v29, v28, v29, 0x3e4cb8bf
	s_delay_alu instid0(VALU_DEP_1) | instskip(NEXT) | instid1(VALU_DEP_1)
	v_fmaak_f32 v29, v28, v29, 0xbeaaaa62
	v_mul_f32_e32 v28, v28, v29
	s_delay_alu instid0(VALU_DEP_1) | instskip(NEXT) | instid1(VALU_DEP_1)
	v_fmac_f32_e32 v15, v15, v28
	v_sub_f32_e32 v28, 0x3fc90fdb, v15
	s_delay_alu instid0(VALU_DEP_1) | instskip(SKIP_1) | instid1(SALU_CYCLE_1)
	v_cndmask_b32_e32 v15, v15, v28, vcc_lo
	s_and_saveexec_b32 s8, s6
	s_xor_b32 s8, exec_lo, s8
	s_cbranch_execz .LBB43_668
; %bb.667:                              ;   in Loop: Header=BB43_401 Depth=1
	v_cmp_neq_f32_e64 s6, 0, v35
	v_cmp_eq_f32_e32 vcc_lo, 0x7f800000, v34
	v_cmp_class_f32_e64 s31, v35, 0x204
	s_delay_alu instid0(VALU_DEP_3) | instskip(SKIP_2) | instid1(VALU_DEP_2)
	v_cndmask_b32_e64 v15, 0, v15, s6
	s_and_b32 s6, vcc_lo, s31
	v_cmp_o_f32_e32 vcc_lo, v35, v35
	v_cndmask_b32_e64 v15, v15, 0x3f490fdb, s6
	s_delay_alu instid0(VALU_DEP_1) | instskip(NEXT) | instid1(VALU_DEP_1)
	v_cndmask_b32_e32 v15, 0x7fc00000, v15, vcc_lo
	v_bfi_b32 v32, 0x7fffffff, v15, v35
                                        ; implicit-def: $vgpr15
                                        ; implicit-def: $vgpr34
.LBB43_668:                             ;   in Loop: Header=BB43_401 Depth=1
	s_and_not1_saveexec_b32 s8, s8
	s_cbranch_execz .LBB43_670
; %bb.669:                              ;   in Loop: Header=BB43_401 Depth=1
	v_sub_f32_e32 v28, 0x40490fdb, v15
	v_cmp_lt_f32_e32 vcc_lo, 0, v34
	v_cmp_neq_f32_e64 s6, 0, v35
	v_cmp_class_f32_e64 s31, v35, 0x204
	s_delay_alu instid0(VALU_DEP_4) | instskip(SKIP_1) | instid1(VALU_DEP_2)
	v_cndmask_b32_e32 v15, v15, v28, vcc_lo
	v_cmp_eq_f32_e32 vcc_lo, 0x7f800000, v34
	v_cndmask_b32_e64 v15, 0x40490fdb, v15, s6
	s_and_b32 s6, vcc_lo, s31
	v_cmp_o_f32_e32 vcc_lo, v35, v35
	s_delay_alu instid0(VALU_DEP_2) | instskip(NEXT) | instid1(VALU_DEP_1)
	v_cndmask_b32_e64 v15, v15, 0x4016cbe4, s6
	v_cndmask_b32_e32 v15, 0x7fc00000, v15, vcc_lo
	s_delay_alu instid0(VALU_DEP_1)
	v_bfi_b32 v32, 0x7fffffff, v15, v35
.LBB43_670:                             ;   in Loop: Header=BB43_401 Depth=1
	s_or_b32 exec_lo, exec_lo, s8
.LBB43_671:                             ;   in Loop: Header=BB43_401 Depth=1
	s_delay_alu instid0(SALU_CYCLE_1)
	s_or_b32 exec_lo, exec_lo, s7
	v_cndmask_b32_e64 v33, -v13, v13, s4
                                        ; implicit-def: $vgpr28
.LBB43_672:                             ;   in Loop: Header=BB43_401 Depth=1
	s_and_not1_saveexec_b32 s6, s30
	s_cbranch_execz .LBB43_674
; %bb.673:                              ;   in Loop: Header=BB43_401 Depth=1
	flat_load_b32 v13, v[6:7] scope:SCOPE_SYS
	s_wait_loadcnt_dscnt 0x0
	v_sub_f32_e32 v13, v13, v28
	s_delay_alu instid0(VALU_DEP_1)
	v_add_f32_e32 v32, 0x3fc90fdb, v13
.LBB43_674:                             ;   in Loop: Header=BB43_401 Depth=1
	s_or_b32 exec_lo, exec_lo, s6
.LBB43_675:                             ;   in Loop: Header=BB43_401 Depth=1
	s_and_not1_saveexec_b32 s6, s29
; %bb.676:                              ;   in Loop: Header=BB43_401 Depth=1
	v_mov_b32_e32 v32, 0
; %bb.677:                              ;   in Loop: Header=BB43_401 Depth=1
	s_or_b32 exec_lo, exec_lo, s6
                                        ; implicit-def: $vgpr28
                                        ; implicit-def: $vgpr34
                                        ; implicit-def: $vgpr13
                                        ; implicit-def: $vgpr15
.LBB43_678:                             ;   in Loop: Header=BB43_401 Depth=1
	s_and_not1_saveexec_b32 s8, s28
	s_cbranch_execz .LBB43_688
; %bb.679:                              ;   in Loop: Header=BB43_401 Depth=1
	v_cmp_lt_f32_e64 s6, |v28|, |v29|
                                        ; implicit-def: $vgpr33
                                        ; implicit-def: $vgpr32
	s_mov_b32 s7, exec_lo
	v_cndmask_b32_e64 v35, |v28|, |v29|, s6
	s_delay_alu instid0(VALU_DEP_1)
	v_cmpx_nlt_f32_e32 0x7effffff, v35
	s_xor_b32 s28, exec_lo, s7
	s_cbranch_execz .LBB43_685
; %bb.680:                              ;   in Loop: Header=BB43_401 Depth=1
	v_cndmask_b32_e64 v39, |v29|, |v28|, s6
	v_cmp_nlt_f32_e32 vcc_lo, 0x5e000000, v35
                                        ; implicit-def: $vgpr33
                                        ; implicit-def: $vgpr32
	s_delay_alu instid0(VALU_DEP_2) | instskip(SKIP_1) | instid1(SALU_CYCLE_1)
	v_cmp_ngt_f32_e64 s7, 0x20000000, v39
	s_and_b32 s7, vcc_lo, s7
	s_and_saveexec_b32 s29, s7
	s_delay_alu instid0(SALU_CYCLE_1)
	s_xor_b32 s29, exec_lo, s29
	s_cbranch_execz .LBB43_682
; %bb.681:                              ;   in Loop: Header=BB43_401 Depth=1
	s_wait_dscnt 0x0
	v_frexp_mant_f32_e32 v32, v15
	v_dual_min_num_f32 v13, v34, v13 :: v_dual_mul_f32 v34, v39, v39
	v_frexp_exp_i32_f32_e32 v15, v15
	s_delay_alu instid0(VALU_DEP_3) | instskip(NEXT) | instid1(VALU_DEP_2)
	v_rcp_f32_e32 v32, v32
	v_frexp_exp_i32_f32_e32 v33, v13
	v_frexp_mant_f32_e32 v13, v13
	v_fmac_f32_e32 v34, v35, v35
	s_delay_alu instid0(VALU_DEP_3)
	v_sub_nc_u32_e32 v15, v33, v15
	s_delay_alu instid0(TRANS32_DEP_1) | instid1(VALU_DEP_3)
	v_mul_f32_e32 v13, v13, v32
	s_delay_alu instid0(VALU_DEP_3) | instskip(NEXT) | instid1(VALU_DEP_2)
	v_cmp_gt_f32_e32 vcc_lo, 0x800000, v34
	v_ldexp_f32 v32, v13, v15
	v_cndmask_b32_e64 v13, 0, 32, vcc_lo
	s_delay_alu instid0(VALU_DEP_1) | instskip(NEXT) | instid1(VALU_DEP_1)
	v_ldexp_f32 v13, v34, v13
	v_log_f32_e32 v13, v13
	v_nop
	s_delay_alu instid0(TRANS32_DEP_1) | instskip(SKIP_1) | instid1(VALU_DEP_2)
	v_mul_f32_e32 v34, 0x3f317217, v13
	v_cmp_gt_f32_e64 s7, 0x7f800000, |v13|
	v_fma_f32 v34, 0x3f317217, v13, -v34
	s_delay_alu instid0(VALU_DEP_1) | instskip(NEXT) | instid1(VALU_DEP_1)
	v_dual_mul_f32 v15, v32, v32 :: v_dual_fmac_f32 v34, 0x3377d1cf, v13
	v_fmaak_f32 v33, s26, v15, 0xbc7a590c
	s_delay_alu instid0(VALU_DEP_2) | instskip(NEXT) | instid1(VALU_DEP_2)
	v_fmac_f32_e32 v34, 0x3f317217, v13
	v_fmaak_f32 v33, v15, v33, 0x3d29fb3f
	s_delay_alu instid0(VALU_DEP_1) | instskip(NEXT) | instid1(VALU_DEP_1)
	v_fmaak_f32 v33, v15, v33, 0xbd97d4d7
	v_fmaak_f32 v33, v15, v33, 0x3dd931b2
	s_delay_alu instid0(VALU_DEP_1) | instskip(NEXT) | instid1(VALU_DEP_1)
	v_fmaak_f32 v33, v15, v33, 0xbe1160e6
	v_fmaak_f32 v33, v15, v33, 0x3e4cb8bf
	s_delay_alu instid0(VALU_DEP_1) | instskip(SKIP_2) | instid1(VALU_DEP_1)
	v_fmaak_f32 v33, v15, v33, 0xbeaaaa62
	v_cndmask_b32_e64 v13, v13, v34, s7
	v_cndmask_b32_e64 v34, 0, 0x41b17218, vcc_lo
	v_dual_mul_f32 v15, v15, v33 :: v_dual_sub_f32 v13, v13, v34
                                        ; implicit-def: $vgpr34
	s_delay_alu instid0(VALU_DEP_1) | instskip(NEXT) | instid1(VALU_DEP_2)
	v_fmac_f32_e32 v32, v32, v15
                                        ; implicit-def: $vgpr15
	v_mul_f32_e32 v33, 0.5, v13
                                        ; implicit-def: $vgpr13
.LBB43_682:                             ;   in Loop: Header=BB43_401 Depth=1
	s_and_not1_saveexec_b32 s7, s29
	s_cbranch_execz .LBB43_684
; %bb.683:                              ;   in Loop: Header=BB43_401 Depth=1
	s_wait_dscnt 0x0
	v_cvt_f64_f32_e32 v[32:33], v15
	v_frexp_mant_f32_e32 v39, v15
	v_min_num_f32_e32 v13, v34, v13
	v_cmp_neq_f32_e32 vcc_lo, 0x7f800000, v15
	s_delay_alu instid0(VALU_DEP_3) | instskip(SKIP_1) | instid1(VALU_DEP_3)
	v_rcp_f32_e32 v34, v39
	v_nop
	v_frexp_exp_i32_f32_e32 v39, v13
	v_frexp_mant_f32_e32 v13, v13
	s_delay_alu instid0(TRANS32_DEP_1) | instid1(VALU_DEP_1)
	v_mul_f32_e32 v13, v13, v34
	v_frexp_exp_i32_f64_e32 v32, v[32:33]
	s_delay_alu instid0(VALU_DEP_1) | instskip(NEXT) | instid1(VALU_DEP_1)
	v_sub_nc_u32_e32 v33, 0, v32
	v_ldexp_f32 v35, |v29|, v33
	s_delay_alu instid0(VALU_DEP_1) | instskip(SKIP_1) | instid1(VALU_DEP_1)
	v_mul_f32_e32 v35, v35, v35
	v_ldexp_f32 v33, |v28|, v33
	v_fmac_f32_e32 v35, v33, v33
	v_frexp_exp_i32_f32_e32 v33, v15
	s_delay_alu instid0(VALU_DEP_1) | instskip(NEXT) | instid1(VALU_DEP_3)
	v_sub_nc_u32_e32 v33, v39, v33
	v_sqrt_f32_e32 v35, v35
	v_nop
	s_delay_alu instid0(TRANS32_DEP_1) | instskip(NEXT) | instid1(VALU_DEP_3)
	v_ldexp_f32 v34, v35, v32
	v_ldexp_f32 v32, v13, v33
	s_delay_alu instid0(VALU_DEP_2) | instskip(NEXT) | instid1(VALU_DEP_2)
	v_cndmask_b32_e32 v13, 0x7f800000, v34, vcc_lo
	v_mul_f32_e32 v15, v32, v32
	s_delay_alu instid0(VALU_DEP_2) | instskip(NEXT) | instid1(VALU_DEP_2)
	v_cmp_gt_f32_e32 vcc_lo, 0x800000, v13
	v_fmaak_f32 v34, s26, v15, 0xbc7a590c
	v_cndmask_b32_e64 v33, 0, 32, vcc_lo
	v_cndmask_b32_e64 v35, 0, 0x41b17218, vcc_lo
	s_delay_alu instid0(VALU_DEP_2) | instskip(NEXT) | instid1(VALU_DEP_4)
	v_ldexp_f32 v13, v13, v33
	v_fmaak_f32 v33, v15, v34, 0x3d29fb3f
	s_delay_alu instid0(VALU_DEP_2) | instskip(NEXT) | instid1(VALU_DEP_1)
	v_log_f32_e32 v13, v13
	v_fmaak_f32 v33, v15, v33, 0xbd97d4d7
	s_delay_alu instid0(VALU_DEP_1) | instskip(NEXT) | instid1(TRANS32_DEP_1)
	v_fmaak_f32 v33, v15, v33, 0x3dd931b2
	v_mul_f32_e32 v34, 0x3f317217, v13
	v_cmp_gt_f32_e64 vcc_lo, 0x7f800000, |v13|
	s_delay_alu instid0(VALU_DEP_3) | instskip(NEXT) | instid1(VALU_DEP_3)
	v_fmaak_f32 v33, v15, v33, 0xbe1160e6
	v_fma_f32 v34, 0x3f317217, v13, -v34
	s_delay_alu instid0(VALU_DEP_2) | instskip(NEXT) | instid1(VALU_DEP_2)
	v_fmaak_f32 v33, v15, v33, 0x3e4cb8bf
	v_fmac_f32_e32 v34, 0x3377d1cf, v13
	s_delay_alu instid0(VALU_DEP_2) | instskip(NEXT) | instid1(VALU_DEP_2)
	v_fmaak_f32 v33, v15, v33, 0xbeaaaa62
	v_fmac_f32_e32 v34, 0x3f317217, v13
	s_delay_alu instid0(VALU_DEP_1) | instskip(NEXT) | instid1(VALU_DEP_1)
	v_dual_mul_f32 v15, v15, v33 :: v_dual_cndmask_b32 v13, v13, v34, vcc_lo
	v_fmac_f32_e32 v32, v32, v15
	s_delay_alu instid0(VALU_DEP_2)
	v_sub_f32_e32 v33, v13, v35
.LBB43_684:                             ;   in Loop: Header=BB43_401 Depth=1
	s_or_b32 exec_lo, exec_lo, s7
                                        ; implicit-def: $vgpr34
                                        ; implicit-def: $vgpr13
                                        ; implicit-def: $vgpr15
.LBB43_685:                             ;   in Loop: Header=BB43_401 Depth=1
	s_and_not1_saveexec_b32 s28, s28
	s_cbranch_execz .LBB43_687
; %bb.686:                              ;   in Loop: Header=BB43_401 Depth=1
	v_div_scale_f32 v32, null, 0x402df854, 0x402df854, v28
	v_div_scale_f32 v33, null, 0x402df854, 0x402df854, v29
	v_div_scale_f32 v42, vcc_lo, v28, 0x402df854, v28
	s_delay_alu instid0(VALU_DEP_3) | instskip(NEXT) | instid1(VALU_DEP_2)
	v_rcp_f32_e32 v35, v32
	v_rcp_f32_e32 v39, v33
	v_min_num_f32_e32 v13, v34, v13
	s_delay_alu instid0(TRANS32_DEP_2) | instskip(NEXT) | instid1(TRANS32_DEP_1)
	v_fma_f32 v40, -v32, v35, 1.0
	v_fma_f32 v41, -v33, v39, 1.0
	s_delay_alu instid0(VALU_DEP_2) | instskip(SKIP_1) | instid1(VALU_DEP_3)
	v_fmac_f32_e32 v35, v40, v35
	v_div_scale_f32 v40, s7, v29, 0x402df854, v29
	v_fmac_f32_e32 v39, v41, v39
	s_delay_alu instid0(VALU_DEP_3) | instskip(NEXT) | instid1(VALU_DEP_1)
	v_mul_f32_e32 v41, v42, v35
	v_fma_f32 v44, -v32, v41, v42
	s_delay_alu instid0(VALU_DEP_3) | instskip(NEXT) | instid1(VALU_DEP_2)
	v_mul_f32_e32 v43, v40, v39
	v_fmac_f32_e32 v41, v44, v35
	s_delay_alu instid0(VALU_DEP_1) | instskip(NEXT) | instid1(VALU_DEP_1)
	v_dual_fma_f32 v45, -v33, v43, v40 :: v_dual_fma_f32 v32, -v32, v41, v42
	v_fmac_f32_e32 v43, v45, v39
	s_delay_alu instid0(VALU_DEP_2) | instskip(NEXT) | instid1(VALU_DEP_2)
	v_div_fmas_f32 v32, v32, v35, v41
	v_fma_f32 v33, -v33, v43, v40
	s_mov_b32 vcc_lo, s7
	s_delay_alu instid0(VALU_DEP_2) | instskip(NEXT) | instid1(VALU_DEP_2)
	v_div_fixup_f32 v35, v32, 0x402df854, v28
	v_div_fmas_f32 v33, v33, v39, v43
	s_delay_alu instid0(VALU_DEP_1) | instskip(NEXT) | instid1(VALU_DEP_1)
	v_div_fixup_f32 v39, v33, 0x402df854, v29
	v_max_num_f32_e64 v40, |v35|, |v39|
	s_delay_alu instid0(VALU_DEP_1) | instskip(SKIP_1) | instid1(VALU_DEP_2)
	v_cvt_f64_f32_e32 v[32:33], v40
	v_cmp_neq_f32_e32 vcc_lo, 0x7f800000, v40
	v_frexp_exp_i32_f64_e32 v32, v[32:33]
	s_delay_alu instid0(VALU_DEP_1) | instskip(NEXT) | instid1(VALU_DEP_1)
	v_sub_nc_u32_e32 v33, 0, v32
	v_ldexp_f32 v39, |v39|, v33
	v_ldexp_f32 v33, |v35|, v33
	s_delay_alu instid0(VALU_DEP_2) | instskip(NEXT) | instid1(VALU_DEP_1)
	v_mul_f32_e32 v35, v39, v39
	v_fmac_f32_e32 v35, v33, v33
	s_wait_dscnt 0x0
	v_frexp_mant_f32_e32 v33, v15
	v_frexp_exp_i32_f32_e32 v15, v15
	s_delay_alu instid0(VALU_DEP_3) | instskip(NEXT) | instid1(VALU_DEP_2)
	v_sqrt_f32_e32 v34, v35
	v_rcp_f32_e32 v33, v33
	v_frexp_exp_i32_f32_e32 v35, v13
	v_frexp_mant_f32_e32 v13, v13
	s_delay_alu instid0(TRANS32_DEP_1) | instid1(VALU_DEP_1)
	v_dual_sub_nc_u32 v15, v35, v15 :: v_dual_mul_f32 v13, v13, v33
	s_delay_alu instid0(TRANS32_DEP_2) | instskip(NEXT) | instid1(VALU_DEP_1)
	v_ldexp_f32 v32, v34, v32
	v_cndmask_b32_e32 v33, 0x7f800000, v32, vcc_lo
	s_delay_alu instid0(VALU_DEP_3) | instskip(NEXT) | instid1(VALU_DEP_2)
	v_ldexp_f32 v32, v13, v15
	v_cmp_gt_f32_e32 vcc_lo, 0x800000, v33
	s_delay_alu instid0(VALU_DEP_2) | instskip(SKIP_2) | instid1(VALU_DEP_2)
	v_mul_f32_e32 v15, v32, v32
	v_cndmask_b32_e64 v13, 0, 32, vcc_lo
	v_cndmask_b32_e64 v35, 0, 0x41b17218, vcc_lo
	v_ldexp_f32 v13, v33, v13
	s_delay_alu instid0(VALU_DEP_4) | instskip(NEXT) | instid1(VALU_DEP_2)
	v_fmaak_f32 v33, s26, v15, 0xbc7a590c
	v_log_f32_e32 v13, v13
	s_delay_alu instid0(VALU_DEP_1) | instskip(NEXT) | instid1(VALU_DEP_1)
	v_fmaak_f32 v33, v15, v33, 0x3d29fb3f
	v_fmaak_f32 v33, v15, v33, 0xbd97d4d7
	s_delay_alu instid0(TRANS32_DEP_1) | instskip(SKIP_1) | instid1(VALU_DEP_3)
	v_mul_f32_e32 v34, 0x3f317217, v13
	v_cmp_gt_f32_e64 vcc_lo, 0x7f800000, |v13|
	v_fmaak_f32 v33, v15, v33, 0x3dd931b2
	s_delay_alu instid0(VALU_DEP_3) | instskip(NEXT) | instid1(VALU_DEP_2)
	v_fma_f32 v34, 0x3f317217, v13, -v34
	v_fmaak_f32 v33, v15, v33, 0xbe1160e6
	s_delay_alu instid0(VALU_DEP_2) | instskip(NEXT) | instid1(VALU_DEP_2)
	v_fmac_f32_e32 v34, 0x3377d1cf, v13
	v_fmaak_f32 v33, v15, v33, 0x3e4cb8bf
	s_delay_alu instid0(VALU_DEP_2) | instskip(NEXT) | instid1(VALU_DEP_2)
	v_fmac_f32_e32 v34, 0x3f317217, v13
	v_fmaak_f32 v33, v15, v33, 0xbeaaaa62
	s_delay_alu instid0(VALU_DEP_1) | instskip(NEXT) | instid1(VALU_DEP_1)
	v_dual_cndmask_b32 v13, v13, v34, vcc_lo :: v_dual_mul_f32 v15, v15, v33
	v_sub_f32_e32 v13, v13, v35
	s_delay_alu instid0(VALU_DEP_1)
	v_dual_fmac_f32 v32, v32, v15 :: v_dual_add_f32 v33, 1.0, v13
.LBB43_687:                             ;   in Loop: Header=BB43_401 Depth=1
	s_or_b32 exec_lo, exec_lo, s28
	s_delay_alu instid0(VALU_DEP_1) | instskip(SKIP_1) | instid1(VALU_DEP_2)
	v_sub_f32_e32 v13, 0x3fc90fdb, v32
	v_cmp_gt_f32_e32 vcc_lo, 0, v28
	v_cndmask_b32_e64 v13, v32, v13, s6
	v_cndmask_b32_e64 v32, 0, 0x40490fdb, s5
	v_cmp_class_f32_e64 s5, v28, 0x204
	v_cmp_class_f32_e64 s6, v29, 0x204
	v_add_f32_e32 v28, 0x3f317218, v33
	s_wait_dscnt 0x0
	v_sub_f32_e32 v15, 0x40490fdb, v13
	s_delay_alu instid0(VALU_DEP_1) | instskip(SKIP_2) | instid1(VALU_DEP_3)
	v_dual_cndmask_b32 v33, -v28, v28, s4 :: v_dual_cndmask_b32 v13, v13, v15, vcc_lo
	v_cndmask_b32_e32 v15, 0x3f490fdb, v38, vcc_lo
	v_cmp_eq_f32_e32 vcc_lo, 0, v29
	v_cndmask_b32_e64 v13, |v13|, v32, vcc_lo
	s_and_b32 vcc_lo, s6, s5
	s_delay_alu instid0(VALU_DEP_1)
	v_cndmask_b32_e32 v32, v13, v15, vcc_lo
.LBB43_688:                             ;   in Loop: Header=BB43_401 Depth=1
	s_or_b32 exec_lo, exec_lo, s8
                                        ; implicit-def: $vgpr29
.LBB43_689:                             ;   in Loop: Header=BB43_401 Depth=1
	s_and_not1_saveexec_b32 s4, s27
	s_cbranch_execz .LBB43_703
; %bb.690:                              ;   in Loop: Header=BB43_401 Depth=1
	v_cmp_neq_f32_e64 s5, 0x7f800000, |v28|
                                        ; implicit-def: $vgpr33
	s_and_saveexec_b32 s6, s5
	s_delay_alu instid0(SALU_CYCLE_1)
	s_xor_b32 s5, exec_lo, s6
	s_cbranch_execz .LBB43_700
; %bb.691:                              ;   in Loop: Header=BB43_401 Depth=1
	v_cmp_neq_f32_e64 s6, 0x7f800000, |v29|
	v_xor_b32_e32 v33, 0x80000000, v29
	s_and_saveexec_b32 s7, s6
	s_delay_alu instid0(SALU_CYCLE_1)
	s_xor_b32 s6, exec_lo, s7
	s_cbranch_execz .LBB43_697
; %bb.692:                              ;   in Loop: Header=BB43_401 Depth=1
	s_mov_b32 s7, exec_lo
                                        ; implicit-def: $vgpr33
	v_cmpx_neq_f32_e32 0, v28
	s_xor_b32 s7, exec_lo, s7
; %bb.693:                              ;   in Loop: Header=BB43_401 Depth=1
	v_add_f32_e32 v13, 0, v29
                                        ; implicit-def: $vgpr29
	s_delay_alu instid0(VALU_DEP_1)
	v_add_f32_e32 v33, v13, v28
; %bb.694:                              ;   in Loop: Header=BB43_401 Depth=1
	s_or_saveexec_b32 s7, s7
	s_delay_alu instid0(VALU_DEP_1)
	v_mov_b32_e32 v32, v33
	s_xor_b32 exec_lo, exec_lo, s7
	s_cbranch_execz .LBB43_696
; %bb.695:                              ;   in Loop: Header=BB43_401 Depth=1
	flat_load_b32 v13, v[6:7] scope:SCOPE_SYS
	s_wait_loadcnt 0x0
	v_add_f32_e32 v33, v29, v29
	s_wait_dscnt 0x0
	v_add_f32_e32 v32, 0x3fc90fdb, v13
.LBB43_696:                             ;   in Loop: Header=BB43_401 Depth=1
	s_wait_xcnt 0x0
	s_or_b32 exec_lo, exec_lo, s7
                                        ; implicit-def: $vgpr28
.LBB43_697:                             ;   in Loop: Header=BB43_401 Depth=1
	s_and_not1_saveexec_b32 s6, s6
; %bb.698:                              ;   in Loop: Header=BB43_401 Depth=1
	v_add_f32_e32 v32, v28, v28
; %bb.699:                              ;   in Loop: Header=BB43_401 Depth=1
	s_or_b32 exec_lo, exec_lo, s6
                                        ; implicit-def: $vgpr29
.LBB43_700:                             ;   in Loop: Header=BB43_401 Depth=1
	s_and_not1_saveexec_b32 s5, s5
; %bb.701:                              ;   in Loop: Header=BB43_401 Depth=1
	v_dual_add_f32 v32, v29, v29 :: v_dual_mov_b32 v33, 0xff800000
; %bb.702:                              ;   in Loop: Header=BB43_401 Depth=1
	s_or_b32 exec_lo, exec_lo, s5
.LBB43_703:                             ;   in Loop: Header=BB43_401 Depth=1
	s_delay_alu instid0(SALU_CYCLE_1)
	s_or_b32 exec_lo, exec_lo, s4
	flat_store_b32 v[6:7], v36 scope:SCOPE_SYS
	s_wait_storecnt 0x0
                                        ; implicit-def: $vgpr29
	s_mov_b32 s4, exec_lo
	s_wait_xcnt 0x0
	v_cmpx_o_f32_e32 v24, v25
	s_xor_b32 s27, exec_lo, s4
	s_cbranch_execnz .LBB43_709
; %bb.704:                              ;   in Loop: Header=BB43_401 Depth=1
	s_and_not1_saveexec_b32 s4, s27
	s_cbranch_execnz .LBB43_792
.LBB43_705:                             ;   in Loop: Header=BB43_401 Depth=1
	s_or_b32 exec_lo, exec_lo, s4
	s_and_saveexec_b32 s4, s0
	s_delay_alu instid0(SALU_CYCLE_1)
	s_xor_b32 s0, exec_lo, s4
	s_cbranch_execnz .LBB43_805
.LBB43_706:                             ;   in Loop: Header=BB43_401 Depth=1
	s_or_b32 exec_lo, exec_lo, s0
	s_and_saveexec_b32 s0, s1
	s_cbranch_execnz .LBB43_806
.LBB43_707:                             ;   in Loop: Header=BB43_401 Depth=1
	s_or_b32 exec_lo, exec_lo, s0
	s_and_saveexec_b32 s0, s2
	s_cbranch_execnz .LBB43_807
.LBB43_708:                             ;   in Loop: Header=BB43_401 Depth=1
	s_or_b32 exec_lo, exec_lo, s0
	s_and_saveexec_b32 s0, s3
	s_cbranch_execz .LBB43_400
	s_branch .LBB43_808
.LBB43_709:                             ;   in Loop: Header=BB43_401 Depth=1
	v_max_num_f32_e64 v34, |v24|, |v24|
	v_max_num_f32_e64 v13, |v25|, |v25|
	v_cmp_gt_i32_e64 s5, 0, v24
	v_cmp_lt_i32_e64 s6, -1, v24
	v_cmp_gt_i32_e64 s4, 0, v25
                                        ; implicit-def: $vgpr29
	s_mov_b32 s7, exec_lo
	s_wait_dscnt 0x1
	v_max_num_f32_e32 v15, v13, v34
	s_delay_alu instid0(VALU_DEP_1)
	v_cmpx_nlt_f32_e32 0x4b000000, v15
	s_xor_b32 s28, exec_lo, s7
	s_cbranch_execz .LBB43_781
; %bb.710:                              ;   in Loop: Header=BB43_401 Depth=1
	v_cmp_neq_f32_e32 vcc_lo, 1.0, v24
	v_cmp_neq_f32_e64 s7, 0, v25
	v_xor_b32_e32 v29, 0x80000000, v25
	s_or_b32 s7, s7, vcc_lo
	s_delay_alu instid0(SALU_CYCLE_1) | instskip(NEXT) | instid1(SALU_CYCLE_1)
	s_and_saveexec_b32 s8, s7
	s_xor_b32 s29, exec_lo, s8
	s_cbranch_execz .LBB43_778
; %bb.711:                              ;   in Loop: Header=BB43_401 Depth=1
	flat_store_b32 v[8:9], v37 scope:SCOPE_SYS
	s_wait_storecnt 0x0
	flat_load_b32 v15, v[8:9] scope:SCOPE_SYS
	s_wait_loadcnt 0x0
	v_cmp_ngt_f32_e64 s7, 0x395db3d7, |v24|
	v_cmp_ngt_f32_e64 s8, 0x395db3d7, |v25|
	v_xor_b32_e32 v29, 0x80000000, v25
	s_or_b32 s7, s8, s7
	s_wait_dscnt 0x0
	v_add_f32_e32 v15, 1.0, v15
	flat_store_b32 v[10:11], v15 scope:SCOPE_SYS
	s_wait_storecnt 0x0
	flat_load_b32 v15, v[10:11] scope:SCOPE_SYS
	s_wait_loadcnt 0x0
	s_wait_xcnt 0x0
	s_and_saveexec_b32 s8, s7
	s_delay_alu instid0(SALU_CYCLE_1)
	s_xor_b32 s30, exec_lo, s8
	s_cbranch_execz .LBB43_775
; %bb.712:                              ;   in Loop: Header=BB43_401 Depth=1
	v_add_f32_e64 v40, |v24|, 1.0
	v_add_f32_e64 v39, |v24|, -1.0
	s_mov_b32 s7, exec_lo
	s_wait_dscnt 0x0
	s_delay_alu instid0(VALU_DEP_2) | instskip(NEXT) | instid1(VALU_DEP_2)
	v_max_num_f32_e32 v15, v13, v40
	v_max_num_f32_e64 v13, v13, |v39|
	s_delay_alu instid0(VALU_DEP_2) | instskip(NEXT) | instid1(VALU_DEP_2)
	v_cvt_f64_f32_e32 v[28:29], v15
	v_cvt_f64_f32_e32 v[34:35], v13
	s_delay_alu instid0(VALU_DEP_2) | instskip(NEXT) | instid1(VALU_DEP_2)
	v_frexp_exp_i32_f64_e32 v28, v[28:29]
	v_frexp_exp_i32_f64_e32 v29, v[34:35]
	s_delay_alu instid0(VALU_DEP_1) | instskip(SKIP_1) | instid1(VALU_DEP_2)
	v_dual_sub_nc_u32 v34, 0, v28 :: v_dual_sub_nc_u32 v35, 0, v29
	v_cmp_neq_f32_e32 vcc_lo, 0x7f800000, v15
	v_ldexp_f32 v41, v40, v34
	s_delay_alu instid0(VALU_DEP_3) | instskip(SKIP_1) | instid1(VALU_DEP_3)
	v_ldexp_f32 v42, |v39|, v35
	v_ldexp_f32 v35, |v25|, v35
	v_mul_f32_e32 v41, v41, v41
	v_ldexp_f32 v34, |v25|, v34
	s_delay_alu instid0(VALU_DEP_1) | instskip(NEXT) | instid1(VALU_DEP_1)
	v_fmac_f32_e32 v41, v34, v34
	v_sqrt_f32_e32 v34, v41
	v_nop
	s_delay_alu instid0(TRANS32_DEP_1) | instskip(NEXT) | instid1(VALU_DEP_1)
	v_ldexp_f32 v28, v34, v28
	v_dual_mul_f32 v42, v42, v42 :: v_dual_cndmask_b32 v43, 0x7f800000, v28
	s_delay_alu instid0(VALU_DEP_1) | instskip(SKIP_1) | instid1(VALU_DEP_2)
	v_fmac_f32_e32 v42, v35, v35
	v_cmp_neq_f32_e32 vcc_lo, 0x7f800000, v13
	v_sqrt_f32_e32 v35, v42
	v_nop
	s_delay_alu instid0(TRANS32_DEP_1) | instskip(NEXT) | instid1(VALU_DEP_1)
	v_ldexp_f32 v29, v35, v29
	v_cndmask_b32_e32 v41, 0x7f800000, v29, vcc_lo
	s_delay_alu instid0(VALU_DEP_1) | instskip(NEXT) | instid1(VALU_DEP_1)
	v_add_f32_e32 v13, v43, v41
	v_mul_f32_e32 v13, 0.5, v13
	s_delay_alu instid0(VALU_DEP_1) | instskip(SKIP_1) | instid1(VALU_DEP_1)
	v_cmp_ngt_f32_e32 vcc_lo, 1.0, v13
	v_cndmask_b32_e32 v28, 1.0, v13, vcc_lo
                                        ; implicit-def: $vgpr13
	v_cmpx_ngt_f32_e32 0x41200000, v28
	s_xor_b32 s8, exec_lo, s7
	s_cbranch_execz .LBB43_714
; %bb.713:                              ;   in Loop: Header=BB43_401 Depth=1
	v_fma_f32 v13, v28, v28, -1.0
	s_delay_alu instid0(VALU_DEP_1) | instskip(SKIP_1) | instid1(VALU_DEP_2)
	v_mul_f32_e32 v15, 0x4f800000, v13
	v_cmp_gt_f32_e32 vcc_lo, 0xf800000, v13
	v_cndmask_b32_e32 v13, v13, v15, vcc_lo
	s_delay_alu instid0(VALU_DEP_1) | instskip(SKIP_1) | instid1(TRANS32_DEP_1)
	v_sqrt_f32_e32 v15, v13
	v_nop
	v_dual_add_nc_u32 v29, -1, v15 :: v_dual_add_nc_u32 v34, 1, v15
	s_delay_alu instid0(VALU_DEP_1) | instskip(NEXT) | instid1(VALU_DEP_1)
	v_fma_f32 v35, -v29, v15, v13
	v_cmp_ge_f32_e64 s7, 0, v35
	s_delay_alu instid0(VALU_DEP_1) | instskip(NEXT) | instid1(VALU_DEP_1)
	v_dual_fma_f32 v42, -v34, v15, v13 :: v_dual_cndmask_b32 v15, v15, v29, s7
	v_cmp_lt_f32_e64 s7, 0, v42
	s_delay_alu instid0(VALU_DEP_1) | instskip(NEXT) | instid1(VALU_DEP_1)
	v_cndmask_b32_e64 v15, v15, v34, s7
	v_mul_f32_e32 v29, 0x37800000, v15
	s_delay_alu instid0(VALU_DEP_1) | instskip(SKIP_1) | instid1(VALU_DEP_2)
	v_cndmask_b32_e32 v15, v15, v29, vcc_lo
	v_cmp_class_f32_e64 vcc_lo, v13, 0x260
	v_cndmask_b32_e32 v13, v15, v13, vcc_lo
	s_delay_alu instid0(VALU_DEP_1) | instskip(NEXT) | instid1(VALU_DEP_1)
	v_add_f32_e32 v13, v28, v13
	v_cmp_gt_f32_e32 vcc_lo, 0x800000, v13
	s_delay_alu instid0(VALU_DEP_4) | instskip(NEXT) | instid1(VALU_DEP_1)
	v_cndmask_b32_e64 v15, 0, 32, vcc_lo
	v_ldexp_f32 v13, v13, v15
	s_delay_alu instid0(VALU_DEP_1) | instskip(SKIP_1) | instid1(TRANS32_DEP_1)
	v_log_f32_e32 v13, v13
	v_nop
	v_mul_f32_e32 v15, 0x3f317217, v13
	v_cmp_gt_f32_e64 s7, 0x7f800000, |v13|
	s_delay_alu instid0(VALU_DEP_2) | instskip(NEXT) | instid1(VALU_DEP_1)
	v_fma_f32 v15, 0x3f317217, v13, -v15
	v_fmac_f32_e32 v15, 0x3377d1cf, v13
	s_delay_alu instid0(VALU_DEP_1) | instskip(NEXT) | instid1(VALU_DEP_1)
	v_fmac_f32_e32 v15, 0x3f317217, v13
	v_cndmask_b32_e64 v13, v13, v15, s7
	v_cndmask_b32_e64 v15, 0, 0x41b17218, vcc_lo
	s_delay_alu instid0(VALU_DEP_1)
	v_sub_f32_e32 v13, v13, v15
.LBB43_714:                             ;   in Loop: Header=BB43_401 Depth=1
	s_or_saveexec_b32 s8, s8
	v_and_b32_e32 v42, 0x7fffffff, v25
	s_xor_b32 exec_lo, exec_lo, s8
	s_cbranch_execz .LBB43_736
; %bb.715:                              ;   in Loop: Header=BB43_401 Depth=1
	v_cmp_neq_f32_e64 s7, |v24|, 1.0
	v_cmp_ngt_f32_e64 s31, 0x25000000, |v25|
                                        ; implicit-def: $vgpr13
	s_or_b32 s7, s31, s7
	s_delay_alu instid0(SALU_CYCLE_1) | instskip(NEXT) | instid1(SALU_CYCLE_1)
	s_and_saveexec_b32 s31, s7
	s_xor_b32 s31, exec_lo, s31
	s_cbranch_execz .LBB43_733
; %bb.716:                              ;   in Loop: Header=BB43_401 Depth=1
	v_mul_f32_e64 v13, 0x34000000, |v39|
	s_delay_alu instid0(VALU_DEP_1) | instskip(SKIP_1) | instid1(SALU_CYCLE_1)
	v_cmp_ge_f32_e64 s7, |v25|, v13
                                        ; implicit-def: $vgpr13
	s_and_saveexec_b32 s33, s7
	s_xor_b32 s33, exec_lo, s33
	s_cbranch_execz .LBB43_726
; %bb.717:                              ;   in Loop: Header=BB43_401 Depth=1
	v_mov_b32_e32 v13, v42
	s_mov_b32 s7, exec_lo
	v_cmpx_neq_f32_e32 0, v40
	s_cbranch_execz .LBB43_719
; %bb.718:                              ;   in Loop: Header=BB43_401 Depth=1
	v_dual_mul_f32 v13, v25, v25 :: v_dual_add_f32 v15, v40, v43
	s_delay_alu instid0(VALU_DEP_1) | instskip(NEXT) | instid1(VALU_DEP_1)
	v_div_scale_f32 v29, null, v15, v15, v13
	v_rcp_f32_e32 v34, v29
	v_nop
	s_delay_alu instid0(TRANS32_DEP_1) | instskip(NEXT) | instid1(VALU_DEP_1)
	v_fma_f32 v35, -v29, v34, 1.0
	v_fmac_f32_e32 v34, v35, v34
	v_div_scale_f32 v35, vcc_lo, v13, v15, v13
	s_delay_alu instid0(VALU_DEP_1) | instskip(NEXT) | instid1(VALU_DEP_1)
	v_mul_f32_e32 v44, v35, v34
	v_fma_f32 v45, -v29, v44, v35
	s_delay_alu instid0(VALU_DEP_1) | instskip(NEXT) | instid1(VALU_DEP_1)
	v_fmac_f32_e32 v44, v45, v34
	v_fma_f32 v29, -v29, v44, v35
	s_delay_alu instid0(VALU_DEP_1) | instskip(NEXT) | instid1(VALU_DEP_1)
	v_div_fmas_f32 v29, v29, v34, v44
	v_div_fixup_f32 v13, v29, v15, v13
.LBB43_719:                             ;   in Loop: Header=BB43_401 Depth=1
	s_or_b32 exec_lo, exec_lo, s7
	v_sub_f32_e64 v29, 1.0, |v24|
	s_mov_b32 s7, exec_lo
                                        ; implicit-def: $vgpr15
	s_delay_alu instid0(VALU_DEP_1)
	v_cmpx_ngt_f32_e32 0, v29
	s_xor_b32 s7, exec_lo, s7
	s_cbranch_execz .LBB43_723
; %bb.720:                              ;   in Loop: Header=BB43_401 Depth=1
	v_mov_b32_e32 v15, v42
	s_mov_b32 s34, exec_lo
	v_cmpx_neq_f32_e32 0, v29
	s_cbranch_execz .LBB43_722
; %bb.721:                              ;   in Loop: Header=BB43_401 Depth=1
	v_mul_f32_e32 v15, v25, v25
	v_add_f32_e32 v29, v29, v41
	s_delay_alu instid0(VALU_DEP_1) | instskip(NEXT) | instid1(VALU_DEP_1)
	v_div_scale_f32 v34, null, v29, v29, v15
	v_rcp_f32_e32 v35, v34
	v_nop
	s_delay_alu instid0(TRANS32_DEP_1) | instskip(NEXT) | instid1(VALU_DEP_1)
	v_fma_f32 v44, -v34, v35, 1.0
	v_fmac_f32_e32 v35, v44, v35
	v_div_scale_f32 v44, vcc_lo, v15, v29, v15
	s_delay_alu instid0(VALU_DEP_1) | instskip(NEXT) | instid1(VALU_DEP_1)
	v_mul_f32_e32 v45, v44, v35
	v_fma_f32 v46, -v34, v45, v44
	s_delay_alu instid0(VALU_DEP_1) | instskip(NEXT) | instid1(VALU_DEP_1)
	v_fmac_f32_e32 v45, v46, v35
	v_fma_f32 v34, -v34, v45, v44
	s_delay_alu instid0(VALU_DEP_1) | instskip(NEXT) | instid1(VALU_DEP_1)
	v_div_fmas_f32 v34, v34, v35, v45
	v_div_fixup_f32 v15, v34, v29, v15
.LBB43_722:                             ;   in Loop: Header=BB43_401 Depth=1
	s_or_b32 exec_lo, exec_lo, s34
                                        ; implicit-def: $vgpr29
.LBB43_723:                             ;   in Loop: Header=BB43_401 Depth=1
	s_and_not1_saveexec_b32 s7, s7
; %bb.724:                              ;   in Loop: Header=BB43_401 Depth=1
	v_sub_f32_e32 v15, v41, v29
; %bb.725:                              ;   in Loop: Header=BB43_401 Depth=1
	s_or_b32 exec_lo, exec_lo, s7
	s_delay_alu instid0(VALU_DEP_1) | instskip(NEXT) | instid1(VALU_DEP_1)
	v_dual_mul_f32 v29, 0.5, v13 :: v_dual_mul_f32 v13, 0.5, v15
	v_pk_add_f32 v[34:35], v[28:29], v[12:13]
	s_delay_alu instid0(VALU_DEP_1) | instskip(NEXT) | instid1(VALU_DEP_1)
	v_mul_f32_e32 v13, v34, v35
	v_mul_f32_e32 v15, 0x4f800000, v13
	v_cmp_gt_f32_e32 vcc_lo, 0xf800000, v13
	s_delay_alu instid0(VALU_DEP_2) | instskip(NEXT) | instid1(VALU_DEP_1)
	v_cndmask_b32_e32 v13, v13, v15, vcc_lo
	v_sqrt_f32_e32 v15, v13
	v_nop
	s_delay_alu instid0(TRANS32_DEP_1) | instskip(NEXT) | instid1(VALU_DEP_1)
	v_dual_add_nc_u32 v29, -1, v15 :: v_dual_add_nc_u32 v34, 1, v15
	v_dual_fma_f32 v44, -v29, v15, v13 :: v_dual_fma_f32 v45, -v34, v15, v13
	s_delay_alu instid0(VALU_DEP_1) | instskip(NEXT) | instid1(VALU_DEP_1)
	v_cmp_ge_f32_e64 s7, 0, v44
	v_cndmask_b32_e64 v15, v15, v29, s7
	s_delay_alu instid0(VALU_DEP_3) | instskip(NEXT) | instid1(VALU_DEP_1)
	v_cmp_lt_f32_e64 s7, 0, v45
	v_cndmask_b32_e64 v15, v15, v34, s7
	s_delay_alu instid0(VALU_DEP_1) | instskip(NEXT) | instid1(VALU_DEP_1)
	v_mul_f32_e32 v29, 0x37800000, v15
	v_cndmask_b32_e32 v15, v15, v29, vcc_lo
	v_cmp_class_f32_e64 vcc_lo, v13, 0x260
	s_delay_alu instid0(VALU_DEP_2) | instskip(NEXT) | instid1(VALU_DEP_1)
	v_cndmask_b32_e32 v13, v15, v13, vcc_lo
	v_add_f32_e32 v34, v35, v13
	s_delay_alu instid0(VALU_DEP_1) | instskip(NEXT) | instid1(VALU_DEP_1)
	v_add_f32_e32 v45, 1.0, v34
	v_cvt_f64_f32_e32 v[46:47], v45
	v_frexp_mant_f32_e32 v15, v45
	v_add_f32_e32 v35, -1.0, v45
	s_delay_alu instid0(VALU_DEP_2) | instskip(NEXT) | instid1(VALU_DEP_2)
	v_cmp_gt_f32_e32 vcc_lo, 0x3f2aaaab, v15
	v_mov_b32_e32 v44, v35
	v_frexp_exp_i32_f64_e32 v13, v[46:47]
	s_delay_alu instid0(VALU_DEP_2) | instskip(NEXT) | instid1(VALU_DEP_1)
	v_pk_add_f32 v[46:47], v[34:35], v[44:45] neg_lo:[0,1] neg_hi:[0,1]
	v_add_f32_e32 v35, 1.0, v47
	s_delay_alu instid0(VALU_DEP_1) | instskip(NEXT) | instid1(VALU_DEP_4)
	v_add_f32_e32 v35, v46, v35
	v_subrev_co_ci_u32_e64 v13, null, 0, v13, vcc_lo
	v_cmp_neq_f32_e32 vcc_lo, 0x7f800000, v34
	s_delay_alu instid0(VALU_DEP_2) | instskip(NEXT) | instid1(VALU_DEP_1)
	v_sub_nc_u32_e32 v15, 0, v13
	v_ldexp_f32 v29, v45, v15
	v_ldexp_f32 v15, v35, v15
	s_delay_alu instid0(VALU_DEP_2) | instskip(NEXT) | instid1(VALU_DEP_1)
	v_dual_add_f32 v44, 1.0, v29 :: v_dual_add_f32 v49, -1.0, v29
	v_add_f32_e32 v45, -1.0, v44
	s_delay_alu instid0(VALU_DEP_1) | instskip(NEXT) | instid1(VALU_DEP_3)
	v_sub_f32_e32 v35, v29, v45
	v_add_f32_e32 v45, 1.0, v49
	s_delay_alu instid0(VALU_DEP_1) | instskip(NEXT) | instid1(VALU_DEP_1)
	v_dual_sub_f32 v29, v29, v45 :: v_dual_add_f32 v35, v15, v35
	v_dual_add_f32 v15, v15, v29 :: v_dual_add_f32 v50, v44, v35
	s_delay_alu instid0(VALU_DEP_1) | instskip(SKIP_1) | instid1(VALU_DEP_1)
	v_dual_add_f32 v45, v49, v15 :: v_dual_sub_f32 v44, v50, v44
	v_rcp_f32_e32 v29, v50
	v_dual_sub_f32 v52, v45, v49 :: v_dual_sub_f32 v35, v35, v44
	s_delay_alu instid0(TRANS32_DEP_1) | instid1(VALU_DEP_1)
	v_dual_mul_f32 v51, v45, v29 :: v_dual_sub_f32 v15, v15, v52
	s_delay_alu instid0(VALU_DEP_1) | instskip(NEXT) | instid1(VALU_DEP_1)
	v_mul_f32_e32 v46, v50, v51
	v_fma_f32 v48, v51, v50, -v46
	s_delay_alu instid0(VALU_DEP_1) | instskip(NEXT) | instid1(VALU_DEP_1)
	v_fmac_f32_e32 v48, v51, v35
	v_add_f32_e32 v44, v46, v48
	s_delay_alu instid0(VALU_DEP_1) | instskip(NEXT) | instid1(VALU_DEP_1)
	v_dual_sub_f32 v47, v45, v44 :: v_dual_mov_b32 v49, v44
	v_pk_add_f32 v[44:45], v[44:45], v[46:47] neg_lo:[0,1] neg_hi:[0,1]
	s_delay_alu instid0(VALU_DEP_1) | instskip(NEXT) | instid1(VALU_DEP_1)
	v_pk_add_f32 v[44:45], v[44:45], v[48:49] neg_lo:[0,1] neg_hi:[0,1]
	v_add_f32_e32 v15, v15, v45
	s_delay_alu instid0(VALU_DEP_1) | instskip(NEXT) | instid1(VALU_DEP_1)
	v_add_f32_e32 v15, v44, v15
	v_add_f32_e32 v45, v47, v15
	s_delay_alu instid0(VALU_DEP_1) | instskip(NEXT) | instid1(VALU_DEP_1)
	v_mul_f32_e32 v52, v29, v45
	v_mul_f32_e32 v48, v50, v52
	s_delay_alu instid0(VALU_DEP_1) | instskip(NEXT) | instid1(VALU_DEP_1)
	v_fma_f32 v46, v52, v50, -v48
	v_dual_fmac_f32 v46, v52, v35 :: v_dual_sub_f32 v35, v47, v45
	s_delay_alu instid0(VALU_DEP_1) | instskip(NEXT) | instid1(VALU_DEP_1)
	v_dual_add_f32 v44, v48, v46 :: v_dual_add_f32 v15, v15, v35
	v_dual_mov_b32 v47, v44 :: v_dual_sub_f32 v49, v45, v44
	s_delay_alu instid0(VALU_DEP_1) | instskip(NEXT) | instid1(VALU_DEP_1)
	v_pk_add_f32 v[44:45], v[44:45], v[48:49] neg_lo:[0,1] neg_hi:[0,1]
	v_pk_add_f32 v[44:45], v[44:45], v[46:47] neg_lo:[0,1] neg_hi:[0,1]
	s_delay_alu instid0(VALU_DEP_1) | instskip(NEXT) | instid1(VALU_DEP_1)
	v_add_f32_e32 v15, v15, v45
	v_dual_add_f32 v35, v51, v52 :: v_dual_add_f32 v15, v44, v15
	s_delay_alu instid0(VALU_DEP_1) | instskip(NEXT) | instid1(VALU_DEP_1)
	v_sub_f32_e32 v44, v35, v51
	v_dual_add_f32 v15, v49, v15 :: v_dual_sub_f32 v44, v52, v44
	s_delay_alu instid0(VALU_DEP_1) | instskip(NEXT) | instid1(VALU_DEP_1)
	v_mul_f32_e32 v15, v29, v15
	v_add_f32_e32 v29, v44, v15
	v_cvt_f32_i32_e32 v44, v13
	s_delay_alu instid0(VALU_DEP_2) | instskip(NEXT) | instid1(VALU_DEP_1)
	v_add_f32_e32 v50, v35, v29
	v_mul_f32_e32 v15, v50, v50
	v_ldexp_f32 v49, v50, 1
	s_delay_alu instid0(VALU_DEP_2) | instskip(NEXT) | instid1(VALU_DEP_1)
	v_dual_fmaak_f32 v46, s9, v15, 0x3ecc95a3 :: v_dual_mul_f32 v45, v50, v15
	v_fmaak_f32 v15, v15, v46, 0x3f2aaada
	s_delay_alu instid0(VALU_DEP_1) | instskip(NEXT) | instid1(VALU_DEP_1)
	v_pk_mul_f32 v[46:47], v[44:45], v[14:15]
	v_fma_f32 v48, 0x3f317218, v44, -v46
	s_delay_alu instid0(VALU_DEP_1) | instskip(NEXT) | instid1(VALU_DEP_1)
	v_fmac_f32_e32 v48, 0xb102e308, v44
	v_pk_add_f32 v[44:45], v[46:47], v[48:49]
	v_sub_f32_e32 v13, v50, v35
	s_delay_alu instid0(VALU_DEP_2) | instskip(NEXT) | instid1(VALU_DEP_2)
	v_dual_mov_b32 v50, v46 :: v_dual_sub_f32 v15, v45, v49
	v_dual_sub_f32 v13, v29, v13 :: v_dual_mov_b32 v49, v44
	s_delay_alu instid0(VALU_DEP_2) | instskip(NEXT) | instid1(VALU_DEP_2)
	v_dual_mov_b32 v58, v45 :: v_dual_sub_f32 v15, v47, v15
	v_ldexp_f32 v13, v13, 1
	v_pk_add_f32 v[46:47], v[44:45], v[46:47] neg_lo:[0,1] neg_hi:[0,1]
	s_delay_alu instid0(VALU_DEP_2) | instskip(NEXT) | instid1(VALU_DEP_1)
	v_add_f32_e32 v51, v13, v15
	v_pk_add_f32 v[52:53], v[44:45], v[50:51]
	s_delay_alu instid0(VALU_DEP_1) | instskip(NEXT) | instid1(VALU_DEP_1)
	v_mov_b32_e32 v47, v53
	v_pk_add_f32 v[54:55], v[48:49], v[46:47]
	v_pk_add_f32 v[46:47], v[48:49], v[46:47] neg_lo:[0,1] neg_hi:[0,1]
	s_delay_alu instid0(VALU_DEP_2) | instskip(NEXT) | instid1(VALU_DEP_1)
	v_dual_mov_b32 v50, v55 :: v_dual_mov_b32 v47, v55
	v_pk_add_f32 v[56:57], v[50:51], v[44:45] neg_lo:[0,1] neg_hi:[0,1]
	v_dual_mov_b32 v54, v53 :: v_dual_mov_b32 v45, v44
	s_delay_alu instid0(VALU_DEP_2) | instskip(SKIP_1) | instid1(VALU_DEP_2)
	v_dual_mov_b32 v44, v51 :: v_dual_mov_b32 v59, v56
	v_mov_b32_e32 v13, v56
	v_pk_add_f32 v[56:57], v[54:55], v[58:59] neg_lo:[0,1] neg_hi:[0,1]
	s_delay_alu instid0(VALU_DEP_2) | instskip(SKIP_1) | instid1(VALU_DEP_3)
	v_pk_add_f32 v[48:49], v[52:53], v[12:13] neg_lo:[0,1] neg_hi:[0,1]
	v_mov_b32_e32 v48, v46
	v_pk_add_f32 v[44:45], v[44:45], v[56:57] neg_lo:[0,1] neg_hi:[0,1]
	s_delay_alu instid0(VALU_DEP_1) | instskip(NEXT) | instid1(VALU_DEP_1)
	v_pk_add_f32 v[48:49], v[48:49], v[44:45]
	v_mov_b32_e32 v52, v49
	s_delay_alu instid0(VALU_DEP_1) | instskip(NEXT) | instid1(VALU_DEP_1)
	v_pk_add_f32 v[52:53], v[48:49], v[52:53]
	v_pk_add_f32 v[50:51], v[50:51], v[52:53]
	s_delay_alu instid0(VALU_DEP_1) | instskip(NEXT) | instid1(VALU_DEP_1)
	v_dual_mov_b32 v45, v52 :: v_dual_mov_b32 v49, v50
	v_pk_add_f32 v[54:55], v[48:49], v[46:47] neg_lo:[0,1] neg_hi:[0,1]
	s_delay_alu instid0(VALU_DEP_1) | instskip(NEXT) | instid1(VALU_DEP_2)
	v_sub_f32_e32 v13, v48, v54
	v_pk_add_f32 v[44:45], v[44:45], v[54:55] neg_lo:[0,1] neg_hi:[0,1]
	s_delay_alu instid0(VALU_DEP_2) | instskip(NEXT) | instid1(VALU_DEP_1)
	v_sub_f32_e32 v13, v46, v13
	v_add_f32_e32 v13, v44, v13
	s_delay_alu instid0(VALU_DEP_1) | instskip(NEXT) | instid1(VALU_DEP_1)
	v_add_f32_e32 v13, v13, v45
	v_add_f32_e32 v13, v50, v13
	s_delay_alu instid0(VALU_DEP_1) | instskip(SKIP_1) | instid1(VALU_DEP_2)
	v_cndmask_b32_e32 v13, 0x7f800000, v13, vcc_lo
	v_cmp_ngt_f32_e32 vcc_lo, -1.0, v34
	v_cndmask_b32_e32 v13, 0x7fc00000, v13, vcc_lo
	v_cmp_neq_f32_e32 vcc_lo, -1.0, v34
	s_delay_alu instid0(VALU_DEP_2) | instskip(SKIP_1) | instid1(VALU_DEP_2)
	v_cndmask_b32_e32 v13, 0xff800000, v13, vcc_lo
	v_cmp_gt_f32_e64 vcc_lo, 0x33800000, |v34|
	v_cndmask_b32_e32 v13, v13, v34, vcc_lo
.LBB43_726:                             ;   in Loop: Header=BB43_401 Depth=1
	s_and_not1_saveexec_b32 s33, s33
	s_cbranch_execz .LBB43_732
; %bb.727:                              ;   in Loop: Header=BB43_401 Depth=1
	s_mov_b32 s34, exec_lo
                                        ; implicit-def: $vgpr13
	v_cmpx_nlt_f32_e64 |v24|, 1.0
	s_xor_b32 s34, exec_lo, s34
	s_cbranch_execz .LBB43_729
; %bb.728:                              ;   in Loop: Header=BB43_401 Depth=1
	v_mul_f32_e32 v13, v39, v40
	s_delay_alu instid0(VALU_DEP_1) | instskip(SKIP_1) | instid1(VALU_DEP_2)
	v_mul_f32_e32 v15, 0x4f800000, v13
	v_cmp_gt_f32_e32 vcc_lo, 0xf800000, v13
	v_cndmask_b32_e32 v13, v13, v15, vcc_lo
	s_delay_alu instid0(VALU_DEP_1) | instskip(SKIP_1) | instid1(TRANS32_DEP_1)
	v_sqrt_f32_e32 v15, v13
	v_nop
	v_dual_add_nc_u32 v29, -1, v15 :: v_dual_add_nc_u32 v34, 1, v15
	s_delay_alu instid0(VALU_DEP_1) | instskip(NEXT) | instid1(VALU_DEP_1)
	v_dual_fma_f32 v35, -v29, v15, v13 :: v_dual_fma_f32 v44, -v34, v15, v13
	v_cmp_ge_f32_e64 s7, 0, v35
	s_delay_alu instid0(VALU_DEP_1) | instskip(NEXT) | instid1(VALU_DEP_3)
	v_cndmask_b32_e64 v15, v15, v29, s7
	v_cmp_lt_f32_e64 s7, 0, v44
	s_delay_alu instid0(VALU_DEP_1) | instskip(NEXT) | instid1(VALU_DEP_1)
	v_cndmask_b32_e64 v15, v15, v34, s7
	v_mul_f32_e32 v29, 0x37800000, v15
	s_delay_alu instid0(VALU_DEP_1) | instskip(SKIP_1) | instid1(VALU_DEP_2)
	v_cndmask_b32_e32 v15, v15, v29, vcc_lo
	v_cmp_class_f32_e64 vcc_lo, v13, 0x260
	v_cndmask_b32_e32 v13, v15, v13, vcc_lo
	s_delay_alu instid0(VALU_DEP_1) | instskip(NEXT) | instid1(VALU_DEP_1)
	v_add_f32_e32 v34, v39, v13
	v_add_f32_e32 v45, 1.0, v34
	s_delay_alu instid0(VALU_DEP_1) | instskip(SKIP_2) | instid1(VALU_DEP_2)
	v_cvt_f64_f32_e32 v[46:47], v45
	v_frexp_mant_f32_e32 v15, v45
	v_add_f32_e32 v35, -1.0, v45
	v_cmp_gt_f32_e32 vcc_lo, 0x3f2aaaab, v15
	s_delay_alu instid0(VALU_DEP_2) | instskip(SKIP_1) | instid1(VALU_DEP_2)
	v_mov_b32_e32 v44, v35
	v_frexp_exp_i32_f64_e32 v13, v[46:47]
	v_pk_add_f32 v[46:47], v[34:35], v[44:45] neg_lo:[0,1] neg_hi:[0,1]
	s_delay_alu instid0(VALU_DEP_1) | instskip(NEXT) | instid1(VALU_DEP_1)
	v_add_f32_e32 v35, 1.0, v47
	v_add_f32_e32 v35, v46, v35
	s_delay_alu instid0(VALU_DEP_4) | instskip(SKIP_1) | instid1(VALU_DEP_2)
	v_subrev_co_ci_u32_e64 v13, null, 0, v13, vcc_lo
	v_cmp_neq_f32_e32 vcc_lo, 0x7f800000, v34
	v_sub_nc_u32_e32 v15, 0, v13
	s_delay_alu instid0(VALU_DEP_1) | instskip(NEXT) | instid1(VALU_DEP_1)
	v_ldexp_f32 v29, v45, v15
	v_dual_add_f32 v44, 1.0, v29 :: v_dual_add_f32 v49, -1.0, v29
	s_delay_alu instid0(VALU_DEP_1) | instskip(SKIP_1) | instid1(VALU_DEP_2)
	v_add_f32_e32 v45, -1.0, v44
	v_ldexp_f32 v15, v35, v15
	v_sub_f32_e32 v35, v29, v45
	s_delay_alu instid0(VALU_DEP_4) | instskip(NEXT) | instid1(VALU_DEP_1)
	v_add_f32_e32 v45, 1.0, v49
	v_dual_sub_f32 v29, v29, v45 :: v_dual_add_f32 v35, v15, v35
	s_delay_alu instid0(VALU_DEP_1) | instskip(NEXT) | instid1(VALU_DEP_1)
	v_dual_add_f32 v15, v15, v29 :: v_dual_add_f32 v50, v44, v35
	v_dual_add_f32 v45, v49, v15 :: v_dual_sub_f32 v44, v50, v44
	v_rcp_f32_e32 v29, v50
	s_delay_alu instid0(VALU_DEP_1)
	v_dual_sub_f32 v52, v45, v49 :: v_dual_sub_f32 v35, v35, v44
	s_delay_alu instid0(TRANS32_DEP_1) | instid1(VALU_DEP_1)
	v_dual_mul_f32 v51, v45, v29 :: v_dual_sub_f32 v15, v15, v52
	s_delay_alu instid0(VALU_DEP_1) | instskip(NEXT) | instid1(VALU_DEP_1)
	v_mul_f32_e32 v46, v50, v51
	v_fma_f32 v48, v51, v50, -v46
	s_delay_alu instid0(VALU_DEP_1) | instskip(NEXT) | instid1(VALU_DEP_1)
	v_fmac_f32_e32 v48, v51, v35
	v_add_f32_e32 v44, v46, v48
	s_delay_alu instid0(VALU_DEP_1) | instskip(NEXT) | instid1(VALU_DEP_1)
	v_dual_sub_f32 v47, v45, v44 :: v_dual_mov_b32 v49, v44
	v_pk_add_f32 v[44:45], v[44:45], v[46:47] neg_lo:[0,1] neg_hi:[0,1]
	s_delay_alu instid0(VALU_DEP_1) | instskip(NEXT) | instid1(VALU_DEP_1)
	v_pk_add_f32 v[44:45], v[44:45], v[48:49] neg_lo:[0,1] neg_hi:[0,1]
	v_add_f32_e32 v15, v15, v45
	s_delay_alu instid0(VALU_DEP_1) | instskip(NEXT) | instid1(VALU_DEP_1)
	v_add_f32_e32 v15, v44, v15
	v_add_f32_e32 v45, v47, v15
	s_delay_alu instid0(VALU_DEP_1) | instskip(NEXT) | instid1(VALU_DEP_1)
	v_mul_f32_e32 v52, v29, v45
	v_mul_f32_e32 v48, v50, v52
	s_delay_alu instid0(VALU_DEP_1) | instskip(NEXT) | instid1(VALU_DEP_1)
	v_fma_f32 v46, v52, v50, -v48
	v_dual_fmac_f32 v46, v52, v35 :: v_dual_sub_f32 v35, v47, v45
	s_delay_alu instid0(VALU_DEP_1) | instskip(NEXT) | instid1(VALU_DEP_1)
	v_dual_add_f32 v44, v48, v46 :: v_dual_add_f32 v15, v15, v35
	v_dual_mov_b32 v47, v44 :: v_dual_sub_f32 v49, v45, v44
	s_delay_alu instid0(VALU_DEP_1) | instskip(NEXT) | instid1(VALU_DEP_1)
	v_pk_add_f32 v[44:45], v[44:45], v[48:49] neg_lo:[0,1] neg_hi:[0,1]
	v_pk_add_f32 v[44:45], v[44:45], v[46:47] neg_lo:[0,1] neg_hi:[0,1]
	s_delay_alu instid0(VALU_DEP_1) | instskip(NEXT) | instid1(VALU_DEP_1)
	v_add_f32_e32 v15, v15, v45
	v_dual_add_f32 v35, v51, v52 :: v_dual_add_f32 v15, v44, v15
	s_delay_alu instid0(VALU_DEP_1) | instskip(NEXT) | instid1(VALU_DEP_1)
	v_sub_f32_e32 v44, v35, v51
	v_dual_add_f32 v15, v49, v15 :: v_dual_sub_f32 v44, v52, v44
	s_delay_alu instid0(VALU_DEP_1) | instskip(NEXT) | instid1(VALU_DEP_1)
	v_mul_f32_e32 v15, v29, v15
	v_add_f32_e32 v29, v44, v15
	v_cvt_f32_i32_e32 v44, v13
	s_delay_alu instid0(VALU_DEP_2) | instskip(NEXT) | instid1(VALU_DEP_1)
	v_add_f32_e32 v50, v35, v29
	v_mul_f32_e32 v15, v50, v50
	v_ldexp_f32 v49, v50, 1
	s_delay_alu instid0(VALU_DEP_2) | instskip(NEXT) | instid1(VALU_DEP_1)
	v_dual_fmaak_f32 v46, s9, v15, 0x3ecc95a3 :: v_dual_mul_f32 v45, v50, v15
	v_fmaak_f32 v15, v15, v46, 0x3f2aaada
	s_delay_alu instid0(VALU_DEP_1) | instskip(NEXT) | instid1(VALU_DEP_1)
	v_pk_mul_f32 v[46:47], v[44:45], v[14:15]
	v_fma_f32 v48, 0x3f317218, v44, -v46
	s_delay_alu instid0(VALU_DEP_1) | instskip(NEXT) | instid1(VALU_DEP_1)
	v_fmac_f32_e32 v48, 0xb102e308, v44
	v_pk_add_f32 v[44:45], v[46:47], v[48:49]
	v_sub_f32_e32 v13, v50, v35
	s_delay_alu instid0(VALU_DEP_2) | instskip(NEXT) | instid1(VALU_DEP_2)
	v_dual_mov_b32 v50, v46 :: v_dual_sub_f32 v15, v45, v49
	v_dual_sub_f32 v13, v29, v13 :: v_dual_mov_b32 v49, v44
	s_delay_alu instid0(VALU_DEP_2) | instskip(NEXT) | instid1(VALU_DEP_2)
	v_dual_mov_b32 v58, v45 :: v_dual_sub_f32 v15, v47, v15
	v_ldexp_f32 v13, v13, 1
	v_pk_add_f32 v[46:47], v[44:45], v[46:47] neg_lo:[0,1] neg_hi:[0,1]
	s_delay_alu instid0(VALU_DEP_2) | instskip(NEXT) | instid1(VALU_DEP_1)
	v_add_f32_e32 v51, v13, v15
	v_pk_add_f32 v[52:53], v[44:45], v[50:51]
	s_delay_alu instid0(VALU_DEP_1) | instskip(NEXT) | instid1(VALU_DEP_1)
	v_mov_b32_e32 v47, v53
	v_pk_add_f32 v[54:55], v[48:49], v[46:47]
	v_pk_add_f32 v[46:47], v[48:49], v[46:47] neg_lo:[0,1] neg_hi:[0,1]
	s_delay_alu instid0(VALU_DEP_2) | instskip(NEXT) | instid1(VALU_DEP_1)
	v_dual_mov_b32 v50, v55 :: v_dual_mov_b32 v47, v55
	v_pk_add_f32 v[56:57], v[50:51], v[44:45] neg_lo:[0,1] neg_hi:[0,1]
	v_dual_mov_b32 v54, v53 :: v_dual_mov_b32 v45, v44
	s_delay_alu instid0(VALU_DEP_2) | instskip(SKIP_1) | instid1(VALU_DEP_2)
	v_dual_mov_b32 v44, v51 :: v_dual_mov_b32 v59, v56
	v_mov_b32_e32 v13, v56
	v_pk_add_f32 v[56:57], v[54:55], v[58:59] neg_lo:[0,1] neg_hi:[0,1]
	s_delay_alu instid0(VALU_DEP_2) | instskip(SKIP_1) | instid1(VALU_DEP_3)
	v_pk_add_f32 v[48:49], v[52:53], v[12:13] neg_lo:[0,1] neg_hi:[0,1]
	v_mov_b32_e32 v48, v46
	v_pk_add_f32 v[44:45], v[44:45], v[56:57] neg_lo:[0,1] neg_hi:[0,1]
	s_delay_alu instid0(VALU_DEP_1) | instskip(NEXT) | instid1(VALU_DEP_1)
	v_pk_add_f32 v[48:49], v[48:49], v[44:45]
	v_mov_b32_e32 v52, v49
	s_delay_alu instid0(VALU_DEP_1) | instskip(NEXT) | instid1(VALU_DEP_1)
	v_pk_add_f32 v[52:53], v[48:49], v[52:53]
	v_pk_add_f32 v[50:51], v[50:51], v[52:53]
	s_delay_alu instid0(VALU_DEP_1) | instskip(NEXT) | instid1(VALU_DEP_1)
	v_dual_mov_b32 v45, v52 :: v_dual_mov_b32 v49, v50
	v_pk_add_f32 v[54:55], v[48:49], v[46:47] neg_lo:[0,1] neg_hi:[0,1]
	s_delay_alu instid0(VALU_DEP_1) | instskip(NEXT) | instid1(VALU_DEP_2)
	v_sub_f32_e32 v13, v48, v54
	v_pk_add_f32 v[44:45], v[44:45], v[54:55] neg_lo:[0,1] neg_hi:[0,1]
	s_delay_alu instid0(VALU_DEP_2) | instskip(NEXT) | instid1(VALU_DEP_1)
	v_sub_f32_e32 v13, v46, v13
	v_add_f32_e32 v13, v44, v13
	s_delay_alu instid0(VALU_DEP_1) | instskip(NEXT) | instid1(VALU_DEP_1)
	v_add_f32_e32 v13, v13, v45
	v_add_f32_e32 v13, v50, v13
	s_delay_alu instid0(VALU_DEP_1) | instskip(SKIP_1) | instid1(VALU_DEP_2)
	v_cndmask_b32_e32 v13, 0x7f800000, v13, vcc_lo
	v_cmp_ngt_f32_e32 vcc_lo, -1.0, v34
	v_cndmask_b32_e32 v13, 0x7fc00000, v13, vcc_lo
	v_cmp_neq_f32_e32 vcc_lo, -1.0, v34
	s_delay_alu instid0(VALU_DEP_2) | instskip(SKIP_1) | instid1(VALU_DEP_2)
	v_cndmask_b32_e32 v13, 0xff800000, v13, vcc_lo
	v_cmp_gt_f32_e64 vcc_lo, 0x33800000, |v34|
	v_cndmask_b32_e32 v13, v13, v34, vcc_lo
.LBB43_729:                             ;   in Loop: Header=BB43_401 Depth=1
	s_and_not1_saveexec_b32 s34, s34
	s_cbranch_execz .LBB43_731
; %bb.730:                              ;   in Loop: Header=BB43_401 Depth=1
	v_sub_f32_e64 v13, 1.0, |v24|
	s_delay_alu instid0(VALU_DEP_1) | instskip(NEXT) | instid1(VALU_DEP_1)
	v_mul_f32_e32 v13, v13, v40
	v_mul_f32_e32 v15, 0x4f800000, v13
	v_cmp_gt_f32_e32 vcc_lo, 0xf800000, v13
	s_delay_alu instid0(VALU_DEP_2) | instskip(NEXT) | instid1(VALU_DEP_1)
	v_cndmask_b32_e32 v13, v13, v15, vcc_lo
	v_sqrt_f32_e32 v15, v13
	v_nop
	s_delay_alu instid0(TRANS32_DEP_1) | instskip(NEXT) | instid1(VALU_DEP_1)
	v_dual_add_nc_u32 v29, -1, v15 :: v_dual_add_nc_u32 v34, 1, v15
	v_dual_fma_f32 v35, -v29, v15, v13 :: v_dual_fma_f32 v44, -v34, v15, v13
	s_delay_alu instid0(VALU_DEP_1) | instskip(NEXT) | instid1(VALU_DEP_1)
	v_cmp_ge_f32_e64 s7, 0, v35
	v_cndmask_b32_e64 v15, v15, v29, s7
	s_delay_alu instid0(VALU_DEP_3) | instskip(NEXT) | instid1(VALU_DEP_1)
	v_cmp_lt_f32_e64 s7, 0, v44
	v_cndmask_b32_e64 v15, v15, v34, s7
	s_delay_alu instid0(VALU_DEP_1) | instskip(NEXT) | instid1(VALU_DEP_1)
	v_mul_f32_e32 v29, 0x37800000, v15
	v_cndmask_b32_e32 v15, v15, v29, vcc_lo
	v_cmp_class_f32_e64 vcc_lo, v13, 0x260
	v_and_b32_e32 v29, 0x7fffffff, v25
	s_delay_alu instid0(VALU_DEP_3) | instskip(NEXT) | instid1(VALU_DEP_1)
	v_cndmask_b32_e32 v13, v15, v13, vcc_lo
	v_div_scale_f32 v15, null, v13, v13, v29
	v_div_scale_f32 v29, vcc_lo, v29, v13, v29
	s_delay_alu instid0(VALU_DEP_2) | instskip(SKIP_1) | instid1(TRANS32_DEP_1)
	v_rcp_f32_e32 v34, v15
	v_nop
	v_fma_f32 v35, -v15, v34, 1.0
	s_delay_alu instid0(VALU_DEP_1) | instskip(NEXT) | instid1(VALU_DEP_1)
	v_fmac_f32_e32 v34, v35, v34
	v_mul_f32_e32 v35, v29, v34
	s_delay_alu instid0(VALU_DEP_1) | instskip(NEXT) | instid1(VALU_DEP_1)
	v_fma_f32 v44, -v15, v35, v29
	v_fmac_f32_e32 v35, v44, v34
	s_delay_alu instid0(VALU_DEP_1) | instskip(NEXT) | instid1(VALU_DEP_1)
	v_fma_f32 v15, -v15, v35, v29
	v_div_fmas_f32 v15, v15, v34, v35
	s_delay_alu instid0(VALU_DEP_1)
	v_div_fixup_f32 v13, v15, v13, |v25|
.LBB43_731:                             ;   in Loop: Header=BB43_401 Depth=1
	s_or_b32 exec_lo, exec_lo, s34
.LBB43_732:                             ;   in Loop: Header=BB43_401 Depth=1
	s_delay_alu instid0(SALU_CYCLE_1)
	s_or_b32 exec_lo, exec_lo, s33
.LBB43_733:                             ;   in Loop: Header=BB43_401 Depth=1
	s_and_not1_saveexec_b32 s31, s31
	s_cbranch_execz .LBB43_735
; %bb.734:                              ;   in Loop: Header=BB43_401 Depth=1
	v_mul_f32_e64 v13, 0x4f800000, |v25|
	v_cmp_gt_f32_e64 vcc_lo, 0xf800000, |v25|
	s_delay_alu instid0(VALU_DEP_1) | instskip(NEXT) | instid1(VALU_DEP_1)
	v_cndmask_b32_e64 v13, |v25|, v13, vcc_lo
	v_sqrt_f32_e32 v15, v13
	v_nop
	s_delay_alu instid0(TRANS32_DEP_1) | instskip(NEXT) | instid1(VALU_DEP_1)
	v_dual_add_nc_u32 v29, -1, v15 :: v_dual_add_nc_u32 v34, 1, v15
	v_dual_fma_f32 v35, -v29, v15, v13 :: v_dual_fma_f32 v44, -v34, v15, v13
	s_delay_alu instid0(VALU_DEP_1) | instskip(NEXT) | instid1(VALU_DEP_1)
	v_cmp_ge_f32_e64 s7, 0, v35
	v_cndmask_b32_e64 v15, v15, v29, s7
	s_delay_alu instid0(VALU_DEP_3) | instskip(NEXT) | instid1(VALU_DEP_1)
	v_cmp_lt_f32_e64 s7, 0, v44
	v_cndmask_b32_e64 v15, v15, v34, s7
	s_delay_alu instid0(VALU_DEP_1) | instskip(NEXT) | instid1(VALU_DEP_1)
	v_mul_f32_e32 v29, 0x37800000, v15
	v_cndmask_b32_e32 v15, v15, v29, vcc_lo
	v_cmp_class_f32_e64 vcc_lo, v13, 0x260
	s_delay_alu instid0(VALU_DEP_2)
	v_cndmask_b32_e32 v13, v15, v13, vcc_lo
.LBB43_735:                             ;   in Loop: Header=BB43_401 Depth=1
	s_or_b32 exec_lo, exec_lo, s31
.LBB43_736:                             ;   in Loop: Header=BB43_401 Depth=1
	s_delay_alu instid0(SALU_CYCLE_1) | instskip(NEXT) | instid1(SALU_CYCLE_1)
	s_or_b32 exec_lo, exec_lo, s8
	s_mov_b32 s31, exec_lo
                                        ; implicit-def: $sgpr7
                                        ; implicit-def: $vgpr35
                                        ; implicit-def: $vgpr15
	v_cmpx_ngt_f32_e64 0x21000000, |v24|
	s_xor_b32 s31, exec_lo, s31
	s_cbranch_execz .LBB43_760
; %bb.737:                              ;   in Loop: Header=BB43_401 Depth=1
	v_and_b32_e32 v34, 0x7fffffff, v24
	s_mov_b32 s7, 0
	s_mov_b32 s33, exec_lo
	s_delay_alu instid0(VALU_DEP_1) | instskip(NEXT) | instid1(VALU_DEP_1)
	v_div_scale_f32 v15, null, v28, v28, v34
	v_rcp_f32_e32 v29, v15
	v_nop
	s_delay_alu instid0(TRANS32_DEP_1) | instskip(NEXT) | instid1(VALU_DEP_1)
	v_fma_f32 v35, -v15, v29, 1.0
	v_fmac_f32_e32 v29, v35, v29
	v_div_scale_f32 v35, vcc_lo, v34, v28, v34
	s_delay_alu instid0(VALU_DEP_1) | instskip(NEXT) | instid1(VALU_DEP_1)
	v_mul_f32_e32 v44, v35, v29
	v_fma_f32 v45, -v15, v44, v35
	s_delay_alu instid0(VALU_DEP_1) | instskip(NEXT) | instid1(VALU_DEP_1)
	v_fmac_f32_e32 v44, v45, v29
	v_fma_f32 v15, -v15, v44, v35
	s_delay_alu instid0(VALU_DEP_1) | instskip(NEXT) | instid1(VALU_DEP_1)
	v_div_fmas_f32 v15, v15, v29, v44
	v_div_fixup_f32 v15, v15, v28, |v24|
	s_delay_alu instid0(VALU_DEP_1)
	v_cmpx_lt_f32_e32 0x3f244674, v15
	s_cbranch_execz .LBB43_759
; %bb.738:                              ;   in Loop: Header=BB43_401 Depth=1
	v_cmp_neq_f32_e64 s7, |v24|, 1.0
	v_cmp_ngt_f32_e64 s8, 0x30800000, |v25|
	s_or_b32 s7, s8, s7
	s_delay_alu instid0(SALU_CYCLE_1) | instskip(NEXT) | instid1(SALU_CYCLE_1)
	s_and_saveexec_b32 s8, s7
	s_xor_b32 s8, exec_lo, s8
	s_cbranch_execz .LBB43_756
; %bb.739:                              ;   in Loop: Header=BB43_401 Depth=1
	v_mul_f32_e64 v29, 0x34000000, |v39|
	s_mov_b32 s34, exec_lo
	s_delay_alu instid0(VALU_DEP_1)
	v_cmpx_ge_f32_e64 |v25|, v29
	s_xor_b32 s34, exec_lo, s34
	s_cbranch_execz .LBB43_749
; %bb.740:                              ;   in Loop: Header=BB43_401 Depth=1
	v_mov_b32_e32 v29, v42
	s_mov_b32 s7, exec_lo
	v_cmpx_neq_f32_e32 0, v40
	s_cbranch_execz .LBB43_742
; %bb.741:                              ;   in Loop: Header=BB43_401 Depth=1
	v_dual_mul_f32 v29, v25, v25 :: v_dual_add_f32 v35, v40, v43
	s_delay_alu instid0(VALU_DEP_1) | instskip(NEXT) | instid1(VALU_DEP_1)
	v_div_scale_f32 v40, null, v35, v35, v29
	v_rcp_f32_e32 v43, v40
	v_nop
	s_delay_alu instid0(TRANS32_DEP_1) | instskip(NEXT) | instid1(VALU_DEP_1)
	v_fma_f32 v44, -v40, v43, 1.0
	v_fmac_f32_e32 v43, v44, v43
	v_div_scale_f32 v44, vcc_lo, v29, v35, v29
	s_delay_alu instid0(VALU_DEP_1) | instskip(NEXT) | instid1(VALU_DEP_1)
	v_mul_f32_e32 v45, v44, v43
	v_fma_f32 v46, -v40, v45, v44
	s_delay_alu instid0(VALU_DEP_1) | instskip(NEXT) | instid1(VALU_DEP_1)
	v_fmac_f32_e32 v45, v46, v43
	v_fma_f32 v40, -v40, v45, v44
	s_delay_alu instid0(VALU_DEP_1) | instskip(NEXT) | instid1(VALU_DEP_1)
	v_div_fmas_f32 v40, v40, v43, v45
	v_div_fixup_f32 v29, v40, v35, v29
.LBB43_742:                             ;   in Loop: Header=BB43_401 Depth=1
	s_or_b32 exec_lo, exec_lo, s7
	s_delay_alu instid0(SALU_CYCLE_1)
	s_mov_b32 s7, exec_lo
	v_cmpx_ngt_f32_e32 0, v39
	s_xor_b32 s7, exec_lo, s7
	s_cbranch_execz .LBB43_746
; %bb.743:                              ;   in Loop: Header=BB43_401 Depth=1
	s_mov_b32 s35, exec_lo
	v_cmpx_neq_f32_e32 0, v39
	s_cbranch_execz .LBB43_745
; %bb.744:                              ;   in Loop: Header=BB43_401 Depth=1
	v_mul_f32_e32 v25, v25, v25
	v_add_f32_e32 v35, v39, v41
	s_delay_alu instid0(VALU_DEP_1) | instskip(NEXT) | instid1(VALU_DEP_1)
	v_div_scale_f32 v39, null, v35, v35, v25
	v_rcp_f32_e32 v40, v39
	v_nop
	s_delay_alu instid0(TRANS32_DEP_1) | instskip(NEXT) | instid1(VALU_DEP_1)
	v_fma_f32 v41, -v39, v40, 1.0
	v_fmac_f32_e32 v40, v41, v40
	v_div_scale_f32 v41, vcc_lo, v25, v35, v25
	s_delay_alu instid0(VALU_DEP_1) | instskip(NEXT) | instid1(VALU_DEP_1)
	v_mul_f32_e32 v42, v41, v40
	v_fma_f32 v43, -v39, v42, v41
	s_delay_alu instid0(VALU_DEP_1) | instskip(NEXT) | instid1(VALU_DEP_1)
	v_fmac_f32_e32 v42, v43, v40
	v_fma_f32 v39, -v39, v42, v41
	s_delay_alu instid0(VALU_DEP_1) | instskip(NEXT) | instid1(VALU_DEP_1)
	v_div_fmas_f32 v39, v39, v40, v42
	v_div_fixup_f32 v42, v39, v35, v25
.LBB43_745:                             ;   in Loop: Header=BB43_401 Depth=1
	s_or_b32 exec_lo, exec_lo, s35
                                        ; implicit-def: $vgpr41
                                        ; implicit-def: $vgpr39
.LBB43_746:                             ;   in Loop: Header=BB43_401 Depth=1
	s_and_not1_saveexec_b32 s7, s7
; %bb.747:                              ;   in Loop: Header=BB43_401 Depth=1
	v_sub_f32_e32 v42, v41, v39
; %bb.748:                              ;   in Loop: Header=BB43_401 Depth=1
	s_or_b32 exec_lo, exec_lo, s7
	s_delay_alu instid0(VALU_DEP_1) | instskip(SKIP_1) | instid1(VALU_DEP_1)
	v_dual_mul_f32 v25, 0.5, v29 :: v_dual_mul_f32 v29, 0.5, v42
	v_and_b32_e32 v24, 0x7fffffff, v24
                                        ; implicit-def: $vgpr40
	v_pk_add_f32 v[24:25], v[24:25], v[28:29]
	s_delay_alu instid0(VALU_DEP_1) | instskip(NEXT) | instid1(VALU_DEP_1)
	v_mul_f32_e32 v24, v24, v25
	v_mul_f32_e32 v25, 0x4f800000, v24
	v_cmp_gt_f32_e32 vcc_lo, 0xf800000, v24
	s_delay_alu instid0(VALU_DEP_2) | instskip(NEXT) | instid1(VALU_DEP_1)
	v_cndmask_b32_e32 v24, v24, v25, vcc_lo
	v_sqrt_f32_e32 v25, v24
	v_nop
	s_delay_alu instid0(TRANS32_DEP_1) | instskip(NEXT) | instid1(VALU_DEP_1)
	v_dual_add_nc_u32 v28, -1, v25 :: v_dual_add_nc_u32 v29, 1, v25
	v_dual_fma_f32 v35, -v28, v25, v24 :: v_dual_fma_f32 v39, -v29, v25, v24
	s_delay_alu instid0(VALU_DEP_1) | instskip(NEXT) | instid1(VALU_DEP_1)
	v_cmp_ge_f32_e64 s7, 0, v35
	v_cndmask_b32_e64 v25, v25, v28, s7
	s_delay_alu instid0(VALU_DEP_3) | instskip(NEXT) | instid1(VALU_DEP_1)
	v_cmp_lt_f32_e64 s7, 0, v39
                                        ; implicit-def: $vgpr39
	v_cndmask_b32_e64 v25, v25, v29, s7
	s_delay_alu instid0(VALU_DEP_1) | instskip(NEXT) | instid1(VALU_DEP_1)
	v_mul_f32_e32 v28, 0x37800000, v25
	v_cndmask_b32_e32 v25, v25, v28, vcc_lo
	v_cmp_class_f32_e64 vcc_lo, v24, 0x260
	s_delay_alu instid0(VALU_DEP_2)
	v_cndmask_b32_e32 v35, v25, v24, vcc_lo
                                        ; implicit-def: $vgpr25
.LBB43_749:                             ;   in Loop: Header=BB43_401 Depth=1
	s_and_not1_saveexec_b32 s34, s34
	s_cbranch_execz .LBB43_755
; %bb.750:                              ;   in Loop: Header=BB43_401 Depth=1
	s_mov_b32 s35, exec_lo
	v_cmpx_ngt_f32_e64 |v24|, 1.0
	s_xor_b32 s35, exec_lo, s35
	s_cbranch_execz .LBB43_752
; %bb.751:                              ;   in Loop: Header=BB43_401 Depth=1
	v_sub_f32_e64 v24, 1.0, |v24|
	s_delay_alu instid0(VALU_DEP_1) | instskip(NEXT) | instid1(VALU_DEP_1)
	v_mul_f32_e32 v24, v24, v40
                                        ; implicit-def: $vgpr40
	v_mul_f32_e32 v25, 0x4f800000, v24
	v_cmp_gt_f32_e32 vcc_lo, 0xf800000, v24
	s_delay_alu instid0(VALU_DEP_2) | instskip(NEXT) | instid1(VALU_DEP_1)
	v_cndmask_b32_e32 v24, v24, v25, vcc_lo
	v_sqrt_f32_e32 v25, v24
	v_nop
	s_delay_alu instid0(TRANS32_DEP_1) | instskip(NEXT) | instid1(VALU_DEP_1)
	v_dual_add_nc_u32 v28, -1, v25 :: v_dual_add_nc_u32 v29, 1, v25
	v_dual_fma_f32 v35, -v28, v25, v24 :: v_dual_fma_f32 v39, -v29, v25, v24
	s_delay_alu instid0(VALU_DEP_1) | instskip(NEXT) | instid1(VALU_DEP_1)
	v_cmp_ge_f32_e64 s7, 0, v35
	v_cndmask_b32_e64 v25, v25, v28, s7
	s_delay_alu instid0(VALU_DEP_3) | instskip(NEXT) | instid1(VALU_DEP_1)
	v_cmp_lt_f32_e64 s7, 0, v39
                                        ; implicit-def: $vgpr39
	v_cndmask_b32_e64 v25, v25, v29, s7
	s_delay_alu instid0(VALU_DEP_1) | instskip(NEXT) | instid1(VALU_DEP_1)
	v_mul_f32_e32 v28, 0x37800000, v25
	v_cndmask_b32_e32 v25, v25, v28, vcc_lo
	v_cmp_class_f32_e64 vcc_lo, v24, 0x260
	s_delay_alu instid0(VALU_DEP_2)
	v_cndmask_b32_e32 v35, v25, v24, vcc_lo
                                        ; implicit-def: $vgpr25
.LBB43_752:                             ;   in Loop: Header=BB43_401 Depth=1
	s_and_not1_saveexec_b32 s35, s35
	s_cbranch_execz .LBB43_754
; %bb.753:                              ;   in Loop: Header=BB43_401 Depth=1
	v_mul_f32_e32 v28, v40, v39
	v_mul_f32_e64 v25, 0x57800000, |v25|
	s_delay_alu instid0(VALU_DEP_2) | instskip(SKIP_1) | instid1(VALU_DEP_3)
	v_mul_f32_e32 v29, 0x4f800000, v28
	v_cmp_gt_f32_e32 vcc_lo, 0xf800000, v28
	v_mul_f32_e64 v25, |v24|, v25
	s_delay_alu instid0(VALU_DEP_3) | instskip(NEXT) | instid1(VALU_DEP_1)
	v_cndmask_b32_e32 v28, v28, v29, vcc_lo
	v_sqrt_f32_e32 v29, v28
	v_nop
	s_delay_alu instid0(TRANS32_DEP_1) | instskip(NEXT) | instid1(VALU_DEP_1)
	v_dual_add_nc_u32 v34, -1, v29 :: v_dual_add_nc_u32 v35, 1, v29
	v_dual_fma_f32 v39, -v34, v29, v28 :: v_dual_fma_f32 v40, -v35, v29, v28
	s_delay_alu instid0(VALU_DEP_1) | instskip(NEXT) | instid1(VALU_DEP_1)
	v_cmp_ge_f32_e64 s7, 0, v39
	v_cndmask_b32_e64 v29, v29, v34, s7
	s_delay_alu instid0(VALU_DEP_3) | instskip(NEXT) | instid1(VALU_DEP_1)
	v_cmp_lt_f32_e64 s7, 0, v40
	v_cndmask_b32_e64 v29, v29, v35, s7
	s_delay_alu instid0(VALU_DEP_1) | instskip(NEXT) | instid1(VALU_DEP_1)
	v_mul_f32_e32 v34, 0x37800000, v29
	v_cndmask_b32_e32 v29, v29, v34, vcc_lo
	v_cmp_class_f32_e64 vcc_lo, v28, 0x260
	s_delay_alu instid0(VALU_DEP_2) | instskip(NEXT) | instid1(VALU_DEP_1)
	v_cndmask_b32_e32 v28, v29, v28, vcc_lo
	v_div_scale_f32 v29, null, v28, v28, v25
	v_div_scale_f32 v39, vcc_lo, v25, v28, v25
	s_delay_alu instid0(VALU_DEP_2) | instskip(SKIP_1) | instid1(TRANS32_DEP_1)
	v_rcp_f32_e32 v34, v29
	v_nop
	v_fma_f32 v35, -v29, v34, 1.0
	s_delay_alu instid0(VALU_DEP_1) | instskip(NEXT) | instid1(VALU_DEP_1)
	v_fmac_f32_e32 v34, v35, v34
	v_mul_f32_e32 v35, v39, v34
	s_delay_alu instid0(VALU_DEP_1) | instskip(NEXT) | instid1(VALU_DEP_1)
	v_fma_f32 v40, -v29, v35, v39
	v_fmac_f32_e32 v35, v40, v34
	s_delay_alu instid0(VALU_DEP_1) | instskip(NEXT) | instid1(VALU_DEP_1)
	v_fma_f32 v29, -v29, v35, v39
	v_div_fmas_f32 v29, v29, v34, v35
	v_mul_f32_e64 v34, 0x57800000, |v24|
	s_delay_alu instid0(VALU_DEP_2)
	v_div_fixup_f32 v35, v29, v28, v25
.LBB43_754:                             ;   in Loop: Header=BB43_401 Depth=1
	s_or_b32 exec_lo, exec_lo, s35
.LBB43_755:                             ;   in Loop: Header=BB43_401 Depth=1
	s_delay_alu instid0(SALU_CYCLE_1)
	s_or_b32 exec_lo, exec_lo, s34
                                        ; implicit-def: $vgpr25
                                        ; implicit-def: $vgpr28
.LBB43_756:                             ;   in Loop: Header=BB43_401 Depth=1
	s_and_not1_saveexec_b32 s34, s8
	s_cbranch_execz .LBB43_758
; %bb.757:                              ;   in Loop: Header=BB43_401 Depth=1
	v_add_f32_e32 v24, 1.0, v28
	v_mul_f32_e64 v28, 0x4f800000, |v25|
	v_cmp_gt_f32_e64 vcc_lo, 0xf800000, |v25|
	s_delay_alu instid0(VALU_DEP_1) | instskip(NEXT) | instid1(VALU_DEP_1)
	v_cndmask_b32_e64 v25, |v25|, v28, vcc_lo
	v_sqrt_f32_e32 v28, v25
	v_nop
	s_delay_alu instid0(TRANS32_DEP_1) | instskip(SKIP_2) | instid1(VALU_DEP_2)
	v_add_nc_u32_e32 v34, -1, v28
	v_mul_f32_e32 v24, 0.5, v24
	v_add_nc_u32_e32 v39, 1, v28
	v_mul_f32_e32 v29, 0x4f800000, v24
	v_cmp_gt_f32_e64 s7, 0xf800000, v24
	s_delay_alu instid0(VALU_DEP_1) | instskip(NEXT) | instid1(VALU_DEP_1)
	v_cndmask_b32_e64 v24, v24, v29, s7
	v_sqrt_f32_e32 v29, v24
	v_nop
	s_delay_alu instid0(TRANS32_DEP_1) | instskip(SKIP_1) | instid1(VALU_DEP_2)
	v_dual_fma_f32 v40, -v34, v28, v25 :: v_dual_add_nc_u32 v41, 1, v29
	v_add_nc_u32_e32 v35, -1, v29
	v_cmp_ge_f32_e64 s8, 0, v40
	v_fma_f32 v43, -v39, v28, v25
	s_delay_alu instid0(VALU_DEP_2) | instskip(SKIP_1) | instid1(VALU_DEP_2)
	v_dual_fma_f32 v42, -v35, v29, v24 :: v_dual_cndmask_b32 v28, v28, v34, s8
	v_fma_f32 v34, -v41, v29, v24
	v_cmp_ge_f32_e64 s8, 0, v42
	s_delay_alu instid0(VALU_DEP_1) | instskip(SKIP_1) | instid1(VALU_DEP_1)
	v_cndmask_b32_e64 v29, v29, v35, s8
	v_cmp_lt_f32_e64 s8, 0, v43
	v_cndmask_b32_e64 v28, v28, v39, s8
	v_cmp_lt_f32_e64 s8, 0, v34
	s_delay_alu instid0(VALU_DEP_2) | instskip(NEXT) | instid1(VALU_DEP_1)
	v_mul_f32_e32 v34, 0x37800000, v28
	v_cndmask_b32_e32 v28, v28, v34, vcc_lo
	v_cmp_class_f32_e64 vcc_lo, v25, 0x260
	s_delay_alu instid0(VALU_DEP_2) | instskip(SKIP_2) | instid1(VALU_DEP_2)
	v_dual_mov_b32 v34, 1.0 :: v_dual_cndmask_b32 v25, v28, v25
	v_cndmask_b32_e64 v29, v29, v41, s8
	v_cmp_class_f32_e64 vcc_lo, v24, 0x260
	v_mul_f32_e32 v35, 0x37800000, v29
	s_delay_alu instid0(VALU_DEP_1) | instskip(NEXT) | instid1(VALU_DEP_1)
	v_cndmask_b32_e64 v29, v29, v35, s7
	v_cndmask_b32_e32 v24, v29, v24, vcc_lo
	s_delay_alu instid0(VALU_DEP_1)
	v_mul_f32_e32 v35, v25, v24
.LBB43_758:                             ;   in Loop: Header=BB43_401 Depth=1
	s_or_b32 exec_lo, exec_lo, s34
	s_delay_alu instid0(SALU_CYCLE_1)
	s_mov_b32 s7, exec_lo
.LBB43_759:                             ;   in Loop: Header=BB43_401 Depth=1
	s_or_b32 exec_lo, exec_lo, s33
                                        ; implicit-def: $vgpr24
                                        ; implicit-def: $vgpr28
.LBB43_760:                             ;   in Loop: Header=BB43_401 Depth=1
	s_and_not1_saveexec_b32 s8, s31
; %bb.761:                              ;   in Loop: Header=BB43_401 Depth=1
	v_and_b32_e32 v24, 0x7fffffff, v24
	v_mov_b32_e32 v25, v28
	s_or_b32 s7, s7, exec_lo
                                        ; implicit-def: $vgpr15
	s_delay_alu instid0(VALU_DEP_1)
	v_pk_mul_f32 v[34:35], v[24:25], s[24:25] op_sel_hi:[1,0]
; %bb.762:                              ;   in Loop: Header=BB43_401 Depth=1
	s_or_b32 exec_lo, exec_lo, s8
	s_xor_b32 s7, s7, -1
                                        ; implicit-def: $vgpr28
	s_delay_alu instid0(SALU_CYCLE_1) | instskip(NEXT) | instid1(SALU_CYCLE_1)
	s_and_saveexec_b32 s8, s7
	s_xor_b32 s8, exec_lo, s8
	s_cbranch_execz .LBB43_768
; %bb.763:                              ;   in Loop: Header=BB43_401 Depth=1
                                        ; implicit-def: $vgpr28
	s_and_saveexec_b32 s7, s6
	s_delay_alu instid0(SALU_CYCLE_1)
	s_xor_b32 s7, exec_lo, s7
	s_cbranch_execz .LBB43_765
; %bb.764:                              ;   in Loop: Header=BB43_401 Depth=1
	v_fma_f32 v24, |v15|, -0.5, 0.5
	v_mul_f32_e32 v25, v15, v15
	v_cmp_gt_f32_e64 vcc_lo, |v15|, 0.5
	s_delay_alu instid0(VALU_DEP_2) | instskip(NEXT) | instid1(VALU_DEP_1)
	v_cndmask_b32_e32 v24, v25, v24, vcc_lo
	v_fmaak_f32 v25, s25, v24, 0x3c5fc5da
	v_sqrt_f32_e32 v28, v24
	s_delay_alu instid0(VALU_DEP_1) | instskip(NEXT) | instid1(VALU_DEP_1)
	v_fmaak_f32 v25, v24, v25, 0x3d034c3c
	v_fmaak_f32 v25, v24, v25, 0x3d3641b1
	s_delay_alu instid0(VALU_DEP_1) | instskip(NEXT) | instid1(VALU_DEP_1)
	v_fmaak_f32 v25, v24, v25, 0x3d999bc8
	v_fmaak_f32 v25, v24, v25, 0x3e2aaaac
	s_delay_alu instid0(VALU_DEP_1)
	v_mul_f32_e32 v24, v24, v25
	s_delay_alu instid0(TRANS32_DEP_1) | instid1(VALU_DEP_1)
	v_dual_fmac_f32 v28, v28, v24 :: v_dual_fmac_f32 v15, v15, v24
	s_delay_alu instid0(VALU_DEP_1) | instskip(NEXT) | instid1(VALU_DEP_1)
	v_dual_add_f32 v24, v28, v28 :: v_dual_sub_f32 v15, 0x3fc90fdb, v15
	v_cndmask_b32_e32 v28, v15, v24, vcc_lo
                                        ; implicit-def: $vgpr15
.LBB43_765:                             ;   in Loop: Header=BB43_401 Depth=1
	s_and_not1_saveexec_b32 s31, s7
	s_cbranch_execz .LBB43_767
; %bb.766:                              ;   in Loop: Header=BB43_401 Depth=1
	v_fma_f32 v24, |v15|, -0.5, 0.5
	v_mul_f32_e32 v25, v15, v15
	v_cmp_gt_f32_e64 vcc_lo, |v15|, 0.5
	v_cmp_lt_f32_e64 s7, 0, v15
	s_delay_alu instid0(VALU_DEP_3) | instskip(NEXT) | instid1(VALU_DEP_1)
	v_cndmask_b32_e32 v24, v25, v24, vcc_lo
	v_fmaak_f32 v25, s25, v24, 0x3c5fc5da
	v_sqrt_f32_e32 v28, v24
	s_delay_alu instid0(VALU_DEP_1) | instskip(NEXT) | instid1(VALU_DEP_1)
	v_fmaak_f32 v25, v24, v25, 0x3d034c3c
	v_fmaak_f32 v25, v24, v25, 0x3d3641b1
	s_delay_alu instid0(VALU_DEP_1) | instskip(NEXT) | instid1(VALU_DEP_1)
	v_fmaak_f32 v25, v24, v25, 0x3d999bc8
	v_fmaak_f32 v25, v24, v25, 0x3e2aaaac
	s_delay_alu instid0(VALU_DEP_1)
	v_mul_f32_e32 v24, v24, v25
	s_delay_alu instid0(TRANS32_DEP_1) | instid1(VALU_DEP_1)
	v_dual_fmac_f32 v28, v28, v24 :: v_dual_fma_f32 v24, -v15, v24, -v15
	s_delay_alu instid0(VALU_DEP_1) | instskip(NEXT) | instid1(VALU_DEP_2)
	v_add_f32_e32 v25, v28, v28
	v_sub_f32_e32 v24, 0x3fc90fdb, v24
	s_delay_alu instid0(VALU_DEP_2) | instskip(NEXT) | instid1(VALU_DEP_1)
	v_sub_f32_e32 v28, 0x40490fdb, v25
	v_cndmask_b32_e64 v15, v25, v28, s7
	s_delay_alu instid0(VALU_DEP_1)
	v_cndmask_b32_e32 v28, v24, v15, vcc_lo
.LBB43_767:                             ;   in Loop: Header=BB43_401 Depth=1
	s_or_b32 exec_lo, exec_lo, s31
                                        ; implicit-def: $vgpr34
.LBB43_768:                             ;   in Loop: Header=BB43_401 Depth=1
	s_and_not1_saveexec_b32 s7, s8
	s_cbranch_execz .LBB43_774
; %bb.769:                              ;   in Loop: Header=BB43_401 Depth=1
	v_max_num_f32_e64 v15, |v35|, |v35|
	v_max_num_f32_e32 v24, v34, v34
	v_cmp_gt_f32_e64 vcc_lo, |v35|, v34
	s_delay_alu instid0(VALU_DEP_2) | instskip(NEXT) | instid1(VALU_DEP_1)
	v_dual_max_num_f32 v25, v24, v15 :: v_dual_min_num_f32 v15, v24, v15
	v_frexp_mant_f32_e32 v28, v25
	v_frexp_exp_i32_f32_e32 v25, v25
	s_delay_alu instid0(VALU_DEP_2)
	v_rcp_f32_e32 v24, v28
	v_nop
	v_frexp_mant_f32_e32 v28, v15
	v_frexp_exp_i32_f32_e32 v15, v15
	s_delay_alu instid0(TRANS32_DEP_1) | instid1(VALU_DEP_1)
	v_dual_mul_f32 v24, v28, v24 :: v_dual_sub_nc_u32 v15, v15, v25
                                        ; implicit-def: $vgpr28
	s_delay_alu instid0(VALU_DEP_1) | instskip(NEXT) | instid1(VALU_DEP_1)
	v_ldexp_f32 v15, v24, v15
	v_mul_f32_e32 v24, v15, v15
	s_delay_alu instid0(VALU_DEP_1) | instskip(NEXT) | instid1(VALU_DEP_1)
	v_fmaak_f32 v25, s26, v24, 0xbc7a590c
	v_fmaak_f32 v25, v24, v25, 0x3d29fb3f
	s_delay_alu instid0(VALU_DEP_1) | instskip(NEXT) | instid1(VALU_DEP_1)
	v_fmaak_f32 v25, v24, v25, 0xbd97d4d7
	v_fmaak_f32 v25, v24, v25, 0x3dd931b2
	;; [unrolled: 3-line block ×3, first 2 shown]
	s_delay_alu instid0(VALU_DEP_1) | instskip(NEXT) | instid1(VALU_DEP_1)
	v_fmaak_f32 v25, v24, v25, 0xbeaaaa62
	v_mul_f32_e32 v24, v24, v25
	s_delay_alu instid0(VALU_DEP_1) | instskip(NEXT) | instid1(VALU_DEP_1)
	v_fmac_f32_e32 v15, v15, v24
	v_sub_f32_e32 v24, 0x3fc90fdb, v15
	s_delay_alu instid0(VALU_DEP_1) | instskip(SKIP_1) | instid1(SALU_CYCLE_1)
	v_cndmask_b32_e32 v15, v15, v24, vcc_lo
	s_and_saveexec_b32 s8, s6
	s_xor_b32 s8, exec_lo, s8
	s_cbranch_execz .LBB43_771
; %bb.770:                              ;   in Loop: Header=BB43_401 Depth=1
	v_cmp_neq_f32_e64 s6, 0, v35
	v_cmp_eq_f32_e32 vcc_lo, 0x7f800000, v34
	v_cmp_class_f32_e64 s31, v35, 0x204
	s_delay_alu instid0(VALU_DEP_3) | instskip(SKIP_2) | instid1(VALU_DEP_2)
	v_cndmask_b32_e64 v15, 0, v15, s6
	s_and_b32 s6, vcc_lo, s31
	v_cmp_o_f32_e32 vcc_lo, v35, v35
	v_cndmask_b32_e64 v15, v15, 0x3f490fdb, s6
	s_delay_alu instid0(VALU_DEP_1) | instskip(NEXT) | instid1(VALU_DEP_1)
	v_cndmask_b32_e32 v15, 0x7fc00000, v15, vcc_lo
	v_bfi_b32 v28, 0x7fffffff, v15, v35
                                        ; implicit-def: $vgpr15
                                        ; implicit-def: $vgpr34
.LBB43_771:                             ;   in Loop: Header=BB43_401 Depth=1
	s_and_not1_saveexec_b32 s8, s8
	s_cbranch_execz .LBB43_773
; %bb.772:                              ;   in Loop: Header=BB43_401 Depth=1
	v_sub_f32_e32 v24, 0x40490fdb, v15
	v_cmp_lt_f32_e32 vcc_lo, 0, v34
	v_cmp_neq_f32_e64 s6, 0, v35
	v_cmp_class_f32_e64 s31, v35, 0x204
	s_delay_alu instid0(VALU_DEP_4) | instskip(SKIP_1) | instid1(VALU_DEP_2)
	v_cndmask_b32_e32 v15, v15, v24, vcc_lo
	v_cmp_eq_f32_e32 vcc_lo, 0x7f800000, v34
	v_cndmask_b32_e64 v15, 0x40490fdb, v15, s6
	s_and_b32 s6, vcc_lo, s31
	v_cmp_o_f32_e32 vcc_lo, v35, v35
	s_delay_alu instid0(VALU_DEP_2) | instskip(NEXT) | instid1(VALU_DEP_1)
	v_cndmask_b32_e64 v15, v15, 0x4016cbe4, s6
	v_cndmask_b32_e32 v15, 0x7fc00000, v15, vcc_lo
	s_delay_alu instid0(VALU_DEP_1)
	v_bfi_b32 v28, 0x7fffffff, v15, v35
.LBB43_773:                             ;   in Loop: Header=BB43_401 Depth=1
	s_or_b32 exec_lo, exec_lo, s8
.LBB43_774:                             ;   in Loop: Header=BB43_401 Depth=1
	s_delay_alu instid0(SALU_CYCLE_1)
	s_or_b32 exec_lo, exec_lo, s7
	v_cndmask_b32_e64 v29, -v13, v13, s4
                                        ; implicit-def: $vgpr24
.LBB43_775:                             ;   in Loop: Header=BB43_401 Depth=1
	s_and_not1_saveexec_b32 s6, s30
	s_cbranch_execz .LBB43_777
; %bb.776:                              ;   in Loop: Header=BB43_401 Depth=1
	flat_load_b32 v13, v[6:7] scope:SCOPE_SYS
	s_wait_loadcnt_dscnt 0x0
	v_sub_f32_e32 v13, v13, v24
	s_delay_alu instid0(VALU_DEP_1)
	v_add_f32_e32 v28, 0x3fc90fdb, v13
.LBB43_777:                             ;   in Loop: Header=BB43_401 Depth=1
	s_or_b32 exec_lo, exec_lo, s6
.LBB43_778:                             ;   in Loop: Header=BB43_401 Depth=1
	s_and_not1_saveexec_b32 s6, s29
; %bb.779:                              ;   in Loop: Header=BB43_401 Depth=1
	v_mov_b32_e32 v28, 0
; %bb.780:                              ;   in Loop: Header=BB43_401 Depth=1
	s_or_b32 exec_lo, exec_lo, s6
                                        ; implicit-def: $vgpr24
                                        ; implicit-def: $vgpr34
                                        ; implicit-def: $vgpr13
                                        ; implicit-def: $vgpr15
.LBB43_781:                             ;   in Loop: Header=BB43_401 Depth=1
	s_and_not1_saveexec_b32 s8, s28
	s_cbranch_execz .LBB43_791
; %bb.782:                              ;   in Loop: Header=BB43_401 Depth=1
	v_cmp_lt_f32_e64 s6, |v24|, |v25|
                                        ; implicit-def: $vgpr29
                                        ; implicit-def: $vgpr28
	s_mov_b32 s7, exec_lo
	v_cndmask_b32_e64 v35, |v24|, |v25|, s6
	s_delay_alu instid0(VALU_DEP_1)
	v_cmpx_nlt_f32_e32 0x7effffff, v35
	s_xor_b32 s28, exec_lo, s7
	s_cbranch_execz .LBB43_788
; %bb.783:                              ;   in Loop: Header=BB43_401 Depth=1
	v_cndmask_b32_e64 v39, |v25|, |v24|, s6
	v_cmp_nlt_f32_e32 vcc_lo, 0x5e000000, v35
                                        ; implicit-def: $vgpr29
                                        ; implicit-def: $vgpr28
	s_delay_alu instid0(VALU_DEP_2) | instskip(SKIP_1) | instid1(SALU_CYCLE_1)
	v_cmp_ngt_f32_e64 s7, 0x20000000, v39
	s_and_b32 s7, vcc_lo, s7
	s_and_saveexec_b32 s29, s7
	s_delay_alu instid0(SALU_CYCLE_1)
	s_xor_b32 s29, exec_lo, s29
	s_cbranch_execz .LBB43_785
; %bb.784:                              ;   in Loop: Header=BB43_401 Depth=1
	s_wait_dscnt 0x0
	v_frexp_mant_f32_e32 v28, v15
	v_dual_min_num_f32 v13, v34, v13 :: v_dual_mul_f32 v34, v39, v39
	v_frexp_exp_i32_f32_e32 v15, v15
	s_delay_alu instid0(VALU_DEP_3) | instskip(NEXT) | instid1(VALU_DEP_2)
	v_rcp_f32_e32 v28, v28
	v_frexp_exp_i32_f32_e32 v29, v13
	v_frexp_mant_f32_e32 v13, v13
	v_fmac_f32_e32 v34, v35, v35
	s_delay_alu instid0(VALU_DEP_3)
	v_sub_nc_u32_e32 v15, v29, v15
	s_delay_alu instid0(TRANS32_DEP_1) | instid1(VALU_DEP_3)
	v_mul_f32_e32 v13, v13, v28
	s_delay_alu instid0(VALU_DEP_3) | instskip(NEXT) | instid1(VALU_DEP_2)
	v_cmp_gt_f32_e32 vcc_lo, 0x800000, v34
	v_ldexp_f32 v28, v13, v15
	v_cndmask_b32_e64 v13, 0, 32, vcc_lo
	s_delay_alu instid0(VALU_DEP_1) | instskip(NEXT) | instid1(VALU_DEP_1)
	v_ldexp_f32 v13, v34, v13
	v_log_f32_e32 v13, v13
	v_nop
	s_delay_alu instid0(TRANS32_DEP_1) | instskip(SKIP_1) | instid1(VALU_DEP_2)
	v_mul_f32_e32 v34, 0x3f317217, v13
	v_cmp_gt_f32_e64 s7, 0x7f800000, |v13|
	v_fma_f32 v34, 0x3f317217, v13, -v34
	s_delay_alu instid0(VALU_DEP_1) | instskip(NEXT) | instid1(VALU_DEP_1)
	v_dual_mul_f32 v15, v28, v28 :: v_dual_fmac_f32 v34, 0x3377d1cf, v13
	v_fmaak_f32 v29, s26, v15, 0xbc7a590c
	s_delay_alu instid0(VALU_DEP_2) | instskip(NEXT) | instid1(VALU_DEP_2)
	v_fmac_f32_e32 v34, 0x3f317217, v13
	v_fmaak_f32 v29, v15, v29, 0x3d29fb3f
	s_delay_alu instid0(VALU_DEP_1) | instskip(NEXT) | instid1(VALU_DEP_1)
	v_fmaak_f32 v29, v15, v29, 0xbd97d4d7
	v_fmaak_f32 v29, v15, v29, 0x3dd931b2
	s_delay_alu instid0(VALU_DEP_1) | instskip(NEXT) | instid1(VALU_DEP_1)
	v_fmaak_f32 v29, v15, v29, 0xbe1160e6
	v_fmaak_f32 v29, v15, v29, 0x3e4cb8bf
	s_delay_alu instid0(VALU_DEP_1) | instskip(SKIP_2) | instid1(VALU_DEP_1)
	v_fmaak_f32 v29, v15, v29, 0xbeaaaa62
	v_cndmask_b32_e64 v13, v13, v34, s7
	v_cndmask_b32_e64 v34, 0, 0x41b17218, vcc_lo
	v_dual_mul_f32 v15, v15, v29 :: v_dual_sub_f32 v13, v13, v34
                                        ; implicit-def: $vgpr34
	s_delay_alu instid0(VALU_DEP_1) | instskip(NEXT) | instid1(VALU_DEP_2)
	v_fmac_f32_e32 v28, v28, v15
                                        ; implicit-def: $vgpr15
	v_mul_f32_e32 v29, 0.5, v13
                                        ; implicit-def: $vgpr13
.LBB43_785:                             ;   in Loop: Header=BB43_401 Depth=1
	s_and_not1_saveexec_b32 s7, s29
	s_cbranch_execz .LBB43_787
; %bb.786:                              ;   in Loop: Header=BB43_401 Depth=1
	s_wait_dscnt 0x0
	v_cvt_f64_f32_e32 v[28:29], v15
	v_frexp_mant_f32_e32 v39, v15
	v_min_num_f32_e32 v13, v34, v13
	v_cmp_neq_f32_e32 vcc_lo, 0x7f800000, v15
	s_delay_alu instid0(VALU_DEP_3) | instskip(SKIP_1) | instid1(VALU_DEP_3)
	v_rcp_f32_e32 v34, v39
	v_nop
	v_frexp_exp_i32_f32_e32 v39, v13
	v_frexp_mant_f32_e32 v13, v13
	s_delay_alu instid0(TRANS32_DEP_1) | instid1(VALU_DEP_1)
	v_mul_f32_e32 v13, v13, v34
	v_frexp_exp_i32_f64_e32 v28, v[28:29]
	s_delay_alu instid0(VALU_DEP_1) | instskip(NEXT) | instid1(VALU_DEP_1)
	v_sub_nc_u32_e32 v29, 0, v28
	v_ldexp_f32 v35, |v25|, v29
	s_delay_alu instid0(VALU_DEP_1) | instskip(SKIP_1) | instid1(VALU_DEP_1)
	v_mul_f32_e32 v35, v35, v35
	v_ldexp_f32 v29, |v24|, v29
	v_fmac_f32_e32 v35, v29, v29
	v_frexp_exp_i32_f32_e32 v29, v15
	s_delay_alu instid0(VALU_DEP_1) | instskip(NEXT) | instid1(VALU_DEP_3)
	v_sub_nc_u32_e32 v29, v39, v29
	v_sqrt_f32_e32 v35, v35
	v_nop
	s_delay_alu instid0(TRANS32_DEP_1) | instskip(NEXT) | instid1(VALU_DEP_3)
	v_ldexp_f32 v34, v35, v28
	v_ldexp_f32 v28, v13, v29
	s_delay_alu instid0(VALU_DEP_2) | instskip(NEXT) | instid1(VALU_DEP_2)
	v_cndmask_b32_e32 v13, 0x7f800000, v34, vcc_lo
	v_mul_f32_e32 v15, v28, v28
	s_delay_alu instid0(VALU_DEP_2) | instskip(NEXT) | instid1(VALU_DEP_2)
	v_cmp_gt_f32_e32 vcc_lo, 0x800000, v13
	v_fmaak_f32 v34, s26, v15, 0xbc7a590c
	v_cndmask_b32_e64 v29, 0, 32, vcc_lo
	v_cndmask_b32_e64 v35, 0, 0x41b17218, vcc_lo
	s_delay_alu instid0(VALU_DEP_2) | instskip(NEXT) | instid1(VALU_DEP_4)
	v_ldexp_f32 v13, v13, v29
	v_fmaak_f32 v29, v15, v34, 0x3d29fb3f
	s_delay_alu instid0(VALU_DEP_2) | instskip(NEXT) | instid1(VALU_DEP_1)
	v_log_f32_e32 v13, v13
	v_fmaak_f32 v29, v15, v29, 0xbd97d4d7
	s_delay_alu instid0(VALU_DEP_1) | instskip(NEXT) | instid1(TRANS32_DEP_1)
	v_fmaak_f32 v29, v15, v29, 0x3dd931b2
	v_mul_f32_e32 v34, 0x3f317217, v13
	v_cmp_gt_f32_e64 vcc_lo, 0x7f800000, |v13|
	s_delay_alu instid0(VALU_DEP_3) | instskip(NEXT) | instid1(VALU_DEP_3)
	v_fmaak_f32 v29, v15, v29, 0xbe1160e6
	v_fma_f32 v34, 0x3f317217, v13, -v34
	s_delay_alu instid0(VALU_DEP_2) | instskip(NEXT) | instid1(VALU_DEP_2)
	v_fmaak_f32 v29, v15, v29, 0x3e4cb8bf
	v_fmac_f32_e32 v34, 0x3377d1cf, v13
	s_delay_alu instid0(VALU_DEP_2) | instskip(NEXT) | instid1(VALU_DEP_2)
	v_fmaak_f32 v29, v15, v29, 0xbeaaaa62
	v_fmac_f32_e32 v34, 0x3f317217, v13
	s_delay_alu instid0(VALU_DEP_1) | instskip(NEXT) | instid1(VALU_DEP_1)
	v_dual_mul_f32 v15, v15, v29 :: v_dual_cndmask_b32 v13, v13, v34, vcc_lo
	v_fmac_f32_e32 v28, v28, v15
	s_delay_alu instid0(VALU_DEP_2)
	v_sub_f32_e32 v29, v13, v35
.LBB43_787:                             ;   in Loop: Header=BB43_401 Depth=1
	s_or_b32 exec_lo, exec_lo, s7
                                        ; implicit-def: $vgpr34
                                        ; implicit-def: $vgpr13
                                        ; implicit-def: $vgpr15
.LBB43_788:                             ;   in Loop: Header=BB43_401 Depth=1
	s_and_not1_saveexec_b32 s28, s28
	s_cbranch_execz .LBB43_790
; %bb.789:                              ;   in Loop: Header=BB43_401 Depth=1
	v_div_scale_f32 v28, null, 0x402df854, 0x402df854, v24
	v_div_scale_f32 v29, null, 0x402df854, 0x402df854, v25
	v_div_scale_f32 v42, vcc_lo, v24, 0x402df854, v24
	s_delay_alu instid0(VALU_DEP_3) | instskip(NEXT) | instid1(VALU_DEP_2)
	v_rcp_f32_e32 v35, v28
	v_rcp_f32_e32 v39, v29
	v_min_num_f32_e32 v13, v34, v13
	s_delay_alu instid0(TRANS32_DEP_2) | instskip(NEXT) | instid1(TRANS32_DEP_1)
	v_fma_f32 v40, -v28, v35, 1.0
	v_fma_f32 v41, -v29, v39, 1.0
	s_delay_alu instid0(VALU_DEP_2) | instskip(SKIP_1) | instid1(VALU_DEP_3)
	v_fmac_f32_e32 v35, v40, v35
	v_div_scale_f32 v40, s7, v25, 0x402df854, v25
	v_fmac_f32_e32 v39, v41, v39
	s_delay_alu instid0(VALU_DEP_3) | instskip(NEXT) | instid1(VALU_DEP_1)
	v_mul_f32_e32 v41, v42, v35
	v_fma_f32 v44, -v28, v41, v42
	s_delay_alu instid0(VALU_DEP_3) | instskip(NEXT) | instid1(VALU_DEP_2)
	v_mul_f32_e32 v43, v40, v39
	v_fmac_f32_e32 v41, v44, v35
	s_delay_alu instid0(VALU_DEP_1) | instskip(NEXT) | instid1(VALU_DEP_1)
	v_dual_fma_f32 v45, -v29, v43, v40 :: v_dual_fma_f32 v28, -v28, v41, v42
	v_fmac_f32_e32 v43, v45, v39
	s_delay_alu instid0(VALU_DEP_2) | instskip(NEXT) | instid1(VALU_DEP_2)
	v_div_fmas_f32 v28, v28, v35, v41
	v_fma_f32 v29, -v29, v43, v40
	s_mov_b32 vcc_lo, s7
	s_delay_alu instid0(VALU_DEP_2) | instskip(NEXT) | instid1(VALU_DEP_2)
	v_div_fixup_f32 v35, v28, 0x402df854, v24
	v_div_fmas_f32 v29, v29, v39, v43
	s_delay_alu instid0(VALU_DEP_1) | instskip(NEXT) | instid1(VALU_DEP_1)
	v_div_fixup_f32 v39, v29, 0x402df854, v25
	v_max_num_f32_e64 v40, |v35|, |v39|
	s_delay_alu instid0(VALU_DEP_1) | instskip(SKIP_1) | instid1(VALU_DEP_2)
	v_cvt_f64_f32_e32 v[28:29], v40
	v_cmp_neq_f32_e32 vcc_lo, 0x7f800000, v40
	v_frexp_exp_i32_f64_e32 v28, v[28:29]
	s_delay_alu instid0(VALU_DEP_1) | instskip(NEXT) | instid1(VALU_DEP_1)
	v_sub_nc_u32_e32 v29, 0, v28
	v_ldexp_f32 v39, |v39|, v29
	v_ldexp_f32 v29, |v35|, v29
	s_delay_alu instid0(VALU_DEP_2) | instskip(NEXT) | instid1(VALU_DEP_1)
	v_mul_f32_e32 v35, v39, v39
	v_fmac_f32_e32 v35, v29, v29
	s_wait_dscnt 0x0
	v_frexp_mant_f32_e32 v29, v15
	v_frexp_exp_i32_f32_e32 v15, v15
	s_delay_alu instid0(VALU_DEP_3) | instskip(NEXT) | instid1(VALU_DEP_2)
	v_sqrt_f32_e32 v34, v35
	v_rcp_f32_e32 v29, v29
	v_frexp_exp_i32_f32_e32 v35, v13
	v_frexp_mant_f32_e32 v13, v13
	s_delay_alu instid0(TRANS32_DEP_1) | instid1(VALU_DEP_1)
	v_dual_sub_nc_u32 v15, v35, v15 :: v_dual_mul_f32 v13, v13, v29
	s_delay_alu instid0(TRANS32_DEP_2) | instskip(NEXT) | instid1(VALU_DEP_1)
	v_ldexp_f32 v28, v34, v28
	v_cndmask_b32_e32 v29, 0x7f800000, v28, vcc_lo
	s_delay_alu instid0(VALU_DEP_3) | instskip(NEXT) | instid1(VALU_DEP_2)
	v_ldexp_f32 v28, v13, v15
	v_cmp_gt_f32_e32 vcc_lo, 0x800000, v29
	s_delay_alu instid0(VALU_DEP_2) | instskip(SKIP_2) | instid1(VALU_DEP_2)
	v_mul_f32_e32 v15, v28, v28
	v_cndmask_b32_e64 v13, 0, 32, vcc_lo
	v_cndmask_b32_e64 v35, 0, 0x41b17218, vcc_lo
	v_ldexp_f32 v13, v29, v13
	s_delay_alu instid0(VALU_DEP_4) | instskip(NEXT) | instid1(VALU_DEP_2)
	v_fmaak_f32 v29, s26, v15, 0xbc7a590c
	v_log_f32_e32 v13, v13
	s_delay_alu instid0(VALU_DEP_1) | instskip(NEXT) | instid1(VALU_DEP_1)
	v_fmaak_f32 v29, v15, v29, 0x3d29fb3f
	v_fmaak_f32 v29, v15, v29, 0xbd97d4d7
	s_delay_alu instid0(TRANS32_DEP_1) | instskip(SKIP_1) | instid1(VALU_DEP_3)
	v_mul_f32_e32 v34, 0x3f317217, v13
	v_cmp_gt_f32_e64 vcc_lo, 0x7f800000, |v13|
	v_fmaak_f32 v29, v15, v29, 0x3dd931b2
	s_delay_alu instid0(VALU_DEP_3) | instskip(NEXT) | instid1(VALU_DEP_2)
	v_fma_f32 v34, 0x3f317217, v13, -v34
	v_fmaak_f32 v29, v15, v29, 0xbe1160e6
	s_delay_alu instid0(VALU_DEP_2) | instskip(NEXT) | instid1(VALU_DEP_2)
	v_fmac_f32_e32 v34, 0x3377d1cf, v13
	v_fmaak_f32 v29, v15, v29, 0x3e4cb8bf
	s_delay_alu instid0(VALU_DEP_2) | instskip(NEXT) | instid1(VALU_DEP_2)
	v_fmac_f32_e32 v34, 0x3f317217, v13
	v_fmaak_f32 v29, v15, v29, 0xbeaaaa62
	s_delay_alu instid0(VALU_DEP_1) | instskip(NEXT) | instid1(VALU_DEP_1)
	v_dual_cndmask_b32 v13, v13, v34, vcc_lo :: v_dual_mul_f32 v15, v15, v29
	v_sub_f32_e32 v13, v13, v35
	s_delay_alu instid0(VALU_DEP_1)
	v_dual_fmac_f32 v28, v28, v15 :: v_dual_add_f32 v29, 1.0, v13
.LBB43_790:                             ;   in Loop: Header=BB43_401 Depth=1
	s_or_b32 exec_lo, exec_lo, s28
	s_delay_alu instid0(VALU_DEP_1) | instskip(SKIP_1) | instid1(VALU_DEP_2)
	v_sub_f32_e32 v13, 0x3fc90fdb, v28
	v_cmp_gt_f32_e32 vcc_lo, 0, v24
	v_cndmask_b32_e64 v13, v28, v13, s6
	v_cndmask_b32_e64 v28, 0, 0x40490fdb, s5
	v_cmp_class_f32_e64 s5, v24, 0x204
	v_cmp_class_f32_e64 s6, v25, 0x204
	v_add_f32_e32 v24, 0x3f317218, v29
	s_wait_dscnt 0x0
	v_sub_f32_e32 v15, 0x40490fdb, v13
	s_delay_alu instid0(VALU_DEP_1) | instskip(SKIP_2) | instid1(VALU_DEP_3)
	v_dual_cndmask_b32 v29, -v24, v24, s4 :: v_dual_cndmask_b32 v13, v13, v15, vcc_lo
	v_cndmask_b32_e32 v15, 0x3f490fdb, v38, vcc_lo
	v_cmp_eq_f32_e32 vcc_lo, 0, v25
	v_cndmask_b32_e64 v13, |v13|, v28, vcc_lo
	s_and_b32 vcc_lo, s6, s5
	s_delay_alu instid0(VALU_DEP_1)
	v_cndmask_b32_e32 v28, v13, v15, vcc_lo
.LBB43_791:                             ;   in Loop: Header=BB43_401 Depth=1
	s_or_b32 exec_lo, exec_lo, s8
                                        ; implicit-def: $vgpr25
	s_and_not1_saveexec_b32 s4, s27
	s_cbranch_execz .LBB43_705
.LBB43_792:                             ;   in Loop: Header=BB43_401 Depth=1
	v_cmp_neq_f32_e64 s5, 0x7f800000, |v24|
                                        ; implicit-def: $vgpr29
	s_and_saveexec_b32 s6, s5
	s_delay_alu instid0(SALU_CYCLE_1)
	s_xor_b32 s5, exec_lo, s6
	s_cbranch_execz .LBB43_802
; %bb.793:                              ;   in Loop: Header=BB43_401 Depth=1
	v_cmp_neq_f32_e64 s6, 0x7f800000, |v25|
	v_xor_b32_e32 v29, 0x80000000, v25
	s_and_saveexec_b32 s7, s6
	s_delay_alu instid0(SALU_CYCLE_1)
	s_xor_b32 s6, exec_lo, s7
	s_cbranch_execz .LBB43_799
; %bb.794:                              ;   in Loop: Header=BB43_401 Depth=1
	s_mov_b32 s7, exec_lo
                                        ; implicit-def: $vgpr29
	v_cmpx_neq_f32_e32 0, v24
	s_xor_b32 s7, exec_lo, s7
; %bb.795:                              ;   in Loop: Header=BB43_401 Depth=1
	v_add_f32_e32 v13, 0, v25
                                        ; implicit-def: $vgpr25
	s_delay_alu instid0(VALU_DEP_1)
	v_add_f32_e32 v29, v13, v24
; %bb.796:                              ;   in Loop: Header=BB43_401 Depth=1
	s_or_saveexec_b32 s7, s7
	s_delay_alu instid0(VALU_DEP_1)
	v_mov_b32_e32 v28, v29
	s_xor_b32 exec_lo, exec_lo, s7
	s_cbranch_execz .LBB43_798
; %bb.797:                              ;   in Loop: Header=BB43_401 Depth=1
	flat_load_b32 v13, v[6:7] scope:SCOPE_SYS
	s_wait_loadcnt 0x0
	v_add_f32_e32 v29, v25, v25
	s_wait_dscnt 0x0
	v_add_f32_e32 v28, 0x3fc90fdb, v13
.LBB43_798:                             ;   in Loop: Header=BB43_401 Depth=1
	s_wait_xcnt 0x0
	s_or_b32 exec_lo, exec_lo, s7
                                        ; implicit-def: $vgpr24
.LBB43_799:                             ;   in Loop: Header=BB43_401 Depth=1
	s_and_not1_saveexec_b32 s6, s6
; %bb.800:                              ;   in Loop: Header=BB43_401 Depth=1
	v_add_f32_e32 v28, v24, v24
; %bb.801:                              ;   in Loop: Header=BB43_401 Depth=1
	s_or_b32 exec_lo, exec_lo, s6
                                        ; implicit-def: $vgpr25
.LBB43_802:                             ;   in Loop: Header=BB43_401 Depth=1
	s_and_not1_saveexec_b32 s5, s5
; %bb.803:                              ;   in Loop: Header=BB43_401 Depth=1
	v_dual_add_f32 v28, v25, v25 :: v_dual_mov_b32 v29, 0xff800000
; %bb.804:                              ;   in Loop: Header=BB43_401 Depth=1
	s_or_b32 exec_lo, exec_lo, s5
	s_delay_alu instid0(SALU_CYCLE_1) | instskip(SKIP_1) | instid1(SALU_CYCLE_1)
	s_or_b32 exec_lo, exec_lo, s4
	s_and_saveexec_b32 s4, s0
	s_xor_b32 s0, exec_lo, s4
	s_cbranch_execz .LBB43_706
.LBB43_805:                             ;   in Loop: Header=BB43_401 Depth=1
	v_lshl_add_u64 v[16:17], v[16:17], 3, s[12:13]
	global_store_b64 v[16:17], v[26:27], off
	s_wait_xcnt 0x0
	s_or_b32 exec_lo, exec_lo, s0
	s_and_saveexec_b32 s0, s1
	s_cbranch_execz .LBB43_707
.LBB43_806:                             ;   in Loop: Header=BB43_401 Depth=1
	v_lshl_add_u64 v[16:17], v[18:19], 3, s[12:13]
	global_store_b64 v[16:17], v[30:31], off
	s_wait_xcnt 0x0
	s_or_b32 exec_lo, exec_lo, s0
	s_and_saveexec_b32 s0, s2
	s_cbranch_execz .LBB43_708
.LBB43_807:                             ;   in Loop: Header=BB43_401 Depth=1
	v_lshl_add_u64 v[16:17], v[20:21], 3, s[12:13]
	global_store_b64 v[16:17], v[32:33], off
	s_wait_xcnt 0x0
	s_or_b32 exec_lo, exec_lo, s0
	s_and_saveexec_b32 s0, s3
	s_cbranch_execz .LBB43_400
.LBB43_808:                             ;   in Loop: Header=BB43_401 Depth=1
	v_lshl_add_u64 v[16:17], v[22:23], 3, s[12:13]
	global_store_b64 v[16:17], v[28:29], off
	s_branch .LBB43_400
.LBB43_809:
	s_endpgm
	.section	.rodata,"a",@progbits
	.p2align	6, 0x0
	.amdhsa_kernel _ZN2at6native12_GLOBAL__N_125multi_tensor_apply_kernelINS1_18TensorListMetadataILi2EEENS1_14UnaryOpFunctorIN3c107complexIfEELi2ELi1ELi1EEEJNS0_4AcosIS8_EEEEEvT_T0_DpT1_
		.amdhsa_group_segment_fixed_size 0
		.amdhsa_private_segment_fixed_size 16
		.amdhsa_kernarg_size 3408
		.amdhsa_user_sgpr_count 2
		.amdhsa_user_sgpr_dispatch_ptr 0
		.amdhsa_user_sgpr_queue_ptr 0
		.amdhsa_user_sgpr_kernarg_segment_ptr 1
		.amdhsa_user_sgpr_dispatch_id 0
		.amdhsa_user_sgpr_kernarg_preload_length 0
		.amdhsa_user_sgpr_kernarg_preload_offset 0
		.amdhsa_user_sgpr_private_segment_size 0
		.amdhsa_wavefront_size32 1
		.amdhsa_uses_dynamic_stack 0
		.amdhsa_enable_private_segment 1
		.amdhsa_system_sgpr_workgroup_id_x 1
		.amdhsa_system_sgpr_workgroup_id_y 0
		.amdhsa_system_sgpr_workgroup_id_z 0
		.amdhsa_system_sgpr_workgroup_info 0
		.amdhsa_system_vgpr_workitem_id 0
		.amdhsa_next_free_vgpr 60
		.amdhsa_next_free_sgpr 36
		.amdhsa_named_barrier_count 0
		.amdhsa_reserve_vcc 1
		.amdhsa_float_round_mode_32 0
		.amdhsa_float_round_mode_16_64 0
		.amdhsa_float_denorm_mode_32 3
		.amdhsa_float_denorm_mode_16_64 3
		.amdhsa_fp16_overflow 0
		.amdhsa_memory_ordered 1
		.amdhsa_forward_progress 1
		.amdhsa_inst_pref_size 255
		.amdhsa_round_robin_scheduling 0
		.amdhsa_exception_fp_ieee_invalid_op 0
		.amdhsa_exception_fp_denorm_src 0
		.amdhsa_exception_fp_ieee_div_zero 0
		.amdhsa_exception_fp_ieee_overflow 0
		.amdhsa_exception_fp_ieee_underflow 0
		.amdhsa_exception_fp_ieee_inexact 0
		.amdhsa_exception_int_div_zero 0
	.end_amdhsa_kernel
	.section	.text._ZN2at6native12_GLOBAL__N_125multi_tensor_apply_kernelINS1_18TensorListMetadataILi2EEENS1_14UnaryOpFunctorIN3c107complexIfEELi2ELi1ELi1EEEJNS0_4AcosIS8_EEEEEvT_T0_DpT1_,"axG",@progbits,_ZN2at6native12_GLOBAL__N_125multi_tensor_apply_kernelINS1_18TensorListMetadataILi2EEENS1_14UnaryOpFunctorIN3c107complexIfEELi2ELi1ELi1EEEJNS0_4AcosIS8_EEEEEvT_T0_DpT1_,comdat
.Lfunc_end43:
	.size	_ZN2at6native12_GLOBAL__N_125multi_tensor_apply_kernelINS1_18TensorListMetadataILi2EEENS1_14UnaryOpFunctorIN3c107complexIfEELi2ELi1ELi1EEEJNS0_4AcosIS8_EEEEEvT_T0_DpT1_, .Lfunc_end43-_ZN2at6native12_GLOBAL__N_125multi_tensor_apply_kernelINS1_18TensorListMetadataILi2EEENS1_14UnaryOpFunctorIN3c107complexIfEELi2ELi1ELi1EEEJNS0_4AcosIS8_EEEEEvT_T0_DpT1_
                                        ; -- End function
	.set _ZN2at6native12_GLOBAL__N_125multi_tensor_apply_kernelINS1_18TensorListMetadataILi2EEENS1_14UnaryOpFunctorIN3c107complexIfEELi2ELi1ELi1EEEJNS0_4AcosIS8_EEEEEvT_T0_DpT1_.num_vgpr, 60
	.set _ZN2at6native12_GLOBAL__N_125multi_tensor_apply_kernelINS1_18TensorListMetadataILi2EEENS1_14UnaryOpFunctorIN3c107complexIfEELi2ELi1ELi1EEEJNS0_4AcosIS8_EEEEEvT_T0_DpT1_.num_agpr, 0
	.set _ZN2at6native12_GLOBAL__N_125multi_tensor_apply_kernelINS1_18TensorListMetadataILi2EEENS1_14UnaryOpFunctorIN3c107complexIfEELi2ELi1ELi1EEEJNS0_4AcosIS8_EEEEEvT_T0_DpT1_.numbered_sgpr, 36
	.set _ZN2at6native12_GLOBAL__N_125multi_tensor_apply_kernelINS1_18TensorListMetadataILi2EEENS1_14UnaryOpFunctorIN3c107complexIfEELi2ELi1ELi1EEEJNS0_4AcosIS8_EEEEEvT_T0_DpT1_.num_named_barrier, 0
	.set _ZN2at6native12_GLOBAL__N_125multi_tensor_apply_kernelINS1_18TensorListMetadataILi2EEENS1_14UnaryOpFunctorIN3c107complexIfEELi2ELi1ELi1EEEJNS0_4AcosIS8_EEEEEvT_T0_DpT1_.private_seg_size, 16
	.set _ZN2at6native12_GLOBAL__N_125multi_tensor_apply_kernelINS1_18TensorListMetadataILi2EEENS1_14UnaryOpFunctorIN3c107complexIfEELi2ELi1ELi1EEEJNS0_4AcosIS8_EEEEEvT_T0_DpT1_.uses_vcc, 1
	.set _ZN2at6native12_GLOBAL__N_125multi_tensor_apply_kernelINS1_18TensorListMetadataILi2EEENS1_14UnaryOpFunctorIN3c107complexIfEELi2ELi1ELi1EEEJNS0_4AcosIS8_EEEEEvT_T0_DpT1_.uses_flat_scratch, 0
	.set _ZN2at6native12_GLOBAL__N_125multi_tensor_apply_kernelINS1_18TensorListMetadataILi2EEENS1_14UnaryOpFunctorIN3c107complexIfEELi2ELi1ELi1EEEJNS0_4AcosIS8_EEEEEvT_T0_DpT1_.has_dyn_sized_stack, 0
	.set _ZN2at6native12_GLOBAL__N_125multi_tensor_apply_kernelINS1_18TensorListMetadataILi2EEENS1_14UnaryOpFunctorIN3c107complexIfEELi2ELi1ELi1EEEJNS0_4AcosIS8_EEEEEvT_T0_DpT1_.has_recursion, 0
	.set _ZN2at6native12_GLOBAL__N_125multi_tensor_apply_kernelINS1_18TensorListMetadataILi2EEENS1_14UnaryOpFunctorIN3c107complexIfEELi2ELi1ELi1EEEJNS0_4AcosIS8_EEEEEvT_T0_DpT1_.has_indirect_call, 0
	.section	.AMDGPU.csdata,"",@progbits
; Kernel info:
; codeLenInByte = 61960
; TotalNumSgprs: 38
; NumVgprs: 60
; ScratchSize: 16
; MemoryBound: 0
; FloatMode: 240
; IeeeMode: 1
; LDSByteSize: 0 bytes/workgroup (compile time only)
; SGPRBlocks: 0
; VGPRBlocks: 3
; NumSGPRsForWavesPerEU: 38
; NumVGPRsForWavesPerEU: 60
; NamedBarCnt: 0
; Occupancy: 16
; WaveLimiterHint : 0
; COMPUTE_PGM_RSRC2:SCRATCH_EN: 1
; COMPUTE_PGM_RSRC2:USER_SGPR: 2
; COMPUTE_PGM_RSRC2:TRAP_HANDLER: 0
; COMPUTE_PGM_RSRC2:TGID_X_EN: 1
; COMPUTE_PGM_RSRC2:TGID_Y_EN: 0
; COMPUTE_PGM_RSRC2:TGID_Z_EN: 0
; COMPUTE_PGM_RSRC2:TIDIG_COMP_CNT: 0
	.section	.text._ZN2at6native12_GLOBAL__N_125multi_tensor_apply_kernelINS1_18TensorListMetadataILi2EEENS1_14UnaryOpFunctorIN3c104HalfELi2ELi1ELi1EEEJNS0_4AcosIfEEEEEvT_T0_DpT1_,"axG",@progbits,_ZN2at6native12_GLOBAL__N_125multi_tensor_apply_kernelINS1_18TensorListMetadataILi2EEENS1_14UnaryOpFunctorIN3c104HalfELi2ELi1ELi1EEEJNS0_4AcosIfEEEEEvT_T0_DpT1_,comdat
	.globl	_ZN2at6native12_GLOBAL__N_125multi_tensor_apply_kernelINS1_18TensorListMetadataILi2EEENS1_14UnaryOpFunctorIN3c104HalfELi2ELi1ELi1EEEJNS0_4AcosIfEEEEEvT_T0_DpT1_ ; -- Begin function _ZN2at6native12_GLOBAL__N_125multi_tensor_apply_kernelINS1_18TensorListMetadataILi2EEENS1_14UnaryOpFunctorIN3c104HalfELi2ELi1ELi1EEEJNS0_4AcosIfEEEEEvT_T0_DpT1_
	.p2align	8
	.type	_ZN2at6native12_GLOBAL__N_125multi_tensor_apply_kernelINS1_18TensorListMetadataILi2EEENS1_14UnaryOpFunctorIN3c104HalfELi2ELi1ELi1EEEJNS0_4AcosIfEEEEEvT_T0_DpT1_,@function
_ZN2at6native12_GLOBAL__N_125multi_tensor_apply_kernelINS1_18TensorListMetadataILi2EEENS1_14UnaryOpFunctorIN3c104HalfELi2ELi1ELi1EEEJNS0_4AcosIfEEEEEvT_T0_DpT1_: ; @_ZN2at6native12_GLOBAL__N_125multi_tensor_apply_kernelINS1_18TensorListMetadataILi2EEENS1_14UnaryOpFunctorIN3c104HalfELi2ELi1ELi1EEEJNS0_4AcosIfEEEEEvT_T0_DpT1_
; %bb.0:
	s_bfe_u32 s2, ttmp6, 0x4000c
	s_and_b32 s3, ttmp6, 15
	s_add_co_i32 s2, s2, 1
	s_getreg_b32 s4, hwreg(HW_REG_IB_STS2, 6, 4)
	s_mul_i32 s2, ttmp9, s2
	s_delay_alu instid0(SALU_CYCLE_1)
	s_add_co_i32 s3, s3, s2
	s_cmp_eq_u32 s4, 0
	s_cselect_b32 s2, ttmp9, s3
	s_mov_b32 s3, 0
	s_load_u8 s10, s[0:1], s2 offset:0x600
	s_add_nc_u64 s[4:5], s[0:1], s[2:3]
	s_mul_u64 s[6:7], s[2:3], 3
	s_delay_alu instid0(SALU_CYCLE_1)
	s_add_nc_u64 s[4:5], s[4:5], s[6:7]
	s_load_b32 s6, s[4:5], 0x740
	s_wait_kmcnt 0x0
	s_clause 0x2
	s_load_b64 s[12:13], s[0:1], s10 offset:0x0 scale_offset
	s_load_b64 s[14:15], s[0:1], s10 offset:0x200 scale_offset
	;; [unrolled: 1-line block ×3, first 2 shown]
	s_mov_b32 s5, s3
	s_ashr_i32 s7, s6, 31
	s_wait_xcnt 0x0
	s_lshl_b64 s[10:11], s[6:7], 17
	s_wait_kmcnt 0x0
	s_and_b64 s[18:19], s[14:15], 7
	s_add_nc_u64 s[16:17], s[12:13], s[10:11]
	s_and_b32 s4, s8, 3
	s_and_b32 s2, s16, 7
	s_or_b64 s[4:5], s[18:19], s[4:5]
	s_lshl_b64 s[6:7], s[6:7], 16
	s_or_b64 s[2:3], s[4:5], s[2:3]
	s_sub_nc_u64 s[16:17], s[8:9], s[6:7]
	s_cmp_eq_u64 s[2:3], 0
	s_mov_b32 s2, -1
	s_cbranch_scc0 .LBB44_5
; %bb.1:
	v_min_i64 v[2:3], 0x10000, s[16:17]
	v_dual_mov_b32 v5, 0 :: v_dual_lshlrev_b32 v4, 2, v0
	s_mov_b32 s9, exec_lo
	s_delay_alu instid0(VALU_DEP_1)
	v_cmpx_lt_i64_e64 v[4:5], v[2:3]
	s_cbranch_execz .LBB44_4
; %bb.2:
	s_load_b32 s2, s[0:1], 0xc5c
	v_dual_mov_b32 v1, v5 :: v_dual_lshlrev_b32 v4, 3, v0
	s_mov_b32 s19, 0
	s_mov_b32 s20, 0x3c5fc5da
	;; [unrolled: 1-line block ×3, first 2 shown]
	s_delay_alu instid0(VALU_DEP_1)
	v_mov_b64_e32 v[6:7], v[0:1]
	v_add_nc_u64_e32 v[4:5], s[10:11], v[4:5]
	s_mov_b32 s24, 0x3d034c3c
	s_mov_b32 s26, 0x3d3641b1
	;; [unrolled: 1-line block ×6, first 2 shown]
	s_wait_kmcnt 0x0
	s_and_b32 s18, s2, 0xffff
	s_delay_alu instid0(SALU_CYCLE_1)
	s_lshl_b32 s34, s18, 3
.LBB44_3:                               ; =>This Inner Loop Header: Depth=1
	v_add_nc_u64_e32 v[8:9], s[12:13], v[4:5]
	v_add_nc_u64_e32 v[6:7], s[18:19], v[6:7]
	global_load_b64 v[8:9], v[8:9], off
	v_lshlrev_b64_e32 v[10:11], 2, v[6:7]
	s_wait_loadcnt 0x0
	v_dual_lshrrev_b32 v1, 16, v8 :: v_dual_lshrrev_b32 v28, 16, v9
	v_cvt_f32_f16_e32 v12, v9
	v_cvt_f32_f16_e32 v14, v8
	v_cmp_gt_f16_e64 s5, 0, v8
	s_delay_alu instid0(VALU_DEP_4)
	v_cvt_f32_f16_e32 v15, v1
	v_cvt_f32_f16_e32 v13, v28
	v_and_b32_e32 v16, 0x7fffffff, v12
	v_and_b32_e32 v18, 0x7fffffff, v14
	v_cmp_gt_f32_e64 vcc_lo, |v14|, 0.5
	v_and_b32_e32 v19, 0x7fffffff, v15
	v_and_b32_e32 v17, 0x7fffffff, v13
	v_pk_mul_f32 v[20:21], v[14:15], v[14:15]
	v_pk_mul_f32 v[22:23], v[12:13], v[12:13]
	v_cmp_gt_f32_e64 s2, |v15|, 0.5
	v_pk_fma_f32 v[18:19], v[18:19], -0.5, 0.5 op_sel_hi:[1,0,0]
	v_pk_fma_f32 v[16:17], v[16:17], -0.5, 0.5 op_sel_hi:[1,0,0]
	v_cmp_gt_f32_e64 s3, |v12|, 0.5
	v_cmp_gt_f32_e64 s4, |v13|, 0.5
	v_cmp_gt_f16_e64 s6, 0, v28
	v_dual_cndmask_b32 v18, v20, v18, vcc_lo :: v_dual_cndmask_b32 v19, v21, v19, s2
	s_delay_alu instid0(VALU_DEP_3) | instskip(SKIP_1) | instid1(VALU_DEP_3)
	v_dual_cndmask_b32 v16, v22, v16, s3 :: v_dual_cndmask_b32 v17, v23, v17, s4
	v_cmp_gt_f16_e64 s7, 0, v9
	v_sqrt_f32_e32 v20, v18
	s_delay_alu instid0(VALU_DEP_3)
	v_pk_fma_f32 v[24:25], v[18:19], s[22:23], s[20:21] op_sel_hi:[1,0,0]
	v_sqrt_f32_e32 v21, v19
	v_pk_fma_f32 v[22:23], v[16:17], s[22:23], s[20:21] op_sel_hi:[1,0,0]
	v_sqrt_f32_e32 v26, v16
	v_sqrt_f32_e32 v27, v17
	v_pk_fma_f32 v[24:25], v[18:19], v[24:25], s[24:25] op_sel_hi:[1,1,0]
	v_cmp_gt_f16_e64 s8, 0, v1
	v_pk_fma_f32 v[22:23], v[16:17], v[22:23], s[24:25] op_sel_hi:[1,1,0]
	s_delay_alu instid0(VALU_DEP_3) | instskip(NEXT) | instid1(VALU_DEP_2)
	v_pk_fma_f32 v[24:25], v[18:19], v[24:25], s[26:27] op_sel_hi:[1,1,0]
	v_pk_fma_f32 v[22:23], v[16:17], v[22:23], s[26:27] op_sel_hi:[1,1,0]
	s_delay_alu instid0(VALU_DEP_2) | instskip(NEXT) | instid1(VALU_DEP_2)
	v_pk_fma_f32 v[24:25], v[18:19], v[24:25], s[28:29] op_sel_hi:[1,1,0]
	v_pk_fma_f32 v[22:23], v[16:17], v[22:23], s[28:29] op_sel_hi:[1,1,0]
	s_delay_alu instid0(VALU_DEP_2) | instskip(NEXT) | instid1(VALU_DEP_2)
	;; [unrolled: 3-line block ×3, first 2 shown]
	v_pk_mul_f32 v[18:19], v[18:19], v[24:25]
	v_pk_mul_f32 v[16:17], v[16:17], v[22:23]
	s_delay_alu instid0(VALU_DEP_2) | instskip(SKIP_1) | instid1(VALU_DEP_3)
	v_pk_fma_f32 v[20:21], v[20:21], v[18:19], v[20:21]
	v_pk_fma_f32 v[14:15], v[14:15], v[18:19], v[14:15]
	;; [unrolled: 1-line block ×4, first 2 shown]
	s_delay_alu instid0(VALU_DEP_4) | instskip(NEXT) | instid1(VALU_DEP_4)
	v_pk_add_f32 v[18:19], v[20:21], v[20:21]
	v_dual_sub_f32 v14, 0x3fc90fdb, v14 :: v_dual_sub_f32 v15, 0x3fc90fdb, v15
	s_delay_alu instid0(VALU_DEP_4) | instskip(NEXT) | instid1(VALU_DEP_4)
	v_pk_add_f32 v[16:17], v[22:23], v[22:23]
	v_dual_sub_f32 v12, 0x3fc90fdb, v12 :: v_dual_sub_f32 v13, 0x3fc90fdb, v13
	s_delay_alu instid0(VALU_DEP_4) | instskip(NEXT) | instid1(VALU_DEP_3)
	v_dual_sub_f32 v20, 0x40490fdb, v19 :: v_dual_sub_f32 v21, 0x40490fdb, v18
	v_dual_sub_f32 v22, 0x40490fdb, v17 :: v_dual_sub_f32 v23, 0x40490fdb, v16
	s_wait_xcnt 0x0
	s_delay_alu instid0(VALU_DEP_1) | instskip(NEXT) | instid1(VALU_DEP_2)
	v_dual_cndmask_b32 v1, v19, v20, s8 :: v_dual_cndmask_b32 v8, v17, v22, s6
	v_dual_cndmask_b32 v9, v16, v23, s7 :: v_dual_cndmask_b32 v16, v18, v21, s5
	s_delay_alu instid0(VALU_DEP_2) | instskip(NEXT) | instid1(VALU_DEP_2)
	v_dual_cndmask_b32 v1, v15, v1, s2 :: v_dual_cndmask_b32 v13, v13, v8, s4
	v_dual_cndmask_b32 v12, v12, v9, s3 :: v_dual_cndmask_b32 v14, v14, v16, vcc_lo
	v_cmp_ge_i64_e32 vcc_lo, v[10:11], v[2:3]
	v_add_nc_u64_e32 v[8:9], s[14:15], v[4:5]
	v_add_nc_u64_e32 v[4:5], s[34:35], v[4:5]
	s_delay_alu instid0(VALU_DEP_4)
	v_cvt_pk_f16_f32 v11, v12, v13
	v_cvt_pk_f16_f32 v10, v14, v1
	s_or_b32 s21, vcc_lo, s21
	global_store_b64 v[8:9], v[10:11], off
	s_wait_xcnt 0x0
	s_and_not1_b32 exec_lo, exec_lo, s21
	s_cbranch_execnz .LBB44_3
.LBB44_4:
	s_or_b32 exec_lo, exec_lo, s9
	s_mov_b32 s2, 0
.LBB44_5:
	s_delay_alu instid0(SALU_CYCLE_1)
	s_and_not1_b32 vcc_lo, exec_lo, s2
	s_cbranch_vccnz .LBB44_25
; %bb.6:
	v_cmp_lt_i64_e64 s2, s[16:17], 1
	s_and_b32 vcc_lo, exec_lo, s2
	s_cbranch_vccnz .LBB44_25
; %bb.7:
	s_load_b32 s0, s[0:1], 0xc5c
	v_min_i64 v[2:3], 0x10000, s[16:17]
	v_min_u64 v[4:5], 0x10000, s[16:17]
	v_dual_mov_b32 v1, 0 :: v_dual_lshlrev_b32 v12, 1, v0
	s_mov_b32 s7, 0
	s_mov_b64 s[8:9], 0
	s_mov_b32 s5, s7
	s_delay_alu instid0(VALU_DEP_1) | instskip(SKIP_3) | instid1(VALU_DEP_1)
	v_dual_mov_b32 v13, v1 :: v_dual_mov_b32 v27, v1
	s_wait_xcnt 0x0
	s_mov_b32 s1, s7
	s_mov_b32 s3, s7
	v_add_nc_u64_e32 v[6:7], s[12:13], v[12:13]
	v_add_nc_u64_e32 v[8:9], s[14:15], v[12:13]
	s_wait_kmcnt 0x0
	s_and_b32 s6, s0, 0xffff
	s_delay_alu instid0(SALU_CYCLE_1)
	v_add_nc_u64_e32 v[10:11], s[6:7], v[0:1]
	v_mad_nc_u64_u32 v[22:23], s6, 6, v[12:13]
	s_lshl_b32 s4, s6, 2
	s_lshl_b32 s0, s6, 1
	v_add_nc_u64_e32 v[18:19], s[4:5], v[12:13]
	s_mul_i32 s2, s6, 3
	v_add_nc_u64_e32 v[14:15], s[0:1], v[0:1]
	v_lshlrev_b32_e32 v26, 1, v10
	v_add_nc_u64_e32 v[12:13], s[2:3], v[0:1]
	s_lshl_b32 s6, s6, 3
	s_delay_alu instid0(VALU_DEP_4)
	v_add_nc_u64_e32 v[16:17], s[12:13], v[18:19]
	v_add_nc_u64_e32 v[18:19], s[14:15], v[18:19]
	v_add_nc_u64_e32 v[20:21], s[12:13], v[22:23]
	v_add_nc_u64_e32 v[22:23], s[14:15], v[22:23]
	v_add_nc_u64_e32 v[24:25], s[12:13], v[26:27]
	v_add_nc_u64_e32 v[26:27], s[14:15], v[26:27]
	s_mov_b32 s12, 0.5
	s_mov_b32 s13, -0.5
	s_mov_b32 s14, 0x3d1c21a7
	s_branch .LBB44_9
.LBB44_8:                               ;   in Loop: Header=BB44_9 Depth=1
	s_wait_xcnt 0x0
	s_or_b32 exec_lo, exec_lo, s1
	s_add_nc_u64 s[8:9], s[8:9], s[4:5]
	v_add_nc_u64_e32 v[6:7], s[6:7], v[6:7]
	v_cmp_ge_i64_e32 vcc_lo, s[8:9], v[2:3]
	v_add_nc_u64_e32 v[8:9], s[6:7], v[8:9]
	v_add_nc_u64_e32 v[20:21], s[6:7], v[20:21]
	;; [unrolled: 1-line block ×7, first 2 shown]
	s_cbranch_vccnz .LBB44_25
.LBB44_9:                               ; =>This Inner Loop Header: Depth=1
	s_wait_loadcnt 0x0
	v_add_nc_u64_e32 v[28:29], s[8:9], v[0:1]
	v_mov_b32_e32 v31, 0
	s_delay_alu instid0(VALU_DEP_2)
	v_cmp_lt_u64_e64 s2, v[28:29], v[4:5]
	s_and_saveexec_b32 s0, s2
	s_cbranch_execz .LBB44_11
; %bb.10:                               ;   in Loop: Header=BB44_9 Depth=1
	v_add_nc_u64_e32 v[28:29], s[10:11], v[6:7]
	global_load_u16 v31, v[28:29], off
.LBB44_11:                              ;   in Loop: Header=BB44_9 Depth=1
	s_wait_xcnt 0x0
	s_or_b32 exec_lo, exec_lo, s0
	v_add_nc_u64_e32 v[28:29], s[8:9], v[10:11]
	v_mov_b32_e32 v30, 0
	s_delay_alu instid0(VALU_DEP_2)
	v_cmp_lt_u64_e64 s1, v[28:29], v[4:5]
	v_mov_b32_e32 v29, 0
	s_and_saveexec_b32 s0, s1
	s_cbranch_execz .LBB44_13
; %bb.12:                               ;   in Loop: Header=BB44_9 Depth=1
	v_add_nc_u64_e32 v[32:33], s[10:11], v[24:25]
	global_load_u16 v30, v[32:33], off
.LBB44_13:                              ;   in Loop: Header=BB44_9 Depth=1
	s_wait_xcnt 0x0
	s_or_b32 exec_lo, exec_lo, s0
	v_add_nc_u64_e32 v[32:33], s[8:9], v[14:15]
	s_delay_alu instid0(VALU_DEP_1)
	v_cmp_lt_u64_e64 s0, v[32:33], v[4:5]
	s_and_saveexec_b32 s3, s0
	s_cbranch_execz .LBB44_15
; %bb.14:                               ;   in Loop: Header=BB44_9 Depth=1
	v_add_nc_u64_e32 v[28:29], s[10:11], v[16:17]
	global_load_u16 v29, v[28:29], off
.LBB44_15:                              ;   in Loop: Header=BB44_9 Depth=1
	s_wait_xcnt 0x0
	s_or_b32 exec_lo, exec_lo, s3
	v_add_nc_u64_e32 v[32:33], s[8:9], v[12:13]
	v_mov_b32_e32 v28, 0
	s_delay_alu instid0(VALU_DEP_2)
	v_cmp_lt_u64_e32 vcc_lo, v[32:33], v[4:5]
	s_and_saveexec_b32 s3, vcc_lo
	s_cbranch_execnz .LBB44_20
; %bb.16:                               ;   in Loop: Header=BB44_9 Depth=1
	s_or_b32 exec_lo, exec_lo, s3
	s_and_saveexec_b32 s15, s2
	s_cbranch_execnz .LBB44_21
.LBB44_17:                              ;   in Loop: Header=BB44_9 Depth=1
	s_or_b32 exec_lo, exec_lo, s15
	s_and_saveexec_b32 s3, s1
	s_cbranch_execnz .LBB44_22
.LBB44_18:                              ;   in Loop: Header=BB44_9 Depth=1
	s_or_b32 exec_lo, exec_lo, s3
	s_and_saveexec_b32 s2, s0
	s_cbranch_execnz .LBB44_23
.LBB44_19:                              ;   in Loop: Header=BB44_9 Depth=1
	s_or_b32 exec_lo, exec_lo, s2
	s_and_saveexec_b32 s1, vcc_lo
	s_cbranch_execz .LBB44_8
	s_branch .LBB44_24
.LBB44_20:                              ;   in Loop: Header=BB44_9 Depth=1
	v_add_nc_u64_e32 v[32:33], s[10:11], v[20:21]
	global_load_u16 v28, v[32:33], off
	s_wait_xcnt 0x0
	s_or_b32 exec_lo, exec_lo, s3
	s_and_saveexec_b32 s15, s2
	s_cbranch_execz .LBB44_17
.LBB44_21:                              ;   in Loop: Header=BB44_9 Depth=1
	s_wait_loadcnt 0x0
	v_cvt_f32_f16_e32 v32, v31
	v_fma_mix_f32 v33, |v31|, s13, s12 op_sel_hi:[1,0,0]
	v_cmp_gt_f16_e64 s3, 0, v31
	s_delay_alu instid0(VALU_DEP_3) | instskip(SKIP_1) | instid1(VALU_DEP_1)
	v_mul_f32_e32 v34, v32, v32
	v_cmp_gt_f32_e64 s2, |v32|, 0.5
	v_cndmask_b32_e64 v32, v34, v33, s2
	s_delay_alu instid0(VALU_DEP_1) | instskip(SKIP_1) | instid1(VALU_DEP_1)
	v_fmaak_f32 v33, s14, v32, 0x3c5fc5da
	v_sqrt_f32_e32 v34, v32
	v_fmaak_f32 v33, v32, v33, 0x3d034c3c
	s_delay_alu instid0(VALU_DEP_1) | instskip(NEXT) | instid1(VALU_DEP_1)
	v_fmaak_f32 v33, v32, v33, 0x3d3641b1
	v_fmaak_f32 v33, v32, v33, 0x3d999bc8
	s_delay_alu instid0(VALU_DEP_1) | instskip(NEXT) | instid1(VALU_DEP_1)
	v_fmaak_f32 v33, v32, v33, 0x3e2aaaac
	v_mul_f32_e32 v32, v32, v33
	s_delay_alu instid0(TRANS32_DEP_1) | instid1(VALU_DEP_1)
	v_fmac_f32_e32 v34, v34, v32
	v_fma_mix_f32 v32, v31, v32, v31 op_sel_hi:[1,0,1]
	s_delay_alu instid0(VALU_DEP_1) | instskip(NEXT) | instid1(VALU_DEP_1)
	v_dual_add_f32 v33, v34, v34 :: v_dual_sub_f32 v32, 0x3fc90fdb, v32
	v_sub_f32_e32 v34, 0x40490fdb, v33
	s_delay_alu instid0(VALU_DEP_1) | instskip(NEXT) | instid1(VALU_DEP_1)
	v_cndmask_b32_e64 v31, v33, v34, s3
	v_cndmask_b32_e64 v31, v32, v31, s2
	v_add_nc_u64_e32 v[32:33], s[10:11], v[8:9]
	s_delay_alu instid0(VALU_DEP_2)
	v_cvt_f16_f32_e32 v31, v31
	global_store_b16 v[32:33], v31, off
	s_wait_xcnt 0x0
	s_or_b32 exec_lo, exec_lo, s15
	s_and_saveexec_b32 s3, s1
	s_cbranch_execz .LBB44_18
.LBB44_22:                              ;   in Loop: Header=BB44_9 Depth=1
	s_wait_loadcnt 0x0
	v_cvt_f32_f16_e32 v31, v30
	v_fma_mix_f32 v32, |v30|, s13, s12 op_sel_hi:[1,0,0]
	v_cmp_gt_f16_e64 s2, 0, v30
	s_delay_alu instid0(VALU_DEP_3) | instskip(SKIP_1) | instid1(VALU_DEP_1)
	v_mul_f32_e32 v33, v31, v31
	v_cmp_gt_f32_e64 s1, |v31|, 0.5
	v_cndmask_b32_e64 v31, v33, v32, s1
	s_delay_alu instid0(VALU_DEP_1) | instskip(SKIP_1) | instid1(VALU_DEP_1)
	v_fmaak_f32 v32, s14, v31, 0x3c5fc5da
	v_sqrt_f32_e32 v33, v31
	v_fmaak_f32 v32, v31, v32, 0x3d034c3c
	s_delay_alu instid0(VALU_DEP_1) | instskip(NEXT) | instid1(VALU_DEP_1)
	v_fmaak_f32 v32, v31, v32, 0x3d3641b1
	v_fmaak_f32 v32, v31, v32, 0x3d999bc8
	s_delay_alu instid0(VALU_DEP_1) | instskip(NEXT) | instid1(VALU_DEP_1)
	v_fmaak_f32 v32, v31, v32, 0x3e2aaaac
	v_mul_f32_e32 v31, v31, v32
	s_delay_alu instid0(TRANS32_DEP_1) | instid1(VALU_DEP_1)
	v_fmac_f32_e32 v33, v33, v31
	v_fma_mix_f32 v31, v30, v31, v30 op_sel_hi:[1,0,1]
	s_delay_alu instid0(VALU_DEP_1) | instskip(NEXT) | instid1(VALU_DEP_1)
	v_dual_add_f32 v32, v33, v33 :: v_dual_sub_f32 v31, 0x3fc90fdb, v31
	v_sub_f32_e32 v33, 0x40490fdb, v32
	s_delay_alu instid0(VALU_DEP_1) | instskip(NEXT) | instid1(VALU_DEP_1)
	v_cndmask_b32_e64 v30, v32, v33, s2
	v_cndmask_b32_e64 v32, v31, v30, s1
	v_add_nc_u64_e32 v[30:31], s[10:11], v[26:27]
	s_delay_alu instid0(VALU_DEP_2)
	v_cvt_f16_f32_e32 v32, v32
	global_store_b16 v[30:31], v32, off
	s_wait_xcnt 0x0
	s_or_b32 exec_lo, exec_lo, s3
	s_and_saveexec_b32 s2, s0
	s_cbranch_execz .LBB44_19
.LBB44_23:                              ;   in Loop: Header=BB44_9 Depth=1
	s_wait_loadcnt 0x0
	v_cvt_f32_f16_e32 v30, v29
	v_fma_mix_f32 v31, |v29|, s13, s12 op_sel_hi:[1,0,0]
	v_cmp_gt_f16_e64 s1, 0, v29
	s_delay_alu instid0(VALU_DEP_3) | instskip(SKIP_1) | instid1(VALU_DEP_1)
	v_mul_f32_e32 v32, v30, v30
	v_cmp_gt_f32_e64 s0, |v30|, 0.5
	v_cndmask_b32_e64 v30, v32, v31, s0
	s_delay_alu instid0(VALU_DEP_1) | instskip(SKIP_1) | instid1(VALU_DEP_1)
	v_fmaak_f32 v31, s14, v30, 0x3c5fc5da
	v_sqrt_f32_e32 v32, v30
	v_fmaak_f32 v31, v30, v31, 0x3d034c3c
	s_delay_alu instid0(VALU_DEP_1) | instskip(NEXT) | instid1(VALU_DEP_1)
	v_fmaak_f32 v31, v30, v31, 0x3d3641b1
	v_fmaak_f32 v31, v30, v31, 0x3d999bc8
	s_delay_alu instid0(VALU_DEP_1) | instskip(NEXT) | instid1(VALU_DEP_1)
	v_fmaak_f32 v31, v30, v31, 0x3e2aaaac
	v_mul_f32_e32 v30, v30, v31
	s_delay_alu instid0(TRANS32_DEP_1) | instid1(VALU_DEP_1)
	v_fmac_f32_e32 v32, v32, v30
	v_fma_mix_f32 v30, v29, v30, v29 op_sel_hi:[1,0,1]
	s_delay_alu instid0(VALU_DEP_1) | instskip(NEXT) | instid1(VALU_DEP_1)
	v_dual_add_f32 v31, v32, v32 :: v_dual_sub_f32 v30, 0x3fc90fdb, v30
	v_sub_f32_e32 v32, 0x40490fdb, v31
	s_delay_alu instid0(VALU_DEP_1) | instskip(NEXT) | instid1(VALU_DEP_1)
	v_cndmask_b32_e64 v29, v31, v32, s1
	v_cndmask_b32_e64 v29, v30, v29, s0
	v_add_nc_u64_e32 v[30:31], s[10:11], v[18:19]
	s_delay_alu instid0(VALU_DEP_2)
	v_cvt_f16_f32_e32 v29, v29
	global_store_b16 v[30:31], v29, off
	s_wait_xcnt 0x0
	s_or_b32 exec_lo, exec_lo, s2
	s_and_saveexec_b32 s1, vcc_lo
	s_cbranch_execz .LBB44_8
.LBB44_24:                              ;   in Loop: Header=BB44_9 Depth=1
	s_wait_loadcnt 0x0
	v_cvt_f32_f16_e32 v29, v28
	v_fma_mix_f32 v30, |v28|, s13, s12 op_sel_hi:[1,0,0]
	v_cmp_gt_f16_e64 s0, 0, v28
	s_delay_alu instid0(VALU_DEP_3) | instskip(SKIP_1) | instid1(VALU_DEP_2)
	v_mul_f32_e32 v31, v29, v29
	v_cmp_gt_f32_e64 vcc_lo, |v29|, 0.5
	v_cndmask_b32_e32 v29, v31, v30, vcc_lo
	s_delay_alu instid0(VALU_DEP_1) | instskip(SKIP_1) | instid1(VALU_DEP_1)
	v_fmaak_f32 v30, s14, v29, 0x3c5fc5da
	v_sqrt_f32_e32 v31, v29
	v_fmaak_f32 v30, v29, v30, 0x3d034c3c
	s_delay_alu instid0(VALU_DEP_1) | instskip(NEXT) | instid1(VALU_DEP_1)
	v_fmaak_f32 v30, v29, v30, 0x3d3641b1
	v_fmaak_f32 v30, v29, v30, 0x3d999bc8
	s_delay_alu instid0(VALU_DEP_1) | instskip(NEXT) | instid1(VALU_DEP_1)
	v_fmaak_f32 v30, v29, v30, 0x3e2aaaac
	v_mul_f32_e32 v29, v29, v30
	s_delay_alu instid0(TRANS32_DEP_1) | instid1(VALU_DEP_1)
	v_fmac_f32_e32 v31, v31, v29
	v_fma_mix_f32 v29, v28, v29, v28 op_sel_hi:[1,0,1]
	s_delay_alu instid0(VALU_DEP_1) | instskip(NEXT) | instid1(VALU_DEP_1)
	v_dual_add_f32 v30, v31, v31 :: v_dual_sub_f32 v29, 0x3fc90fdb, v29
	v_sub_f32_e32 v31, 0x40490fdb, v30
	s_delay_alu instid0(VALU_DEP_1) | instskip(NEXT) | instid1(VALU_DEP_1)
	v_cndmask_b32_e64 v28, v30, v31, s0
	v_cndmask_b32_e32 v30, v29, v28, vcc_lo
	v_add_nc_u64_e32 v[28:29], s[10:11], v[22:23]
	s_delay_alu instid0(VALU_DEP_2)
	v_cvt_f16_f32_e32 v30, v30
	global_store_b16 v[28:29], v30, off
	s_branch .LBB44_8
.LBB44_25:
	s_endpgm
	.section	.rodata,"a",@progbits
	.p2align	6, 0x0
	.amdhsa_kernel _ZN2at6native12_GLOBAL__N_125multi_tensor_apply_kernelINS1_18TensorListMetadataILi2EEENS1_14UnaryOpFunctorIN3c104HalfELi2ELi1ELi1EEEJNS0_4AcosIfEEEEEvT_T0_DpT1_
		.amdhsa_group_segment_fixed_size 0
		.amdhsa_private_segment_fixed_size 0
		.amdhsa_kernarg_size 3408
		.amdhsa_user_sgpr_count 2
		.amdhsa_user_sgpr_dispatch_ptr 0
		.amdhsa_user_sgpr_queue_ptr 0
		.amdhsa_user_sgpr_kernarg_segment_ptr 1
		.amdhsa_user_sgpr_dispatch_id 0
		.amdhsa_user_sgpr_kernarg_preload_length 0
		.amdhsa_user_sgpr_kernarg_preload_offset 0
		.amdhsa_user_sgpr_private_segment_size 0
		.amdhsa_wavefront_size32 1
		.amdhsa_uses_dynamic_stack 0
		.amdhsa_enable_private_segment 0
		.amdhsa_system_sgpr_workgroup_id_x 1
		.amdhsa_system_sgpr_workgroup_id_y 0
		.amdhsa_system_sgpr_workgroup_id_z 0
		.amdhsa_system_sgpr_workgroup_info 0
		.amdhsa_system_vgpr_workitem_id 0
		.amdhsa_next_free_vgpr 35
		.amdhsa_next_free_sgpr 36
		.amdhsa_named_barrier_count 0
		.amdhsa_reserve_vcc 1
		.amdhsa_float_round_mode_32 0
		.amdhsa_float_round_mode_16_64 0
		.amdhsa_float_denorm_mode_32 3
		.amdhsa_float_denorm_mode_16_64 3
		.amdhsa_fp16_overflow 0
		.amdhsa_memory_ordered 1
		.amdhsa_forward_progress 1
		.amdhsa_inst_pref_size 18
		.amdhsa_round_robin_scheduling 0
		.amdhsa_exception_fp_ieee_invalid_op 0
		.amdhsa_exception_fp_denorm_src 0
		.amdhsa_exception_fp_ieee_div_zero 0
		.amdhsa_exception_fp_ieee_overflow 0
		.amdhsa_exception_fp_ieee_underflow 0
		.amdhsa_exception_fp_ieee_inexact 0
		.amdhsa_exception_int_div_zero 0
	.end_amdhsa_kernel
	.section	.text._ZN2at6native12_GLOBAL__N_125multi_tensor_apply_kernelINS1_18TensorListMetadataILi2EEENS1_14UnaryOpFunctorIN3c104HalfELi2ELi1ELi1EEEJNS0_4AcosIfEEEEEvT_T0_DpT1_,"axG",@progbits,_ZN2at6native12_GLOBAL__N_125multi_tensor_apply_kernelINS1_18TensorListMetadataILi2EEENS1_14UnaryOpFunctorIN3c104HalfELi2ELi1ELi1EEEJNS0_4AcosIfEEEEEvT_T0_DpT1_,comdat
.Lfunc_end44:
	.size	_ZN2at6native12_GLOBAL__N_125multi_tensor_apply_kernelINS1_18TensorListMetadataILi2EEENS1_14UnaryOpFunctorIN3c104HalfELi2ELi1ELi1EEEJNS0_4AcosIfEEEEEvT_T0_DpT1_, .Lfunc_end44-_ZN2at6native12_GLOBAL__N_125multi_tensor_apply_kernelINS1_18TensorListMetadataILi2EEENS1_14UnaryOpFunctorIN3c104HalfELi2ELi1ELi1EEEJNS0_4AcosIfEEEEEvT_T0_DpT1_
                                        ; -- End function
	.set _ZN2at6native12_GLOBAL__N_125multi_tensor_apply_kernelINS1_18TensorListMetadataILi2EEENS1_14UnaryOpFunctorIN3c104HalfELi2ELi1ELi1EEEJNS0_4AcosIfEEEEEvT_T0_DpT1_.num_vgpr, 35
	.set _ZN2at6native12_GLOBAL__N_125multi_tensor_apply_kernelINS1_18TensorListMetadataILi2EEENS1_14UnaryOpFunctorIN3c104HalfELi2ELi1ELi1EEEJNS0_4AcosIfEEEEEvT_T0_DpT1_.num_agpr, 0
	.set _ZN2at6native12_GLOBAL__N_125multi_tensor_apply_kernelINS1_18TensorListMetadataILi2EEENS1_14UnaryOpFunctorIN3c104HalfELi2ELi1ELi1EEEJNS0_4AcosIfEEEEEvT_T0_DpT1_.numbered_sgpr, 36
	.set _ZN2at6native12_GLOBAL__N_125multi_tensor_apply_kernelINS1_18TensorListMetadataILi2EEENS1_14UnaryOpFunctorIN3c104HalfELi2ELi1ELi1EEEJNS0_4AcosIfEEEEEvT_T0_DpT1_.num_named_barrier, 0
	.set _ZN2at6native12_GLOBAL__N_125multi_tensor_apply_kernelINS1_18TensorListMetadataILi2EEENS1_14UnaryOpFunctorIN3c104HalfELi2ELi1ELi1EEEJNS0_4AcosIfEEEEEvT_T0_DpT1_.private_seg_size, 0
	.set _ZN2at6native12_GLOBAL__N_125multi_tensor_apply_kernelINS1_18TensorListMetadataILi2EEENS1_14UnaryOpFunctorIN3c104HalfELi2ELi1ELi1EEEJNS0_4AcosIfEEEEEvT_T0_DpT1_.uses_vcc, 1
	.set _ZN2at6native12_GLOBAL__N_125multi_tensor_apply_kernelINS1_18TensorListMetadataILi2EEENS1_14UnaryOpFunctorIN3c104HalfELi2ELi1ELi1EEEJNS0_4AcosIfEEEEEvT_T0_DpT1_.uses_flat_scratch, 0
	.set _ZN2at6native12_GLOBAL__N_125multi_tensor_apply_kernelINS1_18TensorListMetadataILi2EEENS1_14UnaryOpFunctorIN3c104HalfELi2ELi1ELi1EEEJNS0_4AcosIfEEEEEvT_T0_DpT1_.has_dyn_sized_stack, 0
	.set _ZN2at6native12_GLOBAL__N_125multi_tensor_apply_kernelINS1_18TensorListMetadataILi2EEENS1_14UnaryOpFunctorIN3c104HalfELi2ELi1ELi1EEEJNS0_4AcosIfEEEEEvT_T0_DpT1_.has_recursion, 0
	.set _ZN2at6native12_GLOBAL__N_125multi_tensor_apply_kernelINS1_18TensorListMetadataILi2EEENS1_14UnaryOpFunctorIN3c104HalfELi2ELi1ELi1EEEJNS0_4AcosIfEEEEEvT_T0_DpT1_.has_indirect_call, 0
	.section	.AMDGPU.csdata,"",@progbits
; Kernel info:
; codeLenInByte = 2268
; TotalNumSgprs: 38
; NumVgprs: 35
; ScratchSize: 0
; MemoryBound: 0
; FloatMode: 240
; IeeeMode: 1
; LDSByteSize: 0 bytes/workgroup (compile time only)
; SGPRBlocks: 0
; VGPRBlocks: 2
; NumSGPRsForWavesPerEU: 38
; NumVGPRsForWavesPerEU: 35
; NamedBarCnt: 0
; Occupancy: 16
; WaveLimiterHint : 0
; COMPUTE_PGM_RSRC2:SCRATCH_EN: 0
; COMPUTE_PGM_RSRC2:USER_SGPR: 2
; COMPUTE_PGM_RSRC2:TRAP_HANDLER: 0
; COMPUTE_PGM_RSRC2:TGID_X_EN: 1
; COMPUTE_PGM_RSRC2:TGID_Y_EN: 0
; COMPUTE_PGM_RSRC2:TGID_Z_EN: 0
; COMPUTE_PGM_RSRC2:TIDIG_COMP_CNT: 0
	.section	.text._ZN2at6native12_GLOBAL__N_125multi_tensor_apply_kernelINS1_18TensorListMetadataILi2EEENS1_14UnaryOpFunctorIN3c108BFloat16ELi2ELi1ELi1EEEJNS0_4AcosIfEEEEEvT_T0_DpT1_,"axG",@progbits,_ZN2at6native12_GLOBAL__N_125multi_tensor_apply_kernelINS1_18TensorListMetadataILi2EEENS1_14UnaryOpFunctorIN3c108BFloat16ELi2ELi1ELi1EEEJNS0_4AcosIfEEEEEvT_T0_DpT1_,comdat
	.globl	_ZN2at6native12_GLOBAL__N_125multi_tensor_apply_kernelINS1_18TensorListMetadataILi2EEENS1_14UnaryOpFunctorIN3c108BFloat16ELi2ELi1ELi1EEEJNS0_4AcosIfEEEEEvT_T0_DpT1_ ; -- Begin function _ZN2at6native12_GLOBAL__N_125multi_tensor_apply_kernelINS1_18TensorListMetadataILi2EEENS1_14UnaryOpFunctorIN3c108BFloat16ELi2ELi1ELi1EEEJNS0_4AcosIfEEEEEvT_T0_DpT1_
	.p2align	8
	.type	_ZN2at6native12_GLOBAL__N_125multi_tensor_apply_kernelINS1_18TensorListMetadataILi2EEENS1_14UnaryOpFunctorIN3c108BFloat16ELi2ELi1ELi1EEEJNS0_4AcosIfEEEEEvT_T0_DpT1_,@function
_ZN2at6native12_GLOBAL__N_125multi_tensor_apply_kernelINS1_18TensorListMetadataILi2EEENS1_14UnaryOpFunctorIN3c108BFloat16ELi2ELi1ELi1EEEJNS0_4AcosIfEEEEEvT_T0_DpT1_: ; @_ZN2at6native12_GLOBAL__N_125multi_tensor_apply_kernelINS1_18TensorListMetadataILi2EEENS1_14UnaryOpFunctorIN3c108BFloat16ELi2ELi1ELi1EEEJNS0_4AcosIfEEEEEvT_T0_DpT1_
; %bb.0:
	s_bfe_u32 s2, ttmp6, 0x4000c
	s_and_b32 s3, ttmp6, 15
	s_add_co_i32 s2, s2, 1
	s_getreg_b32 s4, hwreg(HW_REG_IB_STS2, 6, 4)
	s_mul_i32 s2, ttmp9, s2
	s_delay_alu instid0(SALU_CYCLE_1)
	s_add_co_i32 s3, s3, s2
	s_cmp_eq_u32 s4, 0
	s_cselect_b32 s2, ttmp9, s3
	s_mov_b32 s3, 0
	s_load_u8 s8, s[0:1], s2 offset:0x600
	s_add_nc_u64 s[4:5], s[0:1], s[2:3]
	s_mul_u64 s[6:7], s[2:3], 3
	s_delay_alu instid0(SALU_CYCLE_1)
	s_add_nc_u64 s[4:5], s[4:5], s[6:7]
	s_load_b32 s6, s[4:5], 0x740
	s_wait_kmcnt 0x0
	s_clause 0x2
	s_load_b64 s[10:11], s[0:1], s8 offset:0x0 scale_offset
	s_load_b64 s[12:13], s[0:1], s8 offset:0x200 scale_offset
	;; [unrolled: 1-line block ×3, first 2 shown]
	s_mov_b32 s5, s3
	s_ashr_i32 s7, s6, 31
	s_wait_xcnt 0x0
	s_lshl_b64 s[8:9], s[6:7], 17
	s_wait_kmcnt 0x0
	s_and_b64 s[18:19], s[12:13], 7
	s_add_nc_u64 s[16:17], s[10:11], s[8:9]
	s_and_b32 s4, s14, 3
	s_and_b32 s2, s16, 7
	s_or_b64 s[4:5], s[18:19], s[4:5]
	s_lshl_b64 s[6:7], s[6:7], 16
	s_or_b64 s[2:3], s[4:5], s[2:3]
	s_sub_nc_u64 s[14:15], s[14:15], s[6:7]
	s_cmp_eq_u64 s[2:3], 0
	s_mov_b32 s2, -1
	s_cbranch_scc0 .LBB45_5
; %bb.1:
	v_min_i64 v[2:3], 0x10000, s[14:15]
	v_dual_mov_b32 v5, 0 :: v_dual_lshlrev_b32 v4, 2, v0
	s_mov_b32 s19, exec_lo
	s_delay_alu instid0(VALU_DEP_1)
	v_cmpx_lt_i64_e64 v[4:5], v[2:3]
	s_cbranch_execz .LBB45_4
; %bb.2:
	s_load_b32 s2, s[0:1], 0xc5c
	v_dual_mov_b32 v1, v5 :: v_dual_lshlrev_b32 v4, 3, v0
	s_mov_b32 s17, 0
	s_mov_b32 s18, 0x3c5fc5da
	;; [unrolled: 1-line block ×3, first 2 shown]
	s_delay_alu instid0(VALU_DEP_1)
	v_mov_b64_e32 v[6:7], v[0:1]
	v_add_nc_u64_e32 v[4:5], s[8:9], v[4:5]
	s_mov_b32 s22, 0x3d034c3c
	s_mov_b32 s24, 0x3d3641b1
	;; [unrolled: 1-line block ×6, first 2 shown]
	s_wait_kmcnt 0x0
	s_and_b32 s16, s2, 0xffff
	s_delay_alu instid0(SALU_CYCLE_1)
	s_lshl_b32 s30, s16, 3
.LBB45_3:                               ; =>This Inner Loop Header: Depth=1
	v_add_nc_u64_e32 v[8:9], s[10:11], v[4:5]
	v_add_nc_u64_e32 v[6:7], s[16:17], v[6:7]
	global_load_b64 v[8:9], v[8:9], off
	v_lshlrev_b64_e32 v[10:11], 2, v[6:7]
	s_wait_loadcnt 0x0
	v_and_b32_e32 v13, 0xffff0000, v8
	v_alignbit_b32 v1, v9, v8, 16
	s_wait_xcnt 0x0
	v_and_b32_e32 v9, 0xffff0000, v9
	s_delay_alu instid0(VALU_DEP_3)
	v_cmp_gt_f32_e64 s2, |v13|, 0.5
	v_lshlrev_b32_e32 v12, 16, v8
	v_and_b32_e32 v15, 0x7fffffff, v13
	v_and_b32_e32 v8, 0xffff0000, v1
	;; [unrolled: 1-line block ×3, first 2 shown]
	v_cmp_gt_f32_e64 s3, |v9|, 0.5
	v_and_b32_e32 v14, 0x7fffffff, v12
	v_pk_mul_f32 v[18:19], v[12:13], v[12:13]
	v_and_b32_e32 v16, 0x7fffffff, v8
	v_pk_mul_f32 v[20:21], v[8:9], v[8:9]
	v_cmp_gt_f32_e64 s4, |v8|, 0.5
	v_pk_fma_f32 v[14:15], v[14:15], -0.5, 0.5 op_sel_hi:[1,0,0]
	v_cmp_gt_f32_e64 s6, 0, v13
	v_pk_fma_f32 v[16:17], v[16:17], -0.5, 0.5 op_sel_hi:[1,0,0]
	v_cmp_gt_f32_e64 s7, 0, v9
	s_delay_alu instid0(VALU_DEP_4) | instskip(SKIP_3) | instid1(VALU_DEP_4)
	v_cndmask_b32_e64 v15, v19, v15, s2
	v_cmp_gt_f32_e64 vcc_lo, |v12|, 0.5
	v_cmp_gt_f32_e64 s5, 0, v12
	v_dual_cndmask_b32 v17, v21, v17, s3 :: v_dual_cndmask_b32 v16, v20, v16, s4
	v_sqrt_f32_e32 v21, v15
	v_cndmask_b32_e32 v14, v18, v14, vcc_lo
	s_delay_alu instid0(VALU_DEP_2) | instskip(NEXT) | instid1(VALU_DEP_2)
	v_sqrt_f32_e32 v25, v17
	v_pk_fma_f32 v[22:23], v[16:17], s[20:21], s[18:19] op_sel_hi:[1,0,0]
	v_sqrt_f32_e32 v24, v16
	s_delay_alu instid0(VALU_DEP_2) | instskip(SKIP_1) | instid1(VALU_DEP_2)
	v_pk_fma_f32 v[18:19], v[14:15], s[20:21], s[18:19] op_sel_hi:[1,0,0]
	v_sqrt_f32_e32 v20, v14
	v_pk_fma_f32 v[22:23], v[16:17], v[22:23], s[22:23] op_sel_hi:[1,1,0]
	s_delay_alu instid0(VALU_DEP_2) | instskip(NEXT) | instid1(VALU_DEP_2)
	v_pk_fma_f32 v[18:19], v[14:15], v[18:19], s[22:23] op_sel_hi:[1,1,0]
	v_pk_fma_f32 v[22:23], v[16:17], v[22:23], s[24:25] op_sel_hi:[1,1,0]
	s_delay_alu instid0(VALU_DEP_2) | instskip(NEXT) | instid1(VALU_DEP_2)
	v_pk_fma_f32 v[18:19], v[14:15], v[18:19], s[24:25] op_sel_hi:[1,1,0]
	;; [unrolled: 3-line block ×4, first 2 shown]
	v_pk_mul_f32 v[16:17], v[16:17], v[22:23]
	s_delay_alu instid0(VALU_DEP_2) | instskip(NEXT) | instid1(VALU_DEP_1)
	v_pk_mul_f32 v[14:15], v[14:15], v[18:19]
	v_pk_fma_f32 v[18:19], v[20:21], v[14:15], v[20:21]
	v_pk_fma_f32 v[14:15], v[12:13], v[14:15], v[12:13]
	s_delay_alu instid0(VALU_DEP_4) | instskip(SKIP_1) | instid1(VALU_DEP_4)
	v_pk_fma_f32 v[20:21], v[24:25], v[16:17], v[24:25]
	v_pk_fma_f32 v[16:17], v[8:9], v[16:17], v[8:9]
	v_pk_add_f32 v[18:19], v[18:19], v[18:19]
	s_delay_alu instid0(VALU_DEP_4) | instskip(NEXT) | instid1(VALU_DEP_4)
	v_dual_sub_f32 v1, 0x3fc90fdb, v15 :: v_dual_sub_f32 v22, 0x3fc90fdb, v14
	v_pk_add_f32 v[14:15], v[20:21], v[20:21]
	s_delay_alu instid0(VALU_DEP_4) | instskip(NEXT) | instid1(VALU_DEP_4)
	v_dual_sub_f32 v12, 0x3fc90fdb, v17 :: v_dual_sub_f32 v13, 0x3fc90fdb, v16
	v_dual_sub_f32 v20, 0x40490fdb, v18 :: v_dual_sub_f32 v21, 0x40490fdb, v19
	s_delay_alu instid0(VALU_DEP_3) | instskip(NEXT) | instid1(VALU_DEP_2)
	v_dual_sub_f32 v16, 0x40490fdb, v14 :: v_dual_sub_f32 v17, 0x40490fdb, v15
	v_cndmask_b32_e64 v18, v18, v20, s5
	v_cmp_gt_f32_e64 s5, 0, v8
	s_delay_alu instid0(VALU_DEP_1) | instskip(NEXT) | instid1(VALU_DEP_1)
	v_dual_cndmask_b32 v9, v19, v21, s6 :: v_dual_cndmask_b32 v8, v14, v16, s5
	v_dual_cndmask_b32 v1, v1, v9, s2 :: v_dual_cndmask_b32 v9, v22, v18, vcc_lo
	s_delay_alu instid0(VALU_DEP_2) | instskip(NEXT) | instid1(VALU_DEP_2)
	v_dual_cndmask_b32 v14, v15, v17, s7 :: v_dual_cndmask_b32 v8, v13, v8, s4
	v_lshrrev_b32_e32 v13, 16, v1
	s_delay_alu instid0(VALU_DEP_2) | instskip(SKIP_1) | instid1(VALU_DEP_3)
	v_dual_lshrrev_b32 v15, 16, v9 :: v_dual_cndmask_b32 v12, v12, v14, s3
	v_cmp_o_f32_e32 vcc_lo, v9, v9
	v_dual_lshrrev_b32 v14, 16, v8 :: v_dual_bitop2_b32 v13, 1, v13 bitop3:0x40
	v_cmp_o_f32_e64 s2, v1, v1
	s_delay_alu instid0(VALU_DEP_2) | instskip(NEXT) | instid1(VALU_DEP_3)
	v_dual_lshrrev_b32 v16, 16, v12 :: v_dual_bitop2_b32 v14, 1, v14 bitop3:0x40
	v_add3_u32 v13, v1, v13, 0x7fff
	s_delay_alu instid0(VALU_DEP_2) | instskip(NEXT) | instid1(VALU_DEP_3)
	v_and_b32_e32 v16, 1, v16
	v_add3_u32 v14, v8, v14, 0x7fff
	v_and_b32_e32 v15, 1, v15
	s_delay_alu instid0(VALU_DEP_4) | instskip(NEXT) | instid1(VALU_DEP_4)
	v_and_b32_e32 v13, 0xffff0000, v13
	v_add3_u32 v16, v12, v16, 0x7fff
	s_delay_alu instid0(VALU_DEP_4) | instskip(NEXT) | instid1(VALU_DEP_4)
	v_lshrrev_b32_e32 v14, 16, v14
	v_add3_u32 v15, v9, v15, 0x7fff
	s_delay_alu instid0(VALU_DEP_4) | instskip(NEXT) | instid1(VALU_DEP_4)
	v_cndmask_b32_e64 v13, 0x7fc00000, v13, s2
	v_and_b32_e32 v1, 0xffff0000, v16
	s_delay_alu instid0(VALU_DEP_4) | instskip(NEXT) | instid1(VALU_DEP_4)
	v_and_b32_e32 v9, 0xffff, v14
	v_lshrrev_b32_e32 v15, 16, v15
	s_delay_alu instid0(VALU_DEP_1)
	v_cndmask_b32_e32 v15, 0x7fc0, v15, vcc_lo
	v_cmp_o_f32_e32 vcc_lo, v12, v12
	v_cndmask_b32_e32 v1, 0x7fc00000, v1, vcc_lo
	v_cmp_o_f32_e32 vcc_lo, v8, v8
	v_cndmask_b32_e32 v12, 0x7fc0, v9, vcc_lo
	v_cmp_ge_i64_e32 vcc_lo, v[10:11], v[2:3]
	v_add_nc_u64_e32 v[8:9], s[12:13], v[4:5]
	v_add_nc_u64_e32 v[4:5], s[30:31], v[4:5]
	v_or3_b32 v10, v15, 0, v13
	v_or3_b32 v11, 0, v12, v1
	s_or_b32 s21, vcc_lo, s21
	global_store_b64 v[8:9], v[10:11], off
	s_wait_xcnt 0x0
	s_and_not1_b32 exec_lo, exec_lo, s21
	s_cbranch_execnz .LBB45_3
.LBB45_4:
	s_or_b32 exec_lo, exec_lo, s19
	s_mov_b32 s2, 0
.LBB45_5:
	s_delay_alu instid0(SALU_CYCLE_1)
	s_and_not1_b32 vcc_lo, exec_lo, s2
	s_cbranch_vccnz .LBB45_25
; %bb.6:
	v_cmp_lt_i64_e64 s2, s[14:15], 1
	s_and_b32 vcc_lo, exec_lo, s2
	s_cbranch_vccnz .LBB45_25
; %bb.7:
	s_load_b32 s0, s[0:1], 0xc5c
	v_min_i64 v[2:3], 0x10000, s[14:15]
	v_min_u64 v[4:5], 0x10000, s[14:15]
	v_dual_mov_b32 v1, 0 :: v_dual_lshlrev_b32 v12, 1, v0
	s_wait_xcnt 0x0
	s_mov_b32 s1, 0
	s_mov_b64 s[4:5], 0
	s_mov_b32 s17, s1
	v_dual_mov_b32 v13, v1 :: v_dual_mov_b32 v27, v1
	s_mov_b32 s3, s1
	s_mov_b32 s21, s1
	s_mov_b32 s6, 0x3d1c21a7
	s_delay_alu instid0(VALU_DEP_1)
	v_add_nc_u64_e32 v[6:7], s[10:11], v[12:13]
	v_add_nc_u64_e32 v[8:9], s[12:13], v[12:13]
	s_mov_b32 s14, 0x40490fdb
	s_mov_b32 s19, s1
	;; [unrolled: 1-line block ×5, first 2 shown]
	s_wait_kmcnt 0x0
	s_and_b32 s0, s0, 0xffff
	s_delay_alu instid0(SALU_CYCLE_1)
	v_add_nc_u64_e32 v[10:11], s[0:1], v[0:1]
	v_mad_nc_u64_u32 v[22:23], s0, 6, v[12:13]
	s_lshl_b32 s16, s0, 2
	s_lshl_b32 s2, s0, 1
	v_add_nc_u64_e32 v[18:19], s[16:17], v[12:13]
	s_mul_i32 s20, s0, 3
	v_add_nc_u64_e32 v[14:15], s[2:3], v[0:1]
	v_lshlrev_b32_e32 v26, 1, v10
	v_add_nc_u64_e32 v[12:13], s[20:21], v[0:1]
	s_lshl_b32 s18, s0, 3
	s_mov_b32 s20, 0x3d034c3c
	v_add_nc_u64_e32 v[16:17], s[10:11], v[18:19]
	v_add_nc_u64_e32 v[18:19], s[12:13], v[18:19]
	;; [unrolled: 1-line block ×6, first 2 shown]
	s_mov_b32 s10, 0x3fc90fdb
	s_mov_b32 s12, 0x3c5fc5da
	s_branch .LBB45_9
.LBB45_8:                               ;   in Loop: Header=BB45_9 Depth=1
	s_wait_xcnt 0x0
	s_or_b32 exec_lo, exec_lo, s2
	s_add_nc_u64 s[4:5], s[4:5], s[16:17]
	v_add_nc_u64_e32 v[6:7], s[18:19], v[6:7]
	v_cmp_ge_i64_e32 vcc_lo, s[4:5], v[2:3]
	v_add_nc_u64_e32 v[8:9], s[18:19], v[8:9]
	v_add_nc_u64_e32 v[20:21], s[18:19], v[20:21]
	;; [unrolled: 1-line block ×7, first 2 shown]
	s_cbranch_vccnz .LBB45_25
.LBB45_9:                               ; =>This Inner Loop Header: Depth=1
	v_add_nc_u64_e32 v[28:29], s[4:5], v[0:1]
	v_mov_b32_e32 v31, 0
	s_delay_alu instid0(VALU_DEP_2)
	v_cmp_lt_u64_e64 s2, v[28:29], v[4:5]
	s_and_saveexec_b32 s0, s2
	s_cbranch_execz .LBB45_11
; %bb.10:                               ;   in Loop: Header=BB45_9 Depth=1
	v_add_nc_u64_e32 v[28:29], s[8:9], v[6:7]
	global_load_u16 v28, v[28:29], off
	s_wait_loadcnt 0x0
	v_lshlrev_b32_e32 v31, 16, v28
.LBB45_11:                              ;   in Loop: Header=BB45_9 Depth=1
	s_wait_xcnt 0x0
	s_or_b32 exec_lo, exec_lo, s0
	v_add_nc_u64_e32 v[28:29], s[4:5], v[10:11]
	v_mov_b32_e32 v30, 0
	s_delay_alu instid0(VALU_DEP_2)
	v_cmp_lt_u64_e64 s1, v[28:29], v[4:5]
	v_mov_b32_e32 v29, 0
	s_and_saveexec_b32 s0, s1
	s_cbranch_execz .LBB45_13
; %bb.12:                               ;   in Loop: Header=BB45_9 Depth=1
	v_add_nc_u64_e32 v[32:33], s[8:9], v[24:25]
	global_load_u16 v28, v[32:33], off
	s_wait_loadcnt 0x0
	v_lshlrev_b32_e32 v30, 16, v28
.LBB45_13:                              ;   in Loop: Header=BB45_9 Depth=1
	s_wait_xcnt 0x0
	s_or_b32 exec_lo, exec_lo, s0
	v_add_nc_u64_e32 v[32:33], s[4:5], v[14:15]
	s_delay_alu instid0(VALU_DEP_1)
	v_cmp_lt_u64_e32 vcc_lo, v[32:33], v[4:5]
	s_and_saveexec_b32 s0, vcc_lo
	s_cbranch_execz .LBB45_15
; %bb.14:                               ;   in Loop: Header=BB45_9 Depth=1
	v_add_nc_u64_e32 v[28:29], s[8:9], v[16:17]
	global_load_u16 v28, v[28:29], off
	s_wait_loadcnt 0x0
	v_lshlrev_b32_e32 v29, 16, v28
.LBB45_15:                              ;   in Loop: Header=BB45_9 Depth=1
	s_or_b32 exec_lo, exec_lo, s0
	v_add_nc_u64_e32 v[32:33], s[4:5], v[12:13]
	v_mov_b32_e32 v28, 0
	s_delay_alu instid0(VALU_DEP_2)
	v_cmp_lt_u64_e64 s0, v[32:33], v[4:5]
	s_and_saveexec_b32 s3, s0
	s_cbranch_execnz .LBB45_23
; %bb.16:                               ;   in Loop: Header=BB45_9 Depth=1
	s_or_b32 exec_lo, exec_lo, s3
	s_and_saveexec_b32 s7, s2
	s_cbranch_execnz .LBB45_24
.LBB45_17:                              ;   in Loop: Header=BB45_9 Depth=1
	s_or_b32 exec_lo, exec_lo, s7
	s_and_saveexec_b32 s3, s1
	s_cbranch_execz .LBB45_19
.LBB45_18:                              ;   in Loop: Header=BB45_9 Depth=1
	v_fma_f32 v31, |v30|, -0.5, 0.5
	v_mul_f32_e32 v32, v30, v30
	v_cmp_gt_f32_e64 s1, |v30|, 0.5
	v_cmp_gt_f32_e64 s2, 0, v30
	s_delay_alu instid0(VALU_DEP_2) | instskip(NEXT) | instid1(VALU_DEP_1)
	v_cndmask_b32_e64 v31, v32, v31, s1
	v_fmaak_f32 v32, s6, v31, 0x3c5fc5da
	v_sqrt_f32_e32 v33, v31
	s_delay_alu instid0(VALU_DEP_1) | instskip(NEXT) | instid1(VALU_DEP_1)
	v_fmaak_f32 v32, v31, v32, 0x3d034c3c
	v_fmaak_f32 v32, v31, v32, 0x3d3641b1
	s_delay_alu instid0(VALU_DEP_1) | instskip(NEXT) | instid1(VALU_DEP_1)
	v_fmaak_f32 v32, v31, v32, 0x3d999bc8
	v_fmaak_f32 v32, v31, v32, 0x3e2aaaac
	s_delay_alu instid0(VALU_DEP_1) | instskip(NEXT) | instid1(VALU_DEP_1)
	v_mul_f32_e32 v31, v31, v32
	v_fmac_f32_e32 v30, v30, v31
	s_delay_alu instid0(VALU_DEP_1) | instskip(NEXT) | instid1(VALU_DEP_1)
	v_dual_sub_f32 v30, 0x3fc90fdb, v30 :: v_dual_fmac_f32 v33, v33, v31
	v_add_f32_e32 v32, v33, v33
	s_delay_alu instid0(VALU_DEP_1) | instskip(NEXT) | instid1(VALU_DEP_1)
	v_sub_f32_e32 v33, 0x40490fdb, v32
	v_cndmask_b32_e64 v31, v32, v33, s2
	s_delay_alu instid0(VALU_DEP_1) | instskip(NEXT) | instid1(VALU_DEP_1)
	v_cndmask_b32_e64 v32, v30, v31, s1
	v_bfe_u32 v30, v32, 16, 1
	v_cmp_o_f32_e64 s1, v32, v32
	s_delay_alu instid0(VALU_DEP_2) | instskip(NEXT) | instid1(VALU_DEP_1)
	v_add3_u32 v30, v32, v30, 0x7fff
	v_lshrrev_b32_e32 v33, 16, v30
	v_add_nc_u64_e32 v[30:31], s[8:9], v[26:27]
	s_delay_alu instid0(VALU_DEP_2)
	v_cndmask_b32_e64 v32, 0x7fc0, v33, s1
	global_store_b16 v[30:31], v32, off
.LBB45_19:                              ;   in Loop: Header=BB45_9 Depth=1
	s_wait_xcnt 0x0
	s_or_b32 exec_lo, exec_lo, s3
	v_and_b32_e32 v31, 0x7fffffff, v29
	v_and_b32_e32 v30, 0x7fffffff, v28
	v_pk_mul_f32 v[32:33], v[28:29], v[28:29]
	v_cmp_gt_f32_e64 s1, |v29|, 0.5
	v_cmp_gt_f32_e64 s2, |v28|, 0.5
	v_cmp_gt_f32_e64 s3, 0, v29
	v_pk_fma_f32 v[30:31], v[30:31], -0.5, 0.5 op_sel_hi:[1,0,0]
	s_delay_alu instid0(VALU_DEP_1) | instskip(NEXT) | instid1(VALU_DEP_1)
	v_dual_cndmask_b32 v31, v33, v31, s1 :: v_dual_cndmask_b32 v30, v32, v30, s2
	v_sqrt_f32_e32 v35, v31
	s_delay_alu instid0(VALU_DEP_1) | instskip(SKIP_1) | instid1(VALU_DEP_1)
	v_pk_fma_f32 v[32:33], v[30:31], s[6:7], s[12:13] op_sel_hi:[1,0,0]
	v_sqrt_f32_e32 v34, v30
	v_pk_fma_f32 v[32:33], v[30:31], v[32:33], s[20:21] op_sel_hi:[1,1,0]
	s_delay_alu instid0(VALU_DEP_1) | instskip(NEXT) | instid1(VALU_DEP_1)
	v_pk_fma_f32 v[32:33], v[30:31], v[32:33], s[22:23] op_sel_hi:[1,1,0]
	v_pk_fma_f32 v[32:33], v[30:31], v[32:33], s[24:25] op_sel_hi:[1,1,0]
	s_delay_alu instid0(VALU_DEP_1) | instskip(NEXT) | instid1(VALU_DEP_1)
	v_pk_fma_f32 v[32:33], v[30:31], v[32:33], s[26:27] op_sel_hi:[1,1,0]
	v_pk_mul_f32 v[30:31], v[30:31], v[32:33]
	s_delay_alu instid0(TRANS32_DEP_1) | instid1(VALU_DEP_1)
	v_pk_fma_f32 v[32:33], v[34:35], v[30:31], v[34:35]
	v_pk_fma_f32 v[30:31], v[28:29], v[30:31], v[28:29]
	s_delay_alu instid0(VALU_DEP_2) | instskip(NEXT) | instid1(VALU_DEP_2)
	v_pk_add_f32 v[32:33], v[32:33], v[32:33]
	v_pk_add_f32 v[30:31], v[30:31], s[10:11] op_sel_hi:[1,0] neg_lo:[1,0] neg_hi:[1,0]
	s_delay_alu instid0(VALU_DEP_2) | instskip(NEXT) | instid1(VALU_DEP_1)
	v_pk_add_f32 v[34:35], v[32:33], s[14:15] op_sel_hi:[1,0] neg_lo:[1,0] neg_hi:[1,0]
	v_cndmask_b32_e64 v29, v33, v35, s3
	v_cmp_gt_f32_e64 s3, 0, v28
	s_delay_alu instid0(VALU_DEP_1) | instskip(NEXT) | instid1(VALU_DEP_1)
	v_dual_cndmask_b32 v28, v32, v34, s3 :: v_dual_cndmask_b32 v29, v31, v29, s1
	v_cndmask_b32_e64 v28, v30, v28, s2
	s_delay_alu instid0(VALU_DEP_2) | instskip(NEXT) | instid1(VALU_DEP_2)
	v_cmp_u_f32_e64 s2, v29, v29
	v_cmp_u_f32_e64 s1, v28, v28
	s_and_saveexec_b32 s3, vcc_lo
	s_cbranch_execz .LBB45_21
; %bb.20:                               ;   in Loop: Header=BB45_9 Depth=1
	v_bfe_u32 v30, v29, 16, 1
	s_delay_alu instid0(VALU_DEP_1) | instskip(SKIP_1) | instid1(VALU_DEP_2)
	v_add3_u32 v29, v29, v30, 0x7fff
	v_add_nc_u64_e32 v[30:31], s[8:9], v[18:19]
	v_lshrrev_b32_e32 v29, 16, v29
	s_delay_alu instid0(VALU_DEP_1)
	v_cndmask_b32_e64 v29, v29, 0x7fc0, s2
	global_store_b16 v[30:31], v29, off
.LBB45_21:                              ;   in Loop: Header=BB45_9 Depth=1
	s_wait_xcnt 0x0
	s_or_b32 exec_lo, exec_lo, s3
	s_and_saveexec_b32 s2, s0
	s_cbranch_execz .LBB45_8
; %bb.22:                               ;   in Loop: Header=BB45_9 Depth=1
	v_bfe_u32 v29, v28, 16, 1
	s_delay_alu instid0(VALU_DEP_1) | instskip(NEXT) | instid1(VALU_DEP_1)
	v_add3_u32 v28, v28, v29, 0x7fff
	v_lshrrev_b32_e32 v30, 16, v28
	v_add_nc_u64_e32 v[28:29], s[8:9], v[22:23]
	s_delay_alu instid0(VALU_DEP_2)
	v_cndmask_b32_e64 v30, v30, 0x7fc0, s1
	global_store_b16 v[28:29], v30, off
	s_branch .LBB45_8
.LBB45_23:                              ;   in Loop: Header=BB45_9 Depth=1
	v_add_nc_u64_e32 v[32:33], s[8:9], v[20:21]
	global_load_u16 v28, v[32:33], off
	s_wait_loadcnt 0x0
	v_lshlrev_b32_e32 v28, 16, v28
	s_wait_xcnt 0x0
	s_or_b32 exec_lo, exec_lo, s3
	s_and_saveexec_b32 s7, s2
	s_cbranch_execz .LBB45_17
.LBB45_24:                              ;   in Loop: Header=BB45_9 Depth=1
	v_fma_f32 v32, |v31|, -0.5, 0.5
	v_mul_f32_e32 v33, v31, v31
	v_cmp_gt_f32_e64 s2, |v31|, 0.5
	v_cmp_gt_f32_e64 s3, 0, v31
	s_delay_alu instid0(VALU_DEP_2) | instskip(NEXT) | instid1(VALU_DEP_1)
	v_cndmask_b32_e64 v32, v33, v32, s2
	v_fmaak_f32 v33, s6, v32, 0x3c5fc5da
	v_sqrt_f32_e32 v34, v32
	s_delay_alu instid0(VALU_DEP_1) | instskip(NEXT) | instid1(VALU_DEP_1)
	v_fmaak_f32 v33, v32, v33, 0x3d034c3c
	v_fmaak_f32 v33, v32, v33, 0x3d3641b1
	s_delay_alu instid0(VALU_DEP_1) | instskip(NEXT) | instid1(VALU_DEP_1)
	v_fmaak_f32 v33, v32, v33, 0x3d999bc8
	v_fmaak_f32 v33, v32, v33, 0x3e2aaaac
	s_delay_alu instid0(VALU_DEP_1) | instskip(NEXT) | instid1(VALU_DEP_1)
	v_mul_f32_e32 v32, v32, v33
	v_fmac_f32_e32 v31, v31, v32
	s_delay_alu instid0(VALU_DEP_1) | instskip(NEXT) | instid1(VALU_DEP_1)
	v_dual_sub_f32 v31, 0x3fc90fdb, v31 :: v_dual_fmac_f32 v34, v34, v32
	v_add_f32_e32 v33, v34, v34
	s_delay_alu instid0(VALU_DEP_1) | instskip(NEXT) | instid1(VALU_DEP_1)
	v_sub_f32_e32 v34, 0x40490fdb, v33
	v_cndmask_b32_e64 v32, v33, v34, s3
	s_delay_alu instid0(VALU_DEP_1) | instskip(NEXT) | instid1(VALU_DEP_1)
	v_cndmask_b32_e64 v31, v31, v32, s2
	v_bfe_u32 v32, v31, 16, 1
	v_cmp_o_f32_e64 s2, v31, v31
	s_delay_alu instid0(VALU_DEP_2) | instskip(NEXT) | instid1(VALU_DEP_1)
	v_add3_u32 v32, v31, v32, 0x7fff
	v_lshrrev_b32_e32 v34, 16, v32
	v_add_nc_u64_e32 v[32:33], s[8:9], v[8:9]
	s_delay_alu instid0(VALU_DEP_2)
	v_cndmask_b32_e64 v31, 0x7fc0, v34, s2
	global_store_b16 v[32:33], v31, off
	s_wait_xcnt 0x0
	s_or_b32 exec_lo, exec_lo, s7
	s_and_saveexec_b32 s3, s1
	s_cbranch_execnz .LBB45_18
	s_branch .LBB45_19
.LBB45_25:
	s_endpgm
	.section	.rodata,"a",@progbits
	.p2align	6, 0x0
	.amdhsa_kernel _ZN2at6native12_GLOBAL__N_125multi_tensor_apply_kernelINS1_18TensorListMetadataILi2EEENS1_14UnaryOpFunctorIN3c108BFloat16ELi2ELi1ELi1EEEJNS0_4AcosIfEEEEEvT_T0_DpT1_
		.amdhsa_group_segment_fixed_size 0
		.amdhsa_private_segment_fixed_size 0
		.amdhsa_kernarg_size 3408
		.amdhsa_user_sgpr_count 2
		.amdhsa_user_sgpr_dispatch_ptr 0
		.amdhsa_user_sgpr_queue_ptr 0
		.amdhsa_user_sgpr_kernarg_segment_ptr 1
		.amdhsa_user_sgpr_dispatch_id 0
		.amdhsa_user_sgpr_kernarg_preload_length 0
		.amdhsa_user_sgpr_kernarg_preload_offset 0
		.amdhsa_user_sgpr_private_segment_size 0
		.amdhsa_wavefront_size32 1
		.amdhsa_uses_dynamic_stack 0
		.amdhsa_enable_private_segment 0
		.amdhsa_system_sgpr_workgroup_id_x 1
		.amdhsa_system_sgpr_workgroup_id_y 0
		.amdhsa_system_sgpr_workgroup_id_z 0
		.amdhsa_system_sgpr_workgroup_info 0
		.amdhsa_system_vgpr_workitem_id 0
		.amdhsa_next_free_vgpr 36
		.amdhsa_next_free_sgpr 32
		.amdhsa_named_barrier_count 0
		.amdhsa_reserve_vcc 1
		.amdhsa_float_round_mode_32 0
		.amdhsa_float_round_mode_16_64 0
		.amdhsa_float_denorm_mode_32 3
		.amdhsa_float_denorm_mode_16_64 3
		.amdhsa_fp16_overflow 0
		.amdhsa_memory_ordered 1
		.amdhsa_forward_progress 1
		.amdhsa_inst_pref_size 21
		.amdhsa_round_robin_scheduling 0
		.amdhsa_exception_fp_ieee_invalid_op 0
		.amdhsa_exception_fp_denorm_src 0
		.amdhsa_exception_fp_ieee_div_zero 0
		.amdhsa_exception_fp_ieee_overflow 0
		.amdhsa_exception_fp_ieee_underflow 0
		.amdhsa_exception_fp_ieee_inexact 0
		.amdhsa_exception_int_div_zero 0
	.end_amdhsa_kernel
	.section	.text._ZN2at6native12_GLOBAL__N_125multi_tensor_apply_kernelINS1_18TensorListMetadataILi2EEENS1_14UnaryOpFunctorIN3c108BFloat16ELi2ELi1ELi1EEEJNS0_4AcosIfEEEEEvT_T0_DpT1_,"axG",@progbits,_ZN2at6native12_GLOBAL__N_125multi_tensor_apply_kernelINS1_18TensorListMetadataILi2EEENS1_14UnaryOpFunctorIN3c108BFloat16ELi2ELi1ELi1EEEJNS0_4AcosIfEEEEEvT_T0_DpT1_,comdat
.Lfunc_end45:
	.size	_ZN2at6native12_GLOBAL__N_125multi_tensor_apply_kernelINS1_18TensorListMetadataILi2EEENS1_14UnaryOpFunctorIN3c108BFloat16ELi2ELi1ELi1EEEJNS0_4AcosIfEEEEEvT_T0_DpT1_, .Lfunc_end45-_ZN2at6native12_GLOBAL__N_125multi_tensor_apply_kernelINS1_18TensorListMetadataILi2EEENS1_14UnaryOpFunctorIN3c108BFloat16ELi2ELi1ELi1EEEJNS0_4AcosIfEEEEEvT_T0_DpT1_
                                        ; -- End function
	.set _ZN2at6native12_GLOBAL__N_125multi_tensor_apply_kernelINS1_18TensorListMetadataILi2EEENS1_14UnaryOpFunctorIN3c108BFloat16ELi2ELi1ELi1EEEJNS0_4AcosIfEEEEEvT_T0_DpT1_.num_vgpr, 36
	.set _ZN2at6native12_GLOBAL__N_125multi_tensor_apply_kernelINS1_18TensorListMetadataILi2EEENS1_14UnaryOpFunctorIN3c108BFloat16ELi2ELi1ELi1EEEJNS0_4AcosIfEEEEEvT_T0_DpT1_.num_agpr, 0
	.set _ZN2at6native12_GLOBAL__N_125multi_tensor_apply_kernelINS1_18TensorListMetadataILi2EEENS1_14UnaryOpFunctorIN3c108BFloat16ELi2ELi1ELi1EEEJNS0_4AcosIfEEEEEvT_T0_DpT1_.numbered_sgpr, 32
	.set _ZN2at6native12_GLOBAL__N_125multi_tensor_apply_kernelINS1_18TensorListMetadataILi2EEENS1_14UnaryOpFunctorIN3c108BFloat16ELi2ELi1ELi1EEEJNS0_4AcosIfEEEEEvT_T0_DpT1_.num_named_barrier, 0
	.set _ZN2at6native12_GLOBAL__N_125multi_tensor_apply_kernelINS1_18TensorListMetadataILi2EEENS1_14UnaryOpFunctorIN3c108BFloat16ELi2ELi1ELi1EEEJNS0_4AcosIfEEEEEvT_T0_DpT1_.private_seg_size, 0
	.set _ZN2at6native12_GLOBAL__N_125multi_tensor_apply_kernelINS1_18TensorListMetadataILi2EEENS1_14UnaryOpFunctorIN3c108BFloat16ELi2ELi1ELi1EEEJNS0_4AcosIfEEEEEvT_T0_DpT1_.uses_vcc, 1
	.set _ZN2at6native12_GLOBAL__N_125multi_tensor_apply_kernelINS1_18TensorListMetadataILi2EEENS1_14UnaryOpFunctorIN3c108BFloat16ELi2ELi1ELi1EEEJNS0_4AcosIfEEEEEvT_T0_DpT1_.uses_flat_scratch, 0
	.set _ZN2at6native12_GLOBAL__N_125multi_tensor_apply_kernelINS1_18TensorListMetadataILi2EEENS1_14UnaryOpFunctorIN3c108BFloat16ELi2ELi1ELi1EEEJNS0_4AcosIfEEEEEvT_T0_DpT1_.has_dyn_sized_stack, 0
	.set _ZN2at6native12_GLOBAL__N_125multi_tensor_apply_kernelINS1_18TensorListMetadataILi2EEENS1_14UnaryOpFunctorIN3c108BFloat16ELi2ELi1ELi1EEEJNS0_4AcosIfEEEEEvT_T0_DpT1_.has_recursion, 0
	.set _ZN2at6native12_GLOBAL__N_125multi_tensor_apply_kernelINS1_18TensorListMetadataILi2EEENS1_14UnaryOpFunctorIN3c108BFloat16ELi2ELi1ELi1EEEJNS0_4AcosIfEEEEEvT_T0_DpT1_.has_indirect_call, 0
	.section	.AMDGPU.csdata,"",@progbits
; Kernel info:
; codeLenInByte = 2600
; TotalNumSgprs: 34
; NumVgprs: 36
; ScratchSize: 0
; MemoryBound: 0
; FloatMode: 240
; IeeeMode: 1
; LDSByteSize: 0 bytes/workgroup (compile time only)
; SGPRBlocks: 0
; VGPRBlocks: 2
; NumSGPRsForWavesPerEU: 34
; NumVGPRsForWavesPerEU: 36
; NamedBarCnt: 0
; Occupancy: 16
; WaveLimiterHint : 0
; COMPUTE_PGM_RSRC2:SCRATCH_EN: 0
; COMPUTE_PGM_RSRC2:USER_SGPR: 2
; COMPUTE_PGM_RSRC2:TRAP_HANDLER: 0
; COMPUTE_PGM_RSRC2:TGID_X_EN: 1
; COMPUTE_PGM_RSRC2:TGID_Y_EN: 0
; COMPUTE_PGM_RSRC2:TGID_Z_EN: 0
; COMPUTE_PGM_RSRC2:TIDIG_COMP_CNT: 0
	.section	.text._ZN2at6native12_GLOBAL__N_125multi_tensor_apply_kernelINS1_18TensorListMetadataILi1EEENS1_14UnaryOpFunctorIdLi1ELi1ELi0EEEJNS0_4AcosIdEEEEEvT_T0_DpT1_,"axG",@progbits,_ZN2at6native12_GLOBAL__N_125multi_tensor_apply_kernelINS1_18TensorListMetadataILi1EEENS1_14UnaryOpFunctorIdLi1ELi1ELi0EEEJNS0_4AcosIdEEEEEvT_T0_DpT1_,comdat
	.globl	_ZN2at6native12_GLOBAL__N_125multi_tensor_apply_kernelINS1_18TensorListMetadataILi1EEENS1_14UnaryOpFunctorIdLi1ELi1ELi0EEEJNS0_4AcosIdEEEEEvT_T0_DpT1_ ; -- Begin function _ZN2at6native12_GLOBAL__N_125multi_tensor_apply_kernelINS1_18TensorListMetadataILi1EEENS1_14UnaryOpFunctorIdLi1ELi1ELi0EEEJNS0_4AcosIdEEEEEvT_T0_DpT1_
	.p2align	8
	.type	_ZN2at6native12_GLOBAL__N_125multi_tensor_apply_kernelINS1_18TensorListMetadataILi1EEENS1_14UnaryOpFunctorIdLi1ELi1ELi0EEEJNS0_4AcosIdEEEEEvT_T0_DpT1_,@function
_ZN2at6native12_GLOBAL__N_125multi_tensor_apply_kernelINS1_18TensorListMetadataILi1EEENS1_14UnaryOpFunctorIdLi1ELi1ELi0EEEJNS0_4AcosIdEEEEEvT_T0_DpT1_: ; @_ZN2at6native12_GLOBAL__N_125multi_tensor_apply_kernelINS1_18TensorListMetadataILi1EEENS1_14UnaryOpFunctorIdLi1ELi1ELi0EEEJNS0_4AcosIdEEEEEvT_T0_DpT1_
; %bb.0:
	s_bfe_u32 s2, ttmp6, 0x4000c
	s_and_b32 s3, ttmp6, 15
	s_add_co_i32 s2, s2, 1
	s_getreg_b32 s4, hwreg(HW_REG_IB_STS2, 6, 4)
	s_mul_i32 s2, ttmp9, s2
	s_delay_alu instid0(SALU_CYCLE_1)
	s_add_co_i32 s3, s3, s2
	s_cmp_eq_u32 s4, 0
	s_cselect_b32 s2, ttmp9, s3
	s_mov_b32 s3, 0
	s_load_u8 s8, s[0:1], s2 offset:0x6e0
	s_add_nc_u64 s[4:5], s[0:1], s[2:3]
	s_mul_u64 s[6:7], s[2:3], 3
	s_delay_alu instid0(SALU_CYCLE_1)
	s_add_nc_u64 s[4:5], s[4:5], s[6:7]
	s_load_b32 s10, s[4:5], 0x820
	s_wait_kmcnt 0x0
	s_clause 0x1
	s_load_b64 s[6:7], s[0:1], s8 offset:0x0 scale_offset
	s_load_b64 s[12:13], s[0:1], s8 offset:0x370 scale_offset
	s_ashr_i32 s11, s10, 31
	s_wait_kmcnt 0x0
	s_and_b64 s[4:5], s[6:7], 31
	s_and_b32 s2, s12, 3
	s_lshl_b64 s[8:9], s[10:11], 19
	s_or_b64 s[2:3], s[4:5], s[2:3]
	s_lshl_b64 s[4:5], s[10:11], 16
	s_cmp_eq_u64 s[2:3], 0
	s_sub_nc_u64 s[10:11], s[12:13], s[4:5]
	s_cbranch_scc1 .LBB46_29
; %bb.1:
	v_cmp_lt_i64_e64 s2, s[10:11], 1
	s_and_b32 vcc_lo, exec_lo, s2
	s_cbranch_vccnz .LBB46_28
; %bb.2:
	s_load_b32 s4, s[0:1], 0xd3c
	v_min_i64 v[2:3], 0x10000, s[10:11]
	v_min_u64 v[4:5], 0x10000, s[10:11]
	v_dual_mov_b32 v1, 0 :: v_dual_lshlrev_b32 v10, 3, v0
	s_mov_b32 s25, 0
	s_add_nc_u64 s[2:3], s[6:7], s[8:9]
	s_mov_b32 s5, s25
	s_delay_alu instid0(VALU_DEP_1) | instskip(SKIP_3) | instid1(VALU_DEP_2)
	v_dual_mov_b32 v11, v1 :: v_dual_mov_b32 v17, v1
	s_mov_b32 s21, s25
	v_mov_b64_e32 v[6:7], 0xbf90a5a378a05eaf
	s_mov_b64 s[12:13], 0x3ffaf154eeb562d6
	v_add_nc_u64_e32 v[10:11], s[2:3], v[10:11]
	s_mov_b64 s[14:15], 0x3fedd9ad336a0500
	s_mov_b32 s17, s25
	s_mov_b32 s19, s25
	s_mov_b64 s[26:27], 0
                                        ; implicit-def: $vgpr18_vgpr19
                                        ; implicit-def: $vgpr18_vgpr19
	;; [unrolled: 1-line block ×10, first 2 shown]
	s_wait_kmcnt 0x0
	s_and_b32 s24, s4, 0xffff
	s_delay_alu instid0(SALU_CYCLE_1)
	v_add_nc_u64_e32 v[8:9], s[24:25], v[0:1]
	s_lshl_b32 s4, s24, 1
	s_mul_i32 s20, s24, 3
	v_add_nc_u64_e32 v[14:15], s[4:5], v[0:1]
	v_add_nc_u64_e32 v[12:13], s[20:21], v[0:1]
	s_lshl_b32 s16, s24, 2
	s_lshl_b32 s18, s24, 5
	v_lshlrev_b32_e32 v16, 3, v8
	s_mov_b64 s[20:21], 0x3ffdd9ad336a0500
	s_mul_u64 s[22:23], s[24:25], 24
	s_lshl_b32 s24, s24, 4
	s_delay_alu instid0(VALU_DEP_1)
	v_add_nc_u64_e32 v[16:17], s[2:3], v[16:17]
	s_branch .LBB46_4
.LBB46_3:                               ;   in Loop: Header=BB46_4 Depth=1
	s_wait_xcnt 0x0
	s_or_b32 exec_lo, exec_lo, s2
	s_add_nc_u64 s[26:27], s[26:27], s[16:17]
	v_add_nc_u64_e32 v[10:11], s[18:19], v[10:11]
	v_cmp_ge_i64_e32 vcc_lo, s[26:27], v[2:3]
	v_add_nc_u64_e32 v[16:17], s[18:19], v[16:17]
	s_cbranch_vccnz .LBB46_28
.LBB46_4:                               ; =>This Inner Loop Header: Depth=1
	v_add_nc_u64_e32 v[18:19], s[26:27], v[0:1]
	v_mov_b64_e32 v[28:29], 0
	v_mov_b64_e32 v[30:31], 0
	s_delay_alu instid0(VALU_DEP_3)
	v_cmp_lt_u64_e32 vcc_lo, v[18:19], v[4:5]
	s_and_saveexec_b32 s2, vcc_lo
	s_cbranch_execz .LBB46_6
; %bb.5:                                ;   in Loop: Header=BB46_4 Depth=1
	global_load_b64 v[30:31], v[10:11], off
.LBB46_6:                               ;   in Loop: Header=BB46_4 Depth=1
	s_wait_xcnt 0x0
	s_or_b32 exec_lo, exec_lo, s2
	v_add_nc_u64_e32 v[18:19], s[26:27], v[8:9]
	s_delay_alu instid0(VALU_DEP_1)
	v_cmp_lt_u64_e64 s2, v[18:19], v[4:5]
	s_and_saveexec_b32 s3, s2
	s_cbranch_execz .LBB46_8
; %bb.7:                                ;   in Loop: Header=BB46_4 Depth=1
	global_load_b64 v[28:29], v[16:17], off
.LBB46_8:                               ;   in Loop: Header=BB46_4 Depth=1
	s_wait_xcnt 0x0
	s_or_b32 exec_lo, exec_lo, s3
	v_add_nc_u64_e32 v[20:21], s[26:27], v[14:15]
	v_mov_b64_e32 v[22:23], 0
	v_add_nc_u64_e32 v[18:19], s[24:25], v[10:11]
	v_mov_b64_e32 v[26:27], 0
	s_delay_alu instid0(VALU_DEP_4)
	v_cmp_lt_u64_e64 s3, v[20:21], v[4:5]
	s_and_saveexec_b32 s4, s3
	s_cbranch_execz .LBB46_10
; %bb.9:                                ;   in Loop: Header=BB46_4 Depth=1
	global_load_b64 v[26:27], v[18:19], off
.LBB46_10:                              ;   in Loop: Header=BB46_4 Depth=1
	s_wait_xcnt 0x0
	s_or_b32 exec_lo, exec_lo, s4
	v_add_nc_u64_e32 v[20:21], s[26:27], v[12:13]
	s_delay_alu instid0(VALU_DEP_1)
	v_cmp_lt_u64_e64 s4, v[20:21], v[4:5]
	v_add_nc_u64_e32 v[20:21], s[22:23], v[10:11]
	s_and_saveexec_b32 s5, s4
	s_cbranch_execz .LBB46_12
; %bb.11:                               ;   in Loop: Header=BB46_4 Depth=1
	global_load_b64 v[22:23], v[20:21], off
.LBB46_12:                              ;   in Loop: Header=BB46_4 Depth=1
	s_wait_xcnt 0x0
	s_or_b32 exec_lo, exec_lo, s5
	s_wait_loadcnt 0x0
	v_fma_f64 v[34:35], |v[30:31]|, -0.5, 0.5
	v_mul_f64_e32 v[24:25], v[30:31], v[30:31]
	v_cmp_ge_f64_e64 s5, |v[30:31]|, 0.5
	s_delay_alu instid0(VALU_DEP_1) | instskip(NEXT) | instid1(VALU_DEP_1)
	v_dual_cndmask_b32 v25, v25, v35, s5 :: v_dual_cndmask_b32 v24, v24, v34, s5
	v_fmamk_f64 v[32:33], v[24:25], 0x3fa059859fea6a70, v[6:7]
	s_delay_alu instid0(VALU_DEP_1) | instskip(NEXT) | instid1(VALU_DEP_1)
	v_fmaak_f64 v[32:33], v[24:25], v[32:33], 0x3f94052137024d6a
	v_fmaak_f64 v[32:33], v[24:25], v[32:33], 0x3f7ab3a098a70509
	s_delay_alu instid0(VALU_DEP_1) | instskip(NEXT) | instid1(VALU_DEP_1)
	v_fmaak_f64 v[32:33], v[24:25], v[32:33], 0x3f88ed60a300c8d2
	v_fmaak_f64 v[32:33], v[24:25], v[32:33], 0x3f8c6fa84b77012b
	;; [unrolled: 3-line block ×5, first 2 shown]
	s_delay_alu instid0(VALU_DEP_1) | instskip(NEXT) | instid1(VALU_DEP_1)
	v_mul_f64_e32 v[32:33], v[24:25], v[32:33]
	v_fma_f64 v[24:25], v[30:31], v[32:33], v[30:31]
	s_delay_alu instid0(VALU_DEP_1)
	v_fma_f64 v[24:25], s[14:15], s[12:13], -v[24:25]
	s_and_saveexec_b32 s28, s5
	s_cbranch_execz .LBB46_14
; %bb.13:                               ;   in Loop: Header=BB46_4 Depth=1
	v_rsq_f64_e32 v[24:25], v[34:35]
	v_cmp_eq_f64_e64 s5, 0, v[34:35]
	s_delay_alu instid0(TRANS32_DEP_1) | instskip(SKIP_1) | instid1(VALU_DEP_1)
	v_mul_f64_e32 v[36:37], v[34:35], v[24:25]
	v_mul_f64_e32 v[24:25], 0.5, v[24:25]
	v_fma_f64 v[38:39], -v[24:25], v[36:37], 0.5
	s_delay_alu instid0(VALU_DEP_1) | instskip(SKIP_1) | instid1(VALU_DEP_2)
	v_fmac_f64_e32 v[36:37], v[36:37], v[38:39]
	v_fmac_f64_e32 v[24:25], v[24:25], v[38:39]
	v_fma_f64 v[38:39], -v[36:37], v[36:37], v[34:35]
	s_delay_alu instid0(VALU_DEP_1) | instskip(NEXT) | instid1(VALU_DEP_1)
	v_fmac_f64_e32 v[36:37], v[38:39], v[24:25]
	v_dual_cndmask_b32 v25, v37, v35, s5 :: v_dual_cndmask_b32 v24, v36, v34, s5
	s_delay_alu instid0(VALU_DEP_1) | instskip(SKIP_1) | instid1(VALU_DEP_2)
	v_add_f64_e32 v[36:37], v[24:25], v[24:25]
	v_mul_f64_e32 v[38:39], v[24:25], v[24:25]
	v_rcp_f64_e32 v[40:41], v[36:37]
	s_delay_alu instid0(VALU_DEP_1) | instskip(SKIP_1) | instid1(VALU_DEP_2)
	v_add_f64_e64 v[42:43], v[34:35], -v[38:39]
	v_fma_f64 v[46:47], v[24:25], v[24:25], -v[38:39]
	v_add_f64_e64 v[34:35], v[34:35], -v[42:43]
	s_delay_alu instid0(TRANS32_DEP_1) | instskip(NEXT) | instid1(VALU_DEP_2)
	v_fma_f64 v[44:45], -v[36:37], v[40:41], 1.0
	v_add_f64_e64 v[34:35], v[34:35], -v[38:39]
	s_delay_alu instid0(VALU_DEP_2) | instskip(NEXT) | instid1(VALU_DEP_2)
	v_fmac_f64_e32 v[40:41], v[44:45], v[40:41]
	v_add_f64_e64 v[34:35], v[34:35], -v[46:47]
	s_delay_alu instid0(VALU_DEP_2) | instskip(NEXT) | instid1(VALU_DEP_2)
	v_fma_f64 v[38:39], -v[36:37], v[40:41], 1.0
	v_add_f64_e32 v[34:35], v[42:43], v[34:35]
	s_delay_alu instid0(VALU_DEP_2) | instskip(NEXT) | instid1(VALU_DEP_1)
	v_fmac_f64_e32 v[40:41], v[38:39], v[40:41]
	v_mul_f64_e32 v[38:39], v[34:35], v[40:41]
	s_delay_alu instid0(VALU_DEP_1) | instskip(NEXT) | instid1(VALU_DEP_1)
	v_fma_f64 v[34:35], -v[36:37], v[38:39], v[34:35]
	v_fmac_f64_e32 v[38:39], v[34:35], v[40:41]
	s_delay_alu instid0(VALU_DEP_1) | instskip(NEXT) | instid1(VALU_DEP_2)
	v_cndmask_b32_e64 v35, v39, 0, s5
	v_cndmask_b32_e64 v34, v38, 0, s5
	v_cmp_gt_f64_e64 s5, 0, v[30:31]
	s_delay_alu instid0(VALU_DEP_2) | instskip(NEXT) | instid1(VALU_DEP_1)
	v_add_f64_e32 v[36:37], v[24:25], v[34:35]
	v_add_f64_e64 v[24:25], v[36:37], -v[24:25]
	s_delay_alu instid0(VALU_DEP_1) | instskip(SKIP_1) | instid1(VALU_DEP_2)
	v_add_f64_e64 v[24:25], v[34:35], -v[24:25]
	v_fma_f64 v[34:35], v[36:37], v[32:33], v[36:37]
	v_fmac_f64_e32 v[24:25], v[36:37], v[32:33]
	s_delay_alu instid0(VALU_DEP_2) | instskip(NEXT) | instid1(VALU_DEP_2)
	v_mul_f64_e32 v[32:33], -2.0, v[34:35]
	v_add_f64_e32 v[24:25], v[36:37], v[24:25]
	s_delay_alu instid0(VALU_DEP_2) | instskip(NEXT) | instid1(VALU_DEP_2)
	v_fmac_f64_e64 v[32:33], s[20:21], s[12:13]
	v_add_f64_e32 v[24:25], v[24:25], v[24:25]
	s_delay_alu instid0(VALU_DEP_1) | instskip(SKIP_1) | instid1(VALU_DEP_1)
	v_dual_cndmask_b32 v25, v25, v33, s5 :: v_dual_cndmask_b32 v24, v24, v32, s5
	v_cmp_neq_f64_e64 s5, -1.0, v[30:31]
	v_cndmask_b32_e64 v24, 0x54442d18, v24, s5
	s_delay_alu instid0(VALU_DEP_3) | instskip(SKIP_1) | instid1(VALU_DEP_1)
	v_cndmask_b32_e64 v25, 0x400921fb, v25, s5
	v_cmp_neq_f64_e64 s5, 1.0, v[30:31]
	v_dual_cndmask_b32 v25, 0, v25, s5 :: v_dual_cndmask_b32 v24, 0, v24, s5
.LBB46_14:                              ;   in Loop: Header=BB46_4 Depth=1
	s_or_b32 exec_lo, exec_lo, s28
	v_fma_f64 v[34:35], |v[28:29]|, -0.5, 0.5
	v_mul_f64_e32 v[30:31], v[28:29], v[28:29]
	v_cmp_ge_f64_e64 s5, |v[28:29]|, 0.5
	s_delay_alu instid0(VALU_DEP_1) | instskip(NEXT) | instid1(VALU_DEP_1)
	v_dual_cndmask_b32 v31, v31, v35, s5 :: v_dual_cndmask_b32 v30, v30, v34, s5
	v_fmamk_f64 v[32:33], v[30:31], 0x3fa059859fea6a70, v[6:7]
	s_delay_alu instid0(VALU_DEP_1) | instskip(NEXT) | instid1(VALU_DEP_1)
	v_fmaak_f64 v[32:33], v[30:31], v[32:33], 0x3f94052137024d6a
	v_fmaak_f64 v[32:33], v[30:31], v[32:33], 0x3f7ab3a098a70509
	s_delay_alu instid0(VALU_DEP_1) | instskip(NEXT) | instid1(VALU_DEP_1)
	v_fmaak_f64 v[32:33], v[30:31], v[32:33], 0x3f88ed60a300c8d2
	v_fmaak_f64 v[32:33], v[30:31], v[32:33], 0x3f8c6fa84b77012b
	;; [unrolled: 3-line block ×5, first 2 shown]
	s_delay_alu instid0(VALU_DEP_1) | instskip(NEXT) | instid1(VALU_DEP_1)
	v_mul_f64_e32 v[32:33], v[30:31], v[32:33]
	v_fma_f64 v[30:31], v[28:29], v[32:33], v[28:29]
	s_delay_alu instid0(VALU_DEP_1)
	v_fma_f64 v[30:31], s[14:15], s[12:13], -v[30:31]
	s_and_saveexec_b32 s28, s5
	s_cbranch_execz .LBB46_16
; %bb.15:                               ;   in Loop: Header=BB46_4 Depth=1
	v_rsq_f64_e32 v[30:31], v[34:35]
	v_cmp_eq_f64_e64 s5, 0, v[34:35]
	s_delay_alu instid0(TRANS32_DEP_1) | instskip(SKIP_1) | instid1(VALU_DEP_1)
	v_mul_f64_e32 v[36:37], v[34:35], v[30:31]
	v_mul_f64_e32 v[30:31], 0.5, v[30:31]
	v_fma_f64 v[38:39], -v[30:31], v[36:37], 0.5
	s_delay_alu instid0(VALU_DEP_1) | instskip(SKIP_1) | instid1(VALU_DEP_2)
	v_fmac_f64_e32 v[36:37], v[36:37], v[38:39]
	v_fmac_f64_e32 v[30:31], v[30:31], v[38:39]
	v_fma_f64 v[38:39], -v[36:37], v[36:37], v[34:35]
	s_delay_alu instid0(VALU_DEP_1) | instskip(NEXT) | instid1(VALU_DEP_1)
	v_fmac_f64_e32 v[36:37], v[38:39], v[30:31]
	v_dual_cndmask_b32 v31, v37, v35, s5 :: v_dual_cndmask_b32 v30, v36, v34, s5
	s_delay_alu instid0(VALU_DEP_1) | instskip(SKIP_1) | instid1(VALU_DEP_2)
	v_add_f64_e32 v[36:37], v[30:31], v[30:31]
	v_mul_f64_e32 v[38:39], v[30:31], v[30:31]
	v_rcp_f64_e32 v[40:41], v[36:37]
	s_delay_alu instid0(VALU_DEP_1) | instskip(SKIP_1) | instid1(VALU_DEP_2)
	v_add_f64_e64 v[42:43], v[34:35], -v[38:39]
	v_fma_f64 v[46:47], v[30:31], v[30:31], -v[38:39]
	v_add_f64_e64 v[34:35], v[34:35], -v[42:43]
	s_delay_alu instid0(TRANS32_DEP_1) | instskip(NEXT) | instid1(VALU_DEP_2)
	v_fma_f64 v[44:45], -v[36:37], v[40:41], 1.0
	v_add_f64_e64 v[34:35], v[34:35], -v[38:39]
	s_delay_alu instid0(VALU_DEP_2) | instskip(NEXT) | instid1(VALU_DEP_2)
	v_fmac_f64_e32 v[40:41], v[44:45], v[40:41]
	v_add_f64_e64 v[34:35], v[34:35], -v[46:47]
	s_delay_alu instid0(VALU_DEP_2) | instskip(NEXT) | instid1(VALU_DEP_2)
	v_fma_f64 v[38:39], -v[36:37], v[40:41], 1.0
	v_add_f64_e32 v[34:35], v[42:43], v[34:35]
	s_delay_alu instid0(VALU_DEP_2) | instskip(NEXT) | instid1(VALU_DEP_1)
	v_fmac_f64_e32 v[40:41], v[38:39], v[40:41]
	v_mul_f64_e32 v[38:39], v[34:35], v[40:41]
	s_delay_alu instid0(VALU_DEP_1) | instskip(NEXT) | instid1(VALU_DEP_1)
	v_fma_f64 v[34:35], -v[36:37], v[38:39], v[34:35]
	v_fmac_f64_e32 v[38:39], v[34:35], v[40:41]
	s_delay_alu instid0(VALU_DEP_1) | instskip(NEXT) | instid1(VALU_DEP_2)
	v_cndmask_b32_e64 v35, v39, 0, s5
	v_cndmask_b32_e64 v34, v38, 0, s5
	v_cmp_gt_f64_e64 s5, 0, v[28:29]
	s_delay_alu instid0(VALU_DEP_2) | instskip(NEXT) | instid1(VALU_DEP_1)
	v_add_f64_e32 v[36:37], v[30:31], v[34:35]
	v_add_f64_e64 v[30:31], v[36:37], -v[30:31]
	s_delay_alu instid0(VALU_DEP_1) | instskip(SKIP_1) | instid1(VALU_DEP_2)
	v_add_f64_e64 v[30:31], v[34:35], -v[30:31]
	v_fma_f64 v[34:35], v[36:37], v[32:33], v[36:37]
	v_fmac_f64_e32 v[30:31], v[36:37], v[32:33]
	s_delay_alu instid0(VALU_DEP_2) | instskip(NEXT) | instid1(VALU_DEP_2)
	v_mul_f64_e32 v[32:33], -2.0, v[34:35]
	v_add_f64_e32 v[30:31], v[36:37], v[30:31]
	s_delay_alu instid0(VALU_DEP_2) | instskip(NEXT) | instid1(VALU_DEP_2)
	v_fmac_f64_e64 v[32:33], s[20:21], s[12:13]
	v_add_f64_e32 v[30:31], v[30:31], v[30:31]
	s_delay_alu instid0(VALU_DEP_1) | instskip(SKIP_1) | instid1(VALU_DEP_1)
	v_dual_cndmask_b32 v31, v31, v33, s5 :: v_dual_cndmask_b32 v30, v30, v32, s5
	v_cmp_neq_f64_e64 s5, -1.0, v[28:29]
	v_cndmask_b32_e64 v30, 0x54442d18, v30, s5
	s_delay_alu instid0(VALU_DEP_3) | instskip(SKIP_1) | instid1(VALU_DEP_1)
	v_cndmask_b32_e64 v31, 0x400921fb, v31, s5
	v_cmp_neq_f64_e64 s5, 1.0, v[28:29]
	v_dual_cndmask_b32 v31, 0, v31, s5 :: v_dual_cndmask_b32 v30, 0, v30, s5
.LBB46_16:                              ;   in Loop: Header=BB46_4 Depth=1
	s_or_b32 exec_lo, exec_lo, s28
	v_fma_f64 v[34:35], |v[26:27]|, -0.5, 0.5
	v_mul_f64_e32 v[28:29], v[26:27], v[26:27]
	v_cmp_ge_f64_e64 s5, |v[26:27]|, 0.5
	s_delay_alu instid0(VALU_DEP_1) | instskip(NEXT) | instid1(VALU_DEP_1)
	v_dual_cndmask_b32 v29, v29, v35, s5 :: v_dual_cndmask_b32 v28, v28, v34, s5
	v_fmamk_f64 v[32:33], v[28:29], 0x3fa059859fea6a70, v[6:7]
	s_delay_alu instid0(VALU_DEP_1) | instskip(NEXT) | instid1(VALU_DEP_1)
	v_fmaak_f64 v[32:33], v[28:29], v[32:33], 0x3f94052137024d6a
	v_fmaak_f64 v[32:33], v[28:29], v[32:33], 0x3f7ab3a098a70509
	s_delay_alu instid0(VALU_DEP_1) | instskip(NEXT) | instid1(VALU_DEP_1)
	v_fmaak_f64 v[32:33], v[28:29], v[32:33], 0x3f88ed60a300c8d2
	v_fmaak_f64 v[32:33], v[28:29], v[32:33], 0x3f8c6fa84b77012b
	;; [unrolled: 3-line block ×5, first 2 shown]
	s_delay_alu instid0(VALU_DEP_1) | instskip(NEXT) | instid1(VALU_DEP_1)
	v_mul_f64_e32 v[32:33], v[28:29], v[32:33]
	v_fma_f64 v[28:29], v[26:27], v[32:33], v[26:27]
	s_delay_alu instid0(VALU_DEP_1)
	v_fma_f64 v[28:29], s[14:15], s[12:13], -v[28:29]
	s_and_saveexec_b32 s28, s5
	s_cbranch_execz .LBB46_18
; %bb.17:                               ;   in Loop: Header=BB46_4 Depth=1
	v_rsq_f64_e32 v[28:29], v[34:35]
	v_cmp_eq_f64_e64 s5, 0, v[34:35]
	s_delay_alu instid0(TRANS32_DEP_1) | instskip(SKIP_1) | instid1(VALU_DEP_1)
	v_mul_f64_e32 v[36:37], v[34:35], v[28:29]
	v_mul_f64_e32 v[28:29], 0.5, v[28:29]
	v_fma_f64 v[38:39], -v[28:29], v[36:37], 0.5
	s_delay_alu instid0(VALU_DEP_1) | instskip(SKIP_1) | instid1(VALU_DEP_2)
	v_fmac_f64_e32 v[36:37], v[36:37], v[38:39]
	v_fmac_f64_e32 v[28:29], v[28:29], v[38:39]
	v_fma_f64 v[38:39], -v[36:37], v[36:37], v[34:35]
	s_delay_alu instid0(VALU_DEP_1) | instskip(NEXT) | instid1(VALU_DEP_1)
	v_fmac_f64_e32 v[36:37], v[38:39], v[28:29]
	v_dual_cndmask_b32 v29, v37, v35, s5 :: v_dual_cndmask_b32 v28, v36, v34, s5
	s_delay_alu instid0(VALU_DEP_1) | instskip(SKIP_1) | instid1(VALU_DEP_2)
	v_add_f64_e32 v[36:37], v[28:29], v[28:29]
	v_mul_f64_e32 v[38:39], v[28:29], v[28:29]
	v_rcp_f64_e32 v[40:41], v[36:37]
	s_delay_alu instid0(VALU_DEP_1) | instskip(SKIP_1) | instid1(VALU_DEP_2)
	v_add_f64_e64 v[42:43], v[34:35], -v[38:39]
	v_fma_f64 v[46:47], v[28:29], v[28:29], -v[38:39]
	v_add_f64_e64 v[34:35], v[34:35], -v[42:43]
	s_delay_alu instid0(TRANS32_DEP_1) | instskip(NEXT) | instid1(VALU_DEP_2)
	v_fma_f64 v[44:45], -v[36:37], v[40:41], 1.0
	v_add_f64_e64 v[34:35], v[34:35], -v[38:39]
	s_delay_alu instid0(VALU_DEP_2) | instskip(NEXT) | instid1(VALU_DEP_2)
	v_fmac_f64_e32 v[40:41], v[44:45], v[40:41]
	v_add_f64_e64 v[34:35], v[34:35], -v[46:47]
	s_delay_alu instid0(VALU_DEP_2) | instskip(NEXT) | instid1(VALU_DEP_2)
	v_fma_f64 v[38:39], -v[36:37], v[40:41], 1.0
	v_add_f64_e32 v[34:35], v[42:43], v[34:35]
	s_delay_alu instid0(VALU_DEP_2) | instskip(NEXT) | instid1(VALU_DEP_1)
	v_fmac_f64_e32 v[40:41], v[38:39], v[40:41]
	v_mul_f64_e32 v[38:39], v[34:35], v[40:41]
	s_delay_alu instid0(VALU_DEP_1) | instskip(NEXT) | instid1(VALU_DEP_1)
	v_fma_f64 v[34:35], -v[36:37], v[38:39], v[34:35]
	v_fmac_f64_e32 v[38:39], v[34:35], v[40:41]
	s_delay_alu instid0(VALU_DEP_1) | instskip(NEXT) | instid1(VALU_DEP_2)
	v_cndmask_b32_e64 v35, v39, 0, s5
	v_cndmask_b32_e64 v34, v38, 0, s5
	v_cmp_gt_f64_e64 s5, 0, v[26:27]
	s_delay_alu instid0(VALU_DEP_2) | instskip(NEXT) | instid1(VALU_DEP_1)
	v_add_f64_e32 v[36:37], v[28:29], v[34:35]
	v_add_f64_e64 v[28:29], v[36:37], -v[28:29]
	s_delay_alu instid0(VALU_DEP_1) | instskip(SKIP_1) | instid1(VALU_DEP_2)
	v_add_f64_e64 v[28:29], v[34:35], -v[28:29]
	v_fma_f64 v[34:35], v[36:37], v[32:33], v[36:37]
	v_fmac_f64_e32 v[28:29], v[36:37], v[32:33]
	s_delay_alu instid0(VALU_DEP_2) | instskip(NEXT) | instid1(VALU_DEP_2)
	v_mul_f64_e32 v[32:33], -2.0, v[34:35]
	v_add_f64_e32 v[28:29], v[36:37], v[28:29]
	s_delay_alu instid0(VALU_DEP_2) | instskip(NEXT) | instid1(VALU_DEP_2)
	v_fmac_f64_e64 v[32:33], s[20:21], s[12:13]
	v_add_f64_e32 v[28:29], v[28:29], v[28:29]
	s_delay_alu instid0(VALU_DEP_1) | instskip(SKIP_1) | instid1(VALU_DEP_1)
	v_dual_cndmask_b32 v29, v29, v33, s5 :: v_dual_cndmask_b32 v28, v28, v32, s5
	v_cmp_neq_f64_e64 s5, -1.0, v[26:27]
	v_cndmask_b32_e64 v28, 0x54442d18, v28, s5
	s_delay_alu instid0(VALU_DEP_3) | instskip(SKIP_1) | instid1(VALU_DEP_1)
	v_cndmask_b32_e64 v29, 0x400921fb, v29, s5
	v_cmp_neq_f64_e64 s5, 1.0, v[26:27]
	v_dual_cndmask_b32 v29, 0, v29, s5 :: v_dual_cndmask_b32 v28, 0, v28, s5
.LBB46_18:                              ;   in Loop: Header=BB46_4 Depth=1
	s_or_b32 exec_lo, exec_lo, s28
	v_fma_f64 v[32:33], |v[22:23]|, -0.5, 0.5
	v_mul_f64_e32 v[26:27], v[22:23], v[22:23]
	v_cmp_ge_f64_e64 s5, |v[22:23]|, 0.5
	s_delay_alu instid0(VALU_DEP_1) | instskip(NEXT) | instid1(VALU_DEP_1)
	v_dual_cndmask_b32 v27, v27, v33, s5 :: v_dual_cndmask_b32 v26, v26, v32, s5
	v_fmamk_f64 v[34:35], v[26:27], 0x3fa059859fea6a70, v[6:7]
	s_delay_alu instid0(VALU_DEP_1) | instskip(NEXT) | instid1(VALU_DEP_1)
	v_fmaak_f64 v[34:35], v[26:27], v[34:35], 0x3f94052137024d6a
	v_fmaak_f64 v[34:35], v[26:27], v[34:35], 0x3f7ab3a098a70509
	s_delay_alu instid0(VALU_DEP_1) | instskip(NEXT) | instid1(VALU_DEP_1)
	v_fmaak_f64 v[34:35], v[26:27], v[34:35], 0x3f88ed60a300c8d2
	v_fmaak_f64 v[34:35], v[26:27], v[34:35], 0x3f8c6fa84b77012b
	;; [unrolled: 3-line block ×5, first 2 shown]
	s_delay_alu instid0(VALU_DEP_1) | instskip(NEXT) | instid1(VALU_DEP_1)
	v_mul_f64_e32 v[26:27], v[26:27], v[34:35]
	v_fma_f64 v[34:35], v[22:23], v[26:27], v[22:23]
	s_delay_alu instid0(VALU_DEP_1)
	v_fma_f64 v[34:35], s[14:15], s[12:13], -v[34:35]
	s_and_saveexec_b32 s28, s5
	s_cbranch_execnz .LBB46_23
; %bb.19:                               ;   in Loop: Header=BB46_4 Depth=1
	s_or_b32 exec_lo, exec_lo, s28
	s_and_saveexec_b32 s5, vcc_lo
	s_delay_alu instid0(SALU_CYCLE_1)
	s_xor_b32 s5, exec_lo, s5
	s_cbranch_execnz .LBB46_24
.LBB46_20:                              ;   in Loop: Header=BB46_4 Depth=1
	s_or_b32 exec_lo, exec_lo, s5
	s_and_saveexec_b32 s5, s2
	s_cbranch_execnz .LBB46_25
.LBB46_21:                              ;   in Loop: Header=BB46_4 Depth=1
	s_or_b32 exec_lo, exec_lo, s5
	s_and_saveexec_b32 s2, s3
	s_cbranch_execnz .LBB46_26
.LBB46_22:                              ;   in Loop: Header=BB46_4 Depth=1
	s_or_b32 exec_lo, exec_lo, s2
	s_and_saveexec_b32 s2, s4
	s_cbranch_execz .LBB46_3
	s_branch .LBB46_27
.LBB46_23:                              ;   in Loop: Header=BB46_4 Depth=1
	v_rsq_f64_e32 v[34:35], v[32:33]
	v_cmp_eq_f64_e64 s5, 0, v[32:33]
	s_delay_alu instid0(TRANS32_DEP_1) | instskip(SKIP_1) | instid1(VALU_DEP_1)
	v_mul_f64_e32 v[36:37], v[32:33], v[34:35]
	v_mul_f64_e32 v[34:35], 0.5, v[34:35]
	v_fma_f64 v[38:39], -v[34:35], v[36:37], 0.5
	s_delay_alu instid0(VALU_DEP_1) | instskip(SKIP_1) | instid1(VALU_DEP_2)
	v_fmac_f64_e32 v[36:37], v[36:37], v[38:39]
	v_fmac_f64_e32 v[34:35], v[34:35], v[38:39]
	v_fma_f64 v[38:39], -v[36:37], v[36:37], v[32:33]
	s_delay_alu instid0(VALU_DEP_1) | instskip(NEXT) | instid1(VALU_DEP_1)
	v_fmac_f64_e32 v[36:37], v[38:39], v[34:35]
	v_dual_cndmask_b32 v35, v37, v33, s5 :: v_dual_cndmask_b32 v34, v36, v32, s5
	s_delay_alu instid0(VALU_DEP_1) | instskip(SKIP_1) | instid1(VALU_DEP_2)
	v_add_f64_e32 v[36:37], v[34:35], v[34:35]
	v_mul_f64_e32 v[38:39], v[34:35], v[34:35]
	v_rcp_f64_e32 v[40:41], v[36:37]
	s_delay_alu instid0(VALU_DEP_1) | instskip(SKIP_1) | instid1(VALU_DEP_2)
	v_add_f64_e64 v[42:43], v[32:33], -v[38:39]
	v_fma_f64 v[46:47], v[34:35], v[34:35], -v[38:39]
	v_add_f64_e64 v[32:33], v[32:33], -v[42:43]
	s_delay_alu instid0(TRANS32_DEP_1) | instskip(NEXT) | instid1(VALU_DEP_2)
	v_fma_f64 v[44:45], -v[36:37], v[40:41], 1.0
	v_add_f64_e64 v[32:33], v[32:33], -v[38:39]
	s_delay_alu instid0(VALU_DEP_2) | instskip(NEXT) | instid1(VALU_DEP_2)
	v_fmac_f64_e32 v[40:41], v[44:45], v[40:41]
	v_add_f64_e64 v[32:33], v[32:33], -v[46:47]
	s_delay_alu instid0(VALU_DEP_2) | instskip(NEXT) | instid1(VALU_DEP_2)
	v_fma_f64 v[38:39], -v[36:37], v[40:41], 1.0
	v_add_f64_e32 v[32:33], v[42:43], v[32:33]
	s_delay_alu instid0(VALU_DEP_2) | instskip(NEXT) | instid1(VALU_DEP_1)
	v_fmac_f64_e32 v[40:41], v[38:39], v[40:41]
	v_mul_f64_e32 v[38:39], v[32:33], v[40:41]
	s_delay_alu instid0(VALU_DEP_1) | instskip(NEXT) | instid1(VALU_DEP_1)
	v_fma_f64 v[32:33], -v[36:37], v[38:39], v[32:33]
	v_fmac_f64_e32 v[38:39], v[32:33], v[40:41]
	s_delay_alu instid0(VALU_DEP_1) | instskip(NEXT) | instid1(VALU_DEP_2)
	v_cndmask_b32_e64 v33, v39, 0, s5
	v_cndmask_b32_e64 v32, v38, 0, s5
	v_cmp_gt_f64_e64 s5, 0, v[22:23]
	s_delay_alu instid0(VALU_DEP_2) | instskip(NEXT) | instid1(VALU_DEP_1)
	v_add_f64_e32 v[36:37], v[34:35], v[32:33]
	v_add_f64_e64 v[34:35], v[36:37], -v[34:35]
	s_delay_alu instid0(VALU_DEP_1) | instskip(SKIP_1) | instid1(VALU_DEP_2)
	v_add_f64_e64 v[32:33], v[32:33], -v[34:35]
	v_fma_f64 v[34:35], v[36:37], v[26:27], v[36:37]
	v_fmac_f64_e32 v[32:33], v[36:37], v[26:27]
	s_delay_alu instid0(VALU_DEP_2) | instskip(NEXT) | instid1(VALU_DEP_2)
	v_mul_f64_e32 v[26:27], -2.0, v[34:35]
	v_add_f64_e32 v[32:33], v[36:37], v[32:33]
	s_delay_alu instid0(VALU_DEP_2) | instskip(NEXT) | instid1(VALU_DEP_2)
	v_fmac_f64_e64 v[26:27], s[20:21], s[12:13]
	v_add_f64_e32 v[32:33], v[32:33], v[32:33]
	s_delay_alu instid0(VALU_DEP_1) | instskip(SKIP_1) | instid1(VALU_DEP_1)
	v_dual_cndmask_b32 v27, v33, v27, s5 :: v_dual_cndmask_b32 v26, v32, v26, s5
	v_cmp_neq_f64_e64 s5, -1.0, v[22:23]
	v_cndmask_b32_e64 v26, 0x54442d18, v26, s5
	s_delay_alu instid0(VALU_DEP_3) | instskip(SKIP_1) | instid1(VALU_DEP_1)
	v_cndmask_b32_e64 v27, 0x400921fb, v27, s5
	v_cmp_neq_f64_e64 s5, 1.0, v[22:23]
	v_dual_cndmask_b32 v35, 0, v27, s5 :: v_dual_cndmask_b32 v34, 0, v26, s5
	s_or_b32 exec_lo, exec_lo, s28
	s_and_saveexec_b32 s5, vcc_lo
	s_delay_alu instid0(SALU_CYCLE_1)
	s_xor_b32 s5, exec_lo, s5
	s_cbranch_execz .LBB46_20
.LBB46_24:                              ;   in Loop: Header=BB46_4 Depth=1
	global_store_b64 v[10:11], v[24:25], off
	s_wait_xcnt 0x0
	s_or_b32 exec_lo, exec_lo, s5
	s_and_saveexec_b32 s5, s2
	s_cbranch_execz .LBB46_21
.LBB46_25:                              ;   in Loop: Header=BB46_4 Depth=1
	global_store_b64 v[16:17], v[30:31], off
	s_wait_xcnt 0x0
	s_or_b32 exec_lo, exec_lo, s5
	s_and_saveexec_b32 s2, s3
	s_cbranch_execz .LBB46_22
.LBB46_26:                              ;   in Loop: Header=BB46_4 Depth=1
	global_store_b64 v[18:19], v[28:29], off
	s_wait_xcnt 0x0
	s_or_b32 exec_lo, exec_lo, s2
	s_and_saveexec_b32 s2, s4
	s_cbranch_execz .LBB46_3
.LBB46_27:                              ;   in Loop: Header=BB46_4 Depth=1
	global_store_b64 v[20:21], v[34:35], off
	s_branch .LBB46_3
.LBB46_28:
	s_cbranch_execz .LBB46_30
	s_branch .LBB46_41
.LBB46_29:
.LBB46_30:
	v_min_i64 v[14:15], 0x10000, s[10:11]
	v_dual_mov_b32 v3, 0 :: v_dual_lshlrev_b32 v2, 2, v0
	s_mov_b32 s2, exec_lo
	s_delay_alu instid0(VALU_DEP_1)
	v_cmpx_lt_i64_e64 v[2:3], v[14:15]
	s_cbranch_execz .LBB46_41
; %bb.31:
	s_load_b32 s10, s[0:1], 0xd3c
	v_dual_mov_b32 v1, v3 :: v_dual_lshlrev_b32 v2, 5, v0
	s_wait_xcnt 0x0
	s_add_nc_u64 s[0:1], s[6:7], s[8:9]
	v_mov_b64_e32 v[16:17], 0xbf90a5a378a05eaf
	s_mov_b32 s7, 0
	v_add_nc_u64_e32 v[2:3], s[0:1], v[2:3]
	s_mov_b64 s[0:1], 0x3ffaf154eeb562d6
	s_mov_b64 s[2:3], 0x3fedd9ad336a0500
	;; [unrolled: 1-line block ×3, first 2 shown]
	s_mov_b32 s9, s7
	s_delay_alu instid0(VALU_DEP_1)
	v_add_nc_u64_e32 v[18:19], 16, v[2:3]
                                        ; implicit-def: $vgpr2_vgpr3
                                        ; implicit-def: $vgpr2_vgpr3
	;; [unrolled: 1-line block ×10, first 2 shown]
	s_wait_kmcnt 0x0
	s_and_b32 s6, s10, 0xffff
	s_mov_b32 s10, s7
	s_lshl_b32 s8, s6, 5
	s_branch .LBB46_33
.LBB46_32:                              ;   in Loop: Header=BB46_33 Depth=1
	s_or_b32 exec_lo, exec_lo, s11
	v_add_nc_u64_e32 v[0:1], s[6:7], v[0:1]
	s_clause 0x1
	global_store_b128 v[18:19], v[6:9], off offset:-16
	global_store_b128 v[18:19], v[10:13], off
	s_wait_xcnt 0x0
	v_add_nc_u64_e32 v[18:19], s[8:9], v[18:19]
	v_lshlrev_b64_e32 v[2:3], 2, v[0:1]
	s_delay_alu instid0(VALU_DEP_1) | instskip(SKIP_1) | instid1(SALU_CYCLE_1)
	v_cmp_ge_i64_e32 vcc_lo, v[2:3], v[14:15]
	s_or_b32 s10, vcc_lo, s10
	s_and_not1_b32 exec_lo, exec_lo, s10
	s_cbranch_execz .LBB46_41
.LBB46_33:                              ; =>This Inner Loop Header: Depth=1
	s_clause 0x1
	global_load_b128 v[8:11], v[18:19], off offset:-16
	global_load_b128 v[2:5], v[18:19], off
	s_wait_loadcnt 0x1
	v_fma_f64 v[20:21], |v[8:9]|, -0.5, 0.5
	v_mul_f64_e32 v[6:7], v[8:9], v[8:9]
	v_cmp_ge_f64_e64 vcc_lo, |v[8:9]|, 0.5
	s_delay_alu instid0(VALU_DEP_2) | instskip(NEXT) | instid1(VALU_DEP_1)
	v_dual_cndmask_b32 v7, v7, v21 :: v_dual_cndmask_b32 v6, v6, v20
	v_fmamk_f64 v[12:13], v[6:7], 0x3fa059859fea6a70, v[16:17]
	s_delay_alu instid0(VALU_DEP_1) | instskip(NEXT) | instid1(VALU_DEP_1)
	v_fmaak_f64 v[12:13], v[6:7], v[12:13], 0x3f94052137024d6a
	v_fmaak_f64 v[12:13], v[6:7], v[12:13], 0x3f7ab3a098a70509
	s_delay_alu instid0(VALU_DEP_1) | instskip(NEXT) | instid1(VALU_DEP_1)
	v_fmaak_f64 v[12:13], v[6:7], v[12:13], 0x3f88ed60a300c8d2
	v_fmaak_f64 v[12:13], v[6:7], v[12:13], 0x3f8c6fa84b77012b
	;; [unrolled: 3-line block ×5, first 2 shown]
	s_delay_alu instid0(VALU_DEP_1) | instskip(NEXT) | instid1(VALU_DEP_1)
	v_mul_f64_e32 v[12:13], v[6:7], v[12:13]
	v_fma_f64 v[6:7], v[8:9], v[12:13], v[8:9]
	s_delay_alu instid0(VALU_DEP_1)
	v_fma_f64 v[6:7], s[2:3], s[0:1], -v[6:7]
	s_wait_xcnt 0x0
	s_and_saveexec_b32 s11, vcc_lo
	s_cbranch_execz .LBB46_35
; %bb.34:                               ;   in Loop: Header=BB46_33 Depth=1
	v_rsq_f64_e32 v[6:7], v[20:21]
	v_cmp_eq_f64_e32 vcc_lo, 0, v[20:21]
	s_delay_alu instid0(TRANS32_DEP_1) | instskip(SKIP_1) | instid1(VALU_DEP_1)
	v_mul_f64_e32 v[22:23], v[20:21], v[6:7]
	v_mul_f64_e32 v[6:7], 0.5, v[6:7]
	v_fma_f64 v[24:25], -v[6:7], v[22:23], 0.5
	s_delay_alu instid0(VALU_DEP_1) | instskip(SKIP_1) | instid1(VALU_DEP_2)
	v_fmac_f64_e32 v[22:23], v[22:23], v[24:25]
	v_fmac_f64_e32 v[6:7], v[6:7], v[24:25]
	v_fma_f64 v[24:25], -v[22:23], v[22:23], v[20:21]
	s_delay_alu instid0(VALU_DEP_1) | instskip(NEXT) | instid1(VALU_DEP_1)
	v_fmac_f64_e32 v[22:23], v[24:25], v[6:7]
	v_dual_cndmask_b32 v7, v23, v21 :: v_dual_cndmask_b32 v6, v22, v20
	s_delay_alu instid0(VALU_DEP_1) | instskip(SKIP_1) | instid1(VALU_DEP_2)
	v_add_f64_e32 v[22:23], v[6:7], v[6:7]
	v_mul_f64_e32 v[24:25], v[6:7], v[6:7]
	v_rcp_f64_e32 v[26:27], v[22:23]
	s_delay_alu instid0(VALU_DEP_1) | instskip(SKIP_1) | instid1(VALU_DEP_2)
	v_add_f64_e64 v[28:29], v[20:21], -v[24:25]
	v_fma_f64 v[32:33], v[6:7], v[6:7], -v[24:25]
	v_add_f64_e64 v[20:21], v[20:21], -v[28:29]
	s_delay_alu instid0(TRANS32_DEP_1) | instskip(NEXT) | instid1(VALU_DEP_2)
	v_fma_f64 v[30:31], -v[22:23], v[26:27], 1.0
	v_add_f64_e64 v[20:21], v[20:21], -v[24:25]
	s_delay_alu instid0(VALU_DEP_2) | instskip(NEXT) | instid1(VALU_DEP_2)
	v_fmac_f64_e32 v[26:27], v[30:31], v[26:27]
	v_add_f64_e64 v[20:21], v[20:21], -v[32:33]
	s_delay_alu instid0(VALU_DEP_2) | instskip(NEXT) | instid1(VALU_DEP_2)
	v_fma_f64 v[24:25], -v[22:23], v[26:27], 1.0
	v_add_f64_e32 v[20:21], v[28:29], v[20:21]
	s_delay_alu instid0(VALU_DEP_2) | instskip(NEXT) | instid1(VALU_DEP_1)
	v_fmac_f64_e32 v[26:27], v[24:25], v[26:27]
	v_mul_f64_e32 v[24:25], v[20:21], v[26:27]
	s_delay_alu instid0(VALU_DEP_1) | instskip(NEXT) | instid1(VALU_DEP_1)
	v_fma_f64 v[20:21], -v[22:23], v[24:25], v[20:21]
	v_fmac_f64_e32 v[24:25], v[20:21], v[26:27]
	s_delay_alu instid0(VALU_DEP_1) | instskip(NEXT) | instid1(VALU_DEP_2)
	v_cndmask_b32_e64 v21, v25, 0, vcc_lo
	v_cndmask_b32_e64 v20, v24, 0, vcc_lo
	v_cmp_gt_f64_e32 vcc_lo, 0, v[8:9]
	s_delay_alu instid0(VALU_DEP_2) | instskip(NEXT) | instid1(VALU_DEP_1)
	v_add_f64_e32 v[22:23], v[6:7], v[20:21]
	v_add_f64_e64 v[6:7], v[22:23], -v[6:7]
	s_delay_alu instid0(VALU_DEP_1) | instskip(SKIP_1) | instid1(VALU_DEP_2)
	v_add_f64_e64 v[6:7], v[20:21], -v[6:7]
	v_fma_f64 v[20:21], v[22:23], v[12:13], v[22:23]
	v_fmac_f64_e32 v[6:7], v[22:23], v[12:13]
	s_delay_alu instid0(VALU_DEP_2) | instskip(NEXT) | instid1(VALU_DEP_2)
	v_mul_f64_e32 v[12:13], -2.0, v[20:21]
	v_add_f64_e32 v[6:7], v[22:23], v[6:7]
	s_delay_alu instid0(VALU_DEP_2) | instskip(NEXT) | instid1(VALU_DEP_2)
	v_fmac_f64_e64 v[12:13], s[4:5], s[0:1]
	v_add_f64_e32 v[6:7], v[6:7], v[6:7]
	s_delay_alu instid0(VALU_DEP_1) | instskip(SKIP_1) | instid1(VALU_DEP_2)
	v_dual_cndmask_b32 v7, v7, v13 :: v_dual_cndmask_b32 v6, v6, v12
	v_cmp_neq_f64_e32 vcc_lo, -1.0, v[8:9]
	v_cndmask_b32_e32 v6, 0x54442d18, v6, vcc_lo
	s_delay_alu instid0(VALU_DEP_3) | instskip(SKIP_1) | instid1(VALU_DEP_2)
	v_cndmask_b32_e32 v7, 0x400921fb, v7, vcc_lo
	v_cmp_neq_f64_e32 vcc_lo, 1.0, v[8:9]
	v_dual_cndmask_b32 v7, 0, v7 :: v_dual_cndmask_b32 v6, 0, v6
.LBB46_35:                              ;   in Loop: Header=BB46_33 Depth=1
	s_or_b32 exec_lo, exec_lo, s11
	v_fma_f64 v[20:21], |v[10:11]|, -0.5, 0.5
	v_mul_f64_e32 v[8:9], v[10:11], v[10:11]
	v_cmp_ge_f64_e64 vcc_lo, |v[10:11]|, 0.5
	s_delay_alu instid0(VALU_DEP_2) | instskip(NEXT) | instid1(VALU_DEP_1)
	v_dual_cndmask_b32 v9, v9, v21 :: v_dual_cndmask_b32 v8, v8, v20
	v_fmamk_f64 v[12:13], v[8:9], 0x3fa059859fea6a70, v[16:17]
	s_delay_alu instid0(VALU_DEP_1) | instskip(NEXT) | instid1(VALU_DEP_1)
	v_fmaak_f64 v[12:13], v[8:9], v[12:13], 0x3f94052137024d6a
	v_fmaak_f64 v[12:13], v[8:9], v[12:13], 0x3f7ab3a098a70509
	s_delay_alu instid0(VALU_DEP_1) | instskip(NEXT) | instid1(VALU_DEP_1)
	v_fmaak_f64 v[12:13], v[8:9], v[12:13], 0x3f88ed60a300c8d2
	v_fmaak_f64 v[12:13], v[8:9], v[12:13], 0x3f8c6fa84b77012b
	;; [unrolled: 3-line block ×5, first 2 shown]
	s_delay_alu instid0(VALU_DEP_1) | instskip(NEXT) | instid1(VALU_DEP_1)
	v_mul_f64_e32 v[12:13], v[8:9], v[12:13]
	v_fma_f64 v[8:9], v[10:11], v[12:13], v[10:11]
	s_delay_alu instid0(VALU_DEP_1)
	v_fma_f64 v[8:9], s[2:3], s[0:1], -v[8:9]
	s_and_saveexec_b32 s11, vcc_lo
	s_cbranch_execz .LBB46_37
; %bb.36:                               ;   in Loop: Header=BB46_33 Depth=1
	v_rsq_f64_e32 v[8:9], v[20:21]
	v_cmp_eq_f64_e32 vcc_lo, 0, v[20:21]
	s_delay_alu instid0(TRANS32_DEP_1) | instskip(SKIP_1) | instid1(VALU_DEP_1)
	v_mul_f64_e32 v[22:23], v[20:21], v[8:9]
	v_mul_f64_e32 v[8:9], 0.5, v[8:9]
	v_fma_f64 v[24:25], -v[8:9], v[22:23], 0.5
	s_delay_alu instid0(VALU_DEP_1) | instskip(SKIP_1) | instid1(VALU_DEP_2)
	v_fmac_f64_e32 v[22:23], v[22:23], v[24:25]
	v_fmac_f64_e32 v[8:9], v[8:9], v[24:25]
	v_fma_f64 v[24:25], -v[22:23], v[22:23], v[20:21]
	s_delay_alu instid0(VALU_DEP_1) | instskip(NEXT) | instid1(VALU_DEP_1)
	v_fmac_f64_e32 v[22:23], v[24:25], v[8:9]
	v_dual_cndmask_b32 v9, v23, v21 :: v_dual_cndmask_b32 v8, v22, v20
	s_delay_alu instid0(VALU_DEP_1) | instskip(SKIP_1) | instid1(VALU_DEP_2)
	v_add_f64_e32 v[22:23], v[8:9], v[8:9]
	v_mul_f64_e32 v[24:25], v[8:9], v[8:9]
	v_rcp_f64_e32 v[26:27], v[22:23]
	s_delay_alu instid0(VALU_DEP_1) | instskip(SKIP_1) | instid1(VALU_DEP_2)
	v_add_f64_e64 v[28:29], v[20:21], -v[24:25]
	v_fma_f64 v[32:33], v[8:9], v[8:9], -v[24:25]
	v_add_f64_e64 v[20:21], v[20:21], -v[28:29]
	s_delay_alu instid0(TRANS32_DEP_1) | instskip(NEXT) | instid1(VALU_DEP_2)
	v_fma_f64 v[30:31], -v[22:23], v[26:27], 1.0
	v_add_f64_e64 v[20:21], v[20:21], -v[24:25]
	s_delay_alu instid0(VALU_DEP_2) | instskip(NEXT) | instid1(VALU_DEP_2)
	v_fmac_f64_e32 v[26:27], v[30:31], v[26:27]
	v_add_f64_e64 v[20:21], v[20:21], -v[32:33]
	s_delay_alu instid0(VALU_DEP_2) | instskip(NEXT) | instid1(VALU_DEP_2)
	v_fma_f64 v[24:25], -v[22:23], v[26:27], 1.0
	v_add_f64_e32 v[20:21], v[28:29], v[20:21]
	s_delay_alu instid0(VALU_DEP_2) | instskip(NEXT) | instid1(VALU_DEP_1)
	v_fmac_f64_e32 v[26:27], v[24:25], v[26:27]
	v_mul_f64_e32 v[24:25], v[20:21], v[26:27]
	s_delay_alu instid0(VALU_DEP_1) | instskip(NEXT) | instid1(VALU_DEP_1)
	v_fma_f64 v[20:21], -v[22:23], v[24:25], v[20:21]
	v_fmac_f64_e32 v[24:25], v[20:21], v[26:27]
	s_delay_alu instid0(VALU_DEP_1) | instskip(NEXT) | instid1(VALU_DEP_2)
	v_cndmask_b32_e64 v21, v25, 0, vcc_lo
	v_cndmask_b32_e64 v20, v24, 0, vcc_lo
	v_cmp_gt_f64_e32 vcc_lo, 0, v[10:11]
	s_delay_alu instid0(VALU_DEP_2) | instskip(NEXT) | instid1(VALU_DEP_1)
	v_add_f64_e32 v[22:23], v[8:9], v[20:21]
	v_add_f64_e64 v[8:9], v[22:23], -v[8:9]
	s_delay_alu instid0(VALU_DEP_1) | instskip(SKIP_1) | instid1(VALU_DEP_2)
	v_add_f64_e64 v[8:9], v[20:21], -v[8:9]
	v_fma_f64 v[20:21], v[22:23], v[12:13], v[22:23]
	v_fmac_f64_e32 v[8:9], v[22:23], v[12:13]
	s_delay_alu instid0(VALU_DEP_2) | instskip(NEXT) | instid1(VALU_DEP_2)
	v_mul_f64_e32 v[12:13], -2.0, v[20:21]
	v_add_f64_e32 v[8:9], v[22:23], v[8:9]
	s_delay_alu instid0(VALU_DEP_2) | instskip(NEXT) | instid1(VALU_DEP_2)
	v_fmac_f64_e64 v[12:13], s[4:5], s[0:1]
	v_add_f64_e32 v[8:9], v[8:9], v[8:9]
	s_delay_alu instid0(VALU_DEP_1) | instskip(SKIP_1) | instid1(VALU_DEP_2)
	v_dual_cndmask_b32 v9, v9, v13 :: v_dual_cndmask_b32 v8, v8, v12
	v_cmp_neq_f64_e32 vcc_lo, -1.0, v[10:11]
	v_cndmask_b32_e32 v8, 0x54442d18, v8, vcc_lo
	s_delay_alu instid0(VALU_DEP_3) | instskip(SKIP_1) | instid1(VALU_DEP_2)
	v_cndmask_b32_e32 v9, 0x400921fb, v9, vcc_lo
	v_cmp_neq_f64_e32 vcc_lo, 1.0, v[10:11]
	v_dual_cndmask_b32 v9, 0, v9 :: v_dual_cndmask_b32 v8, 0, v8
.LBB46_37:                              ;   in Loop: Header=BB46_33 Depth=1
	s_or_b32 exec_lo, exec_lo, s11
	s_wait_loadcnt 0x0
	v_fma_f64 v[20:21], |v[2:3]|, -0.5, 0.5
	v_mul_f64_e32 v[10:11], v[2:3], v[2:3]
	v_cmp_ge_f64_e64 vcc_lo, |v[2:3]|, 0.5
	s_delay_alu instid0(VALU_DEP_2) | instskip(NEXT) | instid1(VALU_DEP_1)
	v_dual_cndmask_b32 v11, v11, v21 :: v_dual_cndmask_b32 v10, v10, v20
	v_fmamk_f64 v[12:13], v[10:11], 0x3fa059859fea6a70, v[16:17]
	s_delay_alu instid0(VALU_DEP_1) | instskip(NEXT) | instid1(VALU_DEP_1)
	v_fmaak_f64 v[12:13], v[10:11], v[12:13], 0x3f94052137024d6a
	v_fmaak_f64 v[12:13], v[10:11], v[12:13], 0x3f7ab3a098a70509
	s_delay_alu instid0(VALU_DEP_1) | instskip(NEXT) | instid1(VALU_DEP_1)
	v_fmaak_f64 v[12:13], v[10:11], v[12:13], 0x3f88ed60a300c8d2
	v_fmaak_f64 v[12:13], v[10:11], v[12:13], 0x3f8c6fa84b77012b
	;; [unrolled: 3-line block ×5, first 2 shown]
	s_delay_alu instid0(VALU_DEP_1) | instskip(NEXT) | instid1(VALU_DEP_1)
	v_mul_f64_e32 v[12:13], v[10:11], v[12:13]
	v_fma_f64 v[10:11], v[2:3], v[12:13], v[2:3]
	s_delay_alu instid0(VALU_DEP_1)
	v_fma_f64 v[10:11], s[2:3], s[0:1], -v[10:11]
	s_and_saveexec_b32 s11, vcc_lo
	s_cbranch_execz .LBB46_39
; %bb.38:                               ;   in Loop: Header=BB46_33 Depth=1
	v_rsq_f64_e32 v[10:11], v[20:21]
	v_cmp_eq_f64_e32 vcc_lo, 0, v[20:21]
	s_delay_alu instid0(TRANS32_DEP_1) | instskip(SKIP_1) | instid1(VALU_DEP_1)
	v_mul_f64_e32 v[22:23], v[20:21], v[10:11]
	v_mul_f64_e32 v[10:11], 0.5, v[10:11]
	v_fma_f64 v[24:25], -v[10:11], v[22:23], 0.5
	s_delay_alu instid0(VALU_DEP_1) | instskip(SKIP_1) | instid1(VALU_DEP_2)
	v_fmac_f64_e32 v[22:23], v[22:23], v[24:25]
	v_fmac_f64_e32 v[10:11], v[10:11], v[24:25]
	v_fma_f64 v[24:25], -v[22:23], v[22:23], v[20:21]
	s_delay_alu instid0(VALU_DEP_1) | instskip(NEXT) | instid1(VALU_DEP_1)
	v_fmac_f64_e32 v[22:23], v[24:25], v[10:11]
	v_dual_cndmask_b32 v11, v23, v21 :: v_dual_cndmask_b32 v10, v22, v20
	s_delay_alu instid0(VALU_DEP_1) | instskip(SKIP_1) | instid1(VALU_DEP_2)
	v_add_f64_e32 v[22:23], v[10:11], v[10:11]
	v_mul_f64_e32 v[24:25], v[10:11], v[10:11]
	v_rcp_f64_e32 v[26:27], v[22:23]
	s_delay_alu instid0(VALU_DEP_1) | instskip(SKIP_1) | instid1(VALU_DEP_2)
	v_add_f64_e64 v[28:29], v[20:21], -v[24:25]
	v_fma_f64 v[32:33], v[10:11], v[10:11], -v[24:25]
	v_add_f64_e64 v[20:21], v[20:21], -v[28:29]
	s_delay_alu instid0(TRANS32_DEP_1) | instskip(NEXT) | instid1(VALU_DEP_2)
	v_fma_f64 v[30:31], -v[22:23], v[26:27], 1.0
	v_add_f64_e64 v[20:21], v[20:21], -v[24:25]
	s_delay_alu instid0(VALU_DEP_2) | instskip(NEXT) | instid1(VALU_DEP_2)
	v_fmac_f64_e32 v[26:27], v[30:31], v[26:27]
	v_add_f64_e64 v[20:21], v[20:21], -v[32:33]
	s_delay_alu instid0(VALU_DEP_2) | instskip(NEXT) | instid1(VALU_DEP_2)
	v_fma_f64 v[24:25], -v[22:23], v[26:27], 1.0
	v_add_f64_e32 v[20:21], v[28:29], v[20:21]
	s_delay_alu instid0(VALU_DEP_2) | instskip(NEXT) | instid1(VALU_DEP_1)
	v_fmac_f64_e32 v[26:27], v[24:25], v[26:27]
	v_mul_f64_e32 v[24:25], v[20:21], v[26:27]
	s_delay_alu instid0(VALU_DEP_1) | instskip(NEXT) | instid1(VALU_DEP_1)
	v_fma_f64 v[20:21], -v[22:23], v[24:25], v[20:21]
	v_fmac_f64_e32 v[24:25], v[20:21], v[26:27]
	s_delay_alu instid0(VALU_DEP_1) | instskip(NEXT) | instid1(VALU_DEP_2)
	v_cndmask_b32_e64 v21, v25, 0, vcc_lo
	v_cndmask_b32_e64 v20, v24, 0, vcc_lo
	v_cmp_gt_f64_e32 vcc_lo, 0, v[2:3]
	s_delay_alu instid0(VALU_DEP_2) | instskip(NEXT) | instid1(VALU_DEP_1)
	v_add_f64_e32 v[22:23], v[10:11], v[20:21]
	v_add_f64_e64 v[10:11], v[22:23], -v[10:11]
	s_delay_alu instid0(VALU_DEP_1) | instskip(SKIP_1) | instid1(VALU_DEP_2)
	v_add_f64_e64 v[10:11], v[20:21], -v[10:11]
	v_fma_f64 v[20:21], v[22:23], v[12:13], v[22:23]
	v_fmac_f64_e32 v[10:11], v[22:23], v[12:13]
	s_delay_alu instid0(VALU_DEP_2) | instskip(NEXT) | instid1(VALU_DEP_2)
	v_mul_f64_e32 v[12:13], -2.0, v[20:21]
	v_add_f64_e32 v[10:11], v[22:23], v[10:11]
	s_delay_alu instid0(VALU_DEP_2) | instskip(NEXT) | instid1(VALU_DEP_2)
	v_fmac_f64_e64 v[12:13], s[4:5], s[0:1]
	v_add_f64_e32 v[10:11], v[10:11], v[10:11]
	s_delay_alu instid0(VALU_DEP_1) | instskip(SKIP_1) | instid1(VALU_DEP_2)
	v_dual_cndmask_b32 v11, v11, v13 :: v_dual_cndmask_b32 v10, v10, v12
	v_cmp_neq_f64_e32 vcc_lo, -1.0, v[2:3]
	v_cndmask_b32_e32 v10, 0x54442d18, v10, vcc_lo
	s_delay_alu instid0(VALU_DEP_3) | instskip(SKIP_1) | instid1(VALU_DEP_2)
	v_cndmask_b32_e32 v11, 0x400921fb, v11, vcc_lo
	v_cmp_neq_f64_e32 vcc_lo, 1.0, v[2:3]
	v_dual_cndmask_b32 v11, 0, v11 :: v_dual_cndmask_b32 v10, 0, v10
.LBB46_39:                              ;   in Loop: Header=BB46_33 Depth=1
	s_or_b32 exec_lo, exec_lo, s11
	v_fma_f64 v[20:21], |v[4:5]|, -0.5, 0.5
	v_mul_f64_e32 v[2:3], v[4:5], v[4:5]
	v_cmp_ge_f64_e64 vcc_lo, |v[4:5]|, 0.5
	s_delay_alu instid0(VALU_DEP_2) | instskip(NEXT) | instid1(VALU_DEP_1)
	v_dual_cndmask_b32 v3, v3, v21 :: v_dual_cndmask_b32 v2, v2, v20
	v_fmamk_f64 v[12:13], v[2:3], 0x3fa059859fea6a70, v[16:17]
	s_delay_alu instid0(VALU_DEP_1) | instskip(NEXT) | instid1(VALU_DEP_1)
	v_fmaak_f64 v[12:13], v[2:3], v[12:13], 0x3f94052137024d6a
	v_fmaak_f64 v[12:13], v[2:3], v[12:13], 0x3f7ab3a098a70509
	s_delay_alu instid0(VALU_DEP_1) | instskip(NEXT) | instid1(VALU_DEP_1)
	v_fmaak_f64 v[12:13], v[2:3], v[12:13], 0x3f88ed60a300c8d2
	v_fmaak_f64 v[12:13], v[2:3], v[12:13], 0x3f8c6fa84b77012b
	;; [unrolled: 3-line block ×5, first 2 shown]
	s_delay_alu instid0(VALU_DEP_1) | instskip(NEXT) | instid1(VALU_DEP_1)
	v_mul_f64_e32 v[2:3], v[2:3], v[12:13]
	v_fma_f64 v[12:13], v[4:5], v[2:3], v[4:5]
	s_delay_alu instid0(VALU_DEP_1)
	v_fma_f64 v[12:13], s[2:3], s[0:1], -v[12:13]
	s_and_saveexec_b32 s11, vcc_lo
	s_cbranch_execz .LBB46_32
; %bb.40:                               ;   in Loop: Header=BB46_33 Depth=1
	v_rsq_f64_e32 v[12:13], v[20:21]
	v_cmp_eq_f64_e32 vcc_lo, 0, v[20:21]
	s_delay_alu instid0(TRANS32_DEP_1) | instskip(SKIP_1) | instid1(VALU_DEP_1)
	v_mul_f64_e32 v[22:23], v[20:21], v[12:13]
	v_mul_f64_e32 v[12:13], 0.5, v[12:13]
	v_fma_f64 v[24:25], -v[12:13], v[22:23], 0.5
	s_delay_alu instid0(VALU_DEP_1) | instskip(SKIP_1) | instid1(VALU_DEP_2)
	v_fmac_f64_e32 v[22:23], v[22:23], v[24:25]
	v_fmac_f64_e32 v[12:13], v[12:13], v[24:25]
	v_fma_f64 v[24:25], -v[22:23], v[22:23], v[20:21]
	s_delay_alu instid0(VALU_DEP_1) | instskip(NEXT) | instid1(VALU_DEP_1)
	v_fmac_f64_e32 v[22:23], v[24:25], v[12:13]
	v_dual_cndmask_b32 v13, v23, v21 :: v_dual_cndmask_b32 v12, v22, v20
	s_delay_alu instid0(VALU_DEP_1) | instskip(SKIP_1) | instid1(VALU_DEP_2)
	v_add_f64_e32 v[22:23], v[12:13], v[12:13]
	v_mul_f64_e32 v[24:25], v[12:13], v[12:13]
	v_rcp_f64_e32 v[26:27], v[22:23]
	s_delay_alu instid0(VALU_DEP_1) | instskip(SKIP_1) | instid1(VALU_DEP_2)
	v_add_f64_e64 v[28:29], v[20:21], -v[24:25]
	v_fma_f64 v[32:33], v[12:13], v[12:13], -v[24:25]
	v_add_f64_e64 v[20:21], v[20:21], -v[28:29]
	s_delay_alu instid0(TRANS32_DEP_1) | instskip(NEXT) | instid1(VALU_DEP_2)
	v_fma_f64 v[30:31], -v[22:23], v[26:27], 1.0
	v_add_f64_e64 v[20:21], v[20:21], -v[24:25]
	s_delay_alu instid0(VALU_DEP_2) | instskip(NEXT) | instid1(VALU_DEP_2)
	v_fmac_f64_e32 v[26:27], v[30:31], v[26:27]
	v_add_f64_e64 v[20:21], v[20:21], -v[32:33]
	s_delay_alu instid0(VALU_DEP_2) | instskip(NEXT) | instid1(VALU_DEP_2)
	v_fma_f64 v[24:25], -v[22:23], v[26:27], 1.0
	v_add_f64_e32 v[20:21], v[28:29], v[20:21]
	s_delay_alu instid0(VALU_DEP_2) | instskip(NEXT) | instid1(VALU_DEP_1)
	v_fmac_f64_e32 v[26:27], v[24:25], v[26:27]
	v_mul_f64_e32 v[24:25], v[20:21], v[26:27]
	s_delay_alu instid0(VALU_DEP_1) | instskip(NEXT) | instid1(VALU_DEP_1)
	v_fma_f64 v[20:21], -v[22:23], v[24:25], v[20:21]
	v_fmac_f64_e32 v[24:25], v[20:21], v[26:27]
	s_delay_alu instid0(VALU_DEP_1) | instskip(NEXT) | instid1(VALU_DEP_2)
	v_cndmask_b32_e64 v21, v25, 0, vcc_lo
	v_cndmask_b32_e64 v20, v24, 0, vcc_lo
	v_cmp_gt_f64_e32 vcc_lo, 0, v[4:5]
	s_delay_alu instid0(VALU_DEP_2) | instskip(NEXT) | instid1(VALU_DEP_1)
	v_add_f64_e32 v[22:23], v[12:13], v[20:21]
	v_add_f64_e64 v[12:13], v[22:23], -v[12:13]
	s_delay_alu instid0(VALU_DEP_1) | instskip(SKIP_1) | instid1(VALU_DEP_2)
	v_add_f64_e64 v[12:13], v[20:21], -v[12:13]
	v_fma_f64 v[20:21], v[22:23], v[2:3], v[22:23]
	v_fmac_f64_e32 v[12:13], v[22:23], v[2:3]
	s_delay_alu instid0(VALU_DEP_2) | instskip(NEXT) | instid1(VALU_DEP_2)
	v_mul_f64_e32 v[2:3], -2.0, v[20:21]
	v_add_f64_e32 v[12:13], v[22:23], v[12:13]
	s_delay_alu instid0(VALU_DEP_2) | instskip(NEXT) | instid1(VALU_DEP_2)
	v_fmac_f64_e64 v[2:3], s[4:5], s[0:1]
	v_add_f64_e32 v[12:13], v[12:13], v[12:13]
	s_delay_alu instid0(VALU_DEP_1) | instskip(SKIP_1) | instid1(VALU_DEP_2)
	v_dual_cndmask_b32 v3, v13, v3 :: v_dual_cndmask_b32 v2, v12, v2
	v_cmp_neq_f64_e32 vcc_lo, -1.0, v[4:5]
	v_cndmask_b32_e32 v2, 0x54442d18, v2, vcc_lo
	s_delay_alu instid0(VALU_DEP_3) | instskip(SKIP_1) | instid1(VALU_DEP_2)
	v_cndmask_b32_e32 v3, 0x400921fb, v3, vcc_lo
	v_cmp_neq_f64_e32 vcc_lo, 1.0, v[4:5]
	v_dual_cndmask_b32 v13, 0, v3 :: v_dual_cndmask_b32 v12, 0, v2
	s_branch .LBB46_32
.LBB46_41:
	s_endpgm
	.section	.rodata,"a",@progbits
	.p2align	6, 0x0
	.amdhsa_kernel _ZN2at6native12_GLOBAL__N_125multi_tensor_apply_kernelINS1_18TensorListMetadataILi1EEENS1_14UnaryOpFunctorIdLi1ELi1ELi0EEEJNS0_4AcosIdEEEEEvT_T0_DpT1_
		.amdhsa_group_segment_fixed_size 0
		.amdhsa_private_segment_fixed_size 0
		.amdhsa_kernarg_size 3632
		.amdhsa_user_sgpr_count 2
		.amdhsa_user_sgpr_dispatch_ptr 0
		.amdhsa_user_sgpr_queue_ptr 0
		.amdhsa_user_sgpr_kernarg_segment_ptr 1
		.amdhsa_user_sgpr_dispatch_id 0
		.amdhsa_user_sgpr_kernarg_preload_length 0
		.amdhsa_user_sgpr_kernarg_preload_offset 0
		.amdhsa_user_sgpr_private_segment_size 0
		.amdhsa_wavefront_size32 1
		.amdhsa_uses_dynamic_stack 0
		.amdhsa_enable_private_segment 0
		.amdhsa_system_sgpr_workgroup_id_x 1
		.amdhsa_system_sgpr_workgroup_id_y 0
		.amdhsa_system_sgpr_workgroup_id_z 0
		.amdhsa_system_sgpr_workgroup_info 0
		.amdhsa_system_vgpr_workitem_id 0
		.amdhsa_next_free_vgpr 48
		.amdhsa_next_free_sgpr 29
		.amdhsa_named_barrier_count 0
		.amdhsa_reserve_vcc 1
		.amdhsa_float_round_mode_32 0
		.amdhsa_float_round_mode_16_64 0
		.amdhsa_float_denorm_mode_32 3
		.amdhsa_float_denorm_mode_16_64 3
		.amdhsa_fp16_overflow 0
		.amdhsa_memory_ordered 1
		.amdhsa_forward_progress 1
		.amdhsa_inst_pref_size 44
		.amdhsa_round_robin_scheduling 0
		.amdhsa_exception_fp_ieee_invalid_op 0
		.amdhsa_exception_fp_denorm_src 0
		.amdhsa_exception_fp_ieee_div_zero 0
		.amdhsa_exception_fp_ieee_overflow 0
		.amdhsa_exception_fp_ieee_underflow 0
		.amdhsa_exception_fp_ieee_inexact 0
		.amdhsa_exception_int_div_zero 0
	.end_amdhsa_kernel
	.section	.text._ZN2at6native12_GLOBAL__N_125multi_tensor_apply_kernelINS1_18TensorListMetadataILi1EEENS1_14UnaryOpFunctorIdLi1ELi1ELi0EEEJNS0_4AcosIdEEEEEvT_T0_DpT1_,"axG",@progbits,_ZN2at6native12_GLOBAL__N_125multi_tensor_apply_kernelINS1_18TensorListMetadataILi1EEENS1_14UnaryOpFunctorIdLi1ELi1ELi0EEEJNS0_4AcosIdEEEEEvT_T0_DpT1_,comdat
.Lfunc_end46:
	.size	_ZN2at6native12_GLOBAL__N_125multi_tensor_apply_kernelINS1_18TensorListMetadataILi1EEENS1_14UnaryOpFunctorIdLi1ELi1ELi0EEEJNS0_4AcosIdEEEEEvT_T0_DpT1_, .Lfunc_end46-_ZN2at6native12_GLOBAL__N_125multi_tensor_apply_kernelINS1_18TensorListMetadataILi1EEENS1_14UnaryOpFunctorIdLi1ELi1ELi0EEEJNS0_4AcosIdEEEEEvT_T0_DpT1_
                                        ; -- End function
	.set _ZN2at6native12_GLOBAL__N_125multi_tensor_apply_kernelINS1_18TensorListMetadataILi1EEENS1_14UnaryOpFunctorIdLi1ELi1ELi0EEEJNS0_4AcosIdEEEEEvT_T0_DpT1_.num_vgpr, 48
	.set _ZN2at6native12_GLOBAL__N_125multi_tensor_apply_kernelINS1_18TensorListMetadataILi1EEENS1_14UnaryOpFunctorIdLi1ELi1ELi0EEEJNS0_4AcosIdEEEEEvT_T0_DpT1_.num_agpr, 0
	.set _ZN2at6native12_GLOBAL__N_125multi_tensor_apply_kernelINS1_18TensorListMetadataILi1EEENS1_14UnaryOpFunctorIdLi1ELi1ELi0EEEJNS0_4AcosIdEEEEEvT_T0_DpT1_.numbered_sgpr, 29
	.set _ZN2at6native12_GLOBAL__N_125multi_tensor_apply_kernelINS1_18TensorListMetadataILi1EEENS1_14UnaryOpFunctorIdLi1ELi1ELi0EEEJNS0_4AcosIdEEEEEvT_T0_DpT1_.num_named_barrier, 0
	.set _ZN2at6native12_GLOBAL__N_125multi_tensor_apply_kernelINS1_18TensorListMetadataILi1EEENS1_14UnaryOpFunctorIdLi1ELi1ELi0EEEJNS0_4AcosIdEEEEEvT_T0_DpT1_.private_seg_size, 0
	.set _ZN2at6native12_GLOBAL__N_125multi_tensor_apply_kernelINS1_18TensorListMetadataILi1EEENS1_14UnaryOpFunctorIdLi1ELi1ELi0EEEJNS0_4AcosIdEEEEEvT_T0_DpT1_.uses_vcc, 1
	.set _ZN2at6native12_GLOBAL__N_125multi_tensor_apply_kernelINS1_18TensorListMetadataILi1EEENS1_14UnaryOpFunctorIdLi1ELi1ELi0EEEJNS0_4AcosIdEEEEEvT_T0_DpT1_.uses_flat_scratch, 0
	.set _ZN2at6native12_GLOBAL__N_125multi_tensor_apply_kernelINS1_18TensorListMetadataILi1EEENS1_14UnaryOpFunctorIdLi1ELi1ELi0EEEJNS0_4AcosIdEEEEEvT_T0_DpT1_.has_dyn_sized_stack, 0
	.set _ZN2at6native12_GLOBAL__N_125multi_tensor_apply_kernelINS1_18TensorListMetadataILi1EEENS1_14UnaryOpFunctorIdLi1ELi1ELi0EEEJNS0_4AcosIdEEEEEvT_T0_DpT1_.has_recursion, 0
	.set _ZN2at6native12_GLOBAL__N_125multi_tensor_apply_kernelINS1_18TensorListMetadataILi1EEENS1_14UnaryOpFunctorIdLi1ELi1ELi0EEEJNS0_4AcosIdEEEEEvT_T0_DpT1_.has_indirect_call, 0
	.section	.AMDGPU.csdata,"",@progbits
; Kernel info:
; codeLenInByte = 5616
; TotalNumSgprs: 31
; NumVgprs: 48
; ScratchSize: 0
; MemoryBound: 0
; FloatMode: 240
; IeeeMode: 1
; LDSByteSize: 0 bytes/workgroup (compile time only)
; SGPRBlocks: 0
; VGPRBlocks: 2
; NumSGPRsForWavesPerEU: 31
; NumVGPRsForWavesPerEU: 48
; NamedBarCnt: 0
; Occupancy: 16
; WaveLimiterHint : 0
; COMPUTE_PGM_RSRC2:SCRATCH_EN: 0
; COMPUTE_PGM_RSRC2:USER_SGPR: 2
; COMPUTE_PGM_RSRC2:TRAP_HANDLER: 0
; COMPUTE_PGM_RSRC2:TGID_X_EN: 1
; COMPUTE_PGM_RSRC2:TGID_Y_EN: 0
; COMPUTE_PGM_RSRC2:TGID_Z_EN: 0
; COMPUTE_PGM_RSRC2:TIDIG_COMP_CNT: 0
	.section	.text._ZN2at6native12_GLOBAL__N_125multi_tensor_apply_kernelINS1_18TensorListMetadataILi1EEENS1_14UnaryOpFunctorIfLi1ELi1ELi0EEEJNS0_4AcosIfEEEEEvT_T0_DpT1_,"axG",@progbits,_ZN2at6native12_GLOBAL__N_125multi_tensor_apply_kernelINS1_18TensorListMetadataILi1EEENS1_14UnaryOpFunctorIfLi1ELi1ELi0EEEJNS0_4AcosIfEEEEEvT_T0_DpT1_,comdat
	.globl	_ZN2at6native12_GLOBAL__N_125multi_tensor_apply_kernelINS1_18TensorListMetadataILi1EEENS1_14UnaryOpFunctorIfLi1ELi1ELi0EEEJNS0_4AcosIfEEEEEvT_T0_DpT1_ ; -- Begin function _ZN2at6native12_GLOBAL__N_125multi_tensor_apply_kernelINS1_18TensorListMetadataILi1EEENS1_14UnaryOpFunctorIfLi1ELi1ELi0EEEJNS0_4AcosIfEEEEEvT_T0_DpT1_
	.p2align	8
	.type	_ZN2at6native12_GLOBAL__N_125multi_tensor_apply_kernelINS1_18TensorListMetadataILi1EEENS1_14UnaryOpFunctorIfLi1ELi1ELi0EEEJNS0_4AcosIfEEEEEvT_T0_DpT1_,@function
_ZN2at6native12_GLOBAL__N_125multi_tensor_apply_kernelINS1_18TensorListMetadataILi1EEENS1_14UnaryOpFunctorIfLi1ELi1ELi0EEEJNS0_4AcosIfEEEEEvT_T0_DpT1_: ; @_ZN2at6native12_GLOBAL__N_125multi_tensor_apply_kernelINS1_18TensorListMetadataILi1EEENS1_14UnaryOpFunctorIfLi1ELi1ELi0EEEJNS0_4AcosIfEEEEEvT_T0_DpT1_
; %bb.0:
	s_bfe_u32 s2, ttmp6, 0x4000c
	s_and_b32 s3, ttmp6, 15
	s_add_co_i32 s2, s2, 1
	s_getreg_b32 s4, hwreg(HW_REG_IB_STS2, 6, 4)
	s_mul_i32 s2, ttmp9, s2
	s_delay_alu instid0(SALU_CYCLE_1)
	s_add_co_i32 s3, s3, s2
	s_cmp_eq_u32 s4, 0
	s_cselect_b32 s2, ttmp9, s3
	s_mov_b32 s3, 0
	s_load_u8 s8, s[0:1], s2 offset:0x6e0
	s_add_nc_u64 s[4:5], s[0:1], s[2:3]
	s_mul_u64 s[6:7], s[2:3], 3
	s_delay_alu instid0(SALU_CYCLE_1)
	s_add_nc_u64 s[4:5], s[4:5], s[6:7]
	s_load_b32 s10, s[4:5], 0x820
	s_wait_kmcnt 0x0
	s_clause 0x1
	s_load_b64 s[6:7], s[0:1], s8 offset:0x0 scale_offset
	s_load_b64 s[12:13], s[0:1], s8 offset:0x370 scale_offset
	s_ashr_i32 s11, s10, 31
	s_wait_kmcnt 0x0
	s_and_b64 s[4:5], s[6:7], 15
	s_and_b32 s2, s12, 3
	s_lshl_b64 s[8:9], s[10:11], 18
	s_or_b64 s[2:3], s[4:5], s[2:3]
	s_lshl_b64 s[4:5], s[10:11], 16
	s_cmp_eq_u64 s[2:3], 0
	s_sub_nc_u64 s[10:11], s[12:13], s[4:5]
	s_cbranch_scc1 .LBB47_21
; %bb.1:
	v_cmp_lt_i64_e64 s2, s[10:11], 1
	s_and_b32 vcc_lo, exec_lo, s2
	s_cbranch_vccnz .LBB47_20
; %bb.2:
	s_load_b32 s4, s[0:1], 0xd3c
	v_min_i64 v[2:3], 0x10000, s[10:11]
	v_min_u64 v[4:5], 0x10000, s[10:11]
	v_dual_mov_b32 v1, 0 :: v_dual_lshlrev_b32 v8, 2, v0
	s_mov_b32 s19, 0
	s_add_nc_u64 s[2:3], s[6:7], s[8:9]
	s_mov_b32 s5, s19
	s_delay_alu instid0(VALU_DEP_1)
	v_mov_b32_e32 v15, v1
	s_mov_b32 s17, s19
	s_mov_b32 s13, s19
	;; [unrolled: 1-line block ×3, first 2 shown]
	s_mov_b64 s[20:21], 0
	s_mov_b32 s22, 0x3d1c21a7
	s_wait_kmcnt 0x0
	s_and_b32 s18, s4, 0xffff
	s_delay_alu instid0(SALU_CYCLE_1)
	v_add_nc_u64_e32 v[6:7], s[18:19], v[0:1]
	v_mov_b32_e32 v9, v1
	s_lshl_b32 s4, s18, 1
	s_mul_i32 s16, s18, 3
	v_add_nc_u64_e32 v[12:13], s[4:5], v[0:1]
	v_add_nc_u64_e32 v[10:11], s[16:17], v[0:1]
	s_lshl_b32 s12, s18, 2
	v_lshlrev_b32_e32 v14, 2, v6
	v_add_nc_u64_e32 v[8:9], s[2:3], v[8:9]
	s_lshl_b32 s14, s18, 4
	s_mul_u64 s[16:17], s[18:19], 12
	s_lshl_b32 s18, s18, 3
	v_add_nc_u64_e32 v[14:15], s[2:3], v[14:15]
	s_branch .LBB47_4
.LBB47_3:                               ;   in Loop: Header=BB47_4 Depth=1
	s_wait_xcnt 0x0
	s_or_b32 exec_lo, exec_lo, s3
	s_add_nc_u64 s[20:21], s[20:21], s[12:13]
	v_add_nc_u64_e32 v[8:9], s[14:15], v[8:9]
	v_cmp_lt_i64_e32 vcc_lo, s[20:21], v[2:3]
	v_add_nc_u64_e32 v[14:15], s[14:15], v[14:15]
	s_cbranch_vccz .LBB47_20
.LBB47_4:                               ; =>This Inner Loop Header: Depth=1
	v_add_nc_u64_e32 v[16:17], s[20:21], v[0:1]
	s_wait_loadcnt 0x0
	v_mov_b32_e32 v23, 0
	s_delay_alu instid0(VALU_DEP_2)
	v_cmp_lt_u64_e64 s4, v[16:17], v[4:5]
	s_and_saveexec_b32 s2, s4
	s_cbranch_execz .LBB47_6
; %bb.5:                                ;   in Loop: Header=BB47_4 Depth=1
	global_load_b32 v23, v[8:9], off
.LBB47_6:                               ;   in Loop: Header=BB47_4 Depth=1
	s_wait_xcnt 0x0
	s_or_b32 exec_lo, exec_lo, s2
	v_add_nc_u64_e32 v[16:17], s[20:21], v[6:7]
	v_dual_mov_b32 v20, 0 :: v_dual_mov_b32 v22, 0
	s_delay_alu instid0(VALU_DEP_2)
	v_cmp_lt_u64_e64 s3, v[16:17], v[4:5]
	s_and_saveexec_b32 s2, s3
	s_cbranch_execz .LBB47_8
; %bb.7:                                ;   in Loop: Header=BB47_4 Depth=1
	global_load_b32 v22, v[14:15], off
.LBB47_8:                               ;   in Loop: Header=BB47_4 Depth=1
	s_wait_xcnt 0x0
	s_or_b32 exec_lo, exec_lo, s2
	v_add_nc_u64_e32 v[16:17], s[20:21], v[12:13]
	v_add_nc_u64_e32 v[18:19], s[18:19], v[8:9]
	s_delay_alu instid0(VALU_DEP_2)
	v_cmp_lt_u64_e64 s2, v[16:17], v[4:5]
	s_and_saveexec_b32 s5, s2
	s_cbranch_execz .LBB47_10
; %bb.9:                                ;   in Loop: Header=BB47_4 Depth=1
	global_load_b32 v20, v[18:19], off
.LBB47_10:                              ;   in Loop: Header=BB47_4 Depth=1
	s_wait_xcnt 0x0
	s_or_b32 exec_lo, exec_lo, s5
	v_add_nc_u64_e32 v[16:17], s[20:21], v[10:11]
	v_mov_b32_e32 v21, 0
	s_delay_alu instid0(VALU_DEP_2)
	v_cmp_lt_u64_e32 vcc_lo, v[16:17], v[4:5]
	v_add_nc_u64_e32 v[16:17], s[16:17], v[8:9]
	s_and_saveexec_b32 s5, vcc_lo
	s_cbranch_execnz .LBB47_15
; %bb.11:                               ;   in Loop: Header=BB47_4 Depth=1
	s_or_b32 exec_lo, exec_lo, s5
	s_and_saveexec_b32 s23, s4
	s_cbranch_execnz .LBB47_16
.LBB47_12:                              ;   in Loop: Header=BB47_4 Depth=1
	s_or_b32 exec_lo, exec_lo, s23
	s_and_saveexec_b32 s5, s3
	s_cbranch_execnz .LBB47_17
.LBB47_13:                              ;   in Loop: Header=BB47_4 Depth=1
	s_or_b32 exec_lo, exec_lo, s5
	s_and_saveexec_b32 s4, s2
	s_cbranch_execnz .LBB47_18
.LBB47_14:                              ;   in Loop: Header=BB47_4 Depth=1
	s_or_b32 exec_lo, exec_lo, s4
	s_and_saveexec_b32 s3, vcc_lo
	s_cbranch_execz .LBB47_3
	s_branch .LBB47_19
.LBB47_15:                              ;   in Loop: Header=BB47_4 Depth=1
	global_load_b32 v21, v[16:17], off
	s_wait_xcnt 0x0
	s_or_b32 exec_lo, exec_lo, s5
	s_and_saveexec_b32 s23, s4
	s_cbranch_execz .LBB47_12
.LBB47_16:                              ;   in Loop: Header=BB47_4 Depth=1
	s_wait_loadcnt 0x0
	v_fma_f32 v24, |v23|, -0.5, 0.5
	v_mul_f32_e32 v25, v23, v23
	v_cmp_gt_f32_e64 s4, |v23|, 0.5
	v_cmp_gt_f32_e64 s5, 0, v23
	s_delay_alu instid0(VALU_DEP_2) | instskip(NEXT) | instid1(VALU_DEP_1)
	v_cndmask_b32_e64 v24, v25, v24, s4
	v_fmaak_f32 v25, s22, v24, 0x3c5fc5da
	v_sqrt_f32_e32 v26, v24
	s_delay_alu instid0(VALU_DEP_1) | instskip(NEXT) | instid1(VALU_DEP_1)
	v_fmaak_f32 v25, v24, v25, 0x3d034c3c
	v_fmaak_f32 v25, v24, v25, 0x3d3641b1
	s_delay_alu instid0(VALU_DEP_1) | instskip(NEXT) | instid1(VALU_DEP_1)
	v_fmaak_f32 v25, v24, v25, 0x3d999bc8
	v_fmaak_f32 v25, v24, v25, 0x3e2aaaac
	s_delay_alu instid0(VALU_DEP_1) | instskip(NEXT) | instid1(VALU_DEP_1)
	v_mul_f32_e32 v24, v24, v25
	v_fmac_f32_e32 v23, v23, v24
	s_delay_alu instid0(VALU_DEP_1) | instskip(NEXT) | instid1(VALU_DEP_1)
	v_dual_sub_f32 v23, 0x3fc90fdb, v23 :: v_dual_fmac_f32 v26, v26, v24
	v_add_f32_e32 v25, v26, v26
	s_delay_alu instid0(VALU_DEP_1) | instskip(NEXT) | instid1(VALU_DEP_1)
	v_sub_f32_e32 v26, 0x40490fdb, v25
	v_cndmask_b32_e64 v24, v25, v26, s5
	s_delay_alu instid0(VALU_DEP_1)
	v_cndmask_b32_e64 v23, v23, v24, s4
	global_store_b32 v[8:9], v23, off
	s_wait_xcnt 0x0
	s_or_b32 exec_lo, exec_lo, s23
	s_and_saveexec_b32 s5, s3
	s_cbranch_execz .LBB47_13
.LBB47_17:                              ;   in Loop: Header=BB47_4 Depth=1
	s_wait_loadcnt 0x0
	v_fma_f32 v23, |v22|, -0.5, 0.5
	v_mul_f32_e32 v24, v22, v22
	v_cmp_gt_f32_e64 s3, |v22|, 0.5
	v_cmp_gt_f32_e64 s4, 0, v22
	s_delay_alu instid0(VALU_DEP_2) | instskip(NEXT) | instid1(VALU_DEP_1)
	v_cndmask_b32_e64 v23, v24, v23, s3
	v_fmaak_f32 v24, s22, v23, 0x3c5fc5da
	v_sqrt_f32_e32 v25, v23
	s_delay_alu instid0(VALU_DEP_1) | instskip(NEXT) | instid1(VALU_DEP_1)
	v_fmaak_f32 v24, v23, v24, 0x3d034c3c
	v_fmaak_f32 v24, v23, v24, 0x3d3641b1
	s_delay_alu instid0(VALU_DEP_1) | instskip(NEXT) | instid1(VALU_DEP_1)
	v_fmaak_f32 v24, v23, v24, 0x3d999bc8
	v_fmaak_f32 v24, v23, v24, 0x3e2aaaac
	s_delay_alu instid0(VALU_DEP_1) | instskip(NEXT) | instid1(VALU_DEP_1)
	v_mul_f32_e32 v23, v23, v24
	v_fmac_f32_e32 v22, v22, v23
	s_delay_alu instid0(VALU_DEP_1) | instskip(NEXT) | instid1(VALU_DEP_1)
	v_dual_sub_f32 v22, 0x3fc90fdb, v22 :: v_dual_fmac_f32 v25, v25, v23
	v_add_f32_e32 v24, v25, v25
	s_delay_alu instid0(VALU_DEP_1) | instskip(NEXT) | instid1(VALU_DEP_1)
	v_sub_f32_e32 v25, 0x40490fdb, v24
	v_cndmask_b32_e64 v23, v24, v25, s4
	s_delay_alu instid0(VALU_DEP_1)
	v_cndmask_b32_e64 v22, v22, v23, s3
	global_store_b32 v[14:15], v22, off
	s_wait_xcnt 0x0
	s_or_b32 exec_lo, exec_lo, s5
	s_and_saveexec_b32 s4, s2
	s_cbranch_execz .LBB47_14
.LBB47_18:                              ;   in Loop: Header=BB47_4 Depth=1
	s_wait_loadcnt 0x0
	v_fma_f32 v22, |v20|, -0.5, 0.5
	v_mul_f32_e32 v23, v20, v20
	v_cmp_gt_f32_e64 s2, |v20|, 0.5
	v_cmp_gt_f32_e64 s3, 0, v20
	s_delay_alu instid0(VALU_DEP_2) | instskip(NEXT) | instid1(VALU_DEP_1)
	v_cndmask_b32_e64 v22, v23, v22, s2
	v_sqrt_f32_e32 v24, v22
	v_fmaak_f32 v23, s22, v22, 0x3c5fc5da
	s_delay_alu instid0(VALU_DEP_1) | instskip(NEXT) | instid1(VALU_DEP_1)
	v_fmaak_f32 v23, v22, v23, 0x3d034c3c
	v_fmaak_f32 v23, v22, v23, 0x3d3641b1
	s_delay_alu instid0(VALU_DEP_1) | instskip(NEXT) | instid1(VALU_DEP_1)
	v_fmaak_f32 v23, v22, v23, 0x3d999bc8
	v_fmaak_f32 v23, v22, v23, 0x3e2aaaac
	s_delay_alu instid0(VALU_DEP_1) | instskip(NEXT) | instid1(VALU_DEP_1)
	v_mul_f32_e32 v22, v22, v23
	v_fmac_f32_e32 v24, v24, v22
	v_fmac_f32_e32 v20, v20, v22
	s_delay_alu instid0(VALU_DEP_2) | instskip(NEXT) | instid1(VALU_DEP_2)
	v_add_f32_e32 v23, v24, v24
	v_sub_f32_e32 v20, 0x3fc90fdb, v20
	s_delay_alu instid0(VALU_DEP_2) | instskip(NEXT) | instid1(VALU_DEP_1)
	v_sub_f32_e32 v24, 0x40490fdb, v23
	v_cndmask_b32_e64 v22, v23, v24, s3
	s_delay_alu instid0(VALU_DEP_1)
	v_cndmask_b32_e64 v20, v20, v22, s2
	global_store_b32 v[18:19], v20, off
	s_wait_xcnt 0x0
	s_or_b32 exec_lo, exec_lo, s4
	s_and_saveexec_b32 s3, vcc_lo
	s_cbranch_execz .LBB47_3
.LBB47_19:                              ;   in Loop: Header=BB47_4 Depth=1
	s_wait_loadcnt 0x0
	v_fma_f32 v18, |v21|, -0.5, 0.5
	v_mul_f32_e32 v19, v21, v21
	v_cmp_gt_f32_e64 vcc_lo, |v21|, 0.5
	v_cmp_gt_f32_e64 s2, 0, v21
	s_delay_alu instid0(VALU_DEP_3) | instskip(NEXT) | instid1(VALU_DEP_1)
	v_cndmask_b32_e32 v18, v19, v18, vcc_lo
	v_fmaak_f32 v19, s22, v18, 0x3c5fc5da
	v_sqrt_f32_e32 v20, v18
	s_delay_alu instid0(VALU_DEP_1) | instskip(NEXT) | instid1(VALU_DEP_1)
	v_fmaak_f32 v19, v18, v19, 0x3d034c3c
	v_fmaak_f32 v19, v18, v19, 0x3d3641b1
	s_delay_alu instid0(VALU_DEP_1) | instskip(NEXT) | instid1(VALU_DEP_1)
	v_fmaak_f32 v19, v18, v19, 0x3d999bc8
	v_fmaak_f32 v19, v18, v19, 0x3e2aaaac
	s_delay_alu instid0(VALU_DEP_1)
	v_mul_f32_e32 v18, v18, v19
	s_delay_alu instid0(TRANS32_DEP_1) | instid1(VALU_DEP_1)
	v_dual_fmac_f32 v20, v20, v18 :: v_dual_fmac_f32 v21, v21, v18
	s_delay_alu instid0(VALU_DEP_1) | instskip(NEXT) | instid1(VALU_DEP_1)
	v_add_f32_e32 v19, v20, v20
	v_sub_f32_e32 v20, 0x40490fdb, v19
	s_delay_alu instid0(VALU_DEP_1) | instskip(NEXT) | instid1(VALU_DEP_4)
	v_cndmask_b32_e64 v18, v19, v20, s2
	v_sub_f32_e32 v19, 0x3fc90fdb, v21
	s_delay_alu instid0(VALU_DEP_1)
	v_cndmask_b32_e32 v18, v19, v18, vcc_lo
	global_store_b32 v[16:17], v18, off
	s_branch .LBB47_3
.LBB47_20:
	s_cbranch_execz .LBB47_22
	s_branch .LBB47_25
.LBB47_21:
.LBB47_22:
	v_min_i64 v[2:3], 0x10000, s[10:11]
	v_dual_mov_b32 v5, 0 :: v_dual_lshlrev_b32 v4, 2, v0
	s_mov_b32 s2, exec_lo
	s_delay_alu instid0(VALU_DEP_1)
	v_cmpx_lt_i64_e64 v[4:5], v[2:3]
	s_cbranch_execz .LBB47_25
; %bb.23:
	s_load_b32 s2, s[0:1], 0xd3c
	v_dual_mov_b32 v1, v5 :: v_dual_lshlrev_b32 v4, 4, v0
	s_wait_xcnt 0x0
	s_add_nc_u64 s[0:1], s[6:7], s[8:9]
	s_mov_b32 s5, 0
	s_mov_b32 s6, 0x3c5fc5da
	v_add_nc_u64_e32 v[4:5], s[0:1], v[4:5]
	s_mov_b32 s8, 0x3d1c21a7
	s_mov_b32 s10, 0x3d034c3c
	;; [unrolled: 1-line block ×6, first 2 shown]
	v_add_nc_u64_e32 v[4:5], 8, v[4:5]
	s_mov_b32 s20, 0x3fc90fdb
	s_mov_b32 s23, s5
	;; [unrolled: 1-line block ×3, first 2 shown]
	s_wait_kmcnt 0x0
	s_and_b32 s4, s2, 0xffff
	s_delay_alu instid0(SALU_CYCLE_1)
	s_lshl_b32 s22, s4, 4
.LBB47_24:                              ; =>This Inner Loop Header: Depth=1
	global_load_b128 v[6:9], v[4:5], off offset:-8
	v_add_nc_u64_e32 v[0:1], s[4:5], v[0:1]
	s_wait_loadcnt 0x0
	v_and_b32_e32 v11, 0x7fffffff, v7
	v_and_b32_e32 v10, 0x7fffffff, v6
	v_pk_mul_f32 v[14:15], v[6:7], v[6:7]
	v_cmp_gt_f32_e64 vcc_lo, |v7|, 0.5
	v_cmp_gt_f32_e64 s0, |v6|, 0.5
	v_and_b32_e32 v13, 0x7fffffff, v9
	v_pk_fma_f32 v[10:11], v[10:11], -0.5, 0.5 op_sel_hi:[1,0,0]
	v_and_b32_e32 v12, 0x7fffffff, v8
	v_pk_mul_f32 v[16:17], v[8:9], v[8:9]
	v_cmp_gt_f32_e64 s1, |v9|, 0.5
	v_cmp_gt_f32_e64 s2, |v8|, 0.5
	v_dual_cndmask_b32 v11, v15, v11, vcc_lo :: v_dual_cndmask_b32 v10, v14, v10, s0
	v_pk_fma_f32 v[12:13], v[12:13], -0.5, 0.5 op_sel_hi:[1,0,0]
	v_cmp_gt_f32_e64 s3, 0, v6
	s_delay_alu instid0(VALU_DEP_3) | instskip(NEXT) | instid1(VALU_DEP_3)
	v_sqrt_f32_e32 v19, v11
	v_pk_fma_f32 v[14:15], v[10:11], s[8:9], s[6:7] op_sel_hi:[1,0,0]
	s_delay_alu instid0(VALU_DEP_3) | instskip(SKIP_1) | instid1(VALU_DEP_2)
	v_dual_cndmask_b32 v13, v17, v13, s1 :: v_dual_cndmask_b32 v12, v16, v12, s2
	v_sqrt_f32_e32 v18, v10
	v_pk_fma_f32 v[14:15], v[10:11], v[14:15], s[10:11] op_sel_hi:[1,1,0]
	s_delay_alu instid0(VALU_DEP_2) | instskip(NEXT) | instid1(VALU_DEP_2)
	v_sqrt_f32_e32 v21, v13
	v_pk_fma_f32 v[16:17], v[12:13], s[8:9], s[6:7] op_sel_hi:[1,0,0]
	v_sqrt_f32_e32 v20, v12
	s_delay_alu instid0(VALU_DEP_2) | instskip(NEXT) | instid1(VALU_DEP_2)
	v_pk_fma_f32 v[14:15], v[10:11], v[14:15], s[12:13] op_sel_hi:[1,1,0]
	v_pk_fma_f32 v[16:17], v[12:13], v[16:17], s[10:11] op_sel_hi:[1,1,0]
	s_delay_alu instid0(VALU_DEP_2) | instskip(NEXT) | instid1(VALU_DEP_2)
	v_pk_fma_f32 v[14:15], v[10:11], v[14:15], s[14:15] op_sel_hi:[1,1,0]
	v_pk_fma_f32 v[16:17], v[12:13], v[16:17], s[12:13] op_sel_hi:[1,1,0]
	;; [unrolled: 3-line block ×3, first 2 shown]
	s_delay_alu instid0(VALU_DEP_2) | instskip(NEXT) | instid1(VALU_DEP_2)
	v_pk_mul_f32 v[10:11], v[10:11], v[14:15]
	v_pk_fma_f32 v[16:17], v[12:13], v[16:17], s[16:17] op_sel_hi:[1,1,0]
	s_delay_alu instid0(VALU_DEP_2) | instskip(SKIP_1) | instid1(VALU_DEP_3)
	v_pk_fma_f32 v[14:15], v[18:19], v[10:11], v[18:19]
	v_pk_fma_f32 v[10:11], v[6:7], v[10:11], v[6:7]
	v_pk_mul_f32 v[12:13], v[12:13], v[16:17]
	s_delay_alu instid0(VALU_DEP_3) | instskip(NEXT) | instid1(VALU_DEP_3)
	v_pk_add_f32 v[14:15], v[14:15], v[14:15]
	v_pk_add_f32 v[10:11], v[10:11], s[20:21] op_sel_hi:[1,0] neg_lo:[1,0] neg_hi:[1,0]
	s_delay_alu instid0(VALU_DEP_3) | instskip(SKIP_1) | instid1(VALU_DEP_4)
	v_pk_fma_f32 v[16:17], v[20:21], v[12:13], v[20:21]
	v_pk_fma_f32 v[12:13], v[8:9], v[12:13], v[8:9]
	v_pk_add_f32 v[18:19], v[14:15], s[18:19] op_sel_hi:[1,0] neg_lo:[1,0] neg_hi:[1,0]
	s_delay_alu instid0(VALU_DEP_3) | instskip(NEXT) | instid1(VALU_DEP_3)
	v_pk_add_f32 v[16:17], v[16:17], v[16:17]
	v_pk_add_f32 v[12:13], v[12:13], s[20:21] op_sel_hi:[1,0] neg_lo:[1,0] neg_hi:[1,0]
	s_delay_alu instid0(VALU_DEP_3) | instskip(SKIP_1) | instid1(VALU_DEP_4)
	v_cndmask_b32_e64 v6, v14, v18, s3
	v_cmp_gt_f32_e64 s3, 0, v7
	v_pk_add_f32 v[20:21], v[16:17], s[18:19] op_sel_hi:[1,0] neg_lo:[1,0] neg_hi:[1,0]
	s_delay_alu instid0(VALU_DEP_2) | instskip(SKIP_2) | instid1(VALU_DEP_3)
	v_cndmask_b32_e64 v7, v15, v19, s3
	v_cmp_gt_f32_e64 s3, 0, v9
	v_lshlrev_b64_e32 v[14:15], 2, v[0:1]
	v_dual_cndmask_b32 v6, v10, v6, s0 :: v_dual_cndmask_b32 v7, v11, v7, vcc_lo
	s_delay_alu instid0(VALU_DEP_3) | instskip(SKIP_1) | instid1(VALU_DEP_4)
	v_cndmask_b32_e64 v9, v17, v21, s3
	v_cmp_gt_f32_e64 s3, 0, v8
	v_cmp_ge_i64_e32 vcc_lo, v[14:15], v[2:3]
	s_delay_alu instid0(VALU_DEP_2) | instskip(SKIP_1) | instid1(VALU_DEP_1)
	v_dual_cndmask_b32 v8, v16, v20, s3 :: v_dual_cndmask_b32 v9, v13, v9, s1
	s_or_b32 s7, vcc_lo, s7
	v_cndmask_b32_e64 v8, v12, v8, s2
	global_store_b128 v[4:5], v[6:9], off offset:-8
	s_wait_xcnt 0x0
	v_add_nc_u64_e32 v[4:5], s[22:23], v[4:5]
	s_and_not1_b32 exec_lo, exec_lo, s7
	s_cbranch_execnz .LBB47_24
.LBB47_25:
	s_endpgm
	.section	.rodata,"a",@progbits
	.p2align	6, 0x0
	.amdhsa_kernel _ZN2at6native12_GLOBAL__N_125multi_tensor_apply_kernelINS1_18TensorListMetadataILi1EEENS1_14UnaryOpFunctorIfLi1ELi1ELi0EEEJNS0_4AcosIfEEEEEvT_T0_DpT1_
		.amdhsa_group_segment_fixed_size 0
		.amdhsa_private_segment_fixed_size 0
		.amdhsa_kernarg_size 3632
		.amdhsa_user_sgpr_count 2
		.amdhsa_user_sgpr_dispatch_ptr 0
		.amdhsa_user_sgpr_queue_ptr 0
		.amdhsa_user_sgpr_kernarg_segment_ptr 1
		.amdhsa_user_sgpr_dispatch_id 0
		.amdhsa_user_sgpr_kernarg_preload_length 0
		.amdhsa_user_sgpr_kernarg_preload_offset 0
		.amdhsa_user_sgpr_private_segment_size 0
		.amdhsa_wavefront_size32 1
		.amdhsa_uses_dynamic_stack 0
		.amdhsa_enable_private_segment 0
		.amdhsa_system_sgpr_workgroup_id_x 1
		.amdhsa_system_sgpr_workgroup_id_y 0
		.amdhsa_system_sgpr_workgroup_id_z 0
		.amdhsa_system_sgpr_workgroup_info 0
		.amdhsa_system_vgpr_workitem_id 0
		.amdhsa_next_free_vgpr 27
		.amdhsa_next_free_sgpr 24
		.amdhsa_named_barrier_count 0
		.amdhsa_reserve_vcc 1
		.amdhsa_float_round_mode_32 0
		.amdhsa_float_round_mode_16_64 0
		.amdhsa_float_denorm_mode_32 3
		.amdhsa_float_denorm_mode_16_64 3
		.amdhsa_fp16_overflow 0
		.amdhsa_memory_ordered 1
		.amdhsa_forward_progress 1
		.amdhsa_inst_pref_size 16
		.amdhsa_round_robin_scheduling 0
		.amdhsa_exception_fp_ieee_invalid_op 0
		.amdhsa_exception_fp_denorm_src 0
		.amdhsa_exception_fp_ieee_div_zero 0
		.amdhsa_exception_fp_ieee_overflow 0
		.amdhsa_exception_fp_ieee_underflow 0
		.amdhsa_exception_fp_ieee_inexact 0
		.amdhsa_exception_int_div_zero 0
	.end_amdhsa_kernel
	.section	.text._ZN2at6native12_GLOBAL__N_125multi_tensor_apply_kernelINS1_18TensorListMetadataILi1EEENS1_14UnaryOpFunctorIfLi1ELi1ELi0EEEJNS0_4AcosIfEEEEEvT_T0_DpT1_,"axG",@progbits,_ZN2at6native12_GLOBAL__N_125multi_tensor_apply_kernelINS1_18TensorListMetadataILi1EEENS1_14UnaryOpFunctorIfLi1ELi1ELi0EEEJNS0_4AcosIfEEEEEvT_T0_DpT1_,comdat
.Lfunc_end47:
	.size	_ZN2at6native12_GLOBAL__N_125multi_tensor_apply_kernelINS1_18TensorListMetadataILi1EEENS1_14UnaryOpFunctorIfLi1ELi1ELi0EEEJNS0_4AcosIfEEEEEvT_T0_DpT1_, .Lfunc_end47-_ZN2at6native12_GLOBAL__N_125multi_tensor_apply_kernelINS1_18TensorListMetadataILi1EEENS1_14UnaryOpFunctorIfLi1ELi1ELi0EEEJNS0_4AcosIfEEEEEvT_T0_DpT1_
                                        ; -- End function
	.set _ZN2at6native12_GLOBAL__N_125multi_tensor_apply_kernelINS1_18TensorListMetadataILi1EEENS1_14UnaryOpFunctorIfLi1ELi1ELi0EEEJNS0_4AcosIfEEEEEvT_T0_DpT1_.num_vgpr, 27
	.set _ZN2at6native12_GLOBAL__N_125multi_tensor_apply_kernelINS1_18TensorListMetadataILi1EEENS1_14UnaryOpFunctorIfLi1ELi1ELi0EEEJNS0_4AcosIfEEEEEvT_T0_DpT1_.num_agpr, 0
	.set _ZN2at6native12_GLOBAL__N_125multi_tensor_apply_kernelINS1_18TensorListMetadataILi1EEENS1_14UnaryOpFunctorIfLi1ELi1ELi0EEEJNS0_4AcosIfEEEEEvT_T0_DpT1_.numbered_sgpr, 24
	.set _ZN2at6native12_GLOBAL__N_125multi_tensor_apply_kernelINS1_18TensorListMetadataILi1EEENS1_14UnaryOpFunctorIfLi1ELi1ELi0EEEJNS0_4AcosIfEEEEEvT_T0_DpT1_.num_named_barrier, 0
	.set _ZN2at6native12_GLOBAL__N_125multi_tensor_apply_kernelINS1_18TensorListMetadataILi1EEENS1_14UnaryOpFunctorIfLi1ELi1ELi0EEEJNS0_4AcosIfEEEEEvT_T0_DpT1_.private_seg_size, 0
	.set _ZN2at6native12_GLOBAL__N_125multi_tensor_apply_kernelINS1_18TensorListMetadataILi1EEENS1_14UnaryOpFunctorIfLi1ELi1ELi0EEEJNS0_4AcosIfEEEEEvT_T0_DpT1_.uses_vcc, 1
	.set _ZN2at6native12_GLOBAL__N_125multi_tensor_apply_kernelINS1_18TensorListMetadataILi1EEENS1_14UnaryOpFunctorIfLi1ELi1ELi0EEEJNS0_4AcosIfEEEEEvT_T0_DpT1_.uses_flat_scratch, 0
	.set _ZN2at6native12_GLOBAL__N_125multi_tensor_apply_kernelINS1_18TensorListMetadataILi1EEENS1_14UnaryOpFunctorIfLi1ELi1ELi0EEEJNS0_4AcosIfEEEEEvT_T0_DpT1_.has_dyn_sized_stack, 0
	.set _ZN2at6native12_GLOBAL__N_125multi_tensor_apply_kernelINS1_18TensorListMetadataILi1EEENS1_14UnaryOpFunctorIfLi1ELi1ELi0EEEJNS0_4AcosIfEEEEEvT_T0_DpT1_.has_recursion, 0
	.set _ZN2at6native12_GLOBAL__N_125multi_tensor_apply_kernelINS1_18TensorListMetadataILi1EEENS1_14UnaryOpFunctorIfLi1ELi1ELi0EEEJNS0_4AcosIfEEEEEvT_T0_DpT1_.has_indirect_call, 0
	.section	.AMDGPU.csdata,"",@progbits
; Kernel info:
; codeLenInByte = 2040
; TotalNumSgprs: 26
; NumVgprs: 27
; ScratchSize: 0
; MemoryBound: 0
; FloatMode: 240
; IeeeMode: 1
; LDSByteSize: 0 bytes/workgroup (compile time only)
; SGPRBlocks: 0
; VGPRBlocks: 1
; NumSGPRsForWavesPerEU: 26
; NumVGPRsForWavesPerEU: 27
; NamedBarCnt: 0
; Occupancy: 16
; WaveLimiterHint : 0
; COMPUTE_PGM_RSRC2:SCRATCH_EN: 0
; COMPUTE_PGM_RSRC2:USER_SGPR: 2
; COMPUTE_PGM_RSRC2:TRAP_HANDLER: 0
; COMPUTE_PGM_RSRC2:TGID_X_EN: 1
; COMPUTE_PGM_RSRC2:TGID_Y_EN: 0
; COMPUTE_PGM_RSRC2:TGID_Z_EN: 0
; COMPUTE_PGM_RSRC2:TIDIG_COMP_CNT: 0
	.section	.text._ZN2at6native12_GLOBAL__N_125multi_tensor_apply_kernelINS1_18TensorListMetadataILi1EEENS1_14UnaryOpFunctorIN3c107complexIdEELi1ELi1ELi0EEEJNS0_4AcosIS8_EEEEEvT_T0_DpT1_,"axG",@progbits,_ZN2at6native12_GLOBAL__N_125multi_tensor_apply_kernelINS1_18TensorListMetadataILi1EEENS1_14UnaryOpFunctorIN3c107complexIdEELi1ELi1ELi0EEEJNS0_4AcosIS8_EEEEEvT_T0_DpT1_,comdat
	.globl	_ZN2at6native12_GLOBAL__N_125multi_tensor_apply_kernelINS1_18TensorListMetadataILi1EEENS1_14UnaryOpFunctorIN3c107complexIdEELi1ELi1ELi0EEEJNS0_4AcosIS8_EEEEEvT_T0_DpT1_ ; -- Begin function _ZN2at6native12_GLOBAL__N_125multi_tensor_apply_kernelINS1_18TensorListMetadataILi1EEENS1_14UnaryOpFunctorIN3c107complexIdEELi1ELi1ELi0EEEJNS0_4AcosIS8_EEEEEvT_T0_DpT1_
	.p2align	8
	.type	_ZN2at6native12_GLOBAL__N_125multi_tensor_apply_kernelINS1_18TensorListMetadataILi1EEENS1_14UnaryOpFunctorIN3c107complexIdEELi1ELi1ELi0EEEJNS0_4AcosIS8_EEEEEvT_T0_DpT1_,@function
_ZN2at6native12_GLOBAL__N_125multi_tensor_apply_kernelINS1_18TensorListMetadataILi1EEENS1_14UnaryOpFunctorIN3c107complexIdEELi1ELi1ELi0EEEJNS0_4AcosIS8_EEEEEvT_T0_DpT1_: ; @_ZN2at6native12_GLOBAL__N_125multi_tensor_apply_kernelINS1_18TensorListMetadataILi1EEENS1_14UnaryOpFunctorIN3c107complexIdEELi1ELi1ELi0EEEJNS0_4AcosIS8_EEEEEvT_T0_DpT1_
; %bb.0:
	s_bfe_u32 s2, ttmp6, 0x4000c
	s_and_b32 s3, ttmp6, 15
	s_add_co_i32 s2, s2, 1
	s_getreg_b32 s4, hwreg(HW_REG_IB_STS2, 6, 4)
	s_mul_i32 s2, ttmp9, s2
	s_delay_alu instid0(SALU_CYCLE_1)
	s_add_co_i32 s3, s3, s2
	s_cmp_eq_u32 s4, 0
	s_cselect_b32 s2, ttmp9, s3
	s_mov_b32 s3, 0
	s_load_u8 s10, s[0:1], s2 offset:0x6e0
	s_add_nc_u64 s[4:5], s[0:1], s[2:3]
	s_mul_u64 s[6:7], s[2:3], 3
	s_delay_alu instid0(SALU_CYCLE_1)
	s_add_nc_u64 s[4:5], s[4:5], s[6:7]
	s_load_b32 s6, s[4:5], 0x820
	s_wait_kmcnt 0x0
	s_clause 0x1
	s_load_b64 s[8:9], s[0:1], s10 offset:0x0 scale_offset
	s_load_b64 s[12:13], s[0:1], s10 offset:0x370 scale_offset
	s_ashr_i32 s7, s6, 31
	s_delay_alu instid0(SALU_CYCLE_1) | instskip(SKIP_3) | instid1(SALU_CYCLE_1)
	s_lshl_b64 s[4:5], s[6:7], 20
	s_wait_kmcnt 0x0
	s_and_b32 s2, s12, 3
	s_add_nc_u64 s[10:11], s[8:9], s[4:5]
	s_and_b64 s[4:5], s[10:11], 63
	s_delay_alu instid0(SALU_CYCLE_1)
	s_or_b64 s[2:3], s[4:5], s[2:3]
	s_lshl_b64 s[4:5], s[6:7], 16
	s_cmp_eq_u64 s[2:3], 0
	s_sub_nc_u64 s[12:13], s[12:13], s[4:5]
	s_cbranch_scc1 .LBB48_429
; %bb.1:
	v_cmp_lt_i64_e64 s2, s[12:13], 1
	s_and_b32 vcc_lo, exec_lo, s2
	s_cbranch_vccnz .LBB48_428
; %bb.2:
	s_load_b32 s2, s[0:1], 0xd3c
	v_min_i64 v[22:23], 0x10000, s[12:13]
	v_min_u64 v[24:25], 0x10000, s[12:13]
	v_mbcnt_lo_u32_b32 v1, -1, 0
	v_mov_b32_e32 v2, 8
	s_mov_b32 s3, 0
	v_mov_b64_e32 v[46:47], 0x3fc385386b47b09a
	s_mov_b32 s5, s3
	v_dual_lshlrev_b32 v3, 20, v1 :: v_dual_mov_b32 v1, 0
	s_mov_b32 s7, s3
	v_mov_b64_e32 v[48:49], 0xbf90a5a378a05eaf
	v_mov_b64_e32 v[50:51], 0xbf23e260bd3237f4
	s_delay_alu instid0(VALU_DEP_3)
	v_add_nc_u64_e32 v[26:27], src_flat_scratch_base_lo, v[2:3]
	v_dual_mov_b32 v2, 0 :: v_dual_lshlrev_b32 v28, 4, v0
	v_mov_b32_e32 v29, v1
	v_mov_b64_e32 v[52:53], 0x3c91a62633145c07
	v_dual_mov_b32 v78, 0xd800000 :: v_dual_mov_b32 v39, v1
	s_wait_kmcnt 0x0
	s_and_b32 s2, s2, 0xffff
	v_add_nc_u64_e32 v[30:31], src_flat_scratch_base_lo, v[2:3]
	v_mad_nc_u64_u32 v[34:35], s2, 48, v[28:29]
	s_lshl_b32 s4, s2, 1
	s_mul_i32 s6, s2, 3
	s_lshl_b32 s14, s2, 2
	s_lshl_b32 s16, s2, 6
	v_add_nc_u64_e32 v[32:33], s[2:3], v[0:1]
	s_lshl_b32 s2, s2, 5
	v_mov_b32_e32 v2, 4
	v_add_nc_u64_e32 v[36:37], s[2:3], v[28:29]
	v_add_nc_u64_e32 v[42:43], s[6:7], v[0:1]
	v_add_nc_u64_e32 v[44:45], s[4:5], v[0:1]
	v_dual_lshlrev_b32 v38, 4, v32 :: v_dual_bitop2_b32 v34, 8, v34 bitop3:0x54
	v_add_nc_u64_e32 v[40:41], src_flat_scratch_base_lo, v[2:3]
	v_mov_b32_e32 v79, 0x7f3321d2
	v_or_b32_e32 v36, 8, v36
	v_mov_b32_e32 v80, 0x4002d97c
	s_mov_b32 s15, s3
	s_mov_b64 s[18:19], 0x3e43988e1409212f
	s_mov_b64 s[20:21], 0x3fe5555555555555
	;; [unrolled: 1-line block ×11, first 2 shown]
	s_mov_b32 s17, s3
	s_mov_b64 s[42:43], 0
	s_mov_b64 s[44:45], s[10:11]
                                        ; implicit-def: $vgpr2_vgpr3
                                        ; implicit-def: $vgpr2_vgpr3
	;; [unrolled: 1-line block ×33, first 2 shown]
	s_branch .LBB48_4
.LBB48_3:                               ;   in Loop: Header=BB48_4 Depth=1
	s_wait_xcnt 0x0
	s_or_b32 exec_lo, exec_lo, s2
	s_add_nc_u64 s[42:43], s[42:43], s[14:15]
	s_add_nc_u64 s[44:45], s[44:45], s[16:17]
	v_cmp_ge_i64_e32 vcc_lo, s[42:43], v[22:23]
	s_cbranch_vccnz .LBB48_428
.LBB48_4:                               ; =>This Inner Loop Header: Depth=1
	v_add_nc_u64_e32 v[2:3], s[42:43], v[0:1]
	v_mov_b64_e32 v[20:21], 0
	v_add_nc_u64_e32 v[54:55], s[44:45], v[28:29]
	v_mov_b64_e32 v[16:17], 0
	s_wait_dscnt 0x2
	v_mov_b64_e32 v[14:15], 0
	v_cmp_lt_u64_e64 s2, v[2:3], v[24:25]
	s_and_saveexec_b32 s3, s2
	s_cbranch_execz .LBB48_6
; %bb.5:                                ;   in Loop: Header=BB48_4 Depth=1
	global_load_b128 v[14:17], v[54:55], off
.LBB48_6:                               ;   in Loop: Header=BB48_4 Depth=1
	s_wait_xcnt 0x0
	s_or_b32 exec_lo, exec_lo, s3
	v_add_nc_u64_e32 v[2:3], s[42:43], v[32:33]
	v_add_nc_u64_e32 v[56:57], s[44:45], v[38:39]
	s_wait_dscnt 0x1
	v_mov_b64_e32 v[18:19], 0
	s_delay_alu instid0(VALU_DEP_3)
	v_cmp_lt_u64_e64 s3, v[2:3], v[24:25]
	s_and_saveexec_b32 s4, s3
	s_cbranch_execz .LBB48_8
; %bb.7:                                ;   in Loop: Header=BB48_4 Depth=1
	global_load_b128 v[18:21], v[56:57], off
.LBB48_8:                               ;   in Loop: Header=BB48_4 Depth=1
	s_wait_xcnt 0x0
	s_or_b32 exec_lo, exec_lo, s4
	v_add_nc_u64_e32 v[2:3], s[42:43], v[44:45]
	v_mov_b64_e32 v[4:5], 0
	v_add_nc_u64_e32 v[58:59], s[44:45], v[36:37]
	v_mov_b64_e32 v[12:13], 0
	s_wait_dscnt 0x0
	v_mov_b64_e32 v[10:11], 0
	v_cmp_lt_u64_e64 s4, v[2:3], v[24:25]
	s_and_saveexec_b32 s5, s4
	s_cbranch_execz .LBB48_10
; %bb.9:                                ;   in Loop: Header=BB48_4 Depth=1
	global_load_b128 v[10:13], v[58:59], off offset:-8
.LBB48_10:                              ;   in Loop: Header=BB48_4 Depth=1
	s_wait_xcnt 0x0
	s_or_b32 exec_lo, exec_lo, s5
	v_add_nc_u64_e32 v[2:3], s[42:43], v[42:43]
	v_add_nc_u64_e32 v[60:61], s[44:45], v[34:35]
	s_delay_alu instid0(VALU_DEP_2)
	v_cmp_lt_u64_e64 s5, v[2:3], v[24:25]
	v_mov_b64_e32 v[2:3], 0
	s_and_saveexec_b32 s6, s5
	s_cbranch_execz .LBB48_12
; %bb.11:                               ;   in Loop: Header=BB48_4 Depth=1
	global_load_b128 v[2:5], v[60:61], off offset:-8
.LBB48_12:                              ;   in Loop: Header=BB48_4 Depth=1
	s_wait_xcnt 0x0
	s_or_b32 exec_lo, exec_lo, s6
	flat_store_b64 v[26:27], v[52:53] scope:SCOPE_SYS
	s_wait_storecnt 0x0
                                        ; implicit-def: $vgpr8_vgpr9
	s_mov_b32 s6, exec_lo
	s_wait_loadcnt 0x0
	s_wait_xcnt 0x0
	v_cmpx_o_f64_e32 v[14:15], v[16:17]
	s_xor_b32 s9, exec_lo, s6
	s_cbranch_execz .LBB48_100
; %bb.13:                               ;   in Loop: Header=BB48_4 Depth=1
	v_max_num_f64_e64 v[64:65], |v[14:15]|, |v[14:15]|
	v_max_num_f64_e64 v[66:67], |v[16:17]|, |v[16:17]|
	v_cmp_gt_i64_e64 s6, 0, v[16:17]
                                        ; implicit-def: $vgpr8_vgpr9
	s_mov_b32 s7, exec_lo
	v_max_num_f64_e32 v[62:63], v[66:67], v[64:65]
	s_delay_alu instid0(VALU_DEP_1)
	v_cmpx_nlt_f64_e32 0x43300000, v[62:63]
	s_xor_b32 s33, exec_lo, s7
	s_cbranch_execz .LBB48_89
; %bb.14:                               ;   in Loop: Header=BB48_4 Depth=1
	v_cmp_neq_f64_e32 vcc_lo, 1.0, v[14:15]
	v_cmp_neq_f64_e64 s7, 0, v[16:17]
	v_xor_b32_e32 v9, 0x80000000, v17
	v_mov_b32_e32 v8, v16
	s_or_b32 s7, s7, vcc_lo
	s_delay_alu instid0(SALU_CYCLE_1) | instskip(NEXT) | instid1(SALU_CYCLE_1)
	s_and_saveexec_b32 s8, s7
	s_xor_b32 s46, exec_lo, s8
	s_cbranch_execz .LBB48_86
; %bb.15:                               ;   in Loop: Header=BB48_4 Depth=1
	flat_store_b32 v[30:31], v78 scope:SCOPE_SYS
	s_wait_storecnt 0x0
	flat_load_b32 v6, v[30:31] scope:SCOPE_SYS
	s_wait_loadcnt 0x0
	v_cmp_nlt_f64_e64 s7, |v[14:15]|, s[18:19]
	v_cmp_nlt_f64_e64 s8, |v[16:17]|, s[18:19]
	v_mov_b32_e32 v8, v16
	s_or_b32 s7, s8, s7
	s_wait_dscnt 0x0
	v_add_f32_e32 v6, 1.0, v6
	flat_store_b32 v[40:41], v6 scope:SCOPE_SYS
	s_wait_storecnt 0x0
	flat_load_b32 v6, v[40:41] scope:SCOPE_SYS
	s_wait_loadcnt 0x0
	s_wait_xcnt 0x0
	s_and_saveexec_b32 s8, s7
	s_delay_alu instid0(SALU_CYCLE_1)
	s_xor_b32 s47, exec_lo, s8
	s_cbranch_execz .LBB48_83
; %bb.16:                               ;   in Loop: Header=BB48_4 Depth=1
	s_wait_dscnt 0x0
	v_add_f64_e64 v[6:7], |v[14:15]|, -1.0
	v_add_f64_e64 v[64:65], |v[14:15]|, 1.0
	s_delay_alu instid0(VALU_DEP_2) | instskip(NEXT) | instid1(VALU_DEP_1)
	v_max_num_f64_e64 v[62:63], v[66:67], |v[6:7]|
	v_frexp_exp_i32_f64_e32 v82, v[62:63]
	s_delay_alu instid0(VALU_DEP_1) | instskip(NEXT) | instid1(VALU_DEP_1)
	v_dual_max_num_f64 v[8:9], v[66:67], v[64:65] :: v_dual_sub_nc_u32 v68, 0, v82
	v_frexp_exp_i32_f64_e32 v81, v[8:9]
	s_delay_alu instid0(VALU_DEP_2) | instskip(SKIP_1) | instid1(VALU_DEP_2)
	v_ldexp_f64 v[62:63], |v[6:7]|, v68
	v_ldexp_f64 v[68:69], |v[16:17]|, v68
	v_dual_mul_f64 v[62:63], v[62:63], v[62:63] :: v_dual_sub_nc_u32 v66, 0, v81
	s_delay_alu instid0(VALU_DEP_1) | instskip(SKIP_1) | instid1(VALU_DEP_3)
	v_ldexp_f64 v[8:9], v[64:65], v66
	v_ldexp_f64 v[66:67], |v[16:17]|, v66
	v_fmac_f64_e32 v[62:63], v[68:69], v[68:69]
	s_delay_alu instid0(VALU_DEP_1) | instskip(SKIP_1) | instid1(TRANS32_DEP_1)
	v_rsq_f64_e32 v[68:69], v[62:63]
	v_cmp_eq_f64_e64 s7, 0, v[62:63]
	v_mul_f64_e32 v[72:73], v[62:63], v[68:69]
	v_mul_f64_e32 v[68:69], 0.5, v[68:69]
	s_delay_alu instid0(VALU_DEP_1) | instskip(NEXT) | instid1(VALU_DEP_1)
	v_fma_f64 v[76:77], -v[68:69], v[72:73], 0.5
	v_fmac_f64_e32 v[72:73], v[72:73], v[76:77]
	v_fmac_f64_e32 v[68:69], v[68:69], v[76:77]
	s_delay_alu instid0(VALU_DEP_2) | instskip(NEXT) | instid1(VALU_DEP_1)
	v_fma_f64 v[76:77], -v[72:73], v[72:73], v[62:63]
	v_fmac_f64_e32 v[72:73], v[76:77], v[68:69]
	s_delay_alu instid0(VALU_DEP_1) | instskip(SKIP_1) | instid1(VALU_DEP_2)
	v_dual_cndmask_b32 v63, v73, v63, s7 :: v_dual_cndmask_b32 v62, v72, v62, s7
	v_cmp_neq_f64_e64 s7, 0x7ff00000, |v[6:7]|
	v_ldexp_f64 v[62:63], v[62:63], v82
	v_mul_f64_e32 v[8:9], v[8:9], v[8:9]
	s_delay_alu instid0(VALU_DEP_1) | instskip(NEXT) | instid1(VALU_DEP_1)
	v_fmac_f64_e32 v[8:9], v[66:67], v[66:67]
	v_rsq_f64_e32 v[66:67], v[8:9]
	v_cmp_eq_f64_e32 vcc_lo, 0, v[8:9]
	s_delay_alu instid0(TRANS32_DEP_1) | instskip(SKIP_1) | instid1(VALU_DEP_1)
	v_mul_f64_e32 v[70:71], v[8:9], v[66:67]
	v_mul_f64_e32 v[66:67], 0.5, v[66:67]
	v_fma_f64 v[74:75], -v[66:67], v[70:71], 0.5
	s_delay_alu instid0(VALU_DEP_1) | instskip(SKIP_1) | instid1(VALU_DEP_2)
	v_fmac_f64_e32 v[70:71], v[70:71], v[74:75]
	v_fmac_f64_e32 v[66:67], v[66:67], v[74:75]
	v_fma_f64 v[74:75], -v[70:71], v[70:71], v[8:9]
	s_delay_alu instid0(VALU_DEP_1) | instskip(SKIP_3) | instid1(VALU_DEP_3)
	v_fmac_f64_e32 v[70:71], v[74:75], v[66:67]
	v_cndmask_b32_e64 v67, 0x7ff00000, v63, s7
	v_cndmask_b32_e64 v66, 0, v62, s7
	s_mov_b32 s7, exec_lo
	v_dual_cndmask_b32 v9, v71, v9 :: v_dual_cndmask_b32 v8, v70, v8
	v_cmp_neq_f64_e32 vcc_lo, 0x7ff00000, v[64:65]
	s_delay_alu instid0(VALU_DEP_2) | instskip(NEXT) | instid1(VALU_DEP_1)
	v_ldexp_f64 v[8:9], v[8:9], v81
	v_cndmask_b32_e32 v69, 0x7ff00000, v9, vcc_lo
	s_delay_alu instid0(VALU_DEP_2) | instskip(NEXT) | instid1(VALU_DEP_1)
	v_cndmask_b32_e32 v68, 0, v8, vcc_lo
	v_add_f64_e32 v[8:9], v[68:69], v[66:67]
	s_delay_alu instid0(VALU_DEP_1) | instskip(NEXT) | instid1(VALU_DEP_1)
	v_mul_f64_e32 v[8:9], 0.5, v[8:9]
	v_cmp_ngt_f64_e32 vcc_lo, 1.0, v[8:9]
	v_cndmask_b32_e32 v63, 0x3ff00000, v9, vcc_lo
	v_cndmask_b32_e32 v62, 0, v8, vcc_lo
                                        ; implicit-def: $vgpr8_vgpr9
	s_delay_alu instid0(VALU_DEP_1)
	v_cmpx_ngt_f64_e32 0x40240000, v[62:63]
	s_xor_b32 s7, exec_lo, s7
	s_cbranch_execz .LBB48_18
; %bb.17:                               ;   in Loop: Header=BB48_4 Depth=1
	v_fma_f64 v[8:9], v[62:63], v[62:63], -1.0
	s_delay_alu instid0(VALU_DEP_1) | instskip(SKIP_1) | instid1(VALU_DEP_1)
	v_cmp_gt_f64_e32 vcc_lo, 0x10000000, v[8:9]
	v_cndmask_b32_e64 v70, 0, 0x100, vcc_lo
	v_ldexp_f64 v[8:9], v[8:9], v70
	s_delay_alu instid0(VALU_DEP_1) | instskip(SKIP_1) | instid1(TRANS32_DEP_1)
	v_rsq_f64_e32 v[70:71], v[8:9]
	v_nop
	v_mul_f64_e32 v[72:73], v[8:9], v[70:71]
	v_mul_f64_e32 v[70:71], 0.5, v[70:71]
	s_delay_alu instid0(VALU_DEP_1) | instskip(NEXT) | instid1(VALU_DEP_1)
	v_fma_f64 v[74:75], -v[70:71], v[72:73], 0.5
	v_fmac_f64_e32 v[72:73], v[72:73], v[74:75]
	v_fmac_f64_e32 v[70:71], v[70:71], v[74:75]
	s_delay_alu instid0(VALU_DEP_2) | instskip(NEXT) | instid1(VALU_DEP_1)
	v_fma_f64 v[74:75], -v[72:73], v[72:73], v[8:9]
	v_fmac_f64_e32 v[72:73], v[74:75], v[70:71]
	s_delay_alu instid0(VALU_DEP_1) | instskip(NEXT) | instid1(VALU_DEP_1)
	v_fma_f64 v[74:75], -v[72:73], v[72:73], v[8:9]
	v_fmac_f64_e32 v[72:73], v[74:75], v[70:71]
	v_cndmask_b32_e64 v70, 0, 0xffffff80, vcc_lo
	v_cmp_class_f64_e64 vcc_lo, v[8:9], 0x260
	s_delay_alu instid0(VALU_DEP_2) | instskip(NEXT) | instid1(VALU_DEP_1)
	v_ldexp_f64 v[70:71], v[72:73], v70
	v_dual_cndmask_b32 v9, v71, v9 :: v_dual_cndmask_b32 v8, v70, v8
	s_delay_alu instid0(VALU_DEP_1) | instskip(NEXT) | instid1(VALU_DEP_1)
	v_add_f64_e32 v[8:9], v[62:63], v[8:9]
	v_frexp_mant_f64_e32 v[70:71], v[8:9]
	v_frexp_exp_i32_f64_e32 v81, v[8:9]
	s_delay_alu instid0(VALU_DEP_2) | instskip(SKIP_1) | instid1(VALU_DEP_3)
	v_cmp_gt_f64_e32 vcc_lo, s[20:21], v[70:71]
	v_cndmask_b32_e64 v72, 0, 1, vcc_lo
	v_subrev_co_ci_u32_e64 v81, null, 0, v81, vcc_lo
	v_cmp_class_f64_e64 vcc_lo, v[8:9], 0x204
	s_delay_alu instid0(VALU_DEP_3) | instskip(NEXT) | instid1(VALU_DEP_1)
	v_ldexp_f64 v[70:71], v[70:71], v72
	v_add_f64_e32 v[72:73], 1.0, v[70:71]
	v_add_f64_e32 v[82:83], -1.0, v[70:71]
	s_delay_alu instid0(VALU_DEP_2) | instskip(SKIP_1) | instid1(VALU_DEP_1)
	v_rcp_f64_e32 v[74:75], v[72:73]
	v_add_f64_e32 v[84:85], -1.0, v[72:73]
	v_add_f64_e64 v[70:71], v[70:71], -v[84:85]
	s_delay_alu instid0(TRANS32_DEP_1) | instskip(NEXT) | instid1(VALU_DEP_1)
	v_fma_f64 v[76:77], -v[72:73], v[74:75], 1.0
	v_fmac_f64_e32 v[74:75], v[76:77], v[74:75]
	s_delay_alu instid0(VALU_DEP_1) | instskip(NEXT) | instid1(VALU_DEP_1)
	v_fma_f64 v[76:77], -v[72:73], v[74:75], 1.0
	v_fmac_f64_e32 v[74:75], v[76:77], v[74:75]
	s_delay_alu instid0(VALU_DEP_1) | instskip(NEXT) | instid1(VALU_DEP_1)
	v_mul_f64_e32 v[76:77], v[82:83], v[74:75]
	v_mul_f64_e32 v[86:87], v[72:73], v[76:77]
	s_delay_alu instid0(VALU_DEP_1) | instskip(NEXT) | instid1(VALU_DEP_1)
	v_fma_f64 v[72:73], v[76:77], v[72:73], -v[86:87]
	v_fmac_f64_e32 v[72:73], v[76:77], v[70:71]
	s_delay_alu instid0(VALU_DEP_1) | instskip(NEXT) | instid1(VALU_DEP_1)
	v_add_f64_e32 v[70:71], v[86:87], v[72:73]
	v_add_f64_e64 v[84:85], v[82:83], -v[70:71]
	v_add_f64_e64 v[86:87], v[70:71], -v[86:87]
	s_delay_alu instid0(VALU_DEP_2) | instskip(NEXT) | instid1(VALU_DEP_2)
	v_add_f64_e64 v[82:83], v[82:83], -v[84:85]
	v_add_f64_e64 v[72:73], v[86:87], -v[72:73]
	s_delay_alu instid0(VALU_DEP_2) | instskip(NEXT) | instid1(VALU_DEP_1)
	v_add_f64_e64 v[70:71], v[82:83], -v[70:71]
	v_add_f64_e32 v[70:71], v[72:73], v[70:71]
	s_delay_alu instid0(VALU_DEP_1) | instskip(NEXT) | instid1(VALU_DEP_1)
	v_add_f64_e32 v[70:71], v[84:85], v[70:71]
	v_mul_f64_e32 v[70:71], v[74:75], v[70:71]
	s_delay_alu instid0(VALU_DEP_1) | instskip(NEXT) | instid1(VALU_DEP_1)
	v_add_f64_e32 v[72:73], v[76:77], v[70:71]
	v_mul_f64_e32 v[74:75], v[72:73], v[72:73]
	s_delay_alu instid0(VALU_DEP_1) | instskip(SKIP_1) | instid1(VALU_DEP_2)
	v_fmamk_f64 v[82:83], v[74:75], 0x3fc3ab76bf559e2b, v[46:47]
	v_mul_f64_e32 v[84:85], v[72:73], v[74:75]
	v_fmaak_f64 v[82:83], v[74:75], v[82:83], 0x3fc7474dd7f4df2e
	s_delay_alu instid0(VALU_DEP_1) | instskip(NEXT) | instid1(VALU_DEP_1)
	v_fmaak_f64 v[82:83], v[74:75], v[82:83], 0x3fcc71c016291751
	v_fmaak_f64 v[82:83], v[74:75], v[82:83], 0x3fd249249b27acf1
	s_delay_alu instid0(VALU_DEP_1) | instskip(NEXT) | instid1(VALU_DEP_1)
	v_fmaak_f64 v[82:83], v[74:75], v[82:83], 0x3fd99999998ef7b6
	v_fmaak_f64 v[74:75], v[74:75], v[82:83], 0x3fe5555555555780
	v_ldexp_f64 v[82:83], v[72:73], 1
	v_add_f64_e64 v[72:73], v[72:73], -v[76:77]
	s_delay_alu instid0(VALU_DEP_3) | instskip(SKIP_1) | instid1(VALU_DEP_3)
	v_mul_f64_e32 v[74:75], v[84:85], v[74:75]
	v_cvt_f64_i32_e32 v[84:85], v81
	v_add_f64_e64 v[70:71], v[70:71], -v[72:73]
	s_delay_alu instid0(VALU_DEP_3) | instskip(NEXT) | instid1(VALU_DEP_3)
	v_add_f64_e32 v[76:77], v[82:83], v[74:75]
	v_mul_f64_e32 v[86:87], 0x3fe62e42fefa39ef, v[84:85]
	s_delay_alu instid0(VALU_DEP_3) | instskip(NEXT) | instid1(VALU_DEP_3)
	v_ldexp_f64 v[70:71], v[70:71], 1
	v_add_f64_e64 v[72:73], v[76:77], -v[82:83]
	s_delay_alu instid0(VALU_DEP_3) | instskip(NEXT) | instid1(VALU_DEP_2)
	v_fma_f64 v[82:83], v[84:85], s[22:23], -v[86:87]
	v_add_f64_e64 v[72:73], v[74:75], -v[72:73]
	s_delay_alu instid0(VALU_DEP_2) | instskip(NEXT) | instid1(VALU_DEP_2)
	v_fmac_f64_e32 v[82:83], 0x3c7abc9e3b39803f, v[84:85]
	v_add_f64_e32 v[70:71], v[70:71], v[72:73]
	s_delay_alu instid0(VALU_DEP_2) | instskip(NEXT) | instid1(VALU_DEP_2)
	v_add_f64_e32 v[72:73], v[86:87], v[82:83]
	v_add_f64_e32 v[74:75], v[76:77], v[70:71]
	s_delay_alu instid0(VALU_DEP_2) | instskip(NEXT) | instid1(VALU_DEP_2)
	v_add_f64_e64 v[86:87], v[72:73], -v[86:87]
	v_add_f64_e32 v[84:85], v[72:73], v[74:75]
	v_add_f64_e64 v[76:77], v[74:75], -v[76:77]
	s_delay_alu instid0(VALU_DEP_3) | instskip(NEXT) | instid1(VALU_DEP_3)
	v_add_f64_e64 v[82:83], v[82:83], -v[86:87]
	v_add_f64_e64 v[88:89], v[84:85], -v[72:73]
	s_delay_alu instid0(VALU_DEP_3) | instskip(NEXT) | instid1(VALU_DEP_2)
	v_add_f64_e64 v[70:71], v[70:71], -v[76:77]
	v_add_f64_e64 v[90:91], v[84:85], -v[88:89]
	;; [unrolled: 1-line block ×3, first 2 shown]
	s_delay_alu instid0(VALU_DEP_3) | instskip(NEXT) | instid1(VALU_DEP_3)
	v_add_f64_e32 v[76:77], v[82:83], v[70:71]
	v_add_f64_e64 v[72:73], v[72:73], -v[90:91]
	s_delay_alu instid0(VALU_DEP_1) | instskip(NEXT) | instid1(VALU_DEP_3)
	v_add_f64_e32 v[72:73], v[74:75], v[72:73]
	v_add_f64_e64 v[74:75], v[76:77], -v[82:83]
	s_delay_alu instid0(VALU_DEP_2) | instskip(NEXT) | instid1(VALU_DEP_2)
	v_add_f64_e32 v[72:73], v[76:77], v[72:73]
	v_add_f64_e64 v[76:77], v[76:77], -v[74:75]
	v_add_f64_e64 v[70:71], v[70:71], -v[74:75]
	s_delay_alu instid0(VALU_DEP_3) | instskip(NEXT) | instid1(VALU_DEP_3)
	v_add_f64_e32 v[86:87], v[84:85], v[72:73]
	v_add_f64_e64 v[74:75], v[82:83], -v[76:77]
	s_delay_alu instid0(VALU_DEP_2) | instskip(NEXT) | instid1(VALU_DEP_2)
	v_add_f64_e64 v[76:77], v[86:87], -v[84:85]
	v_add_f64_e32 v[70:71], v[70:71], v[74:75]
	s_delay_alu instid0(VALU_DEP_2) | instskip(NEXT) | instid1(VALU_DEP_1)
	v_add_f64_e64 v[72:73], v[72:73], -v[76:77]
	v_add_f64_e32 v[70:71], v[70:71], v[72:73]
	s_delay_alu instid0(VALU_DEP_1) | instskip(NEXT) | instid1(VALU_DEP_1)
	v_add_f64_e32 v[70:71], v[86:87], v[70:71]
	v_dual_cndmask_b32 v70, v70, v8 :: v_dual_cndmask_b32 v71, v71, v9
	v_cmp_neq_f64_e32 vcc_lo, 0, v[8:9]
	s_delay_alu instid0(VALU_DEP_2) | instskip(NEXT) | instid1(VALU_DEP_3)
	v_cndmask_b32_e32 v9, 0xfff00000, v71, vcc_lo
	v_cndmask_b32_e32 v8, 0, v70, vcc_lo
.LBB48_18:                              ;   in Loop: Header=BB48_4 Depth=1
	s_or_saveexec_b32 s48, s7
	v_and_b32_e32 v71, 0x7fffffff, v17
	v_mov_b32_e32 v70, v16
	s_xor_b32 exec_lo, exec_lo, s48
	s_cbranch_execz .LBB48_40
; %bb.19:                               ;   in Loop: Header=BB48_4 Depth=1
	v_cmp_neq_f64_e64 s7, |v[14:15]|, 1.0
	v_cmp_ngt_f64_e64 s8, 0x39000000, |v[16:17]|
                                        ; implicit-def: $vgpr8_vgpr9
	s_or_b32 s7, s8, s7
	s_delay_alu instid0(SALU_CYCLE_1) | instskip(NEXT) | instid1(SALU_CYCLE_1)
	s_and_saveexec_b32 s8, s7
	s_xor_b32 s49, exec_lo, s8
	s_cbranch_execz .LBB48_37
; %bb.20:                               ;   in Loop: Header=BB48_4 Depth=1
	v_ldexp_f64 v[8:9], |v[6:7]|, 0xffffffcc
	s_delay_alu instid0(VALU_DEP_1) | instskip(SKIP_1) | instid1(SALU_CYCLE_1)
	v_cmp_ge_f64_e64 s7, |v[16:17]|, v[8:9]
                                        ; implicit-def: $vgpr8_vgpr9
	s_and_saveexec_b32 s8, s7
	s_xor_b32 s50, exec_lo, s8
	s_cbranch_execz .LBB48_30
; %bb.21:                               ;   in Loop: Header=BB48_4 Depth=1
	v_mov_b64_e32 v[8:9], v[70:71]
	s_mov_b32 s7, exec_lo
	v_cmpx_neq_f64_e32 0, v[64:65]
	s_cbranch_execz .LBB48_23
; %bb.22:                               ;   in Loop: Header=BB48_4 Depth=1
	v_mul_f64_e32 v[8:9], v[16:17], v[16:17]
	v_add_f64_e32 v[72:73], v[64:65], v[68:69]
	s_delay_alu instid0(VALU_DEP_1) | instskip(NEXT) | instid1(VALU_DEP_1)
	v_div_scale_f64 v[74:75], null, v[72:73], v[72:73], v[8:9]
	v_rcp_f64_e32 v[76:77], v[74:75]
	v_nop
	s_delay_alu instid0(TRANS32_DEP_1) | instskip(NEXT) | instid1(VALU_DEP_1)
	v_fma_f64 v[82:83], -v[74:75], v[76:77], 1.0
	v_fmac_f64_e32 v[76:77], v[76:77], v[82:83]
	s_delay_alu instid0(VALU_DEP_1) | instskip(NEXT) | instid1(VALU_DEP_1)
	v_fma_f64 v[82:83], -v[74:75], v[76:77], 1.0
	v_fmac_f64_e32 v[76:77], v[76:77], v[82:83]
	v_div_scale_f64 v[82:83], vcc_lo, v[8:9], v[72:73], v[8:9]
	s_delay_alu instid0(VALU_DEP_1) | instskip(NEXT) | instid1(VALU_DEP_1)
	v_mul_f64_e32 v[84:85], v[82:83], v[76:77]
	v_fma_f64 v[74:75], -v[74:75], v[84:85], v[82:83]
	s_delay_alu instid0(VALU_DEP_1) | instskip(NEXT) | instid1(VALU_DEP_1)
	v_div_fmas_f64 v[74:75], v[74:75], v[76:77], v[84:85]
	v_div_fixup_f64 v[8:9], v[74:75], v[72:73], v[8:9]
.LBB48_23:                              ;   in Loop: Header=BB48_4 Depth=1
	s_or_b32 exec_lo, exec_lo, s7
	v_add_f64_e64 v[74:75], -|v[14:15]|, 1.0
	s_mov_b32 s7, exec_lo
                                        ; implicit-def: $vgpr72_vgpr73
	s_delay_alu instid0(VALU_DEP_1)
	v_cmpx_ngt_f64_e32 0, v[74:75]
	s_xor_b32 s7, exec_lo, s7
	s_cbranch_execz .LBB48_27
; %bb.24:                               ;   in Loop: Header=BB48_4 Depth=1
	v_mov_b64_e32 v[72:73], v[70:71]
	s_mov_b32 s8, exec_lo
	v_cmpx_neq_f64_e32 0, v[74:75]
	s_cbranch_execz .LBB48_26
; %bb.25:                               ;   in Loop: Header=BB48_4 Depth=1
	v_mul_f64_e32 v[72:73], v[16:17], v[16:17]
	v_add_f64_e32 v[74:75], v[74:75], v[66:67]
	s_delay_alu instid0(VALU_DEP_1) | instskip(NEXT) | instid1(VALU_DEP_1)
	v_div_scale_f64 v[76:77], null, v[74:75], v[74:75], v[72:73]
	v_rcp_f64_e32 v[82:83], v[76:77]
	v_nop
	s_delay_alu instid0(TRANS32_DEP_1) | instskip(NEXT) | instid1(VALU_DEP_1)
	v_fma_f64 v[84:85], -v[76:77], v[82:83], 1.0
	v_fmac_f64_e32 v[82:83], v[82:83], v[84:85]
	s_delay_alu instid0(VALU_DEP_1) | instskip(NEXT) | instid1(VALU_DEP_1)
	v_fma_f64 v[84:85], -v[76:77], v[82:83], 1.0
	v_fmac_f64_e32 v[82:83], v[82:83], v[84:85]
	v_div_scale_f64 v[84:85], vcc_lo, v[72:73], v[74:75], v[72:73]
	s_delay_alu instid0(VALU_DEP_1) | instskip(NEXT) | instid1(VALU_DEP_1)
	v_mul_f64_e32 v[86:87], v[84:85], v[82:83]
	v_fma_f64 v[76:77], -v[76:77], v[86:87], v[84:85]
	s_delay_alu instid0(VALU_DEP_1) | instskip(NEXT) | instid1(VALU_DEP_1)
	v_div_fmas_f64 v[76:77], v[76:77], v[82:83], v[86:87]
	v_div_fixup_f64 v[72:73], v[76:77], v[74:75], v[72:73]
.LBB48_26:                              ;   in Loop: Header=BB48_4 Depth=1
	s_or_b32 exec_lo, exec_lo, s8
                                        ; implicit-def: $vgpr74_vgpr75
.LBB48_27:                              ;   in Loop: Header=BB48_4 Depth=1
	s_and_not1_saveexec_b32 s7, s7
; %bb.28:                               ;   in Loop: Header=BB48_4 Depth=1
	v_add_f64_e64 v[72:73], v[66:67], -v[74:75]
; %bb.29:                               ;   in Loop: Header=BB48_4 Depth=1
	s_or_b32 exec_lo, exec_lo, s7
	s_delay_alu instid0(VALU_DEP_1) | instskip(SKIP_1) | instid1(VALU_DEP_2)
	v_mul_f64_e32 v[72:73], 0.5, v[72:73]
	v_add_f64_e32 v[74:75], 1.0, v[62:63]
	v_fmac_f64_e32 v[72:73], 0.5, v[8:9]
	s_delay_alu instid0(VALU_DEP_1) | instskip(NEXT) | instid1(VALU_DEP_1)
	v_mul_f64_e32 v[8:9], v[74:75], v[72:73]
	v_cmp_gt_f64_e32 vcc_lo, 0x10000000, v[8:9]
	v_cndmask_b32_e64 v74, 0, 0x100, vcc_lo
	s_delay_alu instid0(VALU_DEP_1) | instskip(NEXT) | instid1(VALU_DEP_1)
	v_ldexp_f64 v[8:9], v[8:9], v74
	v_rsq_f64_e32 v[74:75], v[8:9]
	v_nop
	s_delay_alu instid0(TRANS32_DEP_1) | instskip(SKIP_1) | instid1(VALU_DEP_1)
	v_mul_f64_e32 v[76:77], v[8:9], v[74:75]
	v_mul_f64_e32 v[74:75], 0.5, v[74:75]
	v_fma_f64 v[82:83], -v[74:75], v[76:77], 0.5
	s_delay_alu instid0(VALU_DEP_1) | instskip(SKIP_1) | instid1(VALU_DEP_2)
	v_fmac_f64_e32 v[76:77], v[76:77], v[82:83]
	v_fmac_f64_e32 v[74:75], v[74:75], v[82:83]
	v_fma_f64 v[82:83], -v[76:77], v[76:77], v[8:9]
	s_delay_alu instid0(VALU_DEP_1) | instskip(NEXT) | instid1(VALU_DEP_1)
	v_fmac_f64_e32 v[76:77], v[82:83], v[74:75]
	v_fma_f64 v[82:83], -v[76:77], v[76:77], v[8:9]
	s_delay_alu instid0(VALU_DEP_1) | instskip(SKIP_2) | instid1(VALU_DEP_2)
	v_fmac_f64_e32 v[76:77], v[82:83], v[74:75]
	v_cndmask_b32_e64 v74, 0, 0xffffff80, vcc_lo
	v_cmp_class_f64_e64 vcc_lo, v[8:9], 0x260
	v_ldexp_f64 v[74:75], v[76:77], v74
	s_delay_alu instid0(VALU_DEP_1) | instskip(NEXT) | instid1(VALU_DEP_1)
	v_dual_cndmask_b32 v9, v75, v9 :: v_dual_cndmask_b32 v8, v74, v8
	v_add_f64_e32 v[72:73], v[72:73], v[8:9]
	s_delay_alu instid0(VALU_DEP_1) | instskip(SKIP_2) | instid1(VALU_DEP_3)
	v_add_f64_e32 v[8:9], 1.0, v[72:73]
	v_cmp_neq_f64_e64 s7, 0x7ff00000, v[72:73]
	v_cmp_ngt_f64_e64 s8, -1.0, v[72:73]
	v_frexp_mant_f64_e32 v[74:75], v[8:9]
	v_frexp_exp_i32_f64_e32 v81, v[8:9]
	v_add_f64_e32 v[76:77], -1.0, v[8:9]
	s_delay_alu instid0(VALU_DEP_3) | instskip(NEXT) | instid1(VALU_DEP_2)
	v_cmp_gt_f64_e32 vcc_lo, s[20:21], v[74:75]
	v_add_f64_e64 v[74:75], v[76:77], -v[8:9]
	v_add_f64_e64 v[76:77], v[72:73], -v[76:77]
	v_subrev_co_ci_u32_e64 v81, null, 0, v81, vcc_lo
	s_delay_alu instid0(VALU_DEP_3) | instskip(SKIP_1) | instid1(VALU_DEP_3)
	v_add_f64_e32 v[74:75], 1.0, v[74:75]
	v_cmp_nge_f64_e32 vcc_lo, -1.0, v[72:73]
	v_sub_nc_u32_e32 v84, 0, v81
	s_delay_alu instid0(VALU_DEP_1) | instskip(NEXT) | instid1(VALU_DEP_4)
	v_ldexp_f64 v[8:9], v[8:9], v84
	v_add_f64_e32 v[74:75], v[76:77], v[74:75]
	s_and_b32 vcc_lo, vcc_lo, s7
	s_delay_alu instid0(VALU_DEP_2) | instskip(SKIP_1) | instid1(VALU_DEP_3)
	v_add_f64_e32 v[82:83], 1.0, v[8:9]
	v_add_f64_e32 v[88:89], -1.0, v[8:9]
	v_ldexp_f64 v[74:75], v[74:75], v84
	s_delay_alu instid0(VALU_DEP_3) | instskip(NEXT) | instid1(VALU_DEP_3)
	v_add_f64_e32 v[76:77], -1.0, v[82:83]
	v_add_f64_e32 v[90:91], 1.0, v[88:89]
	s_delay_alu instid0(VALU_DEP_2) | instskip(NEXT) | instid1(VALU_DEP_2)
	v_add_f64_e64 v[76:77], v[8:9], -v[76:77]
	v_add_f64_e64 v[8:9], v[8:9], -v[90:91]
	s_delay_alu instid0(VALU_DEP_2) | instskip(NEXT) | instid1(VALU_DEP_2)
	v_add_f64_e32 v[76:77], v[74:75], v[76:77]
	v_add_f64_e32 v[8:9], v[74:75], v[8:9]
	s_delay_alu instid0(VALU_DEP_2) | instskip(NEXT) | instid1(VALU_DEP_2)
	v_add_f64_e32 v[84:85], v[82:83], v[76:77]
	v_add_f64_e32 v[90:91], v[88:89], v[8:9]
	s_delay_alu instid0(VALU_DEP_2) | instskip(SKIP_1) | instid1(VALU_DEP_2)
	v_rcp_f64_e32 v[86:87], v[84:85]
	v_add_f64_e64 v[82:83], v[84:85], -v[82:83]
	v_add_f64_e64 v[88:89], v[90:91], -v[88:89]
	s_delay_alu instid0(VALU_DEP_2) | instskip(NEXT) | instid1(VALU_DEP_2)
	v_add_f64_e64 v[76:77], v[76:77], -v[82:83]
	v_add_f64_e64 v[8:9], v[8:9], -v[88:89]
	s_delay_alu instid0(TRANS32_DEP_1) | instskip(NEXT) | instid1(VALU_DEP_1)
	v_fma_f64 v[92:93], -v[84:85], v[86:87], 1.0
	v_fmac_f64_e32 v[86:87], v[92:93], v[86:87]
	s_delay_alu instid0(VALU_DEP_1) | instskip(NEXT) | instid1(VALU_DEP_1)
	v_fma_f64 v[74:75], -v[84:85], v[86:87], 1.0
	v_fmac_f64_e32 v[86:87], v[74:75], v[86:87]
	s_delay_alu instid0(VALU_DEP_1) | instskip(NEXT) | instid1(VALU_DEP_1)
	v_mul_f64_e32 v[74:75], v[90:91], v[86:87]
	v_mul_f64_e32 v[92:93], v[84:85], v[74:75]
	s_delay_alu instid0(VALU_DEP_1) | instskip(NEXT) | instid1(VALU_DEP_1)
	v_fma_f64 v[82:83], v[74:75], v[84:85], -v[92:93]
	v_fmac_f64_e32 v[82:83], v[74:75], v[76:77]
	s_delay_alu instid0(VALU_DEP_1) | instskip(NEXT) | instid1(VALU_DEP_1)
	v_add_f64_e32 v[94:95], v[92:93], v[82:83]
	v_add_f64_e64 v[96:97], v[90:91], -v[94:95]
	v_add_f64_e64 v[88:89], v[94:95], -v[92:93]
	s_delay_alu instid0(VALU_DEP_2) | instskip(NEXT) | instid1(VALU_DEP_2)
	v_add_f64_e64 v[90:91], v[90:91], -v[96:97]
	v_add_f64_e64 v[82:83], v[88:89], -v[82:83]
	s_delay_alu instid0(VALU_DEP_2) | instskip(NEXT) | instid1(VALU_DEP_1)
	v_add_f64_e64 v[90:91], v[90:91], -v[94:95]
	v_add_f64_e32 v[8:9], v[8:9], v[90:91]
	s_delay_alu instid0(VALU_DEP_1) | instskip(NEXT) | instid1(VALU_DEP_1)
	v_add_f64_e32 v[8:9], v[82:83], v[8:9]
	v_add_f64_e32 v[82:83], v[96:97], v[8:9]
	s_delay_alu instid0(VALU_DEP_1) | instskip(SKIP_1) | instid1(VALU_DEP_2)
	v_mul_f64_e32 v[88:89], v[86:87], v[82:83]
	v_add_f64_e64 v[94:95], v[96:97], -v[82:83]
	v_mul_f64_e32 v[90:91], v[84:85], v[88:89]
	s_delay_alu instid0(VALU_DEP_2) | instskip(NEXT) | instid1(VALU_DEP_2)
	v_add_f64_e32 v[8:9], v[8:9], v[94:95]
	v_fma_f64 v[84:85], v[88:89], v[84:85], -v[90:91]
	s_delay_alu instid0(VALU_DEP_1) | instskip(NEXT) | instid1(VALU_DEP_1)
	v_fmac_f64_e32 v[84:85], v[88:89], v[76:77]
	v_add_f64_e32 v[76:77], v[90:91], v[84:85]
	s_delay_alu instid0(VALU_DEP_1) | instskip(SKIP_1) | instid1(VALU_DEP_2)
	v_add_f64_e64 v[92:93], v[82:83], -v[76:77]
	v_add_f64_e64 v[90:91], v[76:77], -v[90:91]
	;; [unrolled: 1-line block ×3, first 2 shown]
	s_delay_alu instid0(VALU_DEP_1) | instskip(NEXT) | instid1(VALU_DEP_3)
	v_add_f64_e64 v[76:77], v[82:83], -v[76:77]
	v_add_f64_e64 v[82:83], v[90:91], -v[84:85]
	s_delay_alu instid0(VALU_DEP_2) | instskip(SKIP_1) | instid1(VALU_DEP_2)
	v_add_f64_e32 v[8:9], v[8:9], v[76:77]
	v_add_f64_e32 v[76:77], v[74:75], v[88:89]
	;; [unrolled: 1-line block ×3, first 2 shown]
	s_delay_alu instid0(VALU_DEP_2) | instskip(NEXT) | instid1(VALU_DEP_2)
	v_add_f64_e64 v[74:75], v[76:77], -v[74:75]
	v_add_f64_e32 v[8:9], v[92:93], v[8:9]
	s_delay_alu instid0(VALU_DEP_2) | instskip(NEXT) | instid1(VALU_DEP_2)
	v_add_f64_e64 v[74:75], v[88:89], -v[74:75]
	v_mul_f64_e32 v[8:9], v[86:87], v[8:9]
	s_delay_alu instid0(VALU_DEP_1) | instskip(NEXT) | instid1(VALU_DEP_1)
	v_add_f64_e32 v[8:9], v[74:75], v[8:9]
	v_add_f64_e32 v[74:75], v[76:77], v[8:9]
	s_delay_alu instid0(VALU_DEP_1) | instskip(NEXT) | instid1(VALU_DEP_1)
	v_mul_f64_e32 v[82:83], v[74:75], v[74:75]
	v_fmamk_f64 v[84:85], v[82:83], 0x3fc3ab76bf559e2b, v[46:47]
	v_mul_f64_e32 v[86:87], v[74:75], v[82:83]
	s_delay_alu instid0(VALU_DEP_2) | instskip(NEXT) | instid1(VALU_DEP_1)
	v_fmaak_f64 v[84:85], v[82:83], v[84:85], 0x3fc7474dd7f4df2e
	v_fmaak_f64 v[84:85], v[82:83], v[84:85], 0x3fcc71c016291751
	s_delay_alu instid0(VALU_DEP_1) | instskip(NEXT) | instid1(VALU_DEP_1)
	v_fmaak_f64 v[84:85], v[82:83], v[84:85], 0x3fd249249b27acf1
	v_fmaak_f64 v[84:85], v[82:83], v[84:85], 0x3fd99999998ef7b6
	s_delay_alu instid0(VALU_DEP_1) | instskip(SKIP_2) | instid1(VALU_DEP_3)
	v_fmaak_f64 v[82:83], v[82:83], v[84:85], 0x3fe5555555555780
	v_ldexp_f64 v[84:85], v[74:75], 1
	v_add_f64_e64 v[74:75], v[74:75], -v[76:77]
	v_mul_f64_e32 v[82:83], v[86:87], v[82:83]
	v_cvt_f64_i32_e32 v[86:87], v81
	s_delay_alu instid0(VALU_DEP_3) | instskip(NEXT) | instid1(VALU_DEP_3)
	v_add_f64_e64 v[8:9], v[8:9], -v[74:75]
	v_add_f64_e32 v[76:77], v[84:85], v[82:83]
	s_delay_alu instid0(VALU_DEP_3) | instskip(NEXT) | instid1(VALU_DEP_3)
	v_mul_f64_e32 v[88:89], 0x3fe62e42fefa39ef, v[86:87]
	v_ldexp_f64 v[8:9], v[8:9], 1
	s_delay_alu instid0(VALU_DEP_3) | instskip(NEXT) | instid1(VALU_DEP_3)
	v_add_f64_e64 v[74:75], v[76:77], -v[84:85]
	v_fma_f64 v[84:85], v[86:87], s[22:23], -v[88:89]
	s_delay_alu instid0(VALU_DEP_2) | instskip(NEXT) | instid1(VALU_DEP_2)
	v_add_f64_e64 v[74:75], v[82:83], -v[74:75]
	v_fmac_f64_e32 v[84:85], 0x3c7abc9e3b39803f, v[86:87]
	s_delay_alu instid0(VALU_DEP_2) | instskip(NEXT) | instid1(VALU_DEP_2)
	v_add_f64_e32 v[8:9], v[8:9], v[74:75]
	v_add_f64_e32 v[74:75], v[88:89], v[84:85]
	s_delay_alu instid0(VALU_DEP_2) | instskip(NEXT) | instid1(VALU_DEP_2)
	v_add_f64_e32 v[82:83], v[76:77], v[8:9]
	v_add_f64_e64 v[88:89], v[74:75], -v[88:89]
	s_delay_alu instid0(VALU_DEP_2) | instskip(SKIP_1) | instid1(VALU_DEP_3)
	v_add_f64_e32 v[86:87], v[74:75], v[82:83]
	v_add_f64_e64 v[76:77], v[82:83], -v[76:77]
	v_add_f64_e64 v[84:85], v[84:85], -v[88:89]
	s_delay_alu instid0(VALU_DEP_3) | instskip(NEXT) | instid1(VALU_DEP_3)
	v_add_f64_e64 v[90:91], v[86:87], -v[74:75]
	v_add_f64_e64 v[8:9], v[8:9], -v[76:77]
	s_delay_alu instid0(VALU_DEP_2) | instskip(SKIP_1) | instid1(VALU_DEP_3)
	v_add_f64_e64 v[92:93], v[86:87], -v[90:91]
	v_add_f64_e64 v[76:77], v[82:83], -v[90:91]
	v_add_f64_e32 v[82:83], v[84:85], v[8:9]
	s_delay_alu instid0(VALU_DEP_3) | instskip(NEXT) | instid1(VALU_DEP_1)
	v_add_f64_e64 v[74:75], v[74:75], -v[92:93]
	v_add_f64_e32 v[74:75], v[76:77], v[74:75]
	s_delay_alu instid0(VALU_DEP_3) | instskip(NEXT) | instid1(VALU_DEP_2)
	v_add_f64_e64 v[76:77], v[82:83], -v[84:85]
	v_add_f64_e32 v[74:75], v[82:83], v[74:75]
	s_delay_alu instid0(VALU_DEP_2) | instskip(SKIP_1) | instid1(VALU_DEP_3)
	v_add_f64_e64 v[82:83], v[82:83], -v[76:77]
	v_add_f64_e64 v[8:9], v[8:9], -v[76:77]
	v_add_f64_e32 v[88:89], v[86:87], v[74:75]
	s_delay_alu instid0(VALU_DEP_3) | instskip(NEXT) | instid1(VALU_DEP_2)
	v_add_f64_e64 v[82:83], v[84:85], -v[82:83]
	v_add_f64_e64 v[76:77], v[88:89], -v[86:87]
	s_delay_alu instid0(VALU_DEP_2) | instskip(NEXT) | instid1(VALU_DEP_2)
	v_add_f64_e32 v[8:9], v[8:9], v[82:83]
	v_add_f64_e64 v[74:75], v[74:75], -v[76:77]
	s_delay_alu instid0(VALU_DEP_1) | instskip(NEXT) | instid1(VALU_DEP_1)
	v_add_f64_e32 v[8:9], v[8:9], v[74:75]
	v_add_f64_e32 v[8:9], v[88:89], v[8:9]
	s_delay_alu instid0(VALU_DEP_1) | instskip(SKIP_1) | instid1(VALU_DEP_3)
	v_cndmask_b32_e32 v8, 0, v8, vcc_lo
	v_cmp_neq_f64_e32 vcc_lo, -1.0, v[72:73]
	v_cndmask_b32_e64 v9, 0x7ff00000, v9, s7
	s_delay_alu instid0(VALU_DEP_1) | instskip(NEXT) | instid1(VALU_DEP_1)
	v_cndmask_b32_e64 v9, 0x7ff80000, v9, s8
	v_cndmask_b32_e32 v9, 0xfff00000, v9, vcc_lo
.LBB48_30:                              ;   in Loop: Header=BB48_4 Depth=1
	s_and_not1_saveexec_b32 s50, s50
	s_cbranch_execz .LBB48_36
; %bb.31:                               ;   in Loop: Header=BB48_4 Depth=1
                                        ; implicit-def: $vgpr8_vgpr9
	s_mov_b32 s8, exec_lo
	v_cmpx_nlt_f64_e64 |v[14:15]|, 1.0
	s_xor_b32 s51, exec_lo, s8
	s_cbranch_execz .LBB48_33
; %bb.32:                               ;   in Loop: Header=BB48_4 Depth=1
	v_mul_f64_e32 v[8:9], v[6:7], v[64:65]
	s_delay_alu instid0(VALU_DEP_1) | instskip(SKIP_1) | instid1(VALU_DEP_1)
	v_cmp_gt_f64_e32 vcc_lo, 0x10000000, v[8:9]
	v_cndmask_b32_e64 v72, 0, 0x100, vcc_lo
	v_ldexp_f64 v[8:9], v[8:9], v72
	s_delay_alu instid0(VALU_DEP_1) | instskip(SKIP_1) | instid1(TRANS32_DEP_1)
	v_rsq_f64_e32 v[72:73], v[8:9]
	v_nop
	v_mul_f64_e32 v[74:75], v[8:9], v[72:73]
	v_mul_f64_e32 v[72:73], 0.5, v[72:73]
	s_delay_alu instid0(VALU_DEP_1) | instskip(NEXT) | instid1(VALU_DEP_1)
	v_fma_f64 v[76:77], -v[72:73], v[74:75], 0.5
	v_fmac_f64_e32 v[74:75], v[74:75], v[76:77]
	v_fmac_f64_e32 v[72:73], v[72:73], v[76:77]
	s_delay_alu instid0(VALU_DEP_2) | instskip(NEXT) | instid1(VALU_DEP_1)
	v_fma_f64 v[76:77], -v[74:75], v[74:75], v[8:9]
	v_fmac_f64_e32 v[74:75], v[76:77], v[72:73]
	s_delay_alu instid0(VALU_DEP_1) | instskip(NEXT) | instid1(VALU_DEP_1)
	v_fma_f64 v[76:77], -v[74:75], v[74:75], v[8:9]
	v_fmac_f64_e32 v[74:75], v[76:77], v[72:73]
	v_cndmask_b32_e64 v72, 0, 0xffffff80, vcc_lo
	v_cmp_class_f64_e64 vcc_lo, v[8:9], 0x260
	s_delay_alu instid0(VALU_DEP_2) | instskip(NEXT) | instid1(VALU_DEP_1)
	v_ldexp_f64 v[72:73], v[74:75], v72
	v_dual_cndmask_b32 v9, v73, v9 :: v_dual_cndmask_b32 v8, v72, v8
	s_delay_alu instid0(VALU_DEP_1) | instskip(NEXT) | instid1(VALU_DEP_1)
	v_add_f64_e32 v[72:73], v[6:7], v[8:9]
	v_add_f64_e32 v[8:9], 1.0, v[72:73]
	v_cmp_neq_f64_e64 s7, 0x7ff00000, v[72:73]
	v_cmp_ngt_f64_e64 s8, -1.0, v[72:73]
	s_delay_alu instid0(VALU_DEP_3) | instskip(SKIP_2) | instid1(VALU_DEP_3)
	v_frexp_mant_f64_e32 v[74:75], v[8:9]
	v_add_f64_e32 v[76:77], -1.0, v[8:9]
	v_frexp_exp_i32_f64_e32 v81, v[8:9]
	v_cmp_gt_f64_e32 vcc_lo, s[20:21], v[74:75]
	s_delay_alu instid0(VALU_DEP_3) | instskip(SKIP_1) | instid1(VALU_DEP_4)
	v_add_f64_e64 v[74:75], v[76:77], -v[8:9]
	v_add_f64_e64 v[76:77], v[72:73], -v[76:77]
	v_subrev_co_ci_u32_e64 v81, null, 0, v81, vcc_lo
	v_cmp_nge_f64_e32 vcc_lo, -1.0, v[72:73]
	s_delay_alu instid0(VALU_DEP_2) | instskip(NEXT) | instid1(VALU_DEP_1)
	v_dual_add_f64 v[74:75], 1.0, v[74:75] :: v_dual_sub_nc_u32 v84, 0, v81
	v_ldexp_f64 v[8:9], v[8:9], v84
	s_and_b32 vcc_lo, vcc_lo, s7
	s_delay_alu instid0(VALU_DEP_2) | instskip(NEXT) | instid1(VALU_DEP_2)
	v_add_f64_e32 v[74:75], v[76:77], v[74:75]
	v_add_f64_e32 v[82:83], 1.0, v[8:9]
	v_add_f64_e32 v[88:89], -1.0, v[8:9]
	s_delay_alu instid0(VALU_DEP_3) | instskip(NEXT) | instid1(VALU_DEP_3)
	v_ldexp_f64 v[74:75], v[74:75], v84
	v_add_f64_e32 v[76:77], -1.0, v[82:83]
	s_delay_alu instid0(VALU_DEP_3) | instskip(NEXT) | instid1(VALU_DEP_2)
	v_add_f64_e32 v[90:91], 1.0, v[88:89]
	v_add_f64_e64 v[76:77], v[8:9], -v[76:77]
	s_delay_alu instid0(VALU_DEP_2) | instskip(NEXT) | instid1(VALU_DEP_2)
	v_add_f64_e64 v[8:9], v[8:9], -v[90:91]
	v_add_f64_e32 v[76:77], v[74:75], v[76:77]
	s_delay_alu instid0(VALU_DEP_2) | instskip(NEXT) | instid1(VALU_DEP_2)
	v_add_f64_e32 v[8:9], v[74:75], v[8:9]
	v_add_f64_e32 v[84:85], v[82:83], v[76:77]
	s_delay_alu instid0(VALU_DEP_2) | instskip(NEXT) | instid1(VALU_DEP_2)
	v_add_f64_e32 v[90:91], v[88:89], v[8:9]
	v_rcp_f64_e32 v[86:87], v[84:85]
	v_add_f64_e64 v[82:83], v[84:85], -v[82:83]
	s_delay_alu instid0(VALU_DEP_2) | instskip(NEXT) | instid1(VALU_DEP_2)
	v_add_f64_e64 v[88:89], v[90:91], -v[88:89]
	v_add_f64_e64 v[76:77], v[76:77], -v[82:83]
	s_delay_alu instid0(VALU_DEP_2) | instskip(NEXT) | instid1(TRANS32_DEP_1)
	v_add_f64_e64 v[8:9], v[8:9], -v[88:89]
	v_fma_f64 v[92:93], -v[84:85], v[86:87], 1.0
	s_delay_alu instid0(VALU_DEP_1) | instskip(NEXT) | instid1(VALU_DEP_1)
	v_fmac_f64_e32 v[86:87], v[92:93], v[86:87]
	v_fma_f64 v[74:75], -v[84:85], v[86:87], 1.0
	s_delay_alu instid0(VALU_DEP_1) | instskip(NEXT) | instid1(VALU_DEP_1)
	v_fmac_f64_e32 v[86:87], v[74:75], v[86:87]
	v_mul_f64_e32 v[74:75], v[90:91], v[86:87]
	s_delay_alu instid0(VALU_DEP_1) | instskip(NEXT) | instid1(VALU_DEP_1)
	v_mul_f64_e32 v[92:93], v[84:85], v[74:75]
	v_fma_f64 v[82:83], v[74:75], v[84:85], -v[92:93]
	s_delay_alu instid0(VALU_DEP_1) | instskip(NEXT) | instid1(VALU_DEP_1)
	v_fmac_f64_e32 v[82:83], v[74:75], v[76:77]
	v_add_f64_e32 v[94:95], v[92:93], v[82:83]
	s_delay_alu instid0(VALU_DEP_1) | instskip(SKIP_1) | instid1(VALU_DEP_2)
	v_add_f64_e64 v[96:97], v[90:91], -v[94:95]
	v_add_f64_e64 v[88:89], v[94:95], -v[92:93]
	v_add_f64_e64 v[90:91], v[90:91], -v[96:97]
	s_delay_alu instid0(VALU_DEP_2) | instskip(NEXT) | instid1(VALU_DEP_2)
	v_add_f64_e64 v[82:83], v[88:89], -v[82:83]
	v_add_f64_e64 v[90:91], v[90:91], -v[94:95]
	s_delay_alu instid0(VALU_DEP_1) | instskip(NEXT) | instid1(VALU_DEP_1)
	v_add_f64_e32 v[8:9], v[8:9], v[90:91]
	v_add_f64_e32 v[8:9], v[82:83], v[8:9]
	s_delay_alu instid0(VALU_DEP_1) | instskip(NEXT) | instid1(VALU_DEP_1)
	v_add_f64_e32 v[82:83], v[96:97], v[8:9]
	v_mul_f64_e32 v[88:89], v[86:87], v[82:83]
	v_add_f64_e64 v[94:95], v[96:97], -v[82:83]
	s_delay_alu instid0(VALU_DEP_2) | instskip(NEXT) | instid1(VALU_DEP_2)
	v_mul_f64_e32 v[90:91], v[84:85], v[88:89]
	v_add_f64_e32 v[8:9], v[8:9], v[94:95]
	s_delay_alu instid0(VALU_DEP_2) | instskip(NEXT) | instid1(VALU_DEP_1)
	v_fma_f64 v[84:85], v[88:89], v[84:85], -v[90:91]
	v_fmac_f64_e32 v[84:85], v[88:89], v[76:77]
	s_delay_alu instid0(VALU_DEP_1) | instskip(NEXT) | instid1(VALU_DEP_1)
	v_add_f64_e32 v[76:77], v[90:91], v[84:85]
	v_add_f64_e64 v[92:93], v[82:83], -v[76:77]
	v_add_f64_e64 v[90:91], v[76:77], -v[90:91]
	s_delay_alu instid0(VALU_DEP_2) | instskip(NEXT) | instid1(VALU_DEP_1)
	v_add_f64_e64 v[82:83], v[82:83], -v[92:93]
	v_add_f64_e64 v[76:77], v[82:83], -v[76:77]
	s_delay_alu instid0(VALU_DEP_3) | instskip(NEXT) | instid1(VALU_DEP_2)
	v_add_f64_e64 v[82:83], v[90:91], -v[84:85]
	v_add_f64_e32 v[8:9], v[8:9], v[76:77]
	v_add_f64_e32 v[76:77], v[74:75], v[88:89]
	s_delay_alu instid0(VALU_DEP_2) | instskip(NEXT) | instid1(VALU_DEP_2)
	v_add_f64_e32 v[8:9], v[82:83], v[8:9]
	v_add_f64_e64 v[74:75], v[76:77], -v[74:75]
	s_delay_alu instid0(VALU_DEP_2) | instskip(NEXT) | instid1(VALU_DEP_2)
	v_add_f64_e32 v[8:9], v[92:93], v[8:9]
	v_add_f64_e64 v[74:75], v[88:89], -v[74:75]
	s_delay_alu instid0(VALU_DEP_2) | instskip(NEXT) | instid1(VALU_DEP_1)
	v_mul_f64_e32 v[8:9], v[86:87], v[8:9]
	v_add_f64_e32 v[8:9], v[74:75], v[8:9]
	s_delay_alu instid0(VALU_DEP_1) | instskip(NEXT) | instid1(VALU_DEP_1)
	v_add_f64_e32 v[74:75], v[76:77], v[8:9]
	v_mul_f64_e32 v[82:83], v[74:75], v[74:75]
	s_delay_alu instid0(VALU_DEP_1) | instskip(SKIP_1) | instid1(VALU_DEP_2)
	v_fmamk_f64 v[84:85], v[82:83], 0x3fc3ab76bf559e2b, v[46:47]
	v_mul_f64_e32 v[86:87], v[74:75], v[82:83]
	v_fmaak_f64 v[84:85], v[82:83], v[84:85], 0x3fc7474dd7f4df2e
	s_delay_alu instid0(VALU_DEP_1) | instskip(NEXT) | instid1(VALU_DEP_1)
	v_fmaak_f64 v[84:85], v[82:83], v[84:85], 0x3fcc71c016291751
	v_fmaak_f64 v[84:85], v[82:83], v[84:85], 0x3fd249249b27acf1
	s_delay_alu instid0(VALU_DEP_1) | instskip(NEXT) | instid1(VALU_DEP_1)
	v_fmaak_f64 v[84:85], v[82:83], v[84:85], 0x3fd99999998ef7b6
	v_fmaak_f64 v[82:83], v[82:83], v[84:85], 0x3fe5555555555780
	v_ldexp_f64 v[84:85], v[74:75], 1
	v_add_f64_e64 v[74:75], v[74:75], -v[76:77]
	s_delay_alu instid0(VALU_DEP_3) | instskip(SKIP_1) | instid1(VALU_DEP_3)
	v_mul_f64_e32 v[82:83], v[86:87], v[82:83]
	v_cvt_f64_i32_e32 v[86:87], v81
	v_add_f64_e64 v[8:9], v[8:9], -v[74:75]
	s_delay_alu instid0(VALU_DEP_3) | instskip(NEXT) | instid1(VALU_DEP_3)
	v_add_f64_e32 v[76:77], v[84:85], v[82:83]
	v_mul_f64_e32 v[88:89], 0x3fe62e42fefa39ef, v[86:87]
	s_delay_alu instid0(VALU_DEP_3) | instskip(NEXT) | instid1(VALU_DEP_3)
	v_ldexp_f64 v[8:9], v[8:9], 1
	v_add_f64_e64 v[74:75], v[76:77], -v[84:85]
	s_delay_alu instid0(VALU_DEP_3) | instskip(NEXT) | instid1(VALU_DEP_2)
	v_fma_f64 v[84:85], v[86:87], s[22:23], -v[88:89]
	v_add_f64_e64 v[74:75], v[82:83], -v[74:75]
	s_delay_alu instid0(VALU_DEP_2) | instskip(NEXT) | instid1(VALU_DEP_2)
	v_fmac_f64_e32 v[84:85], 0x3c7abc9e3b39803f, v[86:87]
	v_add_f64_e32 v[8:9], v[8:9], v[74:75]
	s_delay_alu instid0(VALU_DEP_2) | instskip(NEXT) | instid1(VALU_DEP_2)
	v_add_f64_e32 v[74:75], v[88:89], v[84:85]
	v_add_f64_e32 v[82:83], v[76:77], v[8:9]
	s_delay_alu instid0(VALU_DEP_2) | instskip(NEXT) | instid1(VALU_DEP_2)
	v_add_f64_e64 v[88:89], v[74:75], -v[88:89]
	v_add_f64_e32 v[86:87], v[74:75], v[82:83]
	v_add_f64_e64 v[76:77], v[82:83], -v[76:77]
	s_delay_alu instid0(VALU_DEP_3) | instskip(NEXT) | instid1(VALU_DEP_3)
	v_add_f64_e64 v[84:85], v[84:85], -v[88:89]
	v_add_f64_e64 v[90:91], v[86:87], -v[74:75]
	s_delay_alu instid0(VALU_DEP_3) | instskip(NEXT) | instid1(VALU_DEP_2)
	v_add_f64_e64 v[8:9], v[8:9], -v[76:77]
	v_add_f64_e64 v[92:93], v[86:87], -v[90:91]
	;; [unrolled: 1-line block ×3, first 2 shown]
	s_delay_alu instid0(VALU_DEP_3) | instskip(NEXT) | instid1(VALU_DEP_3)
	v_add_f64_e32 v[82:83], v[84:85], v[8:9]
	v_add_f64_e64 v[74:75], v[74:75], -v[92:93]
	s_delay_alu instid0(VALU_DEP_1) | instskip(NEXT) | instid1(VALU_DEP_3)
	v_add_f64_e32 v[74:75], v[76:77], v[74:75]
	v_add_f64_e64 v[76:77], v[82:83], -v[84:85]
	s_delay_alu instid0(VALU_DEP_2) | instskip(NEXT) | instid1(VALU_DEP_2)
	v_add_f64_e32 v[74:75], v[82:83], v[74:75]
	v_add_f64_e64 v[82:83], v[82:83], -v[76:77]
	v_add_f64_e64 v[8:9], v[8:9], -v[76:77]
	s_delay_alu instid0(VALU_DEP_3) | instskip(NEXT) | instid1(VALU_DEP_3)
	v_add_f64_e32 v[88:89], v[86:87], v[74:75]
	v_add_f64_e64 v[82:83], v[84:85], -v[82:83]
	s_delay_alu instid0(VALU_DEP_2) | instskip(NEXT) | instid1(VALU_DEP_2)
	v_add_f64_e64 v[76:77], v[88:89], -v[86:87]
	v_add_f64_e32 v[8:9], v[8:9], v[82:83]
	s_delay_alu instid0(VALU_DEP_2) | instskip(NEXT) | instid1(VALU_DEP_1)
	v_add_f64_e64 v[74:75], v[74:75], -v[76:77]
	v_add_f64_e32 v[8:9], v[8:9], v[74:75]
	s_delay_alu instid0(VALU_DEP_1) | instskip(NEXT) | instid1(VALU_DEP_1)
	v_add_f64_e32 v[8:9], v[88:89], v[8:9]
	v_cndmask_b32_e32 v8, 0, v8, vcc_lo
	v_cmp_neq_f64_e32 vcc_lo, -1.0, v[72:73]
	s_delay_alu instid0(VALU_DEP_3) | instskip(NEXT) | instid1(VALU_DEP_1)
	v_cndmask_b32_e64 v9, 0x7ff00000, v9, s7
	v_cndmask_b32_e64 v9, 0x7ff80000, v9, s8
	s_delay_alu instid0(VALU_DEP_1)
	v_cndmask_b32_e32 v9, 0xfff00000, v9, vcc_lo
.LBB48_33:                              ;   in Loop: Header=BB48_4 Depth=1
	s_and_not1_saveexec_b32 s7, s51
	s_cbranch_execz .LBB48_35
; %bb.34:                               ;   in Loop: Header=BB48_4 Depth=1
	v_add_f64_e64 v[8:9], -|v[14:15]|, 1.0
	s_delay_alu instid0(VALU_DEP_1) | instskip(NEXT) | instid1(VALU_DEP_1)
	v_mul_f64_e32 v[8:9], v[8:9], v[64:65]
	v_cmp_gt_f64_e32 vcc_lo, 0x10000000, v[8:9]
	v_cndmask_b32_e64 v72, 0, 0x100, vcc_lo
	s_delay_alu instid0(VALU_DEP_1) | instskip(NEXT) | instid1(VALU_DEP_1)
	v_ldexp_f64 v[8:9], v[8:9], v72
	v_rsq_f64_e32 v[72:73], v[8:9]
	v_nop
	s_delay_alu instid0(TRANS32_DEP_1) | instskip(SKIP_1) | instid1(VALU_DEP_1)
	v_mul_f64_e32 v[74:75], v[8:9], v[72:73]
	v_mul_f64_e32 v[72:73], 0.5, v[72:73]
	v_fma_f64 v[76:77], -v[72:73], v[74:75], 0.5
	s_delay_alu instid0(VALU_DEP_1) | instskip(SKIP_1) | instid1(VALU_DEP_2)
	v_fmac_f64_e32 v[74:75], v[74:75], v[76:77]
	v_fmac_f64_e32 v[72:73], v[72:73], v[76:77]
	v_fma_f64 v[76:77], -v[74:75], v[74:75], v[8:9]
	s_delay_alu instid0(VALU_DEP_1) | instskip(NEXT) | instid1(VALU_DEP_1)
	v_fmac_f64_e32 v[74:75], v[76:77], v[72:73]
	v_fma_f64 v[76:77], -v[74:75], v[74:75], v[8:9]
	s_delay_alu instid0(VALU_DEP_1) | instskip(SKIP_2) | instid1(VALU_DEP_2)
	v_fmac_f64_e32 v[74:75], v[76:77], v[72:73]
	v_cndmask_b32_e64 v72, 0, 0xffffff80, vcc_lo
	v_cmp_class_f64_e64 vcc_lo, v[8:9], 0x260
	v_ldexp_f64 v[72:73], v[74:75], v72
	v_dual_mov_b32 v74, v16 :: v_dual_mov_b32 v75, v71
	s_delay_alu instid0(VALU_DEP_2) | instskip(NEXT) | instid1(VALU_DEP_1)
	v_dual_cndmask_b32 v9, v73, v9 :: v_dual_cndmask_b32 v8, v72, v8
	v_div_scale_f64 v[72:73], null, v[8:9], v[8:9], v[74:75]
	v_div_scale_f64 v[74:75], vcc_lo, v[74:75], v[8:9], v[74:75]
	s_delay_alu instid0(VALU_DEP_2) | instskip(SKIP_1) | instid1(TRANS32_DEP_1)
	v_rcp_f64_e32 v[76:77], v[72:73]
	v_nop
	v_fma_f64 v[82:83], -v[72:73], v[76:77], 1.0
	s_delay_alu instid0(VALU_DEP_1) | instskip(NEXT) | instid1(VALU_DEP_1)
	v_fmac_f64_e32 v[76:77], v[76:77], v[82:83]
	v_fma_f64 v[82:83], -v[72:73], v[76:77], 1.0
	s_delay_alu instid0(VALU_DEP_1) | instskip(NEXT) | instid1(VALU_DEP_1)
	v_fmac_f64_e32 v[76:77], v[76:77], v[82:83]
	v_mul_f64_e32 v[82:83], v[74:75], v[76:77]
	s_delay_alu instid0(VALU_DEP_1) | instskip(NEXT) | instid1(VALU_DEP_1)
	v_fma_f64 v[72:73], -v[72:73], v[82:83], v[74:75]
	v_div_fmas_f64 v[72:73], v[72:73], v[76:77], v[82:83]
	s_delay_alu instid0(VALU_DEP_1)
	v_div_fixup_f64 v[8:9], v[72:73], v[8:9], |v[16:17]|
.LBB48_35:                              ;   in Loop: Header=BB48_4 Depth=1
	s_or_b32 exec_lo, exec_lo, s7
.LBB48_36:                              ;   in Loop: Header=BB48_4 Depth=1
	s_delay_alu instid0(SALU_CYCLE_1)
	s_or_b32 exec_lo, exec_lo, s50
.LBB48_37:                              ;   in Loop: Header=BB48_4 Depth=1
	s_and_not1_saveexec_b32 s7, s49
	s_cbranch_execz .LBB48_39
; %bb.38:                               ;   in Loop: Header=BB48_4 Depth=1
	v_cmp_gt_f64_e64 s8, 0x10000000, |v[16:17]|
	s_delay_alu instid0(VALU_DEP_1) | instskip(NEXT) | instid1(VALU_DEP_1)
	v_cndmask_b32_e64 v8, 0, 0x100, s8
	v_ldexp_f64 v[8:9], |v[16:17]|, v8
	s_delay_alu instid0(VALU_DEP_1) | instskip(SKIP_1) | instid1(TRANS32_DEP_1)
	v_rsq_f64_e32 v[72:73], v[8:9]
	v_cmp_class_f64_e64 vcc_lo, v[8:9], 0x260
	v_mul_f64_e32 v[74:75], v[8:9], v[72:73]
	v_mul_f64_e32 v[72:73], 0.5, v[72:73]
	s_delay_alu instid0(VALU_DEP_1) | instskip(NEXT) | instid1(VALU_DEP_1)
	v_fma_f64 v[76:77], -v[72:73], v[74:75], 0.5
	v_fmac_f64_e32 v[74:75], v[74:75], v[76:77]
	v_fmac_f64_e32 v[72:73], v[72:73], v[76:77]
	s_delay_alu instid0(VALU_DEP_2) | instskip(NEXT) | instid1(VALU_DEP_1)
	v_fma_f64 v[76:77], -v[74:75], v[74:75], v[8:9]
	v_fmac_f64_e32 v[74:75], v[76:77], v[72:73]
	s_delay_alu instid0(VALU_DEP_1) | instskip(NEXT) | instid1(VALU_DEP_1)
	v_fma_f64 v[76:77], -v[74:75], v[74:75], v[8:9]
	v_fmac_f64_e32 v[74:75], v[76:77], v[72:73]
	v_cndmask_b32_e64 v72, 0, 0xffffff80, s8
	s_delay_alu instid0(VALU_DEP_1) | instskip(NEXT) | instid1(VALU_DEP_1)
	v_ldexp_f64 v[72:73], v[74:75], v72
	v_dual_cndmask_b32 v9, v73, v9 :: v_dual_cndmask_b32 v8, v72, v8
.LBB48_39:                              ;   in Loop: Header=BB48_4 Depth=1
	s_or_b32 exec_lo, exec_lo, s7
.LBB48_40:                              ;   in Loop: Header=BB48_4 Depth=1
	s_delay_alu instid0(SALU_CYCLE_1) | instskip(SKIP_2) | instid1(SALU_CYCLE_1)
	s_or_b32 exec_lo, exec_lo, s48
	v_cmp_ngt_f64_e64 s8, 0x20200000, |v[14:15]|
                                        ; implicit-def: $sgpr7
                                        ; implicit-def: $vgpr72_vgpr73
                                        ; implicit-def: $vgpr76_vgpr77
                                        ; implicit-def: $vgpr74_vgpr75
	s_and_saveexec_b32 s48, s8
	s_xor_b32 s8, exec_lo, s48
	s_cbranch_execz .LBB48_64
; %bb.41:                               ;   in Loop: Header=BB48_4 Depth=1
	v_and_b32_e32 v75, 0x7fffffff, v15
	v_mov_b32_e32 v74, v14
	s_mov_b32 s7, 0
	s_mov_b32 s48, exec_lo
	s_delay_alu instid0(VALU_DEP_1) | instskip(NEXT) | instid1(VALU_DEP_1)
	v_div_scale_f64 v[72:73], null, v[62:63], v[62:63], v[74:75]
	v_rcp_f64_e32 v[76:77], v[72:73]
	v_nop
	s_delay_alu instid0(TRANS32_DEP_1) | instskip(NEXT) | instid1(VALU_DEP_1)
	v_fma_f64 v[82:83], -v[72:73], v[76:77], 1.0
	v_fmac_f64_e32 v[76:77], v[76:77], v[82:83]
	s_delay_alu instid0(VALU_DEP_1) | instskip(NEXT) | instid1(VALU_DEP_1)
	v_fma_f64 v[82:83], -v[72:73], v[76:77], 1.0
	v_fmac_f64_e32 v[76:77], v[76:77], v[82:83]
	v_div_scale_f64 v[82:83], vcc_lo, v[74:75], v[62:63], v[74:75]
	s_delay_alu instid0(VALU_DEP_1) | instskip(NEXT) | instid1(VALU_DEP_1)
	v_mul_f64_e32 v[84:85], v[82:83], v[76:77]
	v_fma_f64 v[72:73], -v[72:73], v[84:85], v[82:83]
	s_delay_alu instid0(VALU_DEP_1) | instskip(NEXT) | instid1(VALU_DEP_1)
	v_div_fmas_f64 v[72:73], v[72:73], v[76:77], v[84:85]
                                        ; implicit-def: $vgpr76_vgpr77
	v_div_fixup_f64 v[72:73], v[72:73], v[62:63], |v[14:15]|
	s_delay_alu instid0(VALU_DEP_1)
	v_cmpx_lt_f64_e32 s[24:25], v[72:73]
	s_cbranch_execz .LBB48_63
; %bb.42:                               ;   in Loop: Header=BB48_4 Depth=1
	v_cmp_neq_f64_e64 s7, |v[14:15]|, 1.0
	v_cmp_ngt_f64_e64 s49, 0x3c400000, |v[16:17]|
                                        ; implicit-def: $vgpr76_vgpr77
	s_or_b32 s7, s49, s7
	s_delay_alu instid0(SALU_CYCLE_1) | instskip(NEXT) | instid1(SALU_CYCLE_1)
	s_and_saveexec_b32 s49, s7
	s_xor_b32 s7, exec_lo, s49
	s_cbranch_execz .LBB48_60
; %bb.43:                               ;   in Loop: Header=BB48_4 Depth=1
	v_ldexp_f64 v[76:77], |v[6:7]|, 0xffffffcc
	s_delay_alu instid0(VALU_DEP_1) | instskip(SKIP_1) | instid1(SALU_CYCLE_1)
	v_cmp_ge_f64_e64 s49, |v[16:17]|, v[76:77]
                                        ; implicit-def: $vgpr76_vgpr77
	s_and_saveexec_b32 s50, s49
	s_xor_b32 s49, exec_lo, s50
	s_cbranch_execz .LBB48_53
; %bb.44:                               ;   in Loop: Header=BB48_4 Depth=1
	v_mov_b64_e32 v[76:77], v[70:71]
	s_mov_b32 s50, exec_lo
	v_cmpx_neq_f64_e32 0, v[64:65]
	s_cbranch_execz .LBB48_46
; %bb.45:                               ;   in Loop: Header=BB48_4 Depth=1
	v_mul_f64_e32 v[76:77], v[16:17], v[16:17]
	v_add_f64_e32 v[64:65], v[64:65], v[68:69]
	s_delay_alu instid0(VALU_DEP_1) | instskip(NEXT) | instid1(VALU_DEP_1)
	v_div_scale_f64 v[68:69], null, v[64:65], v[64:65], v[76:77]
	v_rcp_f64_e32 v[82:83], v[68:69]
	v_nop
	s_delay_alu instid0(TRANS32_DEP_1) | instskip(NEXT) | instid1(VALU_DEP_1)
	v_fma_f64 v[84:85], -v[68:69], v[82:83], 1.0
	v_fmac_f64_e32 v[82:83], v[82:83], v[84:85]
	s_delay_alu instid0(VALU_DEP_1) | instskip(NEXT) | instid1(VALU_DEP_1)
	v_fma_f64 v[84:85], -v[68:69], v[82:83], 1.0
	v_fmac_f64_e32 v[82:83], v[82:83], v[84:85]
	v_div_scale_f64 v[84:85], vcc_lo, v[76:77], v[64:65], v[76:77]
	s_delay_alu instid0(VALU_DEP_1) | instskip(NEXT) | instid1(VALU_DEP_1)
	v_mul_f64_e32 v[86:87], v[84:85], v[82:83]
	v_fma_f64 v[68:69], -v[68:69], v[86:87], v[84:85]
	s_delay_alu instid0(VALU_DEP_1) | instskip(NEXT) | instid1(VALU_DEP_1)
	v_div_fmas_f64 v[68:69], v[68:69], v[82:83], v[86:87]
	v_div_fixup_f64 v[76:77], v[68:69], v[64:65], v[76:77]
.LBB48_46:                              ;   in Loop: Header=BB48_4 Depth=1
	s_or_b32 exec_lo, exec_lo, s50
	s_delay_alu instid0(SALU_CYCLE_1)
	s_mov_b32 s50, exec_lo
	v_cmpx_ngt_f64_e32 0, v[6:7]
	s_xor_b32 s50, exec_lo, s50
	s_cbranch_execz .LBB48_50
; %bb.47:                               ;   in Loop: Header=BB48_4 Depth=1
	s_mov_b32 s51, exec_lo
	v_cmpx_neq_f64_e32 0, v[6:7]
	s_cbranch_execz .LBB48_49
; %bb.48:                               ;   in Loop: Header=BB48_4 Depth=1
	v_mul_f64_e32 v[16:17], v[16:17], v[16:17]
	v_add_f64_e32 v[6:7], v[6:7], v[66:67]
	s_delay_alu instid0(VALU_DEP_1) | instskip(NEXT) | instid1(VALU_DEP_1)
	v_div_scale_f64 v[64:65], null, v[6:7], v[6:7], v[16:17]
	v_rcp_f64_e32 v[66:67], v[64:65]
	v_nop
	s_delay_alu instid0(TRANS32_DEP_1) | instskip(NEXT) | instid1(VALU_DEP_1)
	v_fma_f64 v[68:69], -v[64:65], v[66:67], 1.0
	v_fmac_f64_e32 v[66:67], v[66:67], v[68:69]
	s_delay_alu instid0(VALU_DEP_1) | instskip(NEXT) | instid1(VALU_DEP_1)
	v_fma_f64 v[68:69], -v[64:65], v[66:67], 1.0
	v_fmac_f64_e32 v[66:67], v[66:67], v[68:69]
	v_div_scale_f64 v[68:69], vcc_lo, v[16:17], v[6:7], v[16:17]
	s_delay_alu instid0(VALU_DEP_1) | instskip(NEXT) | instid1(VALU_DEP_1)
	v_mul_f64_e32 v[70:71], v[68:69], v[66:67]
	v_fma_f64 v[64:65], -v[64:65], v[70:71], v[68:69]
	s_delay_alu instid0(VALU_DEP_1) | instskip(NEXT) | instid1(VALU_DEP_1)
	v_div_fmas_f64 v[64:65], v[64:65], v[66:67], v[70:71]
	v_div_fixup_f64 v[70:71], v[64:65], v[6:7], v[16:17]
.LBB48_49:                              ;   in Loop: Header=BB48_4 Depth=1
	s_or_b32 exec_lo, exec_lo, s51
                                        ; implicit-def: $vgpr6_vgpr7
                                        ; implicit-def: $vgpr66_vgpr67
.LBB48_50:                              ;   in Loop: Header=BB48_4 Depth=1
	s_and_not1_saveexec_b32 s50, s50
; %bb.51:                               ;   in Loop: Header=BB48_4 Depth=1
	v_add_f64_e64 v[70:71], v[66:67], -v[6:7]
; %bb.52:                               ;   in Loop: Header=BB48_4 Depth=1
	s_or_b32 exec_lo, exec_lo, s50
	s_delay_alu instid0(VALU_DEP_1) | instskip(SKIP_1) | instid1(VALU_DEP_2)
	v_mul_f64_e32 v[6:7], 0.5, v[70:71]
	v_add_f64_e64 v[16:17], |v[14:15]|, v[62:63]
	v_fmac_f64_e32 v[6:7], 0.5, v[76:77]
	s_delay_alu instid0(VALU_DEP_1) | instskip(NEXT) | instid1(VALU_DEP_1)
	v_mul_f64_e32 v[6:7], v[16:17], v[6:7]
	v_cmp_gt_f64_e32 vcc_lo, 0x10000000, v[6:7]
	v_cndmask_b32_e64 v16, 0, 0x100, vcc_lo
	s_delay_alu instid0(VALU_DEP_1) | instskip(NEXT) | instid1(VALU_DEP_1)
	v_ldexp_f64 v[6:7], v[6:7], v16
	v_rsq_f64_e32 v[16:17], v[6:7]
	v_nop
	s_delay_alu instid0(TRANS32_DEP_1) | instskip(SKIP_1) | instid1(VALU_DEP_1)
	v_mul_f64_e32 v[62:63], v[6:7], v[16:17]
	v_mul_f64_e32 v[16:17], 0.5, v[16:17]
	v_fma_f64 v[64:65], -v[16:17], v[62:63], 0.5
	s_delay_alu instid0(VALU_DEP_1) | instskip(SKIP_1) | instid1(VALU_DEP_2)
	v_fmac_f64_e32 v[62:63], v[62:63], v[64:65]
	v_fmac_f64_e32 v[16:17], v[16:17], v[64:65]
	v_fma_f64 v[64:65], -v[62:63], v[62:63], v[6:7]
	s_delay_alu instid0(VALU_DEP_1) | instskip(NEXT) | instid1(VALU_DEP_1)
	v_fmac_f64_e32 v[62:63], v[64:65], v[16:17]
	v_fma_f64 v[64:65], -v[62:63], v[62:63], v[6:7]
	s_delay_alu instid0(VALU_DEP_1) | instskip(SKIP_2) | instid1(VALU_DEP_2)
	v_fmac_f64_e32 v[62:63], v[64:65], v[16:17]
	v_cndmask_b32_e64 v16, 0, 0xffffff80, vcc_lo
	v_cmp_class_f64_e64 vcc_lo, v[6:7], 0x260
                                        ; implicit-def: $vgpr64_vgpr65
	v_ldexp_f64 v[16:17], v[62:63], v16
	s_delay_alu instid0(VALU_DEP_1)
	v_dual_cndmask_b32 v77, v17, v7 :: v_dual_cndmask_b32 v76, v16, v6
                                        ; implicit-def: $vgpr6_vgpr7
.LBB48_53:                              ;   in Loop: Header=BB48_4 Depth=1
	s_and_not1_saveexec_b32 s49, s49
	s_cbranch_execz .LBB48_59
; %bb.54:                               ;   in Loop: Header=BB48_4 Depth=1
	v_cmp_ngt_f64_e64 s50, |v[14:15]|, 1.0
                                        ; implicit-def: $vgpr76_vgpr77
	s_and_saveexec_b32 s51, s50
	s_delay_alu instid0(SALU_CYCLE_1)
	s_xor_b32 s50, exec_lo, s51
	s_cbranch_execz .LBB48_56
; %bb.55:                               ;   in Loop: Header=BB48_4 Depth=1
	v_add_f64_e64 v[6:7], -|v[14:15]|, 1.0
	s_delay_alu instid0(VALU_DEP_1) | instskip(NEXT) | instid1(VALU_DEP_1)
	v_mul_f64_e32 v[6:7], v[6:7], v[64:65]
	v_cmp_gt_f64_e32 vcc_lo, 0x10000000, v[6:7]
	v_cndmask_b32_e64 v16, 0, 0x100, vcc_lo
	s_delay_alu instid0(VALU_DEP_1) | instskip(NEXT) | instid1(VALU_DEP_1)
	v_ldexp_f64 v[6:7], v[6:7], v16
	v_rsq_f64_e32 v[16:17], v[6:7]
	v_nop
	s_delay_alu instid0(TRANS32_DEP_1) | instskip(SKIP_1) | instid1(VALU_DEP_1)
	v_mul_f64_e32 v[62:63], v[6:7], v[16:17]
	v_mul_f64_e32 v[16:17], 0.5, v[16:17]
	v_fma_f64 v[64:65], -v[16:17], v[62:63], 0.5
	s_delay_alu instid0(VALU_DEP_1) | instskip(SKIP_1) | instid1(VALU_DEP_2)
	v_fmac_f64_e32 v[62:63], v[62:63], v[64:65]
	v_fmac_f64_e32 v[16:17], v[16:17], v[64:65]
	v_fma_f64 v[64:65], -v[62:63], v[62:63], v[6:7]
	s_delay_alu instid0(VALU_DEP_1) | instskip(NEXT) | instid1(VALU_DEP_1)
	v_fmac_f64_e32 v[62:63], v[64:65], v[16:17]
	v_fma_f64 v[64:65], -v[62:63], v[62:63], v[6:7]
	s_delay_alu instid0(VALU_DEP_1) | instskip(SKIP_2) | instid1(VALU_DEP_2)
	v_fmac_f64_e32 v[62:63], v[64:65], v[16:17]
	v_cndmask_b32_e64 v16, 0, 0xffffff80, vcc_lo
	v_cmp_class_f64_e64 vcc_lo, v[6:7], 0x260
                                        ; implicit-def: $vgpr64_vgpr65
	v_ldexp_f64 v[16:17], v[62:63], v16
	s_delay_alu instid0(VALU_DEP_1)
	v_dual_cndmask_b32 v77, v17, v7 :: v_dual_cndmask_b32 v76, v16, v6
                                        ; implicit-def: $vgpr6_vgpr7
.LBB48_56:                              ;   in Loop: Header=BB48_4 Depth=1
	s_and_not1_saveexec_b32 s50, s50
	s_cbranch_execz .LBB48_58
; %bb.57:                               ;   in Loop: Header=BB48_4 Depth=1
	v_mul_f64_e32 v[6:7], v[64:65], v[6:7]
	v_ldexp_f64 v[16:17], |v[16:17]|, 0x6a
	v_ldexp_f64 v[74:75], |v[14:15]|, 0x6a
	s_delay_alu instid0(VALU_DEP_3) | instskip(NEXT) | instid1(VALU_DEP_3)
	v_cmp_gt_f64_e32 vcc_lo, 0x10000000, v[6:7]
	v_mul_f64_e64 v[16:17], |v[14:15]|, v[16:17]
	v_cndmask_b32_e64 v62, 0, 0x100, vcc_lo
	s_delay_alu instid0(VALU_DEP_1) | instskip(NEXT) | instid1(VALU_DEP_1)
	v_ldexp_f64 v[6:7], v[6:7], v62
	v_rsq_f64_e32 v[62:63], v[6:7]
	v_nop
	s_delay_alu instid0(TRANS32_DEP_1) | instskip(SKIP_1) | instid1(VALU_DEP_1)
	v_mul_f64_e32 v[64:65], v[6:7], v[62:63]
	v_mul_f64_e32 v[62:63], 0.5, v[62:63]
	v_fma_f64 v[66:67], -v[62:63], v[64:65], 0.5
	s_delay_alu instid0(VALU_DEP_1) | instskip(SKIP_1) | instid1(VALU_DEP_2)
	v_fmac_f64_e32 v[64:65], v[64:65], v[66:67]
	v_fmac_f64_e32 v[62:63], v[62:63], v[66:67]
	v_fma_f64 v[66:67], -v[64:65], v[64:65], v[6:7]
	s_delay_alu instid0(VALU_DEP_1) | instskip(NEXT) | instid1(VALU_DEP_1)
	v_fmac_f64_e32 v[64:65], v[66:67], v[62:63]
	v_fma_f64 v[66:67], -v[64:65], v[64:65], v[6:7]
	s_delay_alu instid0(VALU_DEP_1) | instskip(SKIP_2) | instid1(VALU_DEP_2)
	v_fmac_f64_e32 v[64:65], v[66:67], v[62:63]
	v_cndmask_b32_e64 v62, 0, 0xffffff80, vcc_lo
	v_cmp_class_f64_e64 vcc_lo, v[6:7], 0x260
	v_ldexp_f64 v[62:63], v[64:65], v62
	s_delay_alu instid0(VALU_DEP_1) | instskip(NEXT) | instid1(VALU_DEP_1)
	v_dual_cndmask_b32 v7, v63, v7 :: v_dual_cndmask_b32 v6, v62, v6
	v_div_scale_f64 v[62:63], null, v[6:7], v[6:7], v[16:17]
	v_div_scale_f64 v[68:69], vcc_lo, v[16:17], v[6:7], v[16:17]
	s_delay_alu instid0(VALU_DEP_2) | instskip(SKIP_1) | instid1(TRANS32_DEP_1)
	v_rcp_f64_e32 v[64:65], v[62:63]
	v_nop
	v_fma_f64 v[66:67], -v[62:63], v[64:65], 1.0
	s_delay_alu instid0(VALU_DEP_1) | instskip(NEXT) | instid1(VALU_DEP_1)
	v_fmac_f64_e32 v[64:65], v[64:65], v[66:67]
	v_fma_f64 v[66:67], -v[62:63], v[64:65], 1.0
	s_delay_alu instid0(VALU_DEP_1) | instskip(NEXT) | instid1(VALU_DEP_1)
	v_fmac_f64_e32 v[64:65], v[64:65], v[66:67]
	v_mul_f64_e32 v[66:67], v[68:69], v[64:65]
	s_delay_alu instid0(VALU_DEP_1) | instskip(NEXT) | instid1(VALU_DEP_1)
	v_fma_f64 v[62:63], -v[62:63], v[66:67], v[68:69]
	v_div_fmas_f64 v[62:63], v[62:63], v[64:65], v[66:67]
	s_delay_alu instid0(VALU_DEP_1)
	v_div_fixup_f64 v[76:77], v[62:63], v[6:7], v[16:17]
.LBB48_58:                              ;   in Loop: Header=BB48_4 Depth=1
	s_or_b32 exec_lo, exec_lo, s50
.LBB48_59:                              ;   in Loop: Header=BB48_4 Depth=1
	s_delay_alu instid0(SALU_CYCLE_1)
	s_or_b32 exec_lo, exec_lo, s49
                                        ; implicit-def: $vgpr62_vgpr63
.LBB48_60:                              ;   in Loop: Header=BB48_4 Depth=1
	s_and_not1_saveexec_b32 s49, s7
	s_cbranch_execz .LBB48_62
; %bb.61:                               ;   in Loop: Header=BB48_4 Depth=1
	v_cmp_gt_f64_e64 s7, 0x10000000, |v[16:17]|
	v_add_f64_e32 v[6:7], 1.0, v[62:63]
	s_delay_alu instid0(VALU_DEP_2) | instskip(NEXT) | instid1(VALU_DEP_1)
	v_cndmask_b32_e64 v62, 0, 0x100, s7
	v_ldexp_f64 v[16:17], |v[16:17]|, v62
	s_delay_alu instid0(VALU_DEP_3) | instskip(NEXT) | instid1(VALU_DEP_1)
	v_mul_f64_e32 v[6:7], 0.5, v[6:7]
	v_cmp_gt_f64_e32 vcc_lo, 0x10000000, v[6:7]
	v_cndmask_b32_e64 v63, 0, 0x100, vcc_lo
	s_delay_alu instid0(VALU_DEP_1) | instskip(SKIP_1) | instid1(VALU_DEP_1)
	v_ldexp_f64 v[6:7], v[6:7], v63
	v_rsq_f64_e32 v[62:63], v[16:17]
	v_rsq_f64_e32 v[64:65], v[6:7]
	s_delay_alu instid0(TRANS32_DEP_2) | instskip(SKIP_1) | instid1(VALU_DEP_1)
	v_mul_f64_e32 v[66:67], v[16:17], v[62:63]
	v_mul_f64_e32 v[62:63], 0.5, v[62:63]
	v_fma_f64 v[70:71], -v[62:63], v[66:67], 0.5
	s_delay_alu instid0(VALU_DEP_1) | instskip(SKIP_1) | instid1(VALU_DEP_2)
	v_fmac_f64_e32 v[66:67], v[66:67], v[70:71]
	v_fmac_f64_e32 v[62:63], v[62:63], v[70:71]
	v_fma_f64 v[70:71], -v[66:67], v[66:67], v[16:17]
	s_delay_alu instid0(VALU_DEP_1) | instskip(NEXT) | instid1(VALU_DEP_1)
	v_fmac_f64_e32 v[66:67], v[70:71], v[62:63]
	v_fma_f64 v[70:71], -v[66:67], v[66:67], v[16:17]
	s_delay_alu instid0(VALU_DEP_1) | instskip(SKIP_2) | instid1(TRANS32_DEP_1)
	v_fmac_f64_e32 v[66:67], v[70:71], v[62:63]
	v_cndmask_b32_e64 v62, 0, 0xffffff80, s7
	v_cmp_class_f64_e64 s7, v[6:7], 0x260
	v_mul_f64_e32 v[68:69], v[6:7], v[64:65]
	v_mul_f64_e32 v[64:65], 0.5, v[64:65]
	s_delay_alu instid0(VALU_DEP_4) | instskip(NEXT) | instid1(VALU_DEP_2)
	v_ldexp_f64 v[62:63], v[66:67], v62
	v_fma_f64 v[74:75], -v[64:65], v[68:69], 0.5
	s_delay_alu instid0(VALU_DEP_1) | instskip(SKIP_1) | instid1(VALU_DEP_2)
	v_fmac_f64_e32 v[68:69], v[68:69], v[74:75]
	v_fmac_f64_e32 v[64:65], v[64:65], v[74:75]
	v_fma_f64 v[74:75], -v[68:69], v[68:69], v[6:7]
	s_delay_alu instid0(VALU_DEP_1) | instskip(NEXT) | instid1(VALU_DEP_1)
	v_fmac_f64_e32 v[68:69], v[74:75], v[64:65]
	v_fma_f64 v[74:75], -v[68:69], v[68:69], v[6:7]
	s_delay_alu instid0(VALU_DEP_1) | instskip(SKIP_3) | instid1(VALU_DEP_3)
	v_fmac_f64_e32 v[68:69], v[74:75], v[64:65]
	v_cndmask_b32_e64 v64, 0, 0xffffff80, vcc_lo
	v_cmp_class_f64_e64 vcc_lo, v[16:17], 0x260
	v_mov_b64_e32 v[74:75], 1.0
	v_ldexp_f64 v[64:65], v[68:69], v64
	v_dual_cndmask_b32 v17, v63, v17 :: v_dual_cndmask_b32 v16, v62, v16
	s_delay_alu instid0(VALU_DEP_2) | instskip(NEXT) | instid1(VALU_DEP_1)
	v_dual_cndmask_b32 v7, v65, v7, s7 :: v_dual_cndmask_b32 v6, v64, v6, s7
	v_mul_f64_e32 v[76:77], v[16:17], v[6:7]
.LBB48_62:                              ;   in Loop: Header=BB48_4 Depth=1
	s_or_b32 exec_lo, exec_lo, s49
	s_delay_alu instid0(SALU_CYCLE_1)
	s_mov_b32 s7, exec_lo
.LBB48_63:                              ;   in Loop: Header=BB48_4 Depth=1
	s_or_b32 exec_lo, exec_lo, s48
                                        ; implicit-def: $vgpr62_vgpr63
.LBB48_64:                              ;   in Loop: Header=BB48_4 Depth=1
	s_and_not1_saveexec_b32 s8, s8
	s_cbranch_execz .LBB48_66
; %bb.65:                               ;   in Loop: Header=BB48_4 Depth=1
	v_ldexp_f64 v[76:77], v[62:63], 53
	v_ldexp_f64 v[74:75], |v[14:15]|, 53
	s_or_b32 s7, s7, exec_lo
                                        ; implicit-def: $vgpr72_vgpr73
.LBB48_66:                              ;   in Loop: Header=BB48_4 Depth=1
	s_or_b32 exec_lo, exec_lo, s8
	s_xor_b32 s7, s7, -1
	v_cmp_lt_i64_e32 vcc_lo, -1, v[14:15]
	s_and_saveexec_b32 s8, s7
	s_delay_alu instid0(SALU_CYCLE_1)
	s_xor_b32 s8, exec_lo, s8
	s_cbranch_execz .LBB48_76
; %bb.67:                               ;   in Loop: Header=BB48_4 Depth=1
	v_fma_f64 v[14:15], |v[72:73]|, -0.5, 0.5
	v_mul_f64_e32 v[16:17], v[72:73], v[72:73]
	s_and_saveexec_b32 s7, vcc_lo
	s_delay_alu instid0(SALU_CYCLE_1)
	s_xor_b32 s48, exec_lo, s7
	s_cbranch_execz .LBB48_71
; %bb.68:                               ;   in Loop: Header=BB48_4 Depth=1
	v_cmp_ge_f64_e64 s7, |v[72:73]|, 0.5
	s_delay_alu instid0(VALU_DEP_1) | instskip(NEXT) | instid1(VALU_DEP_1)
	v_dual_cndmask_b32 v7, v17, v15, s7 :: v_dual_cndmask_b32 v6, v16, v14, s7
	v_fmamk_f64 v[16:17], v[6:7], 0x3fa059859fea6a70, v[48:49]
	s_delay_alu instid0(VALU_DEP_1) | instskip(NEXT) | instid1(VALU_DEP_1)
	v_fmaak_f64 v[16:17], v[6:7], v[16:17], 0x3f94052137024d6a
	v_fmaak_f64 v[16:17], v[6:7], v[16:17], 0x3f7ab3a098a70509
	s_delay_alu instid0(VALU_DEP_1) | instskip(NEXT) | instid1(VALU_DEP_1)
	v_fmaak_f64 v[16:17], v[6:7], v[16:17], 0x3f88ed60a300c8d2
	v_fmaak_f64 v[16:17], v[6:7], v[16:17], 0x3f8c6fa84b77012b
	;; [unrolled: 3-line block ×5, first 2 shown]
	s_delay_alu instid0(VALU_DEP_1) | instskip(NEXT) | instid1(VALU_DEP_1)
	v_mul_f64_e32 v[16:17], v[6:7], v[16:17]
	v_fma_f64 v[6:7], v[72:73], v[16:17], v[72:73]
	s_delay_alu instid0(VALU_DEP_1)
	v_fma_f64 v[6:7], s[28:29], s[26:27], -v[6:7]
	s_and_saveexec_b32 s49, s7
	s_cbranch_execz .LBB48_70
; %bb.69:                               ;   in Loop: Header=BB48_4 Depth=1
	v_rsq_f64_e32 v[6:7], v[14:15]
	v_cmp_eq_f64_e64 s7, 0, v[14:15]
	s_delay_alu instid0(TRANS32_DEP_1) | instskip(SKIP_1) | instid1(VALU_DEP_1)
	v_mul_f64_e32 v[62:63], v[14:15], v[6:7]
	v_mul_f64_e32 v[6:7], 0.5, v[6:7]
	v_fma_f64 v[64:65], -v[6:7], v[62:63], 0.5
	s_delay_alu instid0(VALU_DEP_1) | instskip(SKIP_1) | instid1(VALU_DEP_2)
	v_fmac_f64_e32 v[62:63], v[62:63], v[64:65]
	v_fmac_f64_e32 v[6:7], v[6:7], v[64:65]
	v_fma_f64 v[64:65], -v[62:63], v[62:63], v[14:15]
	s_delay_alu instid0(VALU_DEP_1) | instskip(NEXT) | instid1(VALU_DEP_1)
	v_fmac_f64_e32 v[62:63], v[64:65], v[6:7]
	v_dual_cndmask_b32 v7, v63, v15, s7 :: v_dual_cndmask_b32 v6, v62, v14, s7
	s_delay_alu instid0(VALU_DEP_1) | instskip(SKIP_1) | instid1(VALU_DEP_2)
	v_add_f64_e32 v[62:63], v[6:7], v[6:7]
	v_mul_f64_e32 v[64:65], v[6:7], v[6:7]
	v_rcp_f64_e32 v[66:67], v[62:63]
	s_delay_alu instid0(VALU_DEP_1) | instskip(SKIP_1) | instid1(VALU_DEP_2)
	v_add_f64_e64 v[68:69], v[14:15], -v[64:65]
	v_fma_f64 v[74:75], v[6:7], v[6:7], -v[64:65]
	v_add_f64_e64 v[14:15], v[14:15], -v[68:69]
	s_delay_alu instid0(TRANS32_DEP_1) | instskip(NEXT) | instid1(VALU_DEP_2)
	v_fma_f64 v[70:71], -v[62:63], v[66:67], 1.0
	v_add_f64_e64 v[14:15], v[14:15], -v[64:65]
	s_delay_alu instid0(VALU_DEP_2) | instskip(NEXT) | instid1(VALU_DEP_2)
	v_fmac_f64_e32 v[66:67], v[70:71], v[66:67]
	v_add_f64_e64 v[14:15], v[14:15], -v[74:75]
	s_delay_alu instid0(VALU_DEP_2) | instskip(NEXT) | instid1(VALU_DEP_2)
	v_fma_f64 v[64:65], -v[62:63], v[66:67], 1.0
	v_add_f64_e32 v[14:15], v[68:69], v[14:15]
	s_delay_alu instid0(VALU_DEP_2) | instskip(NEXT) | instid1(VALU_DEP_1)
	v_fmac_f64_e32 v[66:67], v[64:65], v[66:67]
	v_mul_f64_e32 v[64:65], v[14:15], v[66:67]
	s_delay_alu instid0(VALU_DEP_1) | instskip(NEXT) | instid1(VALU_DEP_1)
	v_fma_f64 v[14:15], -v[62:63], v[64:65], v[14:15]
	v_fmac_f64_e32 v[64:65], v[14:15], v[66:67]
	s_delay_alu instid0(VALU_DEP_1) | instskip(NEXT) | instid1(VALU_DEP_2)
	v_cndmask_b32_e64 v15, v65, 0, s7
	v_cndmask_b32_e64 v14, v64, 0, s7
	v_cmp_neq_f64_e64 s7, 1.0, v[72:73]
	s_delay_alu instid0(VALU_DEP_2) | instskip(NEXT) | instid1(VALU_DEP_1)
	v_add_f64_e32 v[62:63], v[6:7], v[14:15]
	v_add_f64_e64 v[6:7], v[62:63], -v[6:7]
	s_delay_alu instid0(VALU_DEP_1) | instskip(NEXT) | instid1(VALU_DEP_1)
	v_add_f64_e64 v[6:7], v[14:15], -v[6:7]
	v_fmac_f64_e32 v[6:7], v[62:63], v[16:17]
	s_delay_alu instid0(VALU_DEP_1) | instskip(NEXT) | instid1(VALU_DEP_1)
	v_add_f64_e32 v[6:7], v[62:63], v[6:7]
	v_add_f64_e32 v[6:7], v[6:7], v[6:7]
	s_delay_alu instid0(VALU_DEP_1)
	v_dual_cndmask_b32 v7, 0, v7, s7 :: v_dual_cndmask_b32 v6, 0, v6, s7
.LBB48_70:                              ;   in Loop: Header=BB48_4 Depth=1
	s_or_b32 exec_lo, exec_lo, s49
                                        ; implicit-def: $vgpr72_vgpr73
                                        ; implicit-def: $vgpr16_vgpr17
                                        ; implicit-def: $vgpr14_vgpr15
.LBB48_71:                              ;   in Loop: Header=BB48_4 Depth=1
	s_and_not1_saveexec_b32 s48, s48
	s_cbranch_execz .LBB48_75
; %bb.72:                               ;   in Loop: Header=BB48_4 Depth=1
	v_cmp_ge_f64_e64 s7, |v[72:73]|, 0.5
	s_delay_alu instid0(VALU_DEP_1) | instskip(NEXT) | instid1(VALU_DEP_1)
	v_dual_cndmask_b32 v7, v17, v15, s7 :: v_dual_cndmask_b32 v6, v16, v14, s7
	v_fmamk_f64 v[16:17], v[6:7], 0x3fa059859fea6a70, v[48:49]
	s_delay_alu instid0(VALU_DEP_1) | instskip(NEXT) | instid1(VALU_DEP_1)
	v_fmaak_f64 v[16:17], v[6:7], v[16:17], 0x3f94052137024d6a
	v_fmaak_f64 v[16:17], v[6:7], v[16:17], 0x3f7ab3a098a70509
	s_delay_alu instid0(VALU_DEP_1) | instskip(NEXT) | instid1(VALU_DEP_1)
	v_fmaak_f64 v[16:17], v[6:7], v[16:17], 0x3f88ed60a300c8d2
	v_fmaak_f64 v[16:17], v[6:7], v[16:17], 0x3f8c6fa84b77012b
	;; [unrolled: 3-line block ×5, first 2 shown]
	s_delay_alu instid0(VALU_DEP_1) | instskip(NEXT) | instid1(VALU_DEP_1)
	v_mul_f64_e32 v[16:17], v[6:7], v[16:17]
	v_fma_f64 v[6:7], -v[72:73], v[16:17], -v[72:73]
	s_delay_alu instid0(VALU_DEP_1)
	v_fma_f64 v[6:7], s[28:29], s[26:27], -v[6:7]
	s_and_saveexec_b32 s49, s7
	s_cbranch_execz .LBB48_74
; %bb.73:                               ;   in Loop: Header=BB48_4 Depth=1
	v_rsq_f64_e32 v[6:7], v[14:15]
	v_cmp_eq_f64_e64 s7, 0, v[14:15]
	s_delay_alu instid0(TRANS32_DEP_1) | instskip(SKIP_1) | instid1(VALU_DEP_1)
	v_mul_f64_e32 v[62:63], v[14:15], v[6:7]
	v_mul_f64_e32 v[6:7], 0.5, v[6:7]
	v_fma_f64 v[64:65], -v[6:7], v[62:63], 0.5
	s_delay_alu instid0(VALU_DEP_1) | instskip(SKIP_1) | instid1(VALU_DEP_2)
	v_fmac_f64_e32 v[62:63], v[62:63], v[64:65]
	v_fmac_f64_e32 v[6:7], v[6:7], v[64:65]
	v_fma_f64 v[64:65], -v[62:63], v[62:63], v[14:15]
	s_delay_alu instid0(VALU_DEP_1) | instskip(NEXT) | instid1(VALU_DEP_1)
	v_fmac_f64_e32 v[62:63], v[64:65], v[6:7]
	v_dual_cndmask_b32 v7, v63, v15, s7 :: v_dual_cndmask_b32 v6, v62, v14, s7
	s_delay_alu instid0(VALU_DEP_1) | instskip(SKIP_1) | instid1(VALU_DEP_2)
	v_add_f64_e32 v[62:63], v[6:7], v[6:7]
	v_mul_f64_e32 v[64:65], v[6:7], v[6:7]
	v_rcp_f64_e32 v[66:67], v[62:63]
	s_delay_alu instid0(VALU_DEP_1) | instskip(SKIP_1) | instid1(VALU_DEP_2)
	v_add_f64_e64 v[68:69], v[14:15], -v[64:65]
	v_fma_f64 v[74:75], v[6:7], v[6:7], -v[64:65]
	v_add_f64_e64 v[14:15], v[14:15], -v[68:69]
	s_delay_alu instid0(TRANS32_DEP_1) | instskip(NEXT) | instid1(VALU_DEP_2)
	v_fma_f64 v[70:71], -v[62:63], v[66:67], 1.0
	v_add_f64_e64 v[14:15], v[14:15], -v[64:65]
	s_delay_alu instid0(VALU_DEP_2) | instskip(NEXT) | instid1(VALU_DEP_2)
	v_fmac_f64_e32 v[66:67], v[70:71], v[66:67]
	v_add_f64_e64 v[14:15], v[14:15], -v[74:75]
	s_delay_alu instid0(VALU_DEP_2) | instskip(NEXT) | instid1(VALU_DEP_2)
	v_fma_f64 v[64:65], -v[62:63], v[66:67], 1.0
	v_add_f64_e32 v[14:15], v[68:69], v[14:15]
	s_delay_alu instid0(VALU_DEP_2) | instskip(NEXT) | instid1(VALU_DEP_1)
	v_fmac_f64_e32 v[66:67], v[64:65], v[66:67]
	v_mul_f64_e32 v[64:65], v[14:15], v[66:67]
	s_delay_alu instid0(VALU_DEP_1) | instskip(NEXT) | instid1(VALU_DEP_1)
	v_fma_f64 v[14:15], -v[62:63], v[64:65], v[14:15]
	v_fmac_f64_e32 v[64:65], v[14:15], v[66:67]
	s_delay_alu instid0(VALU_DEP_1) | instskip(NEXT) | instid1(VALU_DEP_2)
	v_cndmask_b32_e64 v15, v65, 0, s7
	v_cndmask_b32_e64 v14, v64, 0, s7
	v_cmp_lt_f64_e64 s7, 0, v[72:73]
	s_delay_alu instid0(VALU_DEP_2) | instskip(NEXT) | instid1(VALU_DEP_1)
	v_add_f64_e32 v[62:63], v[6:7], v[14:15]
	v_add_f64_e64 v[6:7], v[62:63], -v[6:7]
	s_delay_alu instid0(VALU_DEP_1) | instskip(SKIP_1) | instid1(VALU_DEP_2)
	v_add_f64_e64 v[6:7], v[14:15], -v[6:7]
	v_fma_f64 v[14:15], v[62:63], v[16:17], v[62:63]
	v_fmac_f64_e32 v[6:7], v[62:63], v[16:17]
	s_delay_alu instid0(VALU_DEP_2) | instskip(NEXT) | instid1(VALU_DEP_2)
	v_mul_f64_e32 v[14:15], -2.0, v[14:15]
	v_add_f64_e32 v[6:7], v[62:63], v[6:7]
	s_delay_alu instid0(VALU_DEP_2) | instskip(NEXT) | instid1(VALU_DEP_2)
	v_fmac_f64_e64 v[14:15], s[30:31], s[26:27]
	v_add_f64_e32 v[6:7], v[6:7], v[6:7]
	s_delay_alu instid0(VALU_DEP_1) | instskip(SKIP_1) | instid1(VALU_DEP_1)
	v_dual_cndmask_b32 v6, v6, v14, s7 :: v_dual_cndmask_b32 v7, v7, v15, s7
	v_cmp_neq_f64_e64 s7, 1.0, v[72:73]
	v_cndmask_b32_e64 v7, 0x400921fb, v7, s7
	s_delay_alu instid0(VALU_DEP_3)
	v_cndmask_b32_e64 v6, 0x54442d18, v6, s7
.LBB48_74:                              ;   in Loop: Header=BB48_4 Depth=1
	s_or_b32 exec_lo, exec_lo, s49
.LBB48_75:                              ;   in Loop: Header=BB48_4 Depth=1
	s_delay_alu instid0(SALU_CYCLE_1)
	s_or_b32 exec_lo, exec_lo, s48
                                        ; implicit-def: $vgpr74_vgpr75
                                        ; implicit-def: $vgpr76_vgpr77
.LBB48_76:                              ;   in Loop: Header=BB48_4 Depth=1
	s_and_not1_saveexec_b32 s48, s8
	s_cbranch_execz .LBB48_82
; %bb.77:                               ;   in Loop: Header=BB48_4 Depth=1
	s_delay_alu instid0(VALU_DEP_2) | instskip(NEXT) | instid1(VALU_DEP_3)
	v_max_num_f64_e64 v[6:7], |v[76:77]|, |v[76:77]|
	v_max_num_f64_e32 v[16:17], v[74:75], v[74:75]
	v_cmp_class_f64_e64 s49, v[76:77], 0x204
	s_delay_alu instid0(VALU_DEP_2) | instskip(SKIP_2) | instid1(SALU_CYCLE_1)
	v_max_num_f64_e32 v[14:15], v[16:17], v[6:7]
	v_min_num_f64_e32 v[16:17], v[16:17], v[6:7]
	s_and_saveexec_b32 s7, vcc_lo
	s_xor_b32 s50, exec_lo, s7
	s_cbranch_execz .LBB48_79
; %bb.78:                               ;   in Loop: Header=BB48_4 Depth=1
	s_delay_alu instid0(VALU_DEP_1) | instskip(SKIP_3) | instid1(VALU_DEP_4)
	v_div_scale_f64 v[6:7], null, v[14:15], v[14:15], v[16:17]
	v_div_scale_f64 v[66:67], vcc_lo, v[16:17], v[14:15], v[16:17]
	v_cmp_eq_f64_e64 s7, 0, v[76:77]
	v_cmp_eq_f64_e64 s8, 0x7ff00000, v[74:75]
	v_rcp_f64_e32 v[62:63], v[6:7]
	v_nop
	s_delay_alu instid0(TRANS32_DEP_1) | instskip(NEXT) | instid1(VALU_DEP_1)
	v_fma_f64 v[64:65], -v[6:7], v[62:63], 1.0
	v_fmac_f64_e32 v[62:63], v[62:63], v[64:65]
	s_delay_alu instid0(VALU_DEP_1) | instskip(NEXT) | instid1(VALU_DEP_1)
	v_fma_f64 v[64:65], -v[6:7], v[62:63], 1.0
	v_fmac_f64_e32 v[62:63], v[62:63], v[64:65]
	s_delay_alu instid0(VALU_DEP_1) | instskip(NEXT) | instid1(VALU_DEP_1)
	v_mul_f64_e32 v[64:65], v[66:67], v[62:63]
	v_fma_f64 v[6:7], -v[6:7], v[64:65], v[66:67]
	s_delay_alu instid0(VALU_DEP_1) | instskip(SKIP_1) | instid1(VALU_DEP_2)
	v_div_fmas_f64 v[6:7], v[6:7], v[62:63], v[64:65]
	v_cmp_lt_f64_e64 vcc_lo, v[74:75], |v[76:77]|
	v_div_fixup_f64 v[6:7], v[6:7], v[14:15], v[16:17]
	s_delay_alu instid0(VALU_DEP_1) | instskip(NEXT) | instid1(VALU_DEP_1)
	v_mul_f64_e32 v[14:15], v[6:7], v[6:7]
	v_fmamk_f64 v[16:17], v[14:15], 0x3eeba404b5e68a13, v[50:51]
	s_delay_alu instid0(VALU_DEP_1) | instskip(NEXT) | instid1(VALU_DEP_1)
	v_fmaak_f64 v[16:17], v[14:15], v[16:17], 0x3f4b2bb069efb384
	v_fmaak_f64 v[16:17], v[14:15], v[16:17], 0xbf67952daf56de9b
	s_delay_alu instid0(VALU_DEP_1) | instskip(NEXT) | instid1(VALU_DEP_1)
	v_fmaak_f64 v[16:17], v[14:15], v[16:17], 0x3f7d6d43a595c56f
	v_fmaak_f64 v[16:17], v[14:15], v[16:17], 0xbf8c6ea4a57d9582
	;; [unrolled: 3-line block ×9, first 2 shown]
	s_delay_alu instid0(VALU_DEP_1) | instskip(NEXT) | instid1(VALU_DEP_1)
	v_dual_mul_f64 v[14:15], v[14:15], v[16:17] :: v_dual_ashrrev_i32 v16, 31, v75
	v_and_b32_e32 v62, 0x54442d18, v16
	s_delay_alu instid0(VALU_DEP_2) | instskip(NEXT) | instid1(VALU_DEP_1)
	v_fmac_f64_e32 v[6:7], v[6:7], v[14:15]
	v_add_f64_e64 v[14:15], -v[6:7], s[34:35]
	s_delay_alu instid0(VALU_DEP_1) | instskip(SKIP_1) | instid1(VALU_DEP_2)
	v_dual_cndmask_b32 v7, v7, v15 :: v_dual_cndmask_b32 v6, v6, v14
	v_cmp_gt_i32_e32 vcc_lo, 0, v75
                                        ; implicit-def: $vgpr74_vgpr75
	v_add_f64_e64 v[14:15], -v[6:7], s[36:37]
	v_cndmask_b32_e32 v17, 0x54442d18, v79, vcc_lo
	s_delay_alu instid0(VALU_DEP_2) | instskip(SKIP_3) | instid1(VALU_DEP_2)
	v_dual_cndmask_b32 v6, v6, v14 :: v_dual_cndmask_b32 v7, v7, v15
	v_and_b32_e32 v14, 0x400921fb, v16
	v_cndmask_b32_e32 v15, 0x3fe921fb, v80, vcc_lo
	s_and_b32 vcc_lo, s8, s49
	v_cndmask_b32_e64 v7, v7, v14, s7
	s_delay_alu instid0(VALU_DEP_1) | instskip(NEXT) | instid1(VALU_DEP_1)
	v_dual_cndmask_b32 v6, v6, v62, s7 :: v_dual_cndmask_b32 v7, v7, v15, vcc_lo
	v_cndmask_b32_e32 v6, v6, v17, vcc_lo
	v_cmp_o_f64_e32 vcc_lo, v[76:77], v[76:77]
                                        ; implicit-def: $vgpr14_vgpr15
                                        ; implicit-def: $vgpr16_vgpr17
	s_delay_alu instid0(VALU_DEP_3) | instskip(NEXT) | instid1(VALU_DEP_3)
	v_cndmask_b32_e32 v7, 0x7ff80000, v7, vcc_lo
	v_cndmask_b32_e32 v6, 0, v6, vcc_lo
	s_delay_alu instid0(VALU_DEP_2)
	v_bfi_b32 v7, 0x7fffffff, v7, v77
                                        ; implicit-def: $vgpr76_vgpr77
.LBB48_79:                              ;   in Loop: Header=BB48_4 Depth=1
	s_and_not1_saveexec_b32 s50, s50
	s_cbranch_execz .LBB48_81
; %bb.80:                               ;   in Loop: Header=BB48_4 Depth=1
	s_delay_alu instid0(VALU_DEP_1) | instskip(SKIP_3) | instid1(VALU_DEP_4)
	v_div_scale_f64 v[6:7], null, v[14:15], v[14:15], v[16:17]
	v_div_scale_f64 v[66:67], vcc_lo, v[16:17], v[14:15], v[16:17]
	v_cmp_eq_f64_e64 s7, 0, v[76:77]
	v_cmp_eq_f64_e64 s8, 0x7ff00000, v[74:75]
	v_rcp_f64_e32 v[62:63], v[6:7]
	v_nop
	s_delay_alu instid0(TRANS32_DEP_1) | instskip(NEXT) | instid1(VALU_DEP_1)
	v_fma_f64 v[64:65], -v[6:7], v[62:63], 1.0
	v_fmac_f64_e32 v[62:63], v[62:63], v[64:65]
	s_delay_alu instid0(VALU_DEP_1) | instskip(NEXT) | instid1(VALU_DEP_1)
	v_fma_f64 v[64:65], -v[6:7], v[62:63], 1.0
	v_fmac_f64_e32 v[62:63], v[62:63], v[64:65]
	s_delay_alu instid0(VALU_DEP_1) | instskip(NEXT) | instid1(VALU_DEP_1)
	v_mul_f64_e32 v[64:65], v[66:67], v[62:63]
	v_fma_f64 v[6:7], -v[6:7], v[64:65], v[66:67]
	s_delay_alu instid0(VALU_DEP_1) | instskip(SKIP_1) | instid1(VALU_DEP_2)
	v_div_fmas_f64 v[6:7], v[6:7], v[62:63], v[64:65]
	v_cmp_lt_f64_e64 vcc_lo, v[74:75], |v[76:77]|
	v_div_fixup_f64 v[6:7], v[6:7], v[14:15], v[16:17]
	s_delay_alu instid0(VALU_DEP_1) | instskip(NEXT) | instid1(VALU_DEP_1)
	v_mul_f64_e32 v[14:15], v[6:7], v[6:7]
	v_fmamk_f64 v[16:17], v[14:15], 0x3eeba404b5e68a13, v[50:51]
	s_delay_alu instid0(VALU_DEP_1) | instskip(NEXT) | instid1(VALU_DEP_1)
	v_fmaak_f64 v[16:17], v[14:15], v[16:17], 0x3f4b2bb069efb384
	v_fmaak_f64 v[16:17], v[14:15], v[16:17], 0xbf67952daf56de9b
	s_delay_alu instid0(VALU_DEP_1) | instskip(NEXT) | instid1(VALU_DEP_1)
	v_fmaak_f64 v[16:17], v[14:15], v[16:17], 0x3f7d6d43a595c56f
	v_fmaak_f64 v[16:17], v[14:15], v[16:17], 0xbf8c6ea4a57d9582
	;; [unrolled: 3-line block ×9, first 2 shown]
	s_delay_alu instid0(VALU_DEP_1) | instskip(SKIP_1) | instid1(VALU_DEP_1)
	v_mul_f64_e32 v[14:15], v[14:15], v[16:17]
	v_xor_b32_e32 v16, 0x80000000, v75
	v_ashrrev_i32_e32 v17, 31, v16
	s_delay_alu instid0(VALU_DEP_1) | instskip(NEXT) | instid1(VALU_DEP_4)
	v_and_b32_e32 v62, 0x54442d18, v17
	v_fmac_f64_e32 v[6:7], v[6:7], v[14:15]
	s_delay_alu instid0(VALU_DEP_1) | instskip(NEXT) | instid1(VALU_DEP_1)
	v_add_f64_e64 v[14:15], -v[6:7], s[34:35]
	v_dual_cndmask_b32 v7, v7, v15 :: v_dual_cndmask_b32 v6, v6, v14
	v_cmp_gt_i32_e32 vcc_lo, 0, v16
	s_delay_alu instid0(VALU_DEP_2) | instskip(SKIP_1) | instid1(VALU_DEP_2)
	v_add_f64_e64 v[14:15], -v[6:7], s[36:37]
	v_cndmask_b32_e32 v16, 0x54442d18, v79, vcc_lo
	v_dual_cndmask_b32 v6, v6, v14 :: v_dual_cndmask_b32 v7, v7, v15
	v_and_b32_e32 v14, 0x400921fb, v17
	v_cndmask_b32_e32 v15, 0x3fe921fb, v80, vcc_lo
	s_and_b32 vcc_lo, s8, s49
	s_delay_alu instid0(VALU_DEP_2) | instskip(NEXT) | instid1(VALU_DEP_1)
	v_cndmask_b32_e64 v7, v7, v14, s7
	v_dual_cndmask_b32 v6, v6, v62, s7 :: v_dual_cndmask_b32 v7, v7, v15, vcc_lo
	s_delay_alu instid0(VALU_DEP_1) | instskip(SKIP_1) | instid1(VALU_DEP_3)
	v_cndmask_b32_e32 v6, v6, v16, vcc_lo
	v_cmp_o_f64_e32 vcc_lo, v[76:77], v[76:77]
	v_cndmask_b32_e32 v7, 0x7ff80000, v7, vcc_lo
	s_delay_alu instid0(VALU_DEP_3) | instskip(NEXT) | instid1(VALU_DEP_2)
	v_cndmask_b32_e32 v6, 0, v6, vcc_lo
	v_bfi_b32 v7, 0x7fffffff, v7, v77
.LBB48_81:                              ;   in Loop: Header=BB48_4 Depth=1
	s_or_b32 exec_lo, exec_lo, s50
.LBB48_82:                              ;   in Loop: Header=BB48_4 Depth=1
	s_delay_alu instid0(SALU_CYCLE_1) | instskip(SKIP_1) | instid1(VALU_DEP_1)
	s_or_b32 exec_lo, exec_lo, s48
	v_xor_b32_e32 v14, 0x80000000, v9
	v_cndmask_b32_e64 v9, v14, v9, s6
                                        ; implicit-def: $vgpr14_vgpr15
.LBB48_83:                              ;   in Loop: Header=BB48_4 Depth=1
	s_and_not1_saveexec_b32 s7, s47
	s_cbranch_execz .LBB48_85
; %bb.84:                               ;   in Loop: Header=BB48_4 Depth=1
	s_wait_dscnt 0x0
	flat_load_b64 v[6:7], v[26:27] scope:SCOPE_SYS
	s_wait_loadcnt_dscnt 0x0
	v_add_f64_e64 v[6:7], v[6:7], -v[14:15]
	s_delay_alu instid0(VALU_DEP_1)
	v_add_f64_e32 v[6:7], 0x3ff921fb54442d18, v[6:7]
.LBB48_85:                              ;   in Loop: Header=BB48_4 Depth=1
	s_or_b32 exec_lo, exec_lo, s7
.LBB48_86:                              ;   in Loop: Header=BB48_4 Depth=1
	s_and_not1_saveexec_b32 s7, s46
	s_cbranch_execz .LBB48_88
; %bb.87:                               ;   in Loop: Header=BB48_4 Depth=1
	s_wait_dscnt 0x0
	v_mov_b64_e32 v[6:7], 0
.LBB48_88:                              ;   in Loop: Header=BB48_4 Depth=1
	s_or_b32 exec_lo, exec_lo, s7
                                        ; implicit-def: $vgpr14_vgpr15
                                        ; implicit-def: $vgpr64_vgpr65
                                        ; implicit-def: $vgpr66_vgpr67
                                        ; implicit-def: $vgpr62_vgpr63
.LBB48_89:                              ;   in Loop: Header=BB48_4 Depth=1
	s_and_not1_saveexec_b32 s33, s33
	s_cbranch_execz .LBB48_99
; %bb.90:                               ;   in Loop: Header=BB48_4 Depth=1
	s_delay_alu instid0(VALU_DEP_3) | instskip(SKIP_3) | instid1(VALU_DEP_1)
	v_cmp_lt_f64_e64 s7, |v[14:15]|, |v[16:17]|
	v_and_b32_e32 v70, 0x7fffffff, v15
	v_and_b32_e32 v71, 0x7fffffff, v17
                                        ; implicit-def: $sgpr46
                                        ; implicit-def: $vgpr8_vgpr9
                                        ; implicit-def: $vgpr6_vgpr7
	s_mov_b32 s8, exec_lo
	v_cndmask_b32_e64 v69, v70, v71, s7
	v_cndmask_b32_e64 v68, v14, v16, s7
	s_delay_alu instid0(VALU_DEP_1)
	v_cmpx_nlt_f64_e32 s[38:39], v[68:69]
	s_xor_b32 s47, exec_lo, s8
	s_cbranch_execz .LBB48_96
; %bb.91:                               ;   in Loop: Header=BB48_4 Depth=1
	v_cndmask_b32_e64 v71, v71, v70, s7
	v_cndmask_b32_e64 v70, v16, v14, s7
	v_cmp_nlt_f64_e32 vcc_lo, 0x20200000, v[68:69]
                                        ; implicit-def: $sgpr46
                                        ; implicit-def: $vgpr8_vgpr9
                                        ; implicit-def: $vgpr6_vgpr7
	s_delay_alu instid0(VALU_DEP_2) | instskip(SKIP_1) | instid1(SALU_CYCLE_1)
	v_cmp_ngt_f64_e64 s8, 0x20000000, v[70:71]
	s_and_b32 s8, vcc_lo, s8
	s_and_saveexec_b32 s48, s8
	s_delay_alu instid0(SALU_CYCLE_1)
	s_xor_b32 s8, exec_lo, s48
	s_cbranch_execz .LBB48_93
; %bb.92:                               ;   in Loop: Header=BB48_4 Depth=1
	v_mul_f64_e32 v[8:9], v[70:71], v[70:71]
	v_min_num_f64_e32 v[64:65], v[64:65], v[66:67]
	v_cmp_class_f64_e64 s46, v[16:17], 0x204
	v_cmp_class_f64_e64 s48, v[14:15], 0x204
	s_delay_alu instid0(VALU_DEP_4) | instskip(SKIP_2) | instid1(VALU_DEP_1)
	v_fmac_f64_e32 v[8:9], v[68:69], v[68:69]
	s_and_b32 s46, s46, s48
	s_wait_dscnt 0x0
	v_frexp_mant_f64_e32 v[6:7], v[8:9]
	s_delay_alu instid0(VALU_DEP_1) | instskip(SKIP_1) | instid1(VALU_DEP_1)
	v_cmp_gt_f64_e32 vcc_lo, s[20:21], v[6:7]
	v_cndmask_b32_e64 v68, 0, 1, vcc_lo
	v_ldexp_f64 v[6:7], v[6:7], v68
	s_delay_alu instid0(VALU_DEP_1) | instskip(SKIP_1) | instid1(VALU_DEP_2)
	v_add_f64_e32 v[68:69], 1.0, v[6:7]
	v_add_f64_e32 v[74:75], -1.0, v[6:7]
	v_rcp_f64_e32 v[70:71], v[68:69]
	v_add_f64_e32 v[76:77], -1.0, v[68:69]
	s_delay_alu instid0(VALU_DEP_1) | instskip(NEXT) | instid1(TRANS32_DEP_1)
	v_add_f64_e64 v[6:7], v[6:7], -v[76:77]
	v_fma_f64 v[72:73], -v[68:69], v[70:71], 1.0
	s_delay_alu instid0(VALU_DEP_1) | instskip(NEXT) | instid1(VALU_DEP_1)
	v_fmac_f64_e32 v[70:71], v[72:73], v[70:71]
	v_fma_f64 v[72:73], -v[68:69], v[70:71], 1.0
	s_delay_alu instid0(VALU_DEP_1) | instskip(NEXT) | instid1(VALU_DEP_1)
	v_fmac_f64_e32 v[70:71], v[72:73], v[70:71]
	v_mul_f64_e32 v[72:73], v[74:75], v[70:71]
	s_delay_alu instid0(VALU_DEP_1) | instskip(NEXT) | instid1(VALU_DEP_1)
	v_mul_f64_e32 v[82:83], v[68:69], v[72:73]
	v_fma_f64 v[68:69], v[72:73], v[68:69], -v[82:83]
	s_delay_alu instid0(VALU_DEP_1) | instskip(NEXT) | instid1(VALU_DEP_1)
	v_fmac_f64_e32 v[68:69], v[72:73], v[6:7]
	v_add_f64_e32 v[6:7], v[82:83], v[68:69]
	s_delay_alu instid0(VALU_DEP_1) | instskip(SKIP_1) | instid1(VALU_DEP_2)
	v_add_f64_e64 v[76:77], v[74:75], -v[6:7]
	v_add_f64_e64 v[82:83], v[6:7], -v[82:83]
	;; [unrolled: 1-line block ×3, first 2 shown]
	s_delay_alu instid0(VALU_DEP_2) | instskip(NEXT) | instid1(VALU_DEP_2)
	v_add_f64_e64 v[68:69], v[82:83], -v[68:69]
	v_add_f64_e64 v[6:7], v[74:75], -v[6:7]
	s_delay_alu instid0(VALU_DEP_1) | instskip(NEXT) | instid1(VALU_DEP_1)
	v_add_f64_e32 v[6:7], v[68:69], v[6:7]
	v_add_f64_e32 v[6:7], v[76:77], v[6:7]
	s_delay_alu instid0(VALU_DEP_1) | instskip(NEXT) | instid1(VALU_DEP_1)
	v_mul_f64_e32 v[6:7], v[70:71], v[6:7]
	v_add_f64_e32 v[68:69], v[72:73], v[6:7]
	s_delay_alu instid0(VALU_DEP_1) | instskip(SKIP_1) | instid1(VALU_DEP_2)
	v_mul_f64_e32 v[70:71], v[68:69], v[68:69]
	v_ldexp_f64 v[66:67], v[68:69], 1
	v_fmamk_f64 v[74:75], v[70:71], 0x3fc3ab76bf559e2b, v[46:47]
	v_mul_f64_e32 v[76:77], v[68:69], v[70:71]
	v_add_f64_e64 v[68:69], v[68:69], -v[72:73]
	s_delay_alu instid0(VALU_DEP_3) | instskip(NEXT) | instid1(VALU_DEP_1)
	v_fmaak_f64 v[74:75], v[70:71], v[74:75], 0x3fc7474dd7f4df2e
	v_fmaak_f64 v[74:75], v[70:71], v[74:75], 0x3fcc71c016291751
	s_delay_alu instid0(VALU_DEP_1) | instskip(NEXT) | instid1(VALU_DEP_1)
	v_fmaak_f64 v[74:75], v[70:71], v[74:75], 0x3fd249249b27acf1
	v_fmaak_f64 v[74:75], v[70:71], v[74:75], 0x3fd99999998ef7b6
	v_add_f64_e64 v[6:7], v[6:7], -v[68:69]
	s_delay_alu instid0(VALU_DEP_2) | instskip(SKIP_1) | instid1(VALU_DEP_2)
	v_fmaak_f64 v[70:71], v[70:71], v[74:75], 0x3fe5555555555780
	v_frexp_exp_i32_f64_e32 v74, v[8:9]
	v_mul_f64_e32 v[70:71], v[76:77], v[70:71]
	s_delay_alu instid0(VALU_DEP_4) | instskip(NEXT) | instid1(VALU_DEP_3)
	v_ldexp_f64 v[6:7], v[6:7], 1
	v_subrev_co_ci_u32_e64 v76, null, 0, v74, vcc_lo
	v_div_scale_f64 v[74:75], null, v[62:63], v[62:63], v[64:65]
	v_div_scale_f64 v[88:89], vcc_lo, v[64:65], v[62:63], v[64:65]
	s_delay_alu instid0(VALU_DEP_3) | instskip(SKIP_1) | instid1(VALU_DEP_4)
	v_cvt_f64_i32_e32 v[76:77], v76
	v_add_f64_e32 v[72:73], v[66:67], v[70:71]
	v_rcp_f64_e32 v[82:83], v[74:75]
	s_delay_alu instid0(VALU_DEP_2) | instskip(NEXT) | instid1(VALU_DEP_2)
	v_mul_f64_e32 v[84:85], 0x3fe62e42fefa39ef, v[76:77]
	v_add_f64_e64 v[66:67], v[72:73], -v[66:67]
	s_delay_alu instid0(VALU_DEP_2) | instskip(NEXT) | instid1(VALU_DEP_2)
	v_fma_f64 v[68:69], v[76:77], s[22:23], -v[84:85]
	v_add_f64_e64 v[66:67], v[70:71], -v[66:67]
	s_delay_alu instid0(TRANS32_DEP_1) | instskip(NEXT) | instid1(VALU_DEP_3)
	v_fma_f64 v[70:71], -v[74:75], v[82:83], 1.0
	v_fmac_f64_e32 v[68:69], 0x3c7abc9e3b39803f, v[76:77]
	s_delay_alu instid0(VALU_DEP_3) | instskip(NEXT) | instid1(VALU_DEP_3)
	v_add_f64_e32 v[6:7], v[6:7], v[66:67]
	v_fmac_f64_e32 v[82:83], v[82:83], v[70:71]
	s_delay_alu instid0(VALU_DEP_3) | instskip(NEXT) | instid1(VALU_DEP_3)
	v_add_f64_e32 v[66:67], v[84:85], v[68:69]
	v_add_f64_e32 v[70:71], v[72:73], v[6:7]
	s_delay_alu instid0(VALU_DEP_3) | instskip(NEXT) | instid1(VALU_DEP_3)
	v_fma_f64 v[76:77], -v[74:75], v[82:83], 1.0
	v_add_f64_e64 v[84:85], v[66:67], -v[84:85]
	s_delay_alu instid0(VALU_DEP_3) | instskip(NEXT) | instid1(VALU_DEP_3)
	v_add_f64_e32 v[86:87], v[66:67], v[70:71]
	v_fmac_f64_e32 v[82:83], v[82:83], v[76:77]
	v_add_f64_e64 v[72:73], v[70:71], -v[72:73]
	s_delay_alu instid0(VALU_DEP_4) | instskip(NEXT) | instid1(VALU_DEP_4)
	v_add_f64_e64 v[68:69], v[68:69], -v[84:85]
	v_add_f64_e64 v[76:77], v[86:87], -v[66:67]
	s_delay_alu instid0(VALU_DEP_4) | instskip(NEXT) | instid1(VALU_DEP_4)
	v_mul_f64_e32 v[90:91], v[88:89], v[82:83]
	v_add_f64_e64 v[72:73], v[6:7], -v[72:73]
	s_delay_alu instid0(VALU_DEP_3) | instskip(NEXT) | instid1(VALU_DEP_3)
	v_add_f64_e64 v[92:93], v[86:87], -v[76:77]
	v_fma_f64 v[74:75], -v[74:75], v[90:91], v[88:89]
	v_add_f64_e64 v[6:7], v[70:71], -v[76:77]
	s_delay_alu instid0(VALU_DEP_3) | instskip(NEXT) | instid1(VALU_DEP_3)
	v_add_f64_e64 v[66:67], v[66:67], -v[92:93]
	v_div_fmas_f64 v[70:71], v[74:75], v[82:83], v[90:91]
	v_add_f64_e32 v[74:75], v[68:69], v[72:73]
	v_cmp_class_f64_e64 vcc_lo, v[8:9], 0x204
	s_delay_alu instid0(VALU_DEP_4) | instskip(NEXT) | instid1(VALU_DEP_4)
	v_add_f64_e32 v[66:67], v[6:7], v[66:67]
	v_div_fixup_f64 v[6:7], v[70:71], v[62:63], v[64:65]
	s_delay_alu instid0(VALU_DEP_4) | instskip(NEXT) | instid1(VALU_DEP_3)
	v_add_f64_e64 v[62:63], v[74:75], -v[68:69]
	v_add_f64_e32 v[64:65], v[74:75], v[66:67]
	s_delay_alu instid0(VALU_DEP_3) | instskip(NEXT) | instid1(VALU_DEP_3)
	v_mul_f64_e32 v[66:67], v[6:7], v[6:7]
	v_add_f64_e64 v[70:71], v[74:75], -v[62:63]
	v_add_f64_e64 v[62:63], v[72:73], -v[62:63]
	s_delay_alu instid0(VALU_DEP_4) | instskip(NEXT) | instid1(VALU_DEP_4)
	v_add_f64_e32 v[74:75], v[86:87], v[64:65]
	v_fmamk_f64 v[76:77], v[66:67], 0x3eeba404b5e68a13, v[50:51]
	s_delay_alu instid0(VALU_DEP_4) | instskip(NEXT) | instid1(VALU_DEP_2)
	v_add_f64_e64 v[68:69], v[68:69], -v[70:71]
	v_fmaak_f64 v[76:77], v[66:67], v[76:77], 0x3f4b2bb069efb384
	s_delay_alu instid0(VALU_DEP_1) | instskip(NEXT) | instid1(VALU_DEP_1)
	v_fmaak_f64 v[76:77], v[66:67], v[76:77], 0xbf67952daf56de9b
	v_fmaak_f64 v[76:77], v[66:67], v[76:77], 0x3f7d6d43a595c56f
	s_delay_alu instid0(VALU_DEP_1) | instskip(SKIP_2) | instid1(VALU_DEP_3)
	v_fmaak_f64 v[72:73], v[66:67], v[76:77], 0xbf8c6ea4a57d9582
	v_add_f64_e64 v[70:71], v[74:75], -v[86:87]
	v_add_f64_e32 v[62:63], v[62:63], v[68:69]
	v_fmaak_f64 v[72:73], v[66:67], v[72:73], 0x3f967e295f08b19f
	s_delay_alu instid0(VALU_DEP_1) | instskip(NEXT) | instid1(VALU_DEP_1)
	v_fmaak_f64 v[72:73], v[66:67], v[72:73], 0xbf9e9ae6fc27006a
	v_fmaak_f64 v[72:73], v[66:67], v[72:73], 0x3fa2c15b5711927a
	s_delay_alu instid0(VALU_DEP_1) | instskip(NEXT) | instid1(VALU_DEP_1)
	v_fmaak_f64 v[72:73], v[66:67], v[72:73], 0xbfa59976e82d3ff0
	v_fmaak_f64 v[68:69], v[66:67], v[72:73], 0x3fa82d5d6ef28734
	v_add_f64_e64 v[64:65], v[64:65], -v[70:71]
	s_delay_alu instid0(VALU_DEP_2) | instskip(NEXT) | instid1(VALU_DEP_1)
	v_fmaak_f64 v[68:69], v[66:67], v[68:69], 0xbfaae5ce6a214619
	v_fmaak_f64 v[68:69], v[66:67], v[68:69], 0x3fae1bb48427b883
	s_delay_alu instid0(VALU_DEP_1) | instskip(NEXT) | instid1(VALU_DEP_4)
	v_fmaak_f64 v[68:69], v[66:67], v[68:69], 0xbfb110e48b207f05
	v_add_f64_e32 v[62:63], v[62:63], v[64:65]
	s_delay_alu instid0(VALU_DEP_2) | instskip(NEXT) | instid1(VALU_DEP_1)
	v_fmaak_f64 v[64:65], v[66:67], v[68:69], 0x3fb3b13657b87036
	v_fmaak_f64 v[64:65], v[66:67], v[64:65], 0xbfb745d119378e4f
	s_delay_alu instid0(VALU_DEP_1) | instskip(NEXT) | instid1(VALU_DEP_1)
	v_fmaak_f64 v[64:65], v[66:67], v[64:65], 0x3fbc71c717e1913c
	v_fmaak_f64 v[64:65], v[66:67], v[64:65], 0xbfc2492492376b7d
	s_delay_alu instid0(VALU_DEP_1) | instskip(SKIP_1) | instid1(VALU_DEP_2)
	v_fmaak_f64 v[64:65], v[66:67], v[64:65], 0x3fc99999999952cc
	v_add_f64_e32 v[62:63], v[74:75], v[62:63]
	v_fmaak_f64 v[64:65], v[66:67], v[64:65], 0xbfd5555555555523
	s_delay_alu instid0(VALU_DEP_1) | instskip(NEXT) | instid1(VALU_DEP_3)
	v_mul_f64_e32 v[64:65], v[66:67], v[64:65]
                                        ; implicit-def: $vgpr66_vgpr67
	v_dual_cndmask_b32 v63, v63, v9 :: v_dual_cndmask_b32 v62, v62, v8
	v_cmp_neq_f64_e32 vcc_lo, 0, v[8:9]
	s_delay_alu instid0(VALU_DEP_2) | instskip(NEXT) | instid1(VALU_DEP_4)
	v_mul_f64_e32 v[62:63], 0.5, v[62:63]
	v_fmac_f64_e32 v[6:7], v[6:7], v[64:65]
                                        ; implicit-def: $vgpr64_vgpr65
	s_delay_alu instid0(VALU_DEP_2) | instskip(NEXT) | instid1(VALU_DEP_3)
	v_cndmask_b32_e32 v9, 0xfff00000, v63, vcc_lo
	v_cndmask_b32_e32 v8, 0, v62, vcc_lo
                                        ; implicit-def: $vgpr62_vgpr63
.LBB48_93:                              ;   in Loop: Header=BB48_4 Depth=1
	s_and_not1_saveexec_b32 s8, s8
	s_cbranch_execz .LBB48_95
; %bb.94:                               ;   in Loop: Header=BB48_4 Depth=1
	v_frexp_exp_i32_f64_e32 v72, v[62:63]
	v_cmp_class_f64_e64 s48, v[14:15], 0x204
	v_cmp_class_f64_e64 s49, v[16:17], 0x204
	v_min_num_f64_e32 v[64:65], v[64:65], v[66:67]
	s_and_not1_b32 s46, s46, exec_lo
	v_sub_nc_u32_e32 v8, 0, v72
	s_or_b32 s50, s49, s48
	s_and_b32 s48, s49, s48
	s_delay_alu instid0(SALU_CYCLE_1) | instskip(SKIP_3) | instid1(VALU_DEP_1)
	s_and_b32 s48, s48, exec_lo
	s_wait_dscnt 0x0
	v_ldexp_f64 v[6:7], |v[16:17]|, v8
	s_or_b32 s46, s46, s48
	v_mul_f64_e32 v[6:7], v[6:7], v[6:7]
	v_ldexp_f64 v[8:9], |v[14:15]|, v8
	s_delay_alu instid0(VALU_DEP_1) | instskip(NEXT) | instid1(VALU_DEP_1)
	v_fmac_f64_e32 v[6:7], v[8:9], v[8:9]
	v_rsq_f64_e32 v[8:9], v[6:7]
	v_cmp_eq_f64_e32 vcc_lo, 0, v[6:7]
	s_delay_alu instid0(TRANS32_DEP_1) | instskip(SKIP_1) | instid1(VALU_DEP_1)
	v_mul_f64_e32 v[68:69], v[6:7], v[8:9]
	v_mul_f64_e32 v[8:9], 0.5, v[8:9]
	v_fma_f64 v[70:71], -v[8:9], v[68:69], 0.5
	s_delay_alu instid0(VALU_DEP_1) | instskip(SKIP_1) | instid1(VALU_DEP_2)
	v_fmac_f64_e32 v[68:69], v[68:69], v[70:71]
	v_fmac_f64_e32 v[8:9], v[8:9], v[70:71]
	v_fma_f64 v[70:71], -v[68:69], v[68:69], v[6:7]
	s_delay_alu instid0(VALU_DEP_1) | instskip(NEXT) | instid1(VALU_DEP_1)
	v_fmac_f64_e32 v[68:69], v[70:71], v[8:9]
	v_dual_cndmask_b32 v7, v69, v7 :: v_dual_cndmask_b32 v6, v68, v6
	s_delay_alu instid0(VALU_DEP_1) | instskip(NEXT) | instid1(VALU_DEP_1)
	v_ldexp_f64 v[6:7], v[6:7], v72
	v_cndmask_b32_e64 v69, v7, 0x7ff00000, s50
	s_delay_alu instid0(VALU_DEP_2) | instskip(NEXT) | instid1(VALU_DEP_1)
	v_cndmask_b32_e64 v68, v6, 0, s50
	v_frexp_mant_f64_e32 v[6:7], v[68:69]
	v_frexp_exp_i32_f64_e32 v81, v[68:69]
	s_delay_alu instid0(VALU_DEP_2) | instskip(SKIP_1) | instid1(VALU_DEP_1)
	v_cmp_gt_f64_e32 vcc_lo, s[20:21], v[6:7]
	v_cndmask_b32_e64 v8, 0, 1, vcc_lo
	v_ldexp_f64 v[6:7], v[6:7], v8
	s_delay_alu instid0(VALU_DEP_1) | instskip(SKIP_1) | instid1(VALU_DEP_2)
	v_add_f64_e32 v[8:9], 1.0, v[6:7]
	v_add_f64_e32 v[74:75], -1.0, v[6:7]
	v_rcp_f64_e32 v[70:71], v[8:9]
	v_add_f64_e32 v[76:77], -1.0, v[8:9]
	s_delay_alu instid0(VALU_DEP_1) | instskip(NEXT) | instid1(TRANS32_DEP_1)
	v_add_f64_e64 v[6:7], v[6:7], -v[76:77]
	v_fma_f64 v[72:73], -v[8:9], v[70:71], 1.0
	s_delay_alu instid0(VALU_DEP_1) | instskip(NEXT) | instid1(VALU_DEP_1)
	v_fmac_f64_e32 v[70:71], v[72:73], v[70:71]
	v_fma_f64 v[72:73], -v[8:9], v[70:71], 1.0
	s_delay_alu instid0(VALU_DEP_1) | instskip(NEXT) | instid1(VALU_DEP_1)
	v_fmac_f64_e32 v[70:71], v[72:73], v[70:71]
	v_mul_f64_e32 v[72:73], v[74:75], v[70:71]
	s_delay_alu instid0(VALU_DEP_1) | instskip(NEXT) | instid1(VALU_DEP_1)
	v_mul_f64_e32 v[82:83], v[8:9], v[72:73]
	v_fma_f64 v[8:9], v[72:73], v[8:9], -v[82:83]
	s_delay_alu instid0(VALU_DEP_1) | instskip(NEXT) | instid1(VALU_DEP_1)
	v_fmac_f64_e32 v[8:9], v[72:73], v[6:7]
	v_add_f64_e32 v[6:7], v[82:83], v[8:9]
	s_delay_alu instid0(VALU_DEP_1) | instskip(SKIP_1) | instid1(VALU_DEP_2)
	v_add_f64_e64 v[76:77], v[74:75], -v[6:7]
	v_add_f64_e64 v[82:83], v[6:7], -v[82:83]
	;; [unrolled: 1-line block ×3, first 2 shown]
	s_delay_alu instid0(VALU_DEP_2) | instskip(NEXT) | instid1(VALU_DEP_2)
	v_add_f64_e64 v[8:9], v[82:83], -v[8:9]
	v_add_f64_e64 v[6:7], v[74:75], -v[6:7]
	s_delay_alu instid0(VALU_DEP_1) | instskip(NEXT) | instid1(VALU_DEP_1)
	v_add_f64_e32 v[6:7], v[8:9], v[6:7]
	v_add_f64_e32 v[6:7], v[76:77], v[6:7]
	s_delay_alu instid0(VALU_DEP_1) | instskip(NEXT) | instid1(VALU_DEP_1)
	v_mul_f64_e32 v[6:7], v[70:71], v[6:7]
	v_add_f64_e32 v[8:9], v[72:73], v[6:7]
	s_delay_alu instid0(VALU_DEP_1) | instskip(NEXT) | instid1(VALU_DEP_1)
	v_mul_f64_e32 v[70:71], v[8:9], v[8:9]
	v_fmamk_f64 v[74:75], v[70:71], 0x3fc3ab76bf559e2b, v[46:47]
	v_mul_f64_e32 v[76:77], v[8:9], v[70:71]
	s_delay_alu instid0(VALU_DEP_2) | instskip(NEXT) | instid1(VALU_DEP_1)
	v_fmaak_f64 v[74:75], v[70:71], v[74:75], 0x3fc7474dd7f4df2e
	v_fmaak_f64 v[66:67], v[70:71], v[74:75], 0x3fcc71c016291751
	v_div_scale_f64 v[74:75], null, v[62:63], v[62:63], v[64:65]
	s_delay_alu instid0(VALU_DEP_2) | instskip(NEXT) | instid1(VALU_DEP_1)
	v_fmaak_f64 v[66:67], v[70:71], v[66:67], 0x3fd249249b27acf1
	v_fmaak_f64 v[66:67], v[70:71], v[66:67], 0x3fd99999998ef7b6
	s_delay_alu instid0(VALU_DEP_1) | instskip(SKIP_2) | instid1(VALU_DEP_3)
	v_fmaak_f64 v[66:67], v[70:71], v[66:67], 0x3fe5555555555780
	v_ldexp_f64 v[70:71], v[8:9], 1
	v_add_f64_e64 v[8:9], v[8:9], -v[72:73]
	v_mul_f64_e32 v[66:67], v[76:77], v[66:67]
	v_subrev_co_ci_u32_e64 v76, null, 0, v81, vcc_lo
	v_rcp_f64_e32 v[82:83], v[74:75]
	s_delay_alu instid0(VALU_DEP_1) | instskip(NEXT) | instid1(VALU_DEP_4)
	v_cvt_f64_i32_e32 v[76:77], v76
	v_add_f64_e64 v[6:7], v[6:7], -v[8:9]
	s_delay_alu instid0(VALU_DEP_4) | instskip(NEXT) | instid1(VALU_DEP_3)
	v_add_f64_e32 v[72:73], v[70:71], v[66:67]
	v_mul_f64_e32 v[84:85], 0x3fe62e42fefa39ef, v[76:77]
	s_delay_alu instid0(VALU_DEP_3) | instskip(NEXT) | instid1(VALU_DEP_3)
	v_ldexp_f64 v[6:7], v[6:7], 1
	v_add_f64_e64 v[8:9], v[72:73], -v[70:71]
	s_delay_alu instid0(TRANS32_DEP_1) | instskip(NEXT) | instid1(VALU_DEP_4)
	v_fma_f64 v[70:71], -v[74:75], v[82:83], 1.0
	v_fma_f64 v[86:87], v[76:77], s[22:23], -v[84:85]
	s_delay_alu instid0(VALU_DEP_3) | instskip(NEXT) | instid1(VALU_DEP_3)
	v_add_f64_e64 v[8:9], v[66:67], -v[8:9]
	v_fmac_f64_e32 v[82:83], v[82:83], v[70:71]
	s_delay_alu instid0(VALU_DEP_3) | instskip(SKIP_1) | instid1(VALU_DEP_4)
	v_fmac_f64_e32 v[86:87], 0x3c7abc9e3b39803f, v[76:77]
	v_div_scale_f64 v[76:77], vcc_lo, v[64:65], v[62:63], v[64:65]
	v_add_f64_e32 v[6:7], v[6:7], v[8:9]
	s_delay_alu instid0(VALU_DEP_4) | instskip(NEXT) | instid1(VALU_DEP_4)
	v_fma_f64 v[8:9], -v[74:75], v[82:83], 1.0
	v_add_f64_e32 v[66:67], v[84:85], v[86:87]
	s_delay_alu instid0(VALU_DEP_3) | instskip(NEXT) | instid1(VALU_DEP_3)
	v_add_f64_e32 v[70:71], v[72:73], v[6:7]
	v_fmac_f64_e32 v[82:83], v[82:83], v[8:9]
	s_delay_alu instid0(VALU_DEP_2) | instskip(NEXT) | instid1(VALU_DEP_2)
	v_add_f64_e32 v[8:9], v[66:67], v[70:71]
	v_mul_f64_e32 v[88:89], v[76:77], v[82:83]
	v_add_f64_e64 v[72:73], v[70:71], -v[72:73]
	s_delay_alu instid0(VALU_DEP_3) | instskip(NEXT) | instid1(VALU_DEP_3)
	v_add_f64_e64 v[90:91], v[8:9], -v[66:67]
	v_fma_f64 v[74:75], -v[74:75], v[88:89], v[76:77]
	v_add_f64_e64 v[76:77], v[66:67], -v[84:85]
	s_delay_alu instid0(VALU_DEP_4) | instskip(NEXT) | instid1(VALU_DEP_4)
	v_add_f64_e64 v[72:73], v[6:7], -v[72:73]
	v_add_f64_e64 v[84:85], v[8:9], -v[90:91]
	s_delay_alu instid0(VALU_DEP_4) | instskip(NEXT) | instid1(VALU_DEP_4)
	v_div_fmas_f64 v[74:75], v[74:75], v[82:83], v[88:89]
	v_add_f64_e64 v[76:77], v[86:87], -v[76:77]
	v_add_f64_e64 v[70:71], v[70:71], -v[90:91]
	v_cmp_class_f64_e64 vcc_lo, v[68:69], 0x204
	v_add_f64_e64 v[66:67], v[66:67], -v[84:85]
	v_div_fixup_f64 v[6:7], v[74:75], v[62:63], v[64:65]
	v_add_f64_e32 v[62:63], v[76:77], v[72:73]
	s_delay_alu instid0(VALU_DEP_3) | instskip(NEXT) | instid1(VALU_DEP_3)
	v_add_f64_e32 v[64:65], v[70:71], v[66:67]
	v_mul_f64_e32 v[66:67], v[6:7], v[6:7]
	s_delay_alu instid0(VALU_DEP_3) | instskip(NEXT) | instid1(VALU_DEP_3)
	v_add_f64_e64 v[70:71], v[62:63], -v[76:77]
	v_add_f64_e32 v[64:65], v[62:63], v[64:65]
	s_delay_alu instid0(VALU_DEP_3) | instskip(NEXT) | instid1(VALU_DEP_3)
	v_fmamk_f64 v[74:75], v[66:67], 0x3eeba404b5e68a13, v[50:51]
	v_add_f64_e64 v[62:63], v[62:63], -v[70:71]
	v_add_f64_e64 v[70:71], v[72:73], -v[70:71]
	s_delay_alu instid0(VALU_DEP_3) | instskip(NEXT) | instid1(VALU_DEP_1)
	v_fmaak_f64 v[74:75], v[66:67], v[74:75], 0x3f4b2bb069efb384
	v_fmaak_f64 v[74:75], v[66:67], v[74:75], 0xbf67952daf56de9b
	s_delay_alu instid0(VALU_DEP_1) | instskip(NEXT) | instid1(VALU_DEP_1)
	v_fmaak_f64 v[74:75], v[66:67], v[74:75], 0x3f7d6d43a595c56f
	v_fmaak_f64 v[74:75], v[66:67], v[74:75], 0xbf8c6ea4a57d9582
	v_add_f64_e32 v[82:83], v[8:9], v[64:65]
	v_add_f64_e64 v[62:63], v[76:77], -v[62:63]
	s_delay_alu instid0(VALU_DEP_3) | instskip(NEXT) | instid1(VALU_DEP_1)
	v_fmaak_f64 v[74:75], v[66:67], v[74:75], 0x3f967e295f08b19f
	v_fmaak_f64 v[74:75], v[66:67], v[74:75], 0xbf9e9ae6fc27006a
	s_delay_alu instid0(VALU_DEP_1) | instskip(NEXT) | instid1(VALU_DEP_1)
	v_fmaak_f64 v[74:75], v[66:67], v[74:75], 0x3fa2c15b5711927a
	v_fmaak_f64 v[72:73], v[66:67], v[74:75], 0xbfa59976e82d3ff0
	s_delay_alu instid0(VALU_DEP_1) | instskip(SKIP_2) | instid1(VALU_DEP_3)
	v_fmaak_f64 v[72:73], v[66:67], v[72:73], 0x3fa82d5d6ef28734
	v_add_f64_e64 v[8:9], v[82:83], -v[8:9]
	v_add_f64_e32 v[62:63], v[70:71], v[62:63]
	v_fmaak_f64 v[72:73], v[66:67], v[72:73], 0xbfaae5ce6a214619
	s_delay_alu instid0(VALU_DEP_1) | instskip(NEXT) | instid1(VALU_DEP_1)
	v_fmaak_f64 v[72:73], v[66:67], v[72:73], 0x3fae1bb48427b883
	v_fmaak_f64 v[72:73], v[66:67], v[72:73], 0xbfb110e48b207f05
	v_add_f64_e64 v[8:9], v[64:65], -v[8:9]
	s_delay_alu instid0(VALU_DEP_2) | instskip(NEXT) | instid1(VALU_DEP_1)
	v_fmaak_f64 v[64:65], v[66:67], v[72:73], 0x3fb3b13657b87036
	v_fmaak_f64 v[64:65], v[66:67], v[64:65], 0xbfb745d119378e4f
	s_delay_alu instid0(VALU_DEP_1) | instskip(NEXT) | instid1(VALU_DEP_1)
	v_fmaak_f64 v[64:65], v[66:67], v[64:65], 0x3fbc71c717e1913c
	v_fmaak_f64 v[64:65], v[66:67], v[64:65], 0xbfc2492492376b7d
	v_add_f64_e32 v[8:9], v[62:63], v[8:9]
	s_delay_alu instid0(VALU_DEP_2) | instskip(NEXT) | instid1(VALU_DEP_1)
	v_fmaak_f64 v[62:63], v[66:67], v[64:65], 0x3fc99999999952cc
	v_fmaak_f64 v[62:63], v[66:67], v[62:63], 0xbfd5555555555523
	s_delay_alu instid0(VALU_DEP_1) | instskip(NEXT) | instid1(VALU_DEP_4)
	v_mul_f64_e32 v[62:63], v[66:67], v[62:63]
	v_add_f64_e32 v[8:9], v[82:83], v[8:9]
	s_delay_alu instid0(VALU_DEP_2) | instskip(NEXT) | instid1(VALU_DEP_2)
	v_fmac_f64_e32 v[6:7], v[6:7], v[62:63]
	v_dual_cndmask_b32 v8, v8, v68 :: v_dual_cndmask_b32 v9, v9, v69
	v_cmp_ngt_f64_e32 vcc_lo, 0, v[68:69]
	s_delay_alu instid0(VALU_DEP_2) | instskip(SKIP_1) | instid1(VALU_DEP_4)
	v_cndmask_b32_e32 v9, 0x7ff80000, v9, vcc_lo
	v_cmp_nge_f64_e32 vcc_lo, 0, v[68:69]
	v_cndmask_b32_e32 v8, 0, v8, vcc_lo
	v_cmp_neq_f64_e32 vcc_lo, 0, v[68:69]
	s_delay_alu instid0(VALU_DEP_4)
	v_cndmask_b32_e32 v9, 0xfff00000, v9, vcc_lo
.LBB48_95:                              ;   in Loop: Header=BB48_4 Depth=1
	s_or_b32 exec_lo, exec_lo, s8
                                        ; implicit-def: $vgpr64_vgpr65
                                        ; implicit-def: $vgpr66_vgpr67
                                        ; implicit-def: $vgpr62_vgpr63
.LBB48_96:                              ;   in Loop: Header=BB48_4 Depth=1
	s_and_not1_saveexec_b32 s47, s47
	s_cbranch_execz .LBB48_98
; %bb.97:                               ;   in Loop: Header=BB48_4 Depth=1
	s_wait_dscnt 0x0
	v_div_scale_f64 v[6:7], null, s[40:41], s[40:41], v[14:15]
	v_div_scale_f64 v[8:9], null, s[40:41], s[40:41], v[16:17]
	v_div_scale_f64 v[76:77], vcc_lo, v[14:15], s[40:41], v[14:15]
	v_min_num_f64_e32 v[64:65], v[64:65], v[66:67]
	s_and_not1_b32 s46, s46, exec_lo
	s_delay_alu instid0(VALU_DEP_4) | instskip(NEXT) | instid1(VALU_DEP_3)
	v_rcp_f64_e32 v[68:69], v[6:7]
	v_rcp_f64_e32 v[70:71], v[8:9]
	s_delay_alu instid0(TRANS32_DEP_2) | instskip(NEXT) | instid1(TRANS32_DEP_1)
	v_fma_f64 v[72:73], -v[6:7], v[68:69], 1.0
	v_fma_f64 v[74:75], -v[8:9], v[70:71], 1.0
	s_delay_alu instid0(VALU_DEP_2) | instskip(NEXT) | instid1(VALU_DEP_2)
	v_fmac_f64_e32 v[68:69], v[68:69], v[72:73]
	v_fmac_f64_e32 v[70:71], v[70:71], v[74:75]
	s_delay_alu instid0(VALU_DEP_2) | instskip(NEXT) | instid1(VALU_DEP_2)
	v_fma_f64 v[72:73], -v[6:7], v[68:69], 1.0
	v_fma_f64 v[74:75], -v[8:9], v[70:71], 1.0
	s_delay_alu instid0(VALU_DEP_2) | instskip(SKIP_1) | instid1(VALU_DEP_3)
	v_fmac_f64_e32 v[68:69], v[68:69], v[72:73]
	v_div_scale_f64 v[72:73], s8, v[16:17], s[40:41], v[16:17]
	v_fmac_f64_e32 v[70:71], v[70:71], v[74:75]
	s_delay_alu instid0(VALU_DEP_3) | instskip(NEXT) | instid1(VALU_DEP_2)
	v_mul_f64_e32 v[74:75], v[76:77], v[68:69]
	v_mul_f64_e32 v[82:83], v[72:73], v[70:71]
	s_delay_alu instid0(VALU_DEP_2) | instskip(NEXT) | instid1(VALU_DEP_2)
	v_fma_f64 v[6:7], -v[6:7], v[74:75], v[76:77]
	v_fma_f64 v[8:9], -v[8:9], v[82:83], v[72:73]
	s_delay_alu instid0(VALU_DEP_2) | instskip(SKIP_1) | instid1(VALU_DEP_2)
	v_div_fmas_f64 v[6:7], v[6:7], v[68:69], v[74:75]
	s_mov_b32 vcc_lo, s8
	v_div_fmas_f64 v[8:9], v[8:9], v[70:71], v[82:83]
	s_delay_alu instid0(VALU_DEP_2) | instskip(NEXT) | instid1(VALU_DEP_2)
	v_div_fixup_f64 v[6:7], v[6:7], s[40:41], v[14:15]
	v_div_fixup_f64 v[8:9], v[8:9], s[40:41], v[16:17]
	s_delay_alu instid0(VALU_DEP_2) | instskip(NEXT) | instid1(VALU_DEP_2)
	v_cmp_class_f64_e64 s8, v[6:7], 0x204
	v_max_num_f64_e64 v[68:69], |v[6:7]|, |v[8:9]|
	v_cmp_class_f64_e64 s48, v[8:9], 0x204
	s_delay_alu instid0(VALU_DEP_2) | instskip(SKIP_2) | instid1(VALU_DEP_2)
	v_frexp_exp_i32_f64_e32 v76, v[68:69]
	s_or_b32 s8, s48, s8
	v_cmp_class_f64_e64 s48, v[14:15], 0x204
	v_sub_nc_u32_e32 v70, 0, v76
	s_delay_alu instid0(VALU_DEP_1) | instskip(SKIP_1) | instid1(VALU_DEP_2)
	v_ldexp_f64 v[68:69], |v[8:9]|, v70
	v_ldexp_f64 v[70:71], |v[6:7]|, v70
	v_mul_f64_e32 v[68:69], v[68:69], v[68:69]
	s_delay_alu instid0(VALU_DEP_1) | instskip(NEXT) | instid1(VALU_DEP_1)
	v_fmac_f64_e32 v[68:69], v[70:71], v[70:71]
	v_rsq_f64_e32 v[70:71], v[68:69]
	v_cmp_eq_f64_e32 vcc_lo, 0, v[68:69]
	s_delay_alu instid0(TRANS32_DEP_1) | instskip(SKIP_1) | instid1(VALU_DEP_1)
	v_mul_f64_e32 v[72:73], v[68:69], v[70:71]
	v_mul_f64_e32 v[70:71], 0.5, v[70:71]
	v_fma_f64 v[74:75], -v[70:71], v[72:73], 0.5
	s_delay_alu instid0(VALU_DEP_1) | instskip(SKIP_1) | instid1(VALU_DEP_2)
	v_fmac_f64_e32 v[72:73], v[72:73], v[74:75]
	v_fmac_f64_e32 v[70:71], v[70:71], v[74:75]
	v_fma_f64 v[74:75], -v[72:73], v[72:73], v[68:69]
	s_delay_alu instid0(VALU_DEP_1) | instskip(NEXT) | instid1(VALU_DEP_1)
	v_fmac_f64_e32 v[72:73], v[74:75], v[70:71]
	v_dual_cndmask_b32 v69, v73, v69 :: v_dual_cndmask_b32 v68, v72, v68
	s_delay_alu instid0(VALU_DEP_1) | instskip(NEXT) | instid1(VALU_DEP_1)
	v_ldexp_f64 v[6:7], v[68:69], v76
	v_cndmask_b32_e64 v69, v7, 0x7ff00000, s8
	s_delay_alu instid0(VALU_DEP_2) | instskip(SKIP_1) | instid1(VALU_DEP_2)
	v_cndmask_b32_e64 v68, v6, 0, s8
	v_cmp_class_f64_e64 s8, v[16:17], 0x204
	v_frexp_mant_f64_e32 v[6:7], v[68:69]
	v_frexp_exp_i32_f64_e32 v81, v[68:69]
	s_and_b32 s8, s8, s48
	s_delay_alu instid0(SALU_CYCLE_1) | instskip(NEXT) | instid1(VALU_DEP_2)
	s_and_b32 s8, s8, exec_lo
	v_cmp_gt_f64_e32 vcc_lo, s[20:21], v[6:7]
	s_or_b32 s46, s46, s8
	v_cndmask_b32_e64 v8, 0, 1, vcc_lo
	s_delay_alu instid0(VALU_DEP_3) | instskip(SKIP_1) | instid1(VALU_DEP_3)
	v_subrev_co_ci_u32_e64 v66, null, 0, v81, vcc_lo
	v_div_scale_f64 v[88:89], vcc_lo, v[64:65], v[62:63], v[64:65]
	v_ldexp_f64 v[6:7], v[6:7], v8
	s_delay_alu instid0(VALU_DEP_3) | instskip(NEXT) | instid1(VALU_DEP_2)
	v_cvt_f64_i32_e32 v[66:67], v66
	v_add_f64_e32 v[8:9], 1.0, v[6:7]
	v_add_f64_e32 v[74:75], -1.0, v[6:7]
	s_delay_alu instid0(VALU_DEP_2) | instskip(SKIP_1) | instid1(VALU_DEP_1)
	v_rcp_f64_e32 v[70:71], v[8:9]
	v_add_f64_e32 v[76:77], -1.0, v[8:9]
	v_add_f64_e64 v[6:7], v[6:7], -v[76:77]
	s_delay_alu instid0(TRANS32_DEP_1) | instskip(NEXT) | instid1(VALU_DEP_1)
	v_fma_f64 v[72:73], -v[8:9], v[70:71], 1.0
	v_fmac_f64_e32 v[70:71], v[72:73], v[70:71]
	s_delay_alu instid0(VALU_DEP_1) | instskip(NEXT) | instid1(VALU_DEP_1)
	v_fma_f64 v[72:73], -v[8:9], v[70:71], 1.0
	v_fmac_f64_e32 v[70:71], v[72:73], v[70:71]
	s_delay_alu instid0(VALU_DEP_1) | instskip(NEXT) | instid1(VALU_DEP_1)
	v_mul_f64_e32 v[72:73], v[74:75], v[70:71]
	v_mul_f64_e32 v[82:83], v[8:9], v[72:73]
	s_delay_alu instid0(VALU_DEP_1) | instskip(NEXT) | instid1(VALU_DEP_1)
	v_fma_f64 v[8:9], v[72:73], v[8:9], -v[82:83]
	v_fmac_f64_e32 v[8:9], v[72:73], v[6:7]
	s_delay_alu instid0(VALU_DEP_1) | instskip(NEXT) | instid1(VALU_DEP_1)
	v_add_f64_e32 v[6:7], v[82:83], v[8:9]
	v_add_f64_e64 v[76:77], v[74:75], -v[6:7]
	v_add_f64_e64 v[82:83], v[6:7], -v[82:83]
	s_delay_alu instid0(VALU_DEP_2) | instskip(NEXT) | instid1(VALU_DEP_2)
	v_add_f64_e64 v[74:75], v[74:75], -v[76:77]
	v_add_f64_e64 v[8:9], v[82:83], -v[8:9]
	v_mul_f64_e32 v[82:83], 0x3fe62e42fefa39ef, v[66:67]
	s_delay_alu instid0(VALU_DEP_3) | instskip(NEXT) | instid1(VALU_DEP_2)
	v_add_f64_e64 v[6:7], v[74:75], -v[6:7]
	v_fma_f64 v[84:85], v[66:67], s[22:23], -v[82:83]
	s_delay_alu instid0(VALU_DEP_2) | instskip(NEXT) | instid1(VALU_DEP_2)
	v_add_f64_e32 v[6:7], v[8:9], v[6:7]
	v_fmac_f64_e32 v[84:85], 0x3c7abc9e3b39803f, v[66:67]
	s_delay_alu instid0(VALU_DEP_2) | instskip(NEXT) | instid1(VALU_DEP_1)
	v_add_f64_e32 v[6:7], v[76:77], v[6:7]
	v_mul_f64_e32 v[6:7], v[70:71], v[6:7]
	s_delay_alu instid0(VALU_DEP_1) | instskip(NEXT) | instid1(VALU_DEP_1)
	v_add_f64_e32 v[8:9], v[72:73], v[6:7]
	v_mul_f64_e32 v[70:71], v[8:9], v[8:9]
	s_delay_alu instid0(VALU_DEP_1) | instskip(SKIP_1) | instid1(VALU_DEP_2)
	v_fmamk_f64 v[74:75], v[70:71], 0x3fc3ab76bf559e2b, v[46:47]
	v_mul_f64_e32 v[76:77], v[8:9], v[70:71]
	v_fmaak_f64 v[74:75], v[70:71], v[74:75], 0x3fc7474dd7f4df2e
	s_delay_alu instid0(VALU_DEP_1) | instskip(NEXT) | instid1(VALU_DEP_1)
	v_fmaak_f64 v[74:75], v[70:71], v[74:75], 0x3fcc71c016291751
	v_fmaak_f64 v[74:75], v[70:71], v[74:75], 0x3fd249249b27acf1
	s_delay_alu instid0(VALU_DEP_1) | instskip(NEXT) | instid1(VALU_DEP_1)
	v_fmaak_f64 v[74:75], v[70:71], v[74:75], 0x3fd99999998ef7b6
	v_fmaak_f64 v[70:71], v[70:71], v[74:75], 0x3fe5555555555780
	v_ldexp_f64 v[74:75], v[8:9], 1
	v_add_f64_e64 v[8:9], v[8:9], -v[72:73]
	s_delay_alu instid0(VALU_DEP_3) | instskip(SKIP_1) | instid1(VALU_DEP_3)
	v_mul_f64_e32 v[70:71], v[76:77], v[70:71]
	v_div_scale_f64 v[76:77], null, v[62:63], v[62:63], v[64:65]
	v_add_f64_e64 v[6:7], v[6:7], -v[8:9]
	s_delay_alu instid0(VALU_DEP_3) | instskip(NEXT) | instid1(VALU_DEP_2)
	v_add_f64_e32 v[72:73], v[74:75], v[70:71]
	v_ldexp_f64 v[6:7], v[6:7], 1
	s_delay_alu instid0(VALU_DEP_2) | instskip(SKIP_1) | instid1(VALU_DEP_1)
	v_add_f64_e64 v[8:9], v[72:73], -v[74:75]
	v_rcp_f64_e32 v[74:75], v[76:77]
	v_add_f64_e64 v[8:9], v[70:71], -v[8:9]
	s_delay_alu instid0(TRANS32_DEP_1) | instskip(NEXT) | instid1(VALU_DEP_2)
	v_fma_f64 v[70:71], -v[76:77], v[74:75], 1.0
	v_add_f64_e32 v[6:7], v[6:7], v[8:9]
	v_add_f64_e32 v[8:9], v[82:83], v[84:85]
	s_delay_alu instid0(VALU_DEP_3) | instskip(NEXT) | instid1(VALU_DEP_3)
	v_fmac_f64_e32 v[74:75], v[74:75], v[70:71]
	v_add_f64_e32 v[66:67], v[72:73], v[6:7]
	s_delay_alu instid0(VALU_DEP_3) | instskip(NEXT) | instid1(VALU_DEP_3)
	v_add_f64_e64 v[82:83], v[8:9], -v[82:83]
	v_fma_f64 v[70:71], -v[76:77], v[74:75], 1.0
	s_delay_alu instid0(VALU_DEP_3) | instskip(SKIP_1) | instid1(VALU_DEP_4)
	v_add_f64_e32 v[86:87], v[8:9], v[66:67]
	v_add_f64_e64 v[72:73], v[66:67], -v[72:73]
	v_add_f64_e64 v[82:83], v[84:85], -v[82:83]
	s_delay_alu instid0(VALU_DEP_4) | instskip(NEXT) | instid1(VALU_DEP_4)
	v_fmac_f64_e32 v[74:75], v[74:75], v[70:71]
	v_add_f64_e64 v[70:71], v[86:87], -v[8:9]
	s_delay_alu instid0(VALU_DEP_4) | instskip(NEXT) | instid1(VALU_DEP_3)
	v_add_f64_e64 v[72:73], v[6:7], -v[72:73]
	v_mul_f64_e32 v[90:91], v[88:89], v[74:75]
	s_delay_alu instid0(VALU_DEP_3) | instskip(SKIP_1) | instid1(VALU_DEP_4)
	v_add_f64_e64 v[92:93], v[86:87], -v[70:71]
	v_add_f64_e64 v[6:7], v[66:67], -v[70:71]
	v_add_f64_e32 v[70:71], v[82:83], v[72:73]
	s_delay_alu instid0(VALU_DEP_4) | instskip(NEXT) | instid1(VALU_DEP_4)
	v_fma_f64 v[76:77], -v[76:77], v[90:91], v[88:89]
	v_add_f64_e64 v[8:9], v[8:9], -v[92:93]
	s_delay_alu instid0(VALU_DEP_2) | instskip(SKIP_1) | instid1(VALU_DEP_3)
	v_div_fmas_f64 v[66:67], v[76:77], v[74:75], v[90:91]
	v_cmp_class_f64_e64 vcc_lo, v[68:69], 0x204
	v_add_f64_e32 v[8:9], v[6:7], v[8:9]
	s_delay_alu instid0(VALU_DEP_3) | instskip(SKIP_1) | instid1(VALU_DEP_3)
	v_div_fixup_f64 v[6:7], v[66:67], v[62:63], v[64:65]
	v_add_f64_e64 v[62:63], v[70:71], -v[82:83]
	v_add_f64_e32 v[8:9], v[70:71], v[8:9]
	s_delay_alu instid0(VALU_DEP_3) | instskip(NEXT) | instid1(VALU_DEP_3)
	v_mul_f64_e32 v[64:65], v[6:7], v[6:7]
	v_add_f64_e64 v[66:67], v[70:71], -v[62:63]
	v_add_f64_e64 v[62:63], v[72:73], -v[62:63]
	s_delay_alu instid0(VALU_DEP_4) | instskip(NEXT) | instid1(VALU_DEP_4)
	v_add_f64_e32 v[70:71], v[86:87], v[8:9]
	v_fmamk_f64 v[74:75], v[64:65], 0x3eeba404b5e68a13, v[50:51]
	s_delay_alu instid0(VALU_DEP_4) | instskip(NEXT) | instid1(VALU_DEP_2)
	v_add_f64_e64 v[66:67], v[82:83], -v[66:67]
	v_fmaak_f64 v[74:75], v[64:65], v[74:75], 0x3f4b2bb069efb384
	s_delay_alu instid0(VALU_DEP_1) | instskip(NEXT) | instid1(VALU_DEP_1)
	v_fmaak_f64 v[74:75], v[64:65], v[74:75], 0xbf67952daf56de9b
	v_fmaak_f64 v[74:75], v[64:65], v[74:75], 0x3f7d6d43a595c56f
	v_add_f64_e64 v[72:73], v[70:71], -v[86:87]
	s_delay_alu instid0(VALU_DEP_2) | instskip(SKIP_1) | instid1(VALU_DEP_2)
	v_fmaak_f64 v[74:75], v[64:65], v[74:75], 0xbf8c6ea4a57d9582
	v_add_f64_e32 v[62:63], v[62:63], v[66:67]
	v_fmaak_f64 v[74:75], v[64:65], v[74:75], 0x3f967e295f08b19f
	s_delay_alu instid0(VALU_DEP_1) | instskip(NEXT) | instid1(VALU_DEP_1)
	v_fmaak_f64 v[74:75], v[64:65], v[74:75], 0xbf9e9ae6fc27006a
	v_fmaak_f64 v[74:75], v[64:65], v[74:75], 0x3fa2c15b5711927a
	s_delay_alu instid0(VALU_DEP_1) | instskip(SKIP_1) | instid1(VALU_DEP_2)
	v_fmaak_f64 v[66:67], v[64:65], v[74:75], 0xbfa59976e82d3ff0
	v_add_f64_e64 v[8:9], v[8:9], -v[72:73]
	v_fmaak_f64 v[66:67], v[64:65], v[66:67], 0x3fa82d5d6ef28734
	s_delay_alu instid0(VALU_DEP_1) | instskip(NEXT) | instid1(VALU_DEP_1)
	v_fmaak_f64 v[66:67], v[64:65], v[66:67], 0xbfaae5ce6a214619
	v_fmaak_f64 v[66:67], v[64:65], v[66:67], 0x3fae1bb48427b883
	s_delay_alu instid0(VALU_DEP_1) | instskip(SKIP_1) | instid1(VALU_DEP_2)
	v_fmaak_f64 v[66:67], v[64:65], v[66:67], 0xbfb110e48b207f05
	v_add_f64_e32 v[8:9], v[62:63], v[8:9]
	v_fmaak_f64 v[62:63], v[64:65], v[66:67], 0x3fb3b13657b87036
	s_delay_alu instid0(VALU_DEP_1) | instskip(NEXT) | instid1(VALU_DEP_1)
	v_fmaak_f64 v[62:63], v[64:65], v[62:63], 0xbfb745d119378e4f
	v_fmaak_f64 v[62:63], v[64:65], v[62:63], 0x3fbc71c717e1913c
	s_delay_alu instid0(VALU_DEP_1) | instskip(NEXT) | instid1(VALU_DEP_1)
	v_fmaak_f64 v[62:63], v[64:65], v[62:63], 0xbfc2492492376b7d
	v_fmaak_f64 v[62:63], v[64:65], v[62:63], 0x3fc99999999952cc
	v_add_f64_e32 v[8:9], v[70:71], v[8:9]
	s_delay_alu instid0(VALU_DEP_2) | instskip(NEXT) | instid1(VALU_DEP_1)
	v_fmaak_f64 v[62:63], v[64:65], v[62:63], 0xbfd5555555555523
	v_mul_f64_e32 v[62:63], v[64:65], v[62:63]
	s_delay_alu instid0(VALU_DEP_3) | instskip(SKIP_1) | instid1(VALU_DEP_2)
	v_dual_cndmask_b32 v9, v9, v69 :: v_dual_cndmask_b32 v8, v8, v68
	v_cmp_ngt_f64_e32 vcc_lo, 0, v[68:69]
	v_add_f64_e32 v[8:9], 1.0, v[8:9]
	s_delay_alu instid0(VALU_DEP_4) | instskip(NEXT) | instid1(VALU_DEP_2)
	v_fmac_f64_e32 v[6:7], v[6:7], v[62:63]
	v_cndmask_b32_e32 v9, 0x7ff80000, v9, vcc_lo
	v_cmp_nge_f64_e32 vcc_lo, 0, v[68:69]
	s_delay_alu instid0(VALU_DEP_4) | instskip(SKIP_1) | instid1(VALU_DEP_4)
	v_cndmask_b32_e32 v8, 0, v8, vcc_lo
	v_cmp_neq_f64_e32 vcc_lo, 0, v[68:69]
	v_cndmask_b32_e32 v9, 0xfff00000, v9, vcc_lo
.LBB48_98:                              ;   in Loop: Header=BB48_4 Depth=1
	s_or_b32 exec_lo, exec_lo, s47
	s_wait_dscnt 0x0
	s_delay_alu instid0(VALU_DEP_3) | instskip(NEXT) | instid1(VALU_DEP_2)
	v_add_f64_e64 v[62:63], -v[6:7], s[34:35]
	v_add_f64_e32 v[8:9], 0x3fe62e42fefa39ef, v[8:9]
	v_cmp_gt_i32_e32 vcc_lo, 0, v15
	s_delay_alu instid0(VALU_DEP_3) | instskip(SKIP_2) | instid1(VALU_DEP_3)
	v_dual_cndmask_b32 v7, v7, v63, s7 :: v_dual_cndmask_b32 v6, v6, v62, s7
	v_cmp_eq_f64_e64 s7, 0, v[16:17]
	v_cndmask_b32_e32 v16, 0x3fe921fb, v80, vcc_lo
	v_add_f64_e64 v[62:63], -v[6:7], s[36:37]
	v_ashrrev_i32_e32 v14, 31, v15
	v_cndmask_b32_e32 v15, 0x54442d18, v79, vcc_lo
	s_delay_alu instid0(VALU_DEP_4) | instskip(NEXT) | instid1(VALU_DEP_4)
	v_bfi_b32 v16, 0x7fffffff, v16, v17
	v_cndmask_b32_e32 v6, v6, v62, vcc_lo
	s_delay_alu instid0(VALU_DEP_4) | instskip(SKIP_1) | instid1(VALU_DEP_2)
	v_and_b32_e32 v64, 0x54442d18, v14
	v_and_b32_e32 v14, 0x400921fb, v14
	v_dual_cndmask_b32 v7, v7, v63, vcc_lo :: v_dual_cndmask_b32 v6, v6, v64, s7
	s_delay_alu instid0(VALU_DEP_1) | instskip(SKIP_1) | instid1(VALU_DEP_2)
	v_cndmask_b32_e64 v7, v7, v14, s7
	v_xor_b32_e32 v14, 0x80000000, v9
	v_dual_cndmask_b32 v6, v6, v15, s46 :: v_dual_cndmask_b32 v7, v7, v16, s46
	s_delay_alu instid0(VALU_DEP_2) | instskip(NEXT) | instid1(VALU_DEP_2)
	v_cndmask_b32_e64 v9, v14, v9, s6
	v_and_b32_e32 v7, 0x7fffffff, v7
.LBB48_99:                              ;   in Loop: Header=BB48_4 Depth=1
	s_or_b32 exec_lo, exec_lo, s33
                                        ; implicit-def: $vgpr16_vgpr17
.LBB48_100:                             ;   in Loop: Header=BB48_4 Depth=1
	s_and_not1_saveexec_b32 s6, s9
	s_cbranch_execz .LBB48_114
; %bb.101:                              ;   in Loop: Header=BB48_4 Depth=1
	s_delay_alu instid0(VALU_DEP_4) | instskip(SKIP_1) | instid1(SALU_CYCLE_1)
	v_cmp_neq_f64_e64 s7, 0x7ff00000, |v[14:15]|
                                        ; implicit-def: $vgpr8_vgpr9
	s_and_saveexec_b32 s8, s7
	s_xor_b32 s7, exec_lo, s8
	s_cbranch_execz .LBB48_111
; %bb.102:                              ;   in Loop: Header=BB48_4 Depth=1
	v_cmp_neq_f64_e64 s8, 0x7ff00000, |v[16:17]|
	s_wait_dscnt 0x0
	v_xor_b32_e32 v9, 0x80000000, v17
	v_mov_b32_e32 v8, v16
	s_and_saveexec_b32 s9, s8
	s_delay_alu instid0(SALU_CYCLE_1)
	s_xor_b32 s8, exec_lo, s9
	s_cbranch_execz .LBB48_108
; %bb.103:                              ;   in Loop: Header=BB48_4 Depth=1
	s_mov_b32 s9, exec_lo
                                        ; implicit-def: $vgpr8_vgpr9
	v_cmpx_neq_f64_e32 0, v[14:15]
	s_xor_b32 s9, exec_lo, s9
	s_cbranch_execz .LBB48_105
; %bb.104:                              ;   in Loop: Header=BB48_4 Depth=1
	v_add_f64_e32 v[6:7], 0, v[16:17]
                                        ; implicit-def: $vgpr16_vgpr17
	s_delay_alu instid0(VALU_DEP_1)
	v_add_f64_e32 v[8:9], v[14:15], v[6:7]
.LBB48_105:                             ;   in Loop: Header=BB48_4 Depth=1
	s_or_saveexec_b32 s9, s9
	s_delay_alu instid0(VALU_DEP_1)
	v_mov_b64_e32 v[6:7], v[8:9]
	s_xor_b32 exec_lo, exec_lo, s9
	s_cbranch_execz .LBB48_107
; %bb.106:                              ;   in Loop: Header=BB48_4 Depth=1
	flat_load_b64 v[6:7], v[26:27] scope:SCOPE_SYS
	s_wait_loadcnt 0x0
	v_add_f64_e32 v[8:9], v[16:17], v[16:17]
	s_wait_dscnt 0x0
	v_add_f64_e32 v[6:7], 0x3ff921fb54442d18, v[6:7]
.LBB48_107:                             ;   in Loop: Header=BB48_4 Depth=1
	s_wait_xcnt 0x0
	s_or_b32 exec_lo, exec_lo, s9
                                        ; implicit-def: $vgpr14_vgpr15
.LBB48_108:                             ;   in Loop: Header=BB48_4 Depth=1
	s_and_not1_saveexec_b32 s8, s8
; %bb.109:                              ;   in Loop: Header=BB48_4 Depth=1
	v_add_f64_e32 v[6:7], v[14:15], v[14:15]
; %bb.110:                              ;   in Loop: Header=BB48_4 Depth=1
	s_or_b32 exec_lo, exec_lo, s8
                                        ; implicit-def: $vgpr16_vgpr17
.LBB48_111:                             ;   in Loop: Header=BB48_4 Depth=1
	s_and_not1_saveexec_b32 s7, s7
	s_cbranch_execz .LBB48_113
; %bb.112:                              ;   in Loop: Header=BB48_4 Depth=1
	s_wait_dscnt 0x0
	v_add_f64_e32 v[6:7], v[16:17], v[16:17]
	v_mov_b64_e32 v[8:9], 0xfff0000000000000
.LBB48_113:                             ;   in Loop: Header=BB48_4 Depth=1
	s_or_b32 exec_lo, exec_lo, s7
.LBB48_114:                             ;   in Loop: Header=BB48_4 Depth=1
	s_delay_alu instid0(SALU_CYCLE_1)
	s_or_b32 exec_lo, exec_lo, s6
	flat_store_b64 v[26:27], v[52:53] scope:SCOPE_SYS
	s_wait_storecnt 0x0
                                        ; implicit-def: $vgpr16_vgpr17
	s_mov_b32 s6, exec_lo
	s_wait_xcnt 0x0
	v_cmpx_o_f64_e32 v[18:19], v[20:21]
	s_xor_b32 s9, exec_lo, s6
	s_cbranch_execz .LBB48_202
; %bb.115:                              ;   in Loop: Header=BB48_4 Depth=1
	v_max_num_f64_e64 v[64:65], |v[18:19]|, |v[18:19]|
	v_max_num_f64_e64 v[66:67], |v[20:21]|, |v[20:21]|
	v_cmp_gt_i64_e64 s6, 0, v[20:21]
                                        ; implicit-def: $vgpr16_vgpr17
	s_mov_b32 s7, exec_lo
	v_max_num_f64_e32 v[62:63], v[66:67], v[64:65]
	s_delay_alu instid0(VALU_DEP_1)
	v_cmpx_nlt_f64_e32 0x43300000, v[62:63]
	s_xor_b32 s33, exec_lo, s7
	s_cbranch_execz .LBB48_191
; %bb.116:                              ;   in Loop: Header=BB48_4 Depth=1
	v_cmp_neq_f64_e32 vcc_lo, 1.0, v[18:19]
	v_cmp_neq_f64_e64 s7, 0, v[20:21]
	v_xor_b32_e32 v17, 0x80000000, v21
	v_mov_b32_e32 v16, v20
	s_or_b32 s7, s7, vcc_lo
	s_delay_alu instid0(SALU_CYCLE_1) | instskip(NEXT) | instid1(SALU_CYCLE_1)
	s_and_saveexec_b32 s8, s7
	s_xor_b32 s46, exec_lo, s8
	s_cbranch_execz .LBB48_188
; %bb.117:                              ;   in Loop: Header=BB48_4 Depth=1
	flat_store_b32 v[30:31], v78 scope:SCOPE_SYS
	s_wait_storecnt 0x0
	flat_load_b32 v14, v[30:31] scope:SCOPE_SYS
	s_wait_loadcnt 0x0
	v_cmp_nlt_f64_e64 s7, |v[18:19]|, s[18:19]
	v_cmp_nlt_f64_e64 s8, |v[20:21]|, s[18:19]
	v_mov_b32_e32 v16, v20
	s_or_b32 s7, s8, s7
	s_wait_dscnt 0x0
	v_add_f32_e32 v14, 1.0, v14
	flat_store_b32 v[40:41], v14 scope:SCOPE_SYS
	s_wait_storecnt 0x0
	flat_load_b32 v14, v[40:41] scope:SCOPE_SYS
	s_wait_loadcnt 0x0
	s_wait_xcnt 0x0
	s_and_saveexec_b32 s8, s7
	s_delay_alu instid0(SALU_CYCLE_1)
	s_xor_b32 s47, exec_lo, s8
	s_cbranch_execz .LBB48_185
; %bb.118:                              ;   in Loop: Header=BB48_4 Depth=1
	s_wait_dscnt 0x0
	v_add_f64_e64 v[14:15], |v[18:19]|, -1.0
	v_add_f64_e64 v[64:65], |v[18:19]|, 1.0
	s_delay_alu instid0(VALU_DEP_2) | instskip(NEXT) | instid1(VALU_DEP_1)
	v_max_num_f64_e64 v[62:63], v[66:67], |v[14:15]|
	v_frexp_exp_i32_f64_e32 v82, v[62:63]
	s_delay_alu instid0(VALU_DEP_1) | instskip(NEXT) | instid1(VALU_DEP_1)
	v_dual_max_num_f64 v[16:17], v[66:67], v[64:65] :: v_dual_sub_nc_u32 v68, 0, v82
	v_frexp_exp_i32_f64_e32 v81, v[16:17]
	s_delay_alu instid0(VALU_DEP_2) | instskip(SKIP_1) | instid1(VALU_DEP_2)
	v_ldexp_f64 v[62:63], |v[14:15]|, v68
	v_ldexp_f64 v[68:69], |v[20:21]|, v68
	v_dual_mul_f64 v[62:63], v[62:63], v[62:63] :: v_dual_sub_nc_u32 v66, 0, v81
	s_delay_alu instid0(VALU_DEP_1) | instskip(SKIP_1) | instid1(VALU_DEP_3)
	v_ldexp_f64 v[16:17], v[64:65], v66
	v_ldexp_f64 v[66:67], |v[20:21]|, v66
	v_fmac_f64_e32 v[62:63], v[68:69], v[68:69]
	s_delay_alu instid0(VALU_DEP_1) | instskip(SKIP_1) | instid1(TRANS32_DEP_1)
	v_rsq_f64_e32 v[68:69], v[62:63]
	v_cmp_eq_f64_e64 s7, 0, v[62:63]
	v_mul_f64_e32 v[72:73], v[62:63], v[68:69]
	v_mul_f64_e32 v[68:69], 0.5, v[68:69]
	s_delay_alu instid0(VALU_DEP_1) | instskip(NEXT) | instid1(VALU_DEP_1)
	v_fma_f64 v[76:77], -v[68:69], v[72:73], 0.5
	v_fmac_f64_e32 v[72:73], v[72:73], v[76:77]
	v_fmac_f64_e32 v[68:69], v[68:69], v[76:77]
	s_delay_alu instid0(VALU_DEP_2) | instskip(NEXT) | instid1(VALU_DEP_1)
	v_fma_f64 v[76:77], -v[72:73], v[72:73], v[62:63]
	v_fmac_f64_e32 v[72:73], v[76:77], v[68:69]
	s_delay_alu instid0(VALU_DEP_1) | instskip(SKIP_1) | instid1(VALU_DEP_2)
	v_dual_cndmask_b32 v63, v73, v63, s7 :: v_dual_cndmask_b32 v62, v72, v62, s7
	v_cmp_neq_f64_e64 s7, 0x7ff00000, |v[14:15]|
	v_ldexp_f64 v[62:63], v[62:63], v82
	v_mul_f64_e32 v[16:17], v[16:17], v[16:17]
	s_delay_alu instid0(VALU_DEP_1) | instskip(NEXT) | instid1(VALU_DEP_1)
	v_fmac_f64_e32 v[16:17], v[66:67], v[66:67]
	v_rsq_f64_e32 v[66:67], v[16:17]
	v_cmp_eq_f64_e32 vcc_lo, 0, v[16:17]
	s_delay_alu instid0(TRANS32_DEP_1) | instskip(SKIP_1) | instid1(VALU_DEP_1)
	v_mul_f64_e32 v[70:71], v[16:17], v[66:67]
	v_mul_f64_e32 v[66:67], 0.5, v[66:67]
	v_fma_f64 v[74:75], -v[66:67], v[70:71], 0.5
	s_delay_alu instid0(VALU_DEP_1) | instskip(SKIP_1) | instid1(VALU_DEP_2)
	v_fmac_f64_e32 v[70:71], v[70:71], v[74:75]
	v_fmac_f64_e32 v[66:67], v[66:67], v[74:75]
	v_fma_f64 v[74:75], -v[70:71], v[70:71], v[16:17]
	s_delay_alu instid0(VALU_DEP_1) | instskip(SKIP_3) | instid1(VALU_DEP_3)
	v_fmac_f64_e32 v[70:71], v[74:75], v[66:67]
	v_cndmask_b32_e64 v67, 0x7ff00000, v63, s7
	v_cndmask_b32_e64 v66, 0, v62, s7
	s_mov_b32 s7, exec_lo
	v_dual_cndmask_b32 v17, v71, v17 :: v_dual_cndmask_b32 v16, v70, v16
	v_cmp_neq_f64_e32 vcc_lo, 0x7ff00000, v[64:65]
	s_delay_alu instid0(VALU_DEP_2) | instskip(NEXT) | instid1(VALU_DEP_1)
	v_ldexp_f64 v[16:17], v[16:17], v81
	v_cndmask_b32_e32 v69, 0x7ff00000, v17, vcc_lo
	s_delay_alu instid0(VALU_DEP_2) | instskip(NEXT) | instid1(VALU_DEP_1)
	v_cndmask_b32_e32 v68, 0, v16, vcc_lo
	v_add_f64_e32 v[16:17], v[68:69], v[66:67]
	s_delay_alu instid0(VALU_DEP_1) | instskip(NEXT) | instid1(VALU_DEP_1)
	v_mul_f64_e32 v[16:17], 0.5, v[16:17]
	v_cmp_ngt_f64_e32 vcc_lo, 1.0, v[16:17]
	v_cndmask_b32_e32 v63, 0x3ff00000, v17, vcc_lo
	v_cndmask_b32_e32 v62, 0, v16, vcc_lo
                                        ; implicit-def: $vgpr16_vgpr17
	s_delay_alu instid0(VALU_DEP_1)
	v_cmpx_ngt_f64_e32 0x40240000, v[62:63]
	s_xor_b32 s7, exec_lo, s7
	s_cbranch_execz .LBB48_120
; %bb.119:                              ;   in Loop: Header=BB48_4 Depth=1
	v_fma_f64 v[16:17], v[62:63], v[62:63], -1.0
	s_delay_alu instid0(VALU_DEP_1) | instskip(SKIP_1) | instid1(VALU_DEP_1)
	v_cmp_gt_f64_e32 vcc_lo, 0x10000000, v[16:17]
	v_cndmask_b32_e64 v70, 0, 0x100, vcc_lo
	v_ldexp_f64 v[16:17], v[16:17], v70
	s_delay_alu instid0(VALU_DEP_1) | instskip(SKIP_1) | instid1(TRANS32_DEP_1)
	v_rsq_f64_e32 v[70:71], v[16:17]
	v_nop
	v_mul_f64_e32 v[72:73], v[16:17], v[70:71]
	v_mul_f64_e32 v[70:71], 0.5, v[70:71]
	s_delay_alu instid0(VALU_DEP_1) | instskip(NEXT) | instid1(VALU_DEP_1)
	v_fma_f64 v[74:75], -v[70:71], v[72:73], 0.5
	v_fmac_f64_e32 v[72:73], v[72:73], v[74:75]
	v_fmac_f64_e32 v[70:71], v[70:71], v[74:75]
	s_delay_alu instid0(VALU_DEP_2) | instskip(NEXT) | instid1(VALU_DEP_1)
	v_fma_f64 v[74:75], -v[72:73], v[72:73], v[16:17]
	v_fmac_f64_e32 v[72:73], v[74:75], v[70:71]
	s_delay_alu instid0(VALU_DEP_1) | instskip(NEXT) | instid1(VALU_DEP_1)
	v_fma_f64 v[74:75], -v[72:73], v[72:73], v[16:17]
	v_fmac_f64_e32 v[72:73], v[74:75], v[70:71]
	v_cndmask_b32_e64 v70, 0, 0xffffff80, vcc_lo
	v_cmp_class_f64_e64 vcc_lo, v[16:17], 0x260
	s_delay_alu instid0(VALU_DEP_2) | instskip(NEXT) | instid1(VALU_DEP_1)
	v_ldexp_f64 v[70:71], v[72:73], v70
	v_dual_cndmask_b32 v17, v71, v17 :: v_dual_cndmask_b32 v16, v70, v16
	s_delay_alu instid0(VALU_DEP_1) | instskip(NEXT) | instid1(VALU_DEP_1)
	v_add_f64_e32 v[16:17], v[62:63], v[16:17]
	v_frexp_mant_f64_e32 v[70:71], v[16:17]
	v_frexp_exp_i32_f64_e32 v81, v[16:17]
	s_delay_alu instid0(VALU_DEP_2) | instskip(SKIP_1) | instid1(VALU_DEP_3)
	v_cmp_gt_f64_e32 vcc_lo, s[20:21], v[70:71]
	v_cndmask_b32_e64 v72, 0, 1, vcc_lo
	v_subrev_co_ci_u32_e64 v81, null, 0, v81, vcc_lo
	v_cmp_class_f64_e64 vcc_lo, v[16:17], 0x204
	s_delay_alu instid0(VALU_DEP_3) | instskip(NEXT) | instid1(VALU_DEP_1)
	v_ldexp_f64 v[70:71], v[70:71], v72
	v_add_f64_e32 v[72:73], 1.0, v[70:71]
	v_add_f64_e32 v[82:83], -1.0, v[70:71]
	s_delay_alu instid0(VALU_DEP_2) | instskip(SKIP_1) | instid1(VALU_DEP_1)
	v_rcp_f64_e32 v[74:75], v[72:73]
	v_add_f64_e32 v[84:85], -1.0, v[72:73]
	v_add_f64_e64 v[70:71], v[70:71], -v[84:85]
	s_delay_alu instid0(TRANS32_DEP_1) | instskip(NEXT) | instid1(VALU_DEP_1)
	v_fma_f64 v[76:77], -v[72:73], v[74:75], 1.0
	v_fmac_f64_e32 v[74:75], v[76:77], v[74:75]
	s_delay_alu instid0(VALU_DEP_1) | instskip(NEXT) | instid1(VALU_DEP_1)
	v_fma_f64 v[76:77], -v[72:73], v[74:75], 1.0
	v_fmac_f64_e32 v[74:75], v[76:77], v[74:75]
	s_delay_alu instid0(VALU_DEP_1) | instskip(NEXT) | instid1(VALU_DEP_1)
	v_mul_f64_e32 v[76:77], v[82:83], v[74:75]
	v_mul_f64_e32 v[86:87], v[72:73], v[76:77]
	s_delay_alu instid0(VALU_DEP_1) | instskip(NEXT) | instid1(VALU_DEP_1)
	v_fma_f64 v[72:73], v[76:77], v[72:73], -v[86:87]
	v_fmac_f64_e32 v[72:73], v[76:77], v[70:71]
	s_delay_alu instid0(VALU_DEP_1) | instskip(NEXT) | instid1(VALU_DEP_1)
	v_add_f64_e32 v[70:71], v[86:87], v[72:73]
	v_add_f64_e64 v[84:85], v[82:83], -v[70:71]
	v_add_f64_e64 v[86:87], v[70:71], -v[86:87]
	s_delay_alu instid0(VALU_DEP_2) | instskip(NEXT) | instid1(VALU_DEP_2)
	v_add_f64_e64 v[82:83], v[82:83], -v[84:85]
	v_add_f64_e64 v[72:73], v[86:87], -v[72:73]
	s_delay_alu instid0(VALU_DEP_2) | instskip(NEXT) | instid1(VALU_DEP_1)
	v_add_f64_e64 v[70:71], v[82:83], -v[70:71]
	v_add_f64_e32 v[70:71], v[72:73], v[70:71]
	s_delay_alu instid0(VALU_DEP_1) | instskip(NEXT) | instid1(VALU_DEP_1)
	v_add_f64_e32 v[70:71], v[84:85], v[70:71]
	v_mul_f64_e32 v[70:71], v[74:75], v[70:71]
	s_delay_alu instid0(VALU_DEP_1) | instskip(NEXT) | instid1(VALU_DEP_1)
	v_add_f64_e32 v[72:73], v[76:77], v[70:71]
	v_mul_f64_e32 v[74:75], v[72:73], v[72:73]
	s_delay_alu instid0(VALU_DEP_1) | instskip(SKIP_1) | instid1(VALU_DEP_2)
	v_fmamk_f64 v[82:83], v[74:75], 0x3fc3ab76bf559e2b, v[46:47]
	v_mul_f64_e32 v[84:85], v[72:73], v[74:75]
	v_fmaak_f64 v[82:83], v[74:75], v[82:83], 0x3fc7474dd7f4df2e
	s_delay_alu instid0(VALU_DEP_1) | instskip(NEXT) | instid1(VALU_DEP_1)
	v_fmaak_f64 v[82:83], v[74:75], v[82:83], 0x3fcc71c016291751
	v_fmaak_f64 v[82:83], v[74:75], v[82:83], 0x3fd249249b27acf1
	s_delay_alu instid0(VALU_DEP_1) | instskip(NEXT) | instid1(VALU_DEP_1)
	v_fmaak_f64 v[82:83], v[74:75], v[82:83], 0x3fd99999998ef7b6
	v_fmaak_f64 v[74:75], v[74:75], v[82:83], 0x3fe5555555555780
	v_ldexp_f64 v[82:83], v[72:73], 1
	v_add_f64_e64 v[72:73], v[72:73], -v[76:77]
	s_delay_alu instid0(VALU_DEP_3) | instskip(SKIP_1) | instid1(VALU_DEP_3)
	v_mul_f64_e32 v[74:75], v[84:85], v[74:75]
	v_cvt_f64_i32_e32 v[84:85], v81
	v_add_f64_e64 v[70:71], v[70:71], -v[72:73]
	s_delay_alu instid0(VALU_DEP_3) | instskip(NEXT) | instid1(VALU_DEP_3)
	v_add_f64_e32 v[76:77], v[82:83], v[74:75]
	v_mul_f64_e32 v[86:87], 0x3fe62e42fefa39ef, v[84:85]
	s_delay_alu instid0(VALU_DEP_3) | instskip(NEXT) | instid1(VALU_DEP_3)
	v_ldexp_f64 v[70:71], v[70:71], 1
	v_add_f64_e64 v[72:73], v[76:77], -v[82:83]
	s_delay_alu instid0(VALU_DEP_3) | instskip(NEXT) | instid1(VALU_DEP_2)
	v_fma_f64 v[82:83], v[84:85], s[22:23], -v[86:87]
	v_add_f64_e64 v[72:73], v[74:75], -v[72:73]
	s_delay_alu instid0(VALU_DEP_2) | instskip(NEXT) | instid1(VALU_DEP_2)
	v_fmac_f64_e32 v[82:83], 0x3c7abc9e3b39803f, v[84:85]
	v_add_f64_e32 v[70:71], v[70:71], v[72:73]
	s_delay_alu instid0(VALU_DEP_2) | instskip(NEXT) | instid1(VALU_DEP_2)
	v_add_f64_e32 v[72:73], v[86:87], v[82:83]
	v_add_f64_e32 v[74:75], v[76:77], v[70:71]
	s_delay_alu instid0(VALU_DEP_2) | instskip(NEXT) | instid1(VALU_DEP_2)
	v_add_f64_e64 v[86:87], v[72:73], -v[86:87]
	v_add_f64_e32 v[84:85], v[72:73], v[74:75]
	v_add_f64_e64 v[76:77], v[74:75], -v[76:77]
	s_delay_alu instid0(VALU_DEP_3) | instskip(NEXT) | instid1(VALU_DEP_3)
	v_add_f64_e64 v[82:83], v[82:83], -v[86:87]
	v_add_f64_e64 v[88:89], v[84:85], -v[72:73]
	s_delay_alu instid0(VALU_DEP_3) | instskip(NEXT) | instid1(VALU_DEP_2)
	v_add_f64_e64 v[70:71], v[70:71], -v[76:77]
	v_add_f64_e64 v[90:91], v[84:85], -v[88:89]
	;; [unrolled: 1-line block ×3, first 2 shown]
	s_delay_alu instid0(VALU_DEP_3) | instskip(NEXT) | instid1(VALU_DEP_3)
	v_add_f64_e32 v[76:77], v[82:83], v[70:71]
	v_add_f64_e64 v[72:73], v[72:73], -v[90:91]
	s_delay_alu instid0(VALU_DEP_1) | instskip(NEXT) | instid1(VALU_DEP_3)
	v_add_f64_e32 v[72:73], v[74:75], v[72:73]
	v_add_f64_e64 v[74:75], v[76:77], -v[82:83]
	s_delay_alu instid0(VALU_DEP_2) | instskip(NEXT) | instid1(VALU_DEP_2)
	v_add_f64_e32 v[72:73], v[76:77], v[72:73]
	v_add_f64_e64 v[76:77], v[76:77], -v[74:75]
	v_add_f64_e64 v[70:71], v[70:71], -v[74:75]
	s_delay_alu instid0(VALU_DEP_3) | instskip(NEXT) | instid1(VALU_DEP_3)
	v_add_f64_e32 v[86:87], v[84:85], v[72:73]
	v_add_f64_e64 v[74:75], v[82:83], -v[76:77]
	s_delay_alu instid0(VALU_DEP_2) | instskip(NEXT) | instid1(VALU_DEP_2)
	v_add_f64_e64 v[76:77], v[86:87], -v[84:85]
	v_add_f64_e32 v[70:71], v[70:71], v[74:75]
	s_delay_alu instid0(VALU_DEP_2) | instskip(NEXT) | instid1(VALU_DEP_1)
	v_add_f64_e64 v[72:73], v[72:73], -v[76:77]
	v_add_f64_e32 v[70:71], v[70:71], v[72:73]
	s_delay_alu instid0(VALU_DEP_1) | instskip(NEXT) | instid1(VALU_DEP_1)
	v_add_f64_e32 v[70:71], v[86:87], v[70:71]
	v_dual_cndmask_b32 v70, v70, v16 :: v_dual_cndmask_b32 v71, v71, v17
	v_cmp_neq_f64_e32 vcc_lo, 0, v[16:17]
	s_delay_alu instid0(VALU_DEP_2) | instskip(NEXT) | instid1(VALU_DEP_3)
	v_cndmask_b32_e32 v17, 0xfff00000, v71, vcc_lo
	v_cndmask_b32_e32 v16, 0, v70, vcc_lo
.LBB48_120:                             ;   in Loop: Header=BB48_4 Depth=1
	s_or_saveexec_b32 s48, s7
	v_and_b32_e32 v71, 0x7fffffff, v21
	v_mov_b32_e32 v70, v20
	s_xor_b32 exec_lo, exec_lo, s48
	s_cbranch_execz .LBB48_142
; %bb.121:                              ;   in Loop: Header=BB48_4 Depth=1
	v_cmp_neq_f64_e64 s7, |v[18:19]|, 1.0
	v_cmp_ngt_f64_e64 s8, 0x39000000, |v[20:21]|
                                        ; implicit-def: $vgpr16_vgpr17
	s_or_b32 s7, s8, s7
	s_delay_alu instid0(SALU_CYCLE_1) | instskip(NEXT) | instid1(SALU_CYCLE_1)
	s_and_saveexec_b32 s8, s7
	s_xor_b32 s49, exec_lo, s8
	s_cbranch_execz .LBB48_139
; %bb.122:                              ;   in Loop: Header=BB48_4 Depth=1
	v_ldexp_f64 v[16:17], |v[14:15]|, 0xffffffcc
	s_delay_alu instid0(VALU_DEP_1) | instskip(SKIP_1) | instid1(SALU_CYCLE_1)
	v_cmp_ge_f64_e64 s7, |v[20:21]|, v[16:17]
                                        ; implicit-def: $vgpr16_vgpr17
	s_and_saveexec_b32 s8, s7
	s_xor_b32 s50, exec_lo, s8
	s_cbranch_execz .LBB48_132
; %bb.123:                              ;   in Loop: Header=BB48_4 Depth=1
	v_mov_b64_e32 v[16:17], v[70:71]
	s_mov_b32 s7, exec_lo
	v_cmpx_neq_f64_e32 0, v[64:65]
	s_cbranch_execz .LBB48_125
; %bb.124:                              ;   in Loop: Header=BB48_4 Depth=1
	v_mul_f64_e32 v[16:17], v[20:21], v[20:21]
	v_add_f64_e32 v[72:73], v[64:65], v[68:69]
	s_delay_alu instid0(VALU_DEP_1) | instskip(NEXT) | instid1(VALU_DEP_1)
	v_div_scale_f64 v[74:75], null, v[72:73], v[72:73], v[16:17]
	v_rcp_f64_e32 v[76:77], v[74:75]
	v_nop
	s_delay_alu instid0(TRANS32_DEP_1) | instskip(NEXT) | instid1(VALU_DEP_1)
	v_fma_f64 v[82:83], -v[74:75], v[76:77], 1.0
	v_fmac_f64_e32 v[76:77], v[76:77], v[82:83]
	s_delay_alu instid0(VALU_DEP_1) | instskip(NEXT) | instid1(VALU_DEP_1)
	v_fma_f64 v[82:83], -v[74:75], v[76:77], 1.0
	v_fmac_f64_e32 v[76:77], v[76:77], v[82:83]
	v_div_scale_f64 v[82:83], vcc_lo, v[16:17], v[72:73], v[16:17]
	s_delay_alu instid0(VALU_DEP_1) | instskip(NEXT) | instid1(VALU_DEP_1)
	v_mul_f64_e32 v[84:85], v[82:83], v[76:77]
	v_fma_f64 v[74:75], -v[74:75], v[84:85], v[82:83]
	s_delay_alu instid0(VALU_DEP_1) | instskip(NEXT) | instid1(VALU_DEP_1)
	v_div_fmas_f64 v[74:75], v[74:75], v[76:77], v[84:85]
	v_div_fixup_f64 v[16:17], v[74:75], v[72:73], v[16:17]
.LBB48_125:                             ;   in Loop: Header=BB48_4 Depth=1
	s_or_b32 exec_lo, exec_lo, s7
	v_add_f64_e64 v[74:75], -|v[18:19]|, 1.0
	s_mov_b32 s7, exec_lo
                                        ; implicit-def: $vgpr72_vgpr73
	s_delay_alu instid0(VALU_DEP_1)
	v_cmpx_ngt_f64_e32 0, v[74:75]
	s_xor_b32 s7, exec_lo, s7
	s_cbranch_execz .LBB48_129
; %bb.126:                              ;   in Loop: Header=BB48_4 Depth=1
	v_mov_b64_e32 v[72:73], v[70:71]
	s_mov_b32 s8, exec_lo
	v_cmpx_neq_f64_e32 0, v[74:75]
	s_cbranch_execz .LBB48_128
; %bb.127:                              ;   in Loop: Header=BB48_4 Depth=1
	v_mul_f64_e32 v[72:73], v[20:21], v[20:21]
	v_add_f64_e32 v[74:75], v[74:75], v[66:67]
	s_delay_alu instid0(VALU_DEP_1) | instskip(NEXT) | instid1(VALU_DEP_1)
	v_div_scale_f64 v[76:77], null, v[74:75], v[74:75], v[72:73]
	v_rcp_f64_e32 v[82:83], v[76:77]
	v_nop
	s_delay_alu instid0(TRANS32_DEP_1) | instskip(NEXT) | instid1(VALU_DEP_1)
	v_fma_f64 v[84:85], -v[76:77], v[82:83], 1.0
	v_fmac_f64_e32 v[82:83], v[82:83], v[84:85]
	s_delay_alu instid0(VALU_DEP_1) | instskip(NEXT) | instid1(VALU_DEP_1)
	v_fma_f64 v[84:85], -v[76:77], v[82:83], 1.0
	v_fmac_f64_e32 v[82:83], v[82:83], v[84:85]
	v_div_scale_f64 v[84:85], vcc_lo, v[72:73], v[74:75], v[72:73]
	s_delay_alu instid0(VALU_DEP_1) | instskip(NEXT) | instid1(VALU_DEP_1)
	v_mul_f64_e32 v[86:87], v[84:85], v[82:83]
	v_fma_f64 v[76:77], -v[76:77], v[86:87], v[84:85]
	s_delay_alu instid0(VALU_DEP_1) | instskip(NEXT) | instid1(VALU_DEP_1)
	v_div_fmas_f64 v[76:77], v[76:77], v[82:83], v[86:87]
	v_div_fixup_f64 v[72:73], v[76:77], v[74:75], v[72:73]
.LBB48_128:                             ;   in Loop: Header=BB48_4 Depth=1
	s_or_b32 exec_lo, exec_lo, s8
                                        ; implicit-def: $vgpr74_vgpr75
.LBB48_129:                             ;   in Loop: Header=BB48_4 Depth=1
	s_and_not1_saveexec_b32 s7, s7
; %bb.130:                              ;   in Loop: Header=BB48_4 Depth=1
	v_add_f64_e64 v[72:73], v[66:67], -v[74:75]
; %bb.131:                              ;   in Loop: Header=BB48_4 Depth=1
	s_or_b32 exec_lo, exec_lo, s7
	s_delay_alu instid0(VALU_DEP_1) | instskip(SKIP_1) | instid1(VALU_DEP_2)
	v_mul_f64_e32 v[72:73], 0.5, v[72:73]
	v_add_f64_e32 v[74:75], 1.0, v[62:63]
	v_fmac_f64_e32 v[72:73], 0.5, v[16:17]
	s_delay_alu instid0(VALU_DEP_1) | instskip(NEXT) | instid1(VALU_DEP_1)
	v_mul_f64_e32 v[16:17], v[74:75], v[72:73]
	v_cmp_gt_f64_e32 vcc_lo, 0x10000000, v[16:17]
	v_cndmask_b32_e64 v74, 0, 0x100, vcc_lo
	s_delay_alu instid0(VALU_DEP_1) | instskip(NEXT) | instid1(VALU_DEP_1)
	v_ldexp_f64 v[16:17], v[16:17], v74
	v_rsq_f64_e32 v[74:75], v[16:17]
	v_nop
	s_delay_alu instid0(TRANS32_DEP_1) | instskip(SKIP_1) | instid1(VALU_DEP_1)
	v_mul_f64_e32 v[76:77], v[16:17], v[74:75]
	v_mul_f64_e32 v[74:75], 0.5, v[74:75]
	v_fma_f64 v[82:83], -v[74:75], v[76:77], 0.5
	s_delay_alu instid0(VALU_DEP_1) | instskip(SKIP_1) | instid1(VALU_DEP_2)
	v_fmac_f64_e32 v[76:77], v[76:77], v[82:83]
	v_fmac_f64_e32 v[74:75], v[74:75], v[82:83]
	v_fma_f64 v[82:83], -v[76:77], v[76:77], v[16:17]
	s_delay_alu instid0(VALU_DEP_1) | instskip(NEXT) | instid1(VALU_DEP_1)
	v_fmac_f64_e32 v[76:77], v[82:83], v[74:75]
	v_fma_f64 v[82:83], -v[76:77], v[76:77], v[16:17]
	s_delay_alu instid0(VALU_DEP_1) | instskip(SKIP_2) | instid1(VALU_DEP_2)
	v_fmac_f64_e32 v[76:77], v[82:83], v[74:75]
	v_cndmask_b32_e64 v74, 0, 0xffffff80, vcc_lo
	v_cmp_class_f64_e64 vcc_lo, v[16:17], 0x260
	v_ldexp_f64 v[74:75], v[76:77], v74
	s_delay_alu instid0(VALU_DEP_1) | instskip(NEXT) | instid1(VALU_DEP_1)
	v_dual_cndmask_b32 v17, v75, v17 :: v_dual_cndmask_b32 v16, v74, v16
	v_add_f64_e32 v[72:73], v[72:73], v[16:17]
	s_delay_alu instid0(VALU_DEP_1) | instskip(SKIP_2) | instid1(VALU_DEP_3)
	v_add_f64_e32 v[16:17], 1.0, v[72:73]
	v_cmp_neq_f64_e64 s7, 0x7ff00000, v[72:73]
	v_cmp_ngt_f64_e64 s8, -1.0, v[72:73]
	v_frexp_mant_f64_e32 v[74:75], v[16:17]
	v_frexp_exp_i32_f64_e32 v81, v[16:17]
	v_add_f64_e32 v[76:77], -1.0, v[16:17]
	s_delay_alu instid0(VALU_DEP_3) | instskip(NEXT) | instid1(VALU_DEP_2)
	v_cmp_gt_f64_e32 vcc_lo, s[20:21], v[74:75]
	v_add_f64_e64 v[74:75], v[76:77], -v[16:17]
	v_add_f64_e64 v[76:77], v[72:73], -v[76:77]
	v_subrev_co_ci_u32_e64 v81, null, 0, v81, vcc_lo
	s_delay_alu instid0(VALU_DEP_3) | instskip(SKIP_1) | instid1(VALU_DEP_3)
	v_add_f64_e32 v[74:75], 1.0, v[74:75]
	v_cmp_nge_f64_e32 vcc_lo, -1.0, v[72:73]
	v_sub_nc_u32_e32 v84, 0, v81
	s_delay_alu instid0(VALU_DEP_1) | instskip(NEXT) | instid1(VALU_DEP_4)
	v_ldexp_f64 v[16:17], v[16:17], v84
	v_add_f64_e32 v[74:75], v[76:77], v[74:75]
	s_and_b32 vcc_lo, vcc_lo, s7
	s_delay_alu instid0(VALU_DEP_2) | instskip(SKIP_1) | instid1(VALU_DEP_3)
	v_add_f64_e32 v[82:83], 1.0, v[16:17]
	v_add_f64_e32 v[88:89], -1.0, v[16:17]
	v_ldexp_f64 v[74:75], v[74:75], v84
	s_delay_alu instid0(VALU_DEP_3) | instskip(NEXT) | instid1(VALU_DEP_3)
	v_add_f64_e32 v[76:77], -1.0, v[82:83]
	v_add_f64_e32 v[90:91], 1.0, v[88:89]
	s_delay_alu instid0(VALU_DEP_2) | instskip(NEXT) | instid1(VALU_DEP_2)
	v_add_f64_e64 v[76:77], v[16:17], -v[76:77]
	v_add_f64_e64 v[16:17], v[16:17], -v[90:91]
	s_delay_alu instid0(VALU_DEP_2) | instskip(NEXT) | instid1(VALU_DEP_2)
	v_add_f64_e32 v[76:77], v[74:75], v[76:77]
	v_add_f64_e32 v[16:17], v[74:75], v[16:17]
	s_delay_alu instid0(VALU_DEP_2) | instskip(NEXT) | instid1(VALU_DEP_2)
	v_add_f64_e32 v[84:85], v[82:83], v[76:77]
	v_add_f64_e32 v[90:91], v[88:89], v[16:17]
	s_delay_alu instid0(VALU_DEP_2) | instskip(SKIP_1) | instid1(VALU_DEP_2)
	v_rcp_f64_e32 v[86:87], v[84:85]
	v_add_f64_e64 v[82:83], v[84:85], -v[82:83]
	v_add_f64_e64 v[88:89], v[90:91], -v[88:89]
	s_delay_alu instid0(VALU_DEP_2) | instskip(NEXT) | instid1(VALU_DEP_2)
	v_add_f64_e64 v[76:77], v[76:77], -v[82:83]
	v_add_f64_e64 v[16:17], v[16:17], -v[88:89]
	s_delay_alu instid0(TRANS32_DEP_1) | instskip(NEXT) | instid1(VALU_DEP_1)
	v_fma_f64 v[92:93], -v[84:85], v[86:87], 1.0
	v_fmac_f64_e32 v[86:87], v[92:93], v[86:87]
	s_delay_alu instid0(VALU_DEP_1) | instskip(NEXT) | instid1(VALU_DEP_1)
	v_fma_f64 v[74:75], -v[84:85], v[86:87], 1.0
	v_fmac_f64_e32 v[86:87], v[74:75], v[86:87]
	s_delay_alu instid0(VALU_DEP_1) | instskip(NEXT) | instid1(VALU_DEP_1)
	v_mul_f64_e32 v[74:75], v[90:91], v[86:87]
	v_mul_f64_e32 v[92:93], v[84:85], v[74:75]
	s_delay_alu instid0(VALU_DEP_1) | instskip(NEXT) | instid1(VALU_DEP_1)
	v_fma_f64 v[82:83], v[74:75], v[84:85], -v[92:93]
	v_fmac_f64_e32 v[82:83], v[74:75], v[76:77]
	s_delay_alu instid0(VALU_DEP_1) | instskip(NEXT) | instid1(VALU_DEP_1)
	v_add_f64_e32 v[94:95], v[92:93], v[82:83]
	v_add_f64_e64 v[96:97], v[90:91], -v[94:95]
	v_add_f64_e64 v[88:89], v[94:95], -v[92:93]
	s_delay_alu instid0(VALU_DEP_2) | instskip(NEXT) | instid1(VALU_DEP_2)
	v_add_f64_e64 v[90:91], v[90:91], -v[96:97]
	v_add_f64_e64 v[82:83], v[88:89], -v[82:83]
	s_delay_alu instid0(VALU_DEP_2) | instskip(NEXT) | instid1(VALU_DEP_1)
	v_add_f64_e64 v[90:91], v[90:91], -v[94:95]
	v_add_f64_e32 v[16:17], v[16:17], v[90:91]
	s_delay_alu instid0(VALU_DEP_1) | instskip(NEXT) | instid1(VALU_DEP_1)
	v_add_f64_e32 v[16:17], v[82:83], v[16:17]
	v_add_f64_e32 v[82:83], v[96:97], v[16:17]
	s_delay_alu instid0(VALU_DEP_1) | instskip(SKIP_1) | instid1(VALU_DEP_2)
	v_mul_f64_e32 v[88:89], v[86:87], v[82:83]
	v_add_f64_e64 v[94:95], v[96:97], -v[82:83]
	v_mul_f64_e32 v[90:91], v[84:85], v[88:89]
	s_delay_alu instid0(VALU_DEP_2) | instskip(NEXT) | instid1(VALU_DEP_2)
	v_add_f64_e32 v[16:17], v[16:17], v[94:95]
	v_fma_f64 v[84:85], v[88:89], v[84:85], -v[90:91]
	s_delay_alu instid0(VALU_DEP_1) | instskip(NEXT) | instid1(VALU_DEP_1)
	v_fmac_f64_e32 v[84:85], v[88:89], v[76:77]
	v_add_f64_e32 v[76:77], v[90:91], v[84:85]
	s_delay_alu instid0(VALU_DEP_1) | instskip(SKIP_1) | instid1(VALU_DEP_2)
	v_add_f64_e64 v[92:93], v[82:83], -v[76:77]
	v_add_f64_e64 v[90:91], v[76:77], -v[90:91]
	;; [unrolled: 1-line block ×3, first 2 shown]
	s_delay_alu instid0(VALU_DEP_1) | instskip(NEXT) | instid1(VALU_DEP_3)
	v_add_f64_e64 v[76:77], v[82:83], -v[76:77]
	v_add_f64_e64 v[82:83], v[90:91], -v[84:85]
	s_delay_alu instid0(VALU_DEP_2) | instskip(SKIP_1) | instid1(VALU_DEP_2)
	v_add_f64_e32 v[16:17], v[16:17], v[76:77]
	v_add_f64_e32 v[76:77], v[74:75], v[88:89]
	;; [unrolled: 1-line block ×3, first 2 shown]
	s_delay_alu instid0(VALU_DEP_2) | instskip(NEXT) | instid1(VALU_DEP_2)
	v_add_f64_e64 v[74:75], v[76:77], -v[74:75]
	v_add_f64_e32 v[16:17], v[92:93], v[16:17]
	s_delay_alu instid0(VALU_DEP_2) | instskip(NEXT) | instid1(VALU_DEP_2)
	v_add_f64_e64 v[74:75], v[88:89], -v[74:75]
	v_mul_f64_e32 v[16:17], v[86:87], v[16:17]
	s_delay_alu instid0(VALU_DEP_1) | instskip(NEXT) | instid1(VALU_DEP_1)
	v_add_f64_e32 v[16:17], v[74:75], v[16:17]
	v_add_f64_e32 v[74:75], v[76:77], v[16:17]
	s_delay_alu instid0(VALU_DEP_1) | instskip(NEXT) | instid1(VALU_DEP_1)
	v_mul_f64_e32 v[82:83], v[74:75], v[74:75]
	v_fmamk_f64 v[84:85], v[82:83], 0x3fc3ab76bf559e2b, v[46:47]
	v_mul_f64_e32 v[86:87], v[74:75], v[82:83]
	s_delay_alu instid0(VALU_DEP_2) | instskip(NEXT) | instid1(VALU_DEP_1)
	v_fmaak_f64 v[84:85], v[82:83], v[84:85], 0x3fc7474dd7f4df2e
	v_fmaak_f64 v[84:85], v[82:83], v[84:85], 0x3fcc71c016291751
	s_delay_alu instid0(VALU_DEP_1) | instskip(NEXT) | instid1(VALU_DEP_1)
	v_fmaak_f64 v[84:85], v[82:83], v[84:85], 0x3fd249249b27acf1
	v_fmaak_f64 v[84:85], v[82:83], v[84:85], 0x3fd99999998ef7b6
	s_delay_alu instid0(VALU_DEP_1) | instskip(SKIP_2) | instid1(VALU_DEP_3)
	v_fmaak_f64 v[82:83], v[82:83], v[84:85], 0x3fe5555555555780
	v_ldexp_f64 v[84:85], v[74:75], 1
	v_add_f64_e64 v[74:75], v[74:75], -v[76:77]
	v_mul_f64_e32 v[82:83], v[86:87], v[82:83]
	v_cvt_f64_i32_e32 v[86:87], v81
	s_delay_alu instid0(VALU_DEP_3) | instskip(NEXT) | instid1(VALU_DEP_3)
	v_add_f64_e64 v[16:17], v[16:17], -v[74:75]
	v_add_f64_e32 v[76:77], v[84:85], v[82:83]
	s_delay_alu instid0(VALU_DEP_3) | instskip(NEXT) | instid1(VALU_DEP_3)
	v_mul_f64_e32 v[88:89], 0x3fe62e42fefa39ef, v[86:87]
	v_ldexp_f64 v[16:17], v[16:17], 1
	s_delay_alu instid0(VALU_DEP_3) | instskip(NEXT) | instid1(VALU_DEP_3)
	v_add_f64_e64 v[74:75], v[76:77], -v[84:85]
	v_fma_f64 v[84:85], v[86:87], s[22:23], -v[88:89]
	s_delay_alu instid0(VALU_DEP_2) | instskip(NEXT) | instid1(VALU_DEP_2)
	v_add_f64_e64 v[74:75], v[82:83], -v[74:75]
	v_fmac_f64_e32 v[84:85], 0x3c7abc9e3b39803f, v[86:87]
	s_delay_alu instid0(VALU_DEP_2) | instskip(NEXT) | instid1(VALU_DEP_2)
	v_add_f64_e32 v[16:17], v[16:17], v[74:75]
	v_add_f64_e32 v[74:75], v[88:89], v[84:85]
	s_delay_alu instid0(VALU_DEP_2) | instskip(NEXT) | instid1(VALU_DEP_2)
	v_add_f64_e32 v[82:83], v[76:77], v[16:17]
	v_add_f64_e64 v[88:89], v[74:75], -v[88:89]
	s_delay_alu instid0(VALU_DEP_2) | instskip(SKIP_1) | instid1(VALU_DEP_3)
	v_add_f64_e32 v[86:87], v[74:75], v[82:83]
	v_add_f64_e64 v[76:77], v[82:83], -v[76:77]
	v_add_f64_e64 v[84:85], v[84:85], -v[88:89]
	s_delay_alu instid0(VALU_DEP_3) | instskip(NEXT) | instid1(VALU_DEP_3)
	v_add_f64_e64 v[90:91], v[86:87], -v[74:75]
	v_add_f64_e64 v[16:17], v[16:17], -v[76:77]
	s_delay_alu instid0(VALU_DEP_2) | instskip(SKIP_1) | instid1(VALU_DEP_3)
	v_add_f64_e64 v[92:93], v[86:87], -v[90:91]
	v_add_f64_e64 v[76:77], v[82:83], -v[90:91]
	v_add_f64_e32 v[82:83], v[84:85], v[16:17]
	s_delay_alu instid0(VALU_DEP_3) | instskip(NEXT) | instid1(VALU_DEP_1)
	v_add_f64_e64 v[74:75], v[74:75], -v[92:93]
	v_add_f64_e32 v[74:75], v[76:77], v[74:75]
	s_delay_alu instid0(VALU_DEP_3) | instskip(NEXT) | instid1(VALU_DEP_2)
	v_add_f64_e64 v[76:77], v[82:83], -v[84:85]
	v_add_f64_e32 v[74:75], v[82:83], v[74:75]
	s_delay_alu instid0(VALU_DEP_2) | instskip(SKIP_1) | instid1(VALU_DEP_3)
	v_add_f64_e64 v[82:83], v[82:83], -v[76:77]
	v_add_f64_e64 v[16:17], v[16:17], -v[76:77]
	v_add_f64_e32 v[88:89], v[86:87], v[74:75]
	s_delay_alu instid0(VALU_DEP_3) | instskip(NEXT) | instid1(VALU_DEP_2)
	v_add_f64_e64 v[82:83], v[84:85], -v[82:83]
	v_add_f64_e64 v[76:77], v[88:89], -v[86:87]
	s_delay_alu instid0(VALU_DEP_2) | instskip(NEXT) | instid1(VALU_DEP_2)
	v_add_f64_e32 v[16:17], v[16:17], v[82:83]
	v_add_f64_e64 v[74:75], v[74:75], -v[76:77]
	s_delay_alu instid0(VALU_DEP_1) | instskip(NEXT) | instid1(VALU_DEP_1)
	v_add_f64_e32 v[16:17], v[16:17], v[74:75]
	v_add_f64_e32 v[16:17], v[88:89], v[16:17]
	s_delay_alu instid0(VALU_DEP_1) | instskip(SKIP_1) | instid1(VALU_DEP_3)
	v_cndmask_b32_e32 v16, 0, v16, vcc_lo
	v_cmp_neq_f64_e32 vcc_lo, -1.0, v[72:73]
	v_cndmask_b32_e64 v17, 0x7ff00000, v17, s7
	s_delay_alu instid0(VALU_DEP_1) | instskip(NEXT) | instid1(VALU_DEP_1)
	v_cndmask_b32_e64 v17, 0x7ff80000, v17, s8
	v_cndmask_b32_e32 v17, 0xfff00000, v17, vcc_lo
.LBB48_132:                             ;   in Loop: Header=BB48_4 Depth=1
	s_and_not1_saveexec_b32 s50, s50
	s_cbranch_execz .LBB48_138
; %bb.133:                              ;   in Loop: Header=BB48_4 Depth=1
                                        ; implicit-def: $vgpr16_vgpr17
	s_mov_b32 s8, exec_lo
	v_cmpx_nlt_f64_e64 |v[18:19]|, 1.0
	s_xor_b32 s51, exec_lo, s8
	s_cbranch_execz .LBB48_135
; %bb.134:                              ;   in Loop: Header=BB48_4 Depth=1
	v_mul_f64_e32 v[16:17], v[14:15], v[64:65]
	s_delay_alu instid0(VALU_DEP_1) | instskip(SKIP_1) | instid1(VALU_DEP_1)
	v_cmp_gt_f64_e32 vcc_lo, 0x10000000, v[16:17]
	v_cndmask_b32_e64 v72, 0, 0x100, vcc_lo
	v_ldexp_f64 v[16:17], v[16:17], v72
	s_delay_alu instid0(VALU_DEP_1) | instskip(SKIP_1) | instid1(TRANS32_DEP_1)
	v_rsq_f64_e32 v[72:73], v[16:17]
	v_nop
	v_mul_f64_e32 v[74:75], v[16:17], v[72:73]
	v_mul_f64_e32 v[72:73], 0.5, v[72:73]
	s_delay_alu instid0(VALU_DEP_1) | instskip(NEXT) | instid1(VALU_DEP_1)
	v_fma_f64 v[76:77], -v[72:73], v[74:75], 0.5
	v_fmac_f64_e32 v[74:75], v[74:75], v[76:77]
	v_fmac_f64_e32 v[72:73], v[72:73], v[76:77]
	s_delay_alu instid0(VALU_DEP_2) | instskip(NEXT) | instid1(VALU_DEP_1)
	v_fma_f64 v[76:77], -v[74:75], v[74:75], v[16:17]
	v_fmac_f64_e32 v[74:75], v[76:77], v[72:73]
	s_delay_alu instid0(VALU_DEP_1) | instskip(NEXT) | instid1(VALU_DEP_1)
	v_fma_f64 v[76:77], -v[74:75], v[74:75], v[16:17]
	v_fmac_f64_e32 v[74:75], v[76:77], v[72:73]
	v_cndmask_b32_e64 v72, 0, 0xffffff80, vcc_lo
	v_cmp_class_f64_e64 vcc_lo, v[16:17], 0x260
	s_delay_alu instid0(VALU_DEP_2) | instskip(NEXT) | instid1(VALU_DEP_1)
	v_ldexp_f64 v[72:73], v[74:75], v72
	v_dual_cndmask_b32 v17, v73, v17 :: v_dual_cndmask_b32 v16, v72, v16
	s_delay_alu instid0(VALU_DEP_1) | instskip(NEXT) | instid1(VALU_DEP_1)
	v_add_f64_e32 v[72:73], v[14:15], v[16:17]
	v_add_f64_e32 v[16:17], 1.0, v[72:73]
	v_cmp_neq_f64_e64 s7, 0x7ff00000, v[72:73]
	v_cmp_ngt_f64_e64 s8, -1.0, v[72:73]
	s_delay_alu instid0(VALU_DEP_3) | instskip(SKIP_2) | instid1(VALU_DEP_3)
	v_frexp_mant_f64_e32 v[74:75], v[16:17]
	v_add_f64_e32 v[76:77], -1.0, v[16:17]
	v_frexp_exp_i32_f64_e32 v81, v[16:17]
	v_cmp_gt_f64_e32 vcc_lo, s[20:21], v[74:75]
	s_delay_alu instid0(VALU_DEP_3) | instskip(SKIP_1) | instid1(VALU_DEP_4)
	v_add_f64_e64 v[74:75], v[76:77], -v[16:17]
	v_add_f64_e64 v[76:77], v[72:73], -v[76:77]
	v_subrev_co_ci_u32_e64 v81, null, 0, v81, vcc_lo
	v_cmp_nge_f64_e32 vcc_lo, -1.0, v[72:73]
	s_delay_alu instid0(VALU_DEP_2) | instskip(NEXT) | instid1(VALU_DEP_1)
	v_dual_add_f64 v[74:75], 1.0, v[74:75] :: v_dual_sub_nc_u32 v84, 0, v81
	v_ldexp_f64 v[16:17], v[16:17], v84
	s_and_b32 vcc_lo, vcc_lo, s7
	s_delay_alu instid0(VALU_DEP_2) | instskip(NEXT) | instid1(VALU_DEP_2)
	v_add_f64_e32 v[74:75], v[76:77], v[74:75]
	v_add_f64_e32 v[82:83], 1.0, v[16:17]
	v_add_f64_e32 v[88:89], -1.0, v[16:17]
	s_delay_alu instid0(VALU_DEP_3) | instskip(NEXT) | instid1(VALU_DEP_3)
	v_ldexp_f64 v[74:75], v[74:75], v84
	v_add_f64_e32 v[76:77], -1.0, v[82:83]
	s_delay_alu instid0(VALU_DEP_3) | instskip(NEXT) | instid1(VALU_DEP_2)
	v_add_f64_e32 v[90:91], 1.0, v[88:89]
	v_add_f64_e64 v[76:77], v[16:17], -v[76:77]
	s_delay_alu instid0(VALU_DEP_2) | instskip(NEXT) | instid1(VALU_DEP_2)
	v_add_f64_e64 v[16:17], v[16:17], -v[90:91]
	v_add_f64_e32 v[76:77], v[74:75], v[76:77]
	s_delay_alu instid0(VALU_DEP_2) | instskip(NEXT) | instid1(VALU_DEP_2)
	v_add_f64_e32 v[16:17], v[74:75], v[16:17]
	v_add_f64_e32 v[84:85], v[82:83], v[76:77]
	s_delay_alu instid0(VALU_DEP_2) | instskip(NEXT) | instid1(VALU_DEP_2)
	v_add_f64_e32 v[90:91], v[88:89], v[16:17]
	v_rcp_f64_e32 v[86:87], v[84:85]
	v_add_f64_e64 v[82:83], v[84:85], -v[82:83]
	s_delay_alu instid0(VALU_DEP_2) | instskip(NEXT) | instid1(VALU_DEP_2)
	v_add_f64_e64 v[88:89], v[90:91], -v[88:89]
	v_add_f64_e64 v[76:77], v[76:77], -v[82:83]
	s_delay_alu instid0(VALU_DEP_2) | instskip(NEXT) | instid1(TRANS32_DEP_1)
	v_add_f64_e64 v[16:17], v[16:17], -v[88:89]
	v_fma_f64 v[92:93], -v[84:85], v[86:87], 1.0
	s_delay_alu instid0(VALU_DEP_1) | instskip(NEXT) | instid1(VALU_DEP_1)
	v_fmac_f64_e32 v[86:87], v[92:93], v[86:87]
	v_fma_f64 v[74:75], -v[84:85], v[86:87], 1.0
	s_delay_alu instid0(VALU_DEP_1) | instskip(NEXT) | instid1(VALU_DEP_1)
	v_fmac_f64_e32 v[86:87], v[74:75], v[86:87]
	v_mul_f64_e32 v[74:75], v[90:91], v[86:87]
	s_delay_alu instid0(VALU_DEP_1) | instskip(NEXT) | instid1(VALU_DEP_1)
	v_mul_f64_e32 v[92:93], v[84:85], v[74:75]
	v_fma_f64 v[82:83], v[74:75], v[84:85], -v[92:93]
	s_delay_alu instid0(VALU_DEP_1) | instskip(NEXT) | instid1(VALU_DEP_1)
	v_fmac_f64_e32 v[82:83], v[74:75], v[76:77]
	v_add_f64_e32 v[94:95], v[92:93], v[82:83]
	s_delay_alu instid0(VALU_DEP_1) | instskip(SKIP_1) | instid1(VALU_DEP_2)
	v_add_f64_e64 v[96:97], v[90:91], -v[94:95]
	v_add_f64_e64 v[88:89], v[94:95], -v[92:93]
	;; [unrolled: 1-line block ×3, first 2 shown]
	s_delay_alu instid0(VALU_DEP_2) | instskip(NEXT) | instid1(VALU_DEP_2)
	v_add_f64_e64 v[82:83], v[88:89], -v[82:83]
	v_add_f64_e64 v[90:91], v[90:91], -v[94:95]
	s_delay_alu instid0(VALU_DEP_1) | instskip(NEXT) | instid1(VALU_DEP_1)
	v_add_f64_e32 v[16:17], v[16:17], v[90:91]
	v_add_f64_e32 v[16:17], v[82:83], v[16:17]
	s_delay_alu instid0(VALU_DEP_1) | instskip(NEXT) | instid1(VALU_DEP_1)
	v_add_f64_e32 v[82:83], v[96:97], v[16:17]
	v_mul_f64_e32 v[88:89], v[86:87], v[82:83]
	v_add_f64_e64 v[94:95], v[96:97], -v[82:83]
	s_delay_alu instid0(VALU_DEP_2) | instskip(NEXT) | instid1(VALU_DEP_2)
	v_mul_f64_e32 v[90:91], v[84:85], v[88:89]
	v_add_f64_e32 v[16:17], v[16:17], v[94:95]
	s_delay_alu instid0(VALU_DEP_2) | instskip(NEXT) | instid1(VALU_DEP_1)
	v_fma_f64 v[84:85], v[88:89], v[84:85], -v[90:91]
	v_fmac_f64_e32 v[84:85], v[88:89], v[76:77]
	s_delay_alu instid0(VALU_DEP_1) | instskip(NEXT) | instid1(VALU_DEP_1)
	v_add_f64_e32 v[76:77], v[90:91], v[84:85]
	v_add_f64_e64 v[92:93], v[82:83], -v[76:77]
	v_add_f64_e64 v[90:91], v[76:77], -v[90:91]
	s_delay_alu instid0(VALU_DEP_2) | instskip(NEXT) | instid1(VALU_DEP_1)
	v_add_f64_e64 v[82:83], v[82:83], -v[92:93]
	v_add_f64_e64 v[76:77], v[82:83], -v[76:77]
	s_delay_alu instid0(VALU_DEP_3) | instskip(NEXT) | instid1(VALU_DEP_2)
	v_add_f64_e64 v[82:83], v[90:91], -v[84:85]
	v_add_f64_e32 v[16:17], v[16:17], v[76:77]
	v_add_f64_e32 v[76:77], v[74:75], v[88:89]
	s_delay_alu instid0(VALU_DEP_2) | instskip(NEXT) | instid1(VALU_DEP_2)
	v_add_f64_e32 v[16:17], v[82:83], v[16:17]
	v_add_f64_e64 v[74:75], v[76:77], -v[74:75]
	s_delay_alu instid0(VALU_DEP_2) | instskip(NEXT) | instid1(VALU_DEP_2)
	v_add_f64_e32 v[16:17], v[92:93], v[16:17]
	v_add_f64_e64 v[74:75], v[88:89], -v[74:75]
	s_delay_alu instid0(VALU_DEP_2) | instskip(NEXT) | instid1(VALU_DEP_1)
	v_mul_f64_e32 v[16:17], v[86:87], v[16:17]
	v_add_f64_e32 v[16:17], v[74:75], v[16:17]
	s_delay_alu instid0(VALU_DEP_1) | instskip(NEXT) | instid1(VALU_DEP_1)
	v_add_f64_e32 v[74:75], v[76:77], v[16:17]
	v_mul_f64_e32 v[82:83], v[74:75], v[74:75]
	s_delay_alu instid0(VALU_DEP_1) | instskip(SKIP_1) | instid1(VALU_DEP_2)
	v_fmamk_f64 v[84:85], v[82:83], 0x3fc3ab76bf559e2b, v[46:47]
	v_mul_f64_e32 v[86:87], v[74:75], v[82:83]
	v_fmaak_f64 v[84:85], v[82:83], v[84:85], 0x3fc7474dd7f4df2e
	s_delay_alu instid0(VALU_DEP_1) | instskip(NEXT) | instid1(VALU_DEP_1)
	v_fmaak_f64 v[84:85], v[82:83], v[84:85], 0x3fcc71c016291751
	v_fmaak_f64 v[84:85], v[82:83], v[84:85], 0x3fd249249b27acf1
	s_delay_alu instid0(VALU_DEP_1) | instskip(NEXT) | instid1(VALU_DEP_1)
	v_fmaak_f64 v[84:85], v[82:83], v[84:85], 0x3fd99999998ef7b6
	v_fmaak_f64 v[82:83], v[82:83], v[84:85], 0x3fe5555555555780
	v_ldexp_f64 v[84:85], v[74:75], 1
	v_add_f64_e64 v[74:75], v[74:75], -v[76:77]
	s_delay_alu instid0(VALU_DEP_3) | instskip(SKIP_1) | instid1(VALU_DEP_3)
	v_mul_f64_e32 v[82:83], v[86:87], v[82:83]
	v_cvt_f64_i32_e32 v[86:87], v81
	v_add_f64_e64 v[16:17], v[16:17], -v[74:75]
	s_delay_alu instid0(VALU_DEP_3) | instskip(NEXT) | instid1(VALU_DEP_3)
	v_add_f64_e32 v[76:77], v[84:85], v[82:83]
	v_mul_f64_e32 v[88:89], 0x3fe62e42fefa39ef, v[86:87]
	s_delay_alu instid0(VALU_DEP_3) | instskip(NEXT) | instid1(VALU_DEP_3)
	v_ldexp_f64 v[16:17], v[16:17], 1
	v_add_f64_e64 v[74:75], v[76:77], -v[84:85]
	s_delay_alu instid0(VALU_DEP_3) | instskip(NEXT) | instid1(VALU_DEP_2)
	v_fma_f64 v[84:85], v[86:87], s[22:23], -v[88:89]
	v_add_f64_e64 v[74:75], v[82:83], -v[74:75]
	s_delay_alu instid0(VALU_DEP_2) | instskip(NEXT) | instid1(VALU_DEP_2)
	v_fmac_f64_e32 v[84:85], 0x3c7abc9e3b39803f, v[86:87]
	v_add_f64_e32 v[16:17], v[16:17], v[74:75]
	s_delay_alu instid0(VALU_DEP_2) | instskip(NEXT) | instid1(VALU_DEP_2)
	v_add_f64_e32 v[74:75], v[88:89], v[84:85]
	v_add_f64_e32 v[82:83], v[76:77], v[16:17]
	s_delay_alu instid0(VALU_DEP_2) | instskip(NEXT) | instid1(VALU_DEP_2)
	v_add_f64_e64 v[88:89], v[74:75], -v[88:89]
	v_add_f64_e32 v[86:87], v[74:75], v[82:83]
	v_add_f64_e64 v[76:77], v[82:83], -v[76:77]
	s_delay_alu instid0(VALU_DEP_3) | instskip(NEXT) | instid1(VALU_DEP_3)
	v_add_f64_e64 v[84:85], v[84:85], -v[88:89]
	v_add_f64_e64 v[90:91], v[86:87], -v[74:75]
	s_delay_alu instid0(VALU_DEP_3) | instskip(NEXT) | instid1(VALU_DEP_2)
	v_add_f64_e64 v[16:17], v[16:17], -v[76:77]
	v_add_f64_e64 v[92:93], v[86:87], -v[90:91]
	;; [unrolled: 1-line block ×3, first 2 shown]
	s_delay_alu instid0(VALU_DEP_3) | instskip(NEXT) | instid1(VALU_DEP_3)
	v_add_f64_e32 v[82:83], v[84:85], v[16:17]
	v_add_f64_e64 v[74:75], v[74:75], -v[92:93]
	s_delay_alu instid0(VALU_DEP_1) | instskip(NEXT) | instid1(VALU_DEP_3)
	v_add_f64_e32 v[74:75], v[76:77], v[74:75]
	v_add_f64_e64 v[76:77], v[82:83], -v[84:85]
	s_delay_alu instid0(VALU_DEP_2) | instskip(NEXT) | instid1(VALU_DEP_2)
	v_add_f64_e32 v[74:75], v[82:83], v[74:75]
	v_add_f64_e64 v[82:83], v[82:83], -v[76:77]
	v_add_f64_e64 v[16:17], v[16:17], -v[76:77]
	s_delay_alu instid0(VALU_DEP_3) | instskip(NEXT) | instid1(VALU_DEP_3)
	v_add_f64_e32 v[88:89], v[86:87], v[74:75]
	v_add_f64_e64 v[82:83], v[84:85], -v[82:83]
	s_delay_alu instid0(VALU_DEP_2) | instskip(NEXT) | instid1(VALU_DEP_2)
	v_add_f64_e64 v[76:77], v[88:89], -v[86:87]
	v_add_f64_e32 v[16:17], v[16:17], v[82:83]
	s_delay_alu instid0(VALU_DEP_2) | instskip(NEXT) | instid1(VALU_DEP_1)
	v_add_f64_e64 v[74:75], v[74:75], -v[76:77]
	v_add_f64_e32 v[16:17], v[16:17], v[74:75]
	s_delay_alu instid0(VALU_DEP_1) | instskip(NEXT) | instid1(VALU_DEP_1)
	v_add_f64_e32 v[16:17], v[88:89], v[16:17]
	v_cndmask_b32_e32 v16, 0, v16, vcc_lo
	v_cmp_neq_f64_e32 vcc_lo, -1.0, v[72:73]
	s_delay_alu instid0(VALU_DEP_3) | instskip(NEXT) | instid1(VALU_DEP_1)
	v_cndmask_b32_e64 v17, 0x7ff00000, v17, s7
	v_cndmask_b32_e64 v17, 0x7ff80000, v17, s8
	s_delay_alu instid0(VALU_DEP_1)
	v_cndmask_b32_e32 v17, 0xfff00000, v17, vcc_lo
.LBB48_135:                             ;   in Loop: Header=BB48_4 Depth=1
	s_and_not1_saveexec_b32 s7, s51
	s_cbranch_execz .LBB48_137
; %bb.136:                              ;   in Loop: Header=BB48_4 Depth=1
	v_add_f64_e64 v[16:17], -|v[18:19]|, 1.0
	s_delay_alu instid0(VALU_DEP_1) | instskip(NEXT) | instid1(VALU_DEP_1)
	v_mul_f64_e32 v[16:17], v[16:17], v[64:65]
	v_cmp_gt_f64_e32 vcc_lo, 0x10000000, v[16:17]
	v_cndmask_b32_e64 v72, 0, 0x100, vcc_lo
	s_delay_alu instid0(VALU_DEP_1) | instskip(NEXT) | instid1(VALU_DEP_1)
	v_ldexp_f64 v[16:17], v[16:17], v72
	v_rsq_f64_e32 v[72:73], v[16:17]
	v_nop
	s_delay_alu instid0(TRANS32_DEP_1) | instskip(SKIP_1) | instid1(VALU_DEP_1)
	v_mul_f64_e32 v[74:75], v[16:17], v[72:73]
	v_mul_f64_e32 v[72:73], 0.5, v[72:73]
	v_fma_f64 v[76:77], -v[72:73], v[74:75], 0.5
	s_delay_alu instid0(VALU_DEP_1) | instskip(SKIP_1) | instid1(VALU_DEP_2)
	v_fmac_f64_e32 v[74:75], v[74:75], v[76:77]
	v_fmac_f64_e32 v[72:73], v[72:73], v[76:77]
	v_fma_f64 v[76:77], -v[74:75], v[74:75], v[16:17]
	s_delay_alu instid0(VALU_DEP_1) | instskip(NEXT) | instid1(VALU_DEP_1)
	v_fmac_f64_e32 v[74:75], v[76:77], v[72:73]
	v_fma_f64 v[76:77], -v[74:75], v[74:75], v[16:17]
	s_delay_alu instid0(VALU_DEP_1) | instskip(SKIP_2) | instid1(VALU_DEP_2)
	v_fmac_f64_e32 v[74:75], v[76:77], v[72:73]
	v_cndmask_b32_e64 v72, 0, 0xffffff80, vcc_lo
	v_cmp_class_f64_e64 vcc_lo, v[16:17], 0x260
	v_ldexp_f64 v[72:73], v[74:75], v72
	v_dual_mov_b32 v74, v20 :: v_dual_mov_b32 v75, v71
	s_delay_alu instid0(VALU_DEP_2) | instskip(NEXT) | instid1(VALU_DEP_1)
	v_dual_cndmask_b32 v17, v73, v17 :: v_dual_cndmask_b32 v16, v72, v16
	v_div_scale_f64 v[72:73], null, v[16:17], v[16:17], v[74:75]
	v_div_scale_f64 v[74:75], vcc_lo, v[74:75], v[16:17], v[74:75]
	s_delay_alu instid0(VALU_DEP_2) | instskip(SKIP_1) | instid1(TRANS32_DEP_1)
	v_rcp_f64_e32 v[76:77], v[72:73]
	v_nop
	v_fma_f64 v[82:83], -v[72:73], v[76:77], 1.0
	s_delay_alu instid0(VALU_DEP_1) | instskip(NEXT) | instid1(VALU_DEP_1)
	v_fmac_f64_e32 v[76:77], v[76:77], v[82:83]
	v_fma_f64 v[82:83], -v[72:73], v[76:77], 1.0
	s_delay_alu instid0(VALU_DEP_1) | instskip(NEXT) | instid1(VALU_DEP_1)
	v_fmac_f64_e32 v[76:77], v[76:77], v[82:83]
	v_mul_f64_e32 v[82:83], v[74:75], v[76:77]
	s_delay_alu instid0(VALU_DEP_1) | instskip(NEXT) | instid1(VALU_DEP_1)
	v_fma_f64 v[72:73], -v[72:73], v[82:83], v[74:75]
	v_div_fmas_f64 v[72:73], v[72:73], v[76:77], v[82:83]
	s_delay_alu instid0(VALU_DEP_1)
	v_div_fixup_f64 v[16:17], v[72:73], v[16:17], |v[20:21]|
.LBB48_137:                             ;   in Loop: Header=BB48_4 Depth=1
	s_or_b32 exec_lo, exec_lo, s7
.LBB48_138:                             ;   in Loop: Header=BB48_4 Depth=1
	s_delay_alu instid0(SALU_CYCLE_1)
	s_or_b32 exec_lo, exec_lo, s50
.LBB48_139:                             ;   in Loop: Header=BB48_4 Depth=1
	s_and_not1_saveexec_b32 s7, s49
	s_cbranch_execz .LBB48_141
; %bb.140:                              ;   in Loop: Header=BB48_4 Depth=1
	v_cmp_gt_f64_e64 s8, 0x10000000, |v[20:21]|
	s_delay_alu instid0(VALU_DEP_1) | instskip(NEXT) | instid1(VALU_DEP_1)
	v_cndmask_b32_e64 v16, 0, 0x100, s8
	v_ldexp_f64 v[16:17], |v[20:21]|, v16
	s_delay_alu instid0(VALU_DEP_1) | instskip(SKIP_1) | instid1(TRANS32_DEP_1)
	v_rsq_f64_e32 v[72:73], v[16:17]
	v_cmp_class_f64_e64 vcc_lo, v[16:17], 0x260
	v_mul_f64_e32 v[74:75], v[16:17], v[72:73]
	v_mul_f64_e32 v[72:73], 0.5, v[72:73]
	s_delay_alu instid0(VALU_DEP_1) | instskip(NEXT) | instid1(VALU_DEP_1)
	v_fma_f64 v[76:77], -v[72:73], v[74:75], 0.5
	v_fmac_f64_e32 v[74:75], v[74:75], v[76:77]
	v_fmac_f64_e32 v[72:73], v[72:73], v[76:77]
	s_delay_alu instid0(VALU_DEP_2) | instskip(NEXT) | instid1(VALU_DEP_1)
	v_fma_f64 v[76:77], -v[74:75], v[74:75], v[16:17]
	v_fmac_f64_e32 v[74:75], v[76:77], v[72:73]
	s_delay_alu instid0(VALU_DEP_1) | instskip(NEXT) | instid1(VALU_DEP_1)
	v_fma_f64 v[76:77], -v[74:75], v[74:75], v[16:17]
	v_fmac_f64_e32 v[74:75], v[76:77], v[72:73]
	v_cndmask_b32_e64 v72, 0, 0xffffff80, s8
	s_delay_alu instid0(VALU_DEP_1) | instskip(NEXT) | instid1(VALU_DEP_1)
	v_ldexp_f64 v[72:73], v[74:75], v72
	v_dual_cndmask_b32 v17, v73, v17 :: v_dual_cndmask_b32 v16, v72, v16
.LBB48_141:                             ;   in Loop: Header=BB48_4 Depth=1
	s_or_b32 exec_lo, exec_lo, s7
.LBB48_142:                             ;   in Loop: Header=BB48_4 Depth=1
	s_delay_alu instid0(SALU_CYCLE_1) | instskip(SKIP_2) | instid1(SALU_CYCLE_1)
	s_or_b32 exec_lo, exec_lo, s48
	v_cmp_ngt_f64_e64 s8, 0x20200000, |v[18:19]|
                                        ; implicit-def: $sgpr7
                                        ; implicit-def: $vgpr72_vgpr73
                                        ; implicit-def: $vgpr76_vgpr77
                                        ; implicit-def: $vgpr74_vgpr75
	s_and_saveexec_b32 s48, s8
	s_xor_b32 s8, exec_lo, s48
	s_cbranch_execz .LBB48_166
; %bb.143:                              ;   in Loop: Header=BB48_4 Depth=1
	v_and_b32_e32 v75, 0x7fffffff, v19
	v_mov_b32_e32 v74, v18
	s_mov_b32 s7, 0
	s_mov_b32 s48, exec_lo
	s_delay_alu instid0(VALU_DEP_1) | instskip(NEXT) | instid1(VALU_DEP_1)
	v_div_scale_f64 v[72:73], null, v[62:63], v[62:63], v[74:75]
	v_rcp_f64_e32 v[76:77], v[72:73]
	v_nop
	s_delay_alu instid0(TRANS32_DEP_1) | instskip(NEXT) | instid1(VALU_DEP_1)
	v_fma_f64 v[82:83], -v[72:73], v[76:77], 1.0
	v_fmac_f64_e32 v[76:77], v[76:77], v[82:83]
	s_delay_alu instid0(VALU_DEP_1) | instskip(NEXT) | instid1(VALU_DEP_1)
	v_fma_f64 v[82:83], -v[72:73], v[76:77], 1.0
	v_fmac_f64_e32 v[76:77], v[76:77], v[82:83]
	v_div_scale_f64 v[82:83], vcc_lo, v[74:75], v[62:63], v[74:75]
	s_delay_alu instid0(VALU_DEP_1) | instskip(NEXT) | instid1(VALU_DEP_1)
	v_mul_f64_e32 v[84:85], v[82:83], v[76:77]
	v_fma_f64 v[72:73], -v[72:73], v[84:85], v[82:83]
	s_delay_alu instid0(VALU_DEP_1) | instskip(NEXT) | instid1(VALU_DEP_1)
	v_div_fmas_f64 v[72:73], v[72:73], v[76:77], v[84:85]
                                        ; implicit-def: $vgpr76_vgpr77
	v_div_fixup_f64 v[72:73], v[72:73], v[62:63], |v[18:19]|
	s_delay_alu instid0(VALU_DEP_1)
	v_cmpx_lt_f64_e32 s[24:25], v[72:73]
	s_cbranch_execz .LBB48_165
; %bb.144:                              ;   in Loop: Header=BB48_4 Depth=1
	v_cmp_neq_f64_e64 s7, |v[18:19]|, 1.0
	v_cmp_ngt_f64_e64 s49, 0x3c400000, |v[20:21]|
                                        ; implicit-def: $vgpr76_vgpr77
	s_or_b32 s7, s49, s7
	s_delay_alu instid0(SALU_CYCLE_1) | instskip(NEXT) | instid1(SALU_CYCLE_1)
	s_and_saveexec_b32 s49, s7
	s_xor_b32 s7, exec_lo, s49
	s_cbranch_execz .LBB48_162
; %bb.145:                              ;   in Loop: Header=BB48_4 Depth=1
	v_ldexp_f64 v[76:77], |v[14:15]|, 0xffffffcc
	s_delay_alu instid0(VALU_DEP_1) | instskip(SKIP_1) | instid1(SALU_CYCLE_1)
	v_cmp_ge_f64_e64 s49, |v[20:21]|, v[76:77]
                                        ; implicit-def: $vgpr76_vgpr77
	s_and_saveexec_b32 s50, s49
	s_xor_b32 s49, exec_lo, s50
	s_cbranch_execz .LBB48_155
; %bb.146:                              ;   in Loop: Header=BB48_4 Depth=1
	v_mov_b64_e32 v[76:77], v[70:71]
	s_mov_b32 s50, exec_lo
	v_cmpx_neq_f64_e32 0, v[64:65]
	s_cbranch_execz .LBB48_148
; %bb.147:                              ;   in Loop: Header=BB48_4 Depth=1
	v_mul_f64_e32 v[76:77], v[20:21], v[20:21]
	v_add_f64_e32 v[64:65], v[64:65], v[68:69]
	s_delay_alu instid0(VALU_DEP_1) | instskip(NEXT) | instid1(VALU_DEP_1)
	v_div_scale_f64 v[68:69], null, v[64:65], v[64:65], v[76:77]
	v_rcp_f64_e32 v[82:83], v[68:69]
	v_nop
	s_delay_alu instid0(TRANS32_DEP_1) | instskip(NEXT) | instid1(VALU_DEP_1)
	v_fma_f64 v[84:85], -v[68:69], v[82:83], 1.0
	v_fmac_f64_e32 v[82:83], v[82:83], v[84:85]
	s_delay_alu instid0(VALU_DEP_1) | instskip(NEXT) | instid1(VALU_DEP_1)
	v_fma_f64 v[84:85], -v[68:69], v[82:83], 1.0
	v_fmac_f64_e32 v[82:83], v[82:83], v[84:85]
	v_div_scale_f64 v[84:85], vcc_lo, v[76:77], v[64:65], v[76:77]
	s_delay_alu instid0(VALU_DEP_1) | instskip(NEXT) | instid1(VALU_DEP_1)
	v_mul_f64_e32 v[86:87], v[84:85], v[82:83]
	v_fma_f64 v[68:69], -v[68:69], v[86:87], v[84:85]
	s_delay_alu instid0(VALU_DEP_1) | instskip(NEXT) | instid1(VALU_DEP_1)
	v_div_fmas_f64 v[68:69], v[68:69], v[82:83], v[86:87]
	v_div_fixup_f64 v[76:77], v[68:69], v[64:65], v[76:77]
.LBB48_148:                             ;   in Loop: Header=BB48_4 Depth=1
	s_or_b32 exec_lo, exec_lo, s50
	s_delay_alu instid0(SALU_CYCLE_1)
	s_mov_b32 s50, exec_lo
	v_cmpx_ngt_f64_e32 0, v[14:15]
	s_xor_b32 s50, exec_lo, s50
	s_cbranch_execz .LBB48_152
; %bb.149:                              ;   in Loop: Header=BB48_4 Depth=1
	s_mov_b32 s51, exec_lo
	v_cmpx_neq_f64_e32 0, v[14:15]
	s_cbranch_execz .LBB48_151
; %bb.150:                              ;   in Loop: Header=BB48_4 Depth=1
	v_mul_f64_e32 v[20:21], v[20:21], v[20:21]
	v_add_f64_e32 v[14:15], v[14:15], v[66:67]
	s_delay_alu instid0(VALU_DEP_1) | instskip(NEXT) | instid1(VALU_DEP_1)
	v_div_scale_f64 v[64:65], null, v[14:15], v[14:15], v[20:21]
	v_rcp_f64_e32 v[66:67], v[64:65]
	v_nop
	s_delay_alu instid0(TRANS32_DEP_1) | instskip(NEXT) | instid1(VALU_DEP_1)
	v_fma_f64 v[68:69], -v[64:65], v[66:67], 1.0
	v_fmac_f64_e32 v[66:67], v[66:67], v[68:69]
	s_delay_alu instid0(VALU_DEP_1) | instskip(NEXT) | instid1(VALU_DEP_1)
	v_fma_f64 v[68:69], -v[64:65], v[66:67], 1.0
	v_fmac_f64_e32 v[66:67], v[66:67], v[68:69]
	v_div_scale_f64 v[68:69], vcc_lo, v[20:21], v[14:15], v[20:21]
	s_delay_alu instid0(VALU_DEP_1) | instskip(NEXT) | instid1(VALU_DEP_1)
	v_mul_f64_e32 v[70:71], v[68:69], v[66:67]
	v_fma_f64 v[64:65], -v[64:65], v[70:71], v[68:69]
	s_delay_alu instid0(VALU_DEP_1) | instskip(NEXT) | instid1(VALU_DEP_1)
	v_div_fmas_f64 v[64:65], v[64:65], v[66:67], v[70:71]
	v_div_fixup_f64 v[70:71], v[64:65], v[14:15], v[20:21]
.LBB48_151:                             ;   in Loop: Header=BB48_4 Depth=1
	s_or_b32 exec_lo, exec_lo, s51
                                        ; implicit-def: $vgpr14_vgpr15
                                        ; implicit-def: $vgpr66_vgpr67
.LBB48_152:                             ;   in Loop: Header=BB48_4 Depth=1
	s_and_not1_saveexec_b32 s50, s50
; %bb.153:                              ;   in Loop: Header=BB48_4 Depth=1
	v_add_f64_e64 v[70:71], v[66:67], -v[14:15]
; %bb.154:                              ;   in Loop: Header=BB48_4 Depth=1
	s_or_b32 exec_lo, exec_lo, s50
	s_delay_alu instid0(VALU_DEP_1) | instskip(SKIP_1) | instid1(VALU_DEP_2)
	v_mul_f64_e32 v[14:15], 0.5, v[70:71]
	v_add_f64_e64 v[20:21], |v[18:19]|, v[62:63]
	v_fmac_f64_e32 v[14:15], 0.5, v[76:77]
	s_delay_alu instid0(VALU_DEP_1) | instskip(NEXT) | instid1(VALU_DEP_1)
	v_mul_f64_e32 v[14:15], v[20:21], v[14:15]
	v_cmp_gt_f64_e32 vcc_lo, 0x10000000, v[14:15]
	v_cndmask_b32_e64 v20, 0, 0x100, vcc_lo
	s_delay_alu instid0(VALU_DEP_1) | instskip(NEXT) | instid1(VALU_DEP_1)
	v_ldexp_f64 v[14:15], v[14:15], v20
	v_rsq_f64_e32 v[20:21], v[14:15]
	v_nop
	s_delay_alu instid0(TRANS32_DEP_1) | instskip(SKIP_1) | instid1(VALU_DEP_1)
	v_mul_f64_e32 v[62:63], v[14:15], v[20:21]
	v_mul_f64_e32 v[20:21], 0.5, v[20:21]
	v_fma_f64 v[64:65], -v[20:21], v[62:63], 0.5
	s_delay_alu instid0(VALU_DEP_1) | instskip(SKIP_1) | instid1(VALU_DEP_2)
	v_fmac_f64_e32 v[62:63], v[62:63], v[64:65]
	v_fmac_f64_e32 v[20:21], v[20:21], v[64:65]
	v_fma_f64 v[64:65], -v[62:63], v[62:63], v[14:15]
	s_delay_alu instid0(VALU_DEP_1) | instskip(NEXT) | instid1(VALU_DEP_1)
	v_fmac_f64_e32 v[62:63], v[64:65], v[20:21]
	v_fma_f64 v[64:65], -v[62:63], v[62:63], v[14:15]
	s_delay_alu instid0(VALU_DEP_1) | instskip(SKIP_2) | instid1(VALU_DEP_2)
	v_fmac_f64_e32 v[62:63], v[64:65], v[20:21]
	v_cndmask_b32_e64 v20, 0, 0xffffff80, vcc_lo
	v_cmp_class_f64_e64 vcc_lo, v[14:15], 0x260
                                        ; implicit-def: $vgpr64_vgpr65
	v_ldexp_f64 v[20:21], v[62:63], v20
	s_delay_alu instid0(VALU_DEP_1)
	v_dual_cndmask_b32 v77, v21, v15 :: v_dual_cndmask_b32 v76, v20, v14
                                        ; implicit-def: $vgpr14_vgpr15
.LBB48_155:                             ;   in Loop: Header=BB48_4 Depth=1
	s_and_not1_saveexec_b32 s49, s49
	s_cbranch_execz .LBB48_161
; %bb.156:                              ;   in Loop: Header=BB48_4 Depth=1
	v_cmp_ngt_f64_e64 s50, |v[18:19]|, 1.0
                                        ; implicit-def: $vgpr76_vgpr77
	s_and_saveexec_b32 s51, s50
	s_delay_alu instid0(SALU_CYCLE_1)
	s_xor_b32 s50, exec_lo, s51
	s_cbranch_execz .LBB48_158
; %bb.157:                              ;   in Loop: Header=BB48_4 Depth=1
	v_add_f64_e64 v[14:15], -|v[18:19]|, 1.0
	s_delay_alu instid0(VALU_DEP_1) | instskip(NEXT) | instid1(VALU_DEP_1)
	v_mul_f64_e32 v[14:15], v[14:15], v[64:65]
	v_cmp_gt_f64_e32 vcc_lo, 0x10000000, v[14:15]
	v_cndmask_b32_e64 v20, 0, 0x100, vcc_lo
	s_delay_alu instid0(VALU_DEP_1) | instskip(NEXT) | instid1(VALU_DEP_1)
	v_ldexp_f64 v[14:15], v[14:15], v20
	v_rsq_f64_e32 v[20:21], v[14:15]
	v_nop
	s_delay_alu instid0(TRANS32_DEP_1) | instskip(SKIP_1) | instid1(VALU_DEP_1)
	v_mul_f64_e32 v[62:63], v[14:15], v[20:21]
	v_mul_f64_e32 v[20:21], 0.5, v[20:21]
	v_fma_f64 v[64:65], -v[20:21], v[62:63], 0.5
	s_delay_alu instid0(VALU_DEP_1) | instskip(SKIP_1) | instid1(VALU_DEP_2)
	v_fmac_f64_e32 v[62:63], v[62:63], v[64:65]
	v_fmac_f64_e32 v[20:21], v[20:21], v[64:65]
	v_fma_f64 v[64:65], -v[62:63], v[62:63], v[14:15]
	s_delay_alu instid0(VALU_DEP_1) | instskip(NEXT) | instid1(VALU_DEP_1)
	v_fmac_f64_e32 v[62:63], v[64:65], v[20:21]
	v_fma_f64 v[64:65], -v[62:63], v[62:63], v[14:15]
	s_delay_alu instid0(VALU_DEP_1) | instskip(SKIP_2) | instid1(VALU_DEP_2)
	v_fmac_f64_e32 v[62:63], v[64:65], v[20:21]
	v_cndmask_b32_e64 v20, 0, 0xffffff80, vcc_lo
	v_cmp_class_f64_e64 vcc_lo, v[14:15], 0x260
                                        ; implicit-def: $vgpr64_vgpr65
	v_ldexp_f64 v[20:21], v[62:63], v20
	s_delay_alu instid0(VALU_DEP_1)
	v_dual_cndmask_b32 v77, v21, v15 :: v_dual_cndmask_b32 v76, v20, v14
                                        ; implicit-def: $vgpr14_vgpr15
.LBB48_158:                             ;   in Loop: Header=BB48_4 Depth=1
	s_and_not1_saveexec_b32 s50, s50
	s_cbranch_execz .LBB48_160
; %bb.159:                              ;   in Loop: Header=BB48_4 Depth=1
	v_mul_f64_e32 v[14:15], v[64:65], v[14:15]
	v_ldexp_f64 v[20:21], |v[20:21]|, 0x6a
	v_ldexp_f64 v[74:75], |v[18:19]|, 0x6a
	s_delay_alu instid0(VALU_DEP_3) | instskip(NEXT) | instid1(VALU_DEP_3)
	v_cmp_gt_f64_e32 vcc_lo, 0x10000000, v[14:15]
	v_mul_f64_e64 v[20:21], |v[18:19]|, v[20:21]
	v_cndmask_b32_e64 v62, 0, 0x100, vcc_lo
	s_delay_alu instid0(VALU_DEP_1) | instskip(NEXT) | instid1(VALU_DEP_1)
	v_ldexp_f64 v[14:15], v[14:15], v62
	v_rsq_f64_e32 v[62:63], v[14:15]
	v_nop
	s_delay_alu instid0(TRANS32_DEP_1) | instskip(SKIP_1) | instid1(VALU_DEP_1)
	v_mul_f64_e32 v[64:65], v[14:15], v[62:63]
	v_mul_f64_e32 v[62:63], 0.5, v[62:63]
	v_fma_f64 v[66:67], -v[62:63], v[64:65], 0.5
	s_delay_alu instid0(VALU_DEP_1) | instskip(SKIP_1) | instid1(VALU_DEP_2)
	v_fmac_f64_e32 v[64:65], v[64:65], v[66:67]
	v_fmac_f64_e32 v[62:63], v[62:63], v[66:67]
	v_fma_f64 v[66:67], -v[64:65], v[64:65], v[14:15]
	s_delay_alu instid0(VALU_DEP_1) | instskip(NEXT) | instid1(VALU_DEP_1)
	v_fmac_f64_e32 v[64:65], v[66:67], v[62:63]
	v_fma_f64 v[66:67], -v[64:65], v[64:65], v[14:15]
	s_delay_alu instid0(VALU_DEP_1) | instskip(SKIP_2) | instid1(VALU_DEP_2)
	v_fmac_f64_e32 v[64:65], v[66:67], v[62:63]
	v_cndmask_b32_e64 v62, 0, 0xffffff80, vcc_lo
	v_cmp_class_f64_e64 vcc_lo, v[14:15], 0x260
	v_ldexp_f64 v[62:63], v[64:65], v62
	s_delay_alu instid0(VALU_DEP_1) | instskip(NEXT) | instid1(VALU_DEP_1)
	v_dual_cndmask_b32 v15, v63, v15 :: v_dual_cndmask_b32 v14, v62, v14
	v_div_scale_f64 v[62:63], null, v[14:15], v[14:15], v[20:21]
	v_div_scale_f64 v[68:69], vcc_lo, v[20:21], v[14:15], v[20:21]
	s_delay_alu instid0(VALU_DEP_2) | instskip(SKIP_1) | instid1(TRANS32_DEP_1)
	v_rcp_f64_e32 v[64:65], v[62:63]
	v_nop
	v_fma_f64 v[66:67], -v[62:63], v[64:65], 1.0
	s_delay_alu instid0(VALU_DEP_1) | instskip(NEXT) | instid1(VALU_DEP_1)
	v_fmac_f64_e32 v[64:65], v[64:65], v[66:67]
	v_fma_f64 v[66:67], -v[62:63], v[64:65], 1.0
	s_delay_alu instid0(VALU_DEP_1) | instskip(NEXT) | instid1(VALU_DEP_1)
	v_fmac_f64_e32 v[64:65], v[64:65], v[66:67]
	v_mul_f64_e32 v[66:67], v[68:69], v[64:65]
	s_delay_alu instid0(VALU_DEP_1) | instskip(NEXT) | instid1(VALU_DEP_1)
	v_fma_f64 v[62:63], -v[62:63], v[66:67], v[68:69]
	v_div_fmas_f64 v[62:63], v[62:63], v[64:65], v[66:67]
	s_delay_alu instid0(VALU_DEP_1)
	v_div_fixup_f64 v[76:77], v[62:63], v[14:15], v[20:21]
.LBB48_160:                             ;   in Loop: Header=BB48_4 Depth=1
	s_or_b32 exec_lo, exec_lo, s50
.LBB48_161:                             ;   in Loop: Header=BB48_4 Depth=1
	s_delay_alu instid0(SALU_CYCLE_1)
	s_or_b32 exec_lo, exec_lo, s49
                                        ; implicit-def: $vgpr62_vgpr63
.LBB48_162:                             ;   in Loop: Header=BB48_4 Depth=1
	s_and_not1_saveexec_b32 s49, s7
	s_cbranch_execz .LBB48_164
; %bb.163:                              ;   in Loop: Header=BB48_4 Depth=1
	v_cmp_gt_f64_e64 s7, 0x10000000, |v[20:21]|
	v_add_f64_e32 v[14:15], 1.0, v[62:63]
	s_delay_alu instid0(VALU_DEP_2) | instskip(NEXT) | instid1(VALU_DEP_1)
	v_cndmask_b32_e64 v62, 0, 0x100, s7
	v_ldexp_f64 v[20:21], |v[20:21]|, v62
	s_delay_alu instid0(VALU_DEP_3) | instskip(NEXT) | instid1(VALU_DEP_1)
	v_mul_f64_e32 v[14:15], 0.5, v[14:15]
	v_cmp_gt_f64_e32 vcc_lo, 0x10000000, v[14:15]
	v_cndmask_b32_e64 v63, 0, 0x100, vcc_lo
	s_delay_alu instid0(VALU_DEP_1) | instskip(SKIP_1) | instid1(VALU_DEP_1)
	v_ldexp_f64 v[14:15], v[14:15], v63
	v_rsq_f64_e32 v[62:63], v[20:21]
	v_rsq_f64_e32 v[64:65], v[14:15]
	s_delay_alu instid0(TRANS32_DEP_2) | instskip(SKIP_1) | instid1(VALU_DEP_1)
	v_mul_f64_e32 v[66:67], v[20:21], v[62:63]
	v_mul_f64_e32 v[62:63], 0.5, v[62:63]
	v_fma_f64 v[70:71], -v[62:63], v[66:67], 0.5
	s_delay_alu instid0(VALU_DEP_1) | instskip(SKIP_1) | instid1(VALU_DEP_2)
	v_fmac_f64_e32 v[66:67], v[66:67], v[70:71]
	v_fmac_f64_e32 v[62:63], v[62:63], v[70:71]
	v_fma_f64 v[70:71], -v[66:67], v[66:67], v[20:21]
	s_delay_alu instid0(VALU_DEP_1) | instskip(NEXT) | instid1(VALU_DEP_1)
	v_fmac_f64_e32 v[66:67], v[70:71], v[62:63]
	v_fma_f64 v[70:71], -v[66:67], v[66:67], v[20:21]
	s_delay_alu instid0(VALU_DEP_1) | instskip(SKIP_2) | instid1(TRANS32_DEP_1)
	v_fmac_f64_e32 v[66:67], v[70:71], v[62:63]
	v_cndmask_b32_e64 v62, 0, 0xffffff80, s7
	v_cmp_class_f64_e64 s7, v[14:15], 0x260
	v_mul_f64_e32 v[68:69], v[14:15], v[64:65]
	v_mul_f64_e32 v[64:65], 0.5, v[64:65]
	s_delay_alu instid0(VALU_DEP_4) | instskip(NEXT) | instid1(VALU_DEP_2)
	v_ldexp_f64 v[62:63], v[66:67], v62
	v_fma_f64 v[74:75], -v[64:65], v[68:69], 0.5
	s_delay_alu instid0(VALU_DEP_1) | instskip(SKIP_1) | instid1(VALU_DEP_2)
	v_fmac_f64_e32 v[68:69], v[68:69], v[74:75]
	v_fmac_f64_e32 v[64:65], v[64:65], v[74:75]
	v_fma_f64 v[74:75], -v[68:69], v[68:69], v[14:15]
	s_delay_alu instid0(VALU_DEP_1) | instskip(NEXT) | instid1(VALU_DEP_1)
	v_fmac_f64_e32 v[68:69], v[74:75], v[64:65]
	v_fma_f64 v[74:75], -v[68:69], v[68:69], v[14:15]
	s_delay_alu instid0(VALU_DEP_1) | instskip(SKIP_3) | instid1(VALU_DEP_3)
	v_fmac_f64_e32 v[68:69], v[74:75], v[64:65]
	v_cndmask_b32_e64 v64, 0, 0xffffff80, vcc_lo
	v_cmp_class_f64_e64 vcc_lo, v[20:21], 0x260
	v_mov_b64_e32 v[74:75], 1.0
	v_ldexp_f64 v[64:65], v[68:69], v64
	v_dual_cndmask_b32 v21, v63, v21 :: v_dual_cndmask_b32 v20, v62, v20
	s_delay_alu instid0(VALU_DEP_2) | instskip(NEXT) | instid1(VALU_DEP_1)
	v_dual_cndmask_b32 v15, v65, v15, s7 :: v_dual_cndmask_b32 v14, v64, v14, s7
	v_mul_f64_e32 v[76:77], v[20:21], v[14:15]
.LBB48_164:                             ;   in Loop: Header=BB48_4 Depth=1
	s_or_b32 exec_lo, exec_lo, s49
	s_delay_alu instid0(SALU_CYCLE_1)
	s_mov_b32 s7, exec_lo
.LBB48_165:                             ;   in Loop: Header=BB48_4 Depth=1
	s_or_b32 exec_lo, exec_lo, s48
                                        ; implicit-def: $vgpr62_vgpr63
.LBB48_166:                             ;   in Loop: Header=BB48_4 Depth=1
	s_and_not1_saveexec_b32 s8, s8
	s_cbranch_execz .LBB48_168
; %bb.167:                              ;   in Loop: Header=BB48_4 Depth=1
	v_ldexp_f64 v[76:77], v[62:63], 53
	v_ldexp_f64 v[74:75], |v[18:19]|, 53
	s_or_b32 s7, s7, exec_lo
                                        ; implicit-def: $vgpr72_vgpr73
.LBB48_168:                             ;   in Loop: Header=BB48_4 Depth=1
	s_or_b32 exec_lo, exec_lo, s8
	s_xor_b32 s7, s7, -1
	v_cmp_lt_i64_e32 vcc_lo, -1, v[18:19]
	s_and_saveexec_b32 s8, s7
	s_delay_alu instid0(SALU_CYCLE_1)
	s_xor_b32 s8, exec_lo, s8
	s_cbranch_execz .LBB48_178
; %bb.169:                              ;   in Loop: Header=BB48_4 Depth=1
	v_fma_f64 v[18:19], |v[72:73]|, -0.5, 0.5
	v_mul_f64_e32 v[20:21], v[72:73], v[72:73]
	s_and_saveexec_b32 s7, vcc_lo
	s_delay_alu instid0(SALU_CYCLE_1)
	s_xor_b32 s48, exec_lo, s7
	s_cbranch_execz .LBB48_173
; %bb.170:                              ;   in Loop: Header=BB48_4 Depth=1
	v_cmp_ge_f64_e64 s7, |v[72:73]|, 0.5
	s_delay_alu instid0(VALU_DEP_1) | instskip(NEXT) | instid1(VALU_DEP_1)
	v_dual_cndmask_b32 v15, v21, v19, s7 :: v_dual_cndmask_b32 v14, v20, v18, s7
	v_fmamk_f64 v[20:21], v[14:15], 0x3fa059859fea6a70, v[48:49]
	s_delay_alu instid0(VALU_DEP_1) | instskip(NEXT) | instid1(VALU_DEP_1)
	v_fmaak_f64 v[20:21], v[14:15], v[20:21], 0x3f94052137024d6a
	v_fmaak_f64 v[20:21], v[14:15], v[20:21], 0x3f7ab3a098a70509
	s_delay_alu instid0(VALU_DEP_1) | instskip(NEXT) | instid1(VALU_DEP_1)
	v_fmaak_f64 v[20:21], v[14:15], v[20:21], 0x3f88ed60a300c8d2
	v_fmaak_f64 v[20:21], v[14:15], v[20:21], 0x3f8c6fa84b77012b
	;; [unrolled: 3-line block ×5, first 2 shown]
	s_delay_alu instid0(VALU_DEP_1) | instskip(NEXT) | instid1(VALU_DEP_1)
	v_mul_f64_e32 v[20:21], v[14:15], v[20:21]
	v_fma_f64 v[14:15], v[72:73], v[20:21], v[72:73]
	s_delay_alu instid0(VALU_DEP_1)
	v_fma_f64 v[14:15], s[28:29], s[26:27], -v[14:15]
	s_and_saveexec_b32 s49, s7
	s_cbranch_execz .LBB48_172
; %bb.171:                              ;   in Loop: Header=BB48_4 Depth=1
	v_rsq_f64_e32 v[14:15], v[18:19]
	v_cmp_eq_f64_e64 s7, 0, v[18:19]
	s_delay_alu instid0(TRANS32_DEP_1) | instskip(SKIP_1) | instid1(VALU_DEP_1)
	v_mul_f64_e32 v[62:63], v[18:19], v[14:15]
	v_mul_f64_e32 v[14:15], 0.5, v[14:15]
	v_fma_f64 v[64:65], -v[14:15], v[62:63], 0.5
	s_delay_alu instid0(VALU_DEP_1) | instskip(SKIP_1) | instid1(VALU_DEP_2)
	v_fmac_f64_e32 v[62:63], v[62:63], v[64:65]
	v_fmac_f64_e32 v[14:15], v[14:15], v[64:65]
	v_fma_f64 v[64:65], -v[62:63], v[62:63], v[18:19]
	s_delay_alu instid0(VALU_DEP_1) | instskip(NEXT) | instid1(VALU_DEP_1)
	v_fmac_f64_e32 v[62:63], v[64:65], v[14:15]
	v_dual_cndmask_b32 v15, v63, v19, s7 :: v_dual_cndmask_b32 v14, v62, v18, s7
	s_delay_alu instid0(VALU_DEP_1) | instskip(SKIP_1) | instid1(VALU_DEP_2)
	v_add_f64_e32 v[62:63], v[14:15], v[14:15]
	v_mul_f64_e32 v[64:65], v[14:15], v[14:15]
	v_rcp_f64_e32 v[66:67], v[62:63]
	s_delay_alu instid0(VALU_DEP_1) | instskip(SKIP_1) | instid1(VALU_DEP_2)
	v_add_f64_e64 v[68:69], v[18:19], -v[64:65]
	v_fma_f64 v[74:75], v[14:15], v[14:15], -v[64:65]
	v_add_f64_e64 v[18:19], v[18:19], -v[68:69]
	s_delay_alu instid0(TRANS32_DEP_1) | instskip(NEXT) | instid1(VALU_DEP_2)
	v_fma_f64 v[70:71], -v[62:63], v[66:67], 1.0
	v_add_f64_e64 v[18:19], v[18:19], -v[64:65]
	s_delay_alu instid0(VALU_DEP_2) | instskip(NEXT) | instid1(VALU_DEP_2)
	v_fmac_f64_e32 v[66:67], v[70:71], v[66:67]
	v_add_f64_e64 v[18:19], v[18:19], -v[74:75]
	s_delay_alu instid0(VALU_DEP_2) | instskip(NEXT) | instid1(VALU_DEP_2)
	v_fma_f64 v[64:65], -v[62:63], v[66:67], 1.0
	v_add_f64_e32 v[18:19], v[68:69], v[18:19]
	s_delay_alu instid0(VALU_DEP_2) | instskip(NEXT) | instid1(VALU_DEP_1)
	v_fmac_f64_e32 v[66:67], v[64:65], v[66:67]
	v_mul_f64_e32 v[64:65], v[18:19], v[66:67]
	s_delay_alu instid0(VALU_DEP_1) | instskip(NEXT) | instid1(VALU_DEP_1)
	v_fma_f64 v[18:19], -v[62:63], v[64:65], v[18:19]
	v_fmac_f64_e32 v[64:65], v[18:19], v[66:67]
	s_delay_alu instid0(VALU_DEP_1) | instskip(NEXT) | instid1(VALU_DEP_2)
	v_cndmask_b32_e64 v19, v65, 0, s7
	v_cndmask_b32_e64 v18, v64, 0, s7
	v_cmp_neq_f64_e64 s7, 1.0, v[72:73]
	s_delay_alu instid0(VALU_DEP_2) | instskip(NEXT) | instid1(VALU_DEP_1)
	v_add_f64_e32 v[62:63], v[14:15], v[18:19]
	v_add_f64_e64 v[14:15], v[62:63], -v[14:15]
	s_delay_alu instid0(VALU_DEP_1) | instskip(NEXT) | instid1(VALU_DEP_1)
	v_add_f64_e64 v[14:15], v[18:19], -v[14:15]
	v_fmac_f64_e32 v[14:15], v[62:63], v[20:21]
	s_delay_alu instid0(VALU_DEP_1) | instskip(NEXT) | instid1(VALU_DEP_1)
	v_add_f64_e32 v[14:15], v[62:63], v[14:15]
	v_add_f64_e32 v[14:15], v[14:15], v[14:15]
	s_delay_alu instid0(VALU_DEP_1)
	v_dual_cndmask_b32 v15, 0, v15, s7 :: v_dual_cndmask_b32 v14, 0, v14, s7
.LBB48_172:                             ;   in Loop: Header=BB48_4 Depth=1
	s_or_b32 exec_lo, exec_lo, s49
                                        ; implicit-def: $vgpr72_vgpr73
                                        ; implicit-def: $vgpr20_vgpr21
                                        ; implicit-def: $vgpr18_vgpr19
.LBB48_173:                             ;   in Loop: Header=BB48_4 Depth=1
	s_and_not1_saveexec_b32 s48, s48
	s_cbranch_execz .LBB48_177
; %bb.174:                              ;   in Loop: Header=BB48_4 Depth=1
	v_cmp_ge_f64_e64 s7, |v[72:73]|, 0.5
	s_delay_alu instid0(VALU_DEP_1) | instskip(NEXT) | instid1(VALU_DEP_1)
	v_dual_cndmask_b32 v15, v21, v19, s7 :: v_dual_cndmask_b32 v14, v20, v18, s7
	v_fmamk_f64 v[20:21], v[14:15], 0x3fa059859fea6a70, v[48:49]
	s_delay_alu instid0(VALU_DEP_1) | instskip(NEXT) | instid1(VALU_DEP_1)
	v_fmaak_f64 v[20:21], v[14:15], v[20:21], 0x3f94052137024d6a
	v_fmaak_f64 v[20:21], v[14:15], v[20:21], 0x3f7ab3a098a70509
	s_delay_alu instid0(VALU_DEP_1) | instskip(NEXT) | instid1(VALU_DEP_1)
	v_fmaak_f64 v[20:21], v[14:15], v[20:21], 0x3f88ed60a300c8d2
	v_fmaak_f64 v[20:21], v[14:15], v[20:21], 0x3f8c6fa84b77012b
	;; [unrolled: 3-line block ×5, first 2 shown]
	s_delay_alu instid0(VALU_DEP_1) | instskip(NEXT) | instid1(VALU_DEP_1)
	v_mul_f64_e32 v[20:21], v[14:15], v[20:21]
	v_fma_f64 v[14:15], -v[72:73], v[20:21], -v[72:73]
	s_delay_alu instid0(VALU_DEP_1)
	v_fma_f64 v[14:15], s[28:29], s[26:27], -v[14:15]
	s_and_saveexec_b32 s49, s7
	s_cbranch_execz .LBB48_176
; %bb.175:                              ;   in Loop: Header=BB48_4 Depth=1
	v_rsq_f64_e32 v[14:15], v[18:19]
	v_cmp_eq_f64_e64 s7, 0, v[18:19]
	s_delay_alu instid0(TRANS32_DEP_1) | instskip(SKIP_1) | instid1(VALU_DEP_1)
	v_mul_f64_e32 v[62:63], v[18:19], v[14:15]
	v_mul_f64_e32 v[14:15], 0.5, v[14:15]
	v_fma_f64 v[64:65], -v[14:15], v[62:63], 0.5
	s_delay_alu instid0(VALU_DEP_1) | instskip(SKIP_1) | instid1(VALU_DEP_2)
	v_fmac_f64_e32 v[62:63], v[62:63], v[64:65]
	v_fmac_f64_e32 v[14:15], v[14:15], v[64:65]
	v_fma_f64 v[64:65], -v[62:63], v[62:63], v[18:19]
	s_delay_alu instid0(VALU_DEP_1) | instskip(NEXT) | instid1(VALU_DEP_1)
	v_fmac_f64_e32 v[62:63], v[64:65], v[14:15]
	v_dual_cndmask_b32 v15, v63, v19, s7 :: v_dual_cndmask_b32 v14, v62, v18, s7
	s_delay_alu instid0(VALU_DEP_1) | instskip(SKIP_1) | instid1(VALU_DEP_2)
	v_add_f64_e32 v[62:63], v[14:15], v[14:15]
	v_mul_f64_e32 v[64:65], v[14:15], v[14:15]
	v_rcp_f64_e32 v[66:67], v[62:63]
	s_delay_alu instid0(VALU_DEP_1) | instskip(SKIP_1) | instid1(VALU_DEP_2)
	v_add_f64_e64 v[68:69], v[18:19], -v[64:65]
	v_fma_f64 v[74:75], v[14:15], v[14:15], -v[64:65]
	v_add_f64_e64 v[18:19], v[18:19], -v[68:69]
	s_delay_alu instid0(TRANS32_DEP_1) | instskip(NEXT) | instid1(VALU_DEP_2)
	v_fma_f64 v[70:71], -v[62:63], v[66:67], 1.0
	v_add_f64_e64 v[18:19], v[18:19], -v[64:65]
	s_delay_alu instid0(VALU_DEP_2) | instskip(NEXT) | instid1(VALU_DEP_2)
	v_fmac_f64_e32 v[66:67], v[70:71], v[66:67]
	v_add_f64_e64 v[18:19], v[18:19], -v[74:75]
	s_delay_alu instid0(VALU_DEP_2) | instskip(NEXT) | instid1(VALU_DEP_2)
	v_fma_f64 v[64:65], -v[62:63], v[66:67], 1.0
	v_add_f64_e32 v[18:19], v[68:69], v[18:19]
	s_delay_alu instid0(VALU_DEP_2) | instskip(NEXT) | instid1(VALU_DEP_1)
	v_fmac_f64_e32 v[66:67], v[64:65], v[66:67]
	v_mul_f64_e32 v[64:65], v[18:19], v[66:67]
	s_delay_alu instid0(VALU_DEP_1) | instskip(NEXT) | instid1(VALU_DEP_1)
	v_fma_f64 v[18:19], -v[62:63], v[64:65], v[18:19]
	v_fmac_f64_e32 v[64:65], v[18:19], v[66:67]
	s_delay_alu instid0(VALU_DEP_1) | instskip(NEXT) | instid1(VALU_DEP_2)
	v_cndmask_b32_e64 v19, v65, 0, s7
	v_cndmask_b32_e64 v18, v64, 0, s7
	v_cmp_lt_f64_e64 s7, 0, v[72:73]
	s_delay_alu instid0(VALU_DEP_2) | instskip(NEXT) | instid1(VALU_DEP_1)
	v_add_f64_e32 v[62:63], v[14:15], v[18:19]
	v_add_f64_e64 v[14:15], v[62:63], -v[14:15]
	s_delay_alu instid0(VALU_DEP_1) | instskip(SKIP_1) | instid1(VALU_DEP_2)
	v_add_f64_e64 v[14:15], v[18:19], -v[14:15]
	v_fma_f64 v[18:19], v[62:63], v[20:21], v[62:63]
	v_fmac_f64_e32 v[14:15], v[62:63], v[20:21]
	s_delay_alu instid0(VALU_DEP_2) | instskip(NEXT) | instid1(VALU_DEP_2)
	v_mul_f64_e32 v[18:19], -2.0, v[18:19]
	v_add_f64_e32 v[14:15], v[62:63], v[14:15]
	s_delay_alu instid0(VALU_DEP_2) | instskip(NEXT) | instid1(VALU_DEP_2)
	v_fmac_f64_e64 v[18:19], s[30:31], s[26:27]
	v_add_f64_e32 v[14:15], v[14:15], v[14:15]
	s_delay_alu instid0(VALU_DEP_1) | instskip(SKIP_1) | instid1(VALU_DEP_1)
	v_dual_cndmask_b32 v14, v14, v18, s7 :: v_dual_cndmask_b32 v15, v15, v19, s7
	v_cmp_neq_f64_e64 s7, 1.0, v[72:73]
	v_cndmask_b32_e64 v15, 0x400921fb, v15, s7
	s_delay_alu instid0(VALU_DEP_3)
	v_cndmask_b32_e64 v14, 0x54442d18, v14, s7
.LBB48_176:                             ;   in Loop: Header=BB48_4 Depth=1
	s_or_b32 exec_lo, exec_lo, s49
.LBB48_177:                             ;   in Loop: Header=BB48_4 Depth=1
	s_delay_alu instid0(SALU_CYCLE_1)
	s_or_b32 exec_lo, exec_lo, s48
                                        ; implicit-def: $vgpr74_vgpr75
                                        ; implicit-def: $vgpr76_vgpr77
.LBB48_178:                             ;   in Loop: Header=BB48_4 Depth=1
	s_and_not1_saveexec_b32 s48, s8
	s_cbranch_execz .LBB48_184
; %bb.179:                              ;   in Loop: Header=BB48_4 Depth=1
	s_delay_alu instid0(VALU_DEP_2) | instskip(NEXT) | instid1(VALU_DEP_3)
	v_max_num_f64_e64 v[14:15], |v[76:77]|, |v[76:77]|
	v_max_num_f64_e32 v[20:21], v[74:75], v[74:75]
	v_cmp_class_f64_e64 s49, v[76:77], 0x204
	s_delay_alu instid0(VALU_DEP_2) | instskip(SKIP_2) | instid1(SALU_CYCLE_1)
	v_max_num_f64_e32 v[18:19], v[20:21], v[14:15]
	v_min_num_f64_e32 v[20:21], v[20:21], v[14:15]
	s_and_saveexec_b32 s7, vcc_lo
	s_xor_b32 s50, exec_lo, s7
	s_cbranch_execz .LBB48_181
; %bb.180:                              ;   in Loop: Header=BB48_4 Depth=1
	s_delay_alu instid0(VALU_DEP_1) | instskip(SKIP_3) | instid1(VALU_DEP_4)
	v_div_scale_f64 v[14:15], null, v[18:19], v[18:19], v[20:21]
	v_div_scale_f64 v[66:67], vcc_lo, v[20:21], v[18:19], v[20:21]
	v_cmp_eq_f64_e64 s7, 0, v[76:77]
	v_cmp_eq_f64_e64 s8, 0x7ff00000, v[74:75]
	v_rcp_f64_e32 v[62:63], v[14:15]
	v_nop
	s_delay_alu instid0(TRANS32_DEP_1) | instskip(NEXT) | instid1(VALU_DEP_1)
	v_fma_f64 v[64:65], -v[14:15], v[62:63], 1.0
	v_fmac_f64_e32 v[62:63], v[62:63], v[64:65]
	s_delay_alu instid0(VALU_DEP_1) | instskip(NEXT) | instid1(VALU_DEP_1)
	v_fma_f64 v[64:65], -v[14:15], v[62:63], 1.0
	v_fmac_f64_e32 v[62:63], v[62:63], v[64:65]
	s_delay_alu instid0(VALU_DEP_1) | instskip(NEXT) | instid1(VALU_DEP_1)
	v_mul_f64_e32 v[64:65], v[66:67], v[62:63]
	v_fma_f64 v[14:15], -v[14:15], v[64:65], v[66:67]
	s_delay_alu instid0(VALU_DEP_1) | instskip(SKIP_1) | instid1(VALU_DEP_2)
	v_div_fmas_f64 v[14:15], v[14:15], v[62:63], v[64:65]
	v_cmp_lt_f64_e64 vcc_lo, v[74:75], |v[76:77]|
	v_div_fixup_f64 v[14:15], v[14:15], v[18:19], v[20:21]
	s_delay_alu instid0(VALU_DEP_1) | instskip(NEXT) | instid1(VALU_DEP_1)
	v_mul_f64_e32 v[18:19], v[14:15], v[14:15]
	v_fmamk_f64 v[20:21], v[18:19], 0x3eeba404b5e68a13, v[50:51]
	s_delay_alu instid0(VALU_DEP_1) | instskip(NEXT) | instid1(VALU_DEP_1)
	v_fmaak_f64 v[20:21], v[18:19], v[20:21], 0x3f4b2bb069efb384
	v_fmaak_f64 v[20:21], v[18:19], v[20:21], 0xbf67952daf56de9b
	s_delay_alu instid0(VALU_DEP_1) | instskip(NEXT) | instid1(VALU_DEP_1)
	v_fmaak_f64 v[20:21], v[18:19], v[20:21], 0x3f7d6d43a595c56f
	v_fmaak_f64 v[20:21], v[18:19], v[20:21], 0xbf8c6ea4a57d9582
	;; [unrolled: 3-line block ×9, first 2 shown]
	s_delay_alu instid0(VALU_DEP_1) | instskip(NEXT) | instid1(VALU_DEP_1)
	v_dual_mul_f64 v[18:19], v[18:19], v[20:21] :: v_dual_ashrrev_i32 v20, 31, v75
	v_and_b32_e32 v62, 0x54442d18, v20
	s_delay_alu instid0(VALU_DEP_2) | instskip(NEXT) | instid1(VALU_DEP_1)
	v_fmac_f64_e32 v[14:15], v[14:15], v[18:19]
	v_add_f64_e64 v[18:19], -v[14:15], s[34:35]
	s_delay_alu instid0(VALU_DEP_1) | instskip(SKIP_1) | instid1(VALU_DEP_2)
	v_dual_cndmask_b32 v15, v15, v19 :: v_dual_cndmask_b32 v14, v14, v18
	v_cmp_gt_i32_e32 vcc_lo, 0, v75
                                        ; implicit-def: $vgpr74_vgpr75
	v_add_f64_e64 v[18:19], -v[14:15], s[36:37]
	v_cndmask_b32_e32 v21, 0x54442d18, v79, vcc_lo
	s_delay_alu instid0(VALU_DEP_2) | instskip(SKIP_3) | instid1(VALU_DEP_2)
	v_dual_cndmask_b32 v14, v14, v18 :: v_dual_cndmask_b32 v15, v15, v19
	v_and_b32_e32 v18, 0x400921fb, v20
	v_cndmask_b32_e32 v19, 0x3fe921fb, v80, vcc_lo
	s_and_b32 vcc_lo, s8, s49
	v_cndmask_b32_e64 v15, v15, v18, s7
	s_delay_alu instid0(VALU_DEP_1) | instskip(NEXT) | instid1(VALU_DEP_1)
	v_dual_cndmask_b32 v14, v14, v62, s7 :: v_dual_cndmask_b32 v15, v15, v19, vcc_lo
	v_cndmask_b32_e32 v14, v14, v21, vcc_lo
	v_cmp_o_f64_e32 vcc_lo, v[76:77], v[76:77]
                                        ; implicit-def: $vgpr18_vgpr19
                                        ; implicit-def: $vgpr20_vgpr21
	s_delay_alu instid0(VALU_DEP_3) | instskip(NEXT) | instid1(VALU_DEP_3)
	v_cndmask_b32_e32 v15, 0x7ff80000, v15, vcc_lo
	v_cndmask_b32_e32 v14, 0, v14, vcc_lo
	s_delay_alu instid0(VALU_DEP_2)
	v_bfi_b32 v15, 0x7fffffff, v15, v77
                                        ; implicit-def: $vgpr76_vgpr77
.LBB48_181:                             ;   in Loop: Header=BB48_4 Depth=1
	s_and_not1_saveexec_b32 s50, s50
	s_cbranch_execz .LBB48_183
; %bb.182:                              ;   in Loop: Header=BB48_4 Depth=1
	s_delay_alu instid0(VALU_DEP_1) | instskip(SKIP_3) | instid1(VALU_DEP_4)
	v_div_scale_f64 v[14:15], null, v[18:19], v[18:19], v[20:21]
	v_div_scale_f64 v[66:67], vcc_lo, v[20:21], v[18:19], v[20:21]
	v_cmp_eq_f64_e64 s7, 0, v[76:77]
	v_cmp_eq_f64_e64 s8, 0x7ff00000, v[74:75]
	v_rcp_f64_e32 v[62:63], v[14:15]
	v_nop
	s_delay_alu instid0(TRANS32_DEP_1) | instskip(NEXT) | instid1(VALU_DEP_1)
	v_fma_f64 v[64:65], -v[14:15], v[62:63], 1.0
	v_fmac_f64_e32 v[62:63], v[62:63], v[64:65]
	s_delay_alu instid0(VALU_DEP_1) | instskip(NEXT) | instid1(VALU_DEP_1)
	v_fma_f64 v[64:65], -v[14:15], v[62:63], 1.0
	v_fmac_f64_e32 v[62:63], v[62:63], v[64:65]
	s_delay_alu instid0(VALU_DEP_1) | instskip(NEXT) | instid1(VALU_DEP_1)
	v_mul_f64_e32 v[64:65], v[66:67], v[62:63]
	v_fma_f64 v[14:15], -v[14:15], v[64:65], v[66:67]
	s_delay_alu instid0(VALU_DEP_1) | instskip(SKIP_1) | instid1(VALU_DEP_2)
	v_div_fmas_f64 v[14:15], v[14:15], v[62:63], v[64:65]
	v_cmp_lt_f64_e64 vcc_lo, v[74:75], |v[76:77]|
	v_div_fixup_f64 v[14:15], v[14:15], v[18:19], v[20:21]
	s_delay_alu instid0(VALU_DEP_1) | instskip(NEXT) | instid1(VALU_DEP_1)
	v_mul_f64_e32 v[18:19], v[14:15], v[14:15]
	v_fmamk_f64 v[20:21], v[18:19], 0x3eeba404b5e68a13, v[50:51]
	s_delay_alu instid0(VALU_DEP_1) | instskip(NEXT) | instid1(VALU_DEP_1)
	v_fmaak_f64 v[20:21], v[18:19], v[20:21], 0x3f4b2bb069efb384
	v_fmaak_f64 v[20:21], v[18:19], v[20:21], 0xbf67952daf56de9b
	s_delay_alu instid0(VALU_DEP_1) | instskip(NEXT) | instid1(VALU_DEP_1)
	v_fmaak_f64 v[20:21], v[18:19], v[20:21], 0x3f7d6d43a595c56f
	v_fmaak_f64 v[20:21], v[18:19], v[20:21], 0xbf8c6ea4a57d9582
	s_delay_alu instid0(VALU_DEP_1) | instskip(NEXT) | instid1(VALU_DEP_1)
	v_fmaak_f64 v[20:21], v[18:19], v[20:21], 0x3f967e295f08b19f
	v_fmaak_f64 v[20:21], v[18:19], v[20:21], 0xbf9e9ae6fc27006a
	s_delay_alu instid0(VALU_DEP_1) | instskip(NEXT) | instid1(VALU_DEP_1)
	v_fmaak_f64 v[20:21], v[18:19], v[20:21], 0x3fa2c15b5711927a
	v_fmaak_f64 v[20:21], v[18:19], v[20:21], 0xbfa59976e82d3ff0
	s_delay_alu instid0(VALU_DEP_1) | instskip(NEXT) | instid1(VALU_DEP_1)
	v_fmaak_f64 v[20:21], v[18:19], v[20:21], 0x3fa82d5d6ef28734
	v_fmaak_f64 v[20:21], v[18:19], v[20:21], 0xbfaae5ce6a214619
	s_delay_alu instid0(VALU_DEP_1) | instskip(NEXT) | instid1(VALU_DEP_1)
	v_fmaak_f64 v[20:21], v[18:19], v[20:21], 0x3fae1bb48427b883
	v_fmaak_f64 v[20:21], v[18:19], v[20:21], 0xbfb110e48b207f05
	s_delay_alu instid0(VALU_DEP_1) | instskip(NEXT) | instid1(VALU_DEP_1)
	v_fmaak_f64 v[20:21], v[18:19], v[20:21], 0x3fb3b13657b87036
	v_fmaak_f64 v[20:21], v[18:19], v[20:21], 0xbfb745d119378e4f
	s_delay_alu instid0(VALU_DEP_1) | instskip(NEXT) | instid1(VALU_DEP_1)
	v_fmaak_f64 v[20:21], v[18:19], v[20:21], 0x3fbc71c717e1913c
	v_fmaak_f64 v[20:21], v[18:19], v[20:21], 0xbfc2492492376b7d
	s_delay_alu instid0(VALU_DEP_1) | instskip(NEXT) | instid1(VALU_DEP_1)
	v_fmaak_f64 v[20:21], v[18:19], v[20:21], 0x3fc99999999952cc
	v_fmaak_f64 v[20:21], v[18:19], v[20:21], 0xbfd5555555555523
	s_delay_alu instid0(VALU_DEP_1) | instskip(SKIP_1) | instid1(VALU_DEP_1)
	v_mul_f64_e32 v[18:19], v[18:19], v[20:21]
	v_xor_b32_e32 v20, 0x80000000, v75
	v_ashrrev_i32_e32 v21, 31, v20
	s_delay_alu instid0(VALU_DEP_1) | instskip(NEXT) | instid1(VALU_DEP_4)
	v_and_b32_e32 v62, 0x54442d18, v21
	v_fmac_f64_e32 v[14:15], v[14:15], v[18:19]
	s_delay_alu instid0(VALU_DEP_1) | instskip(NEXT) | instid1(VALU_DEP_1)
	v_add_f64_e64 v[18:19], -v[14:15], s[34:35]
	v_dual_cndmask_b32 v15, v15, v19 :: v_dual_cndmask_b32 v14, v14, v18
	v_cmp_gt_i32_e32 vcc_lo, 0, v20
	s_delay_alu instid0(VALU_DEP_2) | instskip(SKIP_1) | instid1(VALU_DEP_2)
	v_add_f64_e64 v[18:19], -v[14:15], s[36:37]
	v_cndmask_b32_e32 v20, 0x54442d18, v79, vcc_lo
	v_dual_cndmask_b32 v14, v14, v18 :: v_dual_cndmask_b32 v15, v15, v19
	v_and_b32_e32 v18, 0x400921fb, v21
	v_cndmask_b32_e32 v19, 0x3fe921fb, v80, vcc_lo
	s_and_b32 vcc_lo, s8, s49
	s_delay_alu instid0(VALU_DEP_2) | instskip(NEXT) | instid1(VALU_DEP_1)
	v_cndmask_b32_e64 v15, v15, v18, s7
	v_dual_cndmask_b32 v14, v14, v62, s7 :: v_dual_cndmask_b32 v15, v15, v19, vcc_lo
	s_delay_alu instid0(VALU_DEP_1) | instskip(SKIP_1) | instid1(VALU_DEP_3)
	v_cndmask_b32_e32 v14, v14, v20, vcc_lo
	v_cmp_o_f64_e32 vcc_lo, v[76:77], v[76:77]
	v_cndmask_b32_e32 v15, 0x7ff80000, v15, vcc_lo
	s_delay_alu instid0(VALU_DEP_3) | instskip(NEXT) | instid1(VALU_DEP_2)
	v_cndmask_b32_e32 v14, 0, v14, vcc_lo
	v_bfi_b32 v15, 0x7fffffff, v15, v77
.LBB48_183:                             ;   in Loop: Header=BB48_4 Depth=1
	s_or_b32 exec_lo, exec_lo, s50
.LBB48_184:                             ;   in Loop: Header=BB48_4 Depth=1
	s_delay_alu instid0(SALU_CYCLE_1) | instskip(SKIP_1) | instid1(VALU_DEP_1)
	s_or_b32 exec_lo, exec_lo, s48
	v_xor_b32_e32 v18, 0x80000000, v17
	v_cndmask_b32_e64 v17, v18, v17, s6
                                        ; implicit-def: $vgpr18_vgpr19
.LBB48_185:                             ;   in Loop: Header=BB48_4 Depth=1
	s_and_not1_saveexec_b32 s7, s47
	s_cbranch_execz .LBB48_187
; %bb.186:                              ;   in Loop: Header=BB48_4 Depth=1
	s_wait_dscnt 0x0
	flat_load_b64 v[14:15], v[26:27] scope:SCOPE_SYS
	s_wait_loadcnt_dscnt 0x0
	v_add_f64_e64 v[14:15], v[14:15], -v[18:19]
	s_delay_alu instid0(VALU_DEP_1)
	v_add_f64_e32 v[14:15], 0x3ff921fb54442d18, v[14:15]
.LBB48_187:                             ;   in Loop: Header=BB48_4 Depth=1
	s_or_b32 exec_lo, exec_lo, s7
.LBB48_188:                             ;   in Loop: Header=BB48_4 Depth=1
	s_and_not1_saveexec_b32 s7, s46
	s_cbranch_execz .LBB48_190
; %bb.189:                              ;   in Loop: Header=BB48_4 Depth=1
	s_wait_dscnt 0x0
	v_mov_b64_e32 v[14:15], 0
.LBB48_190:                             ;   in Loop: Header=BB48_4 Depth=1
	s_or_b32 exec_lo, exec_lo, s7
                                        ; implicit-def: $vgpr18_vgpr19
                                        ; implicit-def: $vgpr64_vgpr65
                                        ; implicit-def: $vgpr66_vgpr67
                                        ; implicit-def: $vgpr62_vgpr63
.LBB48_191:                             ;   in Loop: Header=BB48_4 Depth=1
	s_and_not1_saveexec_b32 s33, s33
	s_cbranch_execz .LBB48_201
; %bb.192:                              ;   in Loop: Header=BB48_4 Depth=1
	s_delay_alu instid0(VALU_DEP_3) | instskip(SKIP_3) | instid1(VALU_DEP_1)
	v_cmp_lt_f64_e64 s7, |v[18:19]|, |v[20:21]|
	v_and_b32_e32 v70, 0x7fffffff, v19
	v_and_b32_e32 v71, 0x7fffffff, v21
                                        ; implicit-def: $sgpr46
                                        ; implicit-def: $vgpr16_vgpr17
                                        ; implicit-def: $vgpr14_vgpr15
	s_mov_b32 s8, exec_lo
	v_cndmask_b32_e64 v69, v70, v71, s7
	v_cndmask_b32_e64 v68, v18, v20, s7
	s_delay_alu instid0(VALU_DEP_1)
	v_cmpx_nlt_f64_e32 s[38:39], v[68:69]
	s_xor_b32 s47, exec_lo, s8
	s_cbranch_execz .LBB48_198
; %bb.193:                              ;   in Loop: Header=BB48_4 Depth=1
	v_cndmask_b32_e64 v71, v71, v70, s7
	v_cndmask_b32_e64 v70, v20, v18, s7
	v_cmp_nlt_f64_e32 vcc_lo, 0x20200000, v[68:69]
                                        ; implicit-def: $sgpr46
                                        ; implicit-def: $vgpr16_vgpr17
                                        ; implicit-def: $vgpr14_vgpr15
	s_delay_alu instid0(VALU_DEP_2) | instskip(SKIP_1) | instid1(SALU_CYCLE_1)
	v_cmp_ngt_f64_e64 s8, 0x20000000, v[70:71]
	s_and_b32 s8, vcc_lo, s8
	s_and_saveexec_b32 s48, s8
	s_delay_alu instid0(SALU_CYCLE_1)
	s_xor_b32 s8, exec_lo, s48
	s_cbranch_execz .LBB48_195
; %bb.194:                              ;   in Loop: Header=BB48_4 Depth=1
	v_mul_f64_e32 v[16:17], v[70:71], v[70:71]
	v_min_num_f64_e32 v[64:65], v[64:65], v[66:67]
	v_cmp_class_f64_e64 s46, v[20:21], 0x204
	v_cmp_class_f64_e64 s48, v[18:19], 0x204
	s_delay_alu instid0(VALU_DEP_4) | instskip(SKIP_2) | instid1(VALU_DEP_1)
	v_fmac_f64_e32 v[16:17], v[68:69], v[68:69]
	s_and_b32 s46, s46, s48
	s_wait_dscnt 0x0
	v_frexp_mant_f64_e32 v[14:15], v[16:17]
	s_delay_alu instid0(VALU_DEP_1) | instskip(SKIP_1) | instid1(VALU_DEP_1)
	v_cmp_gt_f64_e32 vcc_lo, s[20:21], v[14:15]
	v_cndmask_b32_e64 v68, 0, 1, vcc_lo
	v_ldexp_f64 v[14:15], v[14:15], v68
	s_delay_alu instid0(VALU_DEP_1) | instskip(SKIP_1) | instid1(VALU_DEP_2)
	v_add_f64_e32 v[68:69], 1.0, v[14:15]
	v_add_f64_e32 v[74:75], -1.0, v[14:15]
	v_rcp_f64_e32 v[70:71], v[68:69]
	v_add_f64_e32 v[76:77], -1.0, v[68:69]
	s_delay_alu instid0(VALU_DEP_1) | instskip(NEXT) | instid1(TRANS32_DEP_1)
	v_add_f64_e64 v[14:15], v[14:15], -v[76:77]
	v_fma_f64 v[72:73], -v[68:69], v[70:71], 1.0
	s_delay_alu instid0(VALU_DEP_1) | instskip(NEXT) | instid1(VALU_DEP_1)
	v_fmac_f64_e32 v[70:71], v[72:73], v[70:71]
	v_fma_f64 v[72:73], -v[68:69], v[70:71], 1.0
	s_delay_alu instid0(VALU_DEP_1) | instskip(NEXT) | instid1(VALU_DEP_1)
	v_fmac_f64_e32 v[70:71], v[72:73], v[70:71]
	v_mul_f64_e32 v[72:73], v[74:75], v[70:71]
	s_delay_alu instid0(VALU_DEP_1) | instskip(NEXT) | instid1(VALU_DEP_1)
	v_mul_f64_e32 v[82:83], v[68:69], v[72:73]
	v_fma_f64 v[68:69], v[72:73], v[68:69], -v[82:83]
	s_delay_alu instid0(VALU_DEP_1) | instskip(NEXT) | instid1(VALU_DEP_1)
	v_fmac_f64_e32 v[68:69], v[72:73], v[14:15]
	v_add_f64_e32 v[14:15], v[82:83], v[68:69]
	s_delay_alu instid0(VALU_DEP_1) | instskip(SKIP_1) | instid1(VALU_DEP_2)
	v_add_f64_e64 v[76:77], v[74:75], -v[14:15]
	v_add_f64_e64 v[82:83], v[14:15], -v[82:83]
	;; [unrolled: 1-line block ×3, first 2 shown]
	s_delay_alu instid0(VALU_DEP_2) | instskip(NEXT) | instid1(VALU_DEP_2)
	v_add_f64_e64 v[68:69], v[82:83], -v[68:69]
	v_add_f64_e64 v[14:15], v[74:75], -v[14:15]
	s_delay_alu instid0(VALU_DEP_1) | instskip(NEXT) | instid1(VALU_DEP_1)
	v_add_f64_e32 v[14:15], v[68:69], v[14:15]
	v_add_f64_e32 v[14:15], v[76:77], v[14:15]
	s_delay_alu instid0(VALU_DEP_1) | instskip(NEXT) | instid1(VALU_DEP_1)
	v_mul_f64_e32 v[14:15], v[70:71], v[14:15]
	v_add_f64_e32 v[68:69], v[72:73], v[14:15]
	s_delay_alu instid0(VALU_DEP_1) | instskip(SKIP_1) | instid1(VALU_DEP_2)
	v_mul_f64_e32 v[70:71], v[68:69], v[68:69]
	v_ldexp_f64 v[66:67], v[68:69], 1
	v_fmamk_f64 v[74:75], v[70:71], 0x3fc3ab76bf559e2b, v[46:47]
	v_mul_f64_e32 v[76:77], v[68:69], v[70:71]
	v_add_f64_e64 v[68:69], v[68:69], -v[72:73]
	s_delay_alu instid0(VALU_DEP_3) | instskip(NEXT) | instid1(VALU_DEP_1)
	v_fmaak_f64 v[74:75], v[70:71], v[74:75], 0x3fc7474dd7f4df2e
	v_fmaak_f64 v[74:75], v[70:71], v[74:75], 0x3fcc71c016291751
	s_delay_alu instid0(VALU_DEP_1) | instskip(NEXT) | instid1(VALU_DEP_1)
	v_fmaak_f64 v[74:75], v[70:71], v[74:75], 0x3fd249249b27acf1
	v_fmaak_f64 v[74:75], v[70:71], v[74:75], 0x3fd99999998ef7b6
	v_add_f64_e64 v[14:15], v[14:15], -v[68:69]
	s_delay_alu instid0(VALU_DEP_2) | instskip(SKIP_1) | instid1(VALU_DEP_2)
	v_fmaak_f64 v[70:71], v[70:71], v[74:75], 0x3fe5555555555780
	v_frexp_exp_i32_f64_e32 v74, v[16:17]
	v_mul_f64_e32 v[70:71], v[76:77], v[70:71]
	s_delay_alu instid0(VALU_DEP_4) | instskip(NEXT) | instid1(VALU_DEP_3)
	v_ldexp_f64 v[14:15], v[14:15], 1
	v_subrev_co_ci_u32_e64 v76, null, 0, v74, vcc_lo
	v_div_scale_f64 v[74:75], null, v[62:63], v[62:63], v[64:65]
	v_div_scale_f64 v[88:89], vcc_lo, v[64:65], v[62:63], v[64:65]
	s_delay_alu instid0(VALU_DEP_3) | instskip(SKIP_1) | instid1(VALU_DEP_4)
	v_cvt_f64_i32_e32 v[76:77], v76
	v_add_f64_e32 v[72:73], v[66:67], v[70:71]
	v_rcp_f64_e32 v[82:83], v[74:75]
	s_delay_alu instid0(VALU_DEP_2) | instskip(NEXT) | instid1(VALU_DEP_2)
	v_mul_f64_e32 v[84:85], 0x3fe62e42fefa39ef, v[76:77]
	v_add_f64_e64 v[66:67], v[72:73], -v[66:67]
	s_delay_alu instid0(VALU_DEP_2) | instskip(NEXT) | instid1(VALU_DEP_2)
	v_fma_f64 v[68:69], v[76:77], s[22:23], -v[84:85]
	v_add_f64_e64 v[66:67], v[70:71], -v[66:67]
	s_delay_alu instid0(TRANS32_DEP_1) | instskip(NEXT) | instid1(VALU_DEP_3)
	v_fma_f64 v[70:71], -v[74:75], v[82:83], 1.0
	v_fmac_f64_e32 v[68:69], 0x3c7abc9e3b39803f, v[76:77]
	s_delay_alu instid0(VALU_DEP_3) | instskip(NEXT) | instid1(VALU_DEP_3)
	v_add_f64_e32 v[14:15], v[14:15], v[66:67]
	v_fmac_f64_e32 v[82:83], v[82:83], v[70:71]
	s_delay_alu instid0(VALU_DEP_3) | instskip(NEXT) | instid1(VALU_DEP_3)
	v_add_f64_e32 v[66:67], v[84:85], v[68:69]
	v_add_f64_e32 v[70:71], v[72:73], v[14:15]
	s_delay_alu instid0(VALU_DEP_3) | instskip(NEXT) | instid1(VALU_DEP_3)
	v_fma_f64 v[76:77], -v[74:75], v[82:83], 1.0
	v_add_f64_e64 v[84:85], v[66:67], -v[84:85]
	s_delay_alu instid0(VALU_DEP_3) | instskip(NEXT) | instid1(VALU_DEP_3)
	v_add_f64_e32 v[86:87], v[66:67], v[70:71]
	v_fmac_f64_e32 v[82:83], v[82:83], v[76:77]
	v_add_f64_e64 v[72:73], v[70:71], -v[72:73]
	s_delay_alu instid0(VALU_DEP_4) | instskip(NEXT) | instid1(VALU_DEP_4)
	v_add_f64_e64 v[68:69], v[68:69], -v[84:85]
	v_add_f64_e64 v[76:77], v[86:87], -v[66:67]
	s_delay_alu instid0(VALU_DEP_4) | instskip(NEXT) | instid1(VALU_DEP_4)
	v_mul_f64_e32 v[90:91], v[88:89], v[82:83]
	v_add_f64_e64 v[72:73], v[14:15], -v[72:73]
	s_delay_alu instid0(VALU_DEP_3) | instskip(NEXT) | instid1(VALU_DEP_3)
	v_add_f64_e64 v[92:93], v[86:87], -v[76:77]
	v_fma_f64 v[74:75], -v[74:75], v[90:91], v[88:89]
	v_add_f64_e64 v[14:15], v[70:71], -v[76:77]
	s_delay_alu instid0(VALU_DEP_3) | instskip(NEXT) | instid1(VALU_DEP_3)
	v_add_f64_e64 v[66:67], v[66:67], -v[92:93]
	v_div_fmas_f64 v[70:71], v[74:75], v[82:83], v[90:91]
	v_add_f64_e32 v[74:75], v[68:69], v[72:73]
	v_cmp_class_f64_e64 vcc_lo, v[16:17], 0x204
	s_delay_alu instid0(VALU_DEP_4) | instskip(NEXT) | instid1(VALU_DEP_4)
	v_add_f64_e32 v[66:67], v[14:15], v[66:67]
	v_div_fixup_f64 v[14:15], v[70:71], v[62:63], v[64:65]
	s_delay_alu instid0(VALU_DEP_4) | instskip(NEXT) | instid1(VALU_DEP_3)
	v_add_f64_e64 v[62:63], v[74:75], -v[68:69]
	v_add_f64_e32 v[64:65], v[74:75], v[66:67]
	s_delay_alu instid0(VALU_DEP_3) | instskip(NEXT) | instid1(VALU_DEP_3)
	v_mul_f64_e32 v[66:67], v[14:15], v[14:15]
	v_add_f64_e64 v[70:71], v[74:75], -v[62:63]
	v_add_f64_e64 v[62:63], v[72:73], -v[62:63]
	s_delay_alu instid0(VALU_DEP_4) | instskip(NEXT) | instid1(VALU_DEP_4)
	v_add_f64_e32 v[74:75], v[86:87], v[64:65]
	v_fmamk_f64 v[76:77], v[66:67], 0x3eeba404b5e68a13, v[50:51]
	s_delay_alu instid0(VALU_DEP_4) | instskip(NEXT) | instid1(VALU_DEP_2)
	v_add_f64_e64 v[68:69], v[68:69], -v[70:71]
	v_fmaak_f64 v[76:77], v[66:67], v[76:77], 0x3f4b2bb069efb384
	s_delay_alu instid0(VALU_DEP_1) | instskip(NEXT) | instid1(VALU_DEP_1)
	v_fmaak_f64 v[76:77], v[66:67], v[76:77], 0xbf67952daf56de9b
	v_fmaak_f64 v[76:77], v[66:67], v[76:77], 0x3f7d6d43a595c56f
	s_delay_alu instid0(VALU_DEP_1) | instskip(SKIP_2) | instid1(VALU_DEP_3)
	v_fmaak_f64 v[72:73], v[66:67], v[76:77], 0xbf8c6ea4a57d9582
	v_add_f64_e64 v[70:71], v[74:75], -v[86:87]
	v_add_f64_e32 v[62:63], v[62:63], v[68:69]
	v_fmaak_f64 v[72:73], v[66:67], v[72:73], 0x3f967e295f08b19f
	s_delay_alu instid0(VALU_DEP_1) | instskip(NEXT) | instid1(VALU_DEP_1)
	v_fmaak_f64 v[72:73], v[66:67], v[72:73], 0xbf9e9ae6fc27006a
	v_fmaak_f64 v[72:73], v[66:67], v[72:73], 0x3fa2c15b5711927a
	s_delay_alu instid0(VALU_DEP_1) | instskip(NEXT) | instid1(VALU_DEP_1)
	v_fmaak_f64 v[72:73], v[66:67], v[72:73], 0xbfa59976e82d3ff0
	v_fmaak_f64 v[68:69], v[66:67], v[72:73], 0x3fa82d5d6ef28734
	v_add_f64_e64 v[64:65], v[64:65], -v[70:71]
	s_delay_alu instid0(VALU_DEP_2) | instskip(NEXT) | instid1(VALU_DEP_1)
	v_fmaak_f64 v[68:69], v[66:67], v[68:69], 0xbfaae5ce6a214619
	v_fmaak_f64 v[68:69], v[66:67], v[68:69], 0x3fae1bb48427b883
	s_delay_alu instid0(VALU_DEP_1) | instskip(NEXT) | instid1(VALU_DEP_4)
	v_fmaak_f64 v[68:69], v[66:67], v[68:69], 0xbfb110e48b207f05
	v_add_f64_e32 v[62:63], v[62:63], v[64:65]
	s_delay_alu instid0(VALU_DEP_2) | instskip(NEXT) | instid1(VALU_DEP_1)
	v_fmaak_f64 v[64:65], v[66:67], v[68:69], 0x3fb3b13657b87036
	v_fmaak_f64 v[64:65], v[66:67], v[64:65], 0xbfb745d119378e4f
	s_delay_alu instid0(VALU_DEP_1) | instskip(NEXT) | instid1(VALU_DEP_1)
	v_fmaak_f64 v[64:65], v[66:67], v[64:65], 0x3fbc71c717e1913c
	v_fmaak_f64 v[64:65], v[66:67], v[64:65], 0xbfc2492492376b7d
	s_delay_alu instid0(VALU_DEP_1) | instskip(SKIP_1) | instid1(VALU_DEP_2)
	v_fmaak_f64 v[64:65], v[66:67], v[64:65], 0x3fc99999999952cc
	v_add_f64_e32 v[62:63], v[74:75], v[62:63]
	v_fmaak_f64 v[64:65], v[66:67], v[64:65], 0xbfd5555555555523
	s_delay_alu instid0(VALU_DEP_1) | instskip(NEXT) | instid1(VALU_DEP_3)
	v_mul_f64_e32 v[64:65], v[66:67], v[64:65]
                                        ; implicit-def: $vgpr66_vgpr67
	v_dual_cndmask_b32 v63, v63, v17 :: v_dual_cndmask_b32 v62, v62, v16
	v_cmp_neq_f64_e32 vcc_lo, 0, v[16:17]
	s_delay_alu instid0(VALU_DEP_2) | instskip(NEXT) | instid1(VALU_DEP_4)
	v_mul_f64_e32 v[62:63], 0.5, v[62:63]
	v_fmac_f64_e32 v[14:15], v[14:15], v[64:65]
                                        ; implicit-def: $vgpr64_vgpr65
	s_delay_alu instid0(VALU_DEP_2) | instskip(NEXT) | instid1(VALU_DEP_3)
	v_cndmask_b32_e32 v17, 0xfff00000, v63, vcc_lo
	v_cndmask_b32_e32 v16, 0, v62, vcc_lo
                                        ; implicit-def: $vgpr62_vgpr63
.LBB48_195:                             ;   in Loop: Header=BB48_4 Depth=1
	s_and_not1_saveexec_b32 s8, s8
	s_cbranch_execz .LBB48_197
; %bb.196:                              ;   in Loop: Header=BB48_4 Depth=1
	v_frexp_exp_i32_f64_e32 v72, v[62:63]
	v_cmp_class_f64_e64 s48, v[18:19], 0x204
	v_cmp_class_f64_e64 s49, v[20:21], 0x204
	v_min_num_f64_e32 v[64:65], v[64:65], v[66:67]
	s_and_not1_b32 s46, s46, exec_lo
	v_sub_nc_u32_e32 v16, 0, v72
	s_or_b32 s50, s49, s48
	s_and_b32 s48, s49, s48
	s_delay_alu instid0(SALU_CYCLE_1) | instskip(SKIP_3) | instid1(VALU_DEP_1)
	s_and_b32 s48, s48, exec_lo
	s_wait_dscnt 0x0
	v_ldexp_f64 v[14:15], |v[20:21]|, v16
	s_or_b32 s46, s46, s48
	v_mul_f64_e32 v[14:15], v[14:15], v[14:15]
	v_ldexp_f64 v[16:17], |v[18:19]|, v16
	s_delay_alu instid0(VALU_DEP_1) | instskip(NEXT) | instid1(VALU_DEP_1)
	v_fmac_f64_e32 v[14:15], v[16:17], v[16:17]
	v_rsq_f64_e32 v[16:17], v[14:15]
	v_cmp_eq_f64_e32 vcc_lo, 0, v[14:15]
	s_delay_alu instid0(TRANS32_DEP_1) | instskip(SKIP_1) | instid1(VALU_DEP_1)
	v_mul_f64_e32 v[68:69], v[14:15], v[16:17]
	v_mul_f64_e32 v[16:17], 0.5, v[16:17]
	v_fma_f64 v[70:71], -v[16:17], v[68:69], 0.5
	s_delay_alu instid0(VALU_DEP_1) | instskip(SKIP_1) | instid1(VALU_DEP_2)
	v_fmac_f64_e32 v[68:69], v[68:69], v[70:71]
	v_fmac_f64_e32 v[16:17], v[16:17], v[70:71]
	v_fma_f64 v[70:71], -v[68:69], v[68:69], v[14:15]
	s_delay_alu instid0(VALU_DEP_1) | instskip(NEXT) | instid1(VALU_DEP_1)
	v_fmac_f64_e32 v[68:69], v[70:71], v[16:17]
	v_dual_cndmask_b32 v15, v69, v15 :: v_dual_cndmask_b32 v14, v68, v14
	s_delay_alu instid0(VALU_DEP_1) | instskip(NEXT) | instid1(VALU_DEP_1)
	v_ldexp_f64 v[14:15], v[14:15], v72
	v_cndmask_b32_e64 v69, v15, 0x7ff00000, s50
	s_delay_alu instid0(VALU_DEP_2) | instskip(NEXT) | instid1(VALU_DEP_1)
	v_cndmask_b32_e64 v68, v14, 0, s50
	v_frexp_mant_f64_e32 v[14:15], v[68:69]
	v_frexp_exp_i32_f64_e32 v81, v[68:69]
	s_delay_alu instid0(VALU_DEP_2) | instskip(SKIP_1) | instid1(VALU_DEP_1)
	v_cmp_gt_f64_e32 vcc_lo, s[20:21], v[14:15]
	v_cndmask_b32_e64 v16, 0, 1, vcc_lo
	v_ldexp_f64 v[14:15], v[14:15], v16
	s_delay_alu instid0(VALU_DEP_1) | instskip(SKIP_1) | instid1(VALU_DEP_2)
	v_add_f64_e32 v[16:17], 1.0, v[14:15]
	v_add_f64_e32 v[74:75], -1.0, v[14:15]
	v_rcp_f64_e32 v[70:71], v[16:17]
	v_add_f64_e32 v[76:77], -1.0, v[16:17]
	s_delay_alu instid0(VALU_DEP_1) | instskip(NEXT) | instid1(TRANS32_DEP_1)
	v_add_f64_e64 v[14:15], v[14:15], -v[76:77]
	v_fma_f64 v[72:73], -v[16:17], v[70:71], 1.0
	s_delay_alu instid0(VALU_DEP_1) | instskip(NEXT) | instid1(VALU_DEP_1)
	v_fmac_f64_e32 v[70:71], v[72:73], v[70:71]
	v_fma_f64 v[72:73], -v[16:17], v[70:71], 1.0
	s_delay_alu instid0(VALU_DEP_1) | instskip(NEXT) | instid1(VALU_DEP_1)
	v_fmac_f64_e32 v[70:71], v[72:73], v[70:71]
	v_mul_f64_e32 v[72:73], v[74:75], v[70:71]
	s_delay_alu instid0(VALU_DEP_1) | instskip(NEXT) | instid1(VALU_DEP_1)
	v_mul_f64_e32 v[82:83], v[16:17], v[72:73]
	v_fma_f64 v[16:17], v[72:73], v[16:17], -v[82:83]
	s_delay_alu instid0(VALU_DEP_1) | instskip(NEXT) | instid1(VALU_DEP_1)
	v_fmac_f64_e32 v[16:17], v[72:73], v[14:15]
	v_add_f64_e32 v[14:15], v[82:83], v[16:17]
	s_delay_alu instid0(VALU_DEP_1) | instskip(SKIP_1) | instid1(VALU_DEP_2)
	v_add_f64_e64 v[76:77], v[74:75], -v[14:15]
	v_add_f64_e64 v[82:83], v[14:15], -v[82:83]
	;; [unrolled: 1-line block ×3, first 2 shown]
	s_delay_alu instid0(VALU_DEP_2) | instskip(NEXT) | instid1(VALU_DEP_2)
	v_add_f64_e64 v[16:17], v[82:83], -v[16:17]
	v_add_f64_e64 v[14:15], v[74:75], -v[14:15]
	s_delay_alu instid0(VALU_DEP_1) | instskip(NEXT) | instid1(VALU_DEP_1)
	v_add_f64_e32 v[14:15], v[16:17], v[14:15]
	v_add_f64_e32 v[14:15], v[76:77], v[14:15]
	s_delay_alu instid0(VALU_DEP_1) | instskip(NEXT) | instid1(VALU_DEP_1)
	v_mul_f64_e32 v[14:15], v[70:71], v[14:15]
	v_add_f64_e32 v[16:17], v[72:73], v[14:15]
	s_delay_alu instid0(VALU_DEP_1) | instskip(NEXT) | instid1(VALU_DEP_1)
	v_mul_f64_e32 v[70:71], v[16:17], v[16:17]
	v_fmamk_f64 v[74:75], v[70:71], 0x3fc3ab76bf559e2b, v[46:47]
	v_mul_f64_e32 v[76:77], v[16:17], v[70:71]
	s_delay_alu instid0(VALU_DEP_2) | instskip(NEXT) | instid1(VALU_DEP_1)
	v_fmaak_f64 v[74:75], v[70:71], v[74:75], 0x3fc7474dd7f4df2e
	v_fmaak_f64 v[66:67], v[70:71], v[74:75], 0x3fcc71c016291751
	v_div_scale_f64 v[74:75], null, v[62:63], v[62:63], v[64:65]
	s_delay_alu instid0(VALU_DEP_2) | instskip(NEXT) | instid1(VALU_DEP_1)
	v_fmaak_f64 v[66:67], v[70:71], v[66:67], 0x3fd249249b27acf1
	v_fmaak_f64 v[66:67], v[70:71], v[66:67], 0x3fd99999998ef7b6
	s_delay_alu instid0(VALU_DEP_1) | instskip(SKIP_2) | instid1(VALU_DEP_3)
	v_fmaak_f64 v[66:67], v[70:71], v[66:67], 0x3fe5555555555780
	v_ldexp_f64 v[70:71], v[16:17], 1
	v_add_f64_e64 v[16:17], v[16:17], -v[72:73]
	v_mul_f64_e32 v[66:67], v[76:77], v[66:67]
	v_subrev_co_ci_u32_e64 v76, null, 0, v81, vcc_lo
	v_rcp_f64_e32 v[82:83], v[74:75]
	s_delay_alu instid0(VALU_DEP_1) | instskip(NEXT) | instid1(VALU_DEP_4)
	v_cvt_f64_i32_e32 v[76:77], v76
	v_add_f64_e64 v[14:15], v[14:15], -v[16:17]
	s_delay_alu instid0(VALU_DEP_4) | instskip(NEXT) | instid1(VALU_DEP_3)
	v_add_f64_e32 v[72:73], v[70:71], v[66:67]
	v_mul_f64_e32 v[84:85], 0x3fe62e42fefa39ef, v[76:77]
	s_delay_alu instid0(VALU_DEP_3) | instskip(NEXT) | instid1(VALU_DEP_3)
	v_ldexp_f64 v[14:15], v[14:15], 1
	v_add_f64_e64 v[16:17], v[72:73], -v[70:71]
	s_delay_alu instid0(TRANS32_DEP_1) | instskip(NEXT) | instid1(VALU_DEP_4)
	v_fma_f64 v[70:71], -v[74:75], v[82:83], 1.0
	v_fma_f64 v[86:87], v[76:77], s[22:23], -v[84:85]
	s_delay_alu instid0(VALU_DEP_3) | instskip(NEXT) | instid1(VALU_DEP_3)
	v_add_f64_e64 v[16:17], v[66:67], -v[16:17]
	v_fmac_f64_e32 v[82:83], v[82:83], v[70:71]
	s_delay_alu instid0(VALU_DEP_3) | instskip(SKIP_1) | instid1(VALU_DEP_4)
	v_fmac_f64_e32 v[86:87], 0x3c7abc9e3b39803f, v[76:77]
	v_div_scale_f64 v[76:77], vcc_lo, v[64:65], v[62:63], v[64:65]
	v_add_f64_e32 v[14:15], v[14:15], v[16:17]
	s_delay_alu instid0(VALU_DEP_4) | instskip(NEXT) | instid1(VALU_DEP_4)
	v_fma_f64 v[16:17], -v[74:75], v[82:83], 1.0
	v_add_f64_e32 v[66:67], v[84:85], v[86:87]
	s_delay_alu instid0(VALU_DEP_3) | instskip(NEXT) | instid1(VALU_DEP_3)
	v_add_f64_e32 v[70:71], v[72:73], v[14:15]
	v_fmac_f64_e32 v[82:83], v[82:83], v[16:17]
	s_delay_alu instid0(VALU_DEP_2) | instskip(NEXT) | instid1(VALU_DEP_2)
	v_add_f64_e32 v[16:17], v[66:67], v[70:71]
	v_mul_f64_e32 v[88:89], v[76:77], v[82:83]
	v_add_f64_e64 v[72:73], v[70:71], -v[72:73]
	s_delay_alu instid0(VALU_DEP_3) | instskip(NEXT) | instid1(VALU_DEP_3)
	v_add_f64_e64 v[90:91], v[16:17], -v[66:67]
	v_fma_f64 v[74:75], -v[74:75], v[88:89], v[76:77]
	v_add_f64_e64 v[76:77], v[66:67], -v[84:85]
	s_delay_alu instid0(VALU_DEP_4) | instskip(NEXT) | instid1(VALU_DEP_4)
	v_add_f64_e64 v[72:73], v[14:15], -v[72:73]
	v_add_f64_e64 v[84:85], v[16:17], -v[90:91]
	s_delay_alu instid0(VALU_DEP_4) | instskip(NEXT) | instid1(VALU_DEP_4)
	v_div_fmas_f64 v[74:75], v[74:75], v[82:83], v[88:89]
	v_add_f64_e64 v[76:77], v[86:87], -v[76:77]
	v_add_f64_e64 v[70:71], v[70:71], -v[90:91]
	v_cmp_class_f64_e64 vcc_lo, v[68:69], 0x204
	v_add_f64_e64 v[66:67], v[66:67], -v[84:85]
	v_div_fixup_f64 v[14:15], v[74:75], v[62:63], v[64:65]
	v_add_f64_e32 v[62:63], v[76:77], v[72:73]
	s_delay_alu instid0(VALU_DEP_3) | instskip(NEXT) | instid1(VALU_DEP_3)
	v_add_f64_e32 v[64:65], v[70:71], v[66:67]
	v_mul_f64_e32 v[66:67], v[14:15], v[14:15]
	s_delay_alu instid0(VALU_DEP_3) | instskip(NEXT) | instid1(VALU_DEP_3)
	v_add_f64_e64 v[70:71], v[62:63], -v[76:77]
	v_add_f64_e32 v[64:65], v[62:63], v[64:65]
	s_delay_alu instid0(VALU_DEP_3) | instskip(NEXT) | instid1(VALU_DEP_3)
	v_fmamk_f64 v[74:75], v[66:67], 0x3eeba404b5e68a13, v[50:51]
	v_add_f64_e64 v[62:63], v[62:63], -v[70:71]
	v_add_f64_e64 v[70:71], v[72:73], -v[70:71]
	s_delay_alu instid0(VALU_DEP_3) | instskip(NEXT) | instid1(VALU_DEP_1)
	v_fmaak_f64 v[74:75], v[66:67], v[74:75], 0x3f4b2bb069efb384
	v_fmaak_f64 v[74:75], v[66:67], v[74:75], 0xbf67952daf56de9b
	s_delay_alu instid0(VALU_DEP_1) | instskip(NEXT) | instid1(VALU_DEP_1)
	v_fmaak_f64 v[74:75], v[66:67], v[74:75], 0x3f7d6d43a595c56f
	v_fmaak_f64 v[74:75], v[66:67], v[74:75], 0xbf8c6ea4a57d9582
	v_add_f64_e32 v[82:83], v[16:17], v[64:65]
	v_add_f64_e64 v[62:63], v[76:77], -v[62:63]
	s_delay_alu instid0(VALU_DEP_3) | instskip(NEXT) | instid1(VALU_DEP_1)
	v_fmaak_f64 v[74:75], v[66:67], v[74:75], 0x3f967e295f08b19f
	v_fmaak_f64 v[74:75], v[66:67], v[74:75], 0xbf9e9ae6fc27006a
	s_delay_alu instid0(VALU_DEP_1) | instskip(NEXT) | instid1(VALU_DEP_1)
	v_fmaak_f64 v[74:75], v[66:67], v[74:75], 0x3fa2c15b5711927a
	v_fmaak_f64 v[72:73], v[66:67], v[74:75], 0xbfa59976e82d3ff0
	s_delay_alu instid0(VALU_DEP_1) | instskip(SKIP_2) | instid1(VALU_DEP_3)
	v_fmaak_f64 v[72:73], v[66:67], v[72:73], 0x3fa82d5d6ef28734
	v_add_f64_e64 v[16:17], v[82:83], -v[16:17]
	v_add_f64_e32 v[62:63], v[70:71], v[62:63]
	v_fmaak_f64 v[72:73], v[66:67], v[72:73], 0xbfaae5ce6a214619
	s_delay_alu instid0(VALU_DEP_1) | instskip(NEXT) | instid1(VALU_DEP_1)
	v_fmaak_f64 v[72:73], v[66:67], v[72:73], 0x3fae1bb48427b883
	v_fmaak_f64 v[72:73], v[66:67], v[72:73], 0xbfb110e48b207f05
	v_add_f64_e64 v[16:17], v[64:65], -v[16:17]
	s_delay_alu instid0(VALU_DEP_2) | instskip(NEXT) | instid1(VALU_DEP_1)
	v_fmaak_f64 v[64:65], v[66:67], v[72:73], 0x3fb3b13657b87036
	v_fmaak_f64 v[64:65], v[66:67], v[64:65], 0xbfb745d119378e4f
	s_delay_alu instid0(VALU_DEP_1) | instskip(NEXT) | instid1(VALU_DEP_1)
	v_fmaak_f64 v[64:65], v[66:67], v[64:65], 0x3fbc71c717e1913c
	v_fmaak_f64 v[64:65], v[66:67], v[64:65], 0xbfc2492492376b7d
	v_add_f64_e32 v[16:17], v[62:63], v[16:17]
	s_delay_alu instid0(VALU_DEP_2) | instskip(NEXT) | instid1(VALU_DEP_1)
	v_fmaak_f64 v[62:63], v[66:67], v[64:65], 0x3fc99999999952cc
	v_fmaak_f64 v[62:63], v[66:67], v[62:63], 0xbfd5555555555523
	s_delay_alu instid0(VALU_DEP_1) | instskip(NEXT) | instid1(VALU_DEP_4)
	v_mul_f64_e32 v[62:63], v[66:67], v[62:63]
	v_add_f64_e32 v[16:17], v[82:83], v[16:17]
	s_delay_alu instid0(VALU_DEP_2) | instskip(NEXT) | instid1(VALU_DEP_2)
	v_fmac_f64_e32 v[14:15], v[14:15], v[62:63]
	v_dual_cndmask_b32 v16, v16, v68 :: v_dual_cndmask_b32 v17, v17, v69
	v_cmp_ngt_f64_e32 vcc_lo, 0, v[68:69]
	s_delay_alu instid0(VALU_DEP_2) | instskip(SKIP_1) | instid1(VALU_DEP_4)
	v_cndmask_b32_e32 v17, 0x7ff80000, v17, vcc_lo
	v_cmp_nge_f64_e32 vcc_lo, 0, v[68:69]
	v_cndmask_b32_e32 v16, 0, v16, vcc_lo
	v_cmp_neq_f64_e32 vcc_lo, 0, v[68:69]
	s_delay_alu instid0(VALU_DEP_4)
	v_cndmask_b32_e32 v17, 0xfff00000, v17, vcc_lo
.LBB48_197:                             ;   in Loop: Header=BB48_4 Depth=1
	s_or_b32 exec_lo, exec_lo, s8
                                        ; implicit-def: $vgpr64_vgpr65
                                        ; implicit-def: $vgpr66_vgpr67
                                        ; implicit-def: $vgpr62_vgpr63
.LBB48_198:                             ;   in Loop: Header=BB48_4 Depth=1
	s_and_not1_saveexec_b32 s47, s47
	s_cbranch_execz .LBB48_200
; %bb.199:                              ;   in Loop: Header=BB48_4 Depth=1
	s_wait_dscnt 0x0
	v_div_scale_f64 v[14:15], null, s[40:41], s[40:41], v[18:19]
	v_div_scale_f64 v[16:17], null, s[40:41], s[40:41], v[20:21]
	v_div_scale_f64 v[76:77], vcc_lo, v[18:19], s[40:41], v[18:19]
	v_min_num_f64_e32 v[64:65], v[64:65], v[66:67]
	s_and_not1_b32 s46, s46, exec_lo
	s_delay_alu instid0(VALU_DEP_4) | instskip(NEXT) | instid1(VALU_DEP_3)
	v_rcp_f64_e32 v[68:69], v[14:15]
	v_rcp_f64_e32 v[70:71], v[16:17]
	s_delay_alu instid0(TRANS32_DEP_2) | instskip(NEXT) | instid1(TRANS32_DEP_1)
	v_fma_f64 v[72:73], -v[14:15], v[68:69], 1.0
	v_fma_f64 v[74:75], -v[16:17], v[70:71], 1.0
	s_delay_alu instid0(VALU_DEP_2) | instskip(NEXT) | instid1(VALU_DEP_2)
	v_fmac_f64_e32 v[68:69], v[68:69], v[72:73]
	v_fmac_f64_e32 v[70:71], v[70:71], v[74:75]
	s_delay_alu instid0(VALU_DEP_2) | instskip(NEXT) | instid1(VALU_DEP_2)
	v_fma_f64 v[72:73], -v[14:15], v[68:69], 1.0
	v_fma_f64 v[74:75], -v[16:17], v[70:71], 1.0
	s_delay_alu instid0(VALU_DEP_2) | instskip(SKIP_1) | instid1(VALU_DEP_3)
	v_fmac_f64_e32 v[68:69], v[68:69], v[72:73]
	v_div_scale_f64 v[72:73], s8, v[20:21], s[40:41], v[20:21]
	v_fmac_f64_e32 v[70:71], v[70:71], v[74:75]
	s_delay_alu instid0(VALU_DEP_3) | instskip(NEXT) | instid1(VALU_DEP_2)
	v_mul_f64_e32 v[74:75], v[76:77], v[68:69]
	v_mul_f64_e32 v[82:83], v[72:73], v[70:71]
	s_delay_alu instid0(VALU_DEP_2) | instskip(NEXT) | instid1(VALU_DEP_2)
	v_fma_f64 v[14:15], -v[14:15], v[74:75], v[76:77]
	v_fma_f64 v[16:17], -v[16:17], v[82:83], v[72:73]
	s_delay_alu instid0(VALU_DEP_2) | instskip(SKIP_1) | instid1(VALU_DEP_2)
	v_div_fmas_f64 v[14:15], v[14:15], v[68:69], v[74:75]
	s_mov_b32 vcc_lo, s8
	v_div_fmas_f64 v[16:17], v[16:17], v[70:71], v[82:83]
	s_delay_alu instid0(VALU_DEP_2) | instskip(NEXT) | instid1(VALU_DEP_2)
	v_div_fixup_f64 v[14:15], v[14:15], s[40:41], v[18:19]
	v_div_fixup_f64 v[16:17], v[16:17], s[40:41], v[20:21]
	s_delay_alu instid0(VALU_DEP_2) | instskip(NEXT) | instid1(VALU_DEP_2)
	v_cmp_class_f64_e64 s8, v[14:15], 0x204
	v_max_num_f64_e64 v[68:69], |v[14:15]|, |v[16:17]|
	v_cmp_class_f64_e64 s48, v[16:17], 0x204
	s_delay_alu instid0(VALU_DEP_2) | instskip(SKIP_2) | instid1(VALU_DEP_2)
	v_frexp_exp_i32_f64_e32 v76, v[68:69]
	s_or_b32 s8, s48, s8
	v_cmp_class_f64_e64 s48, v[18:19], 0x204
	v_sub_nc_u32_e32 v70, 0, v76
	s_delay_alu instid0(VALU_DEP_1) | instskip(SKIP_1) | instid1(VALU_DEP_2)
	v_ldexp_f64 v[68:69], |v[16:17]|, v70
	v_ldexp_f64 v[70:71], |v[14:15]|, v70
	v_mul_f64_e32 v[68:69], v[68:69], v[68:69]
	s_delay_alu instid0(VALU_DEP_1) | instskip(NEXT) | instid1(VALU_DEP_1)
	v_fmac_f64_e32 v[68:69], v[70:71], v[70:71]
	v_rsq_f64_e32 v[70:71], v[68:69]
	v_cmp_eq_f64_e32 vcc_lo, 0, v[68:69]
	s_delay_alu instid0(TRANS32_DEP_1) | instskip(SKIP_1) | instid1(VALU_DEP_1)
	v_mul_f64_e32 v[72:73], v[68:69], v[70:71]
	v_mul_f64_e32 v[70:71], 0.5, v[70:71]
	v_fma_f64 v[74:75], -v[70:71], v[72:73], 0.5
	s_delay_alu instid0(VALU_DEP_1) | instskip(SKIP_1) | instid1(VALU_DEP_2)
	v_fmac_f64_e32 v[72:73], v[72:73], v[74:75]
	v_fmac_f64_e32 v[70:71], v[70:71], v[74:75]
	v_fma_f64 v[74:75], -v[72:73], v[72:73], v[68:69]
	s_delay_alu instid0(VALU_DEP_1) | instskip(NEXT) | instid1(VALU_DEP_1)
	v_fmac_f64_e32 v[72:73], v[74:75], v[70:71]
	v_dual_cndmask_b32 v69, v73, v69 :: v_dual_cndmask_b32 v68, v72, v68
	s_delay_alu instid0(VALU_DEP_1) | instskip(NEXT) | instid1(VALU_DEP_1)
	v_ldexp_f64 v[14:15], v[68:69], v76
	v_cndmask_b32_e64 v69, v15, 0x7ff00000, s8
	s_delay_alu instid0(VALU_DEP_2) | instskip(SKIP_1) | instid1(VALU_DEP_2)
	v_cndmask_b32_e64 v68, v14, 0, s8
	v_cmp_class_f64_e64 s8, v[20:21], 0x204
	v_frexp_mant_f64_e32 v[14:15], v[68:69]
	v_frexp_exp_i32_f64_e32 v81, v[68:69]
	s_and_b32 s8, s8, s48
	s_delay_alu instid0(SALU_CYCLE_1) | instskip(NEXT) | instid1(VALU_DEP_2)
	s_and_b32 s8, s8, exec_lo
	v_cmp_gt_f64_e32 vcc_lo, s[20:21], v[14:15]
	s_or_b32 s46, s46, s8
	v_cndmask_b32_e64 v16, 0, 1, vcc_lo
	s_delay_alu instid0(VALU_DEP_3) | instskip(SKIP_1) | instid1(VALU_DEP_3)
	v_subrev_co_ci_u32_e64 v66, null, 0, v81, vcc_lo
	v_div_scale_f64 v[88:89], vcc_lo, v[64:65], v[62:63], v[64:65]
	v_ldexp_f64 v[14:15], v[14:15], v16
	s_delay_alu instid0(VALU_DEP_3) | instskip(NEXT) | instid1(VALU_DEP_2)
	v_cvt_f64_i32_e32 v[66:67], v66
	v_add_f64_e32 v[16:17], 1.0, v[14:15]
	v_add_f64_e32 v[74:75], -1.0, v[14:15]
	s_delay_alu instid0(VALU_DEP_2) | instskip(SKIP_1) | instid1(VALU_DEP_1)
	v_rcp_f64_e32 v[70:71], v[16:17]
	v_add_f64_e32 v[76:77], -1.0, v[16:17]
	v_add_f64_e64 v[14:15], v[14:15], -v[76:77]
	s_delay_alu instid0(TRANS32_DEP_1) | instskip(NEXT) | instid1(VALU_DEP_1)
	v_fma_f64 v[72:73], -v[16:17], v[70:71], 1.0
	v_fmac_f64_e32 v[70:71], v[72:73], v[70:71]
	s_delay_alu instid0(VALU_DEP_1) | instskip(NEXT) | instid1(VALU_DEP_1)
	v_fma_f64 v[72:73], -v[16:17], v[70:71], 1.0
	v_fmac_f64_e32 v[70:71], v[72:73], v[70:71]
	s_delay_alu instid0(VALU_DEP_1) | instskip(NEXT) | instid1(VALU_DEP_1)
	v_mul_f64_e32 v[72:73], v[74:75], v[70:71]
	v_mul_f64_e32 v[82:83], v[16:17], v[72:73]
	s_delay_alu instid0(VALU_DEP_1) | instskip(NEXT) | instid1(VALU_DEP_1)
	v_fma_f64 v[16:17], v[72:73], v[16:17], -v[82:83]
	v_fmac_f64_e32 v[16:17], v[72:73], v[14:15]
	s_delay_alu instid0(VALU_DEP_1) | instskip(NEXT) | instid1(VALU_DEP_1)
	v_add_f64_e32 v[14:15], v[82:83], v[16:17]
	v_add_f64_e64 v[76:77], v[74:75], -v[14:15]
	v_add_f64_e64 v[82:83], v[14:15], -v[82:83]
	s_delay_alu instid0(VALU_DEP_2) | instskip(NEXT) | instid1(VALU_DEP_2)
	v_add_f64_e64 v[74:75], v[74:75], -v[76:77]
	v_add_f64_e64 v[16:17], v[82:83], -v[16:17]
	v_mul_f64_e32 v[82:83], 0x3fe62e42fefa39ef, v[66:67]
	s_delay_alu instid0(VALU_DEP_3) | instskip(NEXT) | instid1(VALU_DEP_2)
	v_add_f64_e64 v[14:15], v[74:75], -v[14:15]
	v_fma_f64 v[84:85], v[66:67], s[22:23], -v[82:83]
	s_delay_alu instid0(VALU_DEP_2) | instskip(NEXT) | instid1(VALU_DEP_2)
	v_add_f64_e32 v[14:15], v[16:17], v[14:15]
	v_fmac_f64_e32 v[84:85], 0x3c7abc9e3b39803f, v[66:67]
	s_delay_alu instid0(VALU_DEP_2) | instskip(NEXT) | instid1(VALU_DEP_1)
	v_add_f64_e32 v[14:15], v[76:77], v[14:15]
	v_mul_f64_e32 v[14:15], v[70:71], v[14:15]
	s_delay_alu instid0(VALU_DEP_1) | instskip(NEXT) | instid1(VALU_DEP_1)
	v_add_f64_e32 v[16:17], v[72:73], v[14:15]
	v_mul_f64_e32 v[70:71], v[16:17], v[16:17]
	s_delay_alu instid0(VALU_DEP_1) | instskip(SKIP_1) | instid1(VALU_DEP_2)
	v_fmamk_f64 v[74:75], v[70:71], 0x3fc3ab76bf559e2b, v[46:47]
	v_mul_f64_e32 v[76:77], v[16:17], v[70:71]
	v_fmaak_f64 v[74:75], v[70:71], v[74:75], 0x3fc7474dd7f4df2e
	s_delay_alu instid0(VALU_DEP_1) | instskip(NEXT) | instid1(VALU_DEP_1)
	v_fmaak_f64 v[74:75], v[70:71], v[74:75], 0x3fcc71c016291751
	v_fmaak_f64 v[74:75], v[70:71], v[74:75], 0x3fd249249b27acf1
	s_delay_alu instid0(VALU_DEP_1) | instskip(NEXT) | instid1(VALU_DEP_1)
	v_fmaak_f64 v[74:75], v[70:71], v[74:75], 0x3fd99999998ef7b6
	v_fmaak_f64 v[70:71], v[70:71], v[74:75], 0x3fe5555555555780
	v_ldexp_f64 v[74:75], v[16:17], 1
	v_add_f64_e64 v[16:17], v[16:17], -v[72:73]
	s_delay_alu instid0(VALU_DEP_3) | instskip(SKIP_1) | instid1(VALU_DEP_3)
	v_mul_f64_e32 v[70:71], v[76:77], v[70:71]
	v_div_scale_f64 v[76:77], null, v[62:63], v[62:63], v[64:65]
	v_add_f64_e64 v[14:15], v[14:15], -v[16:17]
	s_delay_alu instid0(VALU_DEP_3) | instskip(NEXT) | instid1(VALU_DEP_2)
	v_add_f64_e32 v[72:73], v[74:75], v[70:71]
	v_ldexp_f64 v[14:15], v[14:15], 1
	s_delay_alu instid0(VALU_DEP_2) | instskip(SKIP_1) | instid1(VALU_DEP_1)
	v_add_f64_e64 v[16:17], v[72:73], -v[74:75]
	v_rcp_f64_e32 v[74:75], v[76:77]
	v_add_f64_e64 v[16:17], v[70:71], -v[16:17]
	s_delay_alu instid0(TRANS32_DEP_1) | instskip(NEXT) | instid1(VALU_DEP_2)
	v_fma_f64 v[70:71], -v[76:77], v[74:75], 1.0
	v_add_f64_e32 v[14:15], v[14:15], v[16:17]
	v_add_f64_e32 v[16:17], v[82:83], v[84:85]
	s_delay_alu instid0(VALU_DEP_3) | instskip(NEXT) | instid1(VALU_DEP_3)
	v_fmac_f64_e32 v[74:75], v[74:75], v[70:71]
	v_add_f64_e32 v[66:67], v[72:73], v[14:15]
	s_delay_alu instid0(VALU_DEP_3) | instskip(NEXT) | instid1(VALU_DEP_3)
	v_add_f64_e64 v[82:83], v[16:17], -v[82:83]
	v_fma_f64 v[70:71], -v[76:77], v[74:75], 1.0
	s_delay_alu instid0(VALU_DEP_3) | instskip(SKIP_1) | instid1(VALU_DEP_4)
	v_add_f64_e32 v[86:87], v[16:17], v[66:67]
	v_add_f64_e64 v[72:73], v[66:67], -v[72:73]
	v_add_f64_e64 v[82:83], v[84:85], -v[82:83]
	s_delay_alu instid0(VALU_DEP_4) | instskip(NEXT) | instid1(VALU_DEP_4)
	v_fmac_f64_e32 v[74:75], v[74:75], v[70:71]
	v_add_f64_e64 v[70:71], v[86:87], -v[16:17]
	s_delay_alu instid0(VALU_DEP_4) | instskip(NEXT) | instid1(VALU_DEP_3)
	v_add_f64_e64 v[72:73], v[14:15], -v[72:73]
	v_mul_f64_e32 v[90:91], v[88:89], v[74:75]
	s_delay_alu instid0(VALU_DEP_3) | instskip(SKIP_1) | instid1(VALU_DEP_4)
	v_add_f64_e64 v[92:93], v[86:87], -v[70:71]
	v_add_f64_e64 v[14:15], v[66:67], -v[70:71]
	v_add_f64_e32 v[70:71], v[82:83], v[72:73]
	s_delay_alu instid0(VALU_DEP_4) | instskip(NEXT) | instid1(VALU_DEP_4)
	v_fma_f64 v[76:77], -v[76:77], v[90:91], v[88:89]
	v_add_f64_e64 v[16:17], v[16:17], -v[92:93]
	s_delay_alu instid0(VALU_DEP_2) | instskip(SKIP_1) | instid1(VALU_DEP_3)
	v_div_fmas_f64 v[66:67], v[76:77], v[74:75], v[90:91]
	v_cmp_class_f64_e64 vcc_lo, v[68:69], 0x204
	v_add_f64_e32 v[16:17], v[14:15], v[16:17]
	s_delay_alu instid0(VALU_DEP_3) | instskip(SKIP_1) | instid1(VALU_DEP_3)
	v_div_fixup_f64 v[14:15], v[66:67], v[62:63], v[64:65]
	v_add_f64_e64 v[62:63], v[70:71], -v[82:83]
	v_add_f64_e32 v[16:17], v[70:71], v[16:17]
	s_delay_alu instid0(VALU_DEP_3) | instskip(NEXT) | instid1(VALU_DEP_3)
	v_mul_f64_e32 v[64:65], v[14:15], v[14:15]
	v_add_f64_e64 v[66:67], v[70:71], -v[62:63]
	v_add_f64_e64 v[62:63], v[72:73], -v[62:63]
	s_delay_alu instid0(VALU_DEP_4) | instskip(NEXT) | instid1(VALU_DEP_4)
	v_add_f64_e32 v[70:71], v[86:87], v[16:17]
	v_fmamk_f64 v[74:75], v[64:65], 0x3eeba404b5e68a13, v[50:51]
	s_delay_alu instid0(VALU_DEP_4) | instskip(NEXT) | instid1(VALU_DEP_2)
	v_add_f64_e64 v[66:67], v[82:83], -v[66:67]
	v_fmaak_f64 v[74:75], v[64:65], v[74:75], 0x3f4b2bb069efb384
	s_delay_alu instid0(VALU_DEP_1) | instskip(NEXT) | instid1(VALU_DEP_1)
	v_fmaak_f64 v[74:75], v[64:65], v[74:75], 0xbf67952daf56de9b
	v_fmaak_f64 v[74:75], v[64:65], v[74:75], 0x3f7d6d43a595c56f
	v_add_f64_e64 v[72:73], v[70:71], -v[86:87]
	s_delay_alu instid0(VALU_DEP_2) | instskip(SKIP_1) | instid1(VALU_DEP_2)
	v_fmaak_f64 v[74:75], v[64:65], v[74:75], 0xbf8c6ea4a57d9582
	v_add_f64_e32 v[62:63], v[62:63], v[66:67]
	v_fmaak_f64 v[74:75], v[64:65], v[74:75], 0x3f967e295f08b19f
	s_delay_alu instid0(VALU_DEP_1) | instskip(NEXT) | instid1(VALU_DEP_1)
	v_fmaak_f64 v[74:75], v[64:65], v[74:75], 0xbf9e9ae6fc27006a
	v_fmaak_f64 v[74:75], v[64:65], v[74:75], 0x3fa2c15b5711927a
	s_delay_alu instid0(VALU_DEP_1) | instskip(SKIP_1) | instid1(VALU_DEP_2)
	v_fmaak_f64 v[66:67], v[64:65], v[74:75], 0xbfa59976e82d3ff0
	v_add_f64_e64 v[16:17], v[16:17], -v[72:73]
	v_fmaak_f64 v[66:67], v[64:65], v[66:67], 0x3fa82d5d6ef28734
	s_delay_alu instid0(VALU_DEP_1) | instskip(NEXT) | instid1(VALU_DEP_1)
	v_fmaak_f64 v[66:67], v[64:65], v[66:67], 0xbfaae5ce6a214619
	v_fmaak_f64 v[66:67], v[64:65], v[66:67], 0x3fae1bb48427b883
	s_delay_alu instid0(VALU_DEP_1) | instskip(SKIP_1) | instid1(VALU_DEP_2)
	v_fmaak_f64 v[66:67], v[64:65], v[66:67], 0xbfb110e48b207f05
	v_add_f64_e32 v[16:17], v[62:63], v[16:17]
	v_fmaak_f64 v[62:63], v[64:65], v[66:67], 0x3fb3b13657b87036
	s_delay_alu instid0(VALU_DEP_1) | instskip(NEXT) | instid1(VALU_DEP_1)
	v_fmaak_f64 v[62:63], v[64:65], v[62:63], 0xbfb745d119378e4f
	v_fmaak_f64 v[62:63], v[64:65], v[62:63], 0x3fbc71c717e1913c
	s_delay_alu instid0(VALU_DEP_1) | instskip(NEXT) | instid1(VALU_DEP_1)
	v_fmaak_f64 v[62:63], v[64:65], v[62:63], 0xbfc2492492376b7d
	v_fmaak_f64 v[62:63], v[64:65], v[62:63], 0x3fc99999999952cc
	v_add_f64_e32 v[16:17], v[70:71], v[16:17]
	s_delay_alu instid0(VALU_DEP_2) | instskip(NEXT) | instid1(VALU_DEP_1)
	v_fmaak_f64 v[62:63], v[64:65], v[62:63], 0xbfd5555555555523
	v_mul_f64_e32 v[62:63], v[64:65], v[62:63]
	s_delay_alu instid0(VALU_DEP_3) | instskip(SKIP_1) | instid1(VALU_DEP_2)
	v_dual_cndmask_b32 v17, v17, v69 :: v_dual_cndmask_b32 v16, v16, v68
	v_cmp_ngt_f64_e32 vcc_lo, 0, v[68:69]
	v_add_f64_e32 v[16:17], 1.0, v[16:17]
	s_delay_alu instid0(VALU_DEP_4) | instskip(NEXT) | instid1(VALU_DEP_2)
	v_fmac_f64_e32 v[14:15], v[14:15], v[62:63]
	v_cndmask_b32_e32 v17, 0x7ff80000, v17, vcc_lo
	v_cmp_nge_f64_e32 vcc_lo, 0, v[68:69]
	s_delay_alu instid0(VALU_DEP_4) | instskip(SKIP_1) | instid1(VALU_DEP_4)
	v_cndmask_b32_e32 v16, 0, v16, vcc_lo
	v_cmp_neq_f64_e32 vcc_lo, 0, v[68:69]
	v_cndmask_b32_e32 v17, 0xfff00000, v17, vcc_lo
.LBB48_200:                             ;   in Loop: Header=BB48_4 Depth=1
	s_or_b32 exec_lo, exec_lo, s47
	s_wait_dscnt 0x0
	s_delay_alu instid0(VALU_DEP_3) | instskip(NEXT) | instid1(VALU_DEP_2)
	v_add_f64_e64 v[62:63], -v[14:15], s[34:35]
	v_add_f64_e32 v[16:17], 0x3fe62e42fefa39ef, v[16:17]
	v_cmp_gt_i32_e32 vcc_lo, 0, v19
	s_delay_alu instid0(VALU_DEP_3) | instskip(SKIP_2) | instid1(VALU_DEP_3)
	v_dual_cndmask_b32 v15, v15, v63, s7 :: v_dual_cndmask_b32 v14, v14, v62, s7
	v_cmp_eq_f64_e64 s7, 0, v[20:21]
	v_cndmask_b32_e32 v20, 0x3fe921fb, v80, vcc_lo
	v_add_f64_e64 v[62:63], -v[14:15], s[36:37]
	v_ashrrev_i32_e32 v18, 31, v19
	v_cndmask_b32_e32 v19, 0x54442d18, v79, vcc_lo
	s_delay_alu instid0(VALU_DEP_4) | instskip(NEXT) | instid1(VALU_DEP_4)
	v_bfi_b32 v20, 0x7fffffff, v20, v21
	v_cndmask_b32_e32 v14, v14, v62, vcc_lo
	s_delay_alu instid0(VALU_DEP_4) | instskip(SKIP_1) | instid1(VALU_DEP_2)
	v_and_b32_e32 v64, 0x54442d18, v18
	v_and_b32_e32 v18, 0x400921fb, v18
	v_dual_cndmask_b32 v15, v15, v63, vcc_lo :: v_dual_cndmask_b32 v14, v14, v64, s7
	s_delay_alu instid0(VALU_DEP_1) | instskip(SKIP_1) | instid1(VALU_DEP_2)
	v_cndmask_b32_e64 v15, v15, v18, s7
	v_xor_b32_e32 v18, 0x80000000, v17
	v_dual_cndmask_b32 v14, v14, v19, s46 :: v_dual_cndmask_b32 v15, v15, v20, s46
	s_delay_alu instid0(VALU_DEP_2) | instskip(NEXT) | instid1(VALU_DEP_2)
	v_cndmask_b32_e64 v17, v18, v17, s6
	v_and_b32_e32 v15, 0x7fffffff, v15
.LBB48_201:                             ;   in Loop: Header=BB48_4 Depth=1
	s_or_b32 exec_lo, exec_lo, s33
                                        ; implicit-def: $vgpr20_vgpr21
.LBB48_202:                             ;   in Loop: Header=BB48_4 Depth=1
	s_and_not1_saveexec_b32 s6, s9
	s_cbranch_execz .LBB48_216
; %bb.203:                              ;   in Loop: Header=BB48_4 Depth=1
	s_delay_alu instid0(VALU_DEP_4) | instskip(SKIP_1) | instid1(SALU_CYCLE_1)
	v_cmp_neq_f64_e64 s7, 0x7ff00000, |v[18:19]|
                                        ; implicit-def: $vgpr16_vgpr17
	s_and_saveexec_b32 s8, s7
	s_xor_b32 s7, exec_lo, s8
	s_cbranch_execz .LBB48_213
; %bb.204:                              ;   in Loop: Header=BB48_4 Depth=1
	v_cmp_neq_f64_e64 s8, 0x7ff00000, |v[20:21]|
	s_wait_dscnt 0x0
	v_xor_b32_e32 v17, 0x80000000, v21
	v_mov_b32_e32 v16, v20
	s_and_saveexec_b32 s9, s8
	s_delay_alu instid0(SALU_CYCLE_1)
	s_xor_b32 s8, exec_lo, s9
	s_cbranch_execz .LBB48_210
; %bb.205:                              ;   in Loop: Header=BB48_4 Depth=1
	s_mov_b32 s9, exec_lo
                                        ; implicit-def: $vgpr16_vgpr17
	v_cmpx_neq_f64_e32 0, v[18:19]
	s_xor_b32 s9, exec_lo, s9
	s_cbranch_execz .LBB48_207
; %bb.206:                              ;   in Loop: Header=BB48_4 Depth=1
	v_add_f64_e32 v[14:15], 0, v[20:21]
                                        ; implicit-def: $vgpr20_vgpr21
	s_delay_alu instid0(VALU_DEP_1)
	v_add_f64_e32 v[16:17], v[18:19], v[14:15]
.LBB48_207:                             ;   in Loop: Header=BB48_4 Depth=1
	s_or_saveexec_b32 s9, s9
	s_delay_alu instid0(VALU_DEP_1)
	v_mov_b64_e32 v[14:15], v[16:17]
	s_xor_b32 exec_lo, exec_lo, s9
	s_cbranch_execz .LBB48_209
; %bb.208:                              ;   in Loop: Header=BB48_4 Depth=1
	flat_load_b64 v[14:15], v[26:27] scope:SCOPE_SYS
	s_wait_loadcnt 0x0
	v_add_f64_e32 v[16:17], v[20:21], v[20:21]
	s_wait_dscnt 0x0
	v_add_f64_e32 v[14:15], 0x3ff921fb54442d18, v[14:15]
.LBB48_209:                             ;   in Loop: Header=BB48_4 Depth=1
	s_wait_xcnt 0x0
	s_or_b32 exec_lo, exec_lo, s9
                                        ; implicit-def: $vgpr18_vgpr19
.LBB48_210:                             ;   in Loop: Header=BB48_4 Depth=1
	s_and_not1_saveexec_b32 s8, s8
; %bb.211:                              ;   in Loop: Header=BB48_4 Depth=1
	v_add_f64_e32 v[14:15], v[18:19], v[18:19]
; %bb.212:                              ;   in Loop: Header=BB48_4 Depth=1
	s_or_b32 exec_lo, exec_lo, s8
                                        ; implicit-def: $vgpr20_vgpr21
.LBB48_213:                             ;   in Loop: Header=BB48_4 Depth=1
	s_and_not1_saveexec_b32 s7, s7
	s_cbranch_execz .LBB48_215
; %bb.214:                              ;   in Loop: Header=BB48_4 Depth=1
	s_wait_dscnt 0x0
	v_add_f64_e32 v[14:15], v[20:21], v[20:21]
	v_mov_b64_e32 v[16:17], 0xfff0000000000000
.LBB48_215:                             ;   in Loop: Header=BB48_4 Depth=1
	s_or_b32 exec_lo, exec_lo, s7
.LBB48_216:                             ;   in Loop: Header=BB48_4 Depth=1
	s_delay_alu instid0(SALU_CYCLE_1)
	s_or_b32 exec_lo, exec_lo, s6
	flat_store_b64 v[26:27], v[52:53] scope:SCOPE_SYS
	s_wait_storecnt 0x0
                                        ; implicit-def: $vgpr20_vgpr21
	s_mov_b32 s6, exec_lo
	s_wait_xcnt 0x0
	v_cmpx_o_f64_e32 v[10:11], v[12:13]
	s_xor_b32 s9, exec_lo, s6
	s_cbranch_execz .LBB48_304
; %bb.217:                              ;   in Loop: Header=BB48_4 Depth=1
	v_max_num_f64_e64 v[64:65], |v[10:11]|, |v[10:11]|
	v_max_num_f64_e64 v[66:67], |v[12:13]|, |v[12:13]|
	v_cmp_gt_i64_e64 s6, 0, v[12:13]
                                        ; implicit-def: $vgpr20_vgpr21
	s_mov_b32 s7, exec_lo
	v_max_num_f64_e32 v[62:63], v[66:67], v[64:65]
	s_delay_alu instid0(VALU_DEP_1)
	v_cmpx_nlt_f64_e32 0x43300000, v[62:63]
	s_xor_b32 s33, exec_lo, s7
	s_cbranch_execz .LBB48_293
; %bb.218:                              ;   in Loop: Header=BB48_4 Depth=1
	v_cmp_neq_f64_e32 vcc_lo, 1.0, v[10:11]
	v_cmp_neq_f64_e64 s7, 0, v[12:13]
	v_xor_b32_e32 v21, 0x80000000, v13
	v_mov_b32_e32 v20, v12
	s_or_b32 s7, s7, vcc_lo
	s_delay_alu instid0(SALU_CYCLE_1) | instskip(NEXT) | instid1(SALU_CYCLE_1)
	s_and_saveexec_b32 s8, s7
	s_xor_b32 s46, exec_lo, s8
	s_cbranch_execz .LBB48_290
; %bb.219:                              ;   in Loop: Header=BB48_4 Depth=1
	flat_store_b32 v[30:31], v78 scope:SCOPE_SYS
	s_wait_storecnt 0x0
	flat_load_b32 v18, v[30:31] scope:SCOPE_SYS
	s_wait_loadcnt 0x0
	v_cmp_nlt_f64_e64 s7, |v[10:11]|, s[18:19]
	v_cmp_nlt_f64_e64 s8, |v[12:13]|, s[18:19]
	v_mov_b32_e32 v20, v12
	s_or_b32 s7, s8, s7
	s_wait_dscnt 0x0
	v_add_f32_e32 v18, 1.0, v18
	flat_store_b32 v[40:41], v18 scope:SCOPE_SYS
	s_wait_storecnt 0x0
	flat_load_b32 v18, v[40:41] scope:SCOPE_SYS
	s_wait_loadcnt 0x0
	s_wait_xcnt 0x0
	s_and_saveexec_b32 s8, s7
	s_delay_alu instid0(SALU_CYCLE_1)
	s_xor_b32 s47, exec_lo, s8
	s_cbranch_execz .LBB48_287
; %bb.220:                              ;   in Loop: Header=BB48_4 Depth=1
	s_wait_dscnt 0x0
	v_add_f64_e64 v[18:19], |v[10:11]|, -1.0
	v_add_f64_e64 v[64:65], |v[10:11]|, 1.0
	s_delay_alu instid0(VALU_DEP_2) | instskip(NEXT) | instid1(VALU_DEP_1)
	v_max_num_f64_e64 v[62:63], v[66:67], |v[18:19]|
	v_frexp_exp_i32_f64_e32 v82, v[62:63]
	s_delay_alu instid0(VALU_DEP_1) | instskip(NEXT) | instid1(VALU_DEP_1)
	v_dual_max_num_f64 v[20:21], v[66:67], v[64:65] :: v_dual_sub_nc_u32 v68, 0, v82
	v_frexp_exp_i32_f64_e32 v81, v[20:21]
	s_delay_alu instid0(VALU_DEP_2) | instskip(SKIP_1) | instid1(VALU_DEP_2)
	v_ldexp_f64 v[62:63], |v[18:19]|, v68
	v_ldexp_f64 v[68:69], |v[12:13]|, v68
	v_dual_mul_f64 v[62:63], v[62:63], v[62:63] :: v_dual_sub_nc_u32 v66, 0, v81
	s_delay_alu instid0(VALU_DEP_1) | instskip(SKIP_1) | instid1(VALU_DEP_3)
	v_ldexp_f64 v[20:21], v[64:65], v66
	v_ldexp_f64 v[66:67], |v[12:13]|, v66
	v_fmac_f64_e32 v[62:63], v[68:69], v[68:69]
	s_delay_alu instid0(VALU_DEP_1) | instskip(SKIP_1) | instid1(TRANS32_DEP_1)
	v_rsq_f64_e32 v[68:69], v[62:63]
	v_cmp_eq_f64_e64 s7, 0, v[62:63]
	v_mul_f64_e32 v[72:73], v[62:63], v[68:69]
	v_mul_f64_e32 v[68:69], 0.5, v[68:69]
	s_delay_alu instid0(VALU_DEP_1) | instskip(NEXT) | instid1(VALU_DEP_1)
	v_fma_f64 v[76:77], -v[68:69], v[72:73], 0.5
	v_fmac_f64_e32 v[72:73], v[72:73], v[76:77]
	v_fmac_f64_e32 v[68:69], v[68:69], v[76:77]
	s_delay_alu instid0(VALU_DEP_2) | instskip(NEXT) | instid1(VALU_DEP_1)
	v_fma_f64 v[76:77], -v[72:73], v[72:73], v[62:63]
	v_fmac_f64_e32 v[72:73], v[76:77], v[68:69]
	s_delay_alu instid0(VALU_DEP_1) | instskip(SKIP_1) | instid1(VALU_DEP_2)
	v_dual_cndmask_b32 v63, v73, v63, s7 :: v_dual_cndmask_b32 v62, v72, v62, s7
	v_cmp_neq_f64_e64 s7, 0x7ff00000, |v[18:19]|
	v_ldexp_f64 v[62:63], v[62:63], v82
	v_mul_f64_e32 v[20:21], v[20:21], v[20:21]
	s_delay_alu instid0(VALU_DEP_1) | instskip(NEXT) | instid1(VALU_DEP_1)
	v_fmac_f64_e32 v[20:21], v[66:67], v[66:67]
	v_rsq_f64_e32 v[66:67], v[20:21]
	v_cmp_eq_f64_e32 vcc_lo, 0, v[20:21]
	s_delay_alu instid0(TRANS32_DEP_1) | instskip(SKIP_1) | instid1(VALU_DEP_1)
	v_mul_f64_e32 v[70:71], v[20:21], v[66:67]
	v_mul_f64_e32 v[66:67], 0.5, v[66:67]
	v_fma_f64 v[74:75], -v[66:67], v[70:71], 0.5
	s_delay_alu instid0(VALU_DEP_1) | instskip(SKIP_1) | instid1(VALU_DEP_2)
	v_fmac_f64_e32 v[70:71], v[70:71], v[74:75]
	v_fmac_f64_e32 v[66:67], v[66:67], v[74:75]
	v_fma_f64 v[74:75], -v[70:71], v[70:71], v[20:21]
	s_delay_alu instid0(VALU_DEP_1) | instskip(SKIP_3) | instid1(VALU_DEP_3)
	v_fmac_f64_e32 v[70:71], v[74:75], v[66:67]
	v_cndmask_b32_e64 v67, 0x7ff00000, v63, s7
	v_cndmask_b32_e64 v66, 0, v62, s7
	s_mov_b32 s7, exec_lo
	v_dual_cndmask_b32 v21, v71, v21 :: v_dual_cndmask_b32 v20, v70, v20
	v_cmp_neq_f64_e32 vcc_lo, 0x7ff00000, v[64:65]
	s_delay_alu instid0(VALU_DEP_2) | instskip(NEXT) | instid1(VALU_DEP_1)
	v_ldexp_f64 v[20:21], v[20:21], v81
	v_cndmask_b32_e32 v69, 0x7ff00000, v21, vcc_lo
	s_delay_alu instid0(VALU_DEP_2) | instskip(NEXT) | instid1(VALU_DEP_1)
	v_cndmask_b32_e32 v68, 0, v20, vcc_lo
	v_add_f64_e32 v[20:21], v[68:69], v[66:67]
	s_delay_alu instid0(VALU_DEP_1) | instskip(NEXT) | instid1(VALU_DEP_1)
	v_mul_f64_e32 v[20:21], 0.5, v[20:21]
	v_cmp_ngt_f64_e32 vcc_lo, 1.0, v[20:21]
	v_cndmask_b32_e32 v63, 0x3ff00000, v21, vcc_lo
	v_cndmask_b32_e32 v62, 0, v20, vcc_lo
                                        ; implicit-def: $vgpr20_vgpr21
	s_delay_alu instid0(VALU_DEP_1)
	v_cmpx_ngt_f64_e32 0x40240000, v[62:63]
	s_xor_b32 s7, exec_lo, s7
	s_cbranch_execz .LBB48_222
; %bb.221:                              ;   in Loop: Header=BB48_4 Depth=1
	v_fma_f64 v[20:21], v[62:63], v[62:63], -1.0
	s_delay_alu instid0(VALU_DEP_1) | instskip(SKIP_1) | instid1(VALU_DEP_1)
	v_cmp_gt_f64_e32 vcc_lo, 0x10000000, v[20:21]
	v_cndmask_b32_e64 v70, 0, 0x100, vcc_lo
	v_ldexp_f64 v[20:21], v[20:21], v70
	s_delay_alu instid0(VALU_DEP_1) | instskip(SKIP_1) | instid1(TRANS32_DEP_1)
	v_rsq_f64_e32 v[70:71], v[20:21]
	v_nop
	v_mul_f64_e32 v[72:73], v[20:21], v[70:71]
	v_mul_f64_e32 v[70:71], 0.5, v[70:71]
	s_delay_alu instid0(VALU_DEP_1) | instskip(NEXT) | instid1(VALU_DEP_1)
	v_fma_f64 v[74:75], -v[70:71], v[72:73], 0.5
	v_fmac_f64_e32 v[72:73], v[72:73], v[74:75]
	v_fmac_f64_e32 v[70:71], v[70:71], v[74:75]
	s_delay_alu instid0(VALU_DEP_2) | instskip(NEXT) | instid1(VALU_DEP_1)
	v_fma_f64 v[74:75], -v[72:73], v[72:73], v[20:21]
	v_fmac_f64_e32 v[72:73], v[74:75], v[70:71]
	s_delay_alu instid0(VALU_DEP_1) | instskip(NEXT) | instid1(VALU_DEP_1)
	v_fma_f64 v[74:75], -v[72:73], v[72:73], v[20:21]
	v_fmac_f64_e32 v[72:73], v[74:75], v[70:71]
	v_cndmask_b32_e64 v70, 0, 0xffffff80, vcc_lo
	v_cmp_class_f64_e64 vcc_lo, v[20:21], 0x260
	s_delay_alu instid0(VALU_DEP_2) | instskip(NEXT) | instid1(VALU_DEP_1)
	v_ldexp_f64 v[70:71], v[72:73], v70
	v_dual_cndmask_b32 v21, v71, v21 :: v_dual_cndmask_b32 v20, v70, v20
	s_delay_alu instid0(VALU_DEP_1) | instskip(NEXT) | instid1(VALU_DEP_1)
	v_add_f64_e32 v[20:21], v[62:63], v[20:21]
	v_frexp_mant_f64_e32 v[70:71], v[20:21]
	v_frexp_exp_i32_f64_e32 v81, v[20:21]
	s_delay_alu instid0(VALU_DEP_2) | instskip(SKIP_1) | instid1(VALU_DEP_3)
	v_cmp_gt_f64_e32 vcc_lo, s[20:21], v[70:71]
	v_cndmask_b32_e64 v72, 0, 1, vcc_lo
	v_subrev_co_ci_u32_e64 v81, null, 0, v81, vcc_lo
	v_cmp_class_f64_e64 vcc_lo, v[20:21], 0x204
	s_delay_alu instid0(VALU_DEP_3) | instskip(NEXT) | instid1(VALU_DEP_1)
	v_ldexp_f64 v[70:71], v[70:71], v72
	v_add_f64_e32 v[72:73], 1.0, v[70:71]
	v_add_f64_e32 v[82:83], -1.0, v[70:71]
	s_delay_alu instid0(VALU_DEP_2) | instskip(SKIP_1) | instid1(VALU_DEP_1)
	v_rcp_f64_e32 v[74:75], v[72:73]
	v_add_f64_e32 v[84:85], -1.0, v[72:73]
	v_add_f64_e64 v[70:71], v[70:71], -v[84:85]
	s_delay_alu instid0(TRANS32_DEP_1) | instskip(NEXT) | instid1(VALU_DEP_1)
	v_fma_f64 v[76:77], -v[72:73], v[74:75], 1.0
	v_fmac_f64_e32 v[74:75], v[76:77], v[74:75]
	s_delay_alu instid0(VALU_DEP_1) | instskip(NEXT) | instid1(VALU_DEP_1)
	v_fma_f64 v[76:77], -v[72:73], v[74:75], 1.0
	v_fmac_f64_e32 v[74:75], v[76:77], v[74:75]
	s_delay_alu instid0(VALU_DEP_1) | instskip(NEXT) | instid1(VALU_DEP_1)
	v_mul_f64_e32 v[76:77], v[82:83], v[74:75]
	v_mul_f64_e32 v[86:87], v[72:73], v[76:77]
	s_delay_alu instid0(VALU_DEP_1) | instskip(NEXT) | instid1(VALU_DEP_1)
	v_fma_f64 v[72:73], v[76:77], v[72:73], -v[86:87]
	v_fmac_f64_e32 v[72:73], v[76:77], v[70:71]
	s_delay_alu instid0(VALU_DEP_1) | instskip(NEXT) | instid1(VALU_DEP_1)
	v_add_f64_e32 v[70:71], v[86:87], v[72:73]
	v_add_f64_e64 v[84:85], v[82:83], -v[70:71]
	v_add_f64_e64 v[86:87], v[70:71], -v[86:87]
	s_delay_alu instid0(VALU_DEP_2) | instskip(NEXT) | instid1(VALU_DEP_2)
	v_add_f64_e64 v[82:83], v[82:83], -v[84:85]
	v_add_f64_e64 v[72:73], v[86:87], -v[72:73]
	s_delay_alu instid0(VALU_DEP_2) | instskip(NEXT) | instid1(VALU_DEP_1)
	v_add_f64_e64 v[70:71], v[82:83], -v[70:71]
	v_add_f64_e32 v[70:71], v[72:73], v[70:71]
	s_delay_alu instid0(VALU_DEP_1) | instskip(NEXT) | instid1(VALU_DEP_1)
	v_add_f64_e32 v[70:71], v[84:85], v[70:71]
	v_mul_f64_e32 v[70:71], v[74:75], v[70:71]
	s_delay_alu instid0(VALU_DEP_1) | instskip(NEXT) | instid1(VALU_DEP_1)
	v_add_f64_e32 v[72:73], v[76:77], v[70:71]
	v_mul_f64_e32 v[74:75], v[72:73], v[72:73]
	s_delay_alu instid0(VALU_DEP_1) | instskip(SKIP_1) | instid1(VALU_DEP_2)
	v_fmamk_f64 v[82:83], v[74:75], 0x3fc3ab76bf559e2b, v[46:47]
	v_mul_f64_e32 v[84:85], v[72:73], v[74:75]
	v_fmaak_f64 v[82:83], v[74:75], v[82:83], 0x3fc7474dd7f4df2e
	s_delay_alu instid0(VALU_DEP_1) | instskip(NEXT) | instid1(VALU_DEP_1)
	v_fmaak_f64 v[82:83], v[74:75], v[82:83], 0x3fcc71c016291751
	v_fmaak_f64 v[82:83], v[74:75], v[82:83], 0x3fd249249b27acf1
	s_delay_alu instid0(VALU_DEP_1) | instskip(NEXT) | instid1(VALU_DEP_1)
	v_fmaak_f64 v[82:83], v[74:75], v[82:83], 0x3fd99999998ef7b6
	v_fmaak_f64 v[74:75], v[74:75], v[82:83], 0x3fe5555555555780
	v_ldexp_f64 v[82:83], v[72:73], 1
	v_add_f64_e64 v[72:73], v[72:73], -v[76:77]
	s_delay_alu instid0(VALU_DEP_3) | instskip(SKIP_1) | instid1(VALU_DEP_3)
	v_mul_f64_e32 v[74:75], v[84:85], v[74:75]
	v_cvt_f64_i32_e32 v[84:85], v81
	v_add_f64_e64 v[70:71], v[70:71], -v[72:73]
	s_delay_alu instid0(VALU_DEP_3) | instskip(NEXT) | instid1(VALU_DEP_3)
	v_add_f64_e32 v[76:77], v[82:83], v[74:75]
	v_mul_f64_e32 v[86:87], 0x3fe62e42fefa39ef, v[84:85]
	s_delay_alu instid0(VALU_DEP_3) | instskip(NEXT) | instid1(VALU_DEP_3)
	v_ldexp_f64 v[70:71], v[70:71], 1
	v_add_f64_e64 v[72:73], v[76:77], -v[82:83]
	s_delay_alu instid0(VALU_DEP_3) | instskip(NEXT) | instid1(VALU_DEP_2)
	v_fma_f64 v[82:83], v[84:85], s[22:23], -v[86:87]
	v_add_f64_e64 v[72:73], v[74:75], -v[72:73]
	s_delay_alu instid0(VALU_DEP_2) | instskip(NEXT) | instid1(VALU_DEP_2)
	v_fmac_f64_e32 v[82:83], 0x3c7abc9e3b39803f, v[84:85]
	v_add_f64_e32 v[70:71], v[70:71], v[72:73]
	s_delay_alu instid0(VALU_DEP_2) | instskip(NEXT) | instid1(VALU_DEP_2)
	v_add_f64_e32 v[72:73], v[86:87], v[82:83]
	v_add_f64_e32 v[74:75], v[76:77], v[70:71]
	s_delay_alu instid0(VALU_DEP_2) | instskip(NEXT) | instid1(VALU_DEP_2)
	v_add_f64_e64 v[86:87], v[72:73], -v[86:87]
	v_add_f64_e32 v[84:85], v[72:73], v[74:75]
	v_add_f64_e64 v[76:77], v[74:75], -v[76:77]
	s_delay_alu instid0(VALU_DEP_3) | instskip(NEXT) | instid1(VALU_DEP_3)
	v_add_f64_e64 v[82:83], v[82:83], -v[86:87]
	v_add_f64_e64 v[88:89], v[84:85], -v[72:73]
	s_delay_alu instid0(VALU_DEP_3) | instskip(NEXT) | instid1(VALU_DEP_2)
	v_add_f64_e64 v[70:71], v[70:71], -v[76:77]
	v_add_f64_e64 v[90:91], v[84:85], -v[88:89]
	;; [unrolled: 1-line block ×3, first 2 shown]
	s_delay_alu instid0(VALU_DEP_3) | instskip(NEXT) | instid1(VALU_DEP_3)
	v_add_f64_e32 v[76:77], v[82:83], v[70:71]
	v_add_f64_e64 v[72:73], v[72:73], -v[90:91]
	s_delay_alu instid0(VALU_DEP_1) | instskip(NEXT) | instid1(VALU_DEP_3)
	v_add_f64_e32 v[72:73], v[74:75], v[72:73]
	v_add_f64_e64 v[74:75], v[76:77], -v[82:83]
	s_delay_alu instid0(VALU_DEP_2) | instskip(NEXT) | instid1(VALU_DEP_2)
	v_add_f64_e32 v[72:73], v[76:77], v[72:73]
	v_add_f64_e64 v[76:77], v[76:77], -v[74:75]
	v_add_f64_e64 v[70:71], v[70:71], -v[74:75]
	s_delay_alu instid0(VALU_DEP_3) | instskip(NEXT) | instid1(VALU_DEP_3)
	v_add_f64_e32 v[86:87], v[84:85], v[72:73]
	v_add_f64_e64 v[74:75], v[82:83], -v[76:77]
	s_delay_alu instid0(VALU_DEP_2) | instskip(NEXT) | instid1(VALU_DEP_2)
	v_add_f64_e64 v[76:77], v[86:87], -v[84:85]
	v_add_f64_e32 v[70:71], v[70:71], v[74:75]
	s_delay_alu instid0(VALU_DEP_2) | instskip(NEXT) | instid1(VALU_DEP_1)
	v_add_f64_e64 v[72:73], v[72:73], -v[76:77]
	v_add_f64_e32 v[70:71], v[70:71], v[72:73]
	s_delay_alu instid0(VALU_DEP_1) | instskip(NEXT) | instid1(VALU_DEP_1)
	v_add_f64_e32 v[70:71], v[86:87], v[70:71]
	v_dual_cndmask_b32 v70, v70, v20 :: v_dual_cndmask_b32 v71, v71, v21
	v_cmp_neq_f64_e32 vcc_lo, 0, v[20:21]
	s_delay_alu instid0(VALU_DEP_2) | instskip(NEXT) | instid1(VALU_DEP_3)
	v_cndmask_b32_e32 v21, 0xfff00000, v71, vcc_lo
	v_cndmask_b32_e32 v20, 0, v70, vcc_lo
.LBB48_222:                             ;   in Loop: Header=BB48_4 Depth=1
	s_or_saveexec_b32 s48, s7
	v_and_b32_e32 v71, 0x7fffffff, v13
	v_mov_b32_e32 v70, v12
	s_xor_b32 exec_lo, exec_lo, s48
	s_cbranch_execz .LBB48_244
; %bb.223:                              ;   in Loop: Header=BB48_4 Depth=1
	v_cmp_neq_f64_e64 s7, |v[10:11]|, 1.0
	v_cmp_ngt_f64_e64 s8, 0x39000000, |v[12:13]|
                                        ; implicit-def: $vgpr20_vgpr21
	s_or_b32 s7, s8, s7
	s_delay_alu instid0(SALU_CYCLE_1) | instskip(NEXT) | instid1(SALU_CYCLE_1)
	s_and_saveexec_b32 s8, s7
	s_xor_b32 s49, exec_lo, s8
	s_cbranch_execz .LBB48_241
; %bb.224:                              ;   in Loop: Header=BB48_4 Depth=1
	v_ldexp_f64 v[20:21], |v[18:19]|, 0xffffffcc
	s_delay_alu instid0(VALU_DEP_1) | instskip(SKIP_1) | instid1(SALU_CYCLE_1)
	v_cmp_ge_f64_e64 s7, |v[12:13]|, v[20:21]
                                        ; implicit-def: $vgpr20_vgpr21
	s_and_saveexec_b32 s8, s7
	s_xor_b32 s50, exec_lo, s8
	s_cbranch_execz .LBB48_234
; %bb.225:                              ;   in Loop: Header=BB48_4 Depth=1
	v_mov_b64_e32 v[20:21], v[70:71]
	s_mov_b32 s7, exec_lo
	v_cmpx_neq_f64_e32 0, v[64:65]
	s_cbranch_execz .LBB48_227
; %bb.226:                              ;   in Loop: Header=BB48_4 Depth=1
	v_mul_f64_e32 v[20:21], v[12:13], v[12:13]
	v_add_f64_e32 v[72:73], v[64:65], v[68:69]
	s_delay_alu instid0(VALU_DEP_1) | instskip(NEXT) | instid1(VALU_DEP_1)
	v_div_scale_f64 v[74:75], null, v[72:73], v[72:73], v[20:21]
	v_rcp_f64_e32 v[76:77], v[74:75]
	v_nop
	s_delay_alu instid0(TRANS32_DEP_1) | instskip(NEXT) | instid1(VALU_DEP_1)
	v_fma_f64 v[82:83], -v[74:75], v[76:77], 1.0
	v_fmac_f64_e32 v[76:77], v[76:77], v[82:83]
	s_delay_alu instid0(VALU_DEP_1) | instskip(NEXT) | instid1(VALU_DEP_1)
	v_fma_f64 v[82:83], -v[74:75], v[76:77], 1.0
	v_fmac_f64_e32 v[76:77], v[76:77], v[82:83]
	v_div_scale_f64 v[82:83], vcc_lo, v[20:21], v[72:73], v[20:21]
	s_delay_alu instid0(VALU_DEP_1) | instskip(NEXT) | instid1(VALU_DEP_1)
	v_mul_f64_e32 v[84:85], v[82:83], v[76:77]
	v_fma_f64 v[74:75], -v[74:75], v[84:85], v[82:83]
	s_delay_alu instid0(VALU_DEP_1) | instskip(NEXT) | instid1(VALU_DEP_1)
	v_div_fmas_f64 v[74:75], v[74:75], v[76:77], v[84:85]
	v_div_fixup_f64 v[20:21], v[74:75], v[72:73], v[20:21]
.LBB48_227:                             ;   in Loop: Header=BB48_4 Depth=1
	s_or_b32 exec_lo, exec_lo, s7
	v_add_f64_e64 v[74:75], -|v[10:11]|, 1.0
	s_mov_b32 s7, exec_lo
                                        ; implicit-def: $vgpr72_vgpr73
	s_delay_alu instid0(VALU_DEP_1)
	v_cmpx_ngt_f64_e32 0, v[74:75]
	s_xor_b32 s7, exec_lo, s7
	s_cbranch_execz .LBB48_231
; %bb.228:                              ;   in Loop: Header=BB48_4 Depth=1
	v_mov_b64_e32 v[72:73], v[70:71]
	s_mov_b32 s8, exec_lo
	v_cmpx_neq_f64_e32 0, v[74:75]
	s_cbranch_execz .LBB48_230
; %bb.229:                              ;   in Loop: Header=BB48_4 Depth=1
	v_mul_f64_e32 v[72:73], v[12:13], v[12:13]
	v_add_f64_e32 v[74:75], v[74:75], v[66:67]
	s_delay_alu instid0(VALU_DEP_1) | instskip(NEXT) | instid1(VALU_DEP_1)
	v_div_scale_f64 v[76:77], null, v[74:75], v[74:75], v[72:73]
	v_rcp_f64_e32 v[82:83], v[76:77]
	v_nop
	s_delay_alu instid0(TRANS32_DEP_1) | instskip(NEXT) | instid1(VALU_DEP_1)
	v_fma_f64 v[84:85], -v[76:77], v[82:83], 1.0
	v_fmac_f64_e32 v[82:83], v[82:83], v[84:85]
	s_delay_alu instid0(VALU_DEP_1) | instskip(NEXT) | instid1(VALU_DEP_1)
	v_fma_f64 v[84:85], -v[76:77], v[82:83], 1.0
	v_fmac_f64_e32 v[82:83], v[82:83], v[84:85]
	v_div_scale_f64 v[84:85], vcc_lo, v[72:73], v[74:75], v[72:73]
	s_delay_alu instid0(VALU_DEP_1) | instskip(NEXT) | instid1(VALU_DEP_1)
	v_mul_f64_e32 v[86:87], v[84:85], v[82:83]
	v_fma_f64 v[76:77], -v[76:77], v[86:87], v[84:85]
	s_delay_alu instid0(VALU_DEP_1) | instskip(NEXT) | instid1(VALU_DEP_1)
	v_div_fmas_f64 v[76:77], v[76:77], v[82:83], v[86:87]
	v_div_fixup_f64 v[72:73], v[76:77], v[74:75], v[72:73]
.LBB48_230:                             ;   in Loop: Header=BB48_4 Depth=1
	s_or_b32 exec_lo, exec_lo, s8
                                        ; implicit-def: $vgpr74_vgpr75
.LBB48_231:                             ;   in Loop: Header=BB48_4 Depth=1
	s_and_not1_saveexec_b32 s7, s7
; %bb.232:                              ;   in Loop: Header=BB48_4 Depth=1
	v_add_f64_e64 v[72:73], v[66:67], -v[74:75]
; %bb.233:                              ;   in Loop: Header=BB48_4 Depth=1
	s_or_b32 exec_lo, exec_lo, s7
	s_delay_alu instid0(VALU_DEP_1) | instskip(SKIP_1) | instid1(VALU_DEP_2)
	v_mul_f64_e32 v[72:73], 0.5, v[72:73]
	v_add_f64_e32 v[74:75], 1.0, v[62:63]
	v_fmac_f64_e32 v[72:73], 0.5, v[20:21]
	s_delay_alu instid0(VALU_DEP_1) | instskip(NEXT) | instid1(VALU_DEP_1)
	v_mul_f64_e32 v[20:21], v[74:75], v[72:73]
	v_cmp_gt_f64_e32 vcc_lo, 0x10000000, v[20:21]
	v_cndmask_b32_e64 v74, 0, 0x100, vcc_lo
	s_delay_alu instid0(VALU_DEP_1) | instskip(NEXT) | instid1(VALU_DEP_1)
	v_ldexp_f64 v[20:21], v[20:21], v74
	v_rsq_f64_e32 v[74:75], v[20:21]
	v_nop
	s_delay_alu instid0(TRANS32_DEP_1) | instskip(SKIP_1) | instid1(VALU_DEP_1)
	v_mul_f64_e32 v[76:77], v[20:21], v[74:75]
	v_mul_f64_e32 v[74:75], 0.5, v[74:75]
	v_fma_f64 v[82:83], -v[74:75], v[76:77], 0.5
	s_delay_alu instid0(VALU_DEP_1) | instskip(SKIP_1) | instid1(VALU_DEP_2)
	v_fmac_f64_e32 v[76:77], v[76:77], v[82:83]
	v_fmac_f64_e32 v[74:75], v[74:75], v[82:83]
	v_fma_f64 v[82:83], -v[76:77], v[76:77], v[20:21]
	s_delay_alu instid0(VALU_DEP_1) | instskip(NEXT) | instid1(VALU_DEP_1)
	v_fmac_f64_e32 v[76:77], v[82:83], v[74:75]
	v_fma_f64 v[82:83], -v[76:77], v[76:77], v[20:21]
	s_delay_alu instid0(VALU_DEP_1) | instskip(SKIP_2) | instid1(VALU_DEP_2)
	v_fmac_f64_e32 v[76:77], v[82:83], v[74:75]
	v_cndmask_b32_e64 v74, 0, 0xffffff80, vcc_lo
	v_cmp_class_f64_e64 vcc_lo, v[20:21], 0x260
	v_ldexp_f64 v[74:75], v[76:77], v74
	s_delay_alu instid0(VALU_DEP_1) | instskip(NEXT) | instid1(VALU_DEP_1)
	v_dual_cndmask_b32 v21, v75, v21 :: v_dual_cndmask_b32 v20, v74, v20
	v_add_f64_e32 v[72:73], v[72:73], v[20:21]
	s_delay_alu instid0(VALU_DEP_1) | instskip(SKIP_2) | instid1(VALU_DEP_3)
	v_add_f64_e32 v[20:21], 1.0, v[72:73]
	v_cmp_neq_f64_e64 s7, 0x7ff00000, v[72:73]
	v_cmp_ngt_f64_e64 s8, -1.0, v[72:73]
	v_frexp_mant_f64_e32 v[74:75], v[20:21]
	v_frexp_exp_i32_f64_e32 v81, v[20:21]
	v_add_f64_e32 v[76:77], -1.0, v[20:21]
	s_delay_alu instid0(VALU_DEP_3) | instskip(NEXT) | instid1(VALU_DEP_2)
	v_cmp_gt_f64_e32 vcc_lo, s[20:21], v[74:75]
	v_add_f64_e64 v[74:75], v[76:77], -v[20:21]
	v_add_f64_e64 v[76:77], v[72:73], -v[76:77]
	v_subrev_co_ci_u32_e64 v81, null, 0, v81, vcc_lo
	s_delay_alu instid0(VALU_DEP_3) | instskip(SKIP_1) | instid1(VALU_DEP_3)
	v_add_f64_e32 v[74:75], 1.0, v[74:75]
	v_cmp_nge_f64_e32 vcc_lo, -1.0, v[72:73]
	v_sub_nc_u32_e32 v84, 0, v81
	s_delay_alu instid0(VALU_DEP_1) | instskip(NEXT) | instid1(VALU_DEP_4)
	v_ldexp_f64 v[20:21], v[20:21], v84
	v_add_f64_e32 v[74:75], v[76:77], v[74:75]
	s_and_b32 vcc_lo, vcc_lo, s7
	s_delay_alu instid0(VALU_DEP_2) | instskip(SKIP_1) | instid1(VALU_DEP_3)
	v_add_f64_e32 v[82:83], 1.0, v[20:21]
	v_add_f64_e32 v[88:89], -1.0, v[20:21]
	v_ldexp_f64 v[74:75], v[74:75], v84
	s_delay_alu instid0(VALU_DEP_3) | instskip(NEXT) | instid1(VALU_DEP_3)
	v_add_f64_e32 v[76:77], -1.0, v[82:83]
	v_add_f64_e32 v[90:91], 1.0, v[88:89]
	s_delay_alu instid0(VALU_DEP_2) | instskip(NEXT) | instid1(VALU_DEP_2)
	v_add_f64_e64 v[76:77], v[20:21], -v[76:77]
	v_add_f64_e64 v[20:21], v[20:21], -v[90:91]
	s_delay_alu instid0(VALU_DEP_2) | instskip(NEXT) | instid1(VALU_DEP_2)
	v_add_f64_e32 v[76:77], v[74:75], v[76:77]
	v_add_f64_e32 v[20:21], v[74:75], v[20:21]
	s_delay_alu instid0(VALU_DEP_2) | instskip(NEXT) | instid1(VALU_DEP_2)
	v_add_f64_e32 v[84:85], v[82:83], v[76:77]
	v_add_f64_e32 v[90:91], v[88:89], v[20:21]
	s_delay_alu instid0(VALU_DEP_2) | instskip(SKIP_1) | instid1(VALU_DEP_2)
	v_rcp_f64_e32 v[86:87], v[84:85]
	v_add_f64_e64 v[82:83], v[84:85], -v[82:83]
	v_add_f64_e64 v[88:89], v[90:91], -v[88:89]
	s_delay_alu instid0(VALU_DEP_2) | instskip(NEXT) | instid1(VALU_DEP_2)
	v_add_f64_e64 v[76:77], v[76:77], -v[82:83]
	v_add_f64_e64 v[20:21], v[20:21], -v[88:89]
	s_delay_alu instid0(TRANS32_DEP_1) | instskip(NEXT) | instid1(VALU_DEP_1)
	v_fma_f64 v[92:93], -v[84:85], v[86:87], 1.0
	v_fmac_f64_e32 v[86:87], v[92:93], v[86:87]
	s_delay_alu instid0(VALU_DEP_1) | instskip(NEXT) | instid1(VALU_DEP_1)
	v_fma_f64 v[74:75], -v[84:85], v[86:87], 1.0
	v_fmac_f64_e32 v[86:87], v[74:75], v[86:87]
	s_delay_alu instid0(VALU_DEP_1) | instskip(NEXT) | instid1(VALU_DEP_1)
	v_mul_f64_e32 v[74:75], v[90:91], v[86:87]
	v_mul_f64_e32 v[92:93], v[84:85], v[74:75]
	s_delay_alu instid0(VALU_DEP_1) | instskip(NEXT) | instid1(VALU_DEP_1)
	v_fma_f64 v[82:83], v[74:75], v[84:85], -v[92:93]
	v_fmac_f64_e32 v[82:83], v[74:75], v[76:77]
	s_delay_alu instid0(VALU_DEP_1) | instskip(NEXT) | instid1(VALU_DEP_1)
	v_add_f64_e32 v[94:95], v[92:93], v[82:83]
	v_add_f64_e64 v[96:97], v[90:91], -v[94:95]
	v_add_f64_e64 v[88:89], v[94:95], -v[92:93]
	s_delay_alu instid0(VALU_DEP_2) | instskip(NEXT) | instid1(VALU_DEP_2)
	v_add_f64_e64 v[90:91], v[90:91], -v[96:97]
	v_add_f64_e64 v[82:83], v[88:89], -v[82:83]
	s_delay_alu instid0(VALU_DEP_2) | instskip(NEXT) | instid1(VALU_DEP_1)
	v_add_f64_e64 v[90:91], v[90:91], -v[94:95]
	v_add_f64_e32 v[20:21], v[20:21], v[90:91]
	s_delay_alu instid0(VALU_DEP_1) | instskip(NEXT) | instid1(VALU_DEP_1)
	v_add_f64_e32 v[20:21], v[82:83], v[20:21]
	v_add_f64_e32 v[82:83], v[96:97], v[20:21]
	s_delay_alu instid0(VALU_DEP_1) | instskip(SKIP_1) | instid1(VALU_DEP_2)
	v_mul_f64_e32 v[88:89], v[86:87], v[82:83]
	v_add_f64_e64 v[94:95], v[96:97], -v[82:83]
	v_mul_f64_e32 v[90:91], v[84:85], v[88:89]
	s_delay_alu instid0(VALU_DEP_2) | instskip(NEXT) | instid1(VALU_DEP_2)
	v_add_f64_e32 v[20:21], v[20:21], v[94:95]
	v_fma_f64 v[84:85], v[88:89], v[84:85], -v[90:91]
	s_delay_alu instid0(VALU_DEP_1) | instskip(NEXT) | instid1(VALU_DEP_1)
	v_fmac_f64_e32 v[84:85], v[88:89], v[76:77]
	v_add_f64_e32 v[76:77], v[90:91], v[84:85]
	s_delay_alu instid0(VALU_DEP_1) | instskip(SKIP_1) | instid1(VALU_DEP_2)
	v_add_f64_e64 v[92:93], v[82:83], -v[76:77]
	v_add_f64_e64 v[90:91], v[76:77], -v[90:91]
	;; [unrolled: 1-line block ×3, first 2 shown]
	s_delay_alu instid0(VALU_DEP_1) | instskip(NEXT) | instid1(VALU_DEP_3)
	v_add_f64_e64 v[76:77], v[82:83], -v[76:77]
	v_add_f64_e64 v[82:83], v[90:91], -v[84:85]
	s_delay_alu instid0(VALU_DEP_2) | instskip(SKIP_1) | instid1(VALU_DEP_2)
	v_add_f64_e32 v[20:21], v[20:21], v[76:77]
	v_add_f64_e32 v[76:77], v[74:75], v[88:89]
	;; [unrolled: 1-line block ×3, first 2 shown]
	s_delay_alu instid0(VALU_DEP_2) | instskip(NEXT) | instid1(VALU_DEP_2)
	v_add_f64_e64 v[74:75], v[76:77], -v[74:75]
	v_add_f64_e32 v[20:21], v[92:93], v[20:21]
	s_delay_alu instid0(VALU_DEP_2) | instskip(NEXT) | instid1(VALU_DEP_2)
	v_add_f64_e64 v[74:75], v[88:89], -v[74:75]
	v_mul_f64_e32 v[20:21], v[86:87], v[20:21]
	s_delay_alu instid0(VALU_DEP_1) | instskip(NEXT) | instid1(VALU_DEP_1)
	v_add_f64_e32 v[20:21], v[74:75], v[20:21]
	v_add_f64_e32 v[74:75], v[76:77], v[20:21]
	s_delay_alu instid0(VALU_DEP_1) | instskip(NEXT) | instid1(VALU_DEP_1)
	v_mul_f64_e32 v[82:83], v[74:75], v[74:75]
	v_fmamk_f64 v[84:85], v[82:83], 0x3fc3ab76bf559e2b, v[46:47]
	v_mul_f64_e32 v[86:87], v[74:75], v[82:83]
	s_delay_alu instid0(VALU_DEP_2) | instskip(NEXT) | instid1(VALU_DEP_1)
	v_fmaak_f64 v[84:85], v[82:83], v[84:85], 0x3fc7474dd7f4df2e
	v_fmaak_f64 v[84:85], v[82:83], v[84:85], 0x3fcc71c016291751
	s_delay_alu instid0(VALU_DEP_1) | instskip(NEXT) | instid1(VALU_DEP_1)
	v_fmaak_f64 v[84:85], v[82:83], v[84:85], 0x3fd249249b27acf1
	v_fmaak_f64 v[84:85], v[82:83], v[84:85], 0x3fd99999998ef7b6
	s_delay_alu instid0(VALU_DEP_1) | instskip(SKIP_2) | instid1(VALU_DEP_3)
	v_fmaak_f64 v[82:83], v[82:83], v[84:85], 0x3fe5555555555780
	v_ldexp_f64 v[84:85], v[74:75], 1
	v_add_f64_e64 v[74:75], v[74:75], -v[76:77]
	v_mul_f64_e32 v[82:83], v[86:87], v[82:83]
	v_cvt_f64_i32_e32 v[86:87], v81
	s_delay_alu instid0(VALU_DEP_3) | instskip(NEXT) | instid1(VALU_DEP_3)
	v_add_f64_e64 v[20:21], v[20:21], -v[74:75]
	v_add_f64_e32 v[76:77], v[84:85], v[82:83]
	s_delay_alu instid0(VALU_DEP_3) | instskip(NEXT) | instid1(VALU_DEP_3)
	v_mul_f64_e32 v[88:89], 0x3fe62e42fefa39ef, v[86:87]
	v_ldexp_f64 v[20:21], v[20:21], 1
	s_delay_alu instid0(VALU_DEP_3) | instskip(NEXT) | instid1(VALU_DEP_3)
	v_add_f64_e64 v[74:75], v[76:77], -v[84:85]
	v_fma_f64 v[84:85], v[86:87], s[22:23], -v[88:89]
	s_delay_alu instid0(VALU_DEP_2) | instskip(NEXT) | instid1(VALU_DEP_2)
	v_add_f64_e64 v[74:75], v[82:83], -v[74:75]
	v_fmac_f64_e32 v[84:85], 0x3c7abc9e3b39803f, v[86:87]
	s_delay_alu instid0(VALU_DEP_2) | instskip(NEXT) | instid1(VALU_DEP_2)
	v_add_f64_e32 v[20:21], v[20:21], v[74:75]
	v_add_f64_e32 v[74:75], v[88:89], v[84:85]
	s_delay_alu instid0(VALU_DEP_2) | instskip(NEXT) | instid1(VALU_DEP_2)
	v_add_f64_e32 v[82:83], v[76:77], v[20:21]
	v_add_f64_e64 v[88:89], v[74:75], -v[88:89]
	s_delay_alu instid0(VALU_DEP_2) | instskip(SKIP_1) | instid1(VALU_DEP_3)
	v_add_f64_e32 v[86:87], v[74:75], v[82:83]
	v_add_f64_e64 v[76:77], v[82:83], -v[76:77]
	v_add_f64_e64 v[84:85], v[84:85], -v[88:89]
	s_delay_alu instid0(VALU_DEP_3) | instskip(NEXT) | instid1(VALU_DEP_3)
	v_add_f64_e64 v[90:91], v[86:87], -v[74:75]
	v_add_f64_e64 v[20:21], v[20:21], -v[76:77]
	s_delay_alu instid0(VALU_DEP_2) | instskip(SKIP_1) | instid1(VALU_DEP_3)
	v_add_f64_e64 v[92:93], v[86:87], -v[90:91]
	v_add_f64_e64 v[76:77], v[82:83], -v[90:91]
	v_add_f64_e32 v[82:83], v[84:85], v[20:21]
	s_delay_alu instid0(VALU_DEP_3) | instskip(NEXT) | instid1(VALU_DEP_1)
	v_add_f64_e64 v[74:75], v[74:75], -v[92:93]
	v_add_f64_e32 v[74:75], v[76:77], v[74:75]
	s_delay_alu instid0(VALU_DEP_3) | instskip(NEXT) | instid1(VALU_DEP_2)
	v_add_f64_e64 v[76:77], v[82:83], -v[84:85]
	v_add_f64_e32 v[74:75], v[82:83], v[74:75]
	s_delay_alu instid0(VALU_DEP_2) | instskip(SKIP_1) | instid1(VALU_DEP_3)
	v_add_f64_e64 v[82:83], v[82:83], -v[76:77]
	v_add_f64_e64 v[20:21], v[20:21], -v[76:77]
	v_add_f64_e32 v[88:89], v[86:87], v[74:75]
	s_delay_alu instid0(VALU_DEP_3) | instskip(NEXT) | instid1(VALU_DEP_2)
	v_add_f64_e64 v[82:83], v[84:85], -v[82:83]
	v_add_f64_e64 v[76:77], v[88:89], -v[86:87]
	s_delay_alu instid0(VALU_DEP_2) | instskip(NEXT) | instid1(VALU_DEP_2)
	v_add_f64_e32 v[20:21], v[20:21], v[82:83]
	v_add_f64_e64 v[74:75], v[74:75], -v[76:77]
	s_delay_alu instid0(VALU_DEP_1) | instskip(NEXT) | instid1(VALU_DEP_1)
	v_add_f64_e32 v[20:21], v[20:21], v[74:75]
	v_add_f64_e32 v[20:21], v[88:89], v[20:21]
	s_delay_alu instid0(VALU_DEP_1) | instskip(SKIP_1) | instid1(VALU_DEP_3)
	v_cndmask_b32_e32 v20, 0, v20, vcc_lo
	v_cmp_neq_f64_e32 vcc_lo, -1.0, v[72:73]
	v_cndmask_b32_e64 v21, 0x7ff00000, v21, s7
	s_delay_alu instid0(VALU_DEP_1) | instskip(NEXT) | instid1(VALU_DEP_1)
	v_cndmask_b32_e64 v21, 0x7ff80000, v21, s8
	v_cndmask_b32_e32 v21, 0xfff00000, v21, vcc_lo
.LBB48_234:                             ;   in Loop: Header=BB48_4 Depth=1
	s_and_not1_saveexec_b32 s50, s50
	s_cbranch_execz .LBB48_240
; %bb.235:                              ;   in Loop: Header=BB48_4 Depth=1
                                        ; implicit-def: $vgpr20_vgpr21
	s_mov_b32 s8, exec_lo
	v_cmpx_nlt_f64_e64 |v[10:11]|, 1.0
	s_xor_b32 s51, exec_lo, s8
	s_cbranch_execz .LBB48_237
; %bb.236:                              ;   in Loop: Header=BB48_4 Depth=1
	v_mul_f64_e32 v[20:21], v[18:19], v[64:65]
	s_delay_alu instid0(VALU_DEP_1) | instskip(SKIP_1) | instid1(VALU_DEP_1)
	v_cmp_gt_f64_e32 vcc_lo, 0x10000000, v[20:21]
	v_cndmask_b32_e64 v72, 0, 0x100, vcc_lo
	v_ldexp_f64 v[20:21], v[20:21], v72
	s_delay_alu instid0(VALU_DEP_1) | instskip(SKIP_1) | instid1(TRANS32_DEP_1)
	v_rsq_f64_e32 v[72:73], v[20:21]
	v_nop
	v_mul_f64_e32 v[74:75], v[20:21], v[72:73]
	v_mul_f64_e32 v[72:73], 0.5, v[72:73]
	s_delay_alu instid0(VALU_DEP_1) | instskip(NEXT) | instid1(VALU_DEP_1)
	v_fma_f64 v[76:77], -v[72:73], v[74:75], 0.5
	v_fmac_f64_e32 v[74:75], v[74:75], v[76:77]
	v_fmac_f64_e32 v[72:73], v[72:73], v[76:77]
	s_delay_alu instid0(VALU_DEP_2) | instskip(NEXT) | instid1(VALU_DEP_1)
	v_fma_f64 v[76:77], -v[74:75], v[74:75], v[20:21]
	v_fmac_f64_e32 v[74:75], v[76:77], v[72:73]
	s_delay_alu instid0(VALU_DEP_1) | instskip(NEXT) | instid1(VALU_DEP_1)
	v_fma_f64 v[76:77], -v[74:75], v[74:75], v[20:21]
	v_fmac_f64_e32 v[74:75], v[76:77], v[72:73]
	v_cndmask_b32_e64 v72, 0, 0xffffff80, vcc_lo
	v_cmp_class_f64_e64 vcc_lo, v[20:21], 0x260
	s_delay_alu instid0(VALU_DEP_2) | instskip(NEXT) | instid1(VALU_DEP_1)
	v_ldexp_f64 v[72:73], v[74:75], v72
	v_dual_cndmask_b32 v21, v73, v21 :: v_dual_cndmask_b32 v20, v72, v20
	s_delay_alu instid0(VALU_DEP_1) | instskip(NEXT) | instid1(VALU_DEP_1)
	v_add_f64_e32 v[72:73], v[18:19], v[20:21]
	v_add_f64_e32 v[20:21], 1.0, v[72:73]
	v_cmp_neq_f64_e64 s7, 0x7ff00000, v[72:73]
	v_cmp_ngt_f64_e64 s8, -1.0, v[72:73]
	s_delay_alu instid0(VALU_DEP_3) | instskip(SKIP_2) | instid1(VALU_DEP_3)
	v_frexp_mant_f64_e32 v[74:75], v[20:21]
	v_add_f64_e32 v[76:77], -1.0, v[20:21]
	v_frexp_exp_i32_f64_e32 v81, v[20:21]
	v_cmp_gt_f64_e32 vcc_lo, s[20:21], v[74:75]
	s_delay_alu instid0(VALU_DEP_3) | instskip(SKIP_1) | instid1(VALU_DEP_4)
	v_add_f64_e64 v[74:75], v[76:77], -v[20:21]
	v_add_f64_e64 v[76:77], v[72:73], -v[76:77]
	v_subrev_co_ci_u32_e64 v81, null, 0, v81, vcc_lo
	v_cmp_nge_f64_e32 vcc_lo, -1.0, v[72:73]
	s_delay_alu instid0(VALU_DEP_2) | instskip(NEXT) | instid1(VALU_DEP_1)
	v_dual_add_f64 v[74:75], 1.0, v[74:75] :: v_dual_sub_nc_u32 v84, 0, v81
	v_ldexp_f64 v[20:21], v[20:21], v84
	s_and_b32 vcc_lo, vcc_lo, s7
	s_delay_alu instid0(VALU_DEP_2) | instskip(NEXT) | instid1(VALU_DEP_2)
	v_add_f64_e32 v[74:75], v[76:77], v[74:75]
	v_add_f64_e32 v[82:83], 1.0, v[20:21]
	v_add_f64_e32 v[88:89], -1.0, v[20:21]
	s_delay_alu instid0(VALU_DEP_3) | instskip(NEXT) | instid1(VALU_DEP_3)
	v_ldexp_f64 v[74:75], v[74:75], v84
	v_add_f64_e32 v[76:77], -1.0, v[82:83]
	s_delay_alu instid0(VALU_DEP_3) | instskip(NEXT) | instid1(VALU_DEP_2)
	v_add_f64_e32 v[90:91], 1.0, v[88:89]
	v_add_f64_e64 v[76:77], v[20:21], -v[76:77]
	s_delay_alu instid0(VALU_DEP_2) | instskip(NEXT) | instid1(VALU_DEP_2)
	v_add_f64_e64 v[20:21], v[20:21], -v[90:91]
	v_add_f64_e32 v[76:77], v[74:75], v[76:77]
	s_delay_alu instid0(VALU_DEP_2) | instskip(NEXT) | instid1(VALU_DEP_2)
	v_add_f64_e32 v[20:21], v[74:75], v[20:21]
	v_add_f64_e32 v[84:85], v[82:83], v[76:77]
	s_delay_alu instid0(VALU_DEP_2) | instskip(NEXT) | instid1(VALU_DEP_2)
	v_add_f64_e32 v[90:91], v[88:89], v[20:21]
	v_rcp_f64_e32 v[86:87], v[84:85]
	v_add_f64_e64 v[82:83], v[84:85], -v[82:83]
	s_delay_alu instid0(VALU_DEP_2) | instskip(NEXT) | instid1(VALU_DEP_2)
	v_add_f64_e64 v[88:89], v[90:91], -v[88:89]
	v_add_f64_e64 v[76:77], v[76:77], -v[82:83]
	s_delay_alu instid0(VALU_DEP_2) | instskip(NEXT) | instid1(TRANS32_DEP_1)
	v_add_f64_e64 v[20:21], v[20:21], -v[88:89]
	v_fma_f64 v[92:93], -v[84:85], v[86:87], 1.0
	s_delay_alu instid0(VALU_DEP_1) | instskip(NEXT) | instid1(VALU_DEP_1)
	v_fmac_f64_e32 v[86:87], v[92:93], v[86:87]
	v_fma_f64 v[74:75], -v[84:85], v[86:87], 1.0
	s_delay_alu instid0(VALU_DEP_1) | instskip(NEXT) | instid1(VALU_DEP_1)
	v_fmac_f64_e32 v[86:87], v[74:75], v[86:87]
	v_mul_f64_e32 v[74:75], v[90:91], v[86:87]
	s_delay_alu instid0(VALU_DEP_1) | instskip(NEXT) | instid1(VALU_DEP_1)
	v_mul_f64_e32 v[92:93], v[84:85], v[74:75]
	v_fma_f64 v[82:83], v[74:75], v[84:85], -v[92:93]
	s_delay_alu instid0(VALU_DEP_1) | instskip(NEXT) | instid1(VALU_DEP_1)
	v_fmac_f64_e32 v[82:83], v[74:75], v[76:77]
	v_add_f64_e32 v[94:95], v[92:93], v[82:83]
	s_delay_alu instid0(VALU_DEP_1) | instskip(SKIP_1) | instid1(VALU_DEP_2)
	v_add_f64_e64 v[96:97], v[90:91], -v[94:95]
	v_add_f64_e64 v[88:89], v[94:95], -v[92:93]
	;; [unrolled: 1-line block ×3, first 2 shown]
	s_delay_alu instid0(VALU_DEP_2) | instskip(NEXT) | instid1(VALU_DEP_2)
	v_add_f64_e64 v[82:83], v[88:89], -v[82:83]
	v_add_f64_e64 v[90:91], v[90:91], -v[94:95]
	s_delay_alu instid0(VALU_DEP_1) | instskip(NEXT) | instid1(VALU_DEP_1)
	v_add_f64_e32 v[20:21], v[20:21], v[90:91]
	v_add_f64_e32 v[20:21], v[82:83], v[20:21]
	s_delay_alu instid0(VALU_DEP_1) | instskip(NEXT) | instid1(VALU_DEP_1)
	v_add_f64_e32 v[82:83], v[96:97], v[20:21]
	v_mul_f64_e32 v[88:89], v[86:87], v[82:83]
	v_add_f64_e64 v[94:95], v[96:97], -v[82:83]
	s_delay_alu instid0(VALU_DEP_2) | instskip(NEXT) | instid1(VALU_DEP_2)
	v_mul_f64_e32 v[90:91], v[84:85], v[88:89]
	v_add_f64_e32 v[20:21], v[20:21], v[94:95]
	s_delay_alu instid0(VALU_DEP_2) | instskip(NEXT) | instid1(VALU_DEP_1)
	v_fma_f64 v[84:85], v[88:89], v[84:85], -v[90:91]
	v_fmac_f64_e32 v[84:85], v[88:89], v[76:77]
	s_delay_alu instid0(VALU_DEP_1) | instskip(NEXT) | instid1(VALU_DEP_1)
	v_add_f64_e32 v[76:77], v[90:91], v[84:85]
	v_add_f64_e64 v[92:93], v[82:83], -v[76:77]
	v_add_f64_e64 v[90:91], v[76:77], -v[90:91]
	s_delay_alu instid0(VALU_DEP_2) | instskip(NEXT) | instid1(VALU_DEP_1)
	v_add_f64_e64 v[82:83], v[82:83], -v[92:93]
	v_add_f64_e64 v[76:77], v[82:83], -v[76:77]
	s_delay_alu instid0(VALU_DEP_3) | instskip(NEXT) | instid1(VALU_DEP_2)
	v_add_f64_e64 v[82:83], v[90:91], -v[84:85]
	v_add_f64_e32 v[20:21], v[20:21], v[76:77]
	v_add_f64_e32 v[76:77], v[74:75], v[88:89]
	s_delay_alu instid0(VALU_DEP_2) | instskip(NEXT) | instid1(VALU_DEP_2)
	v_add_f64_e32 v[20:21], v[82:83], v[20:21]
	v_add_f64_e64 v[74:75], v[76:77], -v[74:75]
	s_delay_alu instid0(VALU_DEP_2) | instskip(NEXT) | instid1(VALU_DEP_2)
	v_add_f64_e32 v[20:21], v[92:93], v[20:21]
	v_add_f64_e64 v[74:75], v[88:89], -v[74:75]
	s_delay_alu instid0(VALU_DEP_2) | instskip(NEXT) | instid1(VALU_DEP_1)
	v_mul_f64_e32 v[20:21], v[86:87], v[20:21]
	v_add_f64_e32 v[20:21], v[74:75], v[20:21]
	s_delay_alu instid0(VALU_DEP_1) | instskip(NEXT) | instid1(VALU_DEP_1)
	v_add_f64_e32 v[74:75], v[76:77], v[20:21]
	v_mul_f64_e32 v[82:83], v[74:75], v[74:75]
	s_delay_alu instid0(VALU_DEP_1) | instskip(SKIP_1) | instid1(VALU_DEP_2)
	v_fmamk_f64 v[84:85], v[82:83], 0x3fc3ab76bf559e2b, v[46:47]
	v_mul_f64_e32 v[86:87], v[74:75], v[82:83]
	v_fmaak_f64 v[84:85], v[82:83], v[84:85], 0x3fc7474dd7f4df2e
	s_delay_alu instid0(VALU_DEP_1) | instskip(NEXT) | instid1(VALU_DEP_1)
	v_fmaak_f64 v[84:85], v[82:83], v[84:85], 0x3fcc71c016291751
	v_fmaak_f64 v[84:85], v[82:83], v[84:85], 0x3fd249249b27acf1
	s_delay_alu instid0(VALU_DEP_1) | instskip(NEXT) | instid1(VALU_DEP_1)
	v_fmaak_f64 v[84:85], v[82:83], v[84:85], 0x3fd99999998ef7b6
	v_fmaak_f64 v[82:83], v[82:83], v[84:85], 0x3fe5555555555780
	v_ldexp_f64 v[84:85], v[74:75], 1
	v_add_f64_e64 v[74:75], v[74:75], -v[76:77]
	s_delay_alu instid0(VALU_DEP_3) | instskip(SKIP_1) | instid1(VALU_DEP_3)
	v_mul_f64_e32 v[82:83], v[86:87], v[82:83]
	v_cvt_f64_i32_e32 v[86:87], v81
	v_add_f64_e64 v[20:21], v[20:21], -v[74:75]
	s_delay_alu instid0(VALU_DEP_3) | instskip(NEXT) | instid1(VALU_DEP_3)
	v_add_f64_e32 v[76:77], v[84:85], v[82:83]
	v_mul_f64_e32 v[88:89], 0x3fe62e42fefa39ef, v[86:87]
	s_delay_alu instid0(VALU_DEP_3) | instskip(NEXT) | instid1(VALU_DEP_3)
	v_ldexp_f64 v[20:21], v[20:21], 1
	v_add_f64_e64 v[74:75], v[76:77], -v[84:85]
	s_delay_alu instid0(VALU_DEP_3) | instskip(NEXT) | instid1(VALU_DEP_2)
	v_fma_f64 v[84:85], v[86:87], s[22:23], -v[88:89]
	v_add_f64_e64 v[74:75], v[82:83], -v[74:75]
	s_delay_alu instid0(VALU_DEP_2) | instskip(NEXT) | instid1(VALU_DEP_2)
	v_fmac_f64_e32 v[84:85], 0x3c7abc9e3b39803f, v[86:87]
	v_add_f64_e32 v[20:21], v[20:21], v[74:75]
	s_delay_alu instid0(VALU_DEP_2) | instskip(NEXT) | instid1(VALU_DEP_2)
	v_add_f64_e32 v[74:75], v[88:89], v[84:85]
	v_add_f64_e32 v[82:83], v[76:77], v[20:21]
	s_delay_alu instid0(VALU_DEP_2) | instskip(NEXT) | instid1(VALU_DEP_2)
	v_add_f64_e64 v[88:89], v[74:75], -v[88:89]
	v_add_f64_e32 v[86:87], v[74:75], v[82:83]
	v_add_f64_e64 v[76:77], v[82:83], -v[76:77]
	s_delay_alu instid0(VALU_DEP_3) | instskip(NEXT) | instid1(VALU_DEP_3)
	v_add_f64_e64 v[84:85], v[84:85], -v[88:89]
	v_add_f64_e64 v[90:91], v[86:87], -v[74:75]
	s_delay_alu instid0(VALU_DEP_3) | instskip(NEXT) | instid1(VALU_DEP_2)
	v_add_f64_e64 v[20:21], v[20:21], -v[76:77]
	v_add_f64_e64 v[92:93], v[86:87], -v[90:91]
	;; [unrolled: 1-line block ×3, first 2 shown]
	s_delay_alu instid0(VALU_DEP_3) | instskip(NEXT) | instid1(VALU_DEP_3)
	v_add_f64_e32 v[82:83], v[84:85], v[20:21]
	v_add_f64_e64 v[74:75], v[74:75], -v[92:93]
	s_delay_alu instid0(VALU_DEP_1) | instskip(NEXT) | instid1(VALU_DEP_3)
	v_add_f64_e32 v[74:75], v[76:77], v[74:75]
	v_add_f64_e64 v[76:77], v[82:83], -v[84:85]
	s_delay_alu instid0(VALU_DEP_2) | instskip(NEXT) | instid1(VALU_DEP_2)
	v_add_f64_e32 v[74:75], v[82:83], v[74:75]
	v_add_f64_e64 v[82:83], v[82:83], -v[76:77]
	v_add_f64_e64 v[20:21], v[20:21], -v[76:77]
	s_delay_alu instid0(VALU_DEP_3) | instskip(NEXT) | instid1(VALU_DEP_3)
	v_add_f64_e32 v[88:89], v[86:87], v[74:75]
	v_add_f64_e64 v[82:83], v[84:85], -v[82:83]
	s_delay_alu instid0(VALU_DEP_2) | instskip(NEXT) | instid1(VALU_DEP_2)
	v_add_f64_e64 v[76:77], v[88:89], -v[86:87]
	v_add_f64_e32 v[20:21], v[20:21], v[82:83]
	s_delay_alu instid0(VALU_DEP_2) | instskip(NEXT) | instid1(VALU_DEP_1)
	v_add_f64_e64 v[74:75], v[74:75], -v[76:77]
	v_add_f64_e32 v[20:21], v[20:21], v[74:75]
	s_delay_alu instid0(VALU_DEP_1) | instskip(NEXT) | instid1(VALU_DEP_1)
	v_add_f64_e32 v[20:21], v[88:89], v[20:21]
	v_cndmask_b32_e32 v20, 0, v20, vcc_lo
	v_cmp_neq_f64_e32 vcc_lo, -1.0, v[72:73]
	s_delay_alu instid0(VALU_DEP_3) | instskip(NEXT) | instid1(VALU_DEP_1)
	v_cndmask_b32_e64 v21, 0x7ff00000, v21, s7
	v_cndmask_b32_e64 v21, 0x7ff80000, v21, s8
	s_delay_alu instid0(VALU_DEP_1)
	v_cndmask_b32_e32 v21, 0xfff00000, v21, vcc_lo
.LBB48_237:                             ;   in Loop: Header=BB48_4 Depth=1
	s_and_not1_saveexec_b32 s7, s51
	s_cbranch_execz .LBB48_239
; %bb.238:                              ;   in Loop: Header=BB48_4 Depth=1
	v_add_f64_e64 v[20:21], -|v[10:11]|, 1.0
	s_delay_alu instid0(VALU_DEP_1) | instskip(NEXT) | instid1(VALU_DEP_1)
	v_mul_f64_e32 v[20:21], v[20:21], v[64:65]
	v_cmp_gt_f64_e32 vcc_lo, 0x10000000, v[20:21]
	v_cndmask_b32_e64 v72, 0, 0x100, vcc_lo
	s_delay_alu instid0(VALU_DEP_1) | instskip(NEXT) | instid1(VALU_DEP_1)
	v_ldexp_f64 v[20:21], v[20:21], v72
	v_rsq_f64_e32 v[72:73], v[20:21]
	v_nop
	s_delay_alu instid0(TRANS32_DEP_1) | instskip(SKIP_1) | instid1(VALU_DEP_1)
	v_mul_f64_e32 v[74:75], v[20:21], v[72:73]
	v_mul_f64_e32 v[72:73], 0.5, v[72:73]
	v_fma_f64 v[76:77], -v[72:73], v[74:75], 0.5
	s_delay_alu instid0(VALU_DEP_1) | instskip(SKIP_1) | instid1(VALU_DEP_2)
	v_fmac_f64_e32 v[74:75], v[74:75], v[76:77]
	v_fmac_f64_e32 v[72:73], v[72:73], v[76:77]
	v_fma_f64 v[76:77], -v[74:75], v[74:75], v[20:21]
	s_delay_alu instid0(VALU_DEP_1) | instskip(NEXT) | instid1(VALU_DEP_1)
	v_fmac_f64_e32 v[74:75], v[76:77], v[72:73]
	v_fma_f64 v[76:77], -v[74:75], v[74:75], v[20:21]
	s_delay_alu instid0(VALU_DEP_1) | instskip(SKIP_2) | instid1(VALU_DEP_2)
	v_fmac_f64_e32 v[74:75], v[76:77], v[72:73]
	v_cndmask_b32_e64 v72, 0, 0xffffff80, vcc_lo
	v_cmp_class_f64_e64 vcc_lo, v[20:21], 0x260
	v_ldexp_f64 v[72:73], v[74:75], v72
	v_dual_mov_b32 v74, v12 :: v_dual_mov_b32 v75, v71
	s_delay_alu instid0(VALU_DEP_2) | instskip(NEXT) | instid1(VALU_DEP_1)
	v_dual_cndmask_b32 v21, v73, v21 :: v_dual_cndmask_b32 v20, v72, v20
	v_div_scale_f64 v[72:73], null, v[20:21], v[20:21], v[74:75]
	v_div_scale_f64 v[74:75], vcc_lo, v[74:75], v[20:21], v[74:75]
	s_delay_alu instid0(VALU_DEP_2) | instskip(SKIP_1) | instid1(TRANS32_DEP_1)
	v_rcp_f64_e32 v[76:77], v[72:73]
	v_nop
	v_fma_f64 v[82:83], -v[72:73], v[76:77], 1.0
	s_delay_alu instid0(VALU_DEP_1) | instskip(NEXT) | instid1(VALU_DEP_1)
	v_fmac_f64_e32 v[76:77], v[76:77], v[82:83]
	v_fma_f64 v[82:83], -v[72:73], v[76:77], 1.0
	s_delay_alu instid0(VALU_DEP_1) | instskip(NEXT) | instid1(VALU_DEP_1)
	v_fmac_f64_e32 v[76:77], v[76:77], v[82:83]
	v_mul_f64_e32 v[82:83], v[74:75], v[76:77]
	s_delay_alu instid0(VALU_DEP_1) | instskip(NEXT) | instid1(VALU_DEP_1)
	v_fma_f64 v[72:73], -v[72:73], v[82:83], v[74:75]
	v_div_fmas_f64 v[72:73], v[72:73], v[76:77], v[82:83]
	s_delay_alu instid0(VALU_DEP_1)
	v_div_fixup_f64 v[20:21], v[72:73], v[20:21], |v[12:13]|
.LBB48_239:                             ;   in Loop: Header=BB48_4 Depth=1
	s_or_b32 exec_lo, exec_lo, s7
.LBB48_240:                             ;   in Loop: Header=BB48_4 Depth=1
	s_delay_alu instid0(SALU_CYCLE_1)
	s_or_b32 exec_lo, exec_lo, s50
.LBB48_241:                             ;   in Loop: Header=BB48_4 Depth=1
	s_and_not1_saveexec_b32 s7, s49
	s_cbranch_execz .LBB48_243
; %bb.242:                              ;   in Loop: Header=BB48_4 Depth=1
	v_cmp_gt_f64_e64 s8, 0x10000000, |v[12:13]|
	s_delay_alu instid0(VALU_DEP_1) | instskip(NEXT) | instid1(VALU_DEP_1)
	v_cndmask_b32_e64 v20, 0, 0x100, s8
	v_ldexp_f64 v[20:21], |v[12:13]|, v20
	s_delay_alu instid0(VALU_DEP_1) | instskip(SKIP_1) | instid1(TRANS32_DEP_1)
	v_rsq_f64_e32 v[72:73], v[20:21]
	v_cmp_class_f64_e64 vcc_lo, v[20:21], 0x260
	v_mul_f64_e32 v[74:75], v[20:21], v[72:73]
	v_mul_f64_e32 v[72:73], 0.5, v[72:73]
	s_delay_alu instid0(VALU_DEP_1) | instskip(NEXT) | instid1(VALU_DEP_1)
	v_fma_f64 v[76:77], -v[72:73], v[74:75], 0.5
	v_fmac_f64_e32 v[74:75], v[74:75], v[76:77]
	v_fmac_f64_e32 v[72:73], v[72:73], v[76:77]
	s_delay_alu instid0(VALU_DEP_2) | instskip(NEXT) | instid1(VALU_DEP_1)
	v_fma_f64 v[76:77], -v[74:75], v[74:75], v[20:21]
	v_fmac_f64_e32 v[74:75], v[76:77], v[72:73]
	s_delay_alu instid0(VALU_DEP_1) | instskip(NEXT) | instid1(VALU_DEP_1)
	v_fma_f64 v[76:77], -v[74:75], v[74:75], v[20:21]
	v_fmac_f64_e32 v[74:75], v[76:77], v[72:73]
	v_cndmask_b32_e64 v72, 0, 0xffffff80, s8
	s_delay_alu instid0(VALU_DEP_1) | instskip(NEXT) | instid1(VALU_DEP_1)
	v_ldexp_f64 v[72:73], v[74:75], v72
	v_dual_cndmask_b32 v21, v73, v21 :: v_dual_cndmask_b32 v20, v72, v20
.LBB48_243:                             ;   in Loop: Header=BB48_4 Depth=1
	s_or_b32 exec_lo, exec_lo, s7
.LBB48_244:                             ;   in Loop: Header=BB48_4 Depth=1
	s_delay_alu instid0(SALU_CYCLE_1) | instskip(SKIP_2) | instid1(SALU_CYCLE_1)
	s_or_b32 exec_lo, exec_lo, s48
	v_cmp_ngt_f64_e64 s8, 0x20200000, |v[10:11]|
                                        ; implicit-def: $sgpr7
                                        ; implicit-def: $vgpr72_vgpr73
                                        ; implicit-def: $vgpr76_vgpr77
                                        ; implicit-def: $vgpr74_vgpr75
	s_and_saveexec_b32 s48, s8
	s_xor_b32 s8, exec_lo, s48
	s_cbranch_execz .LBB48_268
; %bb.245:                              ;   in Loop: Header=BB48_4 Depth=1
	v_and_b32_e32 v75, 0x7fffffff, v11
	v_mov_b32_e32 v74, v10
	s_mov_b32 s7, 0
	s_mov_b32 s48, exec_lo
	s_delay_alu instid0(VALU_DEP_1) | instskip(NEXT) | instid1(VALU_DEP_1)
	v_div_scale_f64 v[72:73], null, v[62:63], v[62:63], v[74:75]
	v_rcp_f64_e32 v[76:77], v[72:73]
	v_nop
	s_delay_alu instid0(TRANS32_DEP_1) | instskip(NEXT) | instid1(VALU_DEP_1)
	v_fma_f64 v[82:83], -v[72:73], v[76:77], 1.0
	v_fmac_f64_e32 v[76:77], v[76:77], v[82:83]
	s_delay_alu instid0(VALU_DEP_1) | instskip(NEXT) | instid1(VALU_DEP_1)
	v_fma_f64 v[82:83], -v[72:73], v[76:77], 1.0
	v_fmac_f64_e32 v[76:77], v[76:77], v[82:83]
	v_div_scale_f64 v[82:83], vcc_lo, v[74:75], v[62:63], v[74:75]
	s_delay_alu instid0(VALU_DEP_1) | instskip(NEXT) | instid1(VALU_DEP_1)
	v_mul_f64_e32 v[84:85], v[82:83], v[76:77]
	v_fma_f64 v[72:73], -v[72:73], v[84:85], v[82:83]
	s_delay_alu instid0(VALU_DEP_1) | instskip(NEXT) | instid1(VALU_DEP_1)
	v_div_fmas_f64 v[72:73], v[72:73], v[76:77], v[84:85]
                                        ; implicit-def: $vgpr76_vgpr77
	v_div_fixup_f64 v[72:73], v[72:73], v[62:63], |v[10:11]|
	s_delay_alu instid0(VALU_DEP_1)
	v_cmpx_lt_f64_e32 s[24:25], v[72:73]
	s_cbranch_execz .LBB48_267
; %bb.246:                              ;   in Loop: Header=BB48_4 Depth=1
	v_cmp_neq_f64_e64 s7, |v[10:11]|, 1.0
	v_cmp_ngt_f64_e64 s49, 0x3c400000, |v[12:13]|
                                        ; implicit-def: $vgpr76_vgpr77
	s_or_b32 s7, s49, s7
	s_delay_alu instid0(SALU_CYCLE_1) | instskip(NEXT) | instid1(SALU_CYCLE_1)
	s_and_saveexec_b32 s49, s7
	s_xor_b32 s7, exec_lo, s49
	s_cbranch_execz .LBB48_264
; %bb.247:                              ;   in Loop: Header=BB48_4 Depth=1
	v_ldexp_f64 v[76:77], |v[18:19]|, 0xffffffcc
	s_delay_alu instid0(VALU_DEP_1) | instskip(SKIP_1) | instid1(SALU_CYCLE_1)
	v_cmp_ge_f64_e64 s49, |v[12:13]|, v[76:77]
                                        ; implicit-def: $vgpr76_vgpr77
	s_and_saveexec_b32 s50, s49
	s_xor_b32 s49, exec_lo, s50
	s_cbranch_execz .LBB48_257
; %bb.248:                              ;   in Loop: Header=BB48_4 Depth=1
	v_mov_b64_e32 v[76:77], v[70:71]
	s_mov_b32 s50, exec_lo
	v_cmpx_neq_f64_e32 0, v[64:65]
	s_cbranch_execz .LBB48_250
; %bb.249:                              ;   in Loop: Header=BB48_4 Depth=1
	v_mul_f64_e32 v[76:77], v[12:13], v[12:13]
	v_add_f64_e32 v[64:65], v[64:65], v[68:69]
	s_delay_alu instid0(VALU_DEP_1) | instskip(NEXT) | instid1(VALU_DEP_1)
	v_div_scale_f64 v[68:69], null, v[64:65], v[64:65], v[76:77]
	v_rcp_f64_e32 v[82:83], v[68:69]
	v_nop
	s_delay_alu instid0(TRANS32_DEP_1) | instskip(NEXT) | instid1(VALU_DEP_1)
	v_fma_f64 v[84:85], -v[68:69], v[82:83], 1.0
	v_fmac_f64_e32 v[82:83], v[82:83], v[84:85]
	s_delay_alu instid0(VALU_DEP_1) | instskip(NEXT) | instid1(VALU_DEP_1)
	v_fma_f64 v[84:85], -v[68:69], v[82:83], 1.0
	v_fmac_f64_e32 v[82:83], v[82:83], v[84:85]
	v_div_scale_f64 v[84:85], vcc_lo, v[76:77], v[64:65], v[76:77]
	s_delay_alu instid0(VALU_DEP_1) | instskip(NEXT) | instid1(VALU_DEP_1)
	v_mul_f64_e32 v[86:87], v[84:85], v[82:83]
	v_fma_f64 v[68:69], -v[68:69], v[86:87], v[84:85]
	s_delay_alu instid0(VALU_DEP_1) | instskip(NEXT) | instid1(VALU_DEP_1)
	v_div_fmas_f64 v[68:69], v[68:69], v[82:83], v[86:87]
	v_div_fixup_f64 v[76:77], v[68:69], v[64:65], v[76:77]
.LBB48_250:                             ;   in Loop: Header=BB48_4 Depth=1
	s_or_b32 exec_lo, exec_lo, s50
	s_delay_alu instid0(SALU_CYCLE_1)
	s_mov_b32 s50, exec_lo
	v_cmpx_ngt_f64_e32 0, v[18:19]
	s_xor_b32 s50, exec_lo, s50
	s_cbranch_execz .LBB48_254
; %bb.251:                              ;   in Loop: Header=BB48_4 Depth=1
	s_mov_b32 s51, exec_lo
	v_cmpx_neq_f64_e32 0, v[18:19]
	s_cbranch_execz .LBB48_253
; %bb.252:                              ;   in Loop: Header=BB48_4 Depth=1
	v_mul_f64_e32 v[12:13], v[12:13], v[12:13]
	v_add_f64_e32 v[18:19], v[18:19], v[66:67]
	s_delay_alu instid0(VALU_DEP_1) | instskip(NEXT) | instid1(VALU_DEP_1)
	v_div_scale_f64 v[64:65], null, v[18:19], v[18:19], v[12:13]
	v_rcp_f64_e32 v[66:67], v[64:65]
	v_nop
	s_delay_alu instid0(TRANS32_DEP_1) | instskip(NEXT) | instid1(VALU_DEP_1)
	v_fma_f64 v[68:69], -v[64:65], v[66:67], 1.0
	v_fmac_f64_e32 v[66:67], v[66:67], v[68:69]
	s_delay_alu instid0(VALU_DEP_1) | instskip(NEXT) | instid1(VALU_DEP_1)
	v_fma_f64 v[68:69], -v[64:65], v[66:67], 1.0
	v_fmac_f64_e32 v[66:67], v[66:67], v[68:69]
	v_div_scale_f64 v[68:69], vcc_lo, v[12:13], v[18:19], v[12:13]
	s_delay_alu instid0(VALU_DEP_1) | instskip(NEXT) | instid1(VALU_DEP_1)
	v_mul_f64_e32 v[70:71], v[68:69], v[66:67]
	v_fma_f64 v[64:65], -v[64:65], v[70:71], v[68:69]
	s_delay_alu instid0(VALU_DEP_1) | instskip(NEXT) | instid1(VALU_DEP_1)
	v_div_fmas_f64 v[64:65], v[64:65], v[66:67], v[70:71]
	v_div_fixup_f64 v[70:71], v[64:65], v[18:19], v[12:13]
.LBB48_253:                             ;   in Loop: Header=BB48_4 Depth=1
	s_or_b32 exec_lo, exec_lo, s51
                                        ; implicit-def: $vgpr18_vgpr19
                                        ; implicit-def: $vgpr66_vgpr67
.LBB48_254:                             ;   in Loop: Header=BB48_4 Depth=1
	s_and_not1_saveexec_b32 s50, s50
; %bb.255:                              ;   in Loop: Header=BB48_4 Depth=1
	v_add_f64_e64 v[70:71], v[66:67], -v[18:19]
; %bb.256:                              ;   in Loop: Header=BB48_4 Depth=1
	s_or_b32 exec_lo, exec_lo, s50
	s_delay_alu instid0(VALU_DEP_1) | instskip(SKIP_1) | instid1(VALU_DEP_2)
	v_mul_f64_e32 v[12:13], 0.5, v[70:71]
	v_add_f64_e64 v[18:19], |v[10:11]|, v[62:63]
	v_fmac_f64_e32 v[12:13], 0.5, v[76:77]
	s_delay_alu instid0(VALU_DEP_1) | instskip(NEXT) | instid1(VALU_DEP_1)
	v_mul_f64_e32 v[12:13], v[18:19], v[12:13]
	v_cmp_gt_f64_e32 vcc_lo, 0x10000000, v[12:13]
	v_cndmask_b32_e64 v18, 0, 0x100, vcc_lo
	s_delay_alu instid0(VALU_DEP_1) | instskip(NEXT) | instid1(VALU_DEP_1)
	v_ldexp_f64 v[12:13], v[12:13], v18
	v_rsq_f64_e32 v[18:19], v[12:13]
	v_nop
	s_delay_alu instid0(TRANS32_DEP_1) | instskip(SKIP_1) | instid1(VALU_DEP_1)
	v_mul_f64_e32 v[62:63], v[12:13], v[18:19]
	v_mul_f64_e32 v[18:19], 0.5, v[18:19]
	v_fma_f64 v[64:65], -v[18:19], v[62:63], 0.5
	s_delay_alu instid0(VALU_DEP_1) | instskip(SKIP_1) | instid1(VALU_DEP_2)
	v_fmac_f64_e32 v[62:63], v[62:63], v[64:65]
	v_fmac_f64_e32 v[18:19], v[18:19], v[64:65]
	v_fma_f64 v[64:65], -v[62:63], v[62:63], v[12:13]
	s_delay_alu instid0(VALU_DEP_1) | instskip(NEXT) | instid1(VALU_DEP_1)
	v_fmac_f64_e32 v[62:63], v[64:65], v[18:19]
	v_fma_f64 v[64:65], -v[62:63], v[62:63], v[12:13]
	s_delay_alu instid0(VALU_DEP_1) | instskip(SKIP_2) | instid1(VALU_DEP_2)
	v_fmac_f64_e32 v[62:63], v[64:65], v[18:19]
	v_cndmask_b32_e64 v18, 0, 0xffffff80, vcc_lo
	v_cmp_class_f64_e64 vcc_lo, v[12:13], 0x260
                                        ; implicit-def: $vgpr64_vgpr65
	v_ldexp_f64 v[18:19], v[62:63], v18
	s_delay_alu instid0(VALU_DEP_1)
	v_dual_cndmask_b32 v77, v19, v13 :: v_dual_cndmask_b32 v76, v18, v12
                                        ; implicit-def: $vgpr18_vgpr19
.LBB48_257:                             ;   in Loop: Header=BB48_4 Depth=1
	s_and_not1_saveexec_b32 s49, s49
	s_cbranch_execz .LBB48_263
; %bb.258:                              ;   in Loop: Header=BB48_4 Depth=1
	v_cmp_ngt_f64_e64 s50, |v[10:11]|, 1.0
                                        ; implicit-def: $vgpr76_vgpr77
	s_and_saveexec_b32 s51, s50
	s_delay_alu instid0(SALU_CYCLE_1)
	s_xor_b32 s50, exec_lo, s51
	s_cbranch_execz .LBB48_260
; %bb.259:                              ;   in Loop: Header=BB48_4 Depth=1
	v_add_f64_e64 v[12:13], -|v[10:11]|, 1.0
	s_delay_alu instid0(VALU_DEP_1) | instskip(NEXT) | instid1(VALU_DEP_1)
	v_mul_f64_e32 v[12:13], v[12:13], v[64:65]
	v_cmp_gt_f64_e32 vcc_lo, 0x10000000, v[12:13]
	v_cndmask_b32_e64 v18, 0, 0x100, vcc_lo
	s_delay_alu instid0(VALU_DEP_1) | instskip(NEXT) | instid1(VALU_DEP_1)
	v_ldexp_f64 v[12:13], v[12:13], v18
	v_rsq_f64_e32 v[18:19], v[12:13]
	v_nop
	s_delay_alu instid0(TRANS32_DEP_1) | instskip(SKIP_1) | instid1(VALU_DEP_1)
	v_mul_f64_e32 v[62:63], v[12:13], v[18:19]
	v_mul_f64_e32 v[18:19], 0.5, v[18:19]
	v_fma_f64 v[64:65], -v[18:19], v[62:63], 0.5
	s_delay_alu instid0(VALU_DEP_1) | instskip(SKIP_1) | instid1(VALU_DEP_2)
	v_fmac_f64_e32 v[62:63], v[62:63], v[64:65]
	v_fmac_f64_e32 v[18:19], v[18:19], v[64:65]
	v_fma_f64 v[64:65], -v[62:63], v[62:63], v[12:13]
	s_delay_alu instid0(VALU_DEP_1) | instskip(NEXT) | instid1(VALU_DEP_1)
	v_fmac_f64_e32 v[62:63], v[64:65], v[18:19]
	v_fma_f64 v[64:65], -v[62:63], v[62:63], v[12:13]
	s_delay_alu instid0(VALU_DEP_1) | instskip(SKIP_2) | instid1(VALU_DEP_2)
	v_fmac_f64_e32 v[62:63], v[64:65], v[18:19]
	v_cndmask_b32_e64 v18, 0, 0xffffff80, vcc_lo
	v_cmp_class_f64_e64 vcc_lo, v[12:13], 0x260
                                        ; implicit-def: $vgpr64_vgpr65
	v_ldexp_f64 v[18:19], v[62:63], v18
	s_delay_alu instid0(VALU_DEP_1)
	v_dual_cndmask_b32 v77, v19, v13 :: v_dual_cndmask_b32 v76, v18, v12
                                        ; implicit-def: $vgpr18_vgpr19
.LBB48_260:                             ;   in Loop: Header=BB48_4 Depth=1
	s_and_not1_saveexec_b32 s50, s50
	s_cbranch_execz .LBB48_262
; %bb.261:                              ;   in Loop: Header=BB48_4 Depth=1
	v_mul_f64_e32 v[18:19], v[64:65], v[18:19]
	v_ldexp_f64 v[12:13], |v[12:13]|, 0x6a
	v_ldexp_f64 v[74:75], |v[10:11]|, 0x6a
	s_delay_alu instid0(VALU_DEP_3) | instskip(NEXT) | instid1(VALU_DEP_3)
	v_cmp_gt_f64_e32 vcc_lo, 0x10000000, v[18:19]
	v_mul_f64_e64 v[12:13], |v[10:11]|, v[12:13]
	v_cndmask_b32_e64 v62, 0, 0x100, vcc_lo
	s_delay_alu instid0(VALU_DEP_1) | instskip(NEXT) | instid1(VALU_DEP_1)
	v_ldexp_f64 v[18:19], v[18:19], v62
	v_rsq_f64_e32 v[62:63], v[18:19]
	v_nop
	s_delay_alu instid0(TRANS32_DEP_1) | instskip(SKIP_1) | instid1(VALU_DEP_1)
	v_mul_f64_e32 v[64:65], v[18:19], v[62:63]
	v_mul_f64_e32 v[62:63], 0.5, v[62:63]
	v_fma_f64 v[66:67], -v[62:63], v[64:65], 0.5
	s_delay_alu instid0(VALU_DEP_1) | instskip(SKIP_1) | instid1(VALU_DEP_2)
	v_fmac_f64_e32 v[64:65], v[64:65], v[66:67]
	v_fmac_f64_e32 v[62:63], v[62:63], v[66:67]
	v_fma_f64 v[66:67], -v[64:65], v[64:65], v[18:19]
	s_delay_alu instid0(VALU_DEP_1) | instskip(NEXT) | instid1(VALU_DEP_1)
	v_fmac_f64_e32 v[64:65], v[66:67], v[62:63]
	v_fma_f64 v[66:67], -v[64:65], v[64:65], v[18:19]
	s_delay_alu instid0(VALU_DEP_1) | instskip(SKIP_2) | instid1(VALU_DEP_2)
	v_fmac_f64_e32 v[64:65], v[66:67], v[62:63]
	v_cndmask_b32_e64 v62, 0, 0xffffff80, vcc_lo
	v_cmp_class_f64_e64 vcc_lo, v[18:19], 0x260
	v_ldexp_f64 v[62:63], v[64:65], v62
	s_delay_alu instid0(VALU_DEP_1) | instskip(NEXT) | instid1(VALU_DEP_1)
	v_dual_cndmask_b32 v19, v63, v19 :: v_dual_cndmask_b32 v18, v62, v18
	v_div_scale_f64 v[62:63], null, v[18:19], v[18:19], v[12:13]
	v_div_scale_f64 v[68:69], vcc_lo, v[12:13], v[18:19], v[12:13]
	s_delay_alu instid0(VALU_DEP_2) | instskip(SKIP_1) | instid1(TRANS32_DEP_1)
	v_rcp_f64_e32 v[64:65], v[62:63]
	v_nop
	v_fma_f64 v[66:67], -v[62:63], v[64:65], 1.0
	s_delay_alu instid0(VALU_DEP_1) | instskip(NEXT) | instid1(VALU_DEP_1)
	v_fmac_f64_e32 v[64:65], v[64:65], v[66:67]
	v_fma_f64 v[66:67], -v[62:63], v[64:65], 1.0
	s_delay_alu instid0(VALU_DEP_1) | instskip(NEXT) | instid1(VALU_DEP_1)
	v_fmac_f64_e32 v[64:65], v[64:65], v[66:67]
	v_mul_f64_e32 v[66:67], v[68:69], v[64:65]
	s_delay_alu instid0(VALU_DEP_1) | instskip(NEXT) | instid1(VALU_DEP_1)
	v_fma_f64 v[62:63], -v[62:63], v[66:67], v[68:69]
	v_div_fmas_f64 v[62:63], v[62:63], v[64:65], v[66:67]
	s_delay_alu instid0(VALU_DEP_1)
	v_div_fixup_f64 v[76:77], v[62:63], v[18:19], v[12:13]
.LBB48_262:                             ;   in Loop: Header=BB48_4 Depth=1
	s_or_b32 exec_lo, exec_lo, s50
.LBB48_263:                             ;   in Loop: Header=BB48_4 Depth=1
	s_delay_alu instid0(SALU_CYCLE_1)
	s_or_b32 exec_lo, exec_lo, s49
                                        ; implicit-def: $vgpr62_vgpr63
.LBB48_264:                             ;   in Loop: Header=BB48_4 Depth=1
	s_and_not1_saveexec_b32 s49, s7
	s_cbranch_execz .LBB48_266
; %bb.265:                              ;   in Loop: Header=BB48_4 Depth=1
	v_cmp_gt_f64_e64 s7, 0x10000000, |v[12:13]|
	v_add_f64_e32 v[18:19], 1.0, v[62:63]
	s_delay_alu instid0(VALU_DEP_2) | instskip(NEXT) | instid1(VALU_DEP_1)
	v_cndmask_b32_e64 v62, 0, 0x100, s7
	v_ldexp_f64 v[12:13], |v[12:13]|, v62
	s_delay_alu instid0(VALU_DEP_3) | instskip(NEXT) | instid1(VALU_DEP_1)
	v_mul_f64_e32 v[18:19], 0.5, v[18:19]
	v_cmp_gt_f64_e32 vcc_lo, 0x10000000, v[18:19]
	v_cndmask_b32_e64 v63, 0, 0x100, vcc_lo
	s_delay_alu instid0(VALU_DEP_1) | instskip(SKIP_1) | instid1(VALU_DEP_1)
	v_ldexp_f64 v[18:19], v[18:19], v63
	v_rsq_f64_e32 v[62:63], v[12:13]
	v_rsq_f64_e32 v[64:65], v[18:19]
	s_delay_alu instid0(TRANS32_DEP_2) | instskip(SKIP_1) | instid1(VALU_DEP_1)
	v_mul_f64_e32 v[66:67], v[12:13], v[62:63]
	v_mul_f64_e32 v[62:63], 0.5, v[62:63]
	v_fma_f64 v[70:71], -v[62:63], v[66:67], 0.5
	s_delay_alu instid0(VALU_DEP_1) | instskip(SKIP_1) | instid1(VALU_DEP_2)
	v_fmac_f64_e32 v[66:67], v[66:67], v[70:71]
	v_fmac_f64_e32 v[62:63], v[62:63], v[70:71]
	v_fma_f64 v[70:71], -v[66:67], v[66:67], v[12:13]
	s_delay_alu instid0(VALU_DEP_1) | instskip(NEXT) | instid1(VALU_DEP_1)
	v_fmac_f64_e32 v[66:67], v[70:71], v[62:63]
	v_fma_f64 v[70:71], -v[66:67], v[66:67], v[12:13]
	s_delay_alu instid0(VALU_DEP_1) | instskip(SKIP_2) | instid1(TRANS32_DEP_1)
	v_fmac_f64_e32 v[66:67], v[70:71], v[62:63]
	v_cndmask_b32_e64 v62, 0, 0xffffff80, s7
	v_cmp_class_f64_e64 s7, v[18:19], 0x260
	v_mul_f64_e32 v[68:69], v[18:19], v[64:65]
	v_mul_f64_e32 v[64:65], 0.5, v[64:65]
	s_delay_alu instid0(VALU_DEP_4) | instskip(NEXT) | instid1(VALU_DEP_2)
	v_ldexp_f64 v[62:63], v[66:67], v62
	v_fma_f64 v[74:75], -v[64:65], v[68:69], 0.5
	s_delay_alu instid0(VALU_DEP_1) | instskip(SKIP_1) | instid1(VALU_DEP_2)
	v_fmac_f64_e32 v[68:69], v[68:69], v[74:75]
	v_fmac_f64_e32 v[64:65], v[64:65], v[74:75]
	v_fma_f64 v[74:75], -v[68:69], v[68:69], v[18:19]
	s_delay_alu instid0(VALU_DEP_1) | instskip(NEXT) | instid1(VALU_DEP_1)
	v_fmac_f64_e32 v[68:69], v[74:75], v[64:65]
	v_fma_f64 v[74:75], -v[68:69], v[68:69], v[18:19]
	s_delay_alu instid0(VALU_DEP_1) | instskip(SKIP_3) | instid1(VALU_DEP_3)
	v_fmac_f64_e32 v[68:69], v[74:75], v[64:65]
	v_cndmask_b32_e64 v64, 0, 0xffffff80, vcc_lo
	v_cmp_class_f64_e64 vcc_lo, v[12:13], 0x260
	v_mov_b64_e32 v[74:75], 1.0
	v_ldexp_f64 v[64:65], v[68:69], v64
	v_dual_cndmask_b32 v13, v63, v13 :: v_dual_cndmask_b32 v12, v62, v12
	s_delay_alu instid0(VALU_DEP_2) | instskip(NEXT) | instid1(VALU_DEP_1)
	v_dual_cndmask_b32 v19, v65, v19, s7 :: v_dual_cndmask_b32 v18, v64, v18, s7
	v_mul_f64_e32 v[76:77], v[12:13], v[18:19]
.LBB48_266:                             ;   in Loop: Header=BB48_4 Depth=1
	s_or_b32 exec_lo, exec_lo, s49
	s_delay_alu instid0(SALU_CYCLE_1)
	s_mov_b32 s7, exec_lo
.LBB48_267:                             ;   in Loop: Header=BB48_4 Depth=1
	s_or_b32 exec_lo, exec_lo, s48
                                        ; implicit-def: $vgpr62_vgpr63
.LBB48_268:                             ;   in Loop: Header=BB48_4 Depth=1
	s_and_not1_saveexec_b32 s8, s8
	s_cbranch_execz .LBB48_270
; %bb.269:                              ;   in Loop: Header=BB48_4 Depth=1
	v_ldexp_f64 v[76:77], v[62:63], 53
	v_ldexp_f64 v[74:75], |v[10:11]|, 53
	s_or_b32 s7, s7, exec_lo
                                        ; implicit-def: $vgpr72_vgpr73
.LBB48_270:                             ;   in Loop: Header=BB48_4 Depth=1
	s_or_b32 exec_lo, exec_lo, s8
	s_xor_b32 s7, s7, -1
	v_cmp_lt_i64_e32 vcc_lo, -1, v[10:11]
	s_and_saveexec_b32 s8, s7
	s_delay_alu instid0(SALU_CYCLE_1)
	s_xor_b32 s8, exec_lo, s8
	s_cbranch_execz .LBB48_280
; %bb.271:                              ;   in Loop: Header=BB48_4 Depth=1
	v_fma_f64 v[10:11], |v[72:73]|, -0.5, 0.5
	v_mul_f64_e32 v[12:13], v[72:73], v[72:73]
	s_and_saveexec_b32 s7, vcc_lo
	s_delay_alu instid0(SALU_CYCLE_1)
	s_xor_b32 s48, exec_lo, s7
	s_cbranch_execz .LBB48_275
; %bb.272:                              ;   in Loop: Header=BB48_4 Depth=1
	v_cmp_ge_f64_e64 s7, |v[72:73]|, 0.5
	s_delay_alu instid0(VALU_DEP_1) | instskip(NEXT) | instid1(VALU_DEP_1)
	v_dual_cndmask_b32 v13, v13, v11, s7 :: v_dual_cndmask_b32 v12, v12, v10, s7
	v_fmamk_f64 v[18:19], v[12:13], 0x3fa059859fea6a70, v[48:49]
	s_delay_alu instid0(VALU_DEP_1) | instskip(NEXT) | instid1(VALU_DEP_1)
	v_fmaak_f64 v[18:19], v[12:13], v[18:19], 0x3f94052137024d6a
	v_fmaak_f64 v[18:19], v[12:13], v[18:19], 0x3f7ab3a098a70509
	s_delay_alu instid0(VALU_DEP_1) | instskip(NEXT) | instid1(VALU_DEP_1)
	v_fmaak_f64 v[18:19], v[12:13], v[18:19], 0x3f88ed60a300c8d2
	v_fmaak_f64 v[18:19], v[12:13], v[18:19], 0x3f8c6fa84b77012b
	;; [unrolled: 3-line block ×5, first 2 shown]
	s_delay_alu instid0(VALU_DEP_1) | instskip(NEXT) | instid1(VALU_DEP_1)
	v_mul_f64_e32 v[12:13], v[12:13], v[18:19]
	v_fma_f64 v[18:19], v[72:73], v[12:13], v[72:73]
	s_delay_alu instid0(VALU_DEP_1)
	v_fma_f64 v[18:19], s[28:29], s[26:27], -v[18:19]
	s_and_saveexec_b32 s49, s7
	s_cbranch_execz .LBB48_274
; %bb.273:                              ;   in Loop: Header=BB48_4 Depth=1
	v_rsq_f64_e32 v[18:19], v[10:11]
	v_cmp_eq_f64_e64 s7, 0, v[10:11]
	s_delay_alu instid0(TRANS32_DEP_1) | instskip(SKIP_1) | instid1(VALU_DEP_1)
	v_mul_f64_e32 v[62:63], v[10:11], v[18:19]
	v_mul_f64_e32 v[18:19], 0.5, v[18:19]
	v_fma_f64 v[64:65], -v[18:19], v[62:63], 0.5
	s_delay_alu instid0(VALU_DEP_1) | instskip(SKIP_1) | instid1(VALU_DEP_2)
	v_fmac_f64_e32 v[62:63], v[62:63], v[64:65]
	v_fmac_f64_e32 v[18:19], v[18:19], v[64:65]
	v_fma_f64 v[64:65], -v[62:63], v[62:63], v[10:11]
	s_delay_alu instid0(VALU_DEP_1) | instskip(NEXT) | instid1(VALU_DEP_1)
	v_fmac_f64_e32 v[62:63], v[64:65], v[18:19]
	v_dual_cndmask_b32 v19, v63, v11, s7 :: v_dual_cndmask_b32 v18, v62, v10, s7
	s_delay_alu instid0(VALU_DEP_1) | instskip(SKIP_1) | instid1(VALU_DEP_2)
	v_add_f64_e32 v[62:63], v[18:19], v[18:19]
	v_mul_f64_e32 v[64:65], v[18:19], v[18:19]
	v_rcp_f64_e32 v[66:67], v[62:63]
	s_delay_alu instid0(VALU_DEP_1) | instskip(SKIP_1) | instid1(VALU_DEP_2)
	v_add_f64_e64 v[68:69], v[10:11], -v[64:65]
	v_fma_f64 v[74:75], v[18:19], v[18:19], -v[64:65]
	v_add_f64_e64 v[10:11], v[10:11], -v[68:69]
	s_delay_alu instid0(TRANS32_DEP_1) | instskip(NEXT) | instid1(VALU_DEP_2)
	v_fma_f64 v[70:71], -v[62:63], v[66:67], 1.0
	v_add_f64_e64 v[10:11], v[10:11], -v[64:65]
	s_delay_alu instid0(VALU_DEP_2) | instskip(NEXT) | instid1(VALU_DEP_2)
	v_fmac_f64_e32 v[66:67], v[70:71], v[66:67]
	v_add_f64_e64 v[10:11], v[10:11], -v[74:75]
	s_delay_alu instid0(VALU_DEP_2) | instskip(NEXT) | instid1(VALU_DEP_2)
	v_fma_f64 v[64:65], -v[62:63], v[66:67], 1.0
	v_add_f64_e32 v[10:11], v[68:69], v[10:11]
	s_delay_alu instid0(VALU_DEP_2) | instskip(NEXT) | instid1(VALU_DEP_1)
	v_fmac_f64_e32 v[66:67], v[64:65], v[66:67]
	v_mul_f64_e32 v[64:65], v[10:11], v[66:67]
	s_delay_alu instid0(VALU_DEP_1) | instskip(NEXT) | instid1(VALU_DEP_1)
	v_fma_f64 v[10:11], -v[62:63], v[64:65], v[10:11]
	v_fmac_f64_e32 v[64:65], v[10:11], v[66:67]
	s_delay_alu instid0(VALU_DEP_1) | instskip(NEXT) | instid1(VALU_DEP_2)
	v_cndmask_b32_e64 v11, v65, 0, s7
	v_cndmask_b32_e64 v10, v64, 0, s7
	v_cmp_neq_f64_e64 s7, 1.0, v[72:73]
	s_delay_alu instid0(VALU_DEP_2) | instskip(NEXT) | instid1(VALU_DEP_1)
	v_add_f64_e32 v[62:63], v[18:19], v[10:11]
	v_add_f64_e64 v[18:19], v[62:63], -v[18:19]
	s_delay_alu instid0(VALU_DEP_1) | instskip(NEXT) | instid1(VALU_DEP_1)
	v_add_f64_e64 v[10:11], v[10:11], -v[18:19]
	v_fmac_f64_e32 v[10:11], v[62:63], v[12:13]
	s_delay_alu instid0(VALU_DEP_1) | instskip(NEXT) | instid1(VALU_DEP_1)
	v_add_f64_e32 v[10:11], v[62:63], v[10:11]
	v_add_f64_e32 v[10:11], v[10:11], v[10:11]
	s_delay_alu instid0(VALU_DEP_1)
	v_dual_cndmask_b32 v19, 0, v11, s7 :: v_dual_cndmask_b32 v18, 0, v10, s7
.LBB48_274:                             ;   in Loop: Header=BB48_4 Depth=1
	s_or_b32 exec_lo, exec_lo, s49
                                        ; implicit-def: $vgpr72_vgpr73
                                        ; implicit-def: $vgpr12_vgpr13
                                        ; implicit-def: $vgpr10_vgpr11
.LBB48_275:                             ;   in Loop: Header=BB48_4 Depth=1
	s_and_not1_saveexec_b32 s48, s48
	s_cbranch_execz .LBB48_279
; %bb.276:                              ;   in Loop: Header=BB48_4 Depth=1
	v_cmp_ge_f64_e64 s7, |v[72:73]|, 0.5
	s_delay_alu instid0(VALU_DEP_1) | instskip(NEXT) | instid1(VALU_DEP_1)
	v_dual_cndmask_b32 v13, v13, v11, s7 :: v_dual_cndmask_b32 v12, v12, v10, s7
	v_fmamk_f64 v[18:19], v[12:13], 0x3fa059859fea6a70, v[48:49]
	s_delay_alu instid0(VALU_DEP_1) | instskip(NEXT) | instid1(VALU_DEP_1)
	v_fmaak_f64 v[18:19], v[12:13], v[18:19], 0x3f94052137024d6a
	v_fmaak_f64 v[18:19], v[12:13], v[18:19], 0x3f7ab3a098a70509
	s_delay_alu instid0(VALU_DEP_1) | instskip(NEXT) | instid1(VALU_DEP_1)
	v_fmaak_f64 v[18:19], v[12:13], v[18:19], 0x3f88ed60a300c8d2
	v_fmaak_f64 v[18:19], v[12:13], v[18:19], 0x3f8c6fa84b77012b
	;; [unrolled: 3-line block ×5, first 2 shown]
	s_delay_alu instid0(VALU_DEP_1) | instskip(NEXT) | instid1(VALU_DEP_1)
	v_mul_f64_e32 v[12:13], v[12:13], v[18:19]
	v_fma_f64 v[18:19], -v[72:73], v[12:13], -v[72:73]
	s_delay_alu instid0(VALU_DEP_1)
	v_fma_f64 v[18:19], s[28:29], s[26:27], -v[18:19]
	s_and_saveexec_b32 s49, s7
	s_cbranch_execz .LBB48_278
; %bb.277:                              ;   in Loop: Header=BB48_4 Depth=1
	v_rsq_f64_e32 v[18:19], v[10:11]
	v_cmp_eq_f64_e64 s7, 0, v[10:11]
	s_delay_alu instid0(TRANS32_DEP_1) | instskip(SKIP_1) | instid1(VALU_DEP_1)
	v_mul_f64_e32 v[62:63], v[10:11], v[18:19]
	v_mul_f64_e32 v[18:19], 0.5, v[18:19]
	v_fma_f64 v[64:65], -v[18:19], v[62:63], 0.5
	s_delay_alu instid0(VALU_DEP_1) | instskip(SKIP_1) | instid1(VALU_DEP_2)
	v_fmac_f64_e32 v[62:63], v[62:63], v[64:65]
	v_fmac_f64_e32 v[18:19], v[18:19], v[64:65]
	v_fma_f64 v[64:65], -v[62:63], v[62:63], v[10:11]
	s_delay_alu instid0(VALU_DEP_1) | instskip(NEXT) | instid1(VALU_DEP_1)
	v_fmac_f64_e32 v[62:63], v[64:65], v[18:19]
	v_dual_cndmask_b32 v19, v63, v11, s7 :: v_dual_cndmask_b32 v18, v62, v10, s7
	s_delay_alu instid0(VALU_DEP_1) | instskip(SKIP_1) | instid1(VALU_DEP_2)
	v_add_f64_e32 v[62:63], v[18:19], v[18:19]
	v_mul_f64_e32 v[64:65], v[18:19], v[18:19]
	v_rcp_f64_e32 v[66:67], v[62:63]
	s_delay_alu instid0(VALU_DEP_1) | instskip(SKIP_1) | instid1(VALU_DEP_2)
	v_add_f64_e64 v[68:69], v[10:11], -v[64:65]
	v_fma_f64 v[74:75], v[18:19], v[18:19], -v[64:65]
	v_add_f64_e64 v[10:11], v[10:11], -v[68:69]
	s_delay_alu instid0(TRANS32_DEP_1) | instskip(NEXT) | instid1(VALU_DEP_2)
	v_fma_f64 v[70:71], -v[62:63], v[66:67], 1.0
	v_add_f64_e64 v[10:11], v[10:11], -v[64:65]
	s_delay_alu instid0(VALU_DEP_2) | instskip(NEXT) | instid1(VALU_DEP_2)
	v_fmac_f64_e32 v[66:67], v[70:71], v[66:67]
	v_add_f64_e64 v[10:11], v[10:11], -v[74:75]
	s_delay_alu instid0(VALU_DEP_2) | instskip(NEXT) | instid1(VALU_DEP_2)
	v_fma_f64 v[64:65], -v[62:63], v[66:67], 1.0
	v_add_f64_e32 v[10:11], v[68:69], v[10:11]
	s_delay_alu instid0(VALU_DEP_2) | instskip(NEXT) | instid1(VALU_DEP_1)
	v_fmac_f64_e32 v[66:67], v[64:65], v[66:67]
	v_mul_f64_e32 v[64:65], v[10:11], v[66:67]
	s_delay_alu instid0(VALU_DEP_1) | instskip(NEXT) | instid1(VALU_DEP_1)
	v_fma_f64 v[10:11], -v[62:63], v[64:65], v[10:11]
	v_fmac_f64_e32 v[64:65], v[10:11], v[66:67]
	s_delay_alu instid0(VALU_DEP_1) | instskip(NEXT) | instid1(VALU_DEP_2)
	v_cndmask_b32_e64 v11, v65, 0, s7
	v_cndmask_b32_e64 v10, v64, 0, s7
	v_cmp_lt_f64_e64 s7, 0, v[72:73]
	s_delay_alu instid0(VALU_DEP_2) | instskip(NEXT) | instid1(VALU_DEP_1)
	v_add_f64_e32 v[62:63], v[18:19], v[10:11]
	v_add_f64_e64 v[18:19], v[62:63], -v[18:19]
	s_delay_alu instid0(VALU_DEP_1) | instskip(SKIP_1) | instid1(VALU_DEP_2)
	v_add_f64_e64 v[10:11], v[10:11], -v[18:19]
	v_fma_f64 v[18:19], v[62:63], v[12:13], v[62:63]
	v_fmac_f64_e32 v[10:11], v[62:63], v[12:13]
	s_delay_alu instid0(VALU_DEP_2) | instskip(NEXT) | instid1(VALU_DEP_2)
	v_mul_f64_e32 v[12:13], -2.0, v[18:19]
	v_add_f64_e32 v[10:11], v[62:63], v[10:11]
	s_delay_alu instid0(VALU_DEP_2) | instskip(NEXT) | instid1(VALU_DEP_2)
	v_fmac_f64_e64 v[12:13], s[30:31], s[26:27]
	v_add_f64_e32 v[10:11], v[10:11], v[10:11]
	s_delay_alu instid0(VALU_DEP_1) | instskip(SKIP_1) | instid1(VALU_DEP_1)
	v_dual_cndmask_b32 v10, v10, v12, s7 :: v_dual_cndmask_b32 v11, v11, v13, s7
	v_cmp_neq_f64_e64 s7, 1.0, v[72:73]
	v_cndmask_b32_e64 v19, 0x400921fb, v11, s7
	s_delay_alu instid0(VALU_DEP_3)
	v_cndmask_b32_e64 v18, 0x54442d18, v10, s7
.LBB48_278:                             ;   in Loop: Header=BB48_4 Depth=1
	s_or_b32 exec_lo, exec_lo, s49
.LBB48_279:                             ;   in Loop: Header=BB48_4 Depth=1
	s_delay_alu instid0(SALU_CYCLE_1)
	s_or_b32 exec_lo, exec_lo, s48
                                        ; implicit-def: $vgpr74_vgpr75
                                        ; implicit-def: $vgpr76_vgpr77
.LBB48_280:                             ;   in Loop: Header=BB48_4 Depth=1
	s_and_not1_saveexec_b32 s48, s8
	s_cbranch_execz .LBB48_286
; %bb.281:                              ;   in Loop: Header=BB48_4 Depth=1
	s_delay_alu instid0(VALU_DEP_2) | instskip(NEXT) | instid1(VALU_DEP_3)
	v_max_num_f64_e64 v[12:13], |v[76:77]|, |v[76:77]|
	v_max_num_f64_e32 v[18:19], v[74:75], v[74:75]
	v_cmp_class_f64_e64 s49, v[76:77], 0x204
	s_delay_alu instid0(VALU_DEP_2) | instskip(SKIP_2) | instid1(SALU_CYCLE_1)
	v_max_num_f64_e32 v[10:11], v[18:19], v[12:13]
	v_min_num_f64_e32 v[12:13], v[18:19], v[12:13]
	s_and_saveexec_b32 s7, vcc_lo
	s_xor_b32 s50, exec_lo, s7
	s_cbranch_execz .LBB48_283
; %bb.282:                              ;   in Loop: Header=BB48_4 Depth=1
	s_delay_alu instid0(VALU_DEP_1) | instskip(SKIP_3) | instid1(VALU_DEP_4)
	v_div_scale_f64 v[18:19], null, v[10:11], v[10:11], v[12:13]
	v_div_scale_f64 v[66:67], vcc_lo, v[12:13], v[10:11], v[12:13]
	v_cmp_eq_f64_e64 s7, 0, v[76:77]
	v_cmp_eq_f64_e64 s8, 0x7ff00000, v[74:75]
	v_rcp_f64_e32 v[62:63], v[18:19]
	v_nop
	s_delay_alu instid0(TRANS32_DEP_1) | instskip(NEXT) | instid1(VALU_DEP_1)
	v_fma_f64 v[64:65], -v[18:19], v[62:63], 1.0
	v_fmac_f64_e32 v[62:63], v[62:63], v[64:65]
	s_delay_alu instid0(VALU_DEP_1) | instskip(NEXT) | instid1(VALU_DEP_1)
	v_fma_f64 v[64:65], -v[18:19], v[62:63], 1.0
	v_fmac_f64_e32 v[62:63], v[62:63], v[64:65]
	s_delay_alu instid0(VALU_DEP_1) | instskip(NEXT) | instid1(VALU_DEP_1)
	v_mul_f64_e32 v[64:65], v[66:67], v[62:63]
	v_fma_f64 v[18:19], -v[18:19], v[64:65], v[66:67]
	s_delay_alu instid0(VALU_DEP_1) | instskip(SKIP_1) | instid1(VALU_DEP_2)
	v_div_fmas_f64 v[18:19], v[18:19], v[62:63], v[64:65]
	v_cmp_lt_f64_e64 vcc_lo, v[74:75], |v[76:77]|
	v_div_fixup_f64 v[10:11], v[18:19], v[10:11], v[12:13]
	s_delay_alu instid0(VALU_DEP_1) | instskip(NEXT) | instid1(VALU_DEP_1)
	v_mul_f64_e32 v[12:13], v[10:11], v[10:11]
	v_fmamk_f64 v[18:19], v[12:13], 0x3eeba404b5e68a13, v[50:51]
	s_delay_alu instid0(VALU_DEP_1) | instskip(NEXT) | instid1(VALU_DEP_1)
	v_fmaak_f64 v[18:19], v[12:13], v[18:19], 0x3f4b2bb069efb384
	v_fmaak_f64 v[18:19], v[12:13], v[18:19], 0xbf67952daf56de9b
	s_delay_alu instid0(VALU_DEP_1) | instskip(NEXT) | instid1(VALU_DEP_1)
	v_fmaak_f64 v[18:19], v[12:13], v[18:19], 0x3f7d6d43a595c56f
	v_fmaak_f64 v[18:19], v[12:13], v[18:19], 0xbf8c6ea4a57d9582
	;; [unrolled: 3-line block ×9, first 2 shown]
	s_delay_alu instid0(VALU_DEP_1) | instskip(NEXT) | instid1(VALU_DEP_1)
	v_mul_f64_e32 v[12:13], v[12:13], v[18:19]
	v_fmac_f64_e32 v[10:11], v[10:11], v[12:13]
	s_delay_alu instid0(VALU_DEP_1) | instskip(NEXT) | instid1(VALU_DEP_1)
	v_add_f64_e64 v[12:13], -v[10:11], s[34:35]
	v_dual_cndmask_b32 v11, v11, v13 :: v_dual_cndmask_b32 v10, v10, v12
	v_cmp_gt_i32_e32 vcc_lo, 0, v75
	s_delay_alu instid0(VALU_DEP_2) | instskip(SKIP_2) | instid1(VALU_DEP_3)
	v_add_f64_e64 v[12:13], -v[10:11], s[36:37]
	v_ashrrev_i32_e32 v18, 31, v75
	v_cndmask_b32_e32 v19, 0x54442d18, v79, vcc_lo
                                        ; implicit-def: $vgpr74_vgpr75
	v_cndmask_b32_e32 v10, v10, v12, vcc_lo
	s_delay_alu instid0(VALU_DEP_3) | instskip(SKIP_4) | instid1(VALU_DEP_2)
	v_and_b32_e32 v62, 0x54442d18, v18
	v_and_b32_e32 v12, 0x400921fb, v18
	v_cndmask_b32_e32 v11, v11, v13, vcc_lo
	v_cndmask_b32_e32 v13, 0x3fe921fb, v80, vcc_lo
	s_and_b32 vcc_lo, s8, s49
	v_dual_cndmask_b32 v10, v10, v62, s7 :: v_dual_cndmask_b32 v11, v11, v12, s7
	s_delay_alu instid0(VALU_DEP_1) | instskip(SKIP_1) | instid1(VALU_DEP_2)
	v_dual_cndmask_b32 v10, v10, v19 :: v_dual_cndmask_b32 v11, v11, v13
	v_cmp_o_f64_e32 vcc_lo, v[76:77], v[76:77]
                                        ; implicit-def: $vgpr12_vgpr13
	v_cndmask_b32_e32 v18, 0, v10, vcc_lo
	s_delay_alu instid0(VALU_DEP_3) | instskip(NEXT) | instid1(VALU_DEP_1)
	v_cndmask_b32_e32 v10, 0x7ff80000, v11, vcc_lo
	v_bfi_b32 v19, 0x7fffffff, v10, v77
                                        ; implicit-def: $vgpr10_vgpr11
                                        ; implicit-def: $vgpr76_vgpr77
.LBB48_283:                             ;   in Loop: Header=BB48_4 Depth=1
	s_and_not1_saveexec_b32 s50, s50
	s_cbranch_execz .LBB48_285
; %bb.284:                              ;   in Loop: Header=BB48_4 Depth=1
	s_delay_alu instid0(VALU_DEP_1) | instskip(SKIP_3) | instid1(VALU_DEP_4)
	v_div_scale_f64 v[18:19], null, v[10:11], v[10:11], v[12:13]
	v_div_scale_f64 v[66:67], vcc_lo, v[12:13], v[10:11], v[12:13]
	v_cmp_eq_f64_e64 s7, 0, v[76:77]
	v_cmp_eq_f64_e64 s8, 0x7ff00000, v[74:75]
	v_rcp_f64_e32 v[62:63], v[18:19]
	v_nop
	s_delay_alu instid0(TRANS32_DEP_1) | instskip(NEXT) | instid1(VALU_DEP_1)
	v_fma_f64 v[64:65], -v[18:19], v[62:63], 1.0
	v_fmac_f64_e32 v[62:63], v[62:63], v[64:65]
	s_delay_alu instid0(VALU_DEP_1) | instskip(NEXT) | instid1(VALU_DEP_1)
	v_fma_f64 v[64:65], -v[18:19], v[62:63], 1.0
	v_fmac_f64_e32 v[62:63], v[62:63], v[64:65]
	s_delay_alu instid0(VALU_DEP_1) | instskip(NEXT) | instid1(VALU_DEP_1)
	v_mul_f64_e32 v[64:65], v[66:67], v[62:63]
	v_fma_f64 v[18:19], -v[18:19], v[64:65], v[66:67]
	s_delay_alu instid0(VALU_DEP_1) | instskip(SKIP_1) | instid1(VALU_DEP_2)
	v_div_fmas_f64 v[18:19], v[18:19], v[62:63], v[64:65]
	v_cmp_lt_f64_e64 vcc_lo, v[74:75], |v[76:77]|
	v_div_fixup_f64 v[10:11], v[18:19], v[10:11], v[12:13]
	s_delay_alu instid0(VALU_DEP_1) | instskip(NEXT) | instid1(VALU_DEP_1)
	v_mul_f64_e32 v[12:13], v[10:11], v[10:11]
	v_fmamk_f64 v[18:19], v[12:13], 0x3eeba404b5e68a13, v[50:51]
	s_delay_alu instid0(VALU_DEP_1) | instskip(NEXT) | instid1(VALU_DEP_1)
	v_fmaak_f64 v[18:19], v[12:13], v[18:19], 0x3f4b2bb069efb384
	v_fmaak_f64 v[18:19], v[12:13], v[18:19], 0xbf67952daf56de9b
	s_delay_alu instid0(VALU_DEP_1) | instskip(NEXT) | instid1(VALU_DEP_1)
	v_fmaak_f64 v[18:19], v[12:13], v[18:19], 0x3f7d6d43a595c56f
	v_fmaak_f64 v[18:19], v[12:13], v[18:19], 0xbf8c6ea4a57d9582
	;; [unrolled: 3-line block ×9, first 2 shown]
	s_delay_alu instid0(VALU_DEP_1) | instskip(SKIP_1) | instid1(VALU_DEP_2)
	v_mul_f64_e32 v[12:13], v[12:13], v[18:19]
	v_xor_b32_e32 v18, 0x80000000, v75
	v_fmac_f64_e32 v[10:11], v[10:11], v[12:13]
	s_delay_alu instid0(VALU_DEP_1) | instskip(NEXT) | instid1(VALU_DEP_1)
	v_add_f64_e64 v[12:13], -v[10:11], s[34:35]
	v_dual_cndmask_b32 v11, v11, v13 :: v_dual_cndmask_b32 v10, v10, v12
	s_delay_alu instid0(VALU_DEP_4) | instskip(SKIP_1) | instid1(VALU_DEP_3)
	v_cmp_gt_i32_e32 vcc_lo, 0, v18
	v_ashrrev_i32_e32 v19, 31, v18
	v_add_f64_e64 v[12:13], -v[10:11], s[36:37]
	v_cndmask_b32_e32 v18, 0x54442d18, v79, vcc_lo
	s_delay_alu instid0(VALU_DEP_3) | instskip(NEXT) | instid1(VALU_DEP_3)
	v_and_b32_e32 v62, 0x54442d18, v19
	v_dual_cndmask_b32 v10, v10, v12 :: v_dual_cndmask_b32 v11, v11, v13
	v_and_b32_e32 v12, 0x400921fb, v19
	v_cndmask_b32_e32 v13, 0x3fe921fb, v80, vcc_lo
	s_and_b32 vcc_lo, s8, s49
	s_delay_alu instid0(VALU_DEP_2) | instskip(NEXT) | instid1(VALU_DEP_1)
	v_dual_cndmask_b32 v10, v10, v62, s7 :: v_dual_cndmask_b32 v11, v11, v12, s7
	v_dual_cndmask_b32 v10, v10, v18 :: v_dual_cndmask_b32 v11, v11, v13
	v_cmp_o_f64_e32 vcc_lo, v[76:77], v[76:77]
	s_delay_alu instid0(VALU_DEP_2) | instskip(NEXT) | instid1(VALU_DEP_3)
	v_cndmask_b32_e32 v18, 0, v10, vcc_lo
	v_cndmask_b32_e32 v10, 0x7ff80000, v11, vcc_lo
	s_delay_alu instid0(VALU_DEP_1)
	v_bfi_b32 v19, 0x7fffffff, v10, v77
.LBB48_285:                             ;   in Loop: Header=BB48_4 Depth=1
	s_or_b32 exec_lo, exec_lo, s50
.LBB48_286:                             ;   in Loop: Header=BB48_4 Depth=1
	s_delay_alu instid0(SALU_CYCLE_1) | instskip(SKIP_1) | instid1(VALU_DEP_1)
	s_or_b32 exec_lo, exec_lo, s48
	v_xor_b32_e32 v10, 0x80000000, v21
	v_cndmask_b32_e64 v21, v10, v21, s6
                                        ; implicit-def: $vgpr10_vgpr11
.LBB48_287:                             ;   in Loop: Header=BB48_4 Depth=1
	s_and_not1_saveexec_b32 s7, s47
	s_cbranch_execz .LBB48_289
; %bb.288:                              ;   in Loop: Header=BB48_4 Depth=1
	flat_load_b64 v[12:13], v[26:27] scope:SCOPE_SYS
	s_wait_loadcnt_dscnt 0x0
	v_add_f64_e64 v[10:11], v[12:13], -v[10:11]
	s_delay_alu instid0(VALU_DEP_1)
	v_add_f64_e32 v[18:19], 0x3ff921fb54442d18, v[10:11]
.LBB48_289:                             ;   in Loop: Header=BB48_4 Depth=1
	s_or_b32 exec_lo, exec_lo, s7
.LBB48_290:                             ;   in Loop: Header=BB48_4 Depth=1
	s_and_not1_saveexec_b32 s7, s46
	s_cbranch_execz .LBB48_292
; %bb.291:                              ;   in Loop: Header=BB48_4 Depth=1
	s_wait_dscnt 0x0
	v_mov_b64_e32 v[18:19], 0
.LBB48_292:                             ;   in Loop: Header=BB48_4 Depth=1
	s_or_b32 exec_lo, exec_lo, s7
                                        ; implicit-def: $vgpr10_vgpr11
                                        ; implicit-def: $vgpr64_vgpr65
                                        ; implicit-def: $vgpr66_vgpr67
                                        ; implicit-def: $vgpr62_vgpr63
.LBB48_293:                             ;   in Loop: Header=BB48_4 Depth=1
	s_and_not1_saveexec_b32 s33, s33
	s_cbranch_execz .LBB48_303
; %bb.294:                              ;   in Loop: Header=BB48_4 Depth=1
	s_delay_alu instid0(VALU_DEP_3) | instskip(SKIP_3) | instid1(VALU_DEP_1)
	v_cmp_lt_f64_e64 s7, |v[10:11]|, |v[12:13]|
	v_and_b32_e32 v70, 0x7fffffff, v11
	v_and_b32_e32 v71, 0x7fffffff, v13
                                        ; implicit-def: $sgpr46
                                        ; implicit-def: $vgpr20_vgpr21
                                        ; implicit-def: $vgpr18_vgpr19
	s_mov_b32 s8, exec_lo
	v_cndmask_b32_e64 v69, v70, v71, s7
	v_cndmask_b32_e64 v68, v10, v12, s7
	s_delay_alu instid0(VALU_DEP_1)
	v_cmpx_nlt_f64_e32 s[38:39], v[68:69]
	s_xor_b32 s47, exec_lo, s8
	s_cbranch_execz .LBB48_300
; %bb.295:                              ;   in Loop: Header=BB48_4 Depth=1
	v_cndmask_b32_e64 v71, v71, v70, s7
	v_cndmask_b32_e64 v70, v12, v10, s7
	v_cmp_nlt_f64_e32 vcc_lo, 0x20200000, v[68:69]
                                        ; implicit-def: $sgpr46
                                        ; implicit-def: $vgpr20_vgpr21
                                        ; implicit-def: $vgpr18_vgpr19
	s_delay_alu instid0(VALU_DEP_2) | instskip(SKIP_1) | instid1(SALU_CYCLE_1)
	v_cmp_ngt_f64_e64 s8, 0x20000000, v[70:71]
	s_and_b32 s8, vcc_lo, s8
	s_and_saveexec_b32 s48, s8
	s_delay_alu instid0(SALU_CYCLE_1)
	s_xor_b32 s8, exec_lo, s48
	s_cbranch_execz .LBB48_297
; %bb.296:                              ;   in Loop: Header=BB48_4 Depth=1
	v_mul_f64_e32 v[20:21], v[70:71], v[70:71]
	v_min_num_f64_e32 v[64:65], v[64:65], v[66:67]
	v_cmp_class_f64_e64 s46, v[12:13], 0x204
	v_cmp_class_f64_e64 s48, v[10:11], 0x204
	s_delay_alu instid0(VALU_DEP_4) | instskip(SKIP_2) | instid1(VALU_DEP_1)
	v_fmac_f64_e32 v[20:21], v[68:69], v[68:69]
	s_and_b32 s46, s46, s48
	s_wait_dscnt 0x0
	v_frexp_mant_f64_e32 v[18:19], v[20:21]
	s_delay_alu instid0(VALU_DEP_1) | instskip(SKIP_1) | instid1(VALU_DEP_1)
	v_cmp_gt_f64_e32 vcc_lo, s[20:21], v[18:19]
	v_cndmask_b32_e64 v68, 0, 1, vcc_lo
	v_ldexp_f64 v[18:19], v[18:19], v68
	s_delay_alu instid0(VALU_DEP_1) | instskip(SKIP_1) | instid1(VALU_DEP_2)
	v_add_f64_e32 v[68:69], 1.0, v[18:19]
	v_add_f64_e32 v[74:75], -1.0, v[18:19]
	v_rcp_f64_e32 v[70:71], v[68:69]
	v_add_f64_e32 v[76:77], -1.0, v[68:69]
	s_delay_alu instid0(VALU_DEP_1) | instskip(NEXT) | instid1(TRANS32_DEP_1)
	v_add_f64_e64 v[18:19], v[18:19], -v[76:77]
	v_fma_f64 v[72:73], -v[68:69], v[70:71], 1.0
	s_delay_alu instid0(VALU_DEP_1) | instskip(NEXT) | instid1(VALU_DEP_1)
	v_fmac_f64_e32 v[70:71], v[72:73], v[70:71]
	v_fma_f64 v[72:73], -v[68:69], v[70:71], 1.0
	s_delay_alu instid0(VALU_DEP_1) | instskip(NEXT) | instid1(VALU_DEP_1)
	v_fmac_f64_e32 v[70:71], v[72:73], v[70:71]
	v_mul_f64_e32 v[72:73], v[74:75], v[70:71]
	s_delay_alu instid0(VALU_DEP_1) | instskip(NEXT) | instid1(VALU_DEP_1)
	v_mul_f64_e32 v[82:83], v[68:69], v[72:73]
	v_fma_f64 v[68:69], v[72:73], v[68:69], -v[82:83]
	s_delay_alu instid0(VALU_DEP_1) | instskip(NEXT) | instid1(VALU_DEP_1)
	v_fmac_f64_e32 v[68:69], v[72:73], v[18:19]
	v_add_f64_e32 v[18:19], v[82:83], v[68:69]
	s_delay_alu instid0(VALU_DEP_1) | instskip(SKIP_1) | instid1(VALU_DEP_2)
	v_add_f64_e64 v[76:77], v[74:75], -v[18:19]
	v_add_f64_e64 v[82:83], v[18:19], -v[82:83]
	;; [unrolled: 1-line block ×3, first 2 shown]
	s_delay_alu instid0(VALU_DEP_2) | instskip(NEXT) | instid1(VALU_DEP_2)
	v_add_f64_e64 v[68:69], v[82:83], -v[68:69]
	v_add_f64_e64 v[18:19], v[74:75], -v[18:19]
	s_delay_alu instid0(VALU_DEP_1) | instskip(NEXT) | instid1(VALU_DEP_1)
	v_add_f64_e32 v[18:19], v[68:69], v[18:19]
	v_add_f64_e32 v[18:19], v[76:77], v[18:19]
	s_delay_alu instid0(VALU_DEP_1) | instskip(NEXT) | instid1(VALU_DEP_1)
	v_mul_f64_e32 v[18:19], v[70:71], v[18:19]
	v_add_f64_e32 v[68:69], v[72:73], v[18:19]
	s_delay_alu instid0(VALU_DEP_1) | instskip(SKIP_1) | instid1(VALU_DEP_2)
	v_mul_f64_e32 v[70:71], v[68:69], v[68:69]
	v_ldexp_f64 v[66:67], v[68:69], 1
	v_fmamk_f64 v[74:75], v[70:71], 0x3fc3ab76bf559e2b, v[46:47]
	v_mul_f64_e32 v[76:77], v[68:69], v[70:71]
	v_add_f64_e64 v[68:69], v[68:69], -v[72:73]
	s_delay_alu instid0(VALU_DEP_3) | instskip(NEXT) | instid1(VALU_DEP_1)
	v_fmaak_f64 v[74:75], v[70:71], v[74:75], 0x3fc7474dd7f4df2e
	v_fmaak_f64 v[74:75], v[70:71], v[74:75], 0x3fcc71c016291751
	s_delay_alu instid0(VALU_DEP_1) | instskip(NEXT) | instid1(VALU_DEP_1)
	v_fmaak_f64 v[74:75], v[70:71], v[74:75], 0x3fd249249b27acf1
	v_fmaak_f64 v[74:75], v[70:71], v[74:75], 0x3fd99999998ef7b6
	v_add_f64_e64 v[18:19], v[18:19], -v[68:69]
	s_delay_alu instid0(VALU_DEP_2) | instskip(SKIP_1) | instid1(VALU_DEP_2)
	v_fmaak_f64 v[70:71], v[70:71], v[74:75], 0x3fe5555555555780
	v_frexp_exp_i32_f64_e32 v74, v[20:21]
	v_mul_f64_e32 v[70:71], v[76:77], v[70:71]
	s_delay_alu instid0(VALU_DEP_4) | instskip(NEXT) | instid1(VALU_DEP_3)
	v_ldexp_f64 v[18:19], v[18:19], 1
	v_subrev_co_ci_u32_e64 v76, null, 0, v74, vcc_lo
	v_div_scale_f64 v[74:75], null, v[62:63], v[62:63], v[64:65]
	v_div_scale_f64 v[88:89], vcc_lo, v[64:65], v[62:63], v[64:65]
	s_delay_alu instid0(VALU_DEP_3) | instskip(SKIP_1) | instid1(VALU_DEP_4)
	v_cvt_f64_i32_e32 v[76:77], v76
	v_add_f64_e32 v[72:73], v[66:67], v[70:71]
	v_rcp_f64_e32 v[82:83], v[74:75]
	s_delay_alu instid0(VALU_DEP_2) | instskip(NEXT) | instid1(VALU_DEP_2)
	v_mul_f64_e32 v[84:85], 0x3fe62e42fefa39ef, v[76:77]
	v_add_f64_e64 v[66:67], v[72:73], -v[66:67]
	s_delay_alu instid0(VALU_DEP_2) | instskip(NEXT) | instid1(VALU_DEP_2)
	v_fma_f64 v[68:69], v[76:77], s[22:23], -v[84:85]
	v_add_f64_e64 v[66:67], v[70:71], -v[66:67]
	s_delay_alu instid0(TRANS32_DEP_1) | instskip(NEXT) | instid1(VALU_DEP_3)
	v_fma_f64 v[70:71], -v[74:75], v[82:83], 1.0
	v_fmac_f64_e32 v[68:69], 0x3c7abc9e3b39803f, v[76:77]
	s_delay_alu instid0(VALU_DEP_3) | instskip(NEXT) | instid1(VALU_DEP_3)
	v_add_f64_e32 v[18:19], v[18:19], v[66:67]
	v_fmac_f64_e32 v[82:83], v[82:83], v[70:71]
	s_delay_alu instid0(VALU_DEP_3) | instskip(NEXT) | instid1(VALU_DEP_3)
	v_add_f64_e32 v[66:67], v[84:85], v[68:69]
	v_add_f64_e32 v[70:71], v[72:73], v[18:19]
	s_delay_alu instid0(VALU_DEP_3) | instskip(NEXT) | instid1(VALU_DEP_3)
	v_fma_f64 v[76:77], -v[74:75], v[82:83], 1.0
	v_add_f64_e64 v[84:85], v[66:67], -v[84:85]
	s_delay_alu instid0(VALU_DEP_3) | instskip(NEXT) | instid1(VALU_DEP_3)
	v_add_f64_e32 v[86:87], v[66:67], v[70:71]
	v_fmac_f64_e32 v[82:83], v[82:83], v[76:77]
	v_add_f64_e64 v[72:73], v[70:71], -v[72:73]
	s_delay_alu instid0(VALU_DEP_4) | instskip(NEXT) | instid1(VALU_DEP_4)
	v_add_f64_e64 v[68:69], v[68:69], -v[84:85]
	v_add_f64_e64 v[76:77], v[86:87], -v[66:67]
	s_delay_alu instid0(VALU_DEP_4) | instskip(NEXT) | instid1(VALU_DEP_4)
	v_mul_f64_e32 v[90:91], v[88:89], v[82:83]
	v_add_f64_e64 v[72:73], v[18:19], -v[72:73]
	s_delay_alu instid0(VALU_DEP_3) | instskip(NEXT) | instid1(VALU_DEP_3)
	v_add_f64_e64 v[92:93], v[86:87], -v[76:77]
	v_fma_f64 v[74:75], -v[74:75], v[90:91], v[88:89]
	v_add_f64_e64 v[18:19], v[70:71], -v[76:77]
	s_delay_alu instid0(VALU_DEP_3) | instskip(NEXT) | instid1(VALU_DEP_3)
	v_add_f64_e64 v[66:67], v[66:67], -v[92:93]
	v_div_fmas_f64 v[70:71], v[74:75], v[82:83], v[90:91]
	v_add_f64_e32 v[74:75], v[68:69], v[72:73]
	v_cmp_class_f64_e64 vcc_lo, v[20:21], 0x204
	s_delay_alu instid0(VALU_DEP_4) | instskip(NEXT) | instid1(VALU_DEP_4)
	v_add_f64_e32 v[66:67], v[18:19], v[66:67]
	v_div_fixup_f64 v[18:19], v[70:71], v[62:63], v[64:65]
	s_delay_alu instid0(VALU_DEP_4) | instskip(NEXT) | instid1(VALU_DEP_3)
	v_add_f64_e64 v[62:63], v[74:75], -v[68:69]
	v_add_f64_e32 v[64:65], v[74:75], v[66:67]
	s_delay_alu instid0(VALU_DEP_3) | instskip(NEXT) | instid1(VALU_DEP_3)
	v_mul_f64_e32 v[66:67], v[18:19], v[18:19]
	v_add_f64_e64 v[70:71], v[74:75], -v[62:63]
	v_add_f64_e64 v[62:63], v[72:73], -v[62:63]
	s_delay_alu instid0(VALU_DEP_4) | instskip(NEXT) | instid1(VALU_DEP_4)
	v_add_f64_e32 v[74:75], v[86:87], v[64:65]
	v_fmamk_f64 v[76:77], v[66:67], 0x3eeba404b5e68a13, v[50:51]
	s_delay_alu instid0(VALU_DEP_4) | instskip(NEXT) | instid1(VALU_DEP_2)
	v_add_f64_e64 v[68:69], v[68:69], -v[70:71]
	v_fmaak_f64 v[76:77], v[66:67], v[76:77], 0x3f4b2bb069efb384
	s_delay_alu instid0(VALU_DEP_1) | instskip(NEXT) | instid1(VALU_DEP_1)
	v_fmaak_f64 v[76:77], v[66:67], v[76:77], 0xbf67952daf56de9b
	v_fmaak_f64 v[76:77], v[66:67], v[76:77], 0x3f7d6d43a595c56f
	s_delay_alu instid0(VALU_DEP_1) | instskip(SKIP_2) | instid1(VALU_DEP_3)
	v_fmaak_f64 v[72:73], v[66:67], v[76:77], 0xbf8c6ea4a57d9582
	v_add_f64_e64 v[70:71], v[74:75], -v[86:87]
	v_add_f64_e32 v[62:63], v[62:63], v[68:69]
	v_fmaak_f64 v[72:73], v[66:67], v[72:73], 0x3f967e295f08b19f
	s_delay_alu instid0(VALU_DEP_1) | instskip(NEXT) | instid1(VALU_DEP_1)
	v_fmaak_f64 v[72:73], v[66:67], v[72:73], 0xbf9e9ae6fc27006a
	v_fmaak_f64 v[72:73], v[66:67], v[72:73], 0x3fa2c15b5711927a
	s_delay_alu instid0(VALU_DEP_1) | instskip(NEXT) | instid1(VALU_DEP_1)
	v_fmaak_f64 v[72:73], v[66:67], v[72:73], 0xbfa59976e82d3ff0
	v_fmaak_f64 v[68:69], v[66:67], v[72:73], 0x3fa82d5d6ef28734
	v_add_f64_e64 v[64:65], v[64:65], -v[70:71]
	s_delay_alu instid0(VALU_DEP_2) | instskip(NEXT) | instid1(VALU_DEP_1)
	v_fmaak_f64 v[68:69], v[66:67], v[68:69], 0xbfaae5ce6a214619
	v_fmaak_f64 v[68:69], v[66:67], v[68:69], 0x3fae1bb48427b883
	s_delay_alu instid0(VALU_DEP_1) | instskip(NEXT) | instid1(VALU_DEP_4)
	v_fmaak_f64 v[68:69], v[66:67], v[68:69], 0xbfb110e48b207f05
	v_add_f64_e32 v[62:63], v[62:63], v[64:65]
	s_delay_alu instid0(VALU_DEP_2) | instskip(NEXT) | instid1(VALU_DEP_1)
	v_fmaak_f64 v[64:65], v[66:67], v[68:69], 0x3fb3b13657b87036
	v_fmaak_f64 v[64:65], v[66:67], v[64:65], 0xbfb745d119378e4f
	s_delay_alu instid0(VALU_DEP_1) | instskip(NEXT) | instid1(VALU_DEP_1)
	v_fmaak_f64 v[64:65], v[66:67], v[64:65], 0x3fbc71c717e1913c
	v_fmaak_f64 v[64:65], v[66:67], v[64:65], 0xbfc2492492376b7d
	s_delay_alu instid0(VALU_DEP_1) | instskip(SKIP_1) | instid1(VALU_DEP_2)
	v_fmaak_f64 v[64:65], v[66:67], v[64:65], 0x3fc99999999952cc
	v_add_f64_e32 v[62:63], v[74:75], v[62:63]
	v_fmaak_f64 v[64:65], v[66:67], v[64:65], 0xbfd5555555555523
	s_delay_alu instid0(VALU_DEP_1) | instskip(NEXT) | instid1(VALU_DEP_3)
	v_mul_f64_e32 v[64:65], v[66:67], v[64:65]
                                        ; implicit-def: $vgpr66_vgpr67
	v_dual_cndmask_b32 v63, v63, v21 :: v_dual_cndmask_b32 v62, v62, v20
	v_cmp_neq_f64_e32 vcc_lo, 0, v[20:21]
	s_delay_alu instid0(VALU_DEP_2) | instskip(NEXT) | instid1(VALU_DEP_4)
	v_mul_f64_e32 v[62:63], 0.5, v[62:63]
	v_fmac_f64_e32 v[18:19], v[18:19], v[64:65]
                                        ; implicit-def: $vgpr64_vgpr65
	s_delay_alu instid0(VALU_DEP_2) | instskip(NEXT) | instid1(VALU_DEP_3)
	v_cndmask_b32_e32 v21, 0xfff00000, v63, vcc_lo
	v_cndmask_b32_e32 v20, 0, v62, vcc_lo
                                        ; implicit-def: $vgpr62_vgpr63
.LBB48_297:                             ;   in Loop: Header=BB48_4 Depth=1
	s_and_not1_saveexec_b32 s8, s8
	s_cbranch_execz .LBB48_299
; %bb.298:                              ;   in Loop: Header=BB48_4 Depth=1
	v_frexp_exp_i32_f64_e32 v72, v[62:63]
	v_cmp_class_f64_e64 s48, v[10:11], 0x204
	v_cmp_class_f64_e64 s49, v[12:13], 0x204
	v_min_num_f64_e32 v[64:65], v[64:65], v[66:67]
	s_and_not1_b32 s46, s46, exec_lo
	v_sub_nc_u32_e32 v20, 0, v72
	s_or_b32 s50, s49, s48
	s_and_b32 s48, s49, s48
	s_delay_alu instid0(SALU_CYCLE_1) | instskip(SKIP_3) | instid1(VALU_DEP_1)
	s_and_b32 s48, s48, exec_lo
	s_wait_dscnt 0x0
	v_ldexp_f64 v[18:19], |v[12:13]|, v20
	s_or_b32 s46, s46, s48
	v_mul_f64_e32 v[18:19], v[18:19], v[18:19]
	v_ldexp_f64 v[20:21], |v[10:11]|, v20
	s_delay_alu instid0(VALU_DEP_1) | instskip(NEXT) | instid1(VALU_DEP_1)
	v_fmac_f64_e32 v[18:19], v[20:21], v[20:21]
	v_rsq_f64_e32 v[20:21], v[18:19]
	v_cmp_eq_f64_e32 vcc_lo, 0, v[18:19]
	s_delay_alu instid0(TRANS32_DEP_1) | instskip(SKIP_1) | instid1(VALU_DEP_1)
	v_mul_f64_e32 v[68:69], v[18:19], v[20:21]
	v_mul_f64_e32 v[20:21], 0.5, v[20:21]
	v_fma_f64 v[70:71], -v[20:21], v[68:69], 0.5
	s_delay_alu instid0(VALU_DEP_1) | instskip(SKIP_1) | instid1(VALU_DEP_2)
	v_fmac_f64_e32 v[68:69], v[68:69], v[70:71]
	v_fmac_f64_e32 v[20:21], v[20:21], v[70:71]
	v_fma_f64 v[70:71], -v[68:69], v[68:69], v[18:19]
	s_delay_alu instid0(VALU_DEP_1) | instskip(NEXT) | instid1(VALU_DEP_1)
	v_fmac_f64_e32 v[68:69], v[70:71], v[20:21]
	v_dual_cndmask_b32 v19, v69, v19 :: v_dual_cndmask_b32 v18, v68, v18
	s_delay_alu instid0(VALU_DEP_1) | instskip(NEXT) | instid1(VALU_DEP_1)
	v_ldexp_f64 v[18:19], v[18:19], v72
	v_cndmask_b32_e64 v69, v19, 0x7ff00000, s50
	s_delay_alu instid0(VALU_DEP_2) | instskip(NEXT) | instid1(VALU_DEP_1)
	v_cndmask_b32_e64 v68, v18, 0, s50
	v_frexp_mant_f64_e32 v[18:19], v[68:69]
	v_frexp_exp_i32_f64_e32 v81, v[68:69]
	s_delay_alu instid0(VALU_DEP_2) | instskip(SKIP_1) | instid1(VALU_DEP_1)
	v_cmp_gt_f64_e32 vcc_lo, s[20:21], v[18:19]
	v_cndmask_b32_e64 v20, 0, 1, vcc_lo
	v_ldexp_f64 v[18:19], v[18:19], v20
	s_delay_alu instid0(VALU_DEP_1) | instskip(SKIP_1) | instid1(VALU_DEP_2)
	v_add_f64_e32 v[20:21], 1.0, v[18:19]
	v_add_f64_e32 v[74:75], -1.0, v[18:19]
	v_rcp_f64_e32 v[70:71], v[20:21]
	v_add_f64_e32 v[76:77], -1.0, v[20:21]
	s_delay_alu instid0(VALU_DEP_1) | instskip(NEXT) | instid1(TRANS32_DEP_1)
	v_add_f64_e64 v[18:19], v[18:19], -v[76:77]
	v_fma_f64 v[72:73], -v[20:21], v[70:71], 1.0
	s_delay_alu instid0(VALU_DEP_1) | instskip(NEXT) | instid1(VALU_DEP_1)
	v_fmac_f64_e32 v[70:71], v[72:73], v[70:71]
	v_fma_f64 v[72:73], -v[20:21], v[70:71], 1.0
	s_delay_alu instid0(VALU_DEP_1) | instskip(NEXT) | instid1(VALU_DEP_1)
	v_fmac_f64_e32 v[70:71], v[72:73], v[70:71]
	v_mul_f64_e32 v[72:73], v[74:75], v[70:71]
	s_delay_alu instid0(VALU_DEP_1) | instskip(NEXT) | instid1(VALU_DEP_1)
	v_mul_f64_e32 v[82:83], v[20:21], v[72:73]
	v_fma_f64 v[20:21], v[72:73], v[20:21], -v[82:83]
	s_delay_alu instid0(VALU_DEP_1) | instskip(NEXT) | instid1(VALU_DEP_1)
	v_fmac_f64_e32 v[20:21], v[72:73], v[18:19]
	v_add_f64_e32 v[18:19], v[82:83], v[20:21]
	s_delay_alu instid0(VALU_DEP_1) | instskip(SKIP_1) | instid1(VALU_DEP_2)
	v_add_f64_e64 v[76:77], v[74:75], -v[18:19]
	v_add_f64_e64 v[82:83], v[18:19], -v[82:83]
	;; [unrolled: 1-line block ×3, first 2 shown]
	s_delay_alu instid0(VALU_DEP_2) | instskip(NEXT) | instid1(VALU_DEP_2)
	v_add_f64_e64 v[20:21], v[82:83], -v[20:21]
	v_add_f64_e64 v[18:19], v[74:75], -v[18:19]
	s_delay_alu instid0(VALU_DEP_1) | instskip(NEXT) | instid1(VALU_DEP_1)
	v_add_f64_e32 v[18:19], v[20:21], v[18:19]
	v_add_f64_e32 v[18:19], v[76:77], v[18:19]
	s_delay_alu instid0(VALU_DEP_1) | instskip(NEXT) | instid1(VALU_DEP_1)
	v_mul_f64_e32 v[18:19], v[70:71], v[18:19]
	v_add_f64_e32 v[20:21], v[72:73], v[18:19]
	s_delay_alu instid0(VALU_DEP_1) | instskip(NEXT) | instid1(VALU_DEP_1)
	v_mul_f64_e32 v[70:71], v[20:21], v[20:21]
	v_fmamk_f64 v[74:75], v[70:71], 0x3fc3ab76bf559e2b, v[46:47]
	v_mul_f64_e32 v[76:77], v[20:21], v[70:71]
	s_delay_alu instid0(VALU_DEP_2) | instskip(NEXT) | instid1(VALU_DEP_1)
	v_fmaak_f64 v[74:75], v[70:71], v[74:75], 0x3fc7474dd7f4df2e
	v_fmaak_f64 v[66:67], v[70:71], v[74:75], 0x3fcc71c016291751
	v_div_scale_f64 v[74:75], null, v[62:63], v[62:63], v[64:65]
	s_delay_alu instid0(VALU_DEP_2) | instskip(NEXT) | instid1(VALU_DEP_1)
	v_fmaak_f64 v[66:67], v[70:71], v[66:67], 0x3fd249249b27acf1
	v_fmaak_f64 v[66:67], v[70:71], v[66:67], 0x3fd99999998ef7b6
	s_delay_alu instid0(VALU_DEP_1) | instskip(SKIP_2) | instid1(VALU_DEP_3)
	v_fmaak_f64 v[66:67], v[70:71], v[66:67], 0x3fe5555555555780
	v_ldexp_f64 v[70:71], v[20:21], 1
	v_add_f64_e64 v[20:21], v[20:21], -v[72:73]
	v_mul_f64_e32 v[66:67], v[76:77], v[66:67]
	v_subrev_co_ci_u32_e64 v76, null, 0, v81, vcc_lo
	v_rcp_f64_e32 v[82:83], v[74:75]
	s_delay_alu instid0(VALU_DEP_1) | instskip(NEXT) | instid1(VALU_DEP_4)
	v_cvt_f64_i32_e32 v[76:77], v76
	v_add_f64_e64 v[18:19], v[18:19], -v[20:21]
	s_delay_alu instid0(VALU_DEP_4) | instskip(NEXT) | instid1(VALU_DEP_3)
	v_add_f64_e32 v[72:73], v[70:71], v[66:67]
	v_mul_f64_e32 v[84:85], 0x3fe62e42fefa39ef, v[76:77]
	s_delay_alu instid0(VALU_DEP_3) | instskip(NEXT) | instid1(VALU_DEP_3)
	v_ldexp_f64 v[18:19], v[18:19], 1
	v_add_f64_e64 v[20:21], v[72:73], -v[70:71]
	s_delay_alu instid0(TRANS32_DEP_1) | instskip(NEXT) | instid1(VALU_DEP_4)
	v_fma_f64 v[70:71], -v[74:75], v[82:83], 1.0
	v_fma_f64 v[86:87], v[76:77], s[22:23], -v[84:85]
	s_delay_alu instid0(VALU_DEP_3) | instskip(NEXT) | instid1(VALU_DEP_3)
	v_add_f64_e64 v[20:21], v[66:67], -v[20:21]
	v_fmac_f64_e32 v[82:83], v[82:83], v[70:71]
	s_delay_alu instid0(VALU_DEP_3) | instskip(SKIP_1) | instid1(VALU_DEP_4)
	v_fmac_f64_e32 v[86:87], 0x3c7abc9e3b39803f, v[76:77]
	v_div_scale_f64 v[76:77], vcc_lo, v[64:65], v[62:63], v[64:65]
	v_add_f64_e32 v[18:19], v[18:19], v[20:21]
	s_delay_alu instid0(VALU_DEP_4) | instskip(NEXT) | instid1(VALU_DEP_4)
	v_fma_f64 v[20:21], -v[74:75], v[82:83], 1.0
	v_add_f64_e32 v[66:67], v[84:85], v[86:87]
	s_delay_alu instid0(VALU_DEP_3) | instskip(NEXT) | instid1(VALU_DEP_3)
	v_add_f64_e32 v[70:71], v[72:73], v[18:19]
	v_fmac_f64_e32 v[82:83], v[82:83], v[20:21]
	s_delay_alu instid0(VALU_DEP_2) | instskip(NEXT) | instid1(VALU_DEP_2)
	v_add_f64_e32 v[20:21], v[66:67], v[70:71]
	v_mul_f64_e32 v[88:89], v[76:77], v[82:83]
	v_add_f64_e64 v[72:73], v[70:71], -v[72:73]
	s_delay_alu instid0(VALU_DEP_3) | instskip(NEXT) | instid1(VALU_DEP_3)
	v_add_f64_e64 v[90:91], v[20:21], -v[66:67]
	v_fma_f64 v[74:75], -v[74:75], v[88:89], v[76:77]
	v_add_f64_e64 v[76:77], v[66:67], -v[84:85]
	s_delay_alu instid0(VALU_DEP_4) | instskip(NEXT) | instid1(VALU_DEP_4)
	v_add_f64_e64 v[72:73], v[18:19], -v[72:73]
	v_add_f64_e64 v[84:85], v[20:21], -v[90:91]
	s_delay_alu instid0(VALU_DEP_4) | instskip(NEXT) | instid1(VALU_DEP_4)
	v_div_fmas_f64 v[74:75], v[74:75], v[82:83], v[88:89]
	v_add_f64_e64 v[76:77], v[86:87], -v[76:77]
	v_add_f64_e64 v[70:71], v[70:71], -v[90:91]
	v_cmp_class_f64_e64 vcc_lo, v[68:69], 0x204
	v_add_f64_e64 v[66:67], v[66:67], -v[84:85]
	v_div_fixup_f64 v[18:19], v[74:75], v[62:63], v[64:65]
	v_add_f64_e32 v[62:63], v[76:77], v[72:73]
	s_delay_alu instid0(VALU_DEP_3) | instskip(NEXT) | instid1(VALU_DEP_3)
	v_add_f64_e32 v[64:65], v[70:71], v[66:67]
	v_mul_f64_e32 v[66:67], v[18:19], v[18:19]
	s_delay_alu instid0(VALU_DEP_3) | instskip(NEXT) | instid1(VALU_DEP_3)
	v_add_f64_e64 v[70:71], v[62:63], -v[76:77]
	v_add_f64_e32 v[64:65], v[62:63], v[64:65]
	s_delay_alu instid0(VALU_DEP_3) | instskip(NEXT) | instid1(VALU_DEP_3)
	v_fmamk_f64 v[74:75], v[66:67], 0x3eeba404b5e68a13, v[50:51]
	v_add_f64_e64 v[62:63], v[62:63], -v[70:71]
	v_add_f64_e64 v[70:71], v[72:73], -v[70:71]
	s_delay_alu instid0(VALU_DEP_3) | instskip(NEXT) | instid1(VALU_DEP_1)
	v_fmaak_f64 v[74:75], v[66:67], v[74:75], 0x3f4b2bb069efb384
	v_fmaak_f64 v[74:75], v[66:67], v[74:75], 0xbf67952daf56de9b
	s_delay_alu instid0(VALU_DEP_1) | instskip(NEXT) | instid1(VALU_DEP_1)
	v_fmaak_f64 v[74:75], v[66:67], v[74:75], 0x3f7d6d43a595c56f
	v_fmaak_f64 v[74:75], v[66:67], v[74:75], 0xbf8c6ea4a57d9582
	v_add_f64_e32 v[82:83], v[20:21], v[64:65]
	v_add_f64_e64 v[62:63], v[76:77], -v[62:63]
	s_delay_alu instid0(VALU_DEP_3) | instskip(NEXT) | instid1(VALU_DEP_1)
	v_fmaak_f64 v[74:75], v[66:67], v[74:75], 0x3f967e295f08b19f
	v_fmaak_f64 v[74:75], v[66:67], v[74:75], 0xbf9e9ae6fc27006a
	s_delay_alu instid0(VALU_DEP_1) | instskip(NEXT) | instid1(VALU_DEP_1)
	v_fmaak_f64 v[74:75], v[66:67], v[74:75], 0x3fa2c15b5711927a
	v_fmaak_f64 v[72:73], v[66:67], v[74:75], 0xbfa59976e82d3ff0
	s_delay_alu instid0(VALU_DEP_1) | instskip(SKIP_2) | instid1(VALU_DEP_3)
	v_fmaak_f64 v[72:73], v[66:67], v[72:73], 0x3fa82d5d6ef28734
	v_add_f64_e64 v[20:21], v[82:83], -v[20:21]
	v_add_f64_e32 v[62:63], v[70:71], v[62:63]
	v_fmaak_f64 v[72:73], v[66:67], v[72:73], 0xbfaae5ce6a214619
	s_delay_alu instid0(VALU_DEP_1) | instskip(NEXT) | instid1(VALU_DEP_1)
	v_fmaak_f64 v[72:73], v[66:67], v[72:73], 0x3fae1bb48427b883
	v_fmaak_f64 v[72:73], v[66:67], v[72:73], 0xbfb110e48b207f05
	v_add_f64_e64 v[20:21], v[64:65], -v[20:21]
	s_delay_alu instid0(VALU_DEP_2) | instskip(NEXT) | instid1(VALU_DEP_1)
	v_fmaak_f64 v[64:65], v[66:67], v[72:73], 0x3fb3b13657b87036
	v_fmaak_f64 v[64:65], v[66:67], v[64:65], 0xbfb745d119378e4f
	s_delay_alu instid0(VALU_DEP_1) | instskip(NEXT) | instid1(VALU_DEP_1)
	v_fmaak_f64 v[64:65], v[66:67], v[64:65], 0x3fbc71c717e1913c
	v_fmaak_f64 v[64:65], v[66:67], v[64:65], 0xbfc2492492376b7d
	v_add_f64_e32 v[20:21], v[62:63], v[20:21]
	s_delay_alu instid0(VALU_DEP_2) | instskip(NEXT) | instid1(VALU_DEP_1)
	v_fmaak_f64 v[62:63], v[66:67], v[64:65], 0x3fc99999999952cc
	v_fmaak_f64 v[62:63], v[66:67], v[62:63], 0xbfd5555555555523
	s_delay_alu instid0(VALU_DEP_1) | instskip(NEXT) | instid1(VALU_DEP_4)
	v_mul_f64_e32 v[62:63], v[66:67], v[62:63]
	v_add_f64_e32 v[20:21], v[82:83], v[20:21]
	s_delay_alu instid0(VALU_DEP_2) | instskip(NEXT) | instid1(VALU_DEP_2)
	v_fmac_f64_e32 v[18:19], v[18:19], v[62:63]
	v_dual_cndmask_b32 v20, v20, v68 :: v_dual_cndmask_b32 v21, v21, v69
	v_cmp_ngt_f64_e32 vcc_lo, 0, v[68:69]
	s_delay_alu instid0(VALU_DEP_2) | instskip(SKIP_1) | instid1(VALU_DEP_4)
	v_cndmask_b32_e32 v21, 0x7ff80000, v21, vcc_lo
	v_cmp_nge_f64_e32 vcc_lo, 0, v[68:69]
	v_cndmask_b32_e32 v20, 0, v20, vcc_lo
	v_cmp_neq_f64_e32 vcc_lo, 0, v[68:69]
	s_delay_alu instid0(VALU_DEP_4)
	v_cndmask_b32_e32 v21, 0xfff00000, v21, vcc_lo
.LBB48_299:                             ;   in Loop: Header=BB48_4 Depth=1
	s_or_b32 exec_lo, exec_lo, s8
                                        ; implicit-def: $vgpr64_vgpr65
                                        ; implicit-def: $vgpr66_vgpr67
                                        ; implicit-def: $vgpr62_vgpr63
.LBB48_300:                             ;   in Loop: Header=BB48_4 Depth=1
	s_and_not1_saveexec_b32 s47, s47
	s_cbranch_execz .LBB48_302
; %bb.301:                              ;   in Loop: Header=BB48_4 Depth=1
	s_wait_dscnt 0x0
	v_div_scale_f64 v[18:19], null, s[40:41], s[40:41], v[10:11]
	v_div_scale_f64 v[20:21], null, s[40:41], s[40:41], v[12:13]
	v_div_scale_f64 v[76:77], vcc_lo, v[10:11], s[40:41], v[10:11]
	v_min_num_f64_e32 v[64:65], v[64:65], v[66:67]
	s_and_not1_b32 s46, s46, exec_lo
	s_delay_alu instid0(VALU_DEP_4) | instskip(NEXT) | instid1(VALU_DEP_3)
	v_rcp_f64_e32 v[68:69], v[18:19]
	v_rcp_f64_e32 v[70:71], v[20:21]
	s_delay_alu instid0(TRANS32_DEP_2) | instskip(NEXT) | instid1(TRANS32_DEP_1)
	v_fma_f64 v[72:73], -v[18:19], v[68:69], 1.0
	v_fma_f64 v[74:75], -v[20:21], v[70:71], 1.0
	s_delay_alu instid0(VALU_DEP_2) | instskip(NEXT) | instid1(VALU_DEP_2)
	v_fmac_f64_e32 v[68:69], v[68:69], v[72:73]
	v_fmac_f64_e32 v[70:71], v[70:71], v[74:75]
	s_delay_alu instid0(VALU_DEP_2) | instskip(NEXT) | instid1(VALU_DEP_2)
	v_fma_f64 v[72:73], -v[18:19], v[68:69], 1.0
	v_fma_f64 v[74:75], -v[20:21], v[70:71], 1.0
	s_delay_alu instid0(VALU_DEP_2) | instskip(SKIP_1) | instid1(VALU_DEP_3)
	v_fmac_f64_e32 v[68:69], v[68:69], v[72:73]
	v_div_scale_f64 v[72:73], s8, v[12:13], s[40:41], v[12:13]
	v_fmac_f64_e32 v[70:71], v[70:71], v[74:75]
	s_delay_alu instid0(VALU_DEP_3) | instskip(NEXT) | instid1(VALU_DEP_2)
	v_mul_f64_e32 v[74:75], v[76:77], v[68:69]
	v_mul_f64_e32 v[82:83], v[72:73], v[70:71]
	s_delay_alu instid0(VALU_DEP_2) | instskip(NEXT) | instid1(VALU_DEP_2)
	v_fma_f64 v[18:19], -v[18:19], v[74:75], v[76:77]
	v_fma_f64 v[20:21], -v[20:21], v[82:83], v[72:73]
	s_delay_alu instid0(VALU_DEP_2) | instskip(SKIP_1) | instid1(VALU_DEP_2)
	v_div_fmas_f64 v[18:19], v[18:19], v[68:69], v[74:75]
	s_mov_b32 vcc_lo, s8
	v_div_fmas_f64 v[20:21], v[20:21], v[70:71], v[82:83]
	s_delay_alu instid0(VALU_DEP_2) | instskip(NEXT) | instid1(VALU_DEP_2)
	v_div_fixup_f64 v[18:19], v[18:19], s[40:41], v[10:11]
	v_div_fixup_f64 v[20:21], v[20:21], s[40:41], v[12:13]
	s_delay_alu instid0(VALU_DEP_2) | instskip(NEXT) | instid1(VALU_DEP_2)
	v_cmp_class_f64_e64 s8, v[18:19], 0x204
	v_max_num_f64_e64 v[68:69], |v[18:19]|, |v[20:21]|
	v_cmp_class_f64_e64 s48, v[20:21], 0x204
	s_delay_alu instid0(VALU_DEP_2) | instskip(SKIP_2) | instid1(VALU_DEP_2)
	v_frexp_exp_i32_f64_e32 v76, v[68:69]
	s_or_b32 s8, s48, s8
	v_cmp_class_f64_e64 s48, v[10:11], 0x204
	v_sub_nc_u32_e32 v70, 0, v76
	s_delay_alu instid0(VALU_DEP_1) | instskip(SKIP_1) | instid1(VALU_DEP_2)
	v_ldexp_f64 v[68:69], |v[20:21]|, v70
	v_ldexp_f64 v[70:71], |v[18:19]|, v70
	v_mul_f64_e32 v[68:69], v[68:69], v[68:69]
	s_delay_alu instid0(VALU_DEP_1) | instskip(NEXT) | instid1(VALU_DEP_1)
	v_fmac_f64_e32 v[68:69], v[70:71], v[70:71]
	v_rsq_f64_e32 v[70:71], v[68:69]
	v_cmp_eq_f64_e32 vcc_lo, 0, v[68:69]
	s_delay_alu instid0(TRANS32_DEP_1) | instskip(SKIP_1) | instid1(VALU_DEP_1)
	v_mul_f64_e32 v[72:73], v[68:69], v[70:71]
	v_mul_f64_e32 v[70:71], 0.5, v[70:71]
	v_fma_f64 v[74:75], -v[70:71], v[72:73], 0.5
	s_delay_alu instid0(VALU_DEP_1) | instskip(SKIP_1) | instid1(VALU_DEP_2)
	v_fmac_f64_e32 v[72:73], v[72:73], v[74:75]
	v_fmac_f64_e32 v[70:71], v[70:71], v[74:75]
	v_fma_f64 v[74:75], -v[72:73], v[72:73], v[68:69]
	s_delay_alu instid0(VALU_DEP_1) | instskip(NEXT) | instid1(VALU_DEP_1)
	v_fmac_f64_e32 v[72:73], v[74:75], v[70:71]
	v_dual_cndmask_b32 v69, v73, v69 :: v_dual_cndmask_b32 v68, v72, v68
	s_delay_alu instid0(VALU_DEP_1) | instskip(NEXT) | instid1(VALU_DEP_1)
	v_ldexp_f64 v[18:19], v[68:69], v76
	v_cndmask_b32_e64 v69, v19, 0x7ff00000, s8
	s_delay_alu instid0(VALU_DEP_2) | instskip(SKIP_1) | instid1(VALU_DEP_2)
	v_cndmask_b32_e64 v68, v18, 0, s8
	v_cmp_class_f64_e64 s8, v[12:13], 0x204
	v_frexp_mant_f64_e32 v[18:19], v[68:69]
	v_frexp_exp_i32_f64_e32 v81, v[68:69]
	s_and_b32 s8, s8, s48
	s_delay_alu instid0(SALU_CYCLE_1) | instskip(NEXT) | instid1(VALU_DEP_2)
	s_and_b32 s8, s8, exec_lo
	v_cmp_gt_f64_e32 vcc_lo, s[20:21], v[18:19]
	s_or_b32 s46, s46, s8
	v_cndmask_b32_e64 v20, 0, 1, vcc_lo
	s_delay_alu instid0(VALU_DEP_3) | instskip(SKIP_1) | instid1(VALU_DEP_3)
	v_subrev_co_ci_u32_e64 v66, null, 0, v81, vcc_lo
	v_div_scale_f64 v[88:89], vcc_lo, v[64:65], v[62:63], v[64:65]
	v_ldexp_f64 v[18:19], v[18:19], v20
	s_delay_alu instid0(VALU_DEP_3) | instskip(NEXT) | instid1(VALU_DEP_2)
	v_cvt_f64_i32_e32 v[66:67], v66
	v_add_f64_e32 v[20:21], 1.0, v[18:19]
	v_add_f64_e32 v[74:75], -1.0, v[18:19]
	s_delay_alu instid0(VALU_DEP_2) | instskip(SKIP_1) | instid1(VALU_DEP_1)
	v_rcp_f64_e32 v[70:71], v[20:21]
	v_add_f64_e32 v[76:77], -1.0, v[20:21]
	v_add_f64_e64 v[18:19], v[18:19], -v[76:77]
	s_delay_alu instid0(TRANS32_DEP_1) | instskip(NEXT) | instid1(VALU_DEP_1)
	v_fma_f64 v[72:73], -v[20:21], v[70:71], 1.0
	v_fmac_f64_e32 v[70:71], v[72:73], v[70:71]
	s_delay_alu instid0(VALU_DEP_1) | instskip(NEXT) | instid1(VALU_DEP_1)
	v_fma_f64 v[72:73], -v[20:21], v[70:71], 1.0
	v_fmac_f64_e32 v[70:71], v[72:73], v[70:71]
	s_delay_alu instid0(VALU_DEP_1) | instskip(NEXT) | instid1(VALU_DEP_1)
	v_mul_f64_e32 v[72:73], v[74:75], v[70:71]
	v_mul_f64_e32 v[82:83], v[20:21], v[72:73]
	s_delay_alu instid0(VALU_DEP_1) | instskip(NEXT) | instid1(VALU_DEP_1)
	v_fma_f64 v[20:21], v[72:73], v[20:21], -v[82:83]
	v_fmac_f64_e32 v[20:21], v[72:73], v[18:19]
	s_delay_alu instid0(VALU_DEP_1) | instskip(NEXT) | instid1(VALU_DEP_1)
	v_add_f64_e32 v[18:19], v[82:83], v[20:21]
	v_add_f64_e64 v[76:77], v[74:75], -v[18:19]
	v_add_f64_e64 v[82:83], v[18:19], -v[82:83]
	s_delay_alu instid0(VALU_DEP_2) | instskip(NEXT) | instid1(VALU_DEP_2)
	v_add_f64_e64 v[74:75], v[74:75], -v[76:77]
	v_add_f64_e64 v[20:21], v[82:83], -v[20:21]
	v_mul_f64_e32 v[82:83], 0x3fe62e42fefa39ef, v[66:67]
	s_delay_alu instid0(VALU_DEP_3) | instskip(NEXT) | instid1(VALU_DEP_2)
	v_add_f64_e64 v[18:19], v[74:75], -v[18:19]
	v_fma_f64 v[84:85], v[66:67], s[22:23], -v[82:83]
	s_delay_alu instid0(VALU_DEP_2) | instskip(NEXT) | instid1(VALU_DEP_2)
	v_add_f64_e32 v[18:19], v[20:21], v[18:19]
	v_fmac_f64_e32 v[84:85], 0x3c7abc9e3b39803f, v[66:67]
	s_delay_alu instid0(VALU_DEP_2) | instskip(NEXT) | instid1(VALU_DEP_1)
	v_add_f64_e32 v[18:19], v[76:77], v[18:19]
	v_mul_f64_e32 v[18:19], v[70:71], v[18:19]
	s_delay_alu instid0(VALU_DEP_1) | instskip(NEXT) | instid1(VALU_DEP_1)
	v_add_f64_e32 v[20:21], v[72:73], v[18:19]
	v_mul_f64_e32 v[70:71], v[20:21], v[20:21]
	s_delay_alu instid0(VALU_DEP_1) | instskip(SKIP_1) | instid1(VALU_DEP_2)
	v_fmamk_f64 v[74:75], v[70:71], 0x3fc3ab76bf559e2b, v[46:47]
	v_mul_f64_e32 v[76:77], v[20:21], v[70:71]
	v_fmaak_f64 v[74:75], v[70:71], v[74:75], 0x3fc7474dd7f4df2e
	s_delay_alu instid0(VALU_DEP_1) | instskip(NEXT) | instid1(VALU_DEP_1)
	v_fmaak_f64 v[74:75], v[70:71], v[74:75], 0x3fcc71c016291751
	v_fmaak_f64 v[74:75], v[70:71], v[74:75], 0x3fd249249b27acf1
	s_delay_alu instid0(VALU_DEP_1) | instskip(NEXT) | instid1(VALU_DEP_1)
	v_fmaak_f64 v[74:75], v[70:71], v[74:75], 0x3fd99999998ef7b6
	v_fmaak_f64 v[70:71], v[70:71], v[74:75], 0x3fe5555555555780
	v_ldexp_f64 v[74:75], v[20:21], 1
	v_add_f64_e64 v[20:21], v[20:21], -v[72:73]
	s_delay_alu instid0(VALU_DEP_3) | instskip(SKIP_1) | instid1(VALU_DEP_3)
	v_mul_f64_e32 v[70:71], v[76:77], v[70:71]
	v_div_scale_f64 v[76:77], null, v[62:63], v[62:63], v[64:65]
	v_add_f64_e64 v[18:19], v[18:19], -v[20:21]
	s_delay_alu instid0(VALU_DEP_3) | instskip(NEXT) | instid1(VALU_DEP_2)
	v_add_f64_e32 v[72:73], v[74:75], v[70:71]
	v_ldexp_f64 v[18:19], v[18:19], 1
	s_delay_alu instid0(VALU_DEP_2) | instskip(SKIP_1) | instid1(VALU_DEP_1)
	v_add_f64_e64 v[20:21], v[72:73], -v[74:75]
	v_rcp_f64_e32 v[74:75], v[76:77]
	v_add_f64_e64 v[20:21], v[70:71], -v[20:21]
	s_delay_alu instid0(TRANS32_DEP_1) | instskip(NEXT) | instid1(VALU_DEP_2)
	v_fma_f64 v[70:71], -v[76:77], v[74:75], 1.0
	v_add_f64_e32 v[18:19], v[18:19], v[20:21]
	v_add_f64_e32 v[20:21], v[82:83], v[84:85]
	s_delay_alu instid0(VALU_DEP_3) | instskip(NEXT) | instid1(VALU_DEP_3)
	v_fmac_f64_e32 v[74:75], v[74:75], v[70:71]
	v_add_f64_e32 v[66:67], v[72:73], v[18:19]
	s_delay_alu instid0(VALU_DEP_3) | instskip(NEXT) | instid1(VALU_DEP_3)
	v_add_f64_e64 v[82:83], v[20:21], -v[82:83]
	v_fma_f64 v[70:71], -v[76:77], v[74:75], 1.0
	s_delay_alu instid0(VALU_DEP_3) | instskip(SKIP_1) | instid1(VALU_DEP_4)
	v_add_f64_e32 v[86:87], v[20:21], v[66:67]
	v_add_f64_e64 v[72:73], v[66:67], -v[72:73]
	v_add_f64_e64 v[82:83], v[84:85], -v[82:83]
	s_delay_alu instid0(VALU_DEP_4) | instskip(NEXT) | instid1(VALU_DEP_4)
	v_fmac_f64_e32 v[74:75], v[74:75], v[70:71]
	v_add_f64_e64 v[70:71], v[86:87], -v[20:21]
	s_delay_alu instid0(VALU_DEP_4) | instskip(NEXT) | instid1(VALU_DEP_3)
	v_add_f64_e64 v[72:73], v[18:19], -v[72:73]
	v_mul_f64_e32 v[90:91], v[88:89], v[74:75]
	s_delay_alu instid0(VALU_DEP_3) | instskip(SKIP_1) | instid1(VALU_DEP_4)
	v_add_f64_e64 v[92:93], v[86:87], -v[70:71]
	v_add_f64_e64 v[18:19], v[66:67], -v[70:71]
	v_add_f64_e32 v[70:71], v[82:83], v[72:73]
	s_delay_alu instid0(VALU_DEP_4) | instskip(NEXT) | instid1(VALU_DEP_4)
	v_fma_f64 v[76:77], -v[76:77], v[90:91], v[88:89]
	v_add_f64_e64 v[20:21], v[20:21], -v[92:93]
	s_delay_alu instid0(VALU_DEP_2) | instskip(SKIP_1) | instid1(VALU_DEP_3)
	v_div_fmas_f64 v[66:67], v[76:77], v[74:75], v[90:91]
	v_cmp_class_f64_e64 vcc_lo, v[68:69], 0x204
	v_add_f64_e32 v[20:21], v[18:19], v[20:21]
	s_delay_alu instid0(VALU_DEP_3) | instskip(SKIP_1) | instid1(VALU_DEP_3)
	v_div_fixup_f64 v[18:19], v[66:67], v[62:63], v[64:65]
	v_add_f64_e64 v[62:63], v[70:71], -v[82:83]
	v_add_f64_e32 v[20:21], v[70:71], v[20:21]
	s_delay_alu instid0(VALU_DEP_3) | instskip(NEXT) | instid1(VALU_DEP_3)
	v_mul_f64_e32 v[64:65], v[18:19], v[18:19]
	v_add_f64_e64 v[66:67], v[70:71], -v[62:63]
	v_add_f64_e64 v[62:63], v[72:73], -v[62:63]
	s_delay_alu instid0(VALU_DEP_4) | instskip(NEXT) | instid1(VALU_DEP_4)
	v_add_f64_e32 v[70:71], v[86:87], v[20:21]
	v_fmamk_f64 v[74:75], v[64:65], 0x3eeba404b5e68a13, v[50:51]
	s_delay_alu instid0(VALU_DEP_4) | instskip(NEXT) | instid1(VALU_DEP_2)
	v_add_f64_e64 v[66:67], v[82:83], -v[66:67]
	v_fmaak_f64 v[74:75], v[64:65], v[74:75], 0x3f4b2bb069efb384
	s_delay_alu instid0(VALU_DEP_1) | instskip(NEXT) | instid1(VALU_DEP_1)
	v_fmaak_f64 v[74:75], v[64:65], v[74:75], 0xbf67952daf56de9b
	v_fmaak_f64 v[74:75], v[64:65], v[74:75], 0x3f7d6d43a595c56f
	v_add_f64_e64 v[72:73], v[70:71], -v[86:87]
	s_delay_alu instid0(VALU_DEP_2) | instskip(SKIP_1) | instid1(VALU_DEP_2)
	v_fmaak_f64 v[74:75], v[64:65], v[74:75], 0xbf8c6ea4a57d9582
	v_add_f64_e32 v[62:63], v[62:63], v[66:67]
	v_fmaak_f64 v[74:75], v[64:65], v[74:75], 0x3f967e295f08b19f
	s_delay_alu instid0(VALU_DEP_1) | instskip(NEXT) | instid1(VALU_DEP_1)
	v_fmaak_f64 v[74:75], v[64:65], v[74:75], 0xbf9e9ae6fc27006a
	v_fmaak_f64 v[74:75], v[64:65], v[74:75], 0x3fa2c15b5711927a
	s_delay_alu instid0(VALU_DEP_1) | instskip(SKIP_1) | instid1(VALU_DEP_2)
	v_fmaak_f64 v[66:67], v[64:65], v[74:75], 0xbfa59976e82d3ff0
	v_add_f64_e64 v[20:21], v[20:21], -v[72:73]
	v_fmaak_f64 v[66:67], v[64:65], v[66:67], 0x3fa82d5d6ef28734
	s_delay_alu instid0(VALU_DEP_1) | instskip(NEXT) | instid1(VALU_DEP_1)
	v_fmaak_f64 v[66:67], v[64:65], v[66:67], 0xbfaae5ce6a214619
	v_fmaak_f64 v[66:67], v[64:65], v[66:67], 0x3fae1bb48427b883
	s_delay_alu instid0(VALU_DEP_1) | instskip(SKIP_1) | instid1(VALU_DEP_2)
	v_fmaak_f64 v[66:67], v[64:65], v[66:67], 0xbfb110e48b207f05
	v_add_f64_e32 v[20:21], v[62:63], v[20:21]
	v_fmaak_f64 v[62:63], v[64:65], v[66:67], 0x3fb3b13657b87036
	s_delay_alu instid0(VALU_DEP_1) | instskip(NEXT) | instid1(VALU_DEP_1)
	v_fmaak_f64 v[62:63], v[64:65], v[62:63], 0xbfb745d119378e4f
	v_fmaak_f64 v[62:63], v[64:65], v[62:63], 0x3fbc71c717e1913c
	s_delay_alu instid0(VALU_DEP_1) | instskip(NEXT) | instid1(VALU_DEP_1)
	v_fmaak_f64 v[62:63], v[64:65], v[62:63], 0xbfc2492492376b7d
	v_fmaak_f64 v[62:63], v[64:65], v[62:63], 0x3fc99999999952cc
	v_add_f64_e32 v[20:21], v[70:71], v[20:21]
	s_delay_alu instid0(VALU_DEP_2) | instskip(NEXT) | instid1(VALU_DEP_1)
	v_fmaak_f64 v[62:63], v[64:65], v[62:63], 0xbfd5555555555523
	v_mul_f64_e32 v[62:63], v[64:65], v[62:63]
	s_delay_alu instid0(VALU_DEP_3) | instskip(SKIP_1) | instid1(VALU_DEP_2)
	v_dual_cndmask_b32 v21, v21, v69 :: v_dual_cndmask_b32 v20, v20, v68
	v_cmp_ngt_f64_e32 vcc_lo, 0, v[68:69]
	v_add_f64_e32 v[20:21], 1.0, v[20:21]
	s_delay_alu instid0(VALU_DEP_4) | instskip(NEXT) | instid1(VALU_DEP_2)
	v_fmac_f64_e32 v[18:19], v[18:19], v[62:63]
	v_cndmask_b32_e32 v10, 0x7ff80000, v21, vcc_lo
	v_cmp_nge_f64_e32 vcc_lo, 0, v[68:69]
	s_delay_alu instid0(VALU_DEP_4) | instskip(SKIP_1) | instid1(VALU_DEP_4)
	v_cndmask_b32_e32 v20, 0, v20, vcc_lo
	v_cmp_neq_f64_e32 vcc_lo, 0, v[68:69]
	v_cndmask_b32_e32 v21, 0xfff00000, v10, vcc_lo
.LBB48_302:                             ;   in Loop: Header=BB48_4 Depth=1
	s_or_b32 exec_lo, exec_lo, s47
	s_wait_dscnt 0x0
	s_delay_alu instid0(VALU_DEP_3) | instskip(NEXT) | instid1(VALU_DEP_2)
	v_add_f64_e64 v[62:63], -v[18:19], s[34:35]
	v_add_f64_e32 v[20:21], 0x3fe62e42fefa39ef, v[20:21]
	v_cmp_gt_i32_e32 vcc_lo, 0, v11
	s_delay_alu instid0(VALU_DEP_3) | instskip(SKIP_2) | instid1(VALU_DEP_3)
	v_dual_cndmask_b32 v19, v19, v63, s7 :: v_dual_cndmask_b32 v18, v18, v62, s7
	v_cmp_eq_f64_e64 s7, 0, v[12:13]
	v_cndmask_b32_e32 v12, 0x3fe921fb, v80, vcc_lo
	v_add_f64_e64 v[62:63], -v[18:19], s[36:37]
	v_ashrrev_i32_e32 v10, 31, v11
	v_cndmask_b32_e32 v11, 0x54442d18, v79, vcc_lo
	s_delay_alu instid0(VALU_DEP_4) | instskip(NEXT) | instid1(VALU_DEP_4)
	v_bfi_b32 v12, 0x7fffffff, v12, v13
	v_cndmask_b32_e32 v18, v18, v62, vcc_lo
	s_delay_alu instid0(VALU_DEP_4) | instskip(SKIP_1) | instid1(VALU_DEP_2)
	v_and_b32_e32 v64, 0x54442d18, v10
	v_and_b32_e32 v10, 0x400921fb, v10
	v_dual_cndmask_b32 v19, v19, v63, vcc_lo :: v_dual_cndmask_b32 v13, v18, v64, s7
	s_delay_alu instid0(VALU_DEP_1) | instskip(NEXT) | instid1(VALU_DEP_1)
	v_dual_cndmask_b32 v10, v19, v10, s7 :: v_dual_cndmask_b32 v18, v13, v11, s46
	v_cndmask_b32_e64 v10, v10, v12, s46
	v_xor_b32_e32 v12, 0x80000000, v21
	s_delay_alu instid0(VALU_DEP_1) | instskip(NEXT) | instid1(VALU_DEP_3)
	v_cndmask_b32_e64 v21, v12, v21, s6
	v_and_b32_e32 v19, 0x7fffffff, v10
.LBB48_303:                             ;   in Loop: Header=BB48_4 Depth=1
	s_or_b32 exec_lo, exec_lo, s33
                                        ; implicit-def: $vgpr12_vgpr13
.LBB48_304:                             ;   in Loop: Header=BB48_4 Depth=1
	s_and_not1_saveexec_b32 s6, s9
	s_cbranch_execz .LBB48_318
; %bb.305:                              ;   in Loop: Header=BB48_4 Depth=1
	s_delay_alu instid0(VALU_DEP_4) | instskip(SKIP_1) | instid1(SALU_CYCLE_1)
	v_cmp_neq_f64_e64 s7, 0x7ff00000, |v[10:11]|
                                        ; implicit-def: $vgpr20_vgpr21
	s_and_saveexec_b32 s8, s7
	s_xor_b32 s7, exec_lo, s8
	s_cbranch_execz .LBB48_315
; %bb.306:                              ;   in Loop: Header=BB48_4 Depth=1
	v_cmp_neq_f64_e64 s8, 0x7ff00000, |v[12:13]|
	s_wait_dscnt 0x0
	v_xor_b32_e32 v21, 0x80000000, v13
	v_mov_b32_e32 v20, v12
	s_and_saveexec_b32 s9, s8
	s_delay_alu instid0(SALU_CYCLE_1)
	s_xor_b32 s8, exec_lo, s9
	s_cbranch_execz .LBB48_312
; %bb.307:                              ;   in Loop: Header=BB48_4 Depth=1
	s_mov_b32 s9, exec_lo
                                        ; implicit-def: $vgpr20_vgpr21
	v_cmpx_neq_f64_e32 0, v[10:11]
	s_xor_b32 s9, exec_lo, s9
	s_cbranch_execz .LBB48_309
; %bb.308:                              ;   in Loop: Header=BB48_4 Depth=1
	v_add_f64_e32 v[12:13], 0, v[12:13]
	s_delay_alu instid0(VALU_DEP_1)
	v_add_f64_e32 v[20:21], v[10:11], v[12:13]
                                        ; implicit-def: $vgpr12_vgpr13
.LBB48_309:                             ;   in Loop: Header=BB48_4 Depth=1
	s_or_saveexec_b32 s9, s9
	s_delay_alu instid0(VALU_DEP_1)
	v_mov_b64_e32 v[18:19], v[20:21]
	s_xor_b32 exec_lo, exec_lo, s9
	s_cbranch_execz .LBB48_311
; %bb.310:                              ;   in Loop: Header=BB48_4 Depth=1
	flat_load_b64 v[10:11], v[26:27] scope:SCOPE_SYS
	s_wait_loadcnt 0x0
	v_add_f64_e32 v[20:21], v[12:13], v[12:13]
	s_wait_dscnt 0x0
	v_add_f64_e32 v[18:19], 0x3ff921fb54442d18, v[10:11]
.LBB48_311:                             ;   in Loop: Header=BB48_4 Depth=1
	s_wait_xcnt 0x0
	s_or_b32 exec_lo, exec_lo, s9
                                        ; implicit-def: $vgpr10_vgpr11
.LBB48_312:                             ;   in Loop: Header=BB48_4 Depth=1
	s_and_not1_saveexec_b32 s8, s8
; %bb.313:                              ;   in Loop: Header=BB48_4 Depth=1
	v_add_f64_e32 v[18:19], v[10:11], v[10:11]
; %bb.314:                              ;   in Loop: Header=BB48_4 Depth=1
	s_or_b32 exec_lo, exec_lo, s8
                                        ; implicit-def: $vgpr12_vgpr13
.LBB48_315:                             ;   in Loop: Header=BB48_4 Depth=1
	s_and_not1_saveexec_b32 s7, s7
	s_cbranch_execz .LBB48_317
; %bb.316:                              ;   in Loop: Header=BB48_4 Depth=1
	s_wait_dscnt 0x0
	v_add_f64_e32 v[18:19], v[12:13], v[12:13]
	v_mov_b64_e32 v[20:21], 0xfff0000000000000
.LBB48_317:                             ;   in Loop: Header=BB48_4 Depth=1
	s_or_b32 exec_lo, exec_lo, s7
.LBB48_318:                             ;   in Loop: Header=BB48_4 Depth=1
	s_delay_alu instid0(SALU_CYCLE_1)
	s_or_b32 exec_lo, exec_lo, s6
	flat_store_b64 v[26:27], v[52:53] scope:SCOPE_SYS
	s_wait_storecnt 0x0
                                        ; implicit-def: $vgpr12_vgpr13
	s_mov_b32 s6, exec_lo
	s_wait_xcnt 0x0
	v_cmpx_o_f64_e32 v[2:3], v[4:5]
	s_xor_b32 s9, exec_lo, s6
	s_cbranch_execnz .LBB48_324
; %bb.319:                              ;   in Loop: Header=BB48_4 Depth=1
	s_and_not1_saveexec_b32 s6, s9
	s_cbranch_execnz .LBB48_411
.LBB48_320:                             ;   in Loop: Header=BB48_4 Depth=1
	s_or_b32 exec_lo, exec_lo, s6
	s_and_saveexec_b32 s6, s2
	s_delay_alu instid0(SALU_CYCLE_1)
	s_xor_b32 s2, exec_lo, s6
	s_cbranch_execnz .LBB48_424
.LBB48_321:                             ;   in Loop: Header=BB48_4 Depth=1
	s_or_b32 exec_lo, exec_lo, s2
	s_and_saveexec_b32 s2, s3
	s_cbranch_execnz .LBB48_425
.LBB48_322:                             ;   in Loop: Header=BB48_4 Depth=1
	s_or_b32 exec_lo, exec_lo, s2
	s_and_saveexec_b32 s2, s4
	s_cbranch_execnz .LBB48_426
.LBB48_323:                             ;   in Loop: Header=BB48_4 Depth=1
	s_or_b32 exec_lo, exec_lo, s2
	s_and_saveexec_b32 s2, s5
	s_cbranch_execz .LBB48_3
	s_branch .LBB48_427
.LBB48_324:                             ;   in Loop: Header=BB48_4 Depth=1
	v_max_num_f64_e64 v[64:65], |v[2:3]|, |v[2:3]|
	v_max_num_f64_e64 v[66:67], |v[4:5]|, |v[4:5]|
	v_cmp_gt_i64_e64 s6, 0, v[4:5]
                                        ; implicit-def: $vgpr12_vgpr13
	s_mov_b32 s7, exec_lo
	v_max_num_f64_e32 v[62:63], v[66:67], v[64:65]
	s_delay_alu instid0(VALU_DEP_1)
	v_cmpx_nlt_f64_e32 0x43300000, v[62:63]
	s_xor_b32 s33, exec_lo, s7
	s_cbranch_execz .LBB48_400
; %bb.325:                              ;   in Loop: Header=BB48_4 Depth=1
	v_cmp_neq_f64_e32 vcc_lo, 1.0, v[2:3]
	v_cmp_neq_f64_e64 s7, 0, v[4:5]
	v_xor_b32_e32 v13, 0x80000000, v5
	v_mov_b32_e32 v12, v4
	s_or_b32 s7, s7, vcc_lo
	s_delay_alu instid0(SALU_CYCLE_1) | instskip(NEXT) | instid1(SALU_CYCLE_1)
	s_and_saveexec_b32 s8, s7
	s_xor_b32 s46, exec_lo, s8
	s_cbranch_execz .LBB48_397
; %bb.326:                              ;   in Loop: Header=BB48_4 Depth=1
	flat_store_b32 v[30:31], v78 scope:SCOPE_SYS
	s_wait_storecnt 0x0
	flat_load_b32 v10, v[30:31] scope:SCOPE_SYS
	s_wait_loadcnt 0x0
	v_cmp_nlt_f64_e64 s7, |v[2:3]|, s[18:19]
	v_cmp_nlt_f64_e64 s8, |v[4:5]|, s[18:19]
	v_mov_b32_e32 v12, v4
	s_or_b32 s7, s8, s7
	s_wait_dscnt 0x0
	v_add_f32_e32 v10, 1.0, v10
	flat_store_b32 v[40:41], v10 scope:SCOPE_SYS
	s_wait_storecnt 0x0
	flat_load_b32 v10, v[40:41] scope:SCOPE_SYS
	s_wait_loadcnt 0x0
	s_wait_xcnt 0x0
	s_and_saveexec_b32 s8, s7
	s_delay_alu instid0(SALU_CYCLE_1)
	s_xor_b32 s47, exec_lo, s8
	s_cbranch_execz .LBB48_394
; %bb.327:                              ;   in Loop: Header=BB48_4 Depth=1
	s_wait_dscnt 0x0
	v_add_f64_e64 v[10:11], |v[2:3]|, -1.0
	v_add_f64_e64 v[64:65], |v[2:3]|, 1.0
	s_delay_alu instid0(VALU_DEP_2) | instskip(NEXT) | instid1(VALU_DEP_1)
	v_max_num_f64_e64 v[62:63], v[66:67], |v[10:11]|
	v_frexp_exp_i32_f64_e32 v82, v[62:63]
	s_delay_alu instid0(VALU_DEP_1) | instskip(NEXT) | instid1(VALU_DEP_1)
	v_dual_max_num_f64 v[12:13], v[66:67], v[64:65] :: v_dual_sub_nc_u32 v68, 0, v82
	v_frexp_exp_i32_f64_e32 v81, v[12:13]
	s_delay_alu instid0(VALU_DEP_2) | instskip(SKIP_1) | instid1(VALU_DEP_2)
	v_ldexp_f64 v[62:63], |v[10:11]|, v68
	v_ldexp_f64 v[68:69], |v[4:5]|, v68
	v_dual_mul_f64 v[62:63], v[62:63], v[62:63] :: v_dual_sub_nc_u32 v66, 0, v81
	s_delay_alu instid0(VALU_DEP_1) | instskip(SKIP_1) | instid1(VALU_DEP_3)
	v_ldexp_f64 v[12:13], v[64:65], v66
	v_ldexp_f64 v[66:67], |v[4:5]|, v66
	v_fmac_f64_e32 v[62:63], v[68:69], v[68:69]
	s_delay_alu instid0(VALU_DEP_1) | instskip(SKIP_1) | instid1(TRANS32_DEP_1)
	v_rsq_f64_e32 v[68:69], v[62:63]
	v_cmp_eq_f64_e64 s7, 0, v[62:63]
	v_mul_f64_e32 v[72:73], v[62:63], v[68:69]
	v_mul_f64_e32 v[68:69], 0.5, v[68:69]
	s_delay_alu instid0(VALU_DEP_1) | instskip(NEXT) | instid1(VALU_DEP_1)
	v_fma_f64 v[76:77], -v[68:69], v[72:73], 0.5
	v_fmac_f64_e32 v[72:73], v[72:73], v[76:77]
	v_fmac_f64_e32 v[68:69], v[68:69], v[76:77]
	s_delay_alu instid0(VALU_DEP_2) | instskip(NEXT) | instid1(VALU_DEP_1)
	v_fma_f64 v[76:77], -v[72:73], v[72:73], v[62:63]
	v_fmac_f64_e32 v[72:73], v[76:77], v[68:69]
	s_delay_alu instid0(VALU_DEP_1) | instskip(SKIP_1) | instid1(VALU_DEP_2)
	v_dual_cndmask_b32 v63, v73, v63, s7 :: v_dual_cndmask_b32 v62, v72, v62, s7
	v_cmp_neq_f64_e64 s7, 0x7ff00000, |v[10:11]|
	v_ldexp_f64 v[62:63], v[62:63], v82
	v_mul_f64_e32 v[12:13], v[12:13], v[12:13]
	s_delay_alu instid0(VALU_DEP_1) | instskip(NEXT) | instid1(VALU_DEP_1)
	v_fmac_f64_e32 v[12:13], v[66:67], v[66:67]
	v_rsq_f64_e32 v[66:67], v[12:13]
	v_cmp_eq_f64_e32 vcc_lo, 0, v[12:13]
	s_delay_alu instid0(TRANS32_DEP_1) | instskip(SKIP_1) | instid1(VALU_DEP_1)
	v_mul_f64_e32 v[70:71], v[12:13], v[66:67]
	v_mul_f64_e32 v[66:67], 0.5, v[66:67]
	v_fma_f64 v[74:75], -v[66:67], v[70:71], 0.5
	s_delay_alu instid0(VALU_DEP_1) | instskip(SKIP_1) | instid1(VALU_DEP_2)
	v_fmac_f64_e32 v[70:71], v[70:71], v[74:75]
	v_fmac_f64_e32 v[66:67], v[66:67], v[74:75]
	v_fma_f64 v[74:75], -v[70:71], v[70:71], v[12:13]
	s_delay_alu instid0(VALU_DEP_1) | instskip(SKIP_3) | instid1(VALU_DEP_3)
	v_fmac_f64_e32 v[70:71], v[74:75], v[66:67]
	v_cndmask_b32_e64 v67, 0x7ff00000, v63, s7
	v_cndmask_b32_e64 v66, 0, v62, s7
	s_mov_b32 s7, exec_lo
	v_dual_cndmask_b32 v13, v71, v13 :: v_dual_cndmask_b32 v12, v70, v12
	v_cmp_neq_f64_e32 vcc_lo, 0x7ff00000, v[64:65]
	s_delay_alu instid0(VALU_DEP_2) | instskip(NEXT) | instid1(VALU_DEP_1)
	v_ldexp_f64 v[12:13], v[12:13], v81
	v_cndmask_b32_e32 v69, 0x7ff00000, v13, vcc_lo
	s_delay_alu instid0(VALU_DEP_2) | instskip(NEXT) | instid1(VALU_DEP_1)
	v_cndmask_b32_e32 v68, 0, v12, vcc_lo
	v_add_f64_e32 v[12:13], v[68:69], v[66:67]
	s_delay_alu instid0(VALU_DEP_1) | instskip(NEXT) | instid1(VALU_DEP_1)
	v_mul_f64_e32 v[12:13], 0.5, v[12:13]
	v_cmp_ngt_f64_e32 vcc_lo, 1.0, v[12:13]
	v_cndmask_b32_e32 v63, 0x3ff00000, v13, vcc_lo
	v_cndmask_b32_e32 v62, 0, v12, vcc_lo
                                        ; implicit-def: $vgpr12_vgpr13
	s_delay_alu instid0(VALU_DEP_1)
	v_cmpx_ngt_f64_e32 0x40240000, v[62:63]
	s_xor_b32 s7, exec_lo, s7
	s_cbranch_execz .LBB48_329
; %bb.328:                              ;   in Loop: Header=BB48_4 Depth=1
	v_fma_f64 v[12:13], v[62:63], v[62:63], -1.0
	s_delay_alu instid0(VALU_DEP_1) | instskip(SKIP_1) | instid1(VALU_DEP_1)
	v_cmp_gt_f64_e32 vcc_lo, 0x10000000, v[12:13]
	v_cndmask_b32_e64 v70, 0, 0x100, vcc_lo
	v_ldexp_f64 v[12:13], v[12:13], v70
	s_delay_alu instid0(VALU_DEP_1) | instskip(SKIP_1) | instid1(TRANS32_DEP_1)
	v_rsq_f64_e32 v[70:71], v[12:13]
	v_nop
	v_mul_f64_e32 v[72:73], v[12:13], v[70:71]
	v_mul_f64_e32 v[70:71], 0.5, v[70:71]
	s_delay_alu instid0(VALU_DEP_1) | instskip(NEXT) | instid1(VALU_DEP_1)
	v_fma_f64 v[74:75], -v[70:71], v[72:73], 0.5
	v_fmac_f64_e32 v[72:73], v[72:73], v[74:75]
	v_fmac_f64_e32 v[70:71], v[70:71], v[74:75]
	s_delay_alu instid0(VALU_DEP_2) | instskip(NEXT) | instid1(VALU_DEP_1)
	v_fma_f64 v[74:75], -v[72:73], v[72:73], v[12:13]
	v_fmac_f64_e32 v[72:73], v[74:75], v[70:71]
	s_delay_alu instid0(VALU_DEP_1) | instskip(NEXT) | instid1(VALU_DEP_1)
	v_fma_f64 v[74:75], -v[72:73], v[72:73], v[12:13]
	v_fmac_f64_e32 v[72:73], v[74:75], v[70:71]
	v_cndmask_b32_e64 v70, 0, 0xffffff80, vcc_lo
	v_cmp_class_f64_e64 vcc_lo, v[12:13], 0x260
	s_delay_alu instid0(VALU_DEP_2) | instskip(NEXT) | instid1(VALU_DEP_1)
	v_ldexp_f64 v[70:71], v[72:73], v70
	v_dual_cndmask_b32 v13, v71, v13 :: v_dual_cndmask_b32 v12, v70, v12
	s_delay_alu instid0(VALU_DEP_1) | instskip(NEXT) | instid1(VALU_DEP_1)
	v_add_f64_e32 v[12:13], v[62:63], v[12:13]
	v_frexp_mant_f64_e32 v[70:71], v[12:13]
	v_frexp_exp_i32_f64_e32 v81, v[12:13]
	s_delay_alu instid0(VALU_DEP_2) | instskip(SKIP_1) | instid1(VALU_DEP_3)
	v_cmp_gt_f64_e32 vcc_lo, s[20:21], v[70:71]
	v_cndmask_b32_e64 v72, 0, 1, vcc_lo
	v_subrev_co_ci_u32_e64 v81, null, 0, v81, vcc_lo
	v_cmp_class_f64_e64 vcc_lo, v[12:13], 0x204
	s_delay_alu instid0(VALU_DEP_3) | instskip(NEXT) | instid1(VALU_DEP_1)
	v_ldexp_f64 v[70:71], v[70:71], v72
	v_add_f64_e32 v[72:73], 1.0, v[70:71]
	v_add_f64_e32 v[82:83], -1.0, v[70:71]
	s_delay_alu instid0(VALU_DEP_2) | instskip(SKIP_1) | instid1(VALU_DEP_1)
	v_rcp_f64_e32 v[74:75], v[72:73]
	v_add_f64_e32 v[84:85], -1.0, v[72:73]
	v_add_f64_e64 v[70:71], v[70:71], -v[84:85]
	s_delay_alu instid0(TRANS32_DEP_1) | instskip(NEXT) | instid1(VALU_DEP_1)
	v_fma_f64 v[76:77], -v[72:73], v[74:75], 1.0
	v_fmac_f64_e32 v[74:75], v[76:77], v[74:75]
	s_delay_alu instid0(VALU_DEP_1) | instskip(NEXT) | instid1(VALU_DEP_1)
	v_fma_f64 v[76:77], -v[72:73], v[74:75], 1.0
	v_fmac_f64_e32 v[74:75], v[76:77], v[74:75]
	s_delay_alu instid0(VALU_DEP_1) | instskip(NEXT) | instid1(VALU_DEP_1)
	v_mul_f64_e32 v[76:77], v[82:83], v[74:75]
	v_mul_f64_e32 v[86:87], v[72:73], v[76:77]
	s_delay_alu instid0(VALU_DEP_1) | instskip(NEXT) | instid1(VALU_DEP_1)
	v_fma_f64 v[72:73], v[76:77], v[72:73], -v[86:87]
	v_fmac_f64_e32 v[72:73], v[76:77], v[70:71]
	s_delay_alu instid0(VALU_DEP_1) | instskip(NEXT) | instid1(VALU_DEP_1)
	v_add_f64_e32 v[70:71], v[86:87], v[72:73]
	v_add_f64_e64 v[84:85], v[82:83], -v[70:71]
	v_add_f64_e64 v[86:87], v[70:71], -v[86:87]
	s_delay_alu instid0(VALU_DEP_2) | instskip(NEXT) | instid1(VALU_DEP_2)
	v_add_f64_e64 v[82:83], v[82:83], -v[84:85]
	v_add_f64_e64 v[72:73], v[86:87], -v[72:73]
	s_delay_alu instid0(VALU_DEP_2) | instskip(NEXT) | instid1(VALU_DEP_1)
	v_add_f64_e64 v[70:71], v[82:83], -v[70:71]
	v_add_f64_e32 v[70:71], v[72:73], v[70:71]
	s_delay_alu instid0(VALU_DEP_1) | instskip(NEXT) | instid1(VALU_DEP_1)
	v_add_f64_e32 v[70:71], v[84:85], v[70:71]
	v_mul_f64_e32 v[70:71], v[74:75], v[70:71]
	s_delay_alu instid0(VALU_DEP_1) | instskip(NEXT) | instid1(VALU_DEP_1)
	v_add_f64_e32 v[72:73], v[76:77], v[70:71]
	v_mul_f64_e32 v[74:75], v[72:73], v[72:73]
	s_delay_alu instid0(VALU_DEP_1) | instskip(SKIP_1) | instid1(VALU_DEP_2)
	v_fmamk_f64 v[82:83], v[74:75], 0x3fc3ab76bf559e2b, v[46:47]
	v_mul_f64_e32 v[84:85], v[72:73], v[74:75]
	v_fmaak_f64 v[82:83], v[74:75], v[82:83], 0x3fc7474dd7f4df2e
	s_delay_alu instid0(VALU_DEP_1) | instskip(NEXT) | instid1(VALU_DEP_1)
	v_fmaak_f64 v[82:83], v[74:75], v[82:83], 0x3fcc71c016291751
	v_fmaak_f64 v[82:83], v[74:75], v[82:83], 0x3fd249249b27acf1
	s_delay_alu instid0(VALU_DEP_1) | instskip(NEXT) | instid1(VALU_DEP_1)
	v_fmaak_f64 v[82:83], v[74:75], v[82:83], 0x3fd99999998ef7b6
	v_fmaak_f64 v[74:75], v[74:75], v[82:83], 0x3fe5555555555780
	v_ldexp_f64 v[82:83], v[72:73], 1
	v_add_f64_e64 v[72:73], v[72:73], -v[76:77]
	s_delay_alu instid0(VALU_DEP_3) | instskip(SKIP_1) | instid1(VALU_DEP_3)
	v_mul_f64_e32 v[74:75], v[84:85], v[74:75]
	v_cvt_f64_i32_e32 v[84:85], v81
	v_add_f64_e64 v[70:71], v[70:71], -v[72:73]
	s_delay_alu instid0(VALU_DEP_3) | instskip(NEXT) | instid1(VALU_DEP_3)
	v_add_f64_e32 v[76:77], v[82:83], v[74:75]
	v_mul_f64_e32 v[86:87], 0x3fe62e42fefa39ef, v[84:85]
	s_delay_alu instid0(VALU_DEP_3) | instskip(NEXT) | instid1(VALU_DEP_3)
	v_ldexp_f64 v[70:71], v[70:71], 1
	v_add_f64_e64 v[72:73], v[76:77], -v[82:83]
	s_delay_alu instid0(VALU_DEP_3) | instskip(NEXT) | instid1(VALU_DEP_2)
	v_fma_f64 v[82:83], v[84:85], s[22:23], -v[86:87]
	v_add_f64_e64 v[72:73], v[74:75], -v[72:73]
	s_delay_alu instid0(VALU_DEP_2) | instskip(NEXT) | instid1(VALU_DEP_2)
	v_fmac_f64_e32 v[82:83], 0x3c7abc9e3b39803f, v[84:85]
	v_add_f64_e32 v[70:71], v[70:71], v[72:73]
	s_delay_alu instid0(VALU_DEP_2) | instskip(NEXT) | instid1(VALU_DEP_2)
	v_add_f64_e32 v[72:73], v[86:87], v[82:83]
	v_add_f64_e32 v[74:75], v[76:77], v[70:71]
	s_delay_alu instid0(VALU_DEP_2) | instskip(NEXT) | instid1(VALU_DEP_2)
	v_add_f64_e64 v[86:87], v[72:73], -v[86:87]
	v_add_f64_e32 v[84:85], v[72:73], v[74:75]
	v_add_f64_e64 v[76:77], v[74:75], -v[76:77]
	s_delay_alu instid0(VALU_DEP_3) | instskip(NEXT) | instid1(VALU_DEP_3)
	v_add_f64_e64 v[82:83], v[82:83], -v[86:87]
	v_add_f64_e64 v[88:89], v[84:85], -v[72:73]
	s_delay_alu instid0(VALU_DEP_3) | instskip(NEXT) | instid1(VALU_DEP_2)
	v_add_f64_e64 v[70:71], v[70:71], -v[76:77]
	v_add_f64_e64 v[90:91], v[84:85], -v[88:89]
	;; [unrolled: 1-line block ×3, first 2 shown]
	s_delay_alu instid0(VALU_DEP_3) | instskip(NEXT) | instid1(VALU_DEP_3)
	v_add_f64_e32 v[76:77], v[82:83], v[70:71]
	v_add_f64_e64 v[72:73], v[72:73], -v[90:91]
	s_delay_alu instid0(VALU_DEP_1) | instskip(NEXT) | instid1(VALU_DEP_3)
	v_add_f64_e32 v[72:73], v[74:75], v[72:73]
	v_add_f64_e64 v[74:75], v[76:77], -v[82:83]
	s_delay_alu instid0(VALU_DEP_2) | instskip(NEXT) | instid1(VALU_DEP_2)
	v_add_f64_e32 v[72:73], v[76:77], v[72:73]
	v_add_f64_e64 v[76:77], v[76:77], -v[74:75]
	v_add_f64_e64 v[70:71], v[70:71], -v[74:75]
	s_delay_alu instid0(VALU_DEP_3) | instskip(NEXT) | instid1(VALU_DEP_3)
	v_add_f64_e32 v[86:87], v[84:85], v[72:73]
	v_add_f64_e64 v[74:75], v[82:83], -v[76:77]
	s_delay_alu instid0(VALU_DEP_2) | instskip(NEXT) | instid1(VALU_DEP_2)
	v_add_f64_e64 v[76:77], v[86:87], -v[84:85]
	v_add_f64_e32 v[70:71], v[70:71], v[74:75]
	s_delay_alu instid0(VALU_DEP_2) | instskip(NEXT) | instid1(VALU_DEP_1)
	v_add_f64_e64 v[72:73], v[72:73], -v[76:77]
	v_add_f64_e32 v[70:71], v[70:71], v[72:73]
	s_delay_alu instid0(VALU_DEP_1) | instskip(NEXT) | instid1(VALU_DEP_1)
	v_add_f64_e32 v[70:71], v[86:87], v[70:71]
	v_dual_cndmask_b32 v70, v70, v12 :: v_dual_cndmask_b32 v71, v71, v13
	v_cmp_neq_f64_e32 vcc_lo, 0, v[12:13]
	s_delay_alu instid0(VALU_DEP_2) | instskip(NEXT) | instid1(VALU_DEP_3)
	v_cndmask_b32_e32 v13, 0xfff00000, v71, vcc_lo
	v_cndmask_b32_e32 v12, 0, v70, vcc_lo
.LBB48_329:                             ;   in Loop: Header=BB48_4 Depth=1
	s_or_saveexec_b32 s48, s7
	v_and_b32_e32 v71, 0x7fffffff, v5
	v_mov_b32_e32 v70, v4
	s_xor_b32 exec_lo, exec_lo, s48
	s_cbranch_execz .LBB48_351
; %bb.330:                              ;   in Loop: Header=BB48_4 Depth=1
	v_cmp_neq_f64_e64 s7, |v[2:3]|, 1.0
	v_cmp_ngt_f64_e64 s8, 0x39000000, |v[4:5]|
                                        ; implicit-def: $vgpr12_vgpr13
	s_or_b32 s7, s8, s7
	s_delay_alu instid0(SALU_CYCLE_1) | instskip(NEXT) | instid1(SALU_CYCLE_1)
	s_and_saveexec_b32 s8, s7
	s_xor_b32 s49, exec_lo, s8
	s_cbranch_execz .LBB48_348
; %bb.331:                              ;   in Loop: Header=BB48_4 Depth=1
	v_ldexp_f64 v[12:13], |v[10:11]|, 0xffffffcc
	s_delay_alu instid0(VALU_DEP_1) | instskip(SKIP_1) | instid1(SALU_CYCLE_1)
	v_cmp_ge_f64_e64 s7, |v[4:5]|, v[12:13]
                                        ; implicit-def: $vgpr12_vgpr13
	s_and_saveexec_b32 s8, s7
	s_xor_b32 s50, exec_lo, s8
	s_cbranch_execz .LBB48_341
; %bb.332:                              ;   in Loop: Header=BB48_4 Depth=1
	v_mov_b64_e32 v[12:13], v[70:71]
	s_mov_b32 s7, exec_lo
	v_cmpx_neq_f64_e32 0, v[64:65]
	s_cbranch_execz .LBB48_334
; %bb.333:                              ;   in Loop: Header=BB48_4 Depth=1
	v_mul_f64_e32 v[12:13], v[4:5], v[4:5]
	v_add_f64_e32 v[72:73], v[64:65], v[68:69]
	s_delay_alu instid0(VALU_DEP_1) | instskip(NEXT) | instid1(VALU_DEP_1)
	v_div_scale_f64 v[74:75], null, v[72:73], v[72:73], v[12:13]
	v_rcp_f64_e32 v[76:77], v[74:75]
	v_nop
	s_delay_alu instid0(TRANS32_DEP_1) | instskip(NEXT) | instid1(VALU_DEP_1)
	v_fma_f64 v[82:83], -v[74:75], v[76:77], 1.0
	v_fmac_f64_e32 v[76:77], v[76:77], v[82:83]
	s_delay_alu instid0(VALU_DEP_1) | instskip(NEXT) | instid1(VALU_DEP_1)
	v_fma_f64 v[82:83], -v[74:75], v[76:77], 1.0
	v_fmac_f64_e32 v[76:77], v[76:77], v[82:83]
	v_div_scale_f64 v[82:83], vcc_lo, v[12:13], v[72:73], v[12:13]
	s_delay_alu instid0(VALU_DEP_1) | instskip(NEXT) | instid1(VALU_DEP_1)
	v_mul_f64_e32 v[84:85], v[82:83], v[76:77]
	v_fma_f64 v[74:75], -v[74:75], v[84:85], v[82:83]
	s_delay_alu instid0(VALU_DEP_1) | instskip(NEXT) | instid1(VALU_DEP_1)
	v_div_fmas_f64 v[74:75], v[74:75], v[76:77], v[84:85]
	v_div_fixup_f64 v[12:13], v[74:75], v[72:73], v[12:13]
.LBB48_334:                             ;   in Loop: Header=BB48_4 Depth=1
	s_or_b32 exec_lo, exec_lo, s7
	v_add_f64_e64 v[74:75], -|v[2:3]|, 1.0
	s_mov_b32 s7, exec_lo
                                        ; implicit-def: $vgpr72_vgpr73
	s_delay_alu instid0(VALU_DEP_1)
	v_cmpx_ngt_f64_e32 0, v[74:75]
	s_xor_b32 s7, exec_lo, s7
	s_cbranch_execz .LBB48_338
; %bb.335:                              ;   in Loop: Header=BB48_4 Depth=1
	v_mov_b64_e32 v[72:73], v[70:71]
	s_mov_b32 s8, exec_lo
	v_cmpx_neq_f64_e32 0, v[74:75]
	s_cbranch_execz .LBB48_337
; %bb.336:                              ;   in Loop: Header=BB48_4 Depth=1
	v_mul_f64_e32 v[72:73], v[4:5], v[4:5]
	v_add_f64_e32 v[74:75], v[74:75], v[66:67]
	s_delay_alu instid0(VALU_DEP_1) | instskip(NEXT) | instid1(VALU_DEP_1)
	v_div_scale_f64 v[76:77], null, v[74:75], v[74:75], v[72:73]
	v_rcp_f64_e32 v[82:83], v[76:77]
	v_nop
	s_delay_alu instid0(TRANS32_DEP_1) | instskip(NEXT) | instid1(VALU_DEP_1)
	v_fma_f64 v[84:85], -v[76:77], v[82:83], 1.0
	v_fmac_f64_e32 v[82:83], v[82:83], v[84:85]
	s_delay_alu instid0(VALU_DEP_1) | instskip(NEXT) | instid1(VALU_DEP_1)
	v_fma_f64 v[84:85], -v[76:77], v[82:83], 1.0
	v_fmac_f64_e32 v[82:83], v[82:83], v[84:85]
	v_div_scale_f64 v[84:85], vcc_lo, v[72:73], v[74:75], v[72:73]
	s_delay_alu instid0(VALU_DEP_1) | instskip(NEXT) | instid1(VALU_DEP_1)
	v_mul_f64_e32 v[86:87], v[84:85], v[82:83]
	v_fma_f64 v[76:77], -v[76:77], v[86:87], v[84:85]
	s_delay_alu instid0(VALU_DEP_1) | instskip(NEXT) | instid1(VALU_DEP_1)
	v_div_fmas_f64 v[76:77], v[76:77], v[82:83], v[86:87]
	v_div_fixup_f64 v[72:73], v[76:77], v[74:75], v[72:73]
.LBB48_337:                             ;   in Loop: Header=BB48_4 Depth=1
	s_or_b32 exec_lo, exec_lo, s8
                                        ; implicit-def: $vgpr74_vgpr75
.LBB48_338:                             ;   in Loop: Header=BB48_4 Depth=1
	s_and_not1_saveexec_b32 s7, s7
; %bb.339:                              ;   in Loop: Header=BB48_4 Depth=1
	v_add_f64_e64 v[72:73], v[66:67], -v[74:75]
; %bb.340:                              ;   in Loop: Header=BB48_4 Depth=1
	s_or_b32 exec_lo, exec_lo, s7
	s_delay_alu instid0(VALU_DEP_1) | instskip(SKIP_1) | instid1(VALU_DEP_2)
	v_mul_f64_e32 v[72:73], 0.5, v[72:73]
	v_add_f64_e32 v[74:75], 1.0, v[62:63]
	v_fmac_f64_e32 v[72:73], 0.5, v[12:13]
	s_delay_alu instid0(VALU_DEP_1) | instskip(NEXT) | instid1(VALU_DEP_1)
	v_mul_f64_e32 v[12:13], v[74:75], v[72:73]
	v_cmp_gt_f64_e32 vcc_lo, 0x10000000, v[12:13]
	v_cndmask_b32_e64 v74, 0, 0x100, vcc_lo
	s_delay_alu instid0(VALU_DEP_1) | instskip(NEXT) | instid1(VALU_DEP_1)
	v_ldexp_f64 v[12:13], v[12:13], v74
	v_rsq_f64_e32 v[74:75], v[12:13]
	v_nop
	s_delay_alu instid0(TRANS32_DEP_1) | instskip(SKIP_1) | instid1(VALU_DEP_1)
	v_mul_f64_e32 v[76:77], v[12:13], v[74:75]
	v_mul_f64_e32 v[74:75], 0.5, v[74:75]
	v_fma_f64 v[82:83], -v[74:75], v[76:77], 0.5
	s_delay_alu instid0(VALU_DEP_1) | instskip(SKIP_1) | instid1(VALU_DEP_2)
	v_fmac_f64_e32 v[76:77], v[76:77], v[82:83]
	v_fmac_f64_e32 v[74:75], v[74:75], v[82:83]
	v_fma_f64 v[82:83], -v[76:77], v[76:77], v[12:13]
	s_delay_alu instid0(VALU_DEP_1) | instskip(NEXT) | instid1(VALU_DEP_1)
	v_fmac_f64_e32 v[76:77], v[82:83], v[74:75]
	v_fma_f64 v[82:83], -v[76:77], v[76:77], v[12:13]
	s_delay_alu instid0(VALU_DEP_1) | instskip(SKIP_2) | instid1(VALU_DEP_2)
	v_fmac_f64_e32 v[76:77], v[82:83], v[74:75]
	v_cndmask_b32_e64 v74, 0, 0xffffff80, vcc_lo
	v_cmp_class_f64_e64 vcc_lo, v[12:13], 0x260
	v_ldexp_f64 v[74:75], v[76:77], v74
	s_delay_alu instid0(VALU_DEP_1) | instskip(NEXT) | instid1(VALU_DEP_1)
	v_dual_cndmask_b32 v13, v75, v13 :: v_dual_cndmask_b32 v12, v74, v12
	v_add_f64_e32 v[72:73], v[72:73], v[12:13]
	s_delay_alu instid0(VALU_DEP_1) | instskip(SKIP_2) | instid1(VALU_DEP_3)
	v_add_f64_e32 v[12:13], 1.0, v[72:73]
	v_cmp_neq_f64_e64 s7, 0x7ff00000, v[72:73]
	v_cmp_ngt_f64_e64 s8, -1.0, v[72:73]
	v_frexp_mant_f64_e32 v[74:75], v[12:13]
	v_frexp_exp_i32_f64_e32 v81, v[12:13]
	v_add_f64_e32 v[76:77], -1.0, v[12:13]
	s_delay_alu instid0(VALU_DEP_3) | instskip(NEXT) | instid1(VALU_DEP_2)
	v_cmp_gt_f64_e32 vcc_lo, s[20:21], v[74:75]
	v_add_f64_e64 v[74:75], v[76:77], -v[12:13]
	v_add_f64_e64 v[76:77], v[72:73], -v[76:77]
	v_subrev_co_ci_u32_e64 v81, null, 0, v81, vcc_lo
	s_delay_alu instid0(VALU_DEP_3) | instskip(SKIP_1) | instid1(VALU_DEP_3)
	v_add_f64_e32 v[74:75], 1.0, v[74:75]
	v_cmp_nge_f64_e32 vcc_lo, -1.0, v[72:73]
	v_sub_nc_u32_e32 v84, 0, v81
	s_delay_alu instid0(VALU_DEP_1) | instskip(NEXT) | instid1(VALU_DEP_4)
	v_ldexp_f64 v[12:13], v[12:13], v84
	v_add_f64_e32 v[74:75], v[76:77], v[74:75]
	s_and_b32 vcc_lo, vcc_lo, s7
	s_delay_alu instid0(VALU_DEP_2) | instskip(SKIP_1) | instid1(VALU_DEP_3)
	v_add_f64_e32 v[82:83], 1.0, v[12:13]
	v_add_f64_e32 v[88:89], -1.0, v[12:13]
	v_ldexp_f64 v[74:75], v[74:75], v84
	s_delay_alu instid0(VALU_DEP_3) | instskip(NEXT) | instid1(VALU_DEP_3)
	v_add_f64_e32 v[76:77], -1.0, v[82:83]
	v_add_f64_e32 v[90:91], 1.0, v[88:89]
	s_delay_alu instid0(VALU_DEP_2) | instskip(NEXT) | instid1(VALU_DEP_2)
	v_add_f64_e64 v[76:77], v[12:13], -v[76:77]
	v_add_f64_e64 v[12:13], v[12:13], -v[90:91]
	s_delay_alu instid0(VALU_DEP_2) | instskip(NEXT) | instid1(VALU_DEP_2)
	v_add_f64_e32 v[76:77], v[74:75], v[76:77]
	v_add_f64_e32 v[12:13], v[74:75], v[12:13]
	s_delay_alu instid0(VALU_DEP_2) | instskip(NEXT) | instid1(VALU_DEP_2)
	v_add_f64_e32 v[84:85], v[82:83], v[76:77]
	v_add_f64_e32 v[90:91], v[88:89], v[12:13]
	s_delay_alu instid0(VALU_DEP_2) | instskip(SKIP_1) | instid1(VALU_DEP_2)
	v_rcp_f64_e32 v[86:87], v[84:85]
	v_add_f64_e64 v[82:83], v[84:85], -v[82:83]
	v_add_f64_e64 v[88:89], v[90:91], -v[88:89]
	s_delay_alu instid0(VALU_DEP_2) | instskip(NEXT) | instid1(VALU_DEP_2)
	v_add_f64_e64 v[76:77], v[76:77], -v[82:83]
	v_add_f64_e64 v[12:13], v[12:13], -v[88:89]
	s_delay_alu instid0(TRANS32_DEP_1) | instskip(NEXT) | instid1(VALU_DEP_1)
	v_fma_f64 v[92:93], -v[84:85], v[86:87], 1.0
	v_fmac_f64_e32 v[86:87], v[92:93], v[86:87]
	s_delay_alu instid0(VALU_DEP_1) | instskip(NEXT) | instid1(VALU_DEP_1)
	v_fma_f64 v[74:75], -v[84:85], v[86:87], 1.0
	v_fmac_f64_e32 v[86:87], v[74:75], v[86:87]
	s_delay_alu instid0(VALU_DEP_1) | instskip(NEXT) | instid1(VALU_DEP_1)
	v_mul_f64_e32 v[74:75], v[90:91], v[86:87]
	v_mul_f64_e32 v[92:93], v[84:85], v[74:75]
	s_delay_alu instid0(VALU_DEP_1) | instskip(NEXT) | instid1(VALU_DEP_1)
	v_fma_f64 v[82:83], v[74:75], v[84:85], -v[92:93]
	v_fmac_f64_e32 v[82:83], v[74:75], v[76:77]
	s_delay_alu instid0(VALU_DEP_1) | instskip(NEXT) | instid1(VALU_DEP_1)
	v_add_f64_e32 v[94:95], v[92:93], v[82:83]
	v_add_f64_e64 v[96:97], v[90:91], -v[94:95]
	v_add_f64_e64 v[88:89], v[94:95], -v[92:93]
	s_delay_alu instid0(VALU_DEP_2) | instskip(NEXT) | instid1(VALU_DEP_2)
	v_add_f64_e64 v[90:91], v[90:91], -v[96:97]
	v_add_f64_e64 v[82:83], v[88:89], -v[82:83]
	s_delay_alu instid0(VALU_DEP_2) | instskip(NEXT) | instid1(VALU_DEP_1)
	v_add_f64_e64 v[90:91], v[90:91], -v[94:95]
	v_add_f64_e32 v[12:13], v[12:13], v[90:91]
	s_delay_alu instid0(VALU_DEP_1) | instskip(NEXT) | instid1(VALU_DEP_1)
	v_add_f64_e32 v[12:13], v[82:83], v[12:13]
	v_add_f64_e32 v[82:83], v[96:97], v[12:13]
	s_delay_alu instid0(VALU_DEP_1) | instskip(SKIP_1) | instid1(VALU_DEP_2)
	v_mul_f64_e32 v[88:89], v[86:87], v[82:83]
	v_add_f64_e64 v[94:95], v[96:97], -v[82:83]
	v_mul_f64_e32 v[90:91], v[84:85], v[88:89]
	s_delay_alu instid0(VALU_DEP_2) | instskip(NEXT) | instid1(VALU_DEP_2)
	v_add_f64_e32 v[12:13], v[12:13], v[94:95]
	v_fma_f64 v[84:85], v[88:89], v[84:85], -v[90:91]
	s_delay_alu instid0(VALU_DEP_1) | instskip(NEXT) | instid1(VALU_DEP_1)
	v_fmac_f64_e32 v[84:85], v[88:89], v[76:77]
	v_add_f64_e32 v[76:77], v[90:91], v[84:85]
	s_delay_alu instid0(VALU_DEP_1) | instskip(SKIP_1) | instid1(VALU_DEP_2)
	v_add_f64_e64 v[92:93], v[82:83], -v[76:77]
	v_add_f64_e64 v[90:91], v[76:77], -v[90:91]
	;; [unrolled: 1-line block ×3, first 2 shown]
	s_delay_alu instid0(VALU_DEP_1) | instskip(NEXT) | instid1(VALU_DEP_3)
	v_add_f64_e64 v[76:77], v[82:83], -v[76:77]
	v_add_f64_e64 v[82:83], v[90:91], -v[84:85]
	s_delay_alu instid0(VALU_DEP_2) | instskip(SKIP_1) | instid1(VALU_DEP_2)
	v_add_f64_e32 v[12:13], v[12:13], v[76:77]
	v_add_f64_e32 v[76:77], v[74:75], v[88:89]
	;; [unrolled: 1-line block ×3, first 2 shown]
	s_delay_alu instid0(VALU_DEP_2) | instskip(NEXT) | instid1(VALU_DEP_2)
	v_add_f64_e64 v[74:75], v[76:77], -v[74:75]
	v_add_f64_e32 v[12:13], v[92:93], v[12:13]
	s_delay_alu instid0(VALU_DEP_2) | instskip(NEXT) | instid1(VALU_DEP_2)
	v_add_f64_e64 v[74:75], v[88:89], -v[74:75]
	v_mul_f64_e32 v[12:13], v[86:87], v[12:13]
	s_delay_alu instid0(VALU_DEP_1) | instskip(NEXT) | instid1(VALU_DEP_1)
	v_add_f64_e32 v[12:13], v[74:75], v[12:13]
	v_add_f64_e32 v[74:75], v[76:77], v[12:13]
	s_delay_alu instid0(VALU_DEP_1) | instskip(NEXT) | instid1(VALU_DEP_1)
	v_mul_f64_e32 v[82:83], v[74:75], v[74:75]
	v_fmamk_f64 v[84:85], v[82:83], 0x3fc3ab76bf559e2b, v[46:47]
	v_mul_f64_e32 v[86:87], v[74:75], v[82:83]
	s_delay_alu instid0(VALU_DEP_2) | instskip(NEXT) | instid1(VALU_DEP_1)
	v_fmaak_f64 v[84:85], v[82:83], v[84:85], 0x3fc7474dd7f4df2e
	v_fmaak_f64 v[84:85], v[82:83], v[84:85], 0x3fcc71c016291751
	s_delay_alu instid0(VALU_DEP_1) | instskip(NEXT) | instid1(VALU_DEP_1)
	v_fmaak_f64 v[84:85], v[82:83], v[84:85], 0x3fd249249b27acf1
	v_fmaak_f64 v[84:85], v[82:83], v[84:85], 0x3fd99999998ef7b6
	s_delay_alu instid0(VALU_DEP_1) | instskip(SKIP_2) | instid1(VALU_DEP_3)
	v_fmaak_f64 v[82:83], v[82:83], v[84:85], 0x3fe5555555555780
	v_ldexp_f64 v[84:85], v[74:75], 1
	v_add_f64_e64 v[74:75], v[74:75], -v[76:77]
	v_mul_f64_e32 v[82:83], v[86:87], v[82:83]
	v_cvt_f64_i32_e32 v[86:87], v81
	s_delay_alu instid0(VALU_DEP_3) | instskip(NEXT) | instid1(VALU_DEP_3)
	v_add_f64_e64 v[12:13], v[12:13], -v[74:75]
	v_add_f64_e32 v[76:77], v[84:85], v[82:83]
	s_delay_alu instid0(VALU_DEP_3) | instskip(NEXT) | instid1(VALU_DEP_3)
	v_mul_f64_e32 v[88:89], 0x3fe62e42fefa39ef, v[86:87]
	v_ldexp_f64 v[12:13], v[12:13], 1
	s_delay_alu instid0(VALU_DEP_3) | instskip(NEXT) | instid1(VALU_DEP_3)
	v_add_f64_e64 v[74:75], v[76:77], -v[84:85]
	v_fma_f64 v[84:85], v[86:87], s[22:23], -v[88:89]
	s_delay_alu instid0(VALU_DEP_2) | instskip(NEXT) | instid1(VALU_DEP_2)
	v_add_f64_e64 v[74:75], v[82:83], -v[74:75]
	v_fmac_f64_e32 v[84:85], 0x3c7abc9e3b39803f, v[86:87]
	s_delay_alu instid0(VALU_DEP_2) | instskip(NEXT) | instid1(VALU_DEP_2)
	v_add_f64_e32 v[12:13], v[12:13], v[74:75]
	v_add_f64_e32 v[74:75], v[88:89], v[84:85]
	s_delay_alu instid0(VALU_DEP_2) | instskip(NEXT) | instid1(VALU_DEP_2)
	v_add_f64_e32 v[82:83], v[76:77], v[12:13]
	v_add_f64_e64 v[88:89], v[74:75], -v[88:89]
	s_delay_alu instid0(VALU_DEP_2) | instskip(SKIP_1) | instid1(VALU_DEP_3)
	v_add_f64_e32 v[86:87], v[74:75], v[82:83]
	v_add_f64_e64 v[76:77], v[82:83], -v[76:77]
	v_add_f64_e64 v[84:85], v[84:85], -v[88:89]
	s_delay_alu instid0(VALU_DEP_3) | instskip(NEXT) | instid1(VALU_DEP_3)
	v_add_f64_e64 v[90:91], v[86:87], -v[74:75]
	v_add_f64_e64 v[12:13], v[12:13], -v[76:77]
	s_delay_alu instid0(VALU_DEP_2) | instskip(SKIP_1) | instid1(VALU_DEP_3)
	v_add_f64_e64 v[92:93], v[86:87], -v[90:91]
	v_add_f64_e64 v[76:77], v[82:83], -v[90:91]
	v_add_f64_e32 v[82:83], v[84:85], v[12:13]
	s_delay_alu instid0(VALU_DEP_3) | instskip(NEXT) | instid1(VALU_DEP_1)
	v_add_f64_e64 v[74:75], v[74:75], -v[92:93]
	v_add_f64_e32 v[74:75], v[76:77], v[74:75]
	s_delay_alu instid0(VALU_DEP_3) | instskip(NEXT) | instid1(VALU_DEP_2)
	v_add_f64_e64 v[76:77], v[82:83], -v[84:85]
	v_add_f64_e32 v[74:75], v[82:83], v[74:75]
	s_delay_alu instid0(VALU_DEP_2) | instskip(SKIP_1) | instid1(VALU_DEP_3)
	v_add_f64_e64 v[82:83], v[82:83], -v[76:77]
	v_add_f64_e64 v[12:13], v[12:13], -v[76:77]
	v_add_f64_e32 v[88:89], v[86:87], v[74:75]
	s_delay_alu instid0(VALU_DEP_3) | instskip(NEXT) | instid1(VALU_DEP_2)
	v_add_f64_e64 v[82:83], v[84:85], -v[82:83]
	v_add_f64_e64 v[76:77], v[88:89], -v[86:87]
	s_delay_alu instid0(VALU_DEP_2) | instskip(NEXT) | instid1(VALU_DEP_2)
	v_add_f64_e32 v[12:13], v[12:13], v[82:83]
	v_add_f64_e64 v[74:75], v[74:75], -v[76:77]
	s_delay_alu instid0(VALU_DEP_1) | instskip(NEXT) | instid1(VALU_DEP_1)
	v_add_f64_e32 v[12:13], v[12:13], v[74:75]
	v_add_f64_e32 v[12:13], v[88:89], v[12:13]
	s_delay_alu instid0(VALU_DEP_1) | instskip(SKIP_1) | instid1(VALU_DEP_3)
	v_cndmask_b32_e32 v12, 0, v12, vcc_lo
	v_cmp_neq_f64_e32 vcc_lo, -1.0, v[72:73]
	v_cndmask_b32_e64 v13, 0x7ff00000, v13, s7
	s_delay_alu instid0(VALU_DEP_1) | instskip(NEXT) | instid1(VALU_DEP_1)
	v_cndmask_b32_e64 v13, 0x7ff80000, v13, s8
	v_cndmask_b32_e32 v13, 0xfff00000, v13, vcc_lo
.LBB48_341:                             ;   in Loop: Header=BB48_4 Depth=1
	s_and_not1_saveexec_b32 s50, s50
	s_cbranch_execz .LBB48_347
; %bb.342:                              ;   in Loop: Header=BB48_4 Depth=1
                                        ; implicit-def: $vgpr12_vgpr13
	s_mov_b32 s8, exec_lo
	v_cmpx_nlt_f64_e64 |v[2:3]|, 1.0
	s_xor_b32 s51, exec_lo, s8
	s_cbranch_execz .LBB48_344
; %bb.343:                              ;   in Loop: Header=BB48_4 Depth=1
	v_mul_f64_e32 v[12:13], v[10:11], v[64:65]
	s_delay_alu instid0(VALU_DEP_1) | instskip(SKIP_1) | instid1(VALU_DEP_1)
	v_cmp_gt_f64_e32 vcc_lo, 0x10000000, v[12:13]
	v_cndmask_b32_e64 v72, 0, 0x100, vcc_lo
	v_ldexp_f64 v[12:13], v[12:13], v72
	s_delay_alu instid0(VALU_DEP_1) | instskip(SKIP_1) | instid1(TRANS32_DEP_1)
	v_rsq_f64_e32 v[72:73], v[12:13]
	v_nop
	v_mul_f64_e32 v[74:75], v[12:13], v[72:73]
	v_mul_f64_e32 v[72:73], 0.5, v[72:73]
	s_delay_alu instid0(VALU_DEP_1) | instskip(NEXT) | instid1(VALU_DEP_1)
	v_fma_f64 v[76:77], -v[72:73], v[74:75], 0.5
	v_fmac_f64_e32 v[74:75], v[74:75], v[76:77]
	v_fmac_f64_e32 v[72:73], v[72:73], v[76:77]
	s_delay_alu instid0(VALU_DEP_2) | instskip(NEXT) | instid1(VALU_DEP_1)
	v_fma_f64 v[76:77], -v[74:75], v[74:75], v[12:13]
	v_fmac_f64_e32 v[74:75], v[76:77], v[72:73]
	s_delay_alu instid0(VALU_DEP_1) | instskip(NEXT) | instid1(VALU_DEP_1)
	v_fma_f64 v[76:77], -v[74:75], v[74:75], v[12:13]
	v_fmac_f64_e32 v[74:75], v[76:77], v[72:73]
	v_cndmask_b32_e64 v72, 0, 0xffffff80, vcc_lo
	v_cmp_class_f64_e64 vcc_lo, v[12:13], 0x260
	s_delay_alu instid0(VALU_DEP_2) | instskip(NEXT) | instid1(VALU_DEP_1)
	v_ldexp_f64 v[72:73], v[74:75], v72
	v_dual_cndmask_b32 v13, v73, v13 :: v_dual_cndmask_b32 v12, v72, v12
	s_delay_alu instid0(VALU_DEP_1) | instskip(NEXT) | instid1(VALU_DEP_1)
	v_add_f64_e32 v[72:73], v[10:11], v[12:13]
	v_add_f64_e32 v[12:13], 1.0, v[72:73]
	v_cmp_neq_f64_e64 s7, 0x7ff00000, v[72:73]
	v_cmp_ngt_f64_e64 s8, -1.0, v[72:73]
	s_delay_alu instid0(VALU_DEP_3) | instskip(SKIP_2) | instid1(VALU_DEP_3)
	v_frexp_mant_f64_e32 v[74:75], v[12:13]
	v_add_f64_e32 v[76:77], -1.0, v[12:13]
	v_frexp_exp_i32_f64_e32 v81, v[12:13]
	v_cmp_gt_f64_e32 vcc_lo, s[20:21], v[74:75]
	s_delay_alu instid0(VALU_DEP_3) | instskip(SKIP_1) | instid1(VALU_DEP_4)
	v_add_f64_e64 v[74:75], v[76:77], -v[12:13]
	v_add_f64_e64 v[76:77], v[72:73], -v[76:77]
	v_subrev_co_ci_u32_e64 v81, null, 0, v81, vcc_lo
	v_cmp_nge_f64_e32 vcc_lo, -1.0, v[72:73]
	s_delay_alu instid0(VALU_DEP_2) | instskip(NEXT) | instid1(VALU_DEP_1)
	v_dual_add_f64 v[74:75], 1.0, v[74:75] :: v_dual_sub_nc_u32 v84, 0, v81
	v_ldexp_f64 v[12:13], v[12:13], v84
	s_and_b32 vcc_lo, vcc_lo, s7
	s_delay_alu instid0(VALU_DEP_2) | instskip(NEXT) | instid1(VALU_DEP_2)
	v_add_f64_e32 v[74:75], v[76:77], v[74:75]
	v_add_f64_e32 v[82:83], 1.0, v[12:13]
	v_add_f64_e32 v[88:89], -1.0, v[12:13]
	s_delay_alu instid0(VALU_DEP_3) | instskip(NEXT) | instid1(VALU_DEP_3)
	v_ldexp_f64 v[74:75], v[74:75], v84
	v_add_f64_e32 v[76:77], -1.0, v[82:83]
	s_delay_alu instid0(VALU_DEP_3) | instskip(NEXT) | instid1(VALU_DEP_2)
	v_add_f64_e32 v[90:91], 1.0, v[88:89]
	v_add_f64_e64 v[76:77], v[12:13], -v[76:77]
	s_delay_alu instid0(VALU_DEP_2) | instskip(NEXT) | instid1(VALU_DEP_2)
	v_add_f64_e64 v[12:13], v[12:13], -v[90:91]
	v_add_f64_e32 v[76:77], v[74:75], v[76:77]
	s_delay_alu instid0(VALU_DEP_2) | instskip(NEXT) | instid1(VALU_DEP_2)
	v_add_f64_e32 v[12:13], v[74:75], v[12:13]
	v_add_f64_e32 v[84:85], v[82:83], v[76:77]
	s_delay_alu instid0(VALU_DEP_2) | instskip(NEXT) | instid1(VALU_DEP_2)
	v_add_f64_e32 v[90:91], v[88:89], v[12:13]
	v_rcp_f64_e32 v[86:87], v[84:85]
	v_add_f64_e64 v[82:83], v[84:85], -v[82:83]
	s_delay_alu instid0(VALU_DEP_2) | instskip(NEXT) | instid1(VALU_DEP_2)
	v_add_f64_e64 v[88:89], v[90:91], -v[88:89]
	v_add_f64_e64 v[76:77], v[76:77], -v[82:83]
	s_delay_alu instid0(VALU_DEP_2) | instskip(NEXT) | instid1(TRANS32_DEP_1)
	v_add_f64_e64 v[12:13], v[12:13], -v[88:89]
	v_fma_f64 v[92:93], -v[84:85], v[86:87], 1.0
	s_delay_alu instid0(VALU_DEP_1) | instskip(NEXT) | instid1(VALU_DEP_1)
	v_fmac_f64_e32 v[86:87], v[92:93], v[86:87]
	v_fma_f64 v[74:75], -v[84:85], v[86:87], 1.0
	s_delay_alu instid0(VALU_DEP_1) | instskip(NEXT) | instid1(VALU_DEP_1)
	v_fmac_f64_e32 v[86:87], v[74:75], v[86:87]
	v_mul_f64_e32 v[74:75], v[90:91], v[86:87]
	s_delay_alu instid0(VALU_DEP_1) | instskip(NEXT) | instid1(VALU_DEP_1)
	v_mul_f64_e32 v[92:93], v[84:85], v[74:75]
	v_fma_f64 v[82:83], v[74:75], v[84:85], -v[92:93]
	s_delay_alu instid0(VALU_DEP_1) | instskip(NEXT) | instid1(VALU_DEP_1)
	v_fmac_f64_e32 v[82:83], v[74:75], v[76:77]
	v_add_f64_e32 v[94:95], v[92:93], v[82:83]
	s_delay_alu instid0(VALU_DEP_1) | instskip(SKIP_1) | instid1(VALU_DEP_2)
	v_add_f64_e64 v[96:97], v[90:91], -v[94:95]
	v_add_f64_e64 v[88:89], v[94:95], -v[92:93]
	v_add_f64_e64 v[90:91], v[90:91], -v[96:97]
	s_delay_alu instid0(VALU_DEP_2) | instskip(NEXT) | instid1(VALU_DEP_2)
	v_add_f64_e64 v[82:83], v[88:89], -v[82:83]
	v_add_f64_e64 v[90:91], v[90:91], -v[94:95]
	s_delay_alu instid0(VALU_DEP_1) | instskip(NEXT) | instid1(VALU_DEP_1)
	v_add_f64_e32 v[12:13], v[12:13], v[90:91]
	v_add_f64_e32 v[12:13], v[82:83], v[12:13]
	s_delay_alu instid0(VALU_DEP_1) | instskip(NEXT) | instid1(VALU_DEP_1)
	v_add_f64_e32 v[82:83], v[96:97], v[12:13]
	v_mul_f64_e32 v[88:89], v[86:87], v[82:83]
	v_add_f64_e64 v[94:95], v[96:97], -v[82:83]
	s_delay_alu instid0(VALU_DEP_2) | instskip(NEXT) | instid1(VALU_DEP_2)
	v_mul_f64_e32 v[90:91], v[84:85], v[88:89]
	v_add_f64_e32 v[12:13], v[12:13], v[94:95]
	s_delay_alu instid0(VALU_DEP_2) | instskip(NEXT) | instid1(VALU_DEP_1)
	v_fma_f64 v[84:85], v[88:89], v[84:85], -v[90:91]
	v_fmac_f64_e32 v[84:85], v[88:89], v[76:77]
	s_delay_alu instid0(VALU_DEP_1) | instskip(NEXT) | instid1(VALU_DEP_1)
	v_add_f64_e32 v[76:77], v[90:91], v[84:85]
	v_add_f64_e64 v[92:93], v[82:83], -v[76:77]
	v_add_f64_e64 v[90:91], v[76:77], -v[90:91]
	s_delay_alu instid0(VALU_DEP_2) | instskip(NEXT) | instid1(VALU_DEP_1)
	v_add_f64_e64 v[82:83], v[82:83], -v[92:93]
	v_add_f64_e64 v[76:77], v[82:83], -v[76:77]
	s_delay_alu instid0(VALU_DEP_3) | instskip(NEXT) | instid1(VALU_DEP_2)
	v_add_f64_e64 v[82:83], v[90:91], -v[84:85]
	v_add_f64_e32 v[12:13], v[12:13], v[76:77]
	v_add_f64_e32 v[76:77], v[74:75], v[88:89]
	s_delay_alu instid0(VALU_DEP_2) | instskip(NEXT) | instid1(VALU_DEP_2)
	v_add_f64_e32 v[12:13], v[82:83], v[12:13]
	v_add_f64_e64 v[74:75], v[76:77], -v[74:75]
	s_delay_alu instid0(VALU_DEP_2) | instskip(NEXT) | instid1(VALU_DEP_2)
	v_add_f64_e32 v[12:13], v[92:93], v[12:13]
	v_add_f64_e64 v[74:75], v[88:89], -v[74:75]
	s_delay_alu instid0(VALU_DEP_2) | instskip(NEXT) | instid1(VALU_DEP_1)
	v_mul_f64_e32 v[12:13], v[86:87], v[12:13]
	v_add_f64_e32 v[12:13], v[74:75], v[12:13]
	s_delay_alu instid0(VALU_DEP_1) | instskip(NEXT) | instid1(VALU_DEP_1)
	v_add_f64_e32 v[74:75], v[76:77], v[12:13]
	v_mul_f64_e32 v[82:83], v[74:75], v[74:75]
	s_delay_alu instid0(VALU_DEP_1) | instskip(SKIP_1) | instid1(VALU_DEP_2)
	v_fmamk_f64 v[84:85], v[82:83], 0x3fc3ab76bf559e2b, v[46:47]
	v_mul_f64_e32 v[86:87], v[74:75], v[82:83]
	v_fmaak_f64 v[84:85], v[82:83], v[84:85], 0x3fc7474dd7f4df2e
	s_delay_alu instid0(VALU_DEP_1) | instskip(NEXT) | instid1(VALU_DEP_1)
	v_fmaak_f64 v[84:85], v[82:83], v[84:85], 0x3fcc71c016291751
	v_fmaak_f64 v[84:85], v[82:83], v[84:85], 0x3fd249249b27acf1
	s_delay_alu instid0(VALU_DEP_1) | instskip(NEXT) | instid1(VALU_DEP_1)
	v_fmaak_f64 v[84:85], v[82:83], v[84:85], 0x3fd99999998ef7b6
	v_fmaak_f64 v[82:83], v[82:83], v[84:85], 0x3fe5555555555780
	v_ldexp_f64 v[84:85], v[74:75], 1
	v_add_f64_e64 v[74:75], v[74:75], -v[76:77]
	s_delay_alu instid0(VALU_DEP_3) | instskip(SKIP_1) | instid1(VALU_DEP_3)
	v_mul_f64_e32 v[82:83], v[86:87], v[82:83]
	v_cvt_f64_i32_e32 v[86:87], v81
	v_add_f64_e64 v[12:13], v[12:13], -v[74:75]
	s_delay_alu instid0(VALU_DEP_3) | instskip(NEXT) | instid1(VALU_DEP_3)
	v_add_f64_e32 v[76:77], v[84:85], v[82:83]
	v_mul_f64_e32 v[88:89], 0x3fe62e42fefa39ef, v[86:87]
	s_delay_alu instid0(VALU_DEP_3) | instskip(NEXT) | instid1(VALU_DEP_3)
	v_ldexp_f64 v[12:13], v[12:13], 1
	v_add_f64_e64 v[74:75], v[76:77], -v[84:85]
	s_delay_alu instid0(VALU_DEP_3) | instskip(NEXT) | instid1(VALU_DEP_2)
	v_fma_f64 v[84:85], v[86:87], s[22:23], -v[88:89]
	v_add_f64_e64 v[74:75], v[82:83], -v[74:75]
	s_delay_alu instid0(VALU_DEP_2) | instskip(NEXT) | instid1(VALU_DEP_2)
	v_fmac_f64_e32 v[84:85], 0x3c7abc9e3b39803f, v[86:87]
	v_add_f64_e32 v[12:13], v[12:13], v[74:75]
	s_delay_alu instid0(VALU_DEP_2) | instskip(NEXT) | instid1(VALU_DEP_2)
	v_add_f64_e32 v[74:75], v[88:89], v[84:85]
	v_add_f64_e32 v[82:83], v[76:77], v[12:13]
	s_delay_alu instid0(VALU_DEP_2) | instskip(NEXT) | instid1(VALU_DEP_2)
	v_add_f64_e64 v[88:89], v[74:75], -v[88:89]
	v_add_f64_e32 v[86:87], v[74:75], v[82:83]
	v_add_f64_e64 v[76:77], v[82:83], -v[76:77]
	s_delay_alu instid0(VALU_DEP_3) | instskip(NEXT) | instid1(VALU_DEP_3)
	v_add_f64_e64 v[84:85], v[84:85], -v[88:89]
	v_add_f64_e64 v[90:91], v[86:87], -v[74:75]
	s_delay_alu instid0(VALU_DEP_3) | instskip(NEXT) | instid1(VALU_DEP_2)
	v_add_f64_e64 v[12:13], v[12:13], -v[76:77]
	v_add_f64_e64 v[92:93], v[86:87], -v[90:91]
	;; [unrolled: 1-line block ×3, first 2 shown]
	s_delay_alu instid0(VALU_DEP_3) | instskip(NEXT) | instid1(VALU_DEP_3)
	v_add_f64_e32 v[82:83], v[84:85], v[12:13]
	v_add_f64_e64 v[74:75], v[74:75], -v[92:93]
	s_delay_alu instid0(VALU_DEP_1) | instskip(NEXT) | instid1(VALU_DEP_3)
	v_add_f64_e32 v[74:75], v[76:77], v[74:75]
	v_add_f64_e64 v[76:77], v[82:83], -v[84:85]
	s_delay_alu instid0(VALU_DEP_2) | instskip(NEXT) | instid1(VALU_DEP_2)
	v_add_f64_e32 v[74:75], v[82:83], v[74:75]
	v_add_f64_e64 v[82:83], v[82:83], -v[76:77]
	v_add_f64_e64 v[12:13], v[12:13], -v[76:77]
	s_delay_alu instid0(VALU_DEP_3) | instskip(NEXT) | instid1(VALU_DEP_3)
	v_add_f64_e32 v[88:89], v[86:87], v[74:75]
	v_add_f64_e64 v[82:83], v[84:85], -v[82:83]
	s_delay_alu instid0(VALU_DEP_2) | instskip(NEXT) | instid1(VALU_DEP_2)
	v_add_f64_e64 v[76:77], v[88:89], -v[86:87]
	v_add_f64_e32 v[12:13], v[12:13], v[82:83]
	s_delay_alu instid0(VALU_DEP_2) | instskip(NEXT) | instid1(VALU_DEP_1)
	v_add_f64_e64 v[74:75], v[74:75], -v[76:77]
	v_add_f64_e32 v[12:13], v[12:13], v[74:75]
	s_delay_alu instid0(VALU_DEP_1) | instskip(NEXT) | instid1(VALU_DEP_1)
	v_add_f64_e32 v[12:13], v[88:89], v[12:13]
	v_cndmask_b32_e32 v12, 0, v12, vcc_lo
	v_cmp_neq_f64_e32 vcc_lo, -1.0, v[72:73]
	s_delay_alu instid0(VALU_DEP_3) | instskip(NEXT) | instid1(VALU_DEP_1)
	v_cndmask_b32_e64 v13, 0x7ff00000, v13, s7
	v_cndmask_b32_e64 v13, 0x7ff80000, v13, s8
	s_delay_alu instid0(VALU_DEP_1)
	v_cndmask_b32_e32 v13, 0xfff00000, v13, vcc_lo
.LBB48_344:                             ;   in Loop: Header=BB48_4 Depth=1
	s_and_not1_saveexec_b32 s7, s51
	s_cbranch_execz .LBB48_346
; %bb.345:                              ;   in Loop: Header=BB48_4 Depth=1
	v_add_f64_e64 v[12:13], -|v[2:3]|, 1.0
	s_delay_alu instid0(VALU_DEP_1) | instskip(NEXT) | instid1(VALU_DEP_1)
	v_mul_f64_e32 v[12:13], v[12:13], v[64:65]
	v_cmp_gt_f64_e32 vcc_lo, 0x10000000, v[12:13]
	v_cndmask_b32_e64 v72, 0, 0x100, vcc_lo
	s_delay_alu instid0(VALU_DEP_1) | instskip(NEXT) | instid1(VALU_DEP_1)
	v_ldexp_f64 v[12:13], v[12:13], v72
	v_rsq_f64_e32 v[72:73], v[12:13]
	v_nop
	s_delay_alu instid0(TRANS32_DEP_1) | instskip(SKIP_1) | instid1(VALU_DEP_1)
	v_mul_f64_e32 v[74:75], v[12:13], v[72:73]
	v_mul_f64_e32 v[72:73], 0.5, v[72:73]
	v_fma_f64 v[76:77], -v[72:73], v[74:75], 0.5
	s_delay_alu instid0(VALU_DEP_1) | instskip(SKIP_1) | instid1(VALU_DEP_2)
	v_fmac_f64_e32 v[74:75], v[74:75], v[76:77]
	v_fmac_f64_e32 v[72:73], v[72:73], v[76:77]
	v_fma_f64 v[76:77], -v[74:75], v[74:75], v[12:13]
	s_delay_alu instid0(VALU_DEP_1) | instskip(NEXT) | instid1(VALU_DEP_1)
	v_fmac_f64_e32 v[74:75], v[76:77], v[72:73]
	v_fma_f64 v[76:77], -v[74:75], v[74:75], v[12:13]
	s_delay_alu instid0(VALU_DEP_1) | instskip(SKIP_2) | instid1(VALU_DEP_2)
	v_fmac_f64_e32 v[74:75], v[76:77], v[72:73]
	v_cndmask_b32_e64 v72, 0, 0xffffff80, vcc_lo
	v_cmp_class_f64_e64 vcc_lo, v[12:13], 0x260
	v_ldexp_f64 v[72:73], v[74:75], v72
	v_dual_mov_b32 v74, v4 :: v_dual_mov_b32 v75, v71
	s_delay_alu instid0(VALU_DEP_2) | instskip(NEXT) | instid1(VALU_DEP_1)
	v_dual_cndmask_b32 v13, v73, v13 :: v_dual_cndmask_b32 v12, v72, v12
	v_div_scale_f64 v[72:73], null, v[12:13], v[12:13], v[74:75]
	v_div_scale_f64 v[74:75], vcc_lo, v[74:75], v[12:13], v[74:75]
	s_delay_alu instid0(VALU_DEP_2) | instskip(SKIP_1) | instid1(TRANS32_DEP_1)
	v_rcp_f64_e32 v[76:77], v[72:73]
	v_nop
	v_fma_f64 v[82:83], -v[72:73], v[76:77], 1.0
	s_delay_alu instid0(VALU_DEP_1) | instskip(NEXT) | instid1(VALU_DEP_1)
	v_fmac_f64_e32 v[76:77], v[76:77], v[82:83]
	v_fma_f64 v[82:83], -v[72:73], v[76:77], 1.0
	s_delay_alu instid0(VALU_DEP_1) | instskip(NEXT) | instid1(VALU_DEP_1)
	v_fmac_f64_e32 v[76:77], v[76:77], v[82:83]
	v_mul_f64_e32 v[82:83], v[74:75], v[76:77]
	s_delay_alu instid0(VALU_DEP_1) | instskip(NEXT) | instid1(VALU_DEP_1)
	v_fma_f64 v[72:73], -v[72:73], v[82:83], v[74:75]
	v_div_fmas_f64 v[72:73], v[72:73], v[76:77], v[82:83]
	s_delay_alu instid0(VALU_DEP_1)
	v_div_fixup_f64 v[12:13], v[72:73], v[12:13], |v[4:5]|
.LBB48_346:                             ;   in Loop: Header=BB48_4 Depth=1
	s_or_b32 exec_lo, exec_lo, s7
.LBB48_347:                             ;   in Loop: Header=BB48_4 Depth=1
	s_delay_alu instid0(SALU_CYCLE_1)
	s_or_b32 exec_lo, exec_lo, s50
.LBB48_348:                             ;   in Loop: Header=BB48_4 Depth=1
	s_and_not1_saveexec_b32 s7, s49
	s_cbranch_execz .LBB48_350
; %bb.349:                              ;   in Loop: Header=BB48_4 Depth=1
	v_cmp_gt_f64_e64 s8, 0x10000000, |v[4:5]|
	s_delay_alu instid0(VALU_DEP_1) | instskip(NEXT) | instid1(VALU_DEP_1)
	v_cndmask_b32_e64 v12, 0, 0x100, s8
	v_ldexp_f64 v[12:13], |v[4:5]|, v12
	s_delay_alu instid0(VALU_DEP_1) | instskip(SKIP_1) | instid1(TRANS32_DEP_1)
	v_rsq_f64_e32 v[72:73], v[12:13]
	v_cmp_class_f64_e64 vcc_lo, v[12:13], 0x260
	v_mul_f64_e32 v[74:75], v[12:13], v[72:73]
	v_mul_f64_e32 v[72:73], 0.5, v[72:73]
	s_delay_alu instid0(VALU_DEP_1) | instskip(NEXT) | instid1(VALU_DEP_1)
	v_fma_f64 v[76:77], -v[72:73], v[74:75], 0.5
	v_fmac_f64_e32 v[74:75], v[74:75], v[76:77]
	v_fmac_f64_e32 v[72:73], v[72:73], v[76:77]
	s_delay_alu instid0(VALU_DEP_2) | instskip(NEXT) | instid1(VALU_DEP_1)
	v_fma_f64 v[76:77], -v[74:75], v[74:75], v[12:13]
	v_fmac_f64_e32 v[74:75], v[76:77], v[72:73]
	s_delay_alu instid0(VALU_DEP_1) | instskip(NEXT) | instid1(VALU_DEP_1)
	v_fma_f64 v[76:77], -v[74:75], v[74:75], v[12:13]
	v_fmac_f64_e32 v[74:75], v[76:77], v[72:73]
	v_cndmask_b32_e64 v72, 0, 0xffffff80, s8
	s_delay_alu instid0(VALU_DEP_1) | instskip(NEXT) | instid1(VALU_DEP_1)
	v_ldexp_f64 v[72:73], v[74:75], v72
	v_dual_cndmask_b32 v13, v73, v13 :: v_dual_cndmask_b32 v12, v72, v12
.LBB48_350:                             ;   in Loop: Header=BB48_4 Depth=1
	s_or_b32 exec_lo, exec_lo, s7
.LBB48_351:                             ;   in Loop: Header=BB48_4 Depth=1
	s_delay_alu instid0(SALU_CYCLE_1) | instskip(SKIP_2) | instid1(SALU_CYCLE_1)
	s_or_b32 exec_lo, exec_lo, s48
	v_cmp_ngt_f64_e64 s8, 0x20200000, |v[2:3]|
                                        ; implicit-def: $sgpr7
                                        ; implicit-def: $vgpr72_vgpr73
                                        ; implicit-def: $vgpr76_vgpr77
                                        ; implicit-def: $vgpr74_vgpr75
	s_and_saveexec_b32 s48, s8
	s_xor_b32 s8, exec_lo, s48
	s_cbranch_execz .LBB48_375
; %bb.352:                              ;   in Loop: Header=BB48_4 Depth=1
	v_and_b32_e32 v75, 0x7fffffff, v3
	v_mov_b32_e32 v74, v2
	s_mov_b32 s7, 0
	s_mov_b32 s48, exec_lo
	s_delay_alu instid0(VALU_DEP_1) | instskip(NEXT) | instid1(VALU_DEP_1)
	v_div_scale_f64 v[72:73], null, v[62:63], v[62:63], v[74:75]
	v_rcp_f64_e32 v[76:77], v[72:73]
	v_nop
	s_delay_alu instid0(TRANS32_DEP_1) | instskip(NEXT) | instid1(VALU_DEP_1)
	v_fma_f64 v[82:83], -v[72:73], v[76:77], 1.0
	v_fmac_f64_e32 v[76:77], v[76:77], v[82:83]
	s_delay_alu instid0(VALU_DEP_1) | instskip(NEXT) | instid1(VALU_DEP_1)
	v_fma_f64 v[82:83], -v[72:73], v[76:77], 1.0
	v_fmac_f64_e32 v[76:77], v[76:77], v[82:83]
	v_div_scale_f64 v[82:83], vcc_lo, v[74:75], v[62:63], v[74:75]
	s_delay_alu instid0(VALU_DEP_1) | instskip(NEXT) | instid1(VALU_DEP_1)
	v_mul_f64_e32 v[84:85], v[82:83], v[76:77]
	v_fma_f64 v[72:73], -v[72:73], v[84:85], v[82:83]
	s_delay_alu instid0(VALU_DEP_1) | instskip(NEXT) | instid1(VALU_DEP_1)
	v_div_fmas_f64 v[72:73], v[72:73], v[76:77], v[84:85]
                                        ; implicit-def: $vgpr76_vgpr77
	v_div_fixup_f64 v[72:73], v[72:73], v[62:63], |v[2:3]|
	s_delay_alu instid0(VALU_DEP_1)
	v_cmpx_lt_f64_e32 s[24:25], v[72:73]
	s_cbranch_execz .LBB48_374
; %bb.353:                              ;   in Loop: Header=BB48_4 Depth=1
	v_cmp_neq_f64_e64 s7, |v[2:3]|, 1.0
	v_cmp_ngt_f64_e64 s49, 0x3c400000, |v[4:5]|
                                        ; implicit-def: $vgpr76_vgpr77
	s_or_b32 s7, s49, s7
	s_delay_alu instid0(SALU_CYCLE_1) | instskip(NEXT) | instid1(SALU_CYCLE_1)
	s_and_saveexec_b32 s49, s7
	s_xor_b32 s7, exec_lo, s49
	s_cbranch_execz .LBB48_371
; %bb.354:                              ;   in Loop: Header=BB48_4 Depth=1
	v_ldexp_f64 v[76:77], |v[10:11]|, 0xffffffcc
	s_delay_alu instid0(VALU_DEP_1) | instskip(SKIP_1) | instid1(SALU_CYCLE_1)
	v_cmp_ge_f64_e64 s49, |v[4:5]|, v[76:77]
                                        ; implicit-def: $vgpr76_vgpr77
	s_and_saveexec_b32 s50, s49
	s_xor_b32 s49, exec_lo, s50
	s_cbranch_execz .LBB48_364
; %bb.355:                              ;   in Loop: Header=BB48_4 Depth=1
	v_mov_b64_e32 v[76:77], v[70:71]
	s_mov_b32 s50, exec_lo
	v_cmpx_neq_f64_e32 0, v[64:65]
	s_cbranch_execz .LBB48_357
; %bb.356:                              ;   in Loop: Header=BB48_4 Depth=1
	v_mul_f64_e32 v[76:77], v[4:5], v[4:5]
	v_add_f64_e32 v[64:65], v[64:65], v[68:69]
	s_delay_alu instid0(VALU_DEP_1) | instskip(NEXT) | instid1(VALU_DEP_1)
	v_div_scale_f64 v[68:69], null, v[64:65], v[64:65], v[76:77]
	v_rcp_f64_e32 v[82:83], v[68:69]
	v_nop
	s_delay_alu instid0(TRANS32_DEP_1) | instskip(NEXT) | instid1(VALU_DEP_1)
	v_fma_f64 v[84:85], -v[68:69], v[82:83], 1.0
	v_fmac_f64_e32 v[82:83], v[82:83], v[84:85]
	s_delay_alu instid0(VALU_DEP_1) | instskip(NEXT) | instid1(VALU_DEP_1)
	v_fma_f64 v[84:85], -v[68:69], v[82:83], 1.0
	v_fmac_f64_e32 v[82:83], v[82:83], v[84:85]
	v_div_scale_f64 v[84:85], vcc_lo, v[76:77], v[64:65], v[76:77]
	s_delay_alu instid0(VALU_DEP_1) | instskip(NEXT) | instid1(VALU_DEP_1)
	v_mul_f64_e32 v[86:87], v[84:85], v[82:83]
	v_fma_f64 v[68:69], -v[68:69], v[86:87], v[84:85]
	s_delay_alu instid0(VALU_DEP_1) | instskip(NEXT) | instid1(VALU_DEP_1)
	v_div_fmas_f64 v[68:69], v[68:69], v[82:83], v[86:87]
	v_div_fixup_f64 v[76:77], v[68:69], v[64:65], v[76:77]
.LBB48_357:                             ;   in Loop: Header=BB48_4 Depth=1
	s_or_b32 exec_lo, exec_lo, s50
	s_delay_alu instid0(SALU_CYCLE_1)
	s_mov_b32 s50, exec_lo
	v_cmpx_ngt_f64_e32 0, v[10:11]
	s_xor_b32 s50, exec_lo, s50
	s_cbranch_execz .LBB48_361
; %bb.358:                              ;   in Loop: Header=BB48_4 Depth=1
	s_mov_b32 s51, exec_lo
	v_cmpx_neq_f64_e32 0, v[10:11]
	s_cbranch_execz .LBB48_360
; %bb.359:                              ;   in Loop: Header=BB48_4 Depth=1
	v_mul_f64_e32 v[4:5], v[4:5], v[4:5]
	v_add_f64_e32 v[10:11], v[10:11], v[66:67]
	s_delay_alu instid0(VALU_DEP_1) | instskip(NEXT) | instid1(VALU_DEP_1)
	v_div_scale_f64 v[64:65], null, v[10:11], v[10:11], v[4:5]
	v_rcp_f64_e32 v[66:67], v[64:65]
	v_nop
	s_delay_alu instid0(TRANS32_DEP_1) | instskip(NEXT) | instid1(VALU_DEP_1)
	v_fma_f64 v[68:69], -v[64:65], v[66:67], 1.0
	v_fmac_f64_e32 v[66:67], v[66:67], v[68:69]
	s_delay_alu instid0(VALU_DEP_1) | instskip(NEXT) | instid1(VALU_DEP_1)
	v_fma_f64 v[68:69], -v[64:65], v[66:67], 1.0
	v_fmac_f64_e32 v[66:67], v[66:67], v[68:69]
	v_div_scale_f64 v[68:69], vcc_lo, v[4:5], v[10:11], v[4:5]
	s_delay_alu instid0(VALU_DEP_1) | instskip(NEXT) | instid1(VALU_DEP_1)
	v_mul_f64_e32 v[70:71], v[68:69], v[66:67]
	v_fma_f64 v[64:65], -v[64:65], v[70:71], v[68:69]
	s_delay_alu instid0(VALU_DEP_1) | instskip(NEXT) | instid1(VALU_DEP_1)
	v_div_fmas_f64 v[64:65], v[64:65], v[66:67], v[70:71]
	v_div_fixup_f64 v[70:71], v[64:65], v[10:11], v[4:5]
.LBB48_360:                             ;   in Loop: Header=BB48_4 Depth=1
	s_or_b32 exec_lo, exec_lo, s51
                                        ; implicit-def: $vgpr10_vgpr11
                                        ; implicit-def: $vgpr66_vgpr67
.LBB48_361:                             ;   in Loop: Header=BB48_4 Depth=1
	s_and_not1_saveexec_b32 s50, s50
; %bb.362:                              ;   in Loop: Header=BB48_4 Depth=1
	v_add_f64_e64 v[70:71], v[66:67], -v[10:11]
; %bb.363:                              ;   in Loop: Header=BB48_4 Depth=1
	s_or_b32 exec_lo, exec_lo, s50
	s_delay_alu instid0(VALU_DEP_1) | instskip(SKIP_1) | instid1(VALU_DEP_2)
	v_mul_f64_e32 v[4:5], 0.5, v[70:71]
	v_add_f64_e64 v[10:11], |v[2:3]|, v[62:63]
	v_fmac_f64_e32 v[4:5], 0.5, v[76:77]
	s_delay_alu instid0(VALU_DEP_1) | instskip(NEXT) | instid1(VALU_DEP_1)
	v_mul_f64_e32 v[4:5], v[10:11], v[4:5]
	v_cmp_gt_f64_e32 vcc_lo, 0x10000000, v[4:5]
	v_cndmask_b32_e64 v10, 0, 0x100, vcc_lo
	s_delay_alu instid0(VALU_DEP_1) | instskip(NEXT) | instid1(VALU_DEP_1)
	v_ldexp_f64 v[4:5], v[4:5], v10
	v_rsq_f64_e32 v[10:11], v[4:5]
	v_nop
	s_delay_alu instid0(TRANS32_DEP_1) | instskip(SKIP_1) | instid1(VALU_DEP_1)
	v_mul_f64_e32 v[62:63], v[4:5], v[10:11]
	v_mul_f64_e32 v[10:11], 0.5, v[10:11]
	v_fma_f64 v[64:65], -v[10:11], v[62:63], 0.5
	s_delay_alu instid0(VALU_DEP_1) | instskip(SKIP_1) | instid1(VALU_DEP_2)
	v_fmac_f64_e32 v[62:63], v[62:63], v[64:65]
	v_fmac_f64_e32 v[10:11], v[10:11], v[64:65]
	v_fma_f64 v[64:65], -v[62:63], v[62:63], v[4:5]
	s_delay_alu instid0(VALU_DEP_1) | instskip(NEXT) | instid1(VALU_DEP_1)
	v_fmac_f64_e32 v[62:63], v[64:65], v[10:11]
	v_fma_f64 v[64:65], -v[62:63], v[62:63], v[4:5]
	s_delay_alu instid0(VALU_DEP_1) | instskip(SKIP_2) | instid1(VALU_DEP_2)
	v_fmac_f64_e32 v[62:63], v[64:65], v[10:11]
	v_cndmask_b32_e64 v10, 0, 0xffffff80, vcc_lo
	v_cmp_class_f64_e64 vcc_lo, v[4:5], 0x260
                                        ; implicit-def: $vgpr64_vgpr65
	v_ldexp_f64 v[10:11], v[62:63], v10
	s_delay_alu instid0(VALU_DEP_1)
	v_dual_cndmask_b32 v77, v11, v5 :: v_dual_cndmask_b32 v76, v10, v4
                                        ; implicit-def: $vgpr10_vgpr11
.LBB48_364:                             ;   in Loop: Header=BB48_4 Depth=1
	s_and_not1_saveexec_b32 s49, s49
	s_cbranch_execz .LBB48_370
; %bb.365:                              ;   in Loop: Header=BB48_4 Depth=1
	v_cmp_ngt_f64_e64 s50, |v[2:3]|, 1.0
                                        ; implicit-def: $vgpr76_vgpr77
	s_and_saveexec_b32 s51, s50
	s_delay_alu instid0(SALU_CYCLE_1)
	s_xor_b32 s50, exec_lo, s51
	s_cbranch_execz .LBB48_367
; %bb.366:                              ;   in Loop: Header=BB48_4 Depth=1
	v_add_f64_e64 v[4:5], -|v[2:3]|, 1.0
	s_delay_alu instid0(VALU_DEP_1) | instskip(NEXT) | instid1(VALU_DEP_1)
	v_mul_f64_e32 v[4:5], v[4:5], v[64:65]
	v_cmp_gt_f64_e32 vcc_lo, 0x10000000, v[4:5]
	v_cndmask_b32_e64 v10, 0, 0x100, vcc_lo
	s_delay_alu instid0(VALU_DEP_1) | instskip(NEXT) | instid1(VALU_DEP_1)
	v_ldexp_f64 v[4:5], v[4:5], v10
	v_rsq_f64_e32 v[10:11], v[4:5]
	v_nop
	s_delay_alu instid0(TRANS32_DEP_1) | instskip(SKIP_1) | instid1(VALU_DEP_1)
	v_mul_f64_e32 v[62:63], v[4:5], v[10:11]
	v_mul_f64_e32 v[10:11], 0.5, v[10:11]
	v_fma_f64 v[64:65], -v[10:11], v[62:63], 0.5
	s_delay_alu instid0(VALU_DEP_1) | instskip(SKIP_1) | instid1(VALU_DEP_2)
	v_fmac_f64_e32 v[62:63], v[62:63], v[64:65]
	v_fmac_f64_e32 v[10:11], v[10:11], v[64:65]
	v_fma_f64 v[64:65], -v[62:63], v[62:63], v[4:5]
	s_delay_alu instid0(VALU_DEP_1) | instskip(NEXT) | instid1(VALU_DEP_1)
	v_fmac_f64_e32 v[62:63], v[64:65], v[10:11]
	v_fma_f64 v[64:65], -v[62:63], v[62:63], v[4:5]
	s_delay_alu instid0(VALU_DEP_1) | instskip(SKIP_2) | instid1(VALU_DEP_2)
	v_fmac_f64_e32 v[62:63], v[64:65], v[10:11]
	v_cndmask_b32_e64 v10, 0, 0xffffff80, vcc_lo
	v_cmp_class_f64_e64 vcc_lo, v[4:5], 0x260
                                        ; implicit-def: $vgpr64_vgpr65
	v_ldexp_f64 v[10:11], v[62:63], v10
	s_delay_alu instid0(VALU_DEP_1)
	v_dual_cndmask_b32 v77, v11, v5 :: v_dual_cndmask_b32 v76, v10, v4
                                        ; implicit-def: $vgpr10_vgpr11
.LBB48_367:                             ;   in Loop: Header=BB48_4 Depth=1
	s_and_not1_saveexec_b32 s50, s50
	s_cbranch_execz .LBB48_369
; %bb.368:                              ;   in Loop: Header=BB48_4 Depth=1
	v_mul_f64_e32 v[10:11], v[64:65], v[10:11]
	v_ldexp_f64 v[4:5], |v[4:5]|, 0x6a
	v_ldexp_f64 v[74:75], |v[2:3]|, 0x6a
	s_delay_alu instid0(VALU_DEP_3) | instskip(NEXT) | instid1(VALU_DEP_3)
	v_cmp_gt_f64_e32 vcc_lo, 0x10000000, v[10:11]
	v_mul_f64_e64 v[4:5], |v[2:3]|, v[4:5]
	v_cndmask_b32_e64 v62, 0, 0x100, vcc_lo
	s_delay_alu instid0(VALU_DEP_1) | instskip(NEXT) | instid1(VALU_DEP_1)
	v_ldexp_f64 v[10:11], v[10:11], v62
	v_rsq_f64_e32 v[62:63], v[10:11]
	v_nop
	s_delay_alu instid0(TRANS32_DEP_1) | instskip(SKIP_1) | instid1(VALU_DEP_1)
	v_mul_f64_e32 v[64:65], v[10:11], v[62:63]
	v_mul_f64_e32 v[62:63], 0.5, v[62:63]
	v_fma_f64 v[66:67], -v[62:63], v[64:65], 0.5
	s_delay_alu instid0(VALU_DEP_1) | instskip(SKIP_1) | instid1(VALU_DEP_2)
	v_fmac_f64_e32 v[64:65], v[64:65], v[66:67]
	v_fmac_f64_e32 v[62:63], v[62:63], v[66:67]
	v_fma_f64 v[66:67], -v[64:65], v[64:65], v[10:11]
	s_delay_alu instid0(VALU_DEP_1) | instskip(NEXT) | instid1(VALU_DEP_1)
	v_fmac_f64_e32 v[64:65], v[66:67], v[62:63]
	v_fma_f64 v[66:67], -v[64:65], v[64:65], v[10:11]
	s_delay_alu instid0(VALU_DEP_1) | instskip(SKIP_2) | instid1(VALU_DEP_2)
	v_fmac_f64_e32 v[64:65], v[66:67], v[62:63]
	v_cndmask_b32_e64 v62, 0, 0xffffff80, vcc_lo
	v_cmp_class_f64_e64 vcc_lo, v[10:11], 0x260
	v_ldexp_f64 v[62:63], v[64:65], v62
	s_delay_alu instid0(VALU_DEP_1) | instskip(NEXT) | instid1(VALU_DEP_1)
	v_dual_cndmask_b32 v11, v63, v11 :: v_dual_cndmask_b32 v10, v62, v10
	v_div_scale_f64 v[62:63], null, v[10:11], v[10:11], v[4:5]
	v_div_scale_f64 v[68:69], vcc_lo, v[4:5], v[10:11], v[4:5]
	s_delay_alu instid0(VALU_DEP_2) | instskip(SKIP_1) | instid1(TRANS32_DEP_1)
	v_rcp_f64_e32 v[64:65], v[62:63]
	v_nop
	v_fma_f64 v[66:67], -v[62:63], v[64:65], 1.0
	s_delay_alu instid0(VALU_DEP_1) | instskip(NEXT) | instid1(VALU_DEP_1)
	v_fmac_f64_e32 v[64:65], v[64:65], v[66:67]
	v_fma_f64 v[66:67], -v[62:63], v[64:65], 1.0
	s_delay_alu instid0(VALU_DEP_1) | instskip(NEXT) | instid1(VALU_DEP_1)
	v_fmac_f64_e32 v[64:65], v[64:65], v[66:67]
	v_mul_f64_e32 v[66:67], v[68:69], v[64:65]
	s_delay_alu instid0(VALU_DEP_1) | instskip(NEXT) | instid1(VALU_DEP_1)
	v_fma_f64 v[62:63], -v[62:63], v[66:67], v[68:69]
	v_div_fmas_f64 v[62:63], v[62:63], v[64:65], v[66:67]
	s_delay_alu instid0(VALU_DEP_1)
	v_div_fixup_f64 v[76:77], v[62:63], v[10:11], v[4:5]
.LBB48_369:                             ;   in Loop: Header=BB48_4 Depth=1
	s_or_b32 exec_lo, exec_lo, s50
.LBB48_370:                             ;   in Loop: Header=BB48_4 Depth=1
	s_delay_alu instid0(SALU_CYCLE_1)
	s_or_b32 exec_lo, exec_lo, s49
                                        ; implicit-def: $vgpr62_vgpr63
.LBB48_371:                             ;   in Loop: Header=BB48_4 Depth=1
	s_and_not1_saveexec_b32 s49, s7
	s_cbranch_execz .LBB48_373
; %bb.372:                              ;   in Loop: Header=BB48_4 Depth=1
	v_cmp_gt_f64_e64 s7, 0x10000000, |v[4:5]|
	v_add_f64_e32 v[10:11], 1.0, v[62:63]
	s_delay_alu instid0(VALU_DEP_2) | instskip(NEXT) | instid1(VALU_DEP_1)
	v_cndmask_b32_e64 v62, 0, 0x100, s7
	v_ldexp_f64 v[4:5], |v[4:5]|, v62
	s_delay_alu instid0(VALU_DEP_3) | instskip(NEXT) | instid1(VALU_DEP_1)
	v_mul_f64_e32 v[10:11], 0.5, v[10:11]
	v_cmp_gt_f64_e32 vcc_lo, 0x10000000, v[10:11]
	v_cndmask_b32_e64 v63, 0, 0x100, vcc_lo
	s_delay_alu instid0(VALU_DEP_1) | instskip(SKIP_1) | instid1(VALU_DEP_1)
	v_ldexp_f64 v[10:11], v[10:11], v63
	v_rsq_f64_e32 v[62:63], v[4:5]
	v_rsq_f64_e32 v[64:65], v[10:11]
	s_delay_alu instid0(TRANS32_DEP_2) | instskip(SKIP_1) | instid1(VALU_DEP_1)
	v_mul_f64_e32 v[66:67], v[4:5], v[62:63]
	v_mul_f64_e32 v[62:63], 0.5, v[62:63]
	v_fma_f64 v[70:71], -v[62:63], v[66:67], 0.5
	s_delay_alu instid0(VALU_DEP_1) | instskip(SKIP_1) | instid1(VALU_DEP_2)
	v_fmac_f64_e32 v[66:67], v[66:67], v[70:71]
	v_fmac_f64_e32 v[62:63], v[62:63], v[70:71]
	v_fma_f64 v[70:71], -v[66:67], v[66:67], v[4:5]
	s_delay_alu instid0(VALU_DEP_1) | instskip(NEXT) | instid1(VALU_DEP_1)
	v_fmac_f64_e32 v[66:67], v[70:71], v[62:63]
	v_fma_f64 v[70:71], -v[66:67], v[66:67], v[4:5]
	s_delay_alu instid0(VALU_DEP_1) | instskip(SKIP_2) | instid1(TRANS32_DEP_1)
	v_fmac_f64_e32 v[66:67], v[70:71], v[62:63]
	v_cndmask_b32_e64 v62, 0, 0xffffff80, s7
	v_cmp_class_f64_e64 s7, v[10:11], 0x260
	v_mul_f64_e32 v[68:69], v[10:11], v[64:65]
	v_mul_f64_e32 v[64:65], 0.5, v[64:65]
	s_delay_alu instid0(VALU_DEP_4) | instskip(NEXT) | instid1(VALU_DEP_2)
	v_ldexp_f64 v[62:63], v[66:67], v62
	v_fma_f64 v[74:75], -v[64:65], v[68:69], 0.5
	s_delay_alu instid0(VALU_DEP_1) | instskip(SKIP_1) | instid1(VALU_DEP_2)
	v_fmac_f64_e32 v[68:69], v[68:69], v[74:75]
	v_fmac_f64_e32 v[64:65], v[64:65], v[74:75]
	v_fma_f64 v[74:75], -v[68:69], v[68:69], v[10:11]
	s_delay_alu instid0(VALU_DEP_1) | instskip(NEXT) | instid1(VALU_DEP_1)
	v_fmac_f64_e32 v[68:69], v[74:75], v[64:65]
	v_fma_f64 v[74:75], -v[68:69], v[68:69], v[10:11]
	s_delay_alu instid0(VALU_DEP_1) | instskip(SKIP_3) | instid1(VALU_DEP_3)
	v_fmac_f64_e32 v[68:69], v[74:75], v[64:65]
	v_cndmask_b32_e64 v64, 0, 0xffffff80, vcc_lo
	v_cmp_class_f64_e64 vcc_lo, v[4:5], 0x260
	v_mov_b64_e32 v[74:75], 1.0
	v_ldexp_f64 v[64:65], v[68:69], v64
	v_dual_cndmask_b32 v5, v63, v5 :: v_dual_cndmask_b32 v4, v62, v4
	s_delay_alu instid0(VALU_DEP_2) | instskip(NEXT) | instid1(VALU_DEP_1)
	v_dual_cndmask_b32 v11, v65, v11, s7 :: v_dual_cndmask_b32 v10, v64, v10, s7
	v_mul_f64_e32 v[76:77], v[4:5], v[10:11]
.LBB48_373:                             ;   in Loop: Header=BB48_4 Depth=1
	s_or_b32 exec_lo, exec_lo, s49
	s_delay_alu instid0(SALU_CYCLE_1)
	s_mov_b32 s7, exec_lo
.LBB48_374:                             ;   in Loop: Header=BB48_4 Depth=1
	s_or_b32 exec_lo, exec_lo, s48
                                        ; implicit-def: $vgpr62_vgpr63
.LBB48_375:                             ;   in Loop: Header=BB48_4 Depth=1
	s_and_not1_saveexec_b32 s8, s8
	s_cbranch_execz .LBB48_377
; %bb.376:                              ;   in Loop: Header=BB48_4 Depth=1
	v_ldexp_f64 v[76:77], v[62:63], 53
	v_ldexp_f64 v[74:75], |v[2:3]|, 53
	s_or_b32 s7, s7, exec_lo
                                        ; implicit-def: $vgpr72_vgpr73
.LBB48_377:                             ;   in Loop: Header=BB48_4 Depth=1
	s_or_b32 exec_lo, exec_lo, s8
	s_xor_b32 s7, s7, -1
	v_cmp_lt_i64_e32 vcc_lo, -1, v[2:3]
	s_and_saveexec_b32 s8, s7
	s_delay_alu instid0(SALU_CYCLE_1)
	s_xor_b32 s8, exec_lo, s8
	s_cbranch_execz .LBB48_387
; %bb.378:                              ;   in Loop: Header=BB48_4 Depth=1
	v_fma_f64 v[2:3], |v[72:73]|, -0.5, 0.5
	v_mul_f64_e32 v[4:5], v[72:73], v[72:73]
	s_and_saveexec_b32 s7, vcc_lo
	s_delay_alu instid0(SALU_CYCLE_1)
	s_xor_b32 s48, exec_lo, s7
	s_cbranch_execz .LBB48_382
; %bb.379:                              ;   in Loop: Header=BB48_4 Depth=1
	v_cmp_ge_f64_e64 s7, |v[72:73]|, 0.5
	s_delay_alu instid0(VALU_DEP_1) | instskip(NEXT) | instid1(VALU_DEP_1)
	v_dual_cndmask_b32 v5, v5, v3, s7 :: v_dual_cndmask_b32 v4, v4, v2, s7
	v_fmamk_f64 v[10:11], v[4:5], 0x3fa059859fea6a70, v[48:49]
	s_delay_alu instid0(VALU_DEP_1) | instskip(NEXT) | instid1(VALU_DEP_1)
	v_fmaak_f64 v[10:11], v[4:5], v[10:11], 0x3f94052137024d6a
	v_fmaak_f64 v[10:11], v[4:5], v[10:11], 0x3f7ab3a098a70509
	s_delay_alu instid0(VALU_DEP_1) | instskip(NEXT) | instid1(VALU_DEP_1)
	v_fmaak_f64 v[10:11], v[4:5], v[10:11], 0x3f88ed60a300c8d2
	v_fmaak_f64 v[10:11], v[4:5], v[10:11], 0x3f8c6fa84b77012b
	;; [unrolled: 3-line block ×5, first 2 shown]
	s_delay_alu instid0(VALU_DEP_1) | instskip(NEXT) | instid1(VALU_DEP_1)
	v_mul_f64_e32 v[4:5], v[4:5], v[10:11]
	v_fma_f64 v[10:11], v[72:73], v[4:5], v[72:73]
	s_delay_alu instid0(VALU_DEP_1)
	v_fma_f64 v[10:11], s[28:29], s[26:27], -v[10:11]
	s_and_saveexec_b32 s49, s7
	s_cbranch_execz .LBB48_381
; %bb.380:                              ;   in Loop: Header=BB48_4 Depth=1
	v_rsq_f64_e32 v[10:11], v[2:3]
	v_cmp_eq_f64_e64 s7, 0, v[2:3]
	s_delay_alu instid0(TRANS32_DEP_1) | instskip(SKIP_1) | instid1(VALU_DEP_1)
	v_mul_f64_e32 v[62:63], v[2:3], v[10:11]
	v_mul_f64_e32 v[10:11], 0.5, v[10:11]
	v_fma_f64 v[64:65], -v[10:11], v[62:63], 0.5
	s_delay_alu instid0(VALU_DEP_1) | instskip(SKIP_1) | instid1(VALU_DEP_2)
	v_fmac_f64_e32 v[62:63], v[62:63], v[64:65]
	v_fmac_f64_e32 v[10:11], v[10:11], v[64:65]
	v_fma_f64 v[64:65], -v[62:63], v[62:63], v[2:3]
	s_delay_alu instid0(VALU_DEP_1) | instskip(NEXT) | instid1(VALU_DEP_1)
	v_fmac_f64_e32 v[62:63], v[64:65], v[10:11]
	v_dual_cndmask_b32 v11, v63, v3, s7 :: v_dual_cndmask_b32 v10, v62, v2, s7
	s_delay_alu instid0(VALU_DEP_1) | instskip(SKIP_1) | instid1(VALU_DEP_2)
	v_add_f64_e32 v[62:63], v[10:11], v[10:11]
	v_mul_f64_e32 v[64:65], v[10:11], v[10:11]
	v_rcp_f64_e32 v[66:67], v[62:63]
	s_delay_alu instid0(VALU_DEP_1) | instskip(SKIP_1) | instid1(VALU_DEP_2)
	v_add_f64_e64 v[68:69], v[2:3], -v[64:65]
	v_fma_f64 v[74:75], v[10:11], v[10:11], -v[64:65]
	v_add_f64_e64 v[2:3], v[2:3], -v[68:69]
	s_delay_alu instid0(TRANS32_DEP_1) | instskip(NEXT) | instid1(VALU_DEP_2)
	v_fma_f64 v[70:71], -v[62:63], v[66:67], 1.0
	v_add_f64_e64 v[2:3], v[2:3], -v[64:65]
	s_delay_alu instid0(VALU_DEP_2) | instskip(NEXT) | instid1(VALU_DEP_2)
	v_fmac_f64_e32 v[66:67], v[70:71], v[66:67]
	v_add_f64_e64 v[2:3], v[2:3], -v[74:75]
	s_delay_alu instid0(VALU_DEP_2) | instskip(NEXT) | instid1(VALU_DEP_2)
	v_fma_f64 v[64:65], -v[62:63], v[66:67], 1.0
	v_add_f64_e32 v[2:3], v[68:69], v[2:3]
	s_delay_alu instid0(VALU_DEP_2) | instskip(NEXT) | instid1(VALU_DEP_1)
	v_fmac_f64_e32 v[66:67], v[64:65], v[66:67]
	v_mul_f64_e32 v[64:65], v[2:3], v[66:67]
	s_delay_alu instid0(VALU_DEP_1) | instskip(NEXT) | instid1(VALU_DEP_1)
	v_fma_f64 v[2:3], -v[62:63], v[64:65], v[2:3]
	v_fmac_f64_e32 v[64:65], v[2:3], v[66:67]
	s_delay_alu instid0(VALU_DEP_1) | instskip(NEXT) | instid1(VALU_DEP_2)
	v_cndmask_b32_e64 v3, v65, 0, s7
	v_cndmask_b32_e64 v2, v64, 0, s7
	v_cmp_neq_f64_e64 s7, 1.0, v[72:73]
	s_delay_alu instid0(VALU_DEP_2) | instskip(NEXT) | instid1(VALU_DEP_1)
	v_add_f64_e32 v[62:63], v[10:11], v[2:3]
	v_add_f64_e64 v[10:11], v[62:63], -v[10:11]
	s_delay_alu instid0(VALU_DEP_1) | instskip(NEXT) | instid1(VALU_DEP_1)
	v_add_f64_e64 v[2:3], v[2:3], -v[10:11]
	v_fmac_f64_e32 v[2:3], v[62:63], v[4:5]
	s_delay_alu instid0(VALU_DEP_1) | instskip(NEXT) | instid1(VALU_DEP_1)
	v_add_f64_e32 v[2:3], v[62:63], v[2:3]
	v_add_f64_e32 v[2:3], v[2:3], v[2:3]
	s_delay_alu instid0(VALU_DEP_1)
	v_dual_cndmask_b32 v11, 0, v3, s7 :: v_dual_cndmask_b32 v10, 0, v2, s7
.LBB48_381:                             ;   in Loop: Header=BB48_4 Depth=1
	s_or_b32 exec_lo, exec_lo, s49
                                        ; implicit-def: $vgpr72_vgpr73
                                        ; implicit-def: $vgpr4_vgpr5
                                        ; implicit-def: $vgpr2_vgpr3
.LBB48_382:                             ;   in Loop: Header=BB48_4 Depth=1
	s_and_not1_saveexec_b32 s48, s48
	s_cbranch_execz .LBB48_386
; %bb.383:                              ;   in Loop: Header=BB48_4 Depth=1
	v_cmp_ge_f64_e64 s7, |v[72:73]|, 0.5
	s_delay_alu instid0(VALU_DEP_1) | instskip(NEXT) | instid1(VALU_DEP_1)
	v_dual_cndmask_b32 v5, v5, v3, s7 :: v_dual_cndmask_b32 v4, v4, v2, s7
	v_fmamk_f64 v[10:11], v[4:5], 0x3fa059859fea6a70, v[48:49]
	s_delay_alu instid0(VALU_DEP_1) | instskip(NEXT) | instid1(VALU_DEP_1)
	v_fmaak_f64 v[10:11], v[4:5], v[10:11], 0x3f94052137024d6a
	v_fmaak_f64 v[10:11], v[4:5], v[10:11], 0x3f7ab3a098a70509
	s_delay_alu instid0(VALU_DEP_1) | instskip(NEXT) | instid1(VALU_DEP_1)
	v_fmaak_f64 v[10:11], v[4:5], v[10:11], 0x3f88ed60a300c8d2
	v_fmaak_f64 v[10:11], v[4:5], v[10:11], 0x3f8c6fa84b77012b
	;; [unrolled: 3-line block ×5, first 2 shown]
	s_delay_alu instid0(VALU_DEP_1) | instskip(NEXT) | instid1(VALU_DEP_1)
	v_mul_f64_e32 v[4:5], v[4:5], v[10:11]
	v_fma_f64 v[10:11], -v[72:73], v[4:5], -v[72:73]
	s_delay_alu instid0(VALU_DEP_1)
	v_fma_f64 v[10:11], s[28:29], s[26:27], -v[10:11]
	s_and_saveexec_b32 s49, s7
	s_cbranch_execz .LBB48_385
; %bb.384:                              ;   in Loop: Header=BB48_4 Depth=1
	v_rsq_f64_e32 v[10:11], v[2:3]
	v_cmp_eq_f64_e64 s7, 0, v[2:3]
	s_delay_alu instid0(TRANS32_DEP_1) | instskip(SKIP_1) | instid1(VALU_DEP_1)
	v_mul_f64_e32 v[62:63], v[2:3], v[10:11]
	v_mul_f64_e32 v[10:11], 0.5, v[10:11]
	v_fma_f64 v[64:65], -v[10:11], v[62:63], 0.5
	s_delay_alu instid0(VALU_DEP_1) | instskip(SKIP_1) | instid1(VALU_DEP_2)
	v_fmac_f64_e32 v[62:63], v[62:63], v[64:65]
	v_fmac_f64_e32 v[10:11], v[10:11], v[64:65]
	v_fma_f64 v[64:65], -v[62:63], v[62:63], v[2:3]
	s_delay_alu instid0(VALU_DEP_1) | instskip(NEXT) | instid1(VALU_DEP_1)
	v_fmac_f64_e32 v[62:63], v[64:65], v[10:11]
	v_dual_cndmask_b32 v11, v63, v3, s7 :: v_dual_cndmask_b32 v10, v62, v2, s7
	s_delay_alu instid0(VALU_DEP_1) | instskip(SKIP_1) | instid1(VALU_DEP_2)
	v_add_f64_e32 v[62:63], v[10:11], v[10:11]
	v_mul_f64_e32 v[64:65], v[10:11], v[10:11]
	v_rcp_f64_e32 v[66:67], v[62:63]
	s_delay_alu instid0(VALU_DEP_1) | instskip(SKIP_1) | instid1(VALU_DEP_2)
	v_add_f64_e64 v[68:69], v[2:3], -v[64:65]
	v_fma_f64 v[74:75], v[10:11], v[10:11], -v[64:65]
	v_add_f64_e64 v[2:3], v[2:3], -v[68:69]
	s_delay_alu instid0(TRANS32_DEP_1) | instskip(NEXT) | instid1(VALU_DEP_2)
	v_fma_f64 v[70:71], -v[62:63], v[66:67], 1.0
	v_add_f64_e64 v[2:3], v[2:3], -v[64:65]
	s_delay_alu instid0(VALU_DEP_2) | instskip(NEXT) | instid1(VALU_DEP_2)
	v_fmac_f64_e32 v[66:67], v[70:71], v[66:67]
	v_add_f64_e64 v[2:3], v[2:3], -v[74:75]
	s_delay_alu instid0(VALU_DEP_2) | instskip(NEXT) | instid1(VALU_DEP_2)
	v_fma_f64 v[64:65], -v[62:63], v[66:67], 1.0
	v_add_f64_e32 v[2:3], v[68:69], v[2:3]
	s_delay_alu instid0(VALU_DEP_2) | instskip(NEXT) | instid1(VALU_DEP_1)
	v_fmac_f64_e32 v[66:67], v[64:65], v[66:67]
	v_mul_f64_e32 v[64:65], v[2:3], v[66:67]
	s_delay_alu instid0(VALU_DEP_1) | instskip(NEXT) | instid1(VALU_DEP_1)
	v_fma_f64 v[2:3], -v[62:63], v[64:65], v[2:3]
	v_fmac_f64_e32 v[64:65], v[2:3], v[66:67]
	s_delay_alu instid0(VALU_DEP_1) | instskip(NEXT) | instid1(VALU_DEP_2)
	v_cndmask_b32_e64 v3, v65, 0, s7
	v_cndmask_b32_e64 v2, v64, 0, s7
	v_cmp_lt_f64_e64 s7, 0, v[72:73]
	s_delay_alu instid0(VALU_DEP_2) | instskip(NEXT) | instid1(VALU_DEP_1)
	v_add_f64_e32 v[62:63], v[10:11], v[2:3]
	v_add_f64_e64 v[10:11], v[62:63], -v[10:11]
	s_delay_alu instid0(VALU_DEP_1) | instskip(SKIP_1) | instid1(VALU_DEP_2)
	v_add_f64_e64 v[2:3], v[2:3], -v[10:11]
	v_fma_f64 v[10:11], v[62:63], v[4:5], v[62:63]
	v_fmac_f64_e32 v[2:3], v[62:63], v[4:5]
	s_delay_alu instid0(VALU_DEP_2) | instskip(NEXT) | instid1(VALU_DEP_2)
	v_mul_f64_e32 v[4:5], -2.0, v[10:11]
	v_add_f64_e32 v[2:3], v[62:63], v[2:3]
	s_delay_alu instid0(VALU_DEP_2) | instskip(NEXT) | instid1(VALU_DEP_2)
	v_fmac_f64_e64 v[4:5], s[30:31], s[26:27]
	v_add_f64_e32 v[2:3], v[2:3], v[2:3]
	s_delay_alu instid0(VALU_DEP_1) | instskip(SKIP_1) | instid1(VALU_DEP_1)
	v_dual_cndmask_b32 v2, v2, v4, s7 :: v_dual_cndmask_b32 v3, v3, v5, s7
	v_cmp_neq_f64_e64 s7, 1.0, v[72:73]
	v_cndmask_b32_e64 v11, 0x400921fb, v3, s7
	s_delay_alu instid0(VALU_DEP_3)
	v_cndmask_b32_e64 v10, 0x54442d18, v2, s7
.LBB48_385:                             ;   in Loop: Header=BB48_4 Depth=1
	s_or_b32 exec_lo, exec_lo, s49
.LBB48_386:                             ;   in Loop: Header=BB48_4 Depth=1
	s_delay_alu instid0(SALU_CYCLE_1)
	s_or_b32 exec_lo, exec_lo, s48
                                        ; implicit-def: $vgpr74_vgpr75
                                        ; implicit-def: $vgpr76_vgpr77
.LBB48_387:                             ;   in Loop: Header=BB48_4 Depth=1
	s_and_not1_saveexec_b32 s48, s8
	s_cbranch_execz .LBB48_393
; %bb.388:                              ;   in Loop: Header=BB48_4 Depth=1
	s_delay_alu instid0(VALU_DEP_2) | instskip(NEXT) | instid1(VALU_DEP_3)
	v_max_num_f64_e64 v[4:5], |v[76:77]|, |v[76:77]|
	v_max_num_f64_e32 v[10:11], v[74:75], v[74:75]
	v_cmp_class_f64_e64 s49, v[76:77], 0x204
	s_delay_alu instid0(VALU_DEP_2) | instskip(SKIP_2) | instid1(SALU_CYCLE_1)
	v_max_num_f64_e32 v[2:3], v[10:11], v[4:5]
	v_min_num_f64_e32 v[4:5], v[10:11], v[4:5]
	s_and_saveexec_b32 s7, vcc_lo
	s_xor_b32 s50, exec_lo, s7
	s_cbranch_execz .LBB48_390
; %bb.389:                              ;   in Loop: Header=BB48_4 Depth=1
	s_delay_alu instid0(VALU_DEP_1) | instskip(SKIP_3) | instid1(VALU_DEP_4)
	v_div_scale_f64 v[10:11], null, v[2:3], v[2:3], v[4:5]
	v_div_scale_f64 v[66:67], vcc_lo, v[4:5], v[2:3], v[4:5]
	v_cmp_eq_f64_e64 s7, 0, v[76:77]
	v_cmp_eq_f64_e64 s8, 0x7ff00000, v[74:75]
	v_rcp_f64_e32 v[62:63], v[10:11]
	v_nop
	s_delay_alu instid0(TRANS32_DEP_1) | instskip(NEXT) | instid1(VALU_DEP_1)
	v_fma_f64 v[64:65], -v[10:11], v[62:63], 1.0
	v_fmac_f64_e32 v[62:63], v[62:63], v[64:65]
	s_delay_alu instid0(VALU_DEP_1) | instskip(NEXT) | instid1(VALU_DEP_1)
	v_fma_f64 v[64:65], -v[10:11], v[62:63], 1.0
	v_fmac_f64_e32 v[62:63], v[62:63], v[64:65]
	s_delay_alu instid0(VALU_DEP_1) | instskip(NEXT) | instid1(VALU_DEP_1)
	v_mul_f64_e32 v[64:65], v[66:67], v[62:63]
	v_fma_f64 v[10:11], -v[10:11], v[64:65], v[66:67]
	s_delay_alu instid0(VALU_DEP_1) | instskip(SKIP_1) | instid1(VALU_DEP_2)
	v_div_fmas_f64 v[10:11], v[10:11], v[62:63], v[64:65]
	v_cmp_lt_f64_e64 vcc_lo, v[74:75], |v[76:77]|
	v_div_fixup_f64 v[2:3], v[10:11], v[2:3], v[4:5]
	s_delay_alu instid0(VALU_DEP_1) | instskip(NEXT) | instid1(VALU_DEP_1)
	v_mul_f64_e32 v[4:5], v[2:3], v[2:3]
	v_fmamk_f64 v[10:11], v[4:5], 0x3eeba404b5e68a13, v[50:51]
	s_delay_alu instid0(VALU_DEP_1) | instskip(NEXT) | instid1(VALU_DEP_1)
	v_fmaak_f64 v[10:11], v[4:5], v[10:11], 0x3f4b2bb069efb384
	v_fmaak_f64 v[10:11], v[4:5], v[10:11], 0xbf67952daf56de9b
	s_delay_alu instid0(VALU_DEP_1) | instskip(NEXT) | instid1(VALU_DEP_1)
	v_fmaak_f64 v[10:11], v[4:5], v[10:11], 0x3f7d6d43a595c56f
	v_fmaak_f64 v[10:11], v[4:5], v[10:11], 0xbf8c6ea4a57d9582
	;; [unrolled: 3-line block ×9, first 2 shown]
	s_delay_alu instid0(VALU_DEP_1) | instskip(NEXT) | instid1(VALU_DEP_1)
	v_mul_f64_e32 v[4:5], v[4:5], v[10:11]
	v_fmac_f64_e32 v[2:3], v[2:3], v[4:5]
	s_delay_alu instid0(VALU_DEP_1) | instskip(NEXT) | instid1(VALU_DEP_1)
	v_add_f64_e64 v[4:5], -v[2:3], s[34:35]
	v_dual_cndmask_b32 v3, v3, v5 :: v_dual_cndmask_b32 v2, v2, v4
	v_cmp_gt_i32_e32 vcc_lo, 0, v75
	s_delay_alu instid0(VALU_DEP_2) | instskip(SKIP_2) | instid1(VALU_DEP_3)
	v_add_f64_e64 v[4:5], -v[2:3], s[36:37]
	v_ashrrev_i32_e32 v10, 31, v75
	v_cndmask_b32_e32 v11, 0x54442d18, v79, vcc_lo
                                        ; implicit-def: $vgpr74_vgpr75
	v_cndmask_b32_e32 v2, v2, v4, vcc_lo
	s_delay_alu instid0(VALU_DEP_3) | instskip(SKIP_4) | instid1(VALU_DEP_2)
	v_and_b32_e32 v62, 0x54442d18, v10
	v_and_b32_e32 v4, 0x400921fb, v10
	v_cndmask_b32_e32 v3, v3, v5, vcc_lo
	v_cndmask_b32_e32 v5, 0x3fe921fb, v80, vcc_lo
	s_and_b32 vcc_lo, s8, s49
	v_dual_cndmask_b32 v2, v2, v62, s7 :: v_dual_cndmask_b32 v3, v3, v4, s7
	s_delay_alu instid0(VALU_DEP_1) | instskip(SKIP_1) | instid1(VALU_DEP_2)
	v_dual_cndmask_b32 v2, v2, v11 :: v_dual_cndmask_b32 v3, v3, v5
	v_cmp_o_f64_e32 vcc_lo, v[76:77], v[76:77]
                                        ; implicit-def: $vgpr4_vgpr5
	v_cndmask_b32_e32 v10, 0, v2, vcc_lo
	s_delay_alu instid0(VALU_DEP_3) | instskip(NEXT) | instid1(VALU_DEP_1)
	v_cndmask_b32_e32 v2, 0x7ff80000, v3, vcc_lo
	v_bfi_b32 v11, 0x7fffffff, v2, v77
                                        ; implicit-def: $vgpr2_vgpr3
                                        ; implicit-def: $vgpr76_vgpr77
.LBB48_390:                             ;   in Loop: Header=BB48_4 Depth=1
	s_and_not1_saveexec_b32 s50, s50
	s_cbranch_execz .LBB48_392
; %bb.391:                              ;   in Loop: Header=BB48_4 Depth=1
	s_delay_alu instid0(VALU_DEP_1) | instskip(SKIP_3) | instid1(VALU_DEP_4)
	v_div_scale_f64 v[10:11], null, v[2:3], v[2:3], v[4:5]
	v_div_scale_f64 v[66:67], vcc_lo, v[4:5], v[2:3], v[4:5]
	v_cmp_eq_f64_e64 s7, 0, v[76:77]
	v_cmp_eq_f64_e64 s8, 0x7ff00000, v[74:75]
	v_rcp_f64_e32 v[62:63], v[10:11]
	v_nop
	s_delay_alu instid0(TRANS32_DEP_1) | instskip(NEXT) | instid1(VALU_DEP_1)
	v_fma_f64 v[64:65], -v[10:11], v[62:63], 1.0
	v_fmac_f64_e32 v[62:63], v[62:63], v[64:65]
	s_delay_alu instid0(VALU_DEP_1) | instskip(NEXT) | instid1(VALU_DEP_1)
	v_fma_f64 v[64:65], -v[10:11], v[62:63], 1.0
	v_fmac_f64_e32 v[62:63], v[62:63], v[64:65]
	s_delay_alu instid0(VALU_DEP_1) | instskip(NEXT) | instid1(VALU_DEP_1)
	v_mul_f64_e32 v[64:65], v[66:67], v[62:63]
	v_fma_f64 v[10:11], -v[10:11], v[64:65], v[66:67]
	s_delay_alu instid0(VALU_DEP_1) | instskip(SKIP_1) | instid1(VALU_DEP_2)
	v_div_fmas_f64 v[10:11], v[10:11], v[62:63], v[64:65]
	v_cmp_lt_f64_e64 vcc_lo, v[74:75], |v[76:77]|
	v_div_fixup_f64 v[2:3], v[10:11], v[2:3], v[4:5]
	s_delay_alu instid0(VALU_DEP_1) | instskip(NEXT) | instid1(VALU_DEP_1)
	v_mul_f64_e32 v[4:5], v[2:3], v[2:3]
	v_fmamk_f64 v[10:11], v[4:5], 0x3eeba404b5e68a13, v[50:51]
	s_delay_alu instid0(VALU_DEP_1) | instskip(NEXT) | instid1(VALU_DEP_1)
	v_fmaak_f64 v[10:11], v[4:5], v[10:11], 0x3f4b2bb069efb384
	v_fmaak_f64 v[10:11], v[4:5], v[10:11], 0xbf67952daf56de9b
	s_delay_alu instid0(VALU_DEP_1) | instskip(NEXT) | instid1(VALU_DEP_1)
	v_fmaak_f64 v[10:11], v[4:5], v[10:11], 0x3f7d6d43a595c56f
	v_fmaak_f64 v[10:11], v[4:5], v[10:11], 0xbf8c6ea4a57d9582
	;; [unrolled: 3-line block ×9, first 2 shown]
	s_delay_alu instid0(VALU_DEP_1) | instskip(SKIP_1) | instid1(VALU_DEP_2)
	v_mul_f64_e32 v[4:5], v[4:5], v[10:11]
	v_xor_b32_e32 v10, 0x80000000, v75
	v_fmac_f64_e32 v[2:3], v[2:3], v[4:5]
	s_delay_alu instid0(VALU_DEP_1) | instskip(NEXT) | instid1(VALU_DEP_1)
	v_add_f64_e64 v[4:5], -v[2:3], s[34:35]
	v_dual_cndmask_b32 v3, v3, v5 :: v_dual_cndmask_b32 v2, v2, v4
	s_delay_alu instid0(VALU_DEP_4) | instskip(SKIP_1) | instid1(VALU_DEP_3)
	v_cmp_gt_i32_e32 vcc_lo, 0, v10
	v_ashrrev_i32_e32 v11, 31, v10
	v_add_f64_e64 v[4:5], -v[2:3], s[36:37]
	v_cndmask_b32_e32 v10, 0x54442d18, v79, vcc_lo
	s_delay_alu instid0(VALU_DEP_3) | instskip(NEXT) | instid1(VALU_DEP_3)
	v_and_b32_e32 v62, 0x54442d18, v11
	v_dual_cndmask_b32 v2, v2, v4 :: v_dual_cndmask_b32 v3, v3, v5
	v_and_b32_e32 v4, 0x400921fb, v11
	v_cndmask_b32_e32 v5, 0x3fe921fb, v80, vcc_lo
	s_and_b32 vcc_lo, s8, s49
	s_delay_alu instid0(VALU_DEP_2) | instskip(NEXT) | instid1(VALU_DEP_1)
	v_dual_cndmask_b32 v2, v2, v62, s7 :: v_dual_cndmask_b32 v3, v3, v4, s7
	v_dual_cndmask_b32 v2, v2, v10 :: v_dual_cndmask_b32 v3, v3, v5
	v_cmp_o_f64_e32 vcc_lo, v[76:77], v[76:77]
	s_delay_alu instid0(VALU_DEP_2) | instskip(NEXT) | instid1(VALU_DEP_3)
	v_cndmask_b32_e32 v10, 0, v2, vcc_lo
	v_cndmask_b32_e32 v2, 0x7ff80000, v3, vcc_lo
	s_delay_alu instid0(VALU_DEP_1)
	v_bfi_b32 v11, 0x7fffffff, v2, v77
.LBB48_392:                             ;   in Loop: Header=BB48_4 Depth=1
	s_or_b32 exec_lo, exec_lo, s50
.LBB48_393:                             ;   in Loop: Header=BB48_4 Depth=1
	s_delay_alu instid0(SALU_CYCLE_1) | instskip(SKIP_1) | instid1(VALU_DEP_1)
	s_or_b32 exec_lo, exec_lo, s48
	v_xor_b32_e32 v2, 0x80000000, v13
	v_cndmask_b32_e64 v13, v2, v13, s6
                                        ; implicit-def: $vgpr2_vgpr3
.LBB48_394:                             ;   in Loop: Header=BB48_4 Depth=1
	s_and_not1_saveexec_b32 s7, s47
	s_cbranch_execz .LBB48_396
; %bb.395:                              ;   in Loop: Header=BB48_4 Depth=1
	flat_load_b64 v[4:5], v[26:27] scope:SCOPE_SYS
	s_wait_loadcnt_dscnt 0x0
	v_add_f64_e64 v[2:3], v[4:5], -v[2:3]
	s_delay_alu instid0(VALU_DEP_1)
	v_add_f64_e32 v[10:11], 0x3ff921fb54442d18, v[2:3]
.LBB48_396:                             ;   in Loop: Header=BB48_4 Depth=1
	s_or_b32 exec_lo, exec_lo, s7
.LBB48_397:                             ;   in Loop: Header=BB48_4 Depth=1
	s_and_not1_saveexec_b32 s7, s46
	s_cbranch_execz .LBB48_399
; %bb.398:                              ;   in Loop: Header=BB48_4 Depth=1
	s_wait_dscnt 0x0
	v_mov_b64_e32 v[10:11], 0
.LBB48_399:                             ;   in Loop: Header=BB48_4 Depth=1
	s_or_b32 exec_lo, exec_lo, s7
                                        ; implicit-def: $vgpr2_vgpr3
                                        ; implicit-def: $vgpr64_vgpr65
                                        ; implicit-def: $vgpr66_vgpr67
                                        ; implicit-def: $vgpr62_vgpr63
.LBB48_400:                             ;   in Loop: Header=BB48_4 Depth=1
	s_and_not1_saveexec_b32 s33, s33
	s_cbranch_execz .LBB48_410
; %bb.401:                              ;   in Loop: Header=BB48_4 Depth=1
	s_delay_alu instid0(VALU_DEP_3) | instskip(SKIP_3) | instid1(VALU_DEP_1)
	v_cmp_lt_f64_e64 s7, |v[2:3]|, |v[4:5]|
	v_and_b32_e32 v70, 0x7fffffff, v3
	v_and_b32_e32 v71, 0x7fffffff, v5
                                        ; implicit-def: $sgpr46
                                        ; implicit-def: $vgpr12_vgpr13
                                        ; implicit-def: $vgpr10_vgpr11
	s_mov_b32 s8, exec_lo
	v_cndmask_b32_e64 v69, v70, v71, s7
	v_cndmask_b32_e64 v68, v2, v4, s7
	s_delay_alu instid0(VALU_DEP_1)
	v_cmpx_nlt_f64_e32 s[38:39], v[68:69]
	s_xor_b32 s47, exec_lo, s8
	s_cbranch_execz .LBB48_407
; %bb.402:                              ;   in Loop: Header=BB48_4 Depth=1
	v_cndmask_b32_e64 v71, v71, v70, s7
	v_cndmask_b32_e64 v70, v4, v2, s7
	v_cmp_nlt_f64_e32 vcc_lo, 0x20200000, v[68:69]
                                        ; implicit-def: $sgpr46
                                        ; implicit-def: $vgpr12_vgpr13
                                        ; implicit-def: $vgpr10_vgpr11
	s_delay_alu instid0(VALU_DEP_2) | instskip(SKIP_1) | instid1(SALU_CYCLE_1)
	v_cmp_ngt_f64_e64 s8, 0x20000000, v[70:71]
	s_and_b32 s8, vcc_lo, s8
	s_and_saveexec_b32 s48, s8
	s_delay_alu instid0(SALU_CYCLE_1)
	s_xor_b32 s8, exec_lo, s48
	s_cbranch_execz .LBB48_404
; %bb.403:                              ;   in Loop: Header=BB48_4 Depth=1
	v_mul_f64_e32 v[12:13], v[70:71], v[70:71]
	v_min_num_f64_e32 v[64:65], v[64:65], v[66:67]
	v_cmp_class_f64_e64 s46, v[4:5], 0x204
	v_cmp_class_f64_e64 s48, v[2:3], 0x204
	s_delay_alu instid0(VALU_DEP_4) | instskip(SKIP_2) | instid1(VALU_DEP_1)
	v_fmac_f64_e32 v[12:13], v[68:69], v[68:69]
	s_and_b32 s46, s46, s48
	s_wait_dscnt 0x0
	v_frexp_mant_f64_e32 v[10:11], v[12:13]
	s_delay_alu instid0(VALU_DEP_1) | instskip(SKIP_1) | instid1(VALU_DEP_1)
	v_cmp_gt_f64_e32 vcc_lo, s[20:21], v[10:11]
	v_cndmask_b32_e64 v68, 0, 1, vcc_lo
	v_ldexp_f64 v[10:11], v[10:11], v68
	s_delay_alu instid0(VALU_DEP_1) | instskip(SKIP_1) | instid1(VALU_DEP_2)
	v_add_f64_e32 v[68:69], 1.0, v[10:11]
	v_add_f64_e32 v[74:75], -1.0, v[10:11]
	v_rcp_f64_e32 v[70:71], v[68:69]
	v_add_f64_e32 v[76:77], -1.0, v[68:69]
	s_delay_alu instid0(VALU_DEP_1) | instskip(NEXT) | instid1(TRANS32_DEP_1)
	v_add_f64_e64 v[10:11], v[10:11], -v[76:77]
	v_fma_f64 v[72:73], -v[68:69], v[70:71], 1.0
	s_delay_alu instid0(VALU_DEP_1) | instskip(NEXT) | instid1(VALU_DEP_1)
	v_fmac_f64_e32 v[70:71], v[72:73], v[70:71]
	v_fma_f64 v[72:73], -v[68:69], v[70:71], 1.0
	s_delay_alu instid0(VALU_DEP_1) | instskip(NEXT) | instid1(VALU_DEP_1)
	v_fmac_f64_e32 v[70:71], v[72:73], v[70:71]
	v_mul_f64_e32 v[72:73], v[74:75], v[70:71]
	s_delay_alu instid0(VALU_DEP_1) | instskip(NEXT) | instid1(VALU_DEP_1)
	v_mul_f64_e32 v[82:83], v[68:69], v[72:73]
	v_fma_f64 v[68:69], v[72:73], v[68:69], -v[82:83]
	s_delay_alu instid0(VALU_DEP_1) | instskip(NEXT) | instid1(VALU_DEP_1)
	v_fmac_f64_e32 v[68:69], v[72:73], v[10:11]
	v_add_f64_e32 v[10:11], v[82:83], v[68:69]
	s_delay_alu instid0(VALU_DEP_1) | instskip(SKIP_1) | instid1(VALU_DEP_2)
	v_add_f64_e64 v[76:77], v[74:75], -v[10:11]
	v_add_f64_e64 v[82:83], v[10:11], -v[82:83]
	;; [unrolled: 1-line block ×3, first 2 shown]
	s_delay_alu instid0(VALU_DEP_2) | instskip(NEXT) | instid1(VALU_DEP_2)
	v_add_f64_e64 v[68:69], v[82:83], -v[68:69]
	v_add_f64_e64 v[10:11], v[74:75], -v[10:11]
	s_delay_alu instid0(VALU_DEP_1) | instskip(NEXT) | instid1(VALU_DEP_1)
	v_add_f64_e32 v[10:11], v[68:69], v[10:11]
	v_add_f64_e32 v[10:11], v[76:77], v[10:11]
	s_delay_alu instid0(VALU_DEP_1) | instskip(NEXT) | instid1(VALU_DEP_1)
	v_mul_f64_e32 v[10:11], v[70:71], v[10:11]
	v_add_f64_e32 v[68:69], v[72:73], v[10:11]
	s_delay_alu instid0(VALU_DEP_1) | instskip(SKIP_1) | instid1(VALU_DEP_2)
	v_mul_f64_e32 v[70:71], v[68:69], v[68:69]
	v_ldexp_f64 v[66:67], v[68:69], 1
	v_fmamk_f64 v[74:75], v[70:71], 0x3fc3ab76bf559e2b, v[46:47]
	v_mul_f64_e32 v[76:77], v[68:69], v[70:71]
	v_add_f64_e64 v[68:69], v[68:69], -v[72:73]
	s_delay_alu instid0(VALU_DEP_3) | instskip(NEXT) | instid1(VALU_DEP_1)
	v_fmaak_f64 v[74:75], v[70:71], v[74:75], 0x3fc7474dd7f4df2e
	v_fmaak_f64 v[74:75], v[70:71], v[74:75], 0x3fcc71c016291751
	s_delay_alu instid0(VALU_DEP_1) | instskip(NEXT) | instid1(VALU_DEP_1)
	v_fmaak_f64 v[74:75], v[70:71], v[74:75], 0x3fd249249b27acf1
	v_fmaak_f64 v[74:75], v[70:71], v[74:75], 0x3fd99999998ef7b6
	v_add_f64_e64 v[10:11], v[10:11], -v[68:69]
	s_delay_alu instid0(VALU_DEP_2) | instskip(SKIP_1) | instid1(VALU_DEP_2)
	v_fmaak_f64 v[70:71], v[70:71], v[74:75], 0x3fe5555555555780
	v_frexp_exp_i32_f64_e32 v74, v[12:13]
	v_mul_f64_e32 v[70:71], v[76:77], v[70:71]
	s_delay_alu instid0(VALU_DEP_4) | instskip(NEXT) | instid1(VALU_DEP_3)
	v_ldexp_f64 v[10:11], v[10:11], 1
	v_subrev_co_ci_u32_e64 v76, null, 0, v74, vcc_lo
	v_div_scale_f64 v[74:75], null, v[62:63], v[62:63], v[64:65]
	v_div_scale_f64 v[88:89], vcc_lo, v[64:65], v[62:63], v[64:65]
	s_delay_alu instid0(VALU_DEP_3) | instskip(SKIP_1) | instid1(VALU_DEP_4)
	v_cvt_f64_i32_e32 v[76:77], v76
	v_add_f64_e32 v[72:73], v[66:67], v[70:71]
	v_rcp_f64_e32 v[82:83], v[74:75]
	s_delay_alu instid0(VALU_DEP_2) | instskip(NEXT) | instid1(VALU_DEP_2)
	v_mul_f64_e32 v[84:85], 0x3fe62e42fefa39ef, v[76:77]
	v_add_f64_e64 v[66:67], v[72:73], -v[66:67]
	s_delay_alu instid0(VALU_DEP_2) | instskip(NEXT) | instid1(VALU_DEP_2)
	v_fma_f64 v[68:69], v[76:77], s[22:23], -v[84:85]
	v_add_f64_e64 v[66:67], v[70:71], -v[66:67]
	s_delay_alu instid0(TRANS32_DEP_1) | instskip(NEXT) | instid1(VALU_DEP_3)
	v_fma_f64 v[70:71], -v[74:75], v[82:83], 1.0
	v_fmac_f64_e32 v[68:69], 0x3c7abc9e3b39803f, v[76:77]
	s_delay_alu instid0(VALU_DEP_3) | instskip(NEXT) | instid1(VALU_DEP_3)
	v_add_f64_e32 v[10:11], v[10:11], v[66:67]
	v_fmac_f64_e32 v[82:83], v[82:83], v[70:71]
	s_delay_alu instid0(VALU_DEP_3) | instskip(NEXT) | instid1(VALU_DEP_3)
	v_add_f64_e32 v[66:67], v[84:85], v[68:69]
	v_add_f64_e32 v[70:71], v[72:73], v[10:11]
	s_delay_alu instid0(VALU_DEP_3) | instskip(NEXT) | instid1(VALU_DEP_3)
	v_fma_f64 v[76:77], -v[74:75], v[82:83], 1.0
	v_add_f64_e64 v[84:85], v[66:67], -v[84:85]
	s_delay_alu instid0(VALU_DEP_3) | instskip(NEXT) | instid1(VALU_DEP_3)
	v_add_f64_e32 v[86:87], v[66:67], v[70:71]
	v_fmac_f64_e32 v[82:83], v[82:83], v[76:77]
	v_add_f64_e64 v[72:73], v[70:71], -v[72:73]
	s_delay_alu instid0(VALU_DEP_4) | instskip(NEXT) | instid1(VALU_DEP_4)
	v_add_f64_e64 v[68:69], v[68:69], -v[84:85]
	v_add_f64_e64 v[76:77], v[86:87], -v[66:67]
	s_delay_alu instid0(VALU_DEP_4) | instskip(NEXT) | instid1(VALU_DEP_4)
	v_mul_f64_e32 v[90:91], v[88:89], v[82:83]
	v_add_f64_e64 v[72:73], v[10:11], -v[72:73]
	s_delay_alu instid0(VALU_DEP_3) | instskip(NEXT) | instid1(VALU_DEP_3)
	v_add_f64_e64 v[92:93], v[86:87], -v[76:77]
	v_fma_f64 v[74:75], -v[74:75], v[90:91], v[88:89]
	v_add_f64_e64 v[10:11], v[70:71], -v[76:77]
	s_delay_alu instid0(VALU_DEP_3) | instskip(NEXT) | instid1(VALU_DEP_3)
	v_add_f64_e64 v[66:67], v[66:67], -v[92:93]
	v_div_fmas_f64 v[70:71], v[74:75], v[82:83], v[90:91]
	v_add_f64_e32 v[74:75], v[68:69], v[72:73]
	v_cmp_class_f64_e64 vcc_lo, v[12:13], 0x204
	s_delay_alu instid0(VALU_DEP_4) | instskip(NEXT) | instid1(VALU_DEP_4)
	v_add_f64_e32 v[66:67], v[10:11], v[66:67]
	v_div_fixup_f64 v[10:11], v[70:71], v[62:63], v[64:65]
	s_delay_alu instid0(VALU_DEP_4) | instskip(NEXT) | instid1(VALU_DEP_3)
	v_add_f64_e64 v[62:63], v[74:75], -v[68:69]
	v_add_f64_e32 v[64:65], v[74:75], v[66:67]
	s_delay_alu instid0(VALU_DEP_3) | instskip(NEXT) | instid1(VALU_DEP_3)
	v_mul_f64_e32 v[66:67], v[10:11], v[10:11]
	v_add_f64_e64 v[70:71], v[74:75], -v[62:63]
	v_add_f64_e64 v[62:63], v[72:73], -v[62:63]
	s_delay_alu instid0(VALU_DEP_4) | instskip(NEXT) | instid1(VALU_DEP_4)
	v_add_f64_e32 v[74:75], v[86:87], v[64:65]
	v_fmamk_f64 v[76:77], v[66:67], 0x3eeba404b5e68a13, v[50:51]
	s_delay_alu instid0(VALU_DEP_4) | instskip(NEXT) | instid1(VALU_DEP_2)
	v_add_f64_e64 v[68:69], v[68:69], -v[70:71]
	v_fmaak_f64 v[76:77], v[66:67], v[76:77], 0x3f4b2bb069efb384
	s_delay_alu instid0(VALU_DEP_1) | instskip(NEXT) | instid1(VALU_DEP_1)
	v_fmaak_f64 v[76:77], v[66:67], v[76:77], 0xbf67952daf56de9b
	v_fmaak_f64 v[76:77], v[66:67], v[76:77], 0x3f7d6d43a595c56f
	s_delay_alu instid0(VALU_DEP_1) | instskip(SKIP_2) | instid1(VALU_DEP_3)
	v_fmaak_f64 v[72:73], v[66:67], v[76:77], 0xbf8c6ea4a57d9582
	v_add_f64_e64 v[70:71], v[74:75], -v[86:87]
	v_add_f64_e32 v[62:63], v[62:63], v[68:69]
	v_fmaak_f64 v[72:73], v[66:67], v[72:73], 0x3f967e295f08b19f
	s_delay_alu instid0(VALU_DEP_1) | instskip(NEXT) | instid1(VALU_DEP_1)
	v_fmaak_f64 v[72:73], v[66:67], v[72:73], 0xbf9e9ae6fc27006a
	v_fmaak_f64 v[72:73], v[66:67], v[72:73], 0x3fa2c15b5711927a
	s_delay_alu instid0(VALU_DEP_1) | instskip(NEXT) | instid1(VALU_DEP_1)
	v_fmaak_f64 v[72:73], v[66:67], v[72:73], 0xbfa59976e82d3ff0
	v_fmaak_f64 v[68:69], v[66:67], v[72:73], 0x3fa82d5d6ef28734
	v_add_f64_e64 v[64:65], v[64:65], -v[70:71]
	s_delay_alu instid0(VALU_DEP_2) | instskip(NEXT) | instid1(VALU_DEP_1)
	v_fmaak_f64 v[68:69], v[66:67], v[68:69], 0xbfaae5ce6a214619
	v_fmaak_f64 v[68:69], v[66:67], v[68:69], 0x3fae1bb48427b883
	s_delay_alu instid0(VALU_DEP_1) | instskip(NEXT) | instid1(VALU_DEP_4)
	v_fmaak_f64 v[68:69], v[66:67], v[68:69], 0xbfb110e48b207f05
	v_add_f64_e32 v[62:63], v[62:63], v[64:65]
	s_delay_alu instid0(VALU_DEP_2) | instskip(NEXT) | instid1(VALU_DEP_1)
	v_fmaak_f64 v[64:65], v[66:67], v[68:69], 0x3fb3b13657b87036
	v_fmaak_f64 v[64:65], v[66:67], v[64:65], 0xbfb745d119378e4f
	s_delay_alu instid0(VALU_DEP_1) | instskip(NEXT) | instid1(VALU_DEP_1)
	v_fmaak_f64 v[64:65], v[66:67], v[64:65], 0x3fbc71c717e1913c
	v_fmaak_f64 v[64:65], v[66:67], v[64:65], 0xbfc2492492376b7d
	s_delay_alu instid0(VALU_DEP_1) | instskip(SKIP_1) | instid1(VALU_DEP_2)
	v_fmaak_f64 v[64:65], v[66:67], v[64:65], 0x3fc99999999952cc
	v_add_f64_e32 v[62:63], v[74:75], v[62:63]
	v_fmaak_f64 v[64:65], v[66:67], v[64:65], 0xbfd5555555555523
	s_delay_alu instid0(VALU_DEP_1) | instskip(NEXT) | instid1(VALU_DEP_3)
	v_mul_f64_e32 v[64:65], v[66:67], v[64:65]
                                        ; implicit-def: $vgpr66_vgpr67
	v_dual_cndmask_b32 v63, v63, v13 :: v_dual_cndmask_b32 v62, v62, v12
	v_cmp_neq_f64_e32 vcc_lo, 0, v[12:13]
	s_delay_alu instid0(VALU_DEP_2) | instskip(NEXT) | instid1(VALU_DEP_4)
	v_mul_f64_e32 v[62:63], 0.5, v[62:63]
	v_fmac_f64_e32 v[10:11], v[10:11], v[64:65]
                                        ; implicit-def: $vgpr64_vgpr65
	s_delay_alu instid0(VALU_DEP_2) | instskip(NEXT) | instid1(VALU_DEP_3)
	v_cndmask_b32_e32 v13, 0xfff00000, v63, vcc_lo
	v_cndmask_b32_e32 v12, 0, v62, vcc_lo
                                        ; implicit-def: $vgpr62_vgpr63
.LBB48_404:                             ;   in Loop: Header=BB48_4 Depth=1
	s_and_not1_saveexec_b32 s8, s8
	s_cbranch_execz .LBB48_406
; %bb.405:                              ;   in Loop: Header=BB48_4 Depth=1
	v_frexp_exp_i32_f64_e32 v72, v[62:63]
	v_cmp_class_f64_e64 s48, v[2:3], 0x204
	v_cmp_class_f64_e64 s49, v[4:5], 0x204
	v_min_num_f64_e32 v[64:65], v[64:65], v[66:67]
	s_and_not1_b32 s46, s46, exec_lo
	v_sub_nc_u32_e32 v12, 0, v72
	s_or_b32 s50, s49, s48
	s_and_b32 s48, s49, s48
	s_delay_alu instid0(SALU_CYCLE_1) | instskip(SKIP_3) | instid1(VALU_DEP_1)
	s_and_b32 s48, s48, exec_lo
	s_wait_dscnt 0x0
	v_ldexp_f64 v[10:11], |v[4:5]|, v12
	s_or_b32 s46, s46, s48
	v_mul_f64_e32 v[10:11], v[10:11], v[10:11]
	v_ldexp_f64 v[12:13], |v[2:3]|, v12
	s_delay_alu instid0(VALU_DEP_1) | instskip(NEXT) | instid1(VALU_DEP_1)
	v_fmac_f64_e32 v[10:11], v[12:13], v[12:13]
	v_rsq_f64_e32 v[12:13], v[10:11]
	v_cmp_eq_f64_e32 vcc_lo, 0, v[10:11]
	s_delay_alu instid0(TRANS32_DEP_1) | instskip(SKIP_1) | instid1(VALU_DEP_1)
	v_mul_f64_e32 v[68:69], v[10:11], v[12:13]
	v_mul_f64_e32 v[12:13], 0.5, v[12:13]
	v_fma_f64 v[70:71], -v[12:13], v[68:69], 0.5
	s_delay_alu instid0(VALU_DEP_1) | instskip(SKIP_1) | instid1(VALU_DEP_2)
	v_fmac_f64_e32 v[68:69], v[68:69], v[70:71]
	v_fmac_f64_e32 v[12:13], v[12:13], v[70:71]
	v_fma_f64 v[70:71], -v[68:69], v[68:69], v[10:11]
	s_delay_alu instid0(VALU_DEP_1) | instskip(NEXT) | instid1(VALU_DEP_1)
	v_fmac_f64_e32 v[68:69], v[70:71], v[12:13]
	v_dual_cndmask_b32 v11, v69, v11 :: v_dual_cndmask_b32 v10, v68, v10
	s_delay_alu instid0(VALU_DEP_1) | instskip(NEXT) | instid1(VALU_DEP_1)
	v_ldexp_f64 v[10:11], v[10:11], v72
	v_cndmask_b32_e64 v69, v11, 0x7ff00000, s50
	s_delay_alu instid0(VALU_DEP_2) | instskip(NEXT) | instid1(VALU_DEP_1)
	v_cndmask_b32_e64 v68, v10, 0, s50
	v_frexp_mant_f64_e32 v[10:11], v[68:69]
	v_frexp_exp_i32_f64_e32 v81, v[68:69]
	s_delay_alu instid0(VALU_DEP_2) | instskip(SKIP_1) | instid1(VALU_DEP_1)
	v_cmp_gt_f64_e32 vcc_lo, s[20:21], v[10:11]
	v_cndmask_b32_e64 v12, 0, 1, vcc_lo
	v_ldexp_f64 v[10:11], v[10:11], v12
	s_delay_alu instid0(VALU_DEP_1) | instskip(SKIP_1) | instid1(VALU_DEP_2)
	v_add_f64_e32 v[12:13], 1.0, v[10:11]
	v_add_f64_e32 v[74:75], -1.0, v[10:11]
	v_rcp_f64_e32 v[70:71], v[12:13]
	v_add_f64_e32 v[76:77], -1.0, v[12:13]
	s_delay_alu instid0(VALU_DEP_1) | instskip(NEXT) | instid1(TRANS32_DEP_1)
	v_add_f64_e64 v[10:11], v[10:11], -v[76:77]
	v_fma_f64 v[72:73], -v[12:13], v[70:71], 1.0
	s_delay_alu instid0(VALU_DEP_1) | instskip(NEXT) | instid1(VALU_DEP_1)
	v_fmac_f64_e32 v[70:71], v[72:73], v[70:71]
	v_fma_f64 v[72:73], -v[12:13], v[70:71], 1.0
	s_delay_alu instid0(VALU_DEP_1) | instskip(NEXT) | instid1(VALU_DEP_1)
	v_fmac_f64_e32 v[70:71], v[72:73], v[70:71]
	v_mul_f64_e32 v[72:73], v[74:75], v[70:71]
	s_delay_alu instid0(VALU_DEP_1) | instskip(NEXT) | instid1(VALU_DEP_1)
	v_mul_f64_e32 v[82:83], v[12:13], v[72:73]
	v_fma_f64 v[12:13], v[72:73], v[12:13], -v[82:83]
	s_delay_alu instid0(VALU_DEP_1) | instskip(NEXT) | instid1(VALU_DEP_1)
	v_fmac_f64_e32 v[12:13], v[72:73], v[10:11]
	v_add_f64_e32 v[10:11], v[82:83], v[12:13]
	s_delay_alu instid0(VALU_DEP_1) | instskip(SKIP_1) | instid1(VALU_DEP_2)
	v_add_f64_e64 v[76:77], v[74:75], -v[10:11]
	v_add_f64_e64 v[82:83], v[10:11], -v[82:83]
	;; [unrolled: 1-line block ×3, first 2 shown]
	s_delay_alu instid0(VALU_DEP_2) | instskip(NEXT) | instid1(VALU_DEP_2)
	v_add_f64_e64 v[12:13], v[82:83], -v[12:13]
	v_add_f64_e64 v[10:11], v[74:75], -v[10:11]
	s_delay_alu instid0(VALU_DEP_1) | instskip(NEXT) | instid1(VALU_DEP_1)
	v_add_f64_e32 v[10:11], v[12:13], v[10:11]
	v_add_f64_e32 v[10:11], v[76:77], v[10:11]
	s_delay_alu instid0(VALU_DEP_1) | instskip(NEXT) | instid1(VALU_DEP_1)
	v_mul_f64_e32 v[10:11], v[70:71], v[10:11]
	v_add_f64_e32 v[12:13], v[72:73], v[10:11]
	s_delay_alu instid0(VALU_DEP_1) | instskip(NEXT) | instid1(VALU_DEP_1)
	v_mul_f64_e32 v[70:71], v[12:13], v[12:13]
	v_fmamk_f64 v[74:75], v[70:71], 0x3fc3ab76bf559e2b, v[46:47]
	v_mul_f64_e32 v[76:77], v[12:13], v[70:71]
	s_delay_alu instid0(VALU_DEP_2) | instskip(NEXT) | instid1(VALU_DEP_1)
	v_fmaak_f64 v[74:75], v[70:71], v[74:75], 0x3fc7474dd7f4df2e
	v_fmaak_f64 v[66:67], v[70:71], v[74:75], 0x3fcc71c016291751
	v_div_scale_f64 v[74:75], null, v[62:63], v[62:63], v[64:65]
	s_delay_alu instid0(VALU_DEP_2) | instskip(NEXT) | instid1(VALU_DEP_1)
	v_fmaak_f64 v[66:67], v[70:71], v[66:67], 0x3fd249249b27acf1
	v_fmaak_f64 v[66:67], v[70:71], v[66:67], 0x3fd99999998ef7b6
	s_delay_alu instid0(VALU_DEP_1) | instskip(SKIP_2) | instid1(VALU_DEP_3)
	v_fmaak_f64 v[66:67], v[70:71], v[66:67], 0x3fe5555555555780
	v_ldexp_f64 v[70:71], v[12:13], 1
	v_add_f64_e64 v[12:13], v[12:13], -v[72:73]
	v_mul_f64_e32 v[66:67], v[76:77], v[66:67]
	v_subrev_co_ci_u32_e64 v76, null, 0, v81, vcc_lo
	v_rcp_f64_e32 v[82:83], v[74:75]
	s_delay_alu instid0(VALU_DEP_1) | instskip(NEXT) | instid1(VALU_DEP_4)
	v_cvt_f64_i32_e32 v[76:77], v76
	v_add_f64_e64 v[10:11], v[10:11], -v[12:13]
	s_delay_alu instid0(VALU_DEP_4) | instskip(NEXT) | instid1(VALU_DEP_3)
	v_add_f64_e32 v[72:73], v[70:71], v[66:67]
	v_mul_f64_e32 v[84:85], 0x3fe62e42fefa39ef, v[76:77]
	s_delay_alu instid0(VALU_DEP_3) | instskip(NEXT) | instid1(VALU_DEP_3)
	v_ldexp_f64 v[10:11], v[10:11], 1
	v_add_f64_e64 v[12:13], v[72:73], -v[70:71]
	s_delay_alu instid0(TRANS32_DEP_1) | instskip(NEXT) | instid1(VALU_DEP_4)
	v_fma_f64 v[70:71], -v[74:75], v[82:83], 1.0
	v_fma_f64 v[86:87], v[76:77], s[22:23], -v[84:85]
	s_delay_alu instid0(VALU_DEP_3) | instskip(NEXT) | instid1(VALU_DEP_3)
	v_add_f64_e64 v[12:13], v[66:67], -v[12:13]
	v_fmac_f64_e32 v[82:83], v[82:83], v[70:71]
	s_delay_alu instid0(VALU_DEP_3) | instskip(SKIP_1) | instid1(VALU_DEP_4)
	v_fmac_f64_e32 v[86:87], 0x3c7abc9e3b39803f, v[76:77]
	v_div_scale_f64 v[76:77], vcc_lo, v[64:65], v[62:63], v[64:65]
	v_add_f64_e32 v[10:11], v[10:11], v[12:13]
	s_delay_alu instid0(VALU_DEP_4) | instskip(NEXT) | instid1(VALU_DEP_4)
	v_fma_f64 v[12:13], -v[74:75], v[82:83], 1.0
	v_add_f64_e32 v[66:67], v[84:85], v[86:87]
	s_delay_alu instid0(VALU_DEP_3) | instskip(NEXT) | instid1(VALU_DEP_3)
	v_add_f64_e32 v[70:71], v[72:73], v[10:11]
	v_fmac_f64_e32 v[82:83], v[82:83], v[12:13]
	s_delay_alu instid0(VALU_DEP_2) | instskip(NEXT) | instid1(VALU_DEP_2)
	v_add_f64_e32 v[12:13], v[66:67], v[70:71]
	v_mul_f64_e32 v[88:89], v[76:77], v[82:83]
	v_add_f64_e64 v[72:73], v[70:71], -v[72:73]
	s_delay_alu instid0(VALU_DEP_3) | instskip(NEXT) | instid1(VALU_DEP_3)
	v_add_f64_e64 v[90:91], v[12:13], -v[66:67]
	v_fma_f64 v[74:75], -v[74:75], v[88:89], v[76:77]
	v_add_f64_e64 v[76:77], v[66:67], -v[84:85]
	s_delay_alu instid0(VALU_DEP_4) | instskip(NEXT) | instid1(VALU_DEP_4)
	v_add_f64_e64 v[72:73], v[10:11], -v[72:73]
	v_add_f64_e64 v[84:85], v[12:13], -v[90:91]
	s_delay_alu instid0(VALU_DEP_4) | instskip(NEXT) | instid1(VALU_DEP_4)
	v_div_fmas_f64 v[74:75], v[74:75], v[82:83], v[88:89]
	v_add_f64_e64 v[76:77], v[86:87], -v[76:77]
	v_add_f64_e64 v[70:71], v[70:71], -v[90:91]
	v_cmp_class_f64_e64 vcc_lo, v[68:69], 0x204
	v_add_f64_e64 v[66:67], v[66:67], -v[84:85]
	v_div_fixup_f64 v[10:11], v[74:75], v[62:63], v[64:65]
	v_add_f64_e32 v[62:63], v[76:77], v[72:73]
	s_delay_alu instid0(VALU_DEP_3) | instskip(NEXT) | instid1(VALU_DEP_3)
	v_add_f64_e32 v[64:65], v[70:71], v[66:67]
	v_mul_f64_e32 v[66:67], v[10:11], v[10:11]
	s_delay_alu instid0(VALU_DEP_3) | instskip(NEXT) | instid1(VALU_DEP_3)
	v_add_f64_e64 v[70:71], v[62:63], -v[76:77]
	v_add_f64_e32 v[64:65], v[62:63], v[64:65]
	s_delay_alu instid0(VALU_DEP_3) | instskip(NEXT) | instid1(VALU_DEP_3)
	v_fmamk_f64 v[74:75], v[66:67], 0x3eeba404b5e68a13, v[50:51]
	v_add_f64_e64 v[62:63], v[62:63], -v[70:71]
	v_add_f64_e64 v[70:71], v[72:73], -v[70:71]
	s_delay_alu instid0(VALU_DEP_3) | instskip(NEXT) | instid1(VALU_DEP_1)
	v_fmaak_f64 v[74:75], v[66:67], v[74:75], 0x3f4b2bb069efb384
	v_fmaak_f64 v[74:75], v[66:67], v[74:75], 0xbf67952daf56de9b
	s_delay_alu instid0(VALU_DEP_1) | instskip(NEXT) | instid1(VALU_DEP_1)
	v_fmaak_f64 v[74:75], v[66:67], v[74:75], 0x3f7d6d43a595c56f
	v_fmaak_f64 v[74:75], v[66:67], v[74:75], 0xbf8c6ea4a57d9582
	v_add_f64_e32 v[82:83], v[12:13], v[64:65]
	v_add_f64_e64 v[62:63], v[76:77], -v[62:63]
	s_delay_alu instid0(VALU_DEP_3) | instskip(NEXT) | instid1(VALU_DEP_1)
	v_fmaak_f64 v[74:75], v[66:67], v[74:75], 0x3f967e295f08b19f
	v_fmaak_f64 v[74:75], v[66:67], v[74:75], 0xbf9e9ae6fc27006a
	s_delay_alu instid0(VALU_DEP_1) | instskip(NEXT) | instid1(VALU_DEP_1)
	v_fmaak_f64 v[74:75], v[66:67], v[74:75], 0x3fa2c15b5711927a
	v_fmaak_f64 v[72:73], v[66:67], v[74:75], 0xbfa59976e82d3ff0
	s_delay_alu instid0(VALU_DEP_1) | instskip(SKIP_2) | instid1(VALU_DEP_3)
	v_fmaak_f64 v[72:73], v[66:67], v[72:73], 0x3fa82d5d6ef28734
	v_add_f64_e64 v[12:13], v[82:83], -v[12:13]
	v_add_f64_e32 v[62:63], v[70:71], v[62:63]
	v_fmaak_f64 v[72:73], v[66:67], v[72:73], 0xbfaae5ce6a214619
	s_delay_alu instid0(VALU_DEP_1) | instskip(NEXT) | instid1(VALU_DEP_1)
	v_fmaak_f64 v[72:73], v[66:67], v[72:73], 0x3fae1bb48427b883
	v_fmaak_f64 v[72:73], v[66:67], v[72:73], 0xbfb110e48b207f05
	v_add_f64_e64 v[12:13], v[64:65], -v[12:13]
	s_delay_alu instid0(VALU_DEP_2) | instskip(NEXT) | instid1(VALU_DEP_1)
	v_fmaak_f64 v[64:65], v[66:67], v[72:73], 0x3fb3b13657b87036
	v_fmaak_f64 v[64:65], v[66:67], v[64:65], 0xbfb745d119378e4f
	s_delay_alu instid0(VALU_DEP_1) | instskip(NEXT) | instid1(VALU_DEP_1)
	v_fmaak_f64 v[64:65], v[66:67], v[64:65], 0x3fbc71c717e1913c
	v_fmaak_f64 v[64:65], v[66:67], v[64:65], 0xbfc2492492376b7d
	v_add_f64_e32 v[12:13], v[62:63], v[12:13]
	s_delay_alu instid0(VALU_DEP_2) | instskip(NEXT) | instid1(VALU_DEP_1)
	v_fmaak_f64 v[62:63], v[66:67], v[64:65], 0x3fc99999999952cc
	v_fmaak_f64 v[62:63], v[66:67], v[62:63], 0xbfd5555555555523
	s_delay_alu instid0(VALU_DEP_1) | instskip(NEXT) | instid1(VALU_DEP_4)
	v_mul_f64_e32 v[62:63], v[66:67], v[62:63]
	v_add_f64_e32 v[12:13], v[82:83], v[12:13]
	s_delay_alu instid0(VALU_DEP_2) | instskip(NEXT) | instid1(VALU_DEP_2)
	v_fmac_f64_e32 v[10:11], v[10:11], v[62:63]
	v_dual_cndmask_b32 v12, v12, v68 :: v_dual_cndmask_b32 v13, v13, v69
	v_cmp_ngt_f64_e32 vcc_lo, 0, v[68:69]
	s_delay_alu instid0(VALU_DEP_2) | instskip(SKIP_1) | instid1(VALU_DEP_4)
	v_cndmask_b32_e32 v13, 0x7ff80000, v13, vcc_lo
	v_cmp_nge_f64_e32 vcc_lo, 0, v[68:69]
	v_cndmask_b32_e32 v12, 0, v12, vcc_lo
	v_cmp_neq_f64_e32 vcc_lo, 0, v[68:69]
	s_delay_alu instid0(VALU_DEP_4)
	v_cndmask_b32_e32 v13, 0xfff00000, v13, vcc_lo
.LBB48_406:                             ;   in Loop: Header=BB48_4 Depth=1
	s_or_b32 exec_lo, exec_lo, s8
                                        ; implicit-def: $vgpr64_vgpr65
                                        ; implicit-def: $vgpr66_vgpr67
                                        ; implicit-def: $vgpr62_vgpr63
.LBB48_407:                             ;   in Loop: Header=BB48_4 Depth=1
	s_and_not1_saveexec_b32 s47, s47
	s_cbranch_execz .LBB48_409
; %bb.408:                              ;   in Loop: Header=BB48_4 Depth=1
	s_wait_dscnt 0x0
	v_div_scale_f64 v[10:11], null, s[40:41], s[40:41], v[2:3]
	v_div_scale_f64 v[12:13], null, s[40:41], s[40:41], v[4:5]
	v_div_scale_f64 v[76:77], vcc_lo, v[2:3], s[40:41], v[2:3]
	v_min_num_f64_e32 v[64:65], v[64:65], v[66:67]
	s_and_not1_b32 s46, s46, exec_lo
	s_delay_alu instid0(VALU_DEP_4) | instskip(NEXT) | instid1(VALU_DEP_3)
	v_rcp_f64_e32 v[68:69], v[10:11]
	v_rcp_f64_e32 v[70:71], v[12:13]
	s_delay_alu instid0(TRANS32_DEP_2) | instskip(NEXT) | instid1(TRANS32_DEP_1)
	v_fma_f64 v[72:73], -v[10:11], v[68:69], 1.0
	v_fma_f64 v[74:75], -v[12:13], v[70:71], 1.0
	s_delay_alu instid0(VALU_DEP_2) | instskip(NEXT) | instid1(VALU_DEP_2)
	v_fmac_f64_e32 v[68:69], v[68:69], v[72:73]
	v_fmac_f64_e32 v[70:71], v[70:71], v[74:75]
	s_delay_alu instid0(VALU_DEP_2) | instskip(NEXT) | instid1(VALU_DEP_2)
	v_fma_f64 v[72:73], -v[10:11], v[68:69], 1.0
	v_fma_f64 v[74:75], -v[12:13], v[70:71], 1.0
	s_delay_alu instid0(VALU_DEP_2) | instskip(SKIP_1) | instid1(VALU_DEP_3)
	v_fmac_f64_e32 v[68:69], v[68:69], v[72:73]
	v_div_scale_f64 v[72:73], s8, v[4:5], s[40:41], v[4:5]
	v_fmac_f64_e32 v[70:71], v[70:71], v[74:75]
	s_delay_alu instid0(VALU_DEP_3) | instskip(NEXT) | instid1(VALU_DEP_2)
	v_mul_f64_e32 v[74:75], v[76:77], v[68:69]
	v_mul_f64_e32 v[82:83], v[72:73], v[70:71]
	s_delay_alu instid0(VALU_DEP_2) | instskip(NEXT) | instid1(VALU_DEP_2)
	v_fma_f64 v[10:11], -v[10:11], v[74:75], v[76:77]
	v_fma_f64 v[12:13], -v[12:13], v[82:83], v[72:73]
	s_delay_alu instid0(VALU_DEP_2) | instskip(SKIP_1) | instid1(VALU_DEP_2)
	v_div_fmas_f64 v[10:11], v[10:11], v[68:69], v[74:75]
	s_mov_b32 vcc_lo, s8
	v_div_fmas_f64 v[12:13], v[12:13], v[70:71], v[82:83]
	s_delay_alu instid0(VALU_DEP_2) | instskip(NEXT) | instid1(VALU_DEP_2)
	v_div_fixup_f64 v[10:11], v[10:11], s[40:41], v[2:3]
	v_div_fixup_f64 v[12:13], v[12:13], s[40:41], v[4:5]
	s_delay_alu instid0(VALU_DEP_2) | instskip(NEXT) | instid1(VALU_DEP_2)
	v_cmp_class_f64_e64 s8, v[10:11], 0x204
	v_max_num_f64_e64 v[68:69], |v[10:11]|, |v[12:13]|
	v_cmp_class_f64_e64 s48, v[12:13], 0x204
	s_delay_alu instid0(VALU_DEP_2) | instskip(SKIP_2) | instid1(VALU_DEP_2)
	v_frexp_exp_i32_f64_e32 v76, v[68:69]
	s_or_b32 s8, s48, s8
	v_cmp_class_f64_e64 s48, v[2:3], 0x204
	v_sub_nc_u32_e32 v70, 0, v76
	s_delay_alu instid0(VALU_DEP_1) | instskip(SKIP_1) | instid1(VALU_DEP_2)
	v_ldexp_f64 v[68:69], |v[12:13]|, v70
	v_ldexp_f64 v[70:71], |v[10:11]|, v70
	v_mul_f64_e32 v[68:69], v[68:69], v[68:69]
	s_delay_alu instid0(VALU_DEP_1) | instskip(NEXT) | instid1(VALU_DEP_1)
	v_fmac_f64_e32 v[68:69], v[70:71], v[70:71]
	v_rsq_f64_e32 v[70:71], v[68:69]
	v_cmp_eq_f64_e32 vcc_lo, 0, v[68:69]
	s_delay_alu instid0(TRANS32_DEP_1) | instskip(SKIP_1) | instid1(VALU_DEP_1)
	v_mul_f64_e32 v[72:73], v[68:69], v[70:71]
	v_mul_f64_e32 v[70:71], 0.5, v[70:71]
	v_fma_f64 v[74:75], -v[70:71], v[72:73], 0.5
	s_delay_alu instid0(VALU_DEP_1) | instskip(SKIP_1) | instid1(VALU_DEP_2)
	v_fmac_f64_e32 v[72:73], v[72:73], v[74:75]
	v_fmac_f64_e32 v[70:71], v[70:71], v[74:75]
	v_fma_f64 v[74:75], -v[72:73], v[72:73], v[68:69]
	s_delay_alu instid0(VALU_DEP_1) | instskip(NEXT) | instid1(VALU_DEP_1)
	v_fmac_f64_e32 v[72:73], v[74:75], v[70:71]
	v_dual_cndmask_b32 v69, v73, v69 :: v_dual_cndmask_b32 v68, v72, v68
	s_delay_alu instid0(VALU_DEP_1) | instskip(NEXT) | instid1(VALU_DEP_1)
	v_ldexp_f64 v[10:11], v[68:69], v76
	v_cndmask_b32_e64 v69, v11, 0x7ff00000, s8
	s_delay_alu instid0(VALU_DEP_2) | instskip(SKIP_1) | instid1(VALU_DEP_2)
	v_cndmask_b32_e64 v68, v10, 0, s8
	v_cmp_class_f64_e64 s8, v[4:5], 0x204
	v_frexp_mant_f64_e32 v[10:11], v[68:69]
	v_frexp_exp_i32_f64_e32 v81, v[68:69]
	s_and_b32 s8, s8, s48
	s_delay_alu instid0(SALU_CYCLE_1) | instskip(NEXT) | instid1(VALU_DEP_2)
	s_and_b32 s8, s8, exec_lo
	v_cmp_gt_f64_e32 vcc_lo, s[20:21], v[10:11]
	s_or_b32 s46, s46, s8
	v_cndmask_b32_e64 v12, 0, 1, vcc_lo
	s_delay_alu instid0(VALU_DEP_3) | instskip(SKIP_1) | instid1(VALU_DEP_3)
	v_subrev_co_ci_u32_e64 v66, null, 0, v81, vcc_lo
	v_div_scale_f64 v[88:89], vcc_lo, v[64:65], v[62:63], v[64:65]
	v_ldexp_f64 v[10:11], v[10:11], v12
	s_delay_alu instid0(VALU_DEP_3) | instskip(NEXT) | instid1(VALU_DEP_2)
	v_cvt_f64_i32_e32 v[66:67], v66
	v_add_f64_e32 v[12:13], 1.0, v[10:11]
	v_add_f64_e32 v[74:75], -1.0, v[10:11]
	s_delay_alu instid0(VALU_DEP_2) | instskip(SKIP_1) | instid1(VALU_DEP_1)
	v_rcp_f64_e32 v[70:71], v[12:13]
	v_add_f64_e32 v[76:77], -1.0, v[12:13]
	v_add_f64_e64 v[10:11], v[10:11], -v[76:77]
	s_delay_alu instid0(TRANS32_DEP_1) | instskip(NEXT) | instid1(VALU_DEP_1)
	v_fma_f64 v[72:73], -v[12:13], v[70:71], 1.0
	v_fmac_f64_e32 v[70:71], v[72:73], v[70:71]
	s_delay_alu instid0(VALU_DEP_1) | instskip(NEXT) | instid1(VALU_DEP_1)
	v_fma_f64 v[72:73], -v[12:13], v[70:71], 1.0
	v_fmac_f64_e32 v[70:71], v[72:73], v[70:71]
	s_delay_alu instid0(VALU_DEP_1) | instskip(NEXT) | instid1(VALU_DEP_1)
	v_mul_f64_e32 v[72:73], v[74:75], v[70:71]
	v_mul_f64_e32 v[82:83], v[12:13], v[72:73]
	s_delay_alu instid0(VALU_DEP_1) | instskip(NEXT) | instid1(VALU_DEP_1)
	v_fma_f64 v[12:13], v[72:73], v[12:13], -v[82:83]
	v_fmac_f64_e32 v[12:13], v[72:73], v[10:11]
	s_delay_alu instid0(VALU_DEP_1) | instskip(NEXT) | instid1(VALU_DEP_1)
	v_add_f64_e32 v[10:11], v[82:83], v[12:13]
	v_add_f64_e64 v[76:77], v[74:75], -v[10:11]
	v_add_f64_e64 v[82:83], v[10:11], -v[82:83]
	s_delay_alu instid0(VALU_DEP_2) | instskip(NEXT) | instid1(VALU_DEP_2)
	v_add_f64_e64 v[74:75], v[74:75], -v[76:77]
	v_add_f64_e64 v[12:13], v[82:83], -v[12:13]
	v_mul_f64_e32 v[82:83], 0x3fe62e42fefa39ef, v[66:67]
	s_delay_alu instid0(VALU_DEP_3) | instskip(NEXT) | instid1(VALU_DEP_2)
	v_add_f64_e64 v[10:11], v[74:75], -v[10:11]
	v_fma_f64 v[84:85], v[66:67], s[22:23], -v[82:83]
	s_delay_alu instid0(VALU_DEP_2) | instskip(NEXT) | instid1(VALU_DEP_2)
	v_add_f64_e32 v[10:11], v[12:13], v[10:11]
	v_fmac_f64_e32 v[84:85], 0x3c7abc9e3b39803f, v[66:67]
	s_delay_alu instid0(VALU_DEP_2) | instskip(NEXT) | instid1(VALU_DEP_1)
	v_add_f64_e32 v[10:11], v[76:77], v[10:11]
	v_mul_f64_e32 v[10:11], v[70:71], v[10:11]
	s_delay_alu instid0(VALU_DEP_1) | instskip(NEXT) | instid1(VALU_DEP_1)
	v_add_f64_e32 v[12:13], v[72:73], v[10:11]
	v_mul_f64_e32 v[70:71], v[12:13], v[12:13]
	s_delay_alu instid0(VALU_DEP_1) | instskip(SKIP_1) | instid1(VALU_DEP_2)
	v_fmamk_f64 v[74:75], v[70:71], 0x3fc3ab76bf559e2b, v[46:47]
	v_mul_f64_e32 v[76:77], v[12:13], v[70:71]
	v_fmaak_f64 v[74:75], v[70:71], v[74:75], 0x3fc7474dd7f4df2e
	s_delay_alu instid0(VALU_DEP_1) | instskip(NEXT) | instid1(VALU_DEP_1)
	v_fmaak_f64 v[74:75], v[70:71], v[74:75], 0x3fcc71c016291751
	v_fmaak_f64 v[74:75], v[70:71], v[74:75], 0x3fd249249b27acf1
	s_delay_alu instid0(VALU_DEP_1) | instskip(NEXT) | instid1(VALU_DEP_1)
	v_fmaak_f64 v[74:75], v[70:71], v[74:75], 0x3fd99999998ef7b6
	v_fmaak_f64 v[70:71], v[70:71], v[74:75], 0x3fe5555555555780
	v_ldexp_f64 v[74:75], v[12:13], 1
	v_add_f64_e64 v[12:13], v[12:13], -v[72:73]
	s_delay_alu instid0(VALU_DEP_3) | instskip(SKIP_1) | instid1(VALU_DEP_3)
	v_mul_f64_e32 v[70:71], v[76:77], v[70:71]
	v_div_scale_f64 v[76:77], null, v[62:63], v[62:63], v[64:65]
	v_add_f64_e64 v[10:11], v[10:11], -v[12:13]
	s_delay_alu instid0(VALU_DEP_3) | instskip(NEXT) | instid1(VALU_DEP_2)
	v_add_f64_e32 v[72:73], v[74:75], v[70:71]
	v_ldexp_f64 v[10:11], v[10:11], 1
	s_delay_alu instid0(VALU_DEP_2) | instskip(SKIP_1) | instid1(VALU_DEP_1)
	v_add_f64_e64 v[12:13], v[72:73], -v[74:75]
	v_rcp_f64_e32 v[74:75], v[76:77]
	v_add_f64_e64 v[12:13], v[70:71], -v[12:13]
	s_delay_alu instid0(TRANS32_DEP_1) | instskip(NEXT) | instid1(VALU_DEP_2)
	v_fma_f64 v[70:71], -v[76:77], v[74:75], 1.0
	v_add_f64_e32 v[10:11], v[10:11], v[12:13]
	v_add_f64_e32 v[12:13], v[82:83], v[84:85]
	s_delay_alu instid0(VALU_DEP_3) | instskip(NEXT) | instid1(VALU_DEP_3)
	v_fmac_f64_e32 v[74:75], v[74:75], v[70:71]
	v_add_f64_e32 v[66:67], v[72:73], v[10:11]
	s_delay_alu instid0(VALU_DEP_3) | instskip(NEXT) | instid1(VALU_DEP_3)
	v_add_f64_e64 v[82:83], v[12:13], -v[82:83]
	v_fma_f64 v[70:71], -v[76:77], v[74:75], 1.0
	s_delay_alu instid0(VALU_DEP_3) | instskip(SKIP_1) | instid1(VALU_DEP_4)
	v_add_f64_e32 v[86:87], v[12:13], v[66:67]
	v_add_f64_e64 v[72:73], v[66:67], -v[72:73]
	v_add_f64_e64 v[82:83], v[84:85], -v[82:83]
	s_delay_alu instid0(VALU_DEP_4) | instskip(NEXT) | instid1(VALU_DEP_4)
	v_fmac_f64_e32 v[74:75], v[74:75], v[70:71]
	v_add_f64_e64 v[70:71], v[86:87], -v[12:13]
	s_delay_alu instid0(VALU_DEP_4) | instskip(NEXT) | instid1(VALU_DEP_3)
	v_add_f64_e64 v[72:73], v[10:11], -v[72:73]
	v_mul_f64_e32 v[90:91], v[88:89], v[74:75]
	s_delay_alu instid0(VALU_DEP_3) | instskip(SKIP_1) | instid1(VALU_DEP_4)
	v_add_f64_e64 v[92:93], v[86:87], -v[70:71]
	v_add_f64_e64 v[10:11], v[66:67], -v[70:71]
	v_add_f64_e32 v[70:71], v[82:83], v[72:73]
	s_delay_alu instid0(VALU_DEP_4) | instskip(NEXT) | instid1(VALU_DEP_4)
	v_fma_f64 v[76:77], -v[76:77], v[90:91], v[88:89]
	v_add_f64_e64 v[12:13], v[12:13], -v[92:93]
	s_delay_alu instid0(VALU_DEP_2) | instskip(SKIP_1) | instid1(VALU_DEP_3)
	v_div_fmas_f64 v[66:67], v[76:77], v[74:75], v[90:91]
	v_cmp_class_f64_e64 vcc_lo, v[68:69], 0x204
	v_add_f64_e32 v[12:13], v[10:11], v[12:13]
	s_delay_alu instid0(VALU_DEP_3) | instskip(SKIP_1) | instid1(VALU_DEP_3)
	v_div_fixup_f64 v[10:11], v[66:67], v[62:63], v[64:65]
	v_add_f64_e64 v[62:63], v[70:71], -v[82:83]
	v_add_f64_e32 v[12:13], v[70:71], v[12:13]
	s_delay_alu instid0(VALU_DEP_3) | instskip(NEXT) | instid1(VALU_DEP_3)
	v_mul_f64_e32 v[64:65], v[10:11], v[10:11]
	v_add_f64_e64 v[66:67], v[70:71], -v[62:63]
	v_add_f64_e64 v[62:63], v[72:73], -v[62:63]
	s_delay_alu instid0(VALU_DEP_4) | instskip(NEXT) | instid1(VALU_DEP_4)
	v_add_f64_e32 v[70:71], v[86:87], v[12:13]
	v_fmamk_f64 v[74:75], v[64:65], 0x3eeba404b5e68a13, v[50:51]
	s_delay_alu instid0(VALU_DEP_4) | instskip(NEXT) | instid1(VALU_DEP_2)
	v_add_f64_e64 v[66:67], v[82:83], -v[66:67]
	v_fmaak_f64 v[74:75], v[64:65], v[74:75], 0x3f4b2bb069efb384
	s_delay_alu instid0(VALU_DEP_1) | instskip(NEXT) | instid1(VALU_DEP_1)
	v_fmaak_f64 v[74:75], v[64:65], v[74:75], 0xbf67952daf56de9b
	v_fmaak_f64 v[74:75], v[64:65], v[74:75], 0x3f7d6d43a595c56f
	v_add_f64_e64 v[72:73], v[70:71], -v[86:87]
	s_delay_alu instid0(VALU_DEP_2) | instskip(SKIP_1) | instid1(VALU_DEP_2)
	v_fmaak_f64 v[74:75], v[64:65], v[74:75], 0xbf8c6ea4a57d9582
	v_add_f64_e32 v[62:63], v[62:63], v[66:67]
	v_fmaak_f64 v[74:75], v[64:65], v[74:75], 0x3f967e295f08b19f
	s_delay_alu instid0(VALU_DEP_1) | instskip(NEXT) | instid1(VALU_DEP_1)
	v_fmaak_f64 v[74:75], v[64:65], v[74:75], 0xbf9e9ae6fc27006a
	v_fmaak_f64 v[74:75], v[64:65], v[74:75], 0x3fa2c15b5711927a
	s_delay_alu instid0(VALU_DEP_1) | instskip(SKIP_1) | instid1(VALU_DEP_2)
	v_fmaak_f64 v[66:67], v[64:65], v[74:75], 0xbfa59976e82d3ff0
	v_add_f64_e64 v[12:13], v[12:13], -v[72:73]
	v_fmaak_f64 v[66:67], v[64:65], v[66:67], 0x3fa82d5d6ef28734
	s_delay_alu instid0(VALU_DEP_1) | instskip(NEXT) | instid1(VALU_DEP_1)
	v_fmaak_f64 v[66:67], v[64:65], v[66:67], 0xbfaae5ce6a214619
	v_fmaak_f64 v[66:67], v[64:65], v[66:67], 0x3fae1bb48427b883
	s_delay_alu instid0(VALU_DEP_1) | instskip(SKIP_1) | instid1(VALU_DEP_2)
	v_fmaak_f64 v[66:67], v[64:65], v[66:67], 0xbfb110e48b207f05
	v_add_f64_e32 v[12:13], v[62:63], v[12:13]
	v_fmaak_f64 v[62:63], v[64:65], v[66:67], 0x3fb3b13657b87036
	s_delay_alu instid0(VALU_DEP_1) | instskip(NEXT) | instid1(VALU_DEP_1)
	v_fmaak_f64 v[62:63], v[64:65], v[62:63], 0xbfb745d119378e4f
	v_fmaak_f64 v[62:63], v[64:65], v[62:63], 0x3fbc71c717e1913c
	s_delay_alu instid0(VALU_DEP_1) | instskip(NEXT) | instid1(VALU_DEP_1)
	v_fmaak_f64 v[62:63], v[64:65], v[62:63], 0xbfc2492492376b7d
	v_fmaak_f64 v[62:63], v[64:65], v[62:63], 0x3fc99999999952cc
	v_add_f64_e32 v[12:13], v[70:71], v[12:13]
	s_delay_alu instid0(VALU_DEP_2) | instskip(NEXT) | instid1(VALU_DEP_1)
	v_fmaak_f64 v[62:63], v[64:65], v[62:63], 0xbfd5555555555523
	v_mul_f64_e32 v[62:63], v[64:65], v[62:63]
	s_delay_alu instid0(VALU_DEP_3) | instskip(SKIP_1) | instid1(VALU_DEP_2)
	v_dual_cndmask_b32 v13, v13, v69 :: v_dual_cndmask_b32 v12, v12, v68
	v_cmp_ngt_f64_e32 vcc_lo, 0, v[68:69]
	v_add_f64_e32 v[12:13], 1.0, v[12:13]
	s_delay_alu instid0(VALU_DEP_4) | instskip(NEXT) | instid1(VALU_DEP_2)
	v_fmac_f64_e32 v[10:11], v[10:11], v[62:63]
	v_cndmask_b32_e32 v2, 0x7ff80000, v13, vcc_lo
	v_cmp_nge_f64_e32 vcc_lo, 0, v[68:69]
	s_delay_alu instid0(VALU_DEP_4) | instskip(SKIP_1) | instid1(VALU_DEP_4)
	v_cndmask_b32_e32 v12, 0, v12, vcc_lo
	v_cmp_neq_f64_e32 vcc_lo, 0, v[68:69]
	v_cndmask_b32_e32 v13, 0xfff00000, v2, vcc_lo
.LBB48_409:                             ;   in Loop: Header=BB48_4 Depth=1
	s_or_b32 exec_lo, exec_lo, s47
	s_wait_dscnt 0x0
	s_delay_alu instid0(VALU_DEP_3) | instskip(NEXT) | instid1(VALU_DEP_2)
	v_add_f64_e64 v[62:63], -v[10:11], s[34:35]
	v_add_f64_e32 v[12:13], 0x3fe62e42fefa39ef, v[12:13]
	v_cmp_gt_i32_e32 vcc_lo, 0, v3
	s_delay_alu instid0(VALU_DEP_3) | instskip(SKIP_2) | instid1(VALU_DEP_3)
	v_dual_cndmask_b32 v11, v11, v63, s7 :: v_dual_cndmask_b32 v10, v10, v62, s7
	v_cmp_eq_f64_e64 s7, 0, v[4:5]
	v_cndmask_b32_e32 v4, 0x3fe921fb, v80, vcc_lo
	v_add_f64_e64 v[62:63], -v[10:11], s[36:37]
	v_ashrrev_i32_e32 v2, 31, v3
	v_cndmask_b32_e32 v3, 0x54442d18, v79, vcc_lo
	s_delay_alu instid0(VALU_DEP_4) | instskip(NEXT) | instid1(VALU_DEP_4)
	v_bfi_b32 v4, 0x7fffffff, v4, v5
	v_cndmask_b32_e32 v10, v10, v62, vcc_lo
	s_delay_alu instid0(VALU_DEP_4) | instskip(SKIP_1) | instid1(VALU_DEP_2)
	v_and_b32_e32 v64, 0x54442d18, v2
	v_and_b32_e32 v2, 0x400921fb, v2
	v_dual_cndmask_b32 v11, v11, v63, vcc_lo :: v_dual_cndmask_b32 v5, v10, v64, s7
	s_delay_alu instid0(VALU_DEP_1) | instskip(NEXT) | instid1(VALU_DEP_1)
	v_dual_cndmask_b32 v2, v11, v2, s7 :: v_dual_cndmask_b32 v10, v5, v3, s46
	v_cndmask_b32_e64 v2, v2, v4, s46
	v_xor_b32_e32 v4, 0x80000000, v13
	s_delay_alu instid0(VALU_DEP_1) | instskip(NEXT) | instid1(VALU_DEP_3)
	v_cndmask_b32_e64 v13, v4, v13, s6
	v_and_b32_e32 v11, 0x7fffffff, v2
.LBB48_410:                             ;   in Loop: Header=BB48_4 Depth=1
	s_or_b32 exec_lo, exec_lo, s33
                                        ; implicit-def: $vgpr4_vgpr5
	s_and_not1_saveexec_b32 s6, s9
	s_cbranch_execz .LBB48_320
.LBB48_411:                             ;   in Loop: Header=BB48_4 Depth=1
	s_delay_alu instid0(VALU_DEP_4) | instskip(SKIP_1) | instid1(SALU_CYCLE_1)
	v_cmp_neq_f64_e64 s7, 0x7ff00000, |v[2:3]|
                                        ; implicit-def: $vgpr12_vgpr13
	s_and_saveexec_b32 s8, s7
	s_xor_b32 s7, exec_lo, s8
	s_cbranch_execz .LBB48_421
; %bb.412:                              ;   in Loop: Header=BB48_4 Depth=1
	v_cmp_neq_f64_e64 s8, 0x7ff00000, |v[4:5]|
	s_wait_dscnt 0x0
	v_xor_b32_e32 v13, 0x80000000, v5
	v_mov_b32_e32 v12, v4
	s_and_saveexec_b32 s9, s8
	s_delay_alu instid0(SALU_CYCLE_1)
	s_xor_b32 s8, exec_lo, s9
	s_cbranch_execz .LBB48_418
; %bb.413:                              ;   in Loop: Header=BB48_4 Depth=1
	s_mov_b32 s9, exec_lo
                                        ; implicit-def: $vgpr12_vgpr13
	v_cmpx_neq_f64_e32 0, v[2:3]
	s_xor_b32 s9, exec_lo, s9
	s_cbranch_execz .LBB48_415
; %bb.414:                              ;   in Loop: Header=BB48_4 Depth=1
	v_add_f64_e32 v[4:5], 0, v[4:5]
	s_delay_alu instid0(VALU_DEP_1)
	v_add_f64_e32 v[12:13], v[2:3], v[4:5]
                                        ; implicit-def: $vgpr4_vgpr5
.LBB48_415:                             ;   in Loop: Header=BB48_4 Depth=1
	s_or_saveexec_b32 s9, s9
	s_delay_alu instid0(VALU_DEP_1)
	v_mov_b64_e32 v[10:11], v[12:13]
	s_xor_b32 exec_lo, exec_lo, s9
	s_cbranch_execz .LBB48_417
; %bb.416:                              ;   in Loop: Header=BB48_4 Depth=1
	flat_load_b64 v[2:3], v[26:27] scope:SCOPE_SYS
	s_wait_loadcnt 0x0
	v_add_f64_e32 v[12:13], v[4:5], v[4:5]
	s_wait_dscnt 0x0
	v_add_f64_e32 v[10:11], 0x3ff921fb54442d18, v[2:3]
.LBB48_417:                             ;   in Loop: Header=BB48_4 Depth=1
	s_wait_xcnt 0x0
	s_or_b32 exec_lo, exec_lo, s9
                                        ; implicit-def: $vgpr2_vgpr3
.LBB48_418:                             ;   in Loop: Header=BB48_4 Depth=1
	s_and_not1_saveexec_b32 s8, s8
; %bb.419:                              ;   in Loop: Header=BB48_4 Depth=1
	v_add_f64_e32 v[10:11], v[2:3], v[2:3]
; %bb.420:                              ;   in Loop: Header=BB48_4 Depth=1
	s_or_b32 exec_lo, exec_lo, s8
                                        ; implicit-def: $vgpr4_vgpr5
.LBB48_421:                             ;   in Loop: Header=BB48_4 Depth=1
	s_and_not1_saveexec_b32 s7, s7
	s_cbranch_execz .LBB48_423
; %bb.422:                              ;   in Loop: Header=BB48_4 Depth=1
	s_wait_dscnt 0x0
	v_add_f64_e32 v[10:11], v[4:5], v[4:5]
	v_mov_b64_e32 v[12:13], 0xfff0000000000000
.LBB48_423:                             ;   in Loop: Header=BB48_4 Depth=1
	s_or_b32 exec_lo, exec_lo, s7
	s_delay_alu instid0(SALU_CYCLE_1) | instskip(SKIP_1) | instid1(SALU_CYCLE_1)
	s_or_b32 exec_lo, exec_lo, s6
	s_and_saveexec_b32 s6, s2
	s_xor_b32 s2, exec_lo, s6
	s_cbranch_execz .LBB48_321
.LBB48_424:                             ;   in Loop: Header=BB48_4 Depth=1
	s_wait_dscnt 0x3
	global_store_b128 v[54:55], v[6:9], off
	s_wait_xcnt 0x0
	s_or_b32 exec_lo, exec_lo, s2
	s_and_saveexec_b32 s2, s3
	s_cbranch_execz .LBB48_322
.LBB48_425:                             ;   in Loop: Header=BB48_4 Depth=1
	s_wait_dscnt 0x2
	global_store_b128 v[56:57], v[14:17], off
	s_wait_xcnt 0x0
	s_or_b32 exec_lo, exec_lo, s2
	s_and_saveexec_b32 s2, s4
	s_cbranch_execz .LBB48_323
.LBB48_426:                             ;   in Loop: Header=BB48_4 Depth=1
	s_wait_dscnt 0x1
	global_store_b128 v[58:59], v[18:21], off offset:-8
	s_wait_xcnt 0x0
	s_or_b32 exec_lo, exec_lo, s2
	s_and_saveexec_b32 s2, s5
	s_cbranch_execz .LBB48_3
.LBB48_427:                             ;   in Loop: Header=BB48_4 Depth=1
	s_wait_dscnt 0x0
	global_store_b128 v[60:61], v[10:13], off offset:-8
	s_branch .LBB48_3
.LBB48_428:
	s_cbranch_execz .LBB48_430
	s_branch .LBB48_841
.LBB48_429:
.LBB48_430:
	v_min_i64 v[22:23], 0x10000, s[12:13]
	v_dual_mov_b32 v3, 0 :: v_dual_lshlrev_b32 v2, 2, v0
	s_mov_b32 s2, exec_lo
	s_delay_alu instid0(VALU_DEP_1)
	v_cmpx_lt_i64_e64 v[2:3], v[22:23]
	s_cbranch_execz .LBB48_841
; %bb.431:
	v_mbcnt_lo_u32_b32 v1, -1, 0
	v_mov_b32_e32 v4, 8
	v_mov_b64_e32 v[24:25], 0x3c91a62633145c07
	v_mov_b64_e32 v[28:29], 0x3fc385386b47b09a
	;; [unrolled: 1-line block ×3, first 2 shown]
	v_lshlrev_b32_e32 v5, 20, v1
	v_mov_b64_e32 v[36:37], 0xbf23e260bd3237f4
	v_dual_mov_b32 v1, v3 :: v_dual_mov_b32 v56, 0xd800000
	v_mov_b32_e32 v58, 0x4002d97c
	s_delay_alu instid0(VALU_DEP_4) | instskip(SKIP_4) | instid1(VALU_DEP_1)
	v_add_nc_u64_e32 v[26:27], src_flat_scratch_base_lo, v[4:5]
	v_dual_mov_b32 v4, 0 :: v_dual_mov_b32 v57, 0x7f3321d2
	s_mov_b64 s[4:5], 0x3e43988e1409212f
	s_mov_b64 s[6:7], 0x3fe5555555555555
	;; [unrolled: 1-line block ×3, first 2 shown]
	v_add_nc_u64_e32 v[30:31], src_flat_scratch_base_lo, v[4:5]
	v_mov_b32_e32 v4, 4
	s_mov_b64 s[12:13], 0x3fe488ce703afb7f
	s_mov_b64 s[14:15], 0x3ffaf154eeb562d6
	;; [unrolled: 1-line block ×4, first 2 shown]
	v_add_nc_u64_e32 v[34:35], src_flat_scratch_base_lo, v[4:5]
	s_mov_b64 s[20:21], 0x3ff921fb54442d18
	s_mov_b64 s[22:23], 0x400921fb54442d18
	s_mov_b64 s[24:25], 0x7fdfffffffffffff
	s_mov_b64 s[26:27], 0x4005bf0a8b145769
	s_add_nc_u64 s[28:29], s[0:1], 0xd30
	s_mov_b32 s3, 0
	s_mov_b32 s30, 0
                                        ; implicit-def: $vgpr2_vgpr3
                                        ; implicit-def: $vgpr2_vgpr3
	;; [unrolled: 1-line block ×33, first 2 shown]
	s_branch .LBB48_434
.LBB48_432:                             ;   in Loop: Header=BB48_434 Depth=1
	s_or_b32 exec_lo, exec_lo, s1
.LBB48_433:                             ;   in Loop: Header=BB48_434 Depth=1
	s_delay_alu instid0(SALU_CYCLE_1)
	s_or_b32 exec_lo, exec_lo, s0
	s_wait_dscnt 0x3
	global_store_b128 v[38:39], v[6:9], off
	s_wait_dscnt 0x2
	global_store_b128 v[38:39], v[14:17], off offset:16
	s_wait_dscnt 0x1
	global_store_b128 v[38:39], v[18:21], off offset:32
	;; [unrolled: 2-line block ×3, first 2 shown]
	s_load_b32 s0, s[28:29], 0xc
	s_wait_kmcnt 0x0
	s_and_b32 s2, s0, 0xffff
	s_delay_alu instid0(SALU_CYCLE_1) | instskip(NEXT) | instid1(VALU_DEP_1)
	v_add_nc_u64_e32 v[0:1], s[2:3], v[0:1]
	v_lshlrev_b64_e32 v[2:3], 2, v[0:1]
	s_delay_alu instid0(VALU_DEP_1) | instskip(SKIP_1) | instid1(SALU_CYCLE_1)
	v_cmp_ge_i64_e32 vcc_lo, v[2:3], v[22:23]
	s_or_b32 s30, vcc_lo, s30
	s_and_not1_b32 exec_lo, exec_lo, s30
	s_cbranch_execz .LBB48_841
.LBB48_434:                             ; =>This Inner Loop Header: Depth=1
	v_lshlrev_b64_e32 v[2:3], 6, v[0:1]
                                        ; implicit-def: $vgpr8_vgpr9
	s_mov_b32 s0, exec_lo
	s_delay_alu instid0(VALU_DEP_1)
	v_add_nc_u64_e32 v[38:39], s[10:11], v[2:3]
	s_wait_dscnt 0x2
	global_load_b128 v[14:17], v[38:39], off
	s_wait_dscnt 0x1
	s_clause 0x1
	global_load_b128 v[18:21], v[38:39], off offset:16
	global_load_b128 v[2:5], v[38:39], off offset:48
	s_wait_dscnt 0x0
	global_load_b128 v[10:13], v[38:39], off offset:32
	flat_store_b64 v[26:27], v[24:25] scope:SCOPE_SYS
	s_wait_storecnt 0x0
	s_wait_loadcnt 0x3
	s_wait_xcnt 0x0
	v_cmpx_o_f64_e32 v[14:15], v[16:17]
	s_xor_b32 s31, exec_lo, s0
	s_cbranch_execz .LBB48_522
; %bb.435:                              ;   in Loop: Header=BB48_434 Depth=1
	v_max_num_f64_e64 v[44:45], |v[16:17]|, |v[16:17]|
	v_max_num_f64_e64 v[42:43], |v[14:15]|, |v[14:15]|
	v_cmp_gt_i64_e64 s0, 0, v[16:17]
                                        ; implicit-def: $vgpr8_vgpr9
	s_mov_b32 s1, exec_lo
	v_max_num_f64_e32 v[40:41], v[42:43], v[44:45]
	s_delay_alu instid0(VALU_DEP_1)
	v_cmpx_nlt_f64_e32 0x43300000, v[40:41]
	s_xor_b32 s33, exec_lo, s1
	s_cbranch_execz .LBB48_511
; %bb.436:                              ;   in Loop: Header=BB48_434 Depth=1
	v_cmp_neq_f64_e32 vcc_lo, 1.0, v[14:15]
	v_cmp_neq_f64_e64 s1, 0, v[16:17]
	v_xor_b32_e32 v9, 0x80000000, v17
	v_mov_b32_e32 v8, v16
	s_or_b32 s1, vcc_lo, s1
	s_delay_alu instid0(SALU_CYCLE_1) | instskip(NEXT) | instid1(SALU_CYCLE_1)
	s_and_saveexec_b32 s2, s1
	s_xor_b32 s34, exec_lo, s2
	s_cbranch_execz .LBB48_508
; %bb.437:                              ;   in Loop: Header=BB48_434 Depth=1
	flat_store_b32 v[30:31], v56 scope:SCOPE_SYS
	s_wait_storecnt 0x0
	flat_load_b32 v6, v[30:31] scope:SCOPE_SYS
	s_wait_loadcnt 0x0
	v_cmp_nlt_f64_e64 s1, |v[14:15]|, s[4:5]
	v_cmp_nlt_f64_e64 s2, |v[16:17]|, s[4:5]
	v_mov_b32_e32 v8, v16
	s_or_b32 s1, s1, s2
	s_wait_dscnt 0x0
	v_add_f32_e32 v6, 1.0, v6
	flat_store_b32 v[34:35], v6 scope:SCOPE_SYS
	s_wait_storecnt 0x0
	flat_load_b32 v6, v[34:35] scope:SCOPE_SYS
	s_wait_loadcnt 0x0
	s_wait_xcnt 0x0
	s_and_saveexec_b32 s2, s1
	s_delay_alu instid0(SALU_CYCLE_1)
	s_xor_b32 s35, exec_lo, s2
	s_cbranch_execz .LBB48_505
; %bb.438:                              ;   in Loop: Header=BB48_434 Depth=1
	s_wait_dscnt 0x0
	v_add_f64_e64 v[6:7], |v[14:15]|, -1.0
	v_add_f64_e64 v[42:43], |v[14:15]|, 1.0
	s_delay_alu instid0(VALU_DEP_2) | instskip(NEXT) | instid1(VALU_DEP_1)
	v_max_num_f64_e64 v[40:41], v[44:45], |v[6:7]|
	v_frexp_exp_i32_f64_e32 v60, v[40:41]
	s_delay_alu instid0(VALU_DEP_1) | instskip(NEXT) | instid1(VALU_DEP_1)
	v_dual_max_num_f64 v[8:9], v[44:45], v[42:43] :: v_dual_sub_nc_u32 v46, 0, v60
	v_frexp_exp_i32_f64_e32 v59, v[8:9]
	s_delay_alu instid0(VALU_DEP_2) | instskip(SKIP_1) | instid1(VALU_DEP_2)
	v_ldexp_f64 v[40:41], |v[6:7]|, v46
	v_ldexp_f64 v[46:47], |v[16:17]|, v46
	v_dual_mul_f64 v[40:41], v[40:41], v[40:41] :: v_dual_sub_nc_u32 v44, 0, v59
	s_delay_alu instid0(VALU_DEP_1) | instskip(NEXT) | instid1(VALU_DEP_2)
	v_ldexp_f64 v[8:9], v[42:43], v44
	v_fmac_f64_e32 v[40:41], v[46:47], v[46:47]
	s_delay_alu instid0(VALU_DEP_2) | instskip(SKIP_1) | instid1(VALU_DEP_3)
	v_mul_f64_e32 v[8:9], v[8:9], v[8:9]
	v_ldexp_f64 v[44:45], |v[16:17]|, v44
	v_rsq_f64_e32 v[46:47], v[40:41]
	v_cmp_eq_f64_e64 s1, 0, v[40:41]
	s_delay_alu instid0(VALU_DEP_2) | instskip(NEXT) | instid1(VALU_DEP_1)
	v_fmac_f64_e32 v[8:9], v[44:45], v[44:45]
	v_rsq_f64_e32 v[44:45], v[8:9]
	v_cmp_eq_f64_e32 vcc_lo, 0, v[8:9]
	s_delay_alu instid0(TRANS32_DEP_1) | instskip(SKIP_1) | instid1(VALU_DEP_1)
	v_mul_f64_e32 v[48:49], v[8:9], v[44:45]
	v_mul_f64_e32 v[44:45], 0.5, v[44:45]
	v_fma_f64 v[52:53], -v[44:45], v[48:49], 0.5
	s_delay_alu instid0(VALU_DEP_1) | instskip(SKIP_1) | instid1(VALU_DEP_2)
	v_fmac_f64_e32 v[48:49], v[48:49], v[52:53]
	v_fmac_f64_e32 v[44:45], v[44:45], v[52:53]
	v_fma_f64 v[52:53], -v[48:49], v[48:49], v[8:9]
	s_delay_alu instid0(VALU_DEP_1) | instskip(NEXT) | instid1(VALU_DEP_1)
	v_fmac_f64_e32 v[48:49], v[52:53], v[44:45]
	v_dual_cndmask_b32 v9, v49, v9 :: v_dual_cndmask_b32 v8, v48, v8
	v_cmp_neq_f64_e32 vcc_lo, 0x7ff00000, v[42:43]
	s_delay_alu instid0(VALU_DEP_2) | instskip(NEXT) | instid1(TRANS32_DEP_2)
	v_ldexp_f64 v[8:9], v[8:9], v59
	v_mul_f64_e32 v[50:51], v[40:41], v[46:47]
	v_mul_f64_e32 v[46:47], 0.5, v[46:47]
	s_delay_alu instid0(VALU_DEP_1) | instskip(NEXT) | instid1(VALU_DEP_1)
	v_fma_f64 v[54:55], -v[46:47], v[50:51], 0.5
	v_fmac_f64_e32 v[50:51], v[50:51], v[54:55]
	v_fmac_f64_e32 v[46:47], v[46:47], v[54:55]
	s_delay_alu instid0(VALU_DEP_2) | instskip(NEXT) | instid1(VALU_DEP_1)
	v_fma_f64 v[54:55], -v[50:51], v[50:51], v[40:41]
	v_fmac_f64_e32 v[50:51], v[54:55], v[46:47]
	v_cndmask_b32_e32 v47, 0x7ff00000, v9, vcc_lo
	s_delay_alu instid0(VALU_DEP_2) | instskip(NEXT) | instid1(VALU_DEP_3)
	v_dual_cndmask_b32 v46, 0, v8, vcc_lo :: v_dual_cndmask_b32 v41, v51, v41, s1
	v_cndmask_b32_e64 v40, v50, v40, s1
	v_cmp_neq_f64_e64 s1, 0x7ff00000, |v[6:7]|
	s_delay_alu instid0(VALU_DEP_2) | instskip(NEXT) | instid1(VALU_DEP_1)
	v_ldexp_f64 v[40:41], v[40:41], v60
	v_cndmask_b32_e64 v45, 0x7ff00000, v41, s1
	s_delay_alu instid0(VALU_DEP_2) | instskip(SKIP_1) | instid1(VALU_DEP_1)
	v_cndmask_b32_e64 v44, 0, v40, s1
	s_mov_b32 s1, exec_lo
	v_add_f64_e32 v[8:9], v[46:47], v[44:45]
	s_delay_alu instid0(VALU_DEP_1) | instskip(NEXT) | instid1(VALU_DEP_1)
	v_mul_f64_e32 v[8:9], 0.5, v[8:9]
	v_cmp_ngt_f64_e32 vcc_lo, 1.0, v[8:9]
	v_cndmask_b32_e32 v41, 0x3ff00000, v9, vcc_lo
	v_cndmask_b32_e32 v40, 0, v8, vcc_lo
                                        ; implicit-def: $vgpr8_vgpr9
	s_delay_alu instid0(VALU_DEP_1)
	v_cmpx_ngt_f64_e32 0x40240000, v[40:41]
	s_xor_b32 s1, exec_lo, s1
	s_cbranch_execz .LBB48_440
; %bb.439:                              ;   in Loop: Header=BB48_434 Depth=1
	v_fma_f64 v[8:9], v[40:41], v[40:41], -1.0
	s_delay_alu instid0(VALU_DEP_1) | instskip(SKIP_1) | instid1(VALU_DEP_1)
	v_cmp_gt_f64_e32 vcc_lo, 0x10000000, v[8:9]
	v_cndmask_b32_e64 v48, 0, 0x100, vcc_lo
	v_ldexp_f64 v[8:9], v[8:9], v48
	s_delay_alu instid0(VALU_DEP_1) | instskip(SKIP_1) | instid1(TRANS32_DEP_1)
	v_rsq_f64_e32 v[48:49], v[8:9]
	v_nop
	v_mul_f64_e32 v[50:51], v[8:9], v[48:49]
	v_mul_f64_e32 v[48:49], 0.5, v[48:49]
	s_delay_alu instid0(VALU_DEP_1) | instskip(NEXT) | instid1(VALU_DEP_1)
	v_fma_f64 v[52:53], -v[48:49], v[50:51], 0.5
	v_fmac_f64_e32 v[50:51], v[50:51], v[52:53]
	v_fmac_f64_e32 v[48:49], v[48:49], v[52:53]
	s_delay_alu instid0(VALU_DEP_2) | instskip(NEXT) | instid1(VALU_DEP_1)
	v_fma_f64 v[52:53], -v[50:51], v[50:51], v[8:9]
	v_fmac_f64_e32 v[50:51], v[52:53], v[48:49]
	s_delay_alu instid0(VALU_DEP_1) | instskip(NEXT) | instid1(VALU_DEP_1)
	v_fma_f64 v[52:53], -v[50:51], v[50:51], v[8:9]
	v_fmac_f64_e32 v[50:51], v[52:53], v[48:49]
	v_cndmask_b32_e64 v48, 0, 0xffffff80, vcc_lo
	v_cmp_class_f64_e64 vcc_lo, v[8:9], 0x260
	s_delay_alu instid0(VALU_DEP_2) | instskip(NEXT) | instid1(VALU_DEP_1)
	v_ldexp_f64 v[48:49], v[50:51], v48
	v_dual_cndmask_b32 v9, v49, v9 :: v_dual_cndmask_b32 v8, v48, v8
	s_delay_alu instid0(VALU_DEP_1) | instskip(NEXT) | instid1(VALU_DEP_1)
	v_add_f64_e32 v[8:9], v[40:41], v[8:9]
	v_frexp_mant_f64_e32 v[48:49], v[8:9]
	v_frexp_exp_i32_f64_e32 v59, v[8:9]
	s_delay_alu instid0(VALU_DEP_2) | instskip(SKIP_1) | instid1(VALU_DEP_3)
	v_cmp_gt_f64_e32 vcc_lo, s[6:7], v[48:49]
	v_cndmask_b32_e64 v50, 0, 1, vcc_lo
	v_subrev_co_ci_u32_e64 v59, null, 0, v59, vcc_lo
	v_cmp_class_f64_e64 vcc_lo, v[8:9], 0x204
	s_delay_alu instid0(VALU_DEP_3) | instskip(NEXT) | instid1(VALU_DEP_1)
	v_ldexp_f64 v[48:49], v[48:49], v50
	v_add_f64_e32 v[50:51], 1.0, v[48:49]
	v_add_f64_e32 v[60:61], -1.0, v[48:49]
	s_delay_alu instid0(VALU_DEP_2) | instskip(SKIP_1) | instid1(VALU_DEP_1)
	v_rcp_f64_e32 v[52:53], v[50:51]
	v_add_f64_e32 v[62:63], -1.0, v[50:51]
	v_add_f64_e64 v[48:49], v[48:49], -v[62:63]
	s_delay_alu instid0(TRANS32_DEP_1) | instskip(NEXT) | instid1(VALU_DEP_1)
	v_fma_f64 v[54:55], -v[50:51], v[52:53], 1.0
	v_fmac_f64_e32 v[52:53], v[54:55], v[52:53]
	s_delay_alu instid0(VALU_DEP_1) | instskip(NEXT) | instid1(VALU_DEP_1)
	v_fma_f64 v[54:55], -v[50:51], v[52:53], 1.0
	v_fmac_f64_e32 v[52:53], v[54:55], v[52:53]
	s_delay_alu instid0(VALU_DEP_1) | instskip(NEXT) | instid1(VALU_DEP_1)
	v_mul_f64_e32 v[54:55], v[60:61], v[52:53]
	v_mul_f64_e32 v[64:65], v[50:51], v[54:55]
	s_delay_alu instid0(VALU_DEP_1) | instskip(NEXT) | instid1(VALU_DEP_1)
	v_fma_f64 v[50:51], v[54:55], v[50:51], -v[64:65]
	v_fmac_f64_e32 v[50:51], v[54:55], v[48:49]
	s_delay_alu instid0(VALU_DEP_1) | instskip(NEXT) | instid1(VALU_DEP_1)
	v_add_f64_e32 v[48:49], v[64:65], v[50:51]
	v_add_f64_e64 v[62:63], v[60:61], -v[48:49]
	v_add_f64_e64 v[64:65], v[48:49], -v[64:65]
	s_delay_alu instid0(VALU_DEP_2) | instskip(NEXT) | instid1(VALU_DEP_2)
	v_add_f64_e64 v[60:61], v[60:61], -v[62:63]
	v_add_f64_e64 v[50:51], v[64:65], -v[50:51]
	s_delay_alu instid0(VALU_DEP_2) | instskip(NEXT) | instid1(VALU_DEP_1)
	v_add_f64_e64 v[48:49], v[60:61], -v[48:49]
	v_add_f64_e32 v[48:49], v[50:51], v[48:49]
	s_delay_alu instid0(VALU_DEP_1) | instskip(NEXT) | instid1(VALU_DEP_1)
	v_add_f64_e32 v[48:49], v[62:63], v[48:49]
	v_mul_f64_e32 v[48:49], v[52:53], v[48:49]
	s_delay_alu instid0(VALU_DEP_1) | instskip(NEXT) | instid1(VALU_DEP_1)
	v_add_f64_e32 v[50:51], v[54:55], v[48:49]
	v_mul_f64_e32 v[52:53], v[50:51], v[50:51]
	s_delay_alu instid0(VALU_DEP_1) | instskip(SKIP_1) | instid1(VALU_DEP_2)
	v_fmamk_f64 v[60:61], v[52:53], 0x3fc3ab76bf559e2b, v[28:29]
	v_mul_f64_e32 v[62:63], v[50:51], v[52:53]
	v_fmaak_f64 v[60:61], v[52:53], v[60:61], 0x3fc7474dd7f4df2e
	s_delay_alu instid0(VALU_DEP_1) | instskip(NEXT) | instid1(VALU_DEP_1)
	v_fmaak_f64 v[60:61], v[52:53], v[60:61], 0x3fcc71c016291751
	v_fmaak_f64 v[60:61], v[52:53], v[60:61], 0x3fd249249b27acf1
	s_delay_alu instid0(VALU_DEP_1) | instskip(NEXT) | instid1(VALU_DEP_1)
	v_fmaak_f64 v[60:61], v[52:53], v[60:61], 0x3fd99999998ef7b6
	v_fmaak_f64 v[52:53], v[52:53], v[60:61], 0x3fe5555555555780
	v_ldexp_f64 v[60:61], v[50:51], 1
	v_add_f64_e64 v[50:51], v[50:51], -v[54:55]
	s_delay_alu instid0(VALU_DEP_3) | instskip(SKIP_1) | instid1(VALU_DEP_3)
	v_mul_f64_e32 v[52:53], v[62:63], v[52:53]
	v_cvt_f64_i32_e32 v[62:63], v59
	v_add_f64_e64 v[48:49], v[48:49], -v[50:51]
	s_delay_alu instid0(VALU_DEP_3) | instskip(NEXT) | instid1(VALU_DEP_3)
	v_add_f64_e32 v[54:55], v[60:61], v[52:53]
	v_mul_f64_e32 v[64:65], 0x3fe62e42fefa39ef, v[62:63]
	s_delay_alu instid0(VALU_DEP_3) | instskip(NEXT) | instid1(VALU_DEP_3)
	v_ldexp_f64 v[48:49], v[48:49], 1
	v_add_f64_e64 v[50:51], v[54:55], -v[60:61]
	s_delay_alu instid0(VALU_DEP_3) | instskip(NEXT) | instid1(VALU_DEP_2)
	v_fma_f64 v[60:61], v[62:63], s[8:9], -v[64:65]
	v_add_f64_e64 v[50:51], v[52:53], -v[50:51]
	s_delay_alu instid0(VALU_DEP_2) | instskip(NEXT) | instid1(VALU_DEP_2)
	v_fmac_f64_e32 v[60:61], 0x3c7abc9e3b39803f, v[62:63]
	v_add_f64_e32 v[48:49], v[48:49], v[50:51]
	s_delay_alu instid0(VALU_DEP_2) | instskip(NEXT) | instid1(VALU_DEP_2)
	v_add_f64_e32 v[50:51], v[64:65], v[60:61]
	v_add_f64_e32 v[52:53], v[54:55], v[48:49]
	s_delay_alu instid0(VALU_DEP_2) | instskip(NEXT) | instid1(VALU_DEP_2)
	v_add_f64_e64 v[64:65], v[50:51], -v[64:65]
	v_add_f64_e32 v[62:63], v[50:51], v[52:53]
	v_add_f64_e64 v[54:55], v[52:53], -v[54:55]
	s_delay_alu instid0(VALU_DEP_3) | instskip(NEXT) | instid1(VALU_DEP_3)
	v_add_f64_e64 v[60:61], v[60:61], -v[64:65]
	v_add_f64_e64 v[66:67], v[62:63], -v[50:51]
	s_delay_alu instid0(VALU_DEP_3) | instskip(NEXT) | instid1(VALU_DEP_2)
	v_add_f64_e64 v[48:49], v[48:49], -v[54:55]
	v_add_f64_e64 v[68:69], v[62:63], -v[66:67]
	;; [unrolled: 1-line block ×3, first 2 shown]
	s_delay_alu instid0(VALU_DEP_3) | instskip(NEXT) | instid1(VALU_DEP_3)
	v_add_f64_e32 v[54:55], v[60:61], v[48:49]
	v_add_f64_e64 v[50:51], v[50:51], -v[68:69]
	s_delay_alu instid0(VALU_DEP_1) | instskip(NEXT) | instid1(VALU_DEP_3)
	v_add_f64_e32 v[50:51], v[52:53], v[50:51]
	v_add_f64_e64 v[52:53], v[54:55], -v[60:61]
	s_delay_alu instid0(VALU_DEP_2) | instskip(NEXT) | instid1(VALU_DEP_2)
	v_add_f64_e32 v[50:51], v[54:55], v[50:51]
	v_add_f64_e64 v[54:55], v[54:55], -v[52:53]
	v_add_f64_e64 v[48:49], v[48:49], -v[52:53]
	s_delay_alu instid0(VALU_DEP_3) | instskip(NEXT) | instid1(VALU_DEP_3)
	v_add_f64_e32 v[64:65], v[62:63], v[50:51]
	v_add_f64_e64 v[52:53], v[60:61], -v[54:55]
	s_delay_alu instid0(VALU_DEP_2) | instskip(NEXT) | instid1(VALU_DEP_2)
	v_add_f64_e64 v[54:55], v[64:65], -v[62:63]
	v_add_f64_e32 v[48:49], v[48:49], v[52:53]
	s_delay_alu instid0(VALU_DEP_2) | instskip(NEXT) | instid1(VALU_DEP_1)
	v_add_f64_e64 v[50:51], v[50:51], -v[54:55]
	v_add_f64_e32 v[48:49], v[48:49], v[50:51]
	s_delay_alu instid0(VALU_DEP_1) | instskip(NEXT) | instid1(VALU_DEP_1)
	v_add_f64_e32 v[48:49], v[64:65], v[48:49]
	v_dual_cndmask_b32 v48, v48, v8 :: v_dual_cndmask_b32 v49, v49, v9
	v_cmp_neq_f64_e32 vcc_lo, 0, v[8:9]
	s_delay_alu instid0(VALU_DEP_2) | instskip(NEXT) | instid1(VALU_DEP_3)
	v_cndmask_b32_e32 v9, 0xfff00000, v49, vcc_lo
	v_cndmask_b32_e32 v8, 0, v48, vcc_lo
.LBB48_440:                             ;   in Loop: Header=BB48_434 Depth=1
	s_or_saveexec_b32 s36, s1
	v_and_b32_e32 v49, 0x7fffffff, v17
	v_mov_b32_e32 v48, v16
	s_xor_b32 exec_lo, exec_lo, s36
	s_cbranch_execz .LBB48_462
; %bb.441:                              ;   in Loop: Header=BB48_434 Depth=1
	v_cmp_neq_f64_e64 s1, |v[14:15]|, 1.0
	v_cmp_ngt_f64_e64 s2, 0x39000000, |v[16:17]|
                                        ; implicit-def: $vgpr8_vgpr9
	s_or_b32 s1, s1, s2
	s_delay_alu instid0(SALU_CYCLE_1) | instskip(NEXT) | instid1(SALU_CYCLE_1)
	s_and_saveexec_b32 s2, s1
	s_xor_b32 s37, exec_lo, s2
	s_cbranch_execz .LBB48_459
; %bb.442:                              ;   in Loop: Header=BB48_434 Depth=1
	v_ldexp_f64 v[8:9], |v[6:7]|, 0xffffffcc
	s_delay_alu instid0(VALU_DEP_1) | instskip(SKIP_1) | instid1(SALU_CYCLE_1)
	v_cmp_ge_f64_e64 s1, |v[16:17]|, v[8:9]
                                        ; implicit-def: $vgpr8_vgpr9
	s_and_saveexec_b32 s2, s1
	s_xor_b32 s38, exec_lo, s2
	s_cbranch_execz .LBB48_452
; %bb.443:                              ;   in Loop: Header=BB48_434 Depth=1
	v_mov_b64_e32 v[8:9], v[48:49]
	s_mov_b32 s1, exec_lo
	v_cmpx_neq_f64_e32 0, v[42:43]
	s_cbranch_execz .LBB48_445
; %bb.444:                              ;   in Loop: Header=BB48_434 Depth=1
	v_mul_f64_e32 v[8:9], v[16:17], v[16:17]
	v_add_f64_e32 v[50:51], v[42:43], v[46:47]
	s_delay_alu instid0(VALU_DEP_1) | instskip(NEXT) | instid1(VALU_DEP_1)
	v_div_scale_f64 v[52:53], null, v[50:51], v[50:51], v[8:9]
	v_rcp_f64_e32 v[54:55], v[52:53]
	v_nop
	s_delay_alu instid0(TRANS32_DEP_1) | instskip(NEXT) | instid1(VALU_DEP_1)
	v_fma_f64 v[60:61], -v[52:53], v[54:55], 1.0
	v_fmac_f64_e32 v[54:55], v[54:55], v[60:61]
	s_delay_alu instid0(VALU_DEP_1) | instskip(NEXT) | instid1(VALU_DEP_1)
	v_fma_f64 v[60:61], -v[52:53], v[54:55], 1.0
	v_fmac_f64_e32 v[54:55], v[54:55], v[60:61]
	v_div_scale_f64 v[60:61], vcc_lo, v[8:9], v[50:51], v[8:9]
	s_delay_alu instid0(VALU_DEP_1) | instskip(NEXT) | instid1(VALU_DEP_1)
	v_mul_f64_e32 v[62:63], v[60:61], v[54:55]
	v_fma_f64 v[52:53], -v[52:53], v[62:63], v[60:61]
	s_delay_alu instid0(VALU_DEP_1) | instskip(NEXT) | instid1(VALU_DEP_1)
	v_div_fmas_f64 v[52:53], v[52:53], v[54:55], v[62:63]
	v_div_fixup_f64 v[8:9], v[52:53], v[50:51], v[8:9]
.LBB48_445:                             ;   in Loop: Header=BB48_434 Depth=1
	s_or_b32 exec_lo, exec_lo, s1
	v_add_f64_e64 v[52:53], -|v[14:15]|, 1.0
	s_mov_b32 s1, exec_lo
                                        ; implicit-def: $vgpr50_vgpr51
	s_delay_alu instid0(VALU_DEP_1)
	v_cmpx_ngt_f64_e32 0, v[52:53]
	s_xor_b32 s1, exec_lo, s1
	s_cbranch_execz .LBB48_449
; %bb.446:                              ;   in Loop: Header=BB48_434 Depth=1
	v_mov_b64_e32 v[50:51], v[48:49]
	s_mov_b32 s2, exec_lo
	v_cmpx_neq_f64_e32 0, v[52:53]
	s_cbranch_execz .LBB48_448
; %bb.447:                              ;   in Loop: Header=BB48_434 Depth=1
	v_mul_f64_e32 v[50:51], v[16:17], v[16:17]
	v_add_f64_e32 v[52:53], v[52:53], v[44:45]
	s_delay_alu instid0(VALU_DEP_1) | instskip(NEXT) | instid1(VALU_DEP_1)
	v_div_scale_f64 v[54:55], null, v[52:53], v[52:53], v[50:51]
	v_rcp_f64_e32 v[60:61], v[54:55]
	v_nop
	s_delay_alu instid0(TRANS32_DEP_1) | instskip(NEXT) | instid1(VALU_DEP_1)
	v_fma_f64 v[62:63], -v[54:55], v[60:61], 1.0
	v_fmac_f64_e32 v[60:61], v[60:61], v[62:63]
	s_delay_alu instid0(VALU_DEP_1) | instskip(NEXT) | instid1(VALU_DEP_1)
	v_fma_f64 v[62:63], -v[54:55], v[60:61], 1.0
	v_fmac_f64_e32 v[60:61], v[60:61], v[62:63]
	v_div_scale_f64 v[62:63], vcc_lo, v[50:51], v[52:53], v[50:51]
	s_delay_alu instid0(VALU_DEP_1) | instskip(NEXT) | instid1(VALU_DEP_1)
	v_mul_f64_e32 v[64:65], v[62:63], v[60:61]
	v_fma_f64 v[54:55], -v[54:55], v[64:65], v[62:63]
	s_delay_alu instid0(VALU_DEP_1) | instskip(NEXT) | instid1(VALU_DEP_1)
	v_div_fmas_f64 v[54:55], v[54:55], v[60:61], v[64:65]
	v_div_fixup_f64 v[50:51], v[54:55], v[52:53], v[50:51]
.LBB48_448:                             ;   in Loop: Header=BB48_434 Depth=1
	s_or_b32 exec_lo, exec_lo, s2
                                        ; implicit-def: $vgpr52_vgpr53
.LBB48_449:                             ;   in Loop: Header=BB48_434 Depth=1
	s_and_not1_saveexec_b32 s1, s1
; %bb.450:                              ;   in Loop: Header=BB48_434 Depth=1
	v_add_f64_e64 v[50:51], v[44:45], -v[52:53]
; %bb.451:                              ;   in Loop: Header=BB48_434 Depth=1
	s_or_b32 exec_lo, exec_lo, s1
	s_delay_alu instid0(VALU_DEP_1) | instskip(SKIP_1) | instid1(VALU_DEP_2)
	v_mul_f64_e32 v[50:51], 0.5, v[50:51]
	v_add_f64_e32 v[52:53], 1.0, v[40:41]
	v_fmac_f64_e32 v[50:51], 0.5, v[8:9]
	s_delay_alu instid0(VALU_DEP_1) | instskip(NEXT) | instid1(VALU_DEP_1)
	v_mul_f64_e32 v[8:9], v[52:53], v[50:51]
	v_cmp_gt_f64_e32 vcc_lo, 0x10000000, v[8:9]
	v_cndmask_b32_e64 v52, 0, 0x100, vcc_lo
	s_delay_alu instid0(VALU_DEP_1) | instskip(NEXT) | instid1(VALU_DEP_1)
	v_ldexp_f64 v[8:9], v[8:9], v52
	v_rsq_f64_e32 v[52:53], v[8:9]
	v_nop
	s_delay_alu instid0(TRANS32_DEP_1) | instskip(SKIP_1) | instid1(VALU_DEP_1)
	v_mul_f64_e32 v[54:55], v[8:9], v[52:53]
	v_mul_f64_e32 v[52:53], 0.5, v[52:53]
	v_fma_f64 v[60:61], -v[52:53], v[54:55], 0.5
	s_delay_alu instid0(VALU_DEP_1) | instskip(SKIP_1) | instid1(VALU_DEP_2)
	v_fmac_f64_e32 v[54:55], v[54:55], v[60:61]
	v_fmac_f64_e32 v[52:53], v[52:53], v[60:61]
	v_fma_f64 v[60:61], -v[54:55], v[54:55], v[8:9]
	s_delay_alu instid0(VALU_DEP_1) | instskip(NEXT) | instid1(VALU_DEP_1)
	v_fmac_f64_e32 v[54:55], v[60:61], v[52:53]
	v_fma_f64 v[60:61], -v[54:55], v[54:55], v[8:9]
	s_delay_alu instid0(VALU_DEP_1) | instskip(SKIP_2) | instid1(VALU_DEP_2)
	v_fmac_f64_e32 v[54:55], v[60:61], v[52:53]
	v_cndmask_b32_e64 v52, 0, 0xffffff80, vcc_lo
	v_cmp_class_f64_e64 vcc_lo, v[8:9], 0x260
	v_ldexp_f64 v[52:53], v[54:55], v52
	s_delay_alu instid0(VALU_DEP_1) | instskip(NEXT) | instid1(VALU_DEP_1)
	v_dual_cndmask_b32 v9, v53, v9 :: v_dual_cndmask_b32 v8, v52, v8
	v_add_f64_e32 v[50:51], v[50:51], v[8:9]
	s_delay_alu instid0(VALU_DEP_1) | instskip(SKIP_2) | instid1(VALU_DEP_3)
	v_add_f64_e32 v[8:9], 1.0, v[50:51]
	v_cmp_neq_f64_e64 s1, 0x7ff00000, v[50:51]
	v_cmp_ngt_f64_e64 s2, -1.0, v[50:51]
	v_frexp_mant_f64_e32 v[52:53], v[8:9]
	v_frexp_exp_i32_f64_e32 v59, v[8:9]
	v_add_f64_e32 v[54:55], -1.0, v[8:9]
	s_delay_alu instid0(VALU_DEP_3) | instskip(NEXT) | instid1(VALU_DEP_2)
	v_cmp_gt_f64_e32 vcc_lo, s[6:7], v[52:53]
	v_add_f64_e64 v[52:53], v[54:55], -v[8:9]
	v_add_f64_e64 v[54:55], v[50:51], -v[54:55]
	v_subrev_co_ci_u32_e64 v59, null, 0, v59, vcc_lo
	s_delay_alu instid0(VALU_DEP_3) | instskip(SKIP_1) | instid1(VALU_DEP_3)
	v_add_f64_e32 v[52:53], 1.0, v[52:53]
	v_cmp_nge_f64_e32 vcc_lo, -1.0, v[50:51]
	v_sub_nc_u32_e32 v62, 0, v59
	s_delay_alu instid0(VALU_DEP_1) | instskip(NEXT) | instid1(VALU_DEP_4)
	v_ldexp_f64 v[8:9], v[8:9], v62
	v_add_f64_e32 v[52:53], v[54:55], v[52:53]
	s_and_b32 vcc_lo, vcc_lo, s1
	s_delay_alu instid0(VALU_DEP_2) | instskip(SKIP_1) | instid1(VALU_DEP_3)
	v_add_f64_e32 v[60:61], 1.0, v[8:9]
	v_add_f64_e32 v[66:67], -1.0, v[8:9]
	v_ldexp_f64 v[52:53], v[52:53], v62
	s_delay_alu instid0(VALU_DEP_3) | instskip(NEXT) | instid1(VALU_DEP_3)
	v_add_f64_e32 v[54:55], -1.0, v[60:61]
	v_add_f64_e32 v[68:69], 1.0, v[66:67]
	s_delay_alu instid0(VALU_DEP_2) | instskip(NEXT) | instid1(VALU_DEP_2)
	v_add_f64_e64 v[54:55], v[8:9], -v[54:55]
	v_add_f64_e64 v[8:9], v[8:9], -v[68:69]
	s_delay_alu instid0(VALU_DEP_2) | instskip(NEXT) | instid1(VALU_DEP_2)
	v_add_f64_e32 v[54:55], v[52:53], v[54:55]
	v_add_f64_e32 v[8:9], v[52:53], v[8:9]
	s_delay_alu instid0(VALU_DEP_2) | instskip(NEXT) | instid1(VALU_DEP_2)
	v_add_f64_e32 v[62:63], v[60:61], v[54:55]
	v_add_f64_e32 v[68:69], v[66:67], v[8:9]
	s_delay_alu instid0(VALU_DEP_2) | instskip(SKIP_1) | instid1(VALU_DEP_2)
	v_rcp_f64_e32 v[64:65], v[62:63]
	v_add_f64_e64 v[60:61], v[62:63], -v[60:61]
	v_add_f64_e64 v[66:67], v[68:69], -v[66:67]
	s_delay_alu instid0(VALU_DEP_2) | instskip(NEXT) | instid1(VALU_DEP_2)
	v_add_f64_e64 v[54:55], v[54:55], -v[60:61]
	v_add_f64_e64 v[8:9], v[8:9], -v[66:67]
	s_delay_alu instid0(TRANS32_DEP_1) | instskip(NEXT) | instid1(VALU_DEP_1)
	v_fma_f64 v[70:71], -v[62:63], v[64:65], 1.0
	v_fmac_f64_e32 v[64:65], v[70:71], v[64:65]
	s_delay_alu instid0(VALU_DEP_1) | instskip(NEXT) | instid1(VALU_DEP_1)
	v_fma_f64 v[52:53], -v[62:63], v[64:65], 1.0
	v_fmac_f64_e32 v[64:65], v[52:53], v[64:65]
	s_delay_alu instid0(VALU_DEP_1) | instskip(NEXT) | instid1(VALU_DEP_1)
	v_mul_f64_e32 v[52:53], v[68:69], v[64:65]
	v_mul_f64_e32 v[70:71], v[62:63], v[52:53]
	s_delay_alu instid0(VALU_DEP_1) | instskip(NEXT) | instid1(VALU_DEP_1)
	v_fma_f64 v[60:61], v[52:53], v[62:63], -v[70:71]
	v_fmac_f64_e32 v[60:61], v[52:53], v[54:55]
	s_delay_alu instid0(VALU_DEP_1) | instskip(NEXT) | instid1(VALU_DEP_1)
	v_add_f64_e32 v[72:73], v[70:71], v[60:61]
	v_add_f64_e64 v[74:75], v[68:69], -v[72:73]
	v_add_f64_e64 v[66:67], v[72:73], -v[70:71]
	s_delay_alu instid0(VALU_DEP_2) | instskip(NEXT) | instid1(VALU_DEP_2)
	v_add_f64_e64 v[68:69], v[68:69], -v[74:75]
	v_add_f64_e64 v[60:61], v[66:67], -v[60:61]
	s_delay_alu instid0(VALU_DEP_2) | instskip(NEXT) | instid1(VALU_DEP_1)
	v_add_f64_e64 v[68:69], v[68:69], -v[72:73]
	v_add_f64_e32 v[8:9], v[8:9], v[68:69]
	s_delay_alu instid0(VALU_DEP_1) | instskip(NEXT) | instid1(VALU_DEP_1)
	v_add_f64_e32 v[8:9], v[60:61], v[8:9]
	v_add_f64_e32 v[60:61], v[74:75], v[8:9]
	s_delay_alu instid0(VALU_DEP_1) | instskip(SKIP_1) | instid1(VALU_DEP_2)
	v_mul_f64_e32 v[66:67], v[64:65], v[60:61]
	v_add_f64_e64 v[72:73], v[74:75], -v[60:61]
	v_mul_f64_e32 v[68:69], v[62:63], v[66:67]
	s_delay_alu instid0(VALU_DEP_2) | instskip(NEXT) | instid1(VALU_DEP_2)
	v_add_f64_e32 v[8:9], v[8:9], v[72:73]
	v_fma_f64 v[62:63], v[66:67], v[62:63], -v[68:69]
	s_delay_alu instid0(VALU_DEP_1) | instskip(NEXT) | instid1(VALU_DEP_1)
	v_fmac_f64_e32 v[62:63], v[66:67], v[54:55]
	v_add_f64_e32 v[54:55], v[68:69], v[62:63]
	s_delay_alu instid0(VALU_DEP_1) | instskip(SKIP_1) | instid1(VALU_DEP_2)
	v_add_f64_e64 v[70:71], v[60:61], -v[54:55]
	v_add_f64_e64 v[68:69], v[54:55], -v[68:69]
	;; [unrolled: 1-line block ×3, first 2 shown]
	s_delay_alu instid0(VALU_DEP_1) | instskip(NEXT) | instid1(VALU_DEP_3)
	v_add_f64_e64 v[54:55], v[60:61], -v[54:55]
	v_add_f64_e64 v[60:61], v[68:69], -v[62:63]
	s_delay_alu instid0(VALU_DEP_2) | instskip(SKIP_1) | instid1(VALU_DEP_2)
	v_add_f64_e32 v[8:9], v[8:9], v[54:55]
	v_add_f64_e32 v[54:55], v[52:53], v[66:67]
	;; [unrolled: 1-line block ×3, first 2 shown]
	s_delay_alu instid0(VALU_DEP_2) | instskip(NEXT) | instid1(VALU_DEP_2)
	v_add_f64_e64 v[52:53], v[54:55], -v[52:53]
	v_add_f64_e32 v[8:9], v[70:71], v[8:9]
	s_delay_alu instid0(VALU_DEP_2) | instskip(NEXT) | instid1(VALU_DEP_2)
	v_add_f64_e64 v[52:53], v[66:67], -v[52:53]
	v_mul_f64_e32 v[8:9], v[64:65], v[8:9]
	s_delay_alu instid0(VALU_DEP_1) | instskip(NEXT) | instid1(VALU_DEP_1)
	v_add_f64_e32 v[8:9], v[52:53], v[8:9]
	v_add_f64_e32 v[52:53], v[54:55], v[8:9]
	s_delay_alu instid0(VALU_DEP_1) | instskip(NEXT) | instid1(VALU_DEP_1)
	v_mul_f64_e32 v[60:61], v[52:53], v[52:53]
	v_fmamk_f64 v[62:63], v[60:61], 0x3fc3ab76bf559e2b, v[28:29]
	v_mul_f64_e32 v[64:65], v[52:53], v[60:61]
	s_delay_alu instid0(VALU_DEP_2) | instskip(NEXT) | instid1(VALU_DEP_1)
	v_fmaak_f64 v[62:63], v[60:61], v[62:63], 0x3fc7474dd7f4df2e
	v_fmaak_f64 v[62:63], v[60:61], v[62:63], 0x3fcc71c016291751
	s_delay_alu instid0(VALU_DEP_1) | instskip(NEXT) | instid1(VALU_DEP_1)
	v_fmaak_f64 v[62:63], v[60:61], v[62:63], 0x3fd249249b27acf1
	v_fmaak_f64 v[62:63], v[60:61], v[62:63], 0x3fd99999998ef7b6
	s_delay_alu instid0(VALU_DEP_1) | instskip(SKIP_2) | instid1(VALU_DEP_3)
	v_fmaak_f64 v[60:61], v[60:61], v[62:63], 0x3fe5555555555780
	v_ldexp_f64 v[62:63], v[52:53], 1
	v_add_f64_e64 v[52:53], v[52:53], -v[54:55]
	v_mul_f64_e32 v[60:61], v[64:65], v[60:61]
	v_cvt_f64_i32_e32 v[64:65], v59
	s_delay_alu instid0(VALU_DEP_3) | instskip(NEXT) | instid1(VALU_DEP_3)
	v_add_f64_e64 v[8:9], v[8:9], -v[52:53]
	v_add_f64_e32 v[54:55], v[62:63], v[60:61]
	s_delay_alu instid0(VALU_DEP_3) | instskip(NEXT) | instid1(VALU_DEP_3)
	v_mul_f64_e32 v[66:67], 0x3fe62e42fefa39ef, v[64:65]
	v_ldexp_f64 v[8:9], v[8:9], 1
	s_delay_alu instid0(VALU_DEP_3) | instskip(NEXT) | instid1(VALU_DEP_3)
	v_add_f64_e64 v[52:53], v[54:55], -v[62:63]
	v_fma_f64 v[62:63], v[64:65], s[8:9], -v[66:67]
	s_delay_alu instid0(VALU_DEP_2) | instskip(NEXT) | instid1(VALU_DEP_2)
	v_add_f64_e64 v[52:53], v[60:61], -v[52:53]
	v_fmac_f64_e32 v[62:63], 0x3c7abc9e3b39803f, v[64:65]
	s_delay_alu instid0(VALU_DEP_2) | instskip(NEXT) | instid1(VALU_DEP_2)
	v_add_f64_e32 v[8:9], v[8:9], v[52:53]
	v_add_f64_e32 v[52:53], v[66:67], v[62:63]
	s_delay_alu instid0(VALU_DEP_2) | instskip(NEXT) | instid1(VALU_DEP_2)
	v_add_f64_e32 v[60:61], v[54:55], v[8:9]
	v_add_f64_e64 v[66:67], v[52:53], -v[66:67]
	s_delay_alu instid0(VALU_DEP_2) | instskip(SKIP_1) | instid1(VALU_DEP_3)
	v_add_f64_e32 v[64:65], v[52:53], v[60:61]
	v_add_f64_e64 v[54:55], v[60:61], -v[54:55]
	v_add_f64_e64 v[62:63], v[62:63], -v[66:67]
	s_delay_alu instid0(VALU_DEP_3) | instskip(NEXT) | instid1(VALU_DEP_3)
	v_add_f64_e64 v[68:69], v[64:65], -v[52:53]
	v_add_f64_e64 v[8:9], v[8:9], -v[54:55]
	s_delay_alu instid0(VALU_DEP_2) | instskip(SKIP_1) | instid1(VALU_DEP_3)
	v_add_f64_e64 v[70:71], v[64:65], -v[68:69]
	v_add_f64_e64 v[54:55], v[60:61], -v[68:69]
	v_add_f64_e32 v[60:61], v[62:63], v[8:9]
	s_delay_alu instid0(VALU_DEP_3) | instskip(NEXT) | instid1(VALU_DEP_1)
	v_add_f64_e64 v[52:53], v[52:53], -v[70:71]
	v_add_f64_e32 v[52:53], v[54:55], v[52:53]
	s_delay_alu instid0(VALU_DEP_3) | instskip(NEXT) | instid1(VALU_DEP_2)
	v_add_f64_e64 v[54:55], v[60:61], -v[62:63]
	v_add_f64_e32 v[52:53], v[60:61], v[52:53]
	s_delay_alu instid0(VALU_DEP_2) | instskip(SKIP_1) | instid1(VALU_DEP_3)
	v_add_f64_e64 v[60:61], v[60:61], -v[54:55]
	v_add_f64_e64 v[8:9], v[8:9], -v[54:55]
	v_add_f64_e32 v[66:67], v[64:65], v[52:53]
	s_delay_alu instid0(VALU_DEP_3) | instskip(NEXT) | instid1(VALU_DEP_2)
	v_add_f64_e64 v[60:61], v[62:63], -v[60:61]
	v_add_f64_e64 v[54:55], v[66:67], -v[64:65]
	s_delay_alu instid0(VALU_DEP_2) | instskip(NEXT) | instid1(VALU_DEP_2)
	v_add_f64_e32 v[8:9], v[8:9], v[60:61]
	v_add_f64_e64 v[52:53], v[52:53], -v[54:55]
	s_delay_alu instid0(VALU_DEP_1) | instskip(NEXT) | instid1(VALU_DEP_1)
	v_add_f64_e32 v[8:9], v[8:9], v[52:53]
	v_add_f64_e32 v[8:9], v[66:67], v[8:9]
	s_delay_alu instid0(VALU_DEP_1) | instskip(SKIP_1) | instid1(VALU_DEP_3)
	v_cndmask_b32_e32 v8, 0, v8, vcc_lo
	v_cmp_neq_f64_e32 vcc_lo, -1.0, v[50:51]
	v_cndmask_b32_e64 v9, 0x7ff00000, v9, s1
	s_delay_alu instid0(VALU_DEP_1) | instskip(NEXT) | instid1(VALU_DEP_1)
	v_cndmask_b32_e64 v9, 0x7ff80000, v9, s2
	v_cndmask_b32_e32 v9, 0xfff00000, v9, vcc_lo
.LBB48_452:                             ;   in Loop: Header=BB48_434 Depth=1
	s_and_not1_saveexec_b32 s38, s38
	s_cbranch_execz .LBB48_458
; %bb.453:                              ;   in Loop: Header=BB48_434 Depth=1
                                        ; implicit-def: $vgpr8_vgpr9
	s_mov_b32 s2, exec_lo
	v_cmpx_nlt_f64_e64 |v[14:15]|, 1.0
	s_xor_b32 s39, exec_lo, s2
	s_cbranch_execz .LBB48_455
; %bb.454:                              ;   in Loop: Header=BB48_434 Depth=1
	v_mul_f64_e32 v[8:9], v[6:7], v[42:43]
	s_delay_alu instid0(VALU_DEP_1) | instskip(SKIP_1) | instid1(VALU_DEP_1)
	v_cmp_gt_f64_e32 vcc_lo, 0x10000000, v[8:9]
	v_cndmask_b32_e64 v50, 0, 0x100, vcc_lo
	v_ldexp_f64 v[8:9], v[8:9], v50
	s_delay_alu instid0(VALU_DEP_1) | instskip(SKIP_1) | instid1(TRANS32_DEP_1)
	v_rsq_f64_e32 v[50:51], v[8:9]
	v_nop
	v_mul_f64_e32 v[52:53], v[8:9], v[50:51]
	v_mul_f64_e32 v[50:51], 0.5, v[50:51]
	s_delay_alu instid0(VALU_DEP_1) | instskip(NEXT) | instid1(VALU_DEP_1)
	v_fma_f64 v[54:55], -v[50:51], v[52:53], 0.5
	v_fmac_f64_e32 v[52:53], v[52:53], v[54:55]
	v_fmac_f64_e32 v[50:51], v[50:51], v[54:55]
	s_delay_alu instid0(VALU_DEP_2) | instskip(NEXT) | instid1(VALU_DEP_1)
	v_fma_f64 v[54:55], -v[52:53], v[52:53], v[8:9]
	v_fmac_f64_e32 v[52:53], v[54:55], v[50:51]
	s_delay_alu instid0(VALU_DEP_1) | instskip(NEXT) | instid1(VALU_DEP_1)
	v_fma_f64 v[54:55], -v[52:53], v[52:53], v[8:9]
	v_fmac_f64_e32 v[52:53], v[54:55], v[50:51]
	v_cndmask_b32_e64 v50, 0, 0xffffff80, vcc_lo
	v_cmp_class_f64_e64 vcc_lo, v[8:9], 0x260
	s_delay_alu instid0(VALU_DEP_2) | instskip(NEXT) | instid1(VALU_DEP_1)
	v_ldexp_f64 v[50:51], v[52:53], v50
	v_dual_cndmask_b32 v9, v51, v9 :: v_dual_cndmask_b32 v8, v50, v8
	s_delay_alu instid0(VALU_DEP_1) | instskip(NEXT) | instid1(VALU_DEP_1)
	v_add_f64_e32 v[50:51], v[6:7], v[8:9]
	v_add_f64_e32 v[8:9], 1.0, v[50:51]
	v_cmp_neq_f64_e64 s1, 0x7ff00000, v[50:51]
	v_cmp_ngt_f64_e64 s2, -1.0, v[50:51]
	s_delay_alu instid0(VALU_DEP_3) | instskip(SKIP_2) | instid1(VALU_DEP_3)
	v_frexp_mant_f64_e32 v[52:53], v[8:9]
	v_frexp_exp_i32_f64_e32 v59, v[8:9]
	v_add_f64_e32 v[54:55], -1.0, v[8:9]
	v_cmp_gt_f64_e32 vcc_lo, s[6:7], v[52:53]
	s_delay_alu instid0(VALU_DEP_2) | instskip(SKIP_2) | instid1(VALU_DEP_3)
	v_add_f64_e64 v[52:53], v[54:55], -v[8:9]
	v_add_f64_e64 v[54:55], v[50:51], -v[54:55]
	v_subrev_co_ci_u32_e64 v59, null, 0, v59, vcc_lo
	v_add_f64_e32 v[52:53], 1.0, v[52:53]
	v_cmp_nge_f64_e32 vcc_lo, -1.0, v[50:51]
	s_delay_alu instid0(VALU_DEP_3) | instskip(NEXT) | instid1(VALU_DEP_1)
	v_sub_nc_u32_e32 v62, 0, v59
	v_ldexp_f64 v[8:9], v[8:9], v62
	s_delay_alu instid0(VALU_DEP_4) | instskip(SKIP_1) | instid1(VALU_DEP_2)
	v_add_f64_e32 v[52:53], v[54:55], v[52:53]
	s_and_b32 vcc_lo, vcc_lo, s1
	v_add_f64_e32 v[60:61], 1.0, v[8:9]
	v_add_f64_e32 v[66:67], -1.0, v[8:9]
	s_delay_alu instid0(VALU_DEP_3) | instskip(NEXT) | instid1(VALU_DEP_3)
	v_ldexp_f64 v[52:53], v[52:53], v62
	v_add_f64_e32 v[54:55], -1.0, v[60:61]
	s_delay_alu instid0(VALU_DEP_3) | instskip(NEXT) | instid1(VALU_DEP_2)
	v_add_f64_e32 v[68:69], 1.0, v[66:67]
	v_add_f64_e64 v[54:55], v[8:9], -v[54:55]
	s_delay_alu instid0(VALU_DEP_2) | instskip(NEXT) | instid1(VALU_DEP_2)
	v_add_f64_e64 v[8:9], v[8:9], -v[68:69]
	v_add_f64_e32 v[54:55], v[52:53], v[54:55]
	s_delay_alu instid0(VALU_DEP_2) | instskip(NEXT) | instid1(VALU_DEP_2)
	v_add_f64_e32 v[8:9], v[52:53], v[8:9]
	v_add_f64_e32 v[62:63], v[60:61], v[54:55]
	s_delay_alu instid0(VALU_DEP_2) | instskip(NEXT) | instid1(VALU_DEP_2)
	v_add_f64_e32 v[68:69], v[66:67], v[8:9]
	v_rcp_f64_e32 v[64:65], v[62:63]
	v_add_f64_e64 v[60:61], v[62:63], -v[60:61]
	s_delay_alu instid0(VALU_DEP_2) | instskip(NEXT) | instid1(VALU_DEP_2)
	v_add_f64_e64 v[66:67], v[68:69], -v[66:67]
	v_add_f64_e64 v[54:55], v[54:55], -v[60:61]
	s_delay_alu instid0(VALU_DEP_2) | instskip(NEXT) | instid1(TRANS32_DEP_1)
	v_add_f64_e64 v[8:9], v[8:9], -v[66:67]
	v_fma_f64 v[70:71], -v[62:63], v[64:65], 1.0
	s_delay_alu instid0(VALU_DEP_1) | instskip(NEXT) | instid1(VALU_DEP_1)
	v_fmac_f64_e32 v[64:65], v[70:71], v[64:65]
	v_fma_f64 v[52:53], -v[62:63], v[64:65], 1.0
	s_delay_alu instid0(VALU_DEP_1) | instskip(NEXT) | instid1(VALU_DEP_1)
	v_fmac_f64_e32 v[64:65], v[52:53], v[64:65]
	v_mul_f64_e32 v[52:53], v[68:69], v[64:65]
	s_delay_alu instid0(VALU_DEP_1) | instskip(NEXT) | instid1(VALU_DEP_1)
	v_mul_f64_e32 v[70:71], v[62:63], v[52:53]
	v_fma_f64 v[60:61], v[52:53], v[62:63], -v[70:71]
	s_delay_alu instid0(VALU_DEP_1) | instskip(NEXT) | instid1(VALU_DEP_1)
	v_fmac_f64_e32 v[60:61], v[52:53], v[54:55]
	v_add_f64_e32 v[72:73], v[70:71], v[60:61]
	s_delay_alu instid0(VALU_DEP_1) | instskip(SKIP_1) | instid1(VALU_DEP_2)
	v_add_f64_e64 v[74:75], v[68:69], -v[72:73]
	v_add_f64_e64 v[66:67], v[72:73], -v[70:71]
	v_add_f64_e64 v[68:69], v[68:69], -v[74:75]
	s_delay_alu instid0(VALU_DEP_2) | instskip(NEXT) | instid1(VALU_DEP_2)
	v_add_f64_e64 v[60:61], v[66:67], -v[60:61]
	v_add_f64_e64 v[68:69], v[68:69], -v[72:73]
	s_delay_alu instid0(VALU_DEP_1) | instskip(NEXT) | instid1(VALU_DEP_1)
	v_add_f64_e32 v[8:9], v[8:9], v[68:69]
	v_add_f64_e32 v[8:9], v[60:61], v[8:9]
	s_delay_alu instid0(VALU_DEP_1) | instskip(NEXT) | instid1(VALU_DEP_1)
	v_add_f64_e32 v[60:61], v[74:75], v[8:9]
	v_mul_f64_e32 v[66:67], v[64:65], v[60:61]
	v_add_f64_e64 v[72:73], v[74:75], -v[60:61]
	s_delay_alu instid0(VALU_DEP_2) | instskip(NEXT) | instid1(VALU_DEP_2)
	v_mul_f64_e32 v[68:69], v[62:63], v[66:67]
	v_add_f64_e32 v[8:9], v[8:9], v[72:73]
	s_delay_alu instid0(VALU_DEP_2) | instskip(NEXT) | instid1(VALU_DEP_1)
	v_fma_f64 v[62:63], v[66:67], v[62:63], -v[68:69]
	v_fmac_f64_e32 v[62:63], v[66:67], v[54:55]
	s_delay_alu instid0(VALU_DEP_1) | instskip(NEXT) | instid1(VALU_DEP_1)
	v_add_f64_e32 v[54:55], v[68:69], v[62:63]
	v_add_f64_e64 v[70:71], v[60:61], -v[54:55]
	v_add_f64_e64 v[68:69], v[54:55], -v[68:69]
	s_delay_alu instid0(VALU_DEP_2) | instskip(NEXT) | instid1(VALU_DEP_1)
	v_add_f64_e64 v[60:61], v[60:61], -v[70:71]
	v_add_f64_e64 v[54:55], v[60:61], -v[54:55]
	s_delay_alu instid0(VALU_DEP_3) | instskip(NEXT) | instid1(VALU_DEP_2)
	v_add_f64_e64 v[60:61], v[68:69], -v[62:63]
	v_add_f64_e32 v[8:9], v[8:9], v[54:55]
	v_add_f64_e32 v[54:55], v[52:53], v[66:67]
	s_delay_alu instid0(VALU_DEP_2) | instskip(NEXT) | instid1(VALU_DEP_2)
	v_add_f64_e32 v[8:9], v[60:61], v[8:9]
	v_add_f64_e64 v[52:53], v[54:55], -v[52:53]
	s_delay_alu instid0(VALU_DEP_2) | instskip(NEXT) | instid1(VALU_DEP_2)
	v_add_f64_e32 v[8:9], v[70:71], v[8:9]
	v_add_f64_e64 v[52:53], v[66:67], -v[52:53]
	s_delay_alu instid0(VALU_DEP_2) | instskip(NEXT) | instid1(VALU_DEP_1)
	v_mul_f64_e32 v[8:9], v[64:65], v[8:9]
	v_add_f64_e32 v[8:9], v[52:53], v[8:9]
	s_delay_alu instid0(VALU_DEP_1) | instskip(NEXT) | instid1(VALU_DEP_1)
	v_add_f64_e32 v[52:53], v[54:55], v[8:9]
	v_mul_f64_e32 v[60:61], v[52:53], v[52:53]
	s_delay_alu instid0(VALU_DEP_1) | instskip(SKIP_1) | instid1(VALU_DEP_2)
	v_fmamk_f64 v[62:63], v[60:61], 0x3fc3ab76bf559e2b, v[28:29]
	v_mul_f64_e32 v[64:65], v[52:53], v[60:61]
	v_fmaak_f64 v[62:63], v[60:61], v[62:63], 0x3fc7474dd7f4df2e
	s_delay_alu instid0(VALU_DEP_1) | instskip(NEXT) | instid1(VALU_DEP_1)
	v_fmaak_f64 v[62:63], v[60:61], v[62:63], 0x3fcc71c016291751
	v_fmaak_f64 v[62:63], v[60:61], v[62:63], 0x3fd249249b27acf1
	s_delay_alu instid0(VALU_DEP_1) | instskip(NEXT) | instid1(VALU_DEP_1)
	v_fmaak_f64 v[62:63], v[60:61], v[62:63], 0x3fd99999998ef7b6
	v_fmaak_f64 v[60:61], v[60:61], v[62:63], 0x3fe5555555555780
	v_ldexp_f64 v[62:63], v[52:53], 1
	v_add_f64_e64 v[52:53], v[52:53], -v[54:55]
	s_delay_alu instid0(VALU_DEP_3) | instskip(SKIP_1) | instid1(VALU_DEP_3)
	v_mul_f64_e32 v[60:61], v[64:65], v[60:61]
	v_cvt_f64_i32_e32 v[64:65], v59
	v_add_f64_e64 v[8:9], v[8:9], -v[52:53]
	s_delay_alu instid0(VALU_DEP_3) | instskip(NEXT) | instid1(VALU_DEP_3)
	v_add_f64_e32 v[54:55], v[62:63], v[60:61]
	v_mul_f64_e32 v[66:67], 0x3fe62e42fefa39ef, v[64:65]
	s_delay_alu instid0(VALU_DEP_3) | instskip(NEXT) | instid1(VALU_DEP_3)
	v_ldexp_f64 v[8:9], v[8:9], 1
	v_add_f64_e64 v[52:53], v[54:55], -v[62:63]
	s_delay_alu instid0(VALU_DEP_3) | instskip(NEXT) | instid1(VALU_DEP_2)
	v_fma_f64 v[62:63], v[64:65], s[8:9], -v[66:67]
	v_add_f64_e64 v[52:53], v[60:61], -v[52:53]
	s_delay_alu instid0(VALU_DEP_2) | instskip(NEXT) | instid1(VALU_DEP_2)
	v_fmac_f64_e32 v[62:63], 0x3c7abc9e3b39803f, v[64:65]
	v_add_f64_e32 v[8:9], v[8:9], v[52:53]
	s_delay_alu instid0(VALU_DEP_2) | instskip(NEXT) | instid1(VALU_DEP_2)
	v_add_f64_e32 v[52:53], v[66:67], v[62:63]
	v_add_f64_e32 v[60:61], v[54:55], v[8:9]
	s_delay_alu instid0(VALU_DEP_2) | instskip(NEXT) | instid1(VALU_DEP_2)
	v_add_f64_e64 v[66:67], v[52:53], -v[66:67]
	v_add_f64_e32 v[64:65], v[52:53], v[60:61]
	v_add_f64_e64 v[54:55], v[60:61], -v[54:55]
	s_delay_alu instid0(VALU_DEP_3) | instskip(NEXT) | instid1(VALU_DEP_3)
	v_add_f64_e64 v[62:63], v[62:63], -v[66:67]
	v_add_f64_e64 v[68:69], v[64:65], -v[52:53]
	s_delay_alu instid0(VALU_DEP_3) | instskip(NEXT) | instid1(VALU_DEP_2)
	v_add_f64_e64 v[8:9], v[8:9], -v[54:55]
	v_add_f64_e64 v[70:71], v[64:65], -v[68:69]
	;; [unrolled: 1-line block ×3, first 2 shown]
	s_delay_alu instid0(VALU_DEP_3) | instskip(NEXT) | instid1(VALU_DEP_3)
	v_add_f64_e32 v[60:61], v[62:63], v[8:9]
	v_add_f64_e64 v[52:53], v[52:53], -v[70:71]
	s_delay_alu instid0(VALU_DEP_1) | instskip(NEXT) | instid1(VALU_DEP_3)
	v_add_f64_e32 v[52:53], v[54:55], v[52:53]
	v_add_f64_e64 v[54:55], v[60:61], -v[62:63]
	s_delay_alu instid0(VALU_DEP_2) | instskip(NEXT) | instid1(VALU_DEP_2)
	v_add_f64_e32 v[52:53], v[60:61], v[52:53]
	v_add_f64_e64 v[60:61], v[60:61], -v[54:55]
	v_add_f64_e64 v[8:9], v[8:9], -v[54:55]
	s_delay_alu instid0(VALU_DEP_3) | instskip(NEXT) | instid1(VALU_DEP_3)
	v_add_f64_e32 v[66:67], v[64:65], v[52:53]
	v_add_f64_e64 v[60:61], v[62:63], -v[60:61]
	s_delay_alu instid0(VALU_DEP_2) | instskip(NEXT) | instid1(VALU_DEP_2)
	v_add_f64_e64 v[54:55], v[66:67], -v[64:65]
	v_add_f64_e32 v[8:9], v[8:9], v[60:61]
	s_delay_alu instid0(VALU_DEP_2) | instskip(NEXT) | instid1(VALU_DEP_1)
	v_add_f64_e64 v[52:53], v[52:53], -v[54:55]
	v_add_f64_e32 v[8:9], v[8:9], v[52:53]
	s_delay_alu instid0(VALU_DEP_1) | instskip(NEXT) | instid1(VALU_DEP_1)
	v_add_f64_e32 v[8:9], v[66:67], v[8:9]
	v_cndmask_b32_e32 v8, 0, v8, vcc_lo
	v_cmp_neq_f64_e32 vcc_lo, -1.0, v[50:51]
	s_delay_alu instid0(VALU_DEP_3) | instskip(NEXT) | instid1(VALU_DEP_1)
	v_cndmask_b32_e64 v9, 0x7ff00000, v9, s1
	v_cndmask_b32_e64 v9, 0x7ff80000, v9, s2
	s_delay_alu instid0(VALU_DEP_1)
	v_cndmask_b32_e32 v9, 0xfff00000, v9, vcc_lo
.LBB48_455:                             ;   in Loop: Header=BB48_434 Depth=1
	s_and_not1_saveexec_b32 s1, s39
	s_cbranch_execz .LBB48_457
; %bb.456:                              ;   in Loop: Header=BB48_434 Depth=1
	v_add_f64_e64 v[8:9], -|v[14:15]|, 1.0
	s_delay_alu instid0(VALU_DEP_1) | instskip(NEXT) | instid1(VALU_DEP_1)
	v_mul_f64_e32 v[8:9], v[8:9], v[42:43]
	v_cmp_gt_f64_e32 vcc_lo, 0x10000000, v[8:9]
	v_cndmask_b32_e64 v50, 0, 0x100, vcc_lo
	s_delay_alu instid0(VALU_DEP_1) | instskip(NEXT) | instid1(VALU_DEP_1)
	v_ldexp_f64 v[8:9], v[8:9], v50
	v_rsq_f64_e32 v[50:51], v[8:9]
	v_nop
	s_delay_alu instid0(TRANS32_DEP_1) | instskip(SKIP_1) | instid1(VALU_DEP_1)
	v_mul_f64_e32 v[52:53], v[8:9], v[50:51]
	v_mul_f64_e32 v[50:51], 0.5, v[50:51]
	v_fma_f64 v[54:55], -v[50:51], v[52:53], 0.5
	s_delay_alu instid0(VALU_DEP_1) | instskip(SKIP_1) | instid1(VALU_DEP_2)
	v_fmac_f64_e32 v[52:53], v[52:53], v[54:55]
	v_fmac_f64_e32 v[50:51], v[50:51], v[54:55]
	v_fma_f64 v[54:55], -v[52:53], v[52:53], v[8:9]
	s_delay_alu instid0(VALU_DEP_1) | instskip(NEXT) | instid1(VALU_DEP_1)
	v_fmac_f64_e32 v[52:53], v[54:55], v[50:51]
	v_fma_f64 v[54:55], -v[52:53], v[52:53], v[8:9]
	s_delay_alu instid0(VALU_DEP_1) | instskip(SKIP_2) | instid1(VALU_DEP_2)
	v_fmac_f64_e32 v[52:53], v[54:55], v[50:51]
	v_cndmask_b32_e64 v50, 0, 0xffffff80, vcc_lo
	v_cmp_class_f64_e64 vcc_lo, v[8:9], 0x260
	v_ldexp_f64 v[50:51], v[52:53], v50
	v_dual_mov_b32 v52, v16 :: v_dual_mov_b32 v53, v49
	s_delay_alu instid0(VALU_DEP_2) | instskip(NEXT) | instid1(VALU_DEP_1)
	v_dual_cndmask_b32 v8, v50, v8 :: v_dual_cndmask_b32 v9, v51, v9
	v_div_scale_f64 v[50:51], null, v[8:9], v[8:9], v[52:53]
	v_div_scale_f64 v[52:53], vcc_lo, v[52:53], v[8:9], v[52:53]
	s_delay_alu instid0(VALU_DEP_2) | instskip(SKIP_1) | instid1(TRANS32_DEP_1)
	v_rcp_f64_e32 v[54:55], v[50:51]
	v_nop
	v_fma_f64 v[60:61], -v[50:51], v[54:55], 1.0
	s_delay_alu instid0(VALU_DEP_1) | instskip(NEXT) | instid1(VALU_DEP_1)
	v_fmac_f64_e32 v[54:55], v[54:55], v[60:61]
	v_fma_f64 v[60:61], -v[50:51], v[54:55], 1.0
	s_delay_alu instid0(VALU_DEP_1) | instskip(NEXT) | instid1(VALU_DEP_1)
	v_fmac_f64_e32 v[54:55], v[54:55], v[60:61]
	v_mul_f64_e32 v[60:61], v[52:53], v[54:55]
	s_delay_alu instid0(VALU_DEP_1) | instskip(NEXT) | instid1(VALU_DEP_1)
	v_fma_f64 v[50:51], -v[50:51], v[60:61], v[52:53]
	v_div_fmas_f64 v[50:51], v[50:51], v[54:55], v[60:61]
	s_delay_alu instid0(VALU_DEP_1)
	v_div_fixup_f64 v[8:9], v[50:51], v[8:9], |v[16:17]|
.LBB48_457:                             ;   in Loop: Header=BB48_434 Depth=1
	s_or_b32 exec_lo, exec_lo, s1
.LBB48_458:                             ;   in Loop: Header=BB48_434 Depth=1
	s_delay_alu instid0(SALU_CYCLE_1)
	s_or_b32 exec_lo, exec_lo, s38
.LBB48_459:                             ;   in Loop: Header=BB48_434 Depth=1
	s_and_not1_saveexec_b32 s1, s37
	s_cbranch_execz .LBB48_461
; %bb.460:                              ;   in Loop: Header=BB48_434 Depth=1
	v_cmp_gt_f64_e64 s2, 0x10000000, |v[16:17]|
	s_delay_alu instid0(VALU_DEP_1) | instskip(NEXT) | instid1(VALU_DEP_1)
	v_cndmask_b32_e64 v8, 0, 0x100, s2
	v_ldexp_f64 v[8:9], |v[16:17]|, v8
	s_delay_alu instid0(VALU_DEP_1) | instskip(SKIP_1) | instid1(TRANS32_DEP_1)
	v_rsq_f64_e32 v[50:51], v[8:9]
	v_cmp_class_f64_e64 vcc_lo, v[8:9], 0x260
	v_mul_f64_e32 v[52:53], v[8:9], v[50:51]
	v_mul_f64_e32 v[50:51], 0.5, v[50:51]
	s_delay_alu instid0(VALU_DEP_1) | instskip(NEXT) | instid1(VALU_DEP_1)
	v_fma_f64 v[54:55], -v[50:51], v[52:53], 0.5
	v_fmac_f64_e32 v[52:53], v[52:53], v[54:55]
	v_fmac_f64_e32 v[50:51], v[50:51], v[54:55]
	s_delay_alu instid0(VALU_DEP_2) | instskip(NEXT) | instid1(VALU_DEP_1)
	v_fma_f64 v[54:55], -v[52:53], v[52:53], v[8:9]
	v_fmac_f64_e32 v[52:53], v[54:55], v[50:51]
	s_delay_alu instid0(VALU_DEP_1) | instskip(NEXT) | instid1(VALU_DEP_1)
	v_fma_f64 v[54:55], -v[52:53], v[52:53], v[8:9]
	v_fmac_f64_e32 v[52:53], v[54:55], v[50:51]
	v_cndmask_b32_e64 v50, 0, 0xffffff80, s2
	s_delay_alu instid0(VALU_DEP_1) | instskip(NEXT) | instid1(VALU_DEP_1)
	v_ldexp_f64 v[50:51], v[52:53], v50
	v_dual_cndmask_b32 v9, v51, v9 :: v_dual_cndmask_b32 v8, v50, v8
.LBB48_461:                             ;   in Loop: Header=BB48_434 Depth=1
	s_or_b32 exec_lo, exec_lo, s1
.LBB48_462:                             ;   in Loop: Header=BB48_434 Depth=1
	s_delay_alu instid0(SALU_CYCLE_1) | instskip(SKIP_2) | instid1(SALU_CYCLE_1)
	s_or_b32 exec_lo, exec_lo, s36
	v_cmp_ngt_f64_e64 s2, 0x20200000, |v[14:15]|
                                        ; implicit-def: $sgpr1
                                        ; implicit-def: $vgpr50_vgpr51
                                        ; implicit-def: $vgpr54_vgpr55
                                        ; implicit-def: $vgpr52_vgpr53
	s_and_saveexec_b32 s36, s2
	s_xor_b32 s2, exec_lo, s36
	s_cbranch_execz .LBB48_486
; %bb.463:                              ;   in Loop: Header=BB48_434 Depth=1
	v_and_b32_e32 v53, 0x7fffffff, v15
	v_mov_b32_e32 v52, v14
	s_mov_b32 s1, 0
	s_mov_b32 s36, exec_lo
	s_delay_alu instid0(VALU_DEP_1) | instskip(NEXT) | instid1(VALU_DEP_1)
	v_div_scale_f64 v[50:51], null, v[40:41], v[40:41], v[52:53]
	v_rcp_f64_e32 v[54:55], v[50:51]
	v_nop
	s_delay_alu instid0(TRANS32_DEP_1) | instskip(NEXT) | instid1(VALU_DEP_1)
	v_fma_f64 v[60:61], -v[50:51], v[54:55], 1.0
	v_fmac_f64_e32 v[54:55], v[54:55], v[60:61]
	s_delay_alu instid0(VALU_DEP_1) | instskip(NEXT) | instid1(VALU_DEP_1)
	v_fma_f64 v[60:61], -v[50:51], v[54:55], 1.0
	v_fmac_f64_e32 v[54:55], v[54:55], v[60:61]
	v_div_scale_f64 v[60:61], vcc_lo, v[52:53], v[40:41], v[52:53]
	s_delay_alu instid0(VALU_DEP_1) | instskip(NEXT) | instid1(VALU_DEP_1)
	v_mul_f64_e32 v[62:63], v[60:61], v[54:55]
	v_fma_f64 v[50:51], -v[50:51], v[62:63], v[60:61]
	s_delay_alu instid0(VALU_DEP_1) | instskip(NEXT) | instid1(VALU_DEP_1)
	v_div_fmas_f64 v[50:51], v[50:51], v[54:55], v[62:63]
                                        ; implicit-def: $vgpr54_vgpr55
	v_div_fixup_f64 v[50:51], v[50:51], v[40:41], |v[14:15]|
	s_delay_alu instid0(VALU_DEP_1)
	v_cmpx_lt_f64_e32 s[12:13], v[50:51]
	s_cbranch_execz .LBB48_485
; %bb.464:                              ;   in Loop: Header=BB48_434 Depth=1
	v_cmp_neq_f64_e64 s1, |v[14:15]|, 1.0
	v_cmp_ngt_f64_e64 s37, 0x3c400000, |v[16:17]|
                                        ; implicit-def: $vgpr54_vgpr55
	s_or_b32 s1, s1, s37
	s_delay_alu instid0(SALU_CYCLE_1) | instskip(NEXT) | instid1(SALU_CYCLE_1)
	s_and_saveexec_b32 s37, s1
	s_xor_b32 s1, exec_lo, s37
	s_cbranch_execz .LBB48_482
; %bb.465:                              ;   in Loop: Header=BB48_434 Depth=1
	v_ldexp_f64 v[54:55], |v[6:7]|, 0xffffffcc
	s_delay_alu instid0(VALU_DEP_1) | instskip(SKIP_1) | instid1(SALU_CYCLE_1)
	v_cmp_ge_f64_e64 s37, |v[16:17]|, v[54:55]
                                        ; implicit-def: $vgpr54_vgpr55
	s_and_saveexec_b32 s38, s37
	s_xor_b32 s37, exec_lo, s38
	s_cbranch_execz .LBB48_475
; %bb.466:                              ;   in Loop: Header=BB48_434 Depth=1
	v_mov_b64_e32 v[54:55], v[48:49]
	s_mov_b32 s38, exec_lo
	v_cmpx_neq_f64_e32 0, v[42:43]
	s_cbranch_execz .LBB48_468
; %bb.467:                              ;   in Loop: Header=BB48_434 Depth=1
	v_mul_f64_e32 v[54:55], v[16:17], v[16:17]
	v_add_f64_e32 v[42:43], v[42:43], v[46:47]
	s_delay_alu instid0(VALU_DEP_1) | instskip(NEXT) | instid1(VALU_DEP_1)
	v_div_scale_f64 v[46:47], null, v[42:43], v[42:43], v[54:55]
	v_rcp_f64_e32 v[60:61], v[46:47]
	v_nop
	s_delay_alu instid0(TRANS32_DEP_1) | instskip(NEXT) | instid1(VALU_DEP_1)
	v_fma_f64 v[62:63], -v[46:47], v[60:61], 1.0
	v_fmac_f64_e32 v[60:61], v[60:61], v[62:63]
	s_delay_alu instid0(VALU_DEP_1) | instskip(NEXT) | instid1(VALU_DEP_1)
	v_fma_f64 v[62:63], -v[46:47], v[60:61], 1.0
	v_fmac_f64_e32 v[60:61], v[60:61], v[62:63]
	v_div_scale_f64 v[62:63], vcc_lo, v[54:55], v[42:43], v[54:55]
	s_delay_alu instid0(VALU_DEP_1) | instskip(NEXT) | instid1(VALU_DEP_1)
	v_mul_f64_e32 v[64:65], v[62:63], v[60:61]
	v_fma_f64 v[46:47], -v[46:47], v[64:65], v[62:63]
	s_delay_alu instid0(VALU_DEP_1) | instskip(NEXT) | instid1(VALU_DEP_1)
	v_div_fmas_f64 v[46:47], v[46:47], v[60:61], v[64:65]
	v_div_fixup_f64 v[54:55], v[46:47], v[42:43], v[54:55]
.LBB48_468:                             ;   in Loop: Header=BB48_434 Depth=1
	s_or_b32 exec_lo, exec_lo, s38
	s_delay_alu instid0(SALU_CYCLE_1)
	s_mov_b32 s38, exec_lo
	v_cmpx_ngt_f64_e32 0, v[6:7]
	s_xor_b32 s38, exec_lo, s38
	s_cbranch_execz .LBB48_472
; %bb.469:                              ;   in Loop: Header=BB48_434 Depth=1
	s_mov_b32 s39, exec_lo
	v_cmpx_neq_f64_e32 0, v[6:7]
	s_cbranch_execz .LBB48_471
; %bb.470:                              ;   in Loop: Header=BB48_434 Depth=1
	v_mul_f64_e32 v[16:17], v[16:17], v[16:17]
	v_add_f64_e32 v[6:7], v[6:7], v[44:45]
	s_delay_alu instid0(VALU_DEP_1) | instskip(NEXT) | instid1(VALU_DEP_1)
	v_div_scale_f64 v[42:43], null, v[6:7], v[6:7], v[16:17]
	v_rcp_f64_e32 v[44:45], v[42:43]
	v_nop
	s_delay_alu instid0(TRANS32_DEP_1) | instskip(NEXT) | instid1(VALU_DEP_1)
	v_fma_f64 v[46:47], -v[42:43], v[44:45], 1.0
	v_fmac_f64_e32 v[44:45], v[44:45], v[46:47]
	s_delay_alu instid0(VALU_DEP_1) | instskip(NEXT) | instid1(VALU_DEP_1)
	v_fma_f64 v[46:47], -v[42:43], v[44:45], 1.0
	v_fmac_f64_e32 v[44:45], v[44:45], v[46:47]
	v_div_scale_f64 v[46:47], vcc_lo, v[16:17], v[6:7], v[16:17]
	s_delay_alu instid0(VALU_DEP_1) | instskip(NEXT) | instid1(VALU_DEP_1)
	v_mul_f64_e32 v[48:49], v[46:47], v[44:45]
	v_fma_f64 v[42:43], -v[42:43], v[48:49], v[46:47]
	s_delay_alu instid0(VALU_DEP_1) | instskip(NEXT) | instid1(VALU_DEP_1)
	v_div_fmas_f64 v[42:43], v[42:43], v[44:45], v[48:49]
	v_div_fixup_f64 v[48:49], v[42:43], v[6:7], v[16:17]
.LBB48_471:                             ;   in Loop: Header=BB48_434 Depth=1
	s_or_b32 exec_lo, exec_lo, s39
                                        ; implicit-def: $vgpr6_vgpr7
                                        ; implicit-def: $vgpr44_vgpr45
.LBB48_472:                             ;   in Loop: Header=BB48_434 Depth=1
	s_and_not1_saveexec_b32 s38, s38
; %bb.473:                              ;   in Loop: Header=BB48_434 Depth=1
	v_add_f64_e64 v[48:49], v[44:45], -v[6:7]
; %bb.474:                              ;   in Loop: Header=BB48_434 Depth=1
	s_or_b32 exec_lo, exec_lo, s38
	s_delay_alu instid0(VALU_DEP_1) | instskip(SKIP_1) | instid1(VALU_DEP_2)
	v_mul_f64_e32 v[6:7], 0.5, v[48:49]
	v_add_f64_e64 v[16:17], |v[14:15]|, v[40:41]
	v_fmac_f64_e32 v[6:7], 0.5, v[54:55]
	s_delay_alu instid0(VALU_DEP_1) | instskip(NEXT) | instid1(VALU_DEP_1)
	v_mul_f64_e32 v[6:7], v[16:17], v[6:7]
	v_cmp_gt_f64_e32 vcc_lo, 0x10000000, v[6:7]
	v_cndmask_b32_e64 v16, 0, 0x100, vcc_lo
	s_delay_alu instid0(VALU_DEP_1) | instskip(NEXT) | instid1(VALU_DEP_1)
	v_ldexp_f64 v[6:7], v[6:7], v16
	v_rsq_f64_e32 v[16:17], v[6:7]
	v_nop
	s_delay_alu instid0(TRANS32_DEP_1) | instskip(SKIP_1) | instid1(VALU_DEP_1)
	v_mul_f64_e32 v[40:41], v[6:7], v[16:17]
	v_mul_f64_e32 v[16:17], 0.5, v[16:17]
	v_fma_f64 v[42:43], -v[16:17], v[40:41], 0.5
	s_delay_alu instid0(VALU_DEP_1) | instskip(SKIP_1) | instid1(VALU_DEP_2)
	v_fmac_f64_e32 v[40:41], v[40:41], v[42:43]
	v_fmac_f64_e32 v[16:17], v[16:17], v[42:43]
	v_fma_f64 v[42:43], -v[40:41], v[40:41], v[6:7]
	s_delay_alu instid0(VALU_DEP_1) | instskip(NEXT) | instid1(VALU_DEP_1)
	v_fmac_f64_e32 v[40:41], v[42:43], v[16:17]
	v_fma_f64 v[42:43], -v[40:41], v[40:41], v[6:7]
	s_delay_alu instid0(VALU_DEP_1) | instskip(SKIP_2) | instid1(VALU_DEP_2)
	v_fmac_f64_e32 v[40:41], v[42:43], v[16:17]
	v_cndmask_b32_e64 v16, 0, 0xffffff80, vcc_lo
	v_cmp_class_f64_e64 vcc_lo, v[6:7], 0x260
                                        ; implicit-def: $vgpr42_vgpr43
	v_ldexp_f64 v[16:17], v[40:41], v16
	s_delay_alu instid0(VALU_DEP_1)
	v_dual_cndmask_b32 v55, v17, v7 :: v_dual_cndmask_b32 v54, v16, v6
                                        ; implicit-def: $vgpr6_vgpr7
.LBB48_475:                             ;   in Loop: Header=BB48_434 Depth=1
	s_and_not1_saveexec_b32 s37, s37
	s_cbranch_execz .LBB48_481
; %bb.476:                              ;   in Loop: Header=BB48_434 Depth=1
	v_cmp_ngt_f64_e64 s38, |v[14:15]|, 1.0
                                        ; implicit-def: $vgpr54_vgpr55
	s_and_saveexec_b32 s39, s38
	s_delay_alu instid0(SALU_CYCLE_1)
	s_xor_b32 s38, exec_lo, s39
	s_cbranch_execz .LBB48_478
; %bb.477:                              ;   in Loop: Header=BB48_434 Depth=1
	v_add_f64_e64 v[6:7], -|v[14:15]|, 1.0
	s_delay_alu instid0(VALU_DEP_1) | instskip(NEXT) | instid1(VALU_DEP_1)
	v_mul_f64_e32 v[6:7], v[6:7], v[42:43]
	v_cmp_gt_f64_e32 vcc_lo, 0x10000000, v[6:7]
	v_cndmask_b32_e64 v16, 0, 0x100, vcc_lo
	s_delay_alu instid0(VALU_DEP_1) | instskip(NEXT) | instid1(VALU_DEP_1)
	v_ldexp_f64 v[6:7], v[6:7], v16
	v_rsq_f64_e32 v[16:17], v[6:7]
	v_nop
	s_delay_alu instid0(TRANS32_DEP_1) | instskip(SKIP_1) | instid1(VALU_DEP_1)
	v_mul_f64_e32 v[40:41], v[6:7], v[16:17]
	v_mul_f64_e32 v[16:17], 0.5, v[16:17]
	v_fma_f64 v[42:43], -v[16:17], v[40:41], 0.5
	s_delay_alu instid0(VALU_DEP_1) | instskip(SKIP_1) | instid1(VALU_DEP_2)
	v_fmac_f64_e32 v[40:41], v[40:41], v[42:43]
	v_fmac_f64_e32 v[16:17], v[16:17], v[42:43]
	v_fma_f64 v[42:43], -v[40:41], v[40:41], v[6:7]
	s_delay_alu instid0(VALU_DEP_1) | instskip(NEXT) | instid1(VALU_DEP_1)
	v_fmac_f64_e32 v[40:41], v[42:43], v[16:17]
	v_fma_f64 v[42:43], -v[40:41], v[40:41], v[6:7]
	s_delay_alu instid0(VALU_DEP_1) | instskip(SKIP_2) | instid1(VALU_DEP_2)
	v_fmac_f64_e32 v[40:41], v[42:43], v[16:17]
	v_cndmask_b32_e64 v16, 0, 0xffffff80, vcc_lo
	v_cmp_class_f64_e64 vcc_lo, v[6:7], 0x260
                                        ; implicit-def: $vgpr42_vgpr43
	v_ldexp_f64 v[16:17], v[40:41], v16
	s_delay_alu instid0(VALU_DEP_1)
	v_dual_cndmask_b32 v55, v17, v7 :: v_dual_cndmask_b32 v54, v16, v6
                                        ; implicit-def: $vgpr6_vgpr7
.LBB48_478:                             ;   in Loop: Header=BB48_434 Depth=1
	s_and_not1_saveexec_b32 s38, s38
	s_cbranch_execz .LBB48_480
; %bb.479:                              ;   in Loop: Header=BB48_434 Depth=1
	v_mul_f64_e32 v[6:7], v[42:43], v[6:7]
	v_ldexp_f64 v[16:17], |v[16:17]|, 0x6a
	v_ldexp_f64 v[52:53], |v[14:15]|, 0x6a
	s_delay_alu instid0(VALU_DEP_3) | instskip(NEXT) | instid1(VALU_DEP_3)
	v_cmp_gt_f64_e32 vcc_lo, 0x10000000, v[6:7]
	v_mul_f64_e64 v[16:17], |v[14:15]|, v[16:17]
	v_cndmask_b32_e64 v40, 0, 0x100, vcc_lo
	s_delay_alu instid0(VALU_DEP_1) | instskip(NEXT) | instid1(VALU_DEP_1)
	v_ldexp_f64 v[6:7], v[6:7], v40
	v_rsq_f64_e32 v[40:41], v[6:7]
	v_nop
	s_delay_alu instid0(TRANS32_DEP_1) | instskip(SKIP_1) | instid1(VALU_DEP_1)
	v_mul_f64_e32 v[42:43], v[6:7], v[40:41]
	v_mul_f64_e32 v[40:41], 0.5, v[40:41]
	v_fma_f64 v[44:45], -v[40:41], v[42:43], 0.5
	s_delay_alu instid0(VALU_DEP_1) | instskip(SKIP_1) | instid1(VALU_DEP_2)
	v_fmac_f64_e32 v[42:43], v[42:43], v[44:45]
	v_fmac_f64_e32 v[40:41], v[40:41], v[44:45]
	v_fma_f64 v[44:45], -v[42:43], v[42:43], v[6:7]
	s_delay_alu instid0(VALU_DEP_1) | instskip(NEXT) | instid1(VALU_DEP_1)
	v_fmac_f64_e32 v[42:43], v[44:45], v[40:41]
	v_fma_f64 v[44:45], -v[42:43], v[42:43], v[6:7]
	s_delay_alu instid0(VALU_DEP_1) | instskip(SKIP_2) | instid1(VALU_DEP_2)
	v_fmac_f64_e32 v[42:43], v[44:45], v[40:41]
	v_cndmask_b32_e64 v40, 0, 0xffffff80, vcc_lo
	v_cmp_class_f64_e64 vcc_lo, v[6:7], 0x260
	v_ldexp_f64 v[40:41], v[42:43], v40
	s_delay_alu instid0(VALU_DEP_1) | instskip(NEXT) | instid1(VALU_DEP_1)
	v_dual_cndmask_b32 v7, v41, v7 :: v_dual_cndmask_b32 v6, v40, v6
	v_div_scale_f64 v[40:41], null, v[6:7], v[6:7], v[16:17]
	v_div_scale_f64 v[46:47], vcc_lo, v[16:17], v[6:7], v[16:17]
	s_delay_alu instid0(VALU_DEP_2) | instskip(SKIP_1) | instid1(TRANS32_DEP_1)
	v_rcp_f64_e32 v[42:43], v[40:41]
	v_nop
	v_fma_f64 v[44:45], -v[40:41], v[42:43], 1.0
	s_delay_alu instid0(VALU_DEP_1) | instskip(NEXT) | instid1(VALU_DEP_1)
	v_fmac_f64_e32 v[42:43], v[42:43], v[44:45]
	v_fma_f64 v[44:45], -v[40:41], v[42:43], 1.0
	s_delay_alu instid0(VALU_DEP_1) | instskip(NEXT) | instid1(VALU_DEP_1)
	v_fmac_f64_e32 v[42:43], v[42:43], v[44:45]
	v_mul_f64_e32 v[44:45], v[46:47], v[42:43]
	s_delay_alu instid0(VALU_DEP_1) | instskip(NEXT) | instid1(VALU_DEP_1)
	v_fma_f64 v[40:41], -v[40:41], v[44:45], v[46:47]
	v_div_fmas_f64 v[40:41], v[40:41], v[42:43], v[44:45]
	s_delay_alu instid0(VALU_DEP_1)
	v_div_fixup_f64 v[54:55], v[40:41], v[6:7], v[16:17]
.LBB48_480:                             ;   in Loop: Header=BB48_434 Depth=1
	s_or_b32 exec_lo, exec_lo, s38
.LBB48_481:                             ;   in Loop: Header=BB48_434 Depth=1
	s_delay_alu instid0(SALU_CYCLE_1)
	s_or_b32 exec_lo, exec_lo, s37
                                        ; implicit-def: $vgpr40_vgpr41
.LBB48_482:                             ;   in Loop: Header=BB48_434 Depth=1
	s_and_not1_saveexec_b32 s37, s1
	s_cbranch_execz .LBB48_484
; %bb.483:                              ;   in Loop: Header=BB48_434 Depth=1
	v_cmp_gt_f64_e64 s1, 0x10000000, |v[16:17]|
	v_add_f64_e32 v[6:7], 1.0, v[40:41]
	s_delay_alu instid0(VALU_DEP_2) | instskip(NEXT) | instid1(VALU_DEP_1)
	v_cndmask_b32_e64 v40, 0, 0x100, s1
	v_ldexp_f64 v[16:17], |v[16:17]|, v40
	s_delay_alu instid0(VALU_DEP_3) | instskip(NEXT) | instid1(VALU_DEP_1)
	v_mul_f64_e32 v[6:7], 0.5, v[6:7]
	v_cmp_gt_f64_e32 vcc_lo, 0x10000000, v[6:7]
	v_cndmask_b32_e64 v41, 0, 0x100, vcc_lo
	s_delay_alu instid0(VALU_DEP_1) | instskip(SKIP_1) | instid1(VALU_DEP_1)
	v_ldexp_f64 v[6:7], v[6:7], v41
	v_rsq_f64_e32 v[40:41], v[16:17]
	v_rsq_f64_e32 v[42:43], v[6:7]
	v_nop
	s_delay_alu instid0(TRANS32_DEP_1) | instskip(SKIP_1) | instid1(VALU_DEP_1)
	v_mul_f64_e32 v[46:47], v[6:7], v[42:43]
	v_mul_f64_e32 v[42:43], 0.5, v[42:43]
	v_fma_f64 v[52:53], -v[42:43], v[46:47], 0.5
	s_delay_alu instid0(VALU_DEP_1) | instskip(SKIP_1) | instid1(VALU_DEP_2)
	v_fmac_f64_e32 v[46:47], v[46:47], v[52:53]
	v_fmac_f64_e32 v[42:43], v[42:43], v[52:53]
	v_fma_f64 v[52:53], -v[46:47], v[46:47], v[6:7]
	s_delay_alu instid0(VALU_DEP_1) | instskip(NEXT) | instid1(VALU_DEP_1)
	v_fmac_f64_e32 v[46:47], v[52:53], v[42:43]
	v_fma_f64 v[52:53], -v[46:47], v[46:47], v[6:7]
	s_delay_alu instid0(VALU_DEP_1) | instskip(SKIP_3) | instid1(VALU_DEP_3)
	v_fmac_f64_e32 v[46:47], v[52:53], v[42:43]
	v_cndmask_b32_e64 v42, 0, 0xffffff80, vcc_lo
	v_cmp_class_f64_e64 vcc_lo, v[16:17], 0x260
	v_mov_b64_e32 v[52:53], 1.0
	v_ldexp_f64 v[42:43], v[46:47], v42
	s_delay_alu instid0(TRANS32_DEP_2) | instskip(SKIP_1) | instid1(VALU_DEP_1)
	v_mul_f64_e32 v[44:45], v[16:17], v[40:41]
	v_mul_f64_e32 v[40:41], 0.5, v[40:41]
	v_fma_f64 v[48:49], -v[40:41], v[44:45], 0.5
	s_delay_alu instid0(VALU_DEP_1) | instskip(SKIP_1) | instid1(VALU_DEP_2)
	v_fmac_f64_e32 v[44:45], v[44:45], v[48:49]
	v_fmac_f64_e32 v[40:41], v[40:41], v[48:49]
	v_fma_f64 v[48:49], -v[44:45], v[44:45], v[16:17]
	s_delay_alu instid0(VALU_DEP_1) | instskip(NEXT) | instid1(VALU_DEP_1)
	v_fmac_f64_e32 v[44:45], v[48:49], v[40:41]
	v_fma_f64 v[48:49], -v[44:45], v[44:45], v[16:17]
	s_delay_alu instid0(VALU_DEP_1) | instskip(SKIP_2) | instid1(VALU_DEP_2)
	v_fmac_f64_e32 v[44:45], v[48:49], v[40:41]
	v_cndmask_b32_e64 v40, 0, 0xffffff80, s1
	v_cmp_class_f64_e64 s1, v[6:7], 0x260
	v_ldexp_f64 v[40:41], v[44:45], v40
	s_delay_alu instid0(VALU_DEP_2) | instskip(NEXT) | instid1(VALU_DEP_2)
	v_dual_cndmask_b32 v7, v43, v7, s1 :: v_dual_cndmask_b32 v6, v42, v6, s1
	v_dual_cndmask_b32 v17, v41, v17 :: v_dual_cndmask_b32 v16, v40, v16
	s_delay_alu instid0(VALU_DEP_1)
	v_mul_f64_e32 v[54:55], v[16:17], v[6:7]
.LBB48_484:                             ;   in Loop: Header=BB48_434 Depth=1
	s_or_b32 exec_lo, exec_lo, s37
	s_delay_alu instid0(SALU_CYCLE_1)
	s_mov_b32 s1, exec_lo
.LBB48_485:                             ;   in Loop: Header=BB48_434 Depth=1
	s_or_b32 exec_lo, exec_lo, s36
                                        ; implicit-def: $vgpr40_vgpr41
.LBB48_486:                             ;   in Loop: Header=BB48_434 Depth=1
	s_and_not1_saveexec_b32 s2, s2
	s_cbranch_execz .LBB48_488
; %bb.487:                              ;   in Loop: Header=BB48_434 Depth=1
	v_ldexp_f64 v[54:55], v[40:41], 53
	v_ldexp_f64 v[52:53], |v[14:15]|, 53
	s_or_b32 s1, s1, exec_lo
                                        ; implicit-def: $vgpr50_vgpr51
.LBB48_488:                             ;   in Loop: Header=BB48_434 Depth=1
	s_or_b32 exec_lo, exec_lo, s2
	s_xor_b32 s1, s1, -1
	v_cmp_lt_i64_e32 vcc_lo, -1, v[14:15]
	s_and_saveexec_b32 s2, s1
	s_delay_alu instid0(SALU_CYCLE_1)
	s_xor_b32 s2, exec_lo, s2
	s_cbranch_execz .LBB48_498
; %bb.489:                              ;   in Loop: Header=BB48_434 Depth=1
	s_delay_alu instid0(VALU_DEP_4) | instskip(NEXT) | instid1(SALU_CYCLE_1)
	s_and_saveexec_b32 s1, vcc_lo
	s_xor_b32 s36, exec_lo, s1
	s_cbranch_execz .LBB48_493
; %bb.490:                              ;   in Loop: Header=BB48_434 Depth=1
	v_fma_f64 v[16:17], |v[50:51]|, -0.5, 0.5
	v_mul_f64_e32 v[6:7], v[50:51], v[50:51]
	v_cmp_ge_f64_e64 s1, |v[50:51]|, 0.5
	s_delay_alu instid0(VALU_DEP_1) | instskip(NEXT) | instid1(VALU_DEP_1)
	v_dual_cndmask_b32 v7, v7, v17, s1 :: v_dual_cndmask_b32 v6, v6, v16, s1
	v_fmamk_f64 v[14:15], v[6:7], 0x3fa059859fea6a70, v[32:33]
	s_delay_alu instid0(VALU_DEP_1) | instskip(NEXT) | instid1(VALU_DEP_1)
	v_fmaak_f64 v[14:15], v[6:7], v[14:15], 0x3f94052137024d6a
	v_fmaak_f64 v[14:15], v[6:7], v[14:15], 0x3f7ab3a098a70509
	s_delay_alu instid0(VALU_DEP_1) | instskip(NEXT) | instid1(VALU_DEP_1)
	v_fmaak_f64 v[14:15], v[6:7], v[14:15], 0x3f88ed60a300c8d2
	v_fmaak_f64 v[14:15], v[6:7], v[14:15], 0x3f8c6fa84b77012b
	;; [unrolled: 3-line block ×5, first 2 shown]
	s_delay_alu instid0(VALU_DEP_1) | instskip(NEXT) | instid1(VALU_DEP_1)
	v_mul_f64_e32 v[14:15], v[6:7], v[14:15]
	v_fma_f64 v[6:7], v[50:51], v[14:15], v[50:51]
	s_delay_alu instid0(VALU_DEP_1)
	v_fma_f64 v[6:7], s[16:17], s[14:15], -v[6:7]
	s_and_saveexec_b32 s37, s1
	s_cbranch_execz .LBB48_492
; %bb.491:                              ;   in Loop: Header=BB48_434 Depth=1
	v_rsq_f64_e32 v[6:7], v[16:17]
	v_cmp_eq_f64_e64 s1, 0, v[16:17]
	s_delay_alu instid0(TRANS32_DEP_1) | instskip(SKIP_1) | instid1(VALU_DEP_1)
	v_mul_f64_e32 v[40:41], v[16:17], v[6:7]
	v_mul_f64_e32 v[6:7], 0.5, v[6:7]
	v_fma_f64 v[42:43], -v[6:7], v[40:41], 0.5
	s_delay_alu instid0(VALU_DEP_1) | instskip(SKIP_1) | instid1(VALU_DEP_2)
	v_fmac_f64_e32 v[40:41], v[40:41], v[42:43]
	v_fmac_f64_e32 v[6:7], v[6:7], v[42:43]
	v_fma_f64 v[42:43], -v[40:41], v[40:41], v[16:17]
	s_delay_alu instid0(VALU_DEP_1) | instskip(NEXT) | instid1(VALU_DEP_1)
	v_fmac_f64_e32 v[40:41], v[42:43], v[6:7]
	v_dual_cndmask_b32 v7, v41, v17, s1 :: v_dual_cndmask_b32 v6, v40, v16, s1
	s_delay_alu instid0(VALU_DEP_1) | instskip(SKIP_1) | instid1(VALU_DEP_2)
	v_add_f64_e32 v[40:41], v[6:7], v[6:7]
	v_mul_f64_e32 v[42:43], v[6:7], v[6:7]
	v_rcp_f64_e32 v[44:45], v[40:41]
	s_delay_alu instid0(VALU_DEP_1) | instskip(SKIP_1) | instid1(VALU_DEP_2)
	v_add_f64_e64 v[46:47], v[16:17], -v[42:43]
	v_fma_f64 v[52:53], v[6:7], v[6:7], -v[42:43]
	v_add_f64_e64 v[16:17], v[16:17], -v[46:47]
	s_delay_alu instid0(TRANS32_DEP_1) | instskip(NEXT) | instid1(VALU_DEP_2)
	v_fma_f64 v[48:49], -v[40:41], v[44:45], 1.0
	v_add_f64_e64 v[16:17], v[16:17], -v[42:43]
	s_delay_alu instid0(VALU_DEP_2) | instskip(NEXT) | instid1(VALU_DEP_2)
	v_fmac_f64_e32 v[44:45], v[48:49], v[44:45]
	v_add_f64_e64 v[16:17], v[16:17], -v[52:53]
	s_delay_alu instid0(VALU_DEP_2) | instskip(NEXT) | instid1(VALU_DEP_2)
	v_fma_f64 v[42:43], -v[40:41], v[44:45], 1.0
	v_add_f64_e32 v[16:17], v[46:47], v[16:17]
	s_delay_alu instid0(VALU_DEP_2) | instskip(NEXT) | instid1(VALU_DEP_1)
	v_fmac_f64_e32 v[44:45], v[42:43], v[44:45]
	v_mul_f64_e32 v[42:43], v[16:17], v[44:45]
	s_delay_alu instid0(VALU_DEP_1) | instskip(NEXT) | instid1(VALU_DEP_1)
	v_fma_f64 v[16:17], -v[40:41], v[42:43], v[16:17]
	v_fmac_f64_e32 v[42:43], v[16:17], v[44:45]
	s_delay_alu instid0(VALU_DEP_1) | instskip(NEXT) | instid1(VALU_DEP_2)
	v_cndmask_b32_e64 v17, v43, 0, s1
	v_cndmask_b32_e64 v16, v42, 0, s1
	v_cmp_neq_f64_e64 s1, 1.0, v[50:51]
	s_delay_alu instid0(VALU_DEP_2) | instskip(NEXT) | instid1(VALU_DEP_1)
	v_add_f64_e32 v[40:41], v[6:7], v[16:17]
	v_add_f64_e64 v[6:7], v[40:41], -v[6:7]
	s_delay_alu instid0(VALU_DEP_1) | instskip(NEXT) | instid1(VALU_DEP_1)
	v_add_f64_e64 v[6:7], v[16:17], -v[6:7]
	v_fmac_f64_e32 v[6:7], v[40:41], v[14:15]
	s_delay_alu instid0(VALU_DEP_1) | instskip(NEXT) | instid1(VALU_DEP_1)
	v_add_f64_e32 v[6:7], v[40:41], v[6:7]
	v_add_f64_e32 v[6:7], v[6:7], v[6:7]
	s_delay_alu instid0(VALU_DEP_1)
	v_dual_cndmask_b32 v7, 0, v7, s1 :: v_dual_cndmask_b32 v6, 0, v6, s1
.LBB48_492:                             ;   in Loop: Header=BB48_434 Depth=1
	s_or_b32 exec_lo, exec_lo, s37
                                        ; implicit-def: $vgpr50_vgpr51
.LBB48_493:                             ;   in Loop: Header=BB48_434 Depth=1
	s_and_not1_saveexec_b32 s36, s36
	s_cbranch_execz .LBB48_497
; %bb.494:                              ;   in Loop: Header=BB48_434 Depth=1
	v_fma_f64 v[16:17], |v[50:51]|, -0.5, 0.5
	v_mul_f64_e32 v[6:7], v[50:51], v[50:51]
	v_cmp_ge_f64_e64 s1, |v[50:51]|, 0.5
	s_delay_alu instid0(VALU_DEP_1) | instskip(NEXT) | instid1(VALU_DEP_1)
	v_dual_cndmask_b32 v7, v7, v17, s1 :: v_dual_cndmask_b32 v6, v6, v16, s1
	v_fmamk_f64 v[14:15], v[6:7], 0x3fa059859fea6a70, v[32:33]
	s_delay_alu instid0(VALU_DEP_1) | instskip(NEXT) | instid1(VALU_DEP_1)
	v_fmaak_f64 v[14:15], v[6:7], v[14:15], 0x3f94052137024d6a
	v_fmaak_f64 v[14:15], v[6:7], v[14:15], 0x3f7ab3a098a70509
	s_delay_alu instid0(VALU_DEP_1) | instskip(NEXT) | instid1(VALU_DEP_1)
	v_fmaak_f64 v[14:15], v[6:7], v[14:15], 0x3f88ed60a300c8d2
	v_fmaak_f64 v[14:15], v[6:7], v[14:15], 0x3f8c6fa84b77012b
	;; [unrolled: 3-line block ×5, first 2 shown]
	s_delay_alu instid0(VALU_DEP_1) | instskip(NEXT) | instid1(VALU_DEP_1)
	v_mul_f64_e32 v[14:15], v[6:7], v[14:15]
	v_fma_f64 v[6:7], -v[50:51], v[14:15], -v[50:51]
	s_delay_alu instid0(VALU_DEP_1)
	v_fma_f64 v[6:7], s[16:17], s[14:15], -v[6:7]
	s_and_saveexec_b32 s37, s1
	s_cbranch_execz .LBB48_496
; %bb.495:                              ;   in Loop: Header=BB48_434 Depth=1
	v_rsq_f64_e32 v[6:7], v[16:17]
	v_cmp_eq_f64_e64 s1, 0, v[16:17]
	s_delay_alu instid0(TRANS32_DEP_1) | instskip(SKIP_1) | instid1(VALU_DEP_1)
	v_mul_f64_e32 v[40:41], v[16:17], v[6:7]
	v_mul_f64_e32 v[6:7], 0.5, v[6:7]
	v_fma_f64 v[42:43], -v[6:7], v[40:41], 0.5
	s_delay_alu instid0(VALU_DEP_1) | instskip(SKIP_1) | instid1(VALU_DEP_2)
	v_fmac_f64_e32 v[40:41], v[40:41], v[42:43]
	v_fmac_f64_e32 v[6:7], v[6:7], v[42:43]
	v_fma_f64 v[42:43], -v[40:41], v[40:41], v[16:17]
	s_delay_alu instid0(VALU_DEP_1) | instskip(NEXT) | instid1(VALU_DEP_1)
	v_fmac_f64_e32 v[40:41], v[42:43], v[6:7]
	v_dual_cndmask_b32 v7, v41, v17, s1 :: v_dual_cndmask_b32 v6, v40, v16, s1
	s_delay_alu instid0(VALU_DEP_1) | instskip(SKIP_1) | instid1(VALU_DEP_2)
	v_add_f64_e32 v[40:41], v[6:7], v[6:7]
	v_mul_f64_e32 v[42:43], v[6:7], v[6:7]
	v_rcp_f64_e32 v[44:45], v[40:41]
	s_delay_alu instid0(VALU_DEP_1) | instskip(SKIP_1) | instid1(VALU_DEP_2)
	v_add_f64_e64 v[46:47], v[16:17], -v[42:43]
	v_fma_f64 v[52:53], v[6:7], v[6:7], -v[42:43]
	v_add_f64_e64 v[16:17], v[16:17], -v[46:47]
	s_delay_alu instid0(TRANS32_DEP_1) | instskip(NEXT) | instid1(VALU_DEP_2)
	v_fma_f64 v[48:49], -v[40:41], v[44:45], 1.0
	v_add_f64_e64 v[16:17], v[16:17], -v[42:43]
	s_delay_alu instid0(VALU_DEP_2) | instskip(NEXT) | instid1(VALU_DEP_2)
	v_fmac_f64_e32 v[44:45], v[48:49], v[44:45]
	v_add_f64_e64 v[16:17], v[16:17], -v[52:53]
	s_delay_alu instid0(VALU_DEP_2) | instskip(NEXT) | instid1(VALU_DEP_2)
	v_fma_f64 v[42:43], -v[40:41], v[44:45], 1.0
	v_add_f64_e32 v[16:17], v[46:47], v[16:17]
	s_delay_alu instid0(VALU_DEP_2) | instskip(NEXT) | instid1(VALU_DEP_1)
	v_fmac_f64_e32 v[44:45], v[42:43], v[44:45]
	v_mul_f64_e32 v[42:43], v[16:17], v[44:45]
	s_delay_alu instid0(VALU_DEP_1) | instskip(NEXT) | instid1(VALU_DEP_1)
	v_fma_f64 v[16:17], -v[40:41], v[42:43], v[16:17]
	v_fmac_f64_e32 v[42:43], v[16:17], v[44:45]
	s_delay_alu instid0(VALU_DEP_1) | instskip(NEXT) | instid1(VALU_DEP_2)
	v_cndmask_b32_e64 v17, v43, 0, s1
	v_cndmask_b32_e64 v16, v42, 0, s1
	v_cmp_lt_f64_e64 s1, 0, v[50:51]
	s_delay_alu instid0(VALU_DEP_2) | instskip(NEXT) | instid1(VALU_DEP_1)
	v_add_f64_e32 v[40:41], v[6:7], v[16:17]
	v_add_f64_e64 v[6:7], v[40:41], -v[6:7]
	s_delay_alu instid0(VALU_DEP_1) | instskip(SKIP_1) | instid1(VALU_DEP_2)
	v_add_f64_e64 v[6:7], v[16:17], -v[6:7]
	v_fma_f64 v[16:17], v[40:41], v[14:15], v[40:41]
	v_fmac_f64_e32 v[6:7], v[40:41], v[14:15]
	s_delay_alu instid0(VALU_DEP_2) | instskip(NEXT) | instid1(VALU_DEP_2)
	v_mul_f64_e32 v[14:15], -2.0, v[16:17]
	v_add_f64_e32 v[6:7], v[40:41], v[6:7]
	s_delay_alu instid0(VALU_DEP_2) | instskip(NEXT) | instid1(VALU_DEP_2)
	v_fmac_f64_e64 v[14:15], s[18:19], s[14:15]
	v_add_f64_e32 v[6:7], v[6:7], v[6:7]
	s_delay_alu instid0(VALU_DEP_1) | instskip(SKIP_1) | instid1(VALU_DEP_1)
	v_dual_cndmask_b32 v6, v6, v14, s1 :: v_dual_cndmask_b32 v7, v7, v15, s1
	v_cmp_neq_f64_e64 s1, 1.0, v[50:51]
	v_cndmask_b32_e64 v7, 0x400921fb, v7, s1
	s_delay_alu instid0(VALU_DEP_3)
	v_cndmask_b32_e64 v6, 0x54442d18, v6, s1
.LBB48_496:                             ;   in Loop: Header=BB48_434 Depth=1
	s_or_b32 exec_lo, exec_lo, s37
.LBB48_497:                             ;   in Loop: Header=BB48_434 Depth=1
	s_delay_alu instid0(SALU_CYCLE_1)
	s_or_b32 exec_lo, exec_lo, s36
                                        ; implicit-def: $vgpr52_vgpr53
                                        ; implicit-def: $vgpr54_vgpr55
.LBB48_498:                             ;   in Loop: Header=BB48_434 Depth=1
	s_and_not1_saveexec_b32 s36, s2
	s_cbranch_execz .LBB48_504
; %bb.499:                              ;   in Loop: Header=BB48_434 Depth=1
	s_delay_alu instid0(VALU_DEP_4) | instskip(NEXT) | instid1(SALU_CYCLE_1)
	s_and_saveexec_b32 s1, vcc_lo
	s_xor_b32 s37, exec_lo, s1
	s_cbranch_execz .LBB48_501
; %bb.500:                              ;   in Loop: Header=BB48_434 Depth=1
	s_delay_alu instid0(VALU_DEP_2) | instskip(NEXT) | instid1(VALU_DEP_3)
	v_max_num_f64_e64 v[6:7], |v[54:55]|, |v[54:55]|
	v_max_num_f64_e32 v[14:15], v[52:53], v[52:53]
	v_cmp_eq_f64_e64 s1, 0, v[54:55]
	v_cmp_class_f64_e64 s38, v[54:55], 0x204
	v_cmp_eq_f64_e64 s2, 0x7ff00000, v[52:53]
	s_delay_alu instid0(VALU_DEP_4) | instskip(SKIP_1) | instid1(VALU_DEP_1)
	v_max_num_f64_e32 v[16:17], v[14:15], v[6:7]
	v_min_num_f64_e32 v[6:7], v[14:15], v[6:7]
	v_div_scale_f64 v[14:15], null, v[16:17], v[16:17], v[6:7]
	v_div_scale_f64 v[44:45], vcc_lo, v[6:7], v[16:17], v[6:7]
	s_delay_alu instid0(VALU_DEP_2) | instskip(SKIP_1) | instid1(TRANS32_DEP_1)
	v_rcp_f64_e32 v[40:41], v[14:15]
	v_nop
	v_fma_f64 v[42:43], -v[14:15], v[40:41], 1.0
	s_delay_alu instid0(VALU_DEP_1) | instskip(NEXT) | instid1(VALU_DEP_1)
	v_fmac_f64_e32 v[40:41], v[40:41], v[42:43]
	v_fma_f64 v[42:43], -v[14:15], v[40:41], 1.0
	s_delay_alu instid0(VALU_DEP_1) | instskip(NEXT) | instid1(VALU_DEP_1)
	v_fmac_f64_e32 v[40:41], v[40:41], v[42:43]
	v_mul_f64_e32 v[42:43], v[44:45], v[40:41]
	s_delay_alu instid0(VALU_DEP_1) | instskip(NEXT) | instid1(VALU_DEP_1)
	v_fma_f64 v[14:15], -v[14:15], v[42:43], v[44:45]
	v_div_fmas_f64 v[14:15], v[14:15], v[40:41], v[42:43]
	v_cmp_lt_f64_e64 vcc_lo, v[52:53], |v[54:55]|
	s_delay_alu instid0(VALU_DEP_2) | instskip(NEXT) | instid1(VALU_DEP_1)
	v_div_fixup_f64 v[6:7], v[14:15], v[16:17], v[6:7]
	v_mul_f64_e32 v[14:15], v[6:7], v[6:7]
	s_delay_alu instid0(VALU_DEP_1) | instskip(NEXT) | instid1(VALU_DEP_1)
	v_fmamk_f64 v[16:17], v[14:15], 0x3eeba404b5e68a13, v[36:37]
	v_fmaak_f64 v[16:17], v[14:15], v[16:17], 0x3f4b2bb069efb384
	s_delay_alu instid0(VALU_DEP_1) | instskip(NEXT) | instid1(VALU_DEP_1)
	v_fmaak_f64 v[16:17], v[14:15], v[16:17], 0xbf67952daf56de9b
	v_fmaak_f64 v[16:17], v[14:15], v[16:17], 0x3f7d6d43a595c56f
	s_delay_alu instid0(VALU_DEP_1) | instskip(NEXT) | instid1(VALU_DEP_1)
	v_fmaak_f64 v[16:17], v[14:15], v[16:17], 0xbf8c6ea4a57d9582
	;; [unrolled: 3-line block ×9, first 2 shown]
	v_mul_f64_e32 v[14:15], v[14:15], v[16:17]
	v_ashrrev_i32_e32 v16, 31, v53
	s_delay_alu instid0(VALU_DEP_1) | instskip(NEXT) | instid1(VALU_DEP_3)
	v_and_b32_e32 v40, 0x54442d18, v16
	v_fmac_f64_e32 v[6:7], v[6:7], v[14:15]
	s_delay_alu instid0(VALU_DEP_1) | instskip(NEXT) | instid1(VALU_DEP_1)
	v_add_f64_e64 v[14:15], -v[6:7], s[20:21]
	v_dual_cndmask_b32 v7, v7, v15 :: v_dual_cndmask_b32 v6, v6, v14
	v_cmp_gt_i32_e32 vcc_lo, 0, v53
                                        ; implicit-def: $vgpr52_vgpr53
	s_delay_alu instid0(VALU_DEP_2) | instskip(SKIP_1) | instid1(VALU_DEP_2)
	v_add_f64_e64 v[14:15], -v[6:7], s[22:23]
	v_cndmask_b32_e32 v17, 0x54442d18, v57, vcc_lo
	v_dual_cndmask_b32 v7, v7, v15 :: v_dual_cndmask_b32 v6, v6, v14
	v_and_b32_e32 v14, 0x400921fb, v16
	v_cndmask_b32_e32 v15, 0x3fe921fb, v58, vcc_lo
	s_and_b32 vcc_lo, s2, s38
	s_delay_alu instid0(VALU_DEP_2) | instskip(NEXT) | instid1(VALU_DEP_1)
	v_dual_cndmask_b32 v7, v7, v14, s1 :: v_dual_cndmask_b32 v6, v6, v40, s1
	v_dual_cndmask_b32 v7, v7, v15 :: v_dual_cndmask_b32 v6, v6, v17
	v_cmp_o_f64_e32 vcc_lo, v[54:55], v[54:55]
	s_delay_alu instid0(VALU_DEP_2) | instskip(NEXT) | instid1(VALU_DEP_3)
	v_cndmask_b32_e32 v7, 0x7ff80000, v7, vcc_lo
	v_cndmask_b32_e32 v6, 0, v6, vcc_lo
	s_delay_alu instid0(VALU_DEP_2)
	v_bfi_b32 v7, 0x7fffffff, v7, v55
                                        ; implicit-def: $vgpr54_vgpr55
.LBB48_501:                             ;   in Loop: Header=BB48_434 Depth=1
	s_and_not1_saveexec_b32 s37, s37
	s_cbranch_execz .LBB48_503
; %bb.502:                              ;   in Loop: Header=BB48_434 Depth=1
	s_delay_alu instid0(VALU_DEP_2) | instskip(NEXT) | instid1(VALU_DEP_3)
	v_max_num_f64_e64 v[6:7], |v[54:55]|, |v[54:55]|
	v_max_num_f64_e32 v[14:15], v[52:53], v[52:53]
	v_cmp_eq_f64_e64 s1, 0, v[54:55]
	v_cmp_class_f64_e64 s38, v[54:55], 0x204
	v_cmp_eq_f64_e64 s2, 0x7ff00000, v[52:53]
	s_delay_alu instid0(VALU_DEP_4) | instskip(SKIP_1) | instid1(VALU_DEP_1)
	v_max_num_f64_e32 v[16:17], v[14:15], v[6:7]
	v_min_num_f64_e32 v[6:7], v[14:15], v[6:7]
	v_div_scale_f64 v[14:15], null, v[16:17], v[16:17], v[6:7]
	v_div_scale_f64 v[44:45], vcc_lo, v[6:7], v[16:17], v[6:7]
	s_delay_alu instid0(VALU_DEP_2) | instskip(SKIP_1) | instid1(TRANS32_DEP_1)
	v_rcp_f64_e32 v[40:41], v[14:15]
	v_nop
	v_fma_f64 v[42:43], -v[14:15], v[40:41], 1.0
	s_delay_alu instid0(VALU_DEP_1) | instskip(NEXT) | instid1(VALU_DEP_1)
	v_fmac_f64_e32 v[40:41], v[40:41], v[42:43]
	v_fma_f64 v[42:43], -v[14:15], v[40:41], 1.0
	s_delay_alu instid0(VALU_DEP_1) | instskip(NEXT) | instid1(VALU_DEP_1)
	v_fmac_f64_e32 v[40:41], v[40:41], v[42:43]
	v_mul_f64_e32 v[42:43], v[44:45], v[40:41]
	s_delay_alu instid0(VALU_DEP_1) | instskip(NEXT) | instid1(VALU_DEP_1)
	v_fma_f64 v[14:15], -v[14:15], v[42:43], v[44:45]
	v_div_fmas_f64 v[14:15], v[14:15], v[40:41], v[42:43]
	v_cmp_lt_f64_e64 vcc_lo, v[52:53], |v[54:55]|
	s_delay_alu instid0(VALU_DEP_2) | instskip(NEXT) | instid1(VALU_DEP_1)
	v_div_fixup_f64 v[6:7], v[14:15], v[16:17], v[6:7]
	v_mul_f64_e32 v[14:15], v[6:7], v[6:7]
	s_delay_alu instid0(VALU_DEP_1) | instskip(NEXT) | instid1(VALU_DEP_1)
	v_fmamk_f64 v[16:17], v[14:15], 0x3eeba404b5e68a13, v[36:37]
	v_fmaak_f64 v[16:17], v[14:15], v[16:17], 0x3f4b2bb069efb384
	s_delay_alu instid0(VALU_DEP_1) | instskip(NEXT) | instid1(VALU_DEP_1)
	v_fmaak_f64 v[16:17], v[14:15], v[16:17], 0xbf67952daf56de9b
	v_fmaak_f64 v[16:17], v[14:15], v[16:17], 0x3f7d6d43a595c56f
	s_delay_alu instid0(VALU_DEP_1) | instskip(NEXT) | instid1(VALU_DEP_1)
	v_fmaak_f64 v[16:17], v[14:15], v[16:17], 0xbf8c6ea4a57d9582
	;; [unrolled: 3-line block ×9, first 2 shown]
	v_mul_f64_e32 v[14:15], v[14:15], v[16:17]
	v_xor_b32_e32 v16, 0x80000000, v53
	s_delay_alu instid0(VALU_DEP_1) | instskip(NEXT) | instid1(VALU_DEP_1)
	v_ashrrev_i32_e32 v17, 31, v16
	v_and_b32_e32 v40, 0x54442d18, v17
	s_delay_alu instid0(VALU_DEP_4) | instskip(NEXT) | instid1(VALU_DEP_1)
	v_fmac_f64_e32 v[6:7], v[6:7], v[14:15]
	v_add_f64_e64 v[14:15], -v[6:7], s[20:21]
	s_delay_alu instid0(VALU_DEP_1) | instskip(SKIP_1) | instid1(VALU_DEP_2)
	v_dual_cndmask_b32 v7, v7, v15 :: v_dual_cndmask_b32 v6, v6, v14
	v_cmp_gt_i32_e32 vcc_lo, 0, v16
	v_add_f64_e64 v[14:15], -v[6:7], s[22:23]
	v_cndmask_b32_e32 v16, 0x54442d18, v57, vcc_lo
	s_delay_alu instid0(VALU_DEP_2) | instskip(SKIP_3) | instid1(VALU_DEP_2)
	v_dual_cndmask_b32 v7, v7, v15 :: v_dual_cndmask_b32 v6, v6, v14
	v_and_b32_e32 v14, 0x400921fb, v17
	v_cndmask_b32_e32 v15, 0x3fe921fb, v58, vcc_lo
	s_and_b32 vcc_lo, s2, s38
	v_dual_cndmask_b32 v7, v7, v14, s1 :: v_dual_cndmask_b32 v6, v6, v40, s1
	s_delay_alu instid0(VALU_DEP_1) | instskip(SKIP_1) | instid1(VALU_DEP_2)
	v_dual_cndmask_b32 v7, v7, v15 :: v_dual_cndmask_b32 v6, v6, v16
	v_cmp_o_f64_e32 vcc_lo, v[54:55], v[54:55]
	v_cndmask_b32_e32 v7, 0x7ff80000, v7, vcc_lo
	s_delay_alu instid0(VALU_DEP_3) | instskip(NEXT) | instid1(VALU_DEP_2)
	v_cndmask_b32_e32 v6, 0, v6, vcc_lo
	v_bfi_b32 v7, 0x7fffffff, v7, v55
.LBB48_503:                             ;   in Loop: Header=BB48_434 Depth=1
	s_or_b32 exec_lo, exec_lo, s37
.LBB48_504:                             ;   in Loop: Header=BB48_434 Depth=1
	s_delay_alu instid0(SALU_CYCLE_1) | instskip(SKIP_1) | instid1(VALU_DEP_1)
	s_or_b32 exec_lo, exec_lo, s36
	v_xor_b32_e32 v14, 0x80000000, v9
	v_cndmask_b32_e64 v9, v14, v9, s0
                                        ; implicit-def: $vgpr14_vgpr15
.LBB48_505:                             ;   in Loop: Header=BB48_434 Depth=1
	s_and_not1_saveexec_b32 s1, s35
	s_cbranch_execz .LBB48_507
; %bb.506:                              ;   in Loop: Header=BB48_434 Depth=1
	s_wait_dscnt 0x0
	flat_load_b64 v[6:7], v[26:27] scope:SCOPE_SYS
	s_wait_loadcnt_dscnt 0x0
	v_add_f64_e64 v[6:7], v[6:7], -v[14:15]
	s_delay_alu instid0(VALU_DEP_1)
	v_add_f64_e32 v[6:7], 0x3ff921fb54442d18, v[6:7]
.LBB48_507:                             ;   in Loop: Header=BB48_434 Depth=1
	s_or_b32 exec_lo, exec_lo, s1
.LBB48_508:                             ;   in Loop: Header=BB48_434 Depth=1
	s_and_not1_saveexec_b32 s1, s34
	s_cbranch_execz .LBB48_510
; %bb.509:                              ;   in Loop: Header=BB48_434 Depth=1
	s_wait_dscnt 0x0
	v_mov_b64_e32 v[6:7], 0
.LBB48_510:                             ;   in Loop: Header=BB48_434 Depth=1
	s_or_b32 exec_lo, exec_lo, s1
                                        ; implicit-def: $vgpr14_vgpr15
                                        ; implicit-def: $vgpr42_vgpr43
                                        ; implicit-def: $vgpr44_vgpr45
                                        ; implicit-def: $vgpr40_vgpr41
.LBB48_511:                             ;   in Loop: Header=BB48_434 Depth=1
	s_and_not1_saveexec_b32 s33, s33
	s_cbranch_execz .LBB48_521
; %bb.512:                              ;   in Loop: Header=BB48_434 Depth=1
	v_cmp_lt_f64_e64 s1, |v[14:15]|, |v[16:17]|
	v_and_b32_e32 v48, 0x7fffffff, v15
	v_and_b32_e32 v49, 0x7fffffff, v17
                                        ; implicit-def: $sgpr34
                                        ; implicit-def: $vgpr8_vgpr9
                                        ; implicit-def: $vgpr6_vgpr7
	s_mov_b32 s2, exec_lo
	s_delay_alu instid0(VALU_DEP_1) | instskip(NEXT) | instid1(VALU_DEP_1)
	v_dual_cndmask_b32 v47, v48, v49, s1 :: v_dual_cndmask_b32 v46, v14, v16, s1
	v_cmpx_nlt_f64_e32 s[24:25], v[46:47]
	s_xor_b32 s35, exec_lo, s2
	s_cbranch_execz .LBB48_518
; %bb.513:                              ;   in Loop: Header=BB48_434 Depth=1
	v_dual_cndmask_b32 v49, v49, v48, s1 :: v_dual_cndmask_b32 v48, v16, v14, s1
	v_cmp_nlt_f64_e32 vcc_lo, 0x20200000, v[46:47]
                                        ; implicit-def: $sgpr34
                                        ; implicit-def: $vgpr8_vgpr9
                                        ; implicit-def: $vgpr6_vgpr7
	s_delay_alu instid0(VALU_DEP_2) | instskip(SKIP_1) | instid1(SALU_CYCLE_1)
	v_cmp_ngt_f64_e64 s2, 0x20000000, v[48:49]
	s_and_b32 s2, vcc_lo, s2
	s_and_saveexec_b32 s36, s2
	s_delay_alu instid0(SALU_CYCLE_1)
	s_xor_b32 s2, exec_lo, s36
	s_cbranch_execz .LBB48_515
; %bb.514:                              ;   in Loop: Header=BB48_434 Depth=1
	v_mul_f64_e32 v[8:9], v[48:49], v[48:49]
	v_min_num_f64_e32 v[42:43], v[42:43], v[44:45]
	v_cmp_class_f64_e64 s34, v[16:17], 0x204
	v_cmp_class_f64_e64 s36, v[14:15], 0x204
	s_delay_alu instid0(VALU_DEP_4) | instskip(SKIP_2) | instid1(VALU_DEP_1)
	v_fmac_f64_e32 v[8:9], v[46:47], v[46:47]
	s_and_b32 s34, s36, s34
	s_wait_dscnt 0x0
	v_frexp_mant_f64_e32 v[6:7], v[8:9]
	s_delay_alu instid0(VALU_DEP_1) | instskip(SKIP_1) | instid1(VALU_DEP_1)
	v_cmp_gt_f64_e32 vcc_lo, s[6:7], v[6:7]
	v_cndmask_b32_e64 v46, 0, 1, vcc_lo
	v_ldexp_f64 v[6:7], v[6:7], v46
	s_delay_alu instid0(VALU_DEP_1) | instskip(SKIP_1) | instid1(VALU_DEP_2)
	v_add_f64_e32 v[46:47], 1.0, v[6:7]
	v_add_f64_e32 v[52:53], -1.0, v[6:7]
	v_rcp_f64_e32 v[48:49], v[46:47]
	v_add_f64_e32 v[54:55], -1.0, v[46:47]
	s_delay_alu instid0(VALU_DEP_1) | instskip(NEXT) | instid1(TRANS32_DEP_1)
	v_add_f64_e64 v[6:7], v[6:7], -v[54:55]
	v_fma_f64 v[50:51], -v[46:47], v[48:49], 1.0
	s_delay_alu instid0(VALU_DEP_1) | instskip(NEXT) | instid1(VALU_DEP_1)
	v_fmac_f64_e32 v[48:49], v[50:51], v[48:49]
	v_fma_f64 v[50:51], -v[46:47], v[48:49], 1.0
	s_delay_alu instid0(VALU_DEP_1) | instskip(NEXT) | instid1(VALU_DEP_1)
	v_fmac_f64_e32 v[48:49], v[50:51], v[48:49]
	v_mul_f64_e32 v[50:51], v[52:53], v[48:49]
	s_delay_alu instid0(VALU_DEP_1) | instskip(NEXT) | instid1(VALU_DEP_1)
	v_mul_f64_e32 v[60:61], v[46:47], v[50:51]
	v_fma_f64 v[46:47], v[50:51], v[46:47], -v[60:61]
	s_delay_alu instid0(VALU_DEP_1) | instskip(NEXT) | instid1(VALU_DEP_1)
	v_fmac_f64_e32 v[46:47], v[50:51], v[6:7]
	v_add_f64_e32 v[6:7], v[60:61], v[46:47]
	s_delay_alu instid0(VALU_DEP_1) | instskip(SKIP_1) | instid1(VALU_DEP_2)
	v_add_f64_e64 v[54:55], v[52:53], -v[6:7]
	v_add_f64_e64 v[60:61], v[6:7], -v[60:61]
	v_add_f64_e64 v[52:53], v[52:53], -v[54:55]
	s_delay_alu instid0(VALU_DEP_2) | instskip(NEXT) | instid1(VALU_DEP_2)
	v_add_f64_e64 v[46:47], v[60:61], -v[46:47]
	v_add_f64_e64 v[6:7], v[52:53], -v[6:7]
	s_delay_alu instid0(VALU_DEP_1) | instskip(NEXT) | instid1(VALU_DEP_1)
	v_add_f64_e32 v[6:7], v[46:47], v[6:7]
	v_add_f64_e32 v[6:7], v[54:55], v[6:7]
	s_delay_alu instid0(VALU_DEP_1) | instskip(NEXT) | instid1(VALU_DEP_1)
	v_mul_f64_e32 v[6:7], v[48:49], v[6:7]
	v_add_f64_e32 v[46:47], v[50:51], v[6:7]
	s_delay_alu instid0(VALU_DEP_1) | instskip(SKIP_1) | instid1(VALU_DEP_2)
	v_mul_f64_e32 v[48:49], v[46:47], v[46:47]
	v_ldexp_f64 v[44:45], v[46:47], 1
	v_fmamk_f64 v[52:53], v[48:49], 0x3fc3ab76bf559e2b, v[28:29]
	v_mul_f64_e32 v[54:55], v[46:47], v[48:49]
	v_add_f64_e64 v[46:47], v[46:47], -v[50:51]
	s_delay_alu instid0(VALU_DEP_3) | instskip(NEXT) | instid1(VALU_DEP_1)
	v_fmaak_f64 v[52:53], v[48:49], v[52:53], 0x3fc7474dd7f4df2e
	v_fmaak_f64 v[52:53], v[48:49], v[52:53], 0x3fcc71c016291751
	s_delay_alu instid0(VALU_DEP_1) | instskip(NEXT) | instid1(VALU_DEP_1)
	v_fmaak_f64 v[52:53], v[48:49], v[52:53], 0x3fd249249b27acf1
	v_fmaak_f64 v[52:53], v[48:49], v[52:53], 0x3fd99999998ef7b6
	v_add_f64_e64 v[6:7], v[6:7], -v[46:47]
	s_delay_alu instid0(VALU_DEP_2) | instskip(SKIP_1) | instid1(VALU_DEP_2)
	v_fmaak_f64 v[48:49], v[48:49], v[52:53], 0x3fe5555555555780
	v_frexp_exp_i32_f64_e32 v52, v[8:9]
	v_mul_f64_e32 v[48:49], v[54:55], v[48:49]
	s_delay_alu instid0(VALU_DEP_4) | instskip(NEXT) | instid1(VALU_DEP_3)
	v_ldexp_f64 v[6:7], v[6:7], 1
	v_subrev_co_ci_u32_e64 v54, null, 0, v52, vcc_lo
	v_div_scale_f64 v[52:53], null, v[40:41], v[40:41], v[42:43]
	v_div_scale_f64 v[66:67], vcc_lo, v[42:43], v[40:41], v[42:43]
	s_delay_alu instid0(VALU_DEP_3) | instskip(SKIP_1) | instid1(VALU_DEP_4)
	v_cvt_f64_i32_e32 v[54:55], v54
	v_add_f64_e32 v[50:51], v[44:45], v[48:49]
	v_rcp_f64_e32 v[60:61], v[52:53]
	s_delay_alu instid0(VALU_DEP_2) | instskip(NEXT) | instid1(VALU_DEP_2)
	v_mul_f64_e32 v[62:63], 0x3fe62e42fefa39ef, v[54:55]
	v_add_f64_e64 v[44:45], v[50:51], -v[44:45]
	s_delay_alu instid0(VALU_DEP_2) | instskip(NEXT) | instid1(VALU_DEP_2)
	v_fma_f64 v[46:47], v[54:55], s[8:9], -v[62:63]
	v_add_f64_e64 v[44:45], v[48:49], -v[44:45]
	s_delay_alu instid0(TRANS32_DEP_1) | instskip(NEXT) | instid1(VALU_DEP_3)
	v_fma_f64 v[48:49], -v[52:53], v[60:61], 1.0
	v_fmac_f64_e32 v[46:47], 0x3c7abc9e3b39803f, v[54:55]
	s_delay_alu instid0(VALU_DEP_3) | instskip(NEXT) | instid1(VALU_DEP_3)
	v_add_f64_e32 v[6:7], v[6:7], v[44:45]
	v_fmac_f64_e32 v[60:61], v[60:61], v[48:49]
	s_delay_alu instid0(VALU_DEP_3) | instskip(NEXT) | instid1(VALU_DEP_3)
	v_add_f64_e32 v[44:45], v[62:63], v[46:47]
	v_add_f64_e32 v[48:49], v[50:51], v[6:7]
	s_delay_alu instid0(VALU_DEP_3) | instskip(NEXT) | instid1(VALU_DEP_3)
	v_fma_f64 v[54:55], -v[52:53], v[60:61], 1.0
	v_add_f64_e64 v[62:63], v[44:45], -v[62:63]
	s_delay_alu instid0(VALU_DEP_3) | instskip(NEXT) | instid1(VALU_DEP_3)
	v_add_f64_e32 v[64:65], v[44:45], v[48:49]
	v_fmac_f64_e32 v[60:61], v[60:61], v[54:55]
	v_add_f64_e64 v[50:51], v[48:49], -v[50:51]
	s_delay_alu instid0(VALU_DEP_4) | instskip(NEXT) | instid1(VALU_DEP_4)
	v_add_f64_e64 v[46:47], v[46:47], -v[62:63]
	v_add_f64_e64 v[54:55], v[64:65], -v[44:45]
	s_delay_alu instid0(VALU_DEP_4) | instskip(NEXT) | instid1(VALU_DEP_4)
	v_mul_f64_e32 v[68:69], v[66:67], v[60:61]
	v_add_f64_e64 v[50:51], v[6:7], -v[50:51]
	s_delay_alu instid0(VALU_DEP_3) | instskip(NEXT) | instid1(VALU_DEP_3)
	v_add_f64_e64 v[70:71], v[64:65], -v[54:55]
	v_fma_f64 v[52:53], -v[52:53], v[68:69], v[66:67]
	v_add_f64_e64 v[6:7], v[48:49], -v[54:55]
	s_delay_alu instid0(VALU_DEP_3) | instskip(NEXT) | instid1(VALU_DEP_3)
	v_add_f64_e64 v[44:45], v[44:45], -v[70:71]
	v_div_fmas_f64 v[48:49], v[52:53], v[60:61], v[68:69]
	v_add_f64_e32 v[52:53], v[46:47], v[50:51]
	v_cmp_class_f64_e64 vcc_lo, v[8:9], 0x204
	s_delay_alu instid0(VALU_DEP_4) | instskip(NEXT) | instid1(VALU_DEP_4)
	v_add_f64_e32 v[44:45], v[6:7], v[44:45]
	v_div_fixup_f64 v[6:7], v[48:49], v[40:41], v[42:43]
	s_delay_alu instid0(VALU_DEP_4) | instskip(NEXT) | instid1(VALU_DEP_3)
	v_add_f64_e64 v[40:41], v[52:53], -v[46:47]
	v_add_f64_e32 v[42:43], v[52:53], v[44:45]
	s_delay_alu instid0(VALU_DEP_3) | instskip(NEXT) | instid1(VALU_DEP_3)
	v_mul_f64_e32 v[44:45], v[6:7], v[6:7]
	v_add_f64_e64 v[48:49], v[52:53], -v[40:41]
	v_add_f64_e64 v[40:41], v[50:51], -v[40:41]
	s_delay_alu instid0(VALU_DEP_4) | instskip(NEXT) | instid1(VALU_DEP_4)
	v_add_f64_e32 v[52:53], v[64:65], v[42:43]
	v_fmamk_f64 v[54:55], v[44:45], 0x3eeba404b5e68a13, v[36:37]
	s_delay_alu instid0(VALU_DEP_4) | instskip(NEXT) | instid1(VALU_DEP_2)
	v_add_f64_e64 v[46:47], v[46:47], -v[48:49]
	v_fmaak_f64 v[54:55], v[44:45], v[54:55], 0x3f4b2bb069efb384
	s_delay_alu instid0(VALU_DEP_1) | instskip(NEXT) | instid1(VALU_DEP_1)
	v_fmaak_f64 v[54:55], v[44:45], v[54:55], 0xbf67952daf56de9b
	v_fmaak_f64 v[54:55], v[44:45], v[54:55], 0x3f7d6d43a595c56f
	s_delay_alu instid0(VALU_DEP_1) | instskip(SKIP_2) | instid1(VALU_DEP_3)
	v_fmaak_f64 v[50:51], v[44:45], v[54:55], 0xbf8c6ea4a57d9582
	v_add_f64_e64 v[48:49], v[52:53], -v[64:65]
	v_add_f64_e32 v[40:41], v[40:41], v[46:47]
	v_fmaak_f64 v[50:51], v[44:45], v[50:51], 0x3f967e295f08b19f
	s_delay_alu instid0(VALU_DEP_1) | instskip(NEXT) | instid1(VALU_DEP_1)
	v_fmaak_f64 v[50:51], v[44:45], v[50:51], 0xbf9e9ae6fc27006a
	v_fmaak_f64 v[50:51], v[44:45], v[50:51], 0x3fa2c15b5711927a
	s_delay_alu instid0(VALU_DEP_1) | instskip(NEXT) | instid1(VALU_DEP_1)
	v_fmaak_f64 v[50:51], v[44:45], v[50:51], 0xbfa59976e82d3ff0
	v_fmaak_f64 v[46:47], v[44:45], v[50:51], 0x3fa82d5d6ef28734
	v_add_f64_e64 v[42:43], v[42:43], -v[48:49]
	s_delay_alu instid0(VALU_DEP_2) | instskip(NEXT) | instid1(VALU_DEP_1)
	v_fmaak_f64 v[46:47], v[44:45], v[46:47], 0xbfaae5ce6a214619
	v_fmaak_f64 v[46:47], v[44:45], v[46:47], 0x3fae1bb48427b883
	s_delay_alu instid0(VALU_DEP_1) | instskip(NEXT) | instid1(VALU_DEP_4)
	v_fmaak_f64 v[46:47], v[44:45], v[46:47], 0xbfb110e48b207f05
	v_add_f64_e32 v[40:41], v[40:41], v[42:43]
	s_delay_alu instid0(VALU_DEP_2) | instskip(NEXT) | instid1(VALU_DEP_1)
	v_fmaak_f64 v[42:43], v[44:45], v[46:47], 0x3fb3b13657b87036
	v_fmaak_f64 v[42:43], v[44:45], v[42:43], 0xbfb745d119378e4f
	s_delay_alu instid0(VALU_DEP_1) | instskip(NEXT) | instid1(VALU_DEP_1)
	v_fmaak_f64 v[42:43], v[44:45], v[42:43], 0x3fbc71c717e1913c
	v_fmaak_f64 v[42:43], v[44:45], v[42:43], 0xbfc2492492376b7d
	s_delay_alu instid0(VALU_DEP_1) | instskip(SKIP_1) | instid1(VALU_DEP_2)
	v_fmaak_f64 v[42:43], v[44:45], v[42:43], 0x3fc99999999952cc
	v_add_f64_e32 v[40:41], v[52:53], v[40:41]
	v_fmaak_f64 v[42:43], v[44:45], v[42:43], 0xbfd5555555555523
	s_delay_alu instid0(VALU_DEP_1) | instskip(NEXT) | instid1(VALU_DEP_3)
	v_mul_f64_e32 v[42:43], v[44:45], v[42:43]
                                        ; implicit-def: $vgpr44_vgpr45
	v_dual_cndmask_b32 v41, v41, v9 :: v_dual_cndmask_b32 v40, v40, v8
	v_cmp_neq_f64_e32 vcc_lo, 0, v[8:9]
	s_delay_alu instid0(VALU_DEP_2) | instskip(NEXT) | instid1(VALU_DEP_4)
	v_mul_f64_e32 v[40:41], 0.5, v[40:41]
	v_fmac_f64_e32 v[6:7], v[6:7], v[42:43]
                                        ; implicit-def: $vgpr42_vgpr43
	s_delay_alu instid0(VALU_DEP_2) | instskip(NEXT) | instid1(VALU_DEP_3)
	v_cndmask_b32_e32 v9, 0xfff00000, v41, vcc_lo
	v_cndmask_b32_e32 v8, 0, v40, vcc_lo
                                        ; implicit-def: $vgpr40_vgpr41
.LBB48_515:                             ;   in Loop: Header=BB48_434 Depth=1
	s_and_not1_saveexec_b32 s2, s2
	s_cbranch_execz .LBB48_517
; %bb.516:                              ;   in Loop: Header=BB48_434 Depth=1
	v_frexp_exp_i32_f64_e32 v50, v[40:41]
	v_cmp_class_f64_e64 s36, v[14:15], 0x204
	v_cmp_class_f64_e64 s37, v[16:17], 0x204
	v_min_num_f64_e32 v[42:43], v[42:43], v[44:45]
	s_and_not1_b32 s34, s34, exec_lo
	v_sub_nc_u32_e32 v8, 0, v50
	s_or_b32 s38, s36, s37
	s_and_b32 s36, s36, s37
	s_delay_alu instid0(SALU_CYCLE_1) | instskip(SKIP_4) | instid1(VALU_DEP_2)
	s_and_b32 s36, s36, exec_lo
	s_wait_dscnt 0x0
	v_ldexp_f64 v[6:7], |v[16:17]|, v8
	v_ldexp_f64 v[8:9], |v[14:15]|, v8
	s_or_b32 s34, s34, s36
	v_mul_f64_e32 v[6:7], v[6:7], v[6:7]
	s_delay_alu instid0(VALU_DEP_1) | instskip(NEXT) | instid1(VALU_DEP_1)
	v_fmac_f64_e32 v[6:7], v[8:9], v[8:9]
	v_rsq_f64_e32 v[8:9], v[6:7]
	v_cmp_eq_f64_e32 vcc_lo, 0, v[6:7]
	s_delay_alu instid0(TRANS32_DEP_1) | instskip(SKIP_1) | instid1(VALU_DEP_1)
	v_mul_f64_e32 v[46:47], v[6:7], v[8:9]
	v_mul_f64_e32 v[8:9], 0.5, v[8:9]
	v_fma_f64 v[48:49], -v[8:9], v[46:47], 0.5
	s_delay_alu instid0(VALU_DEP_1) | instskip(SKIP_1) | instid1(VALU_DEP_2)
	v_fmac_f64_e32 v[46:47], v[46:47], v[48:49]
	v_fmac_f64_e32 v[8:9], v[8:9], v[48:49]
	v_fma_f64 v[48:49], -v[46:47], v[46:47], v[6:7]
	s_delay_alu instid0(VALU_DEP_1) | instskip(NEXT) | instid1(VALU_DEP_1)
	v_fmac_f64_e32 v[46:47], v[48:49], v[8:9]
	v_dual_cndmask_b32 v7, v47, v7 :: v_dual_cndmask_b32 v6, v46, v6
	s_delay_alu instid0(VALU_DEP_1) | instskip(NEXT) | instid1(VALU_DEP_1)
	v_ldexp_f64 v[6:7], v[6:7], v50
	v_cndmask_b32_e64 v47, v7, 0x7ff00000, s38
	s_delay_alu instid0(VALU_DEP_2) | instskip(NEXT) | instid1(VALU_DEP_1)
	v_cndmask_b32_e64 v46, v6, 0, s38
	v_frexp_mant_f64_e32 v[6:7], v[46:47]
	v_frexp_exp_i32_f64_e32 v59, v[46:47]
	s_delay_alu instid0(VALU_DEP_2) | instskip(SKIP_1) | instid1(VALU_DEP_1)
	v_cmp_gt_f64_e32 vcc_lo, s[6:7], v[6:7]
	v_cndmask_b32_e64 v8, 0, 1, vcc_lo
	v_ldexp_f64 v[6:7], v[6:7], v8
	s_delay_alu instid0(VALU_DEP_1) | instskip(SKIP_1) | instid1(VALU_DEP_2)
	v_add_f64_e32 v[8:9], 1.0, v[6:7]
	v_add_f64_e32 v[52:53], -1.0, v[6:7]
	v_rcp_f64_e32 v[48:49], v[8:9]
	v_add_f64_e32 v[54:55], -1.0, v[8:9]
	s_delay_alu instid0(VALU_DEP_1) | instskip(NEXT) | instid1(TRANS32_DEP_1)
	v_add_f64_e64 v[6:7], v[6:7], -v[54:55]
	v_fma_f64 v[50:51], -v[8:9], v[48:49], 1.0
	s_delay_alu instid0(VALU_DEP_1) | instskip(NEXT) | instid1(VALU_DEP_1)
	v_fmac_f64_e32 v[48:49], v[50:51], v[48:49]
	v_fma_f64 v[50:51], -v[8:9], v[48:49], 1.0
	s_delay_alu instid0(VALU_DEP_1) | instskip(NEXT) | instid1(VALU_DEP_1)
	v_fmac_f64_e32 v[48:49], v[50:51], v[48:49]
	v_mul_f64_e32 v[50:51], v[52:53], v[48:49]
	s_delay_alu instid0(VALU_DEP_1) | instskip(NEXT) | instid1(VALU_DEP_1)
	v_mul_f64_e32 v[60:61], v[8:9], v[50:51]
	v_fma_f64 v[8:9], v[50:51], v[8:9], -v[60:61]
	s_delay_alu instid0(VALU_DEP_1) | instskip(NEXT) | instid1(VALU_DEP_1)
	v_fmac_f64_e32 v[8:9], v[50:51], v[6:7]
	v_add_f64_e32 v[6:7], v[60:61], v[8:9]
	s_delay_alu instid0(VALU_DEP_1) | instskip(SKIP_1) | instid1(VALU_DEP_2)
	v_add_f64_e64 v[54:55], v[52:53], -v[6:7]
	v_add_f64_e64 v[60:61], v[6:7], -v[60:61]
	;; [unrolled: 1-line block ×3, first 2 shown]
	s_delay_alu instid0(VALU_DEP_2) | instskip(NEXT) | instid1(VALU_DEP_2)
	v_add_f64_e64 v[8:9], v[60:61], -v[8:9]
	v_add_f64_e64 v[6:7], v[52:53], -v[6:7]
	s_delay_alu instid0(VALU_DEP_1) | instskip(NEXT) | instid1(VALU_DEP_1)
	v_add_f64_e32 v[6:7], v[8:9], v[6:7]
	v_add_f64_e32 v[6:7], v[54:55], v[6:7]
	s_delay_alu instid0(VALU_DEP_1) | instskip(NEXT) | instid1(VALU_DEP_1)
	v_mul_f64_e32 v[6:7], v[48:49], v[6:7]
	v_add_f64_e32 v[8:9], v[50:51], v[6:7]
	s_delay_alu instid0(VALU_DEP_1) | instskip(NEXT) | instid1(VALU_DEP_1)
	v_mul_f64_e32 v[48:49], v[8:9], v[8:9]
	v_fmamk_f64 v[52:53], v[48:49], 0x3fc3ab76bf559e2b, v[28:29]
	v_mul_f64_e32 v[54:55], v[8:9], v[48:49]
	s_delay_alu instid0(VALU_DEP_2) | instskip(NEXT) | instid1(VALU_DEP_1)
	v_fmaak_f64 v[52:53], v[48:49], v[52:53], 0x3fc7474dd7f4df2e
	v_fmaak_f64 v[44:45], v[48:49], v[52:53], 0x3fcc71c016291751
	v_div_scale_f64 v[52:53], null, v[40:41], v[40:41], v[42:43]
	s_delay_alu instid0(VALU_DEP_2) | instskip(NEXT) | instid1(VALU_DEP_1)
	v_fmaak_f64 v[44:45], v[48:49], v[44:45], 0x3fd249249b27acf1
	v_fmaak_f64 v[44:45], v[48:49], v[44:45], 0x3fd99999998ef7b6
	s_delay_alu instid0(VALU_DEP_1) | instskip(SKIP_2) | instid1(VALU_DEP_3)
	v_fmaak_f64 v[44:45], v[48:49], v[44:45], 0x3fe5555555555780
	v_ldexp_f64 v[48:49], v[8:9], 1
	v_add_f64_e64 v[8:9], v[8:9], -v[50:51]
	v_mul_f64_e32 v[44:45], v[54:55], v[44:45]
	v_subrev_co_ci_u32_e64 v54, null, 0, v59, vcc_lo
	v_rcp_f64_e32 v[60:61], v[52:53]
	s_delay_alu instid0(VALU_DEP_1) | instskip(NEXT) | instid1(VALU_DEP_4)
	v_cvt_f64_i32_e32 v[54:55], v54
	v_add_f64_e64 v[6:7], v[6:7], -v[8:9]
	s_delay_alu instid0(VALU_DEP_4) | instskip(NEXT) | instid1(VALU_DEP_3)
	v_add_f64_e32 v[50:51], v[48:49], v[44:45]
	v_mul_f64_e32 v[62:63], 0x3fe62e42fefa39ef, v[54:55]
	s_delay_alu instid0(VALU_DEP_3) | instskip(NEXT) | instid1(VALU_DEP_3)
	v_ldexp_f64 v[6:7], v[6:7], 1
	v_add_f64_e64 v[8:9], v[50:51], -v[48:49]
	s_delay_alu instid0(TRANS32_DEP_1) | instskip(NEXT) | instid1(VALU_DEP_4)
	v_fma_f64 v[48:49], -v[52:53], v[60:61], 1.0
	v_fma_f64 v[64:65], v[54:55], s[8:9], -v[62:63]
	s_delay_alu instid0(VALU_DEP_3) | instskip(NEXT) | instid1(VALU_DEP_3)
	v_add_f64_e64 v[8:9], v[44:45], -v[8:9]
	v_fmac_f64_e32 v[60:61], v[60:61], v[48:49]
	s_delay_alu instid0(VALU_DEP_3) | instskip(SKIP_1) | instid1(VALU_DEP_4)
	v_fmac_f64_e32 v[64:65], 0x3c7abc9e3b39803f, v[54:55]
	v_div_scale_f64 v[54:55], vcc_lo, v[42:43], v[40:41], v[42:43]
	v_add_f64_e32 v[6:7], v[6:7], v[8:9]
	s_delay_alu instid0(VALU_DEP_4) | instskip(NEXT) | instid1(VALU_DEP_4)
	v_fma_f64 v[8:9], -v[52:53], v[60:61], 1.0
	v_add_f64_e32 v[44:45], v[62:63], v[64:65]
	s_delay_alu instid0(VALU_DEP_3) | instskip(NEXT) | instid1(VALU_DEP_3)
	v_add_f64_e32 v[48:49], v[50:51], v[6:7]
	v_fmac_f64_e32 v[60:61], v[60:61], v[8:9]
	s_delay_alu instid0(VALU_DEP_2) | instskip(NEXT) | instid1(VALU_DEP_2)
	v_add_f64_e32 v[8:9], v[44:45], v[48:49]
	v_mul_f64_e32 v[66:67], v[54:55], v[60:61]
	v_add_f64_e64 v[50:51], v[48:49], -v[50:51]
	s_delay_alu instid0(VALU_DEP_3) | instskip(NEXT) | instid1(VALU_DEP_3)
	v_add_f64_e64 v[68:69], v[8:9], -v[44:45]
	v_fma_f64 v[52:53], -v[52:53], v[66:67], v[54:55]
	v_add_f64_e64 v[54:55], v[44:45], -v[62:63]
	s_delay_alu instid0(VALU_DEP_4) | instskip(NEXT) | instid1(VALU_DEP_4)
	v_add_f64_e64 v[50:51], v[6:7], -v[50:51]
	v_add_f64_e64 v[62:63], v[8:9], -v[68:69]
	s_delay_alu instid0(VALU_DEP_4) | instskip(NEXT) | instid1(VALU_DEP_4)
	v_div_fmas_f64 v[52:53], v[52:53], v[60:61], v[66:67]
	v_add_f64_e64 v[54:55], v[64:65], -v[54:55]
	v_add_f64_e64 v[48:49], v[48:49], -v[68:69]
	v_cmp_class_f64_e64 vcc_lo, v[46:47], 0x204
	v_add_f64_e64 v[44:45], v[44:45], -v[62:63]
	v_div_fixup_f64 v[6:7], v[52:53], v[40:41], v[42:43]
	v_add_f64_e32 v[40:41], v[54:55], v[50:51]
	s_delay_alu instid0(VALU_DEP_3) | instskip(NEXT) | instid1(VALU_DEP_3)
	v_add_f64_e32 v[42:43], v[48:49], v[44:45]
	v_mul_f64_e32 v[44:45], v[6:7], v[6:7]
	s_delay_alu instid0(VALU_DEP_3) | instskip(NEXT) | instid1(VALU_DEP_3)
	v_add_f64_e64 v[48:49], v[40:41], -v[54:55]
	v_add_f64_e32 v[42:43], v[40:41], v[42:43]
	s_delay_alu instid0(VALU_DEP_3) | instskip(NEXT) | instid1(VALU_DEP_3)
	v_fmamk_f64 v[52:53], v[44:45], 0x3eeba404b5e68a13, v[36:37]
	v_add_f64_e64 v[40:41], v[40:41], -v[48:49]
	v_add_f64_e64 v[48:49], v[50:51], -v[48:49]
	s_delay_alu instid0(VALU_DEP_3) | instskip(NEXT) | instid1(VALU_DEP_1)
	v_fmaak_f64 v[52:53], v[44:45], v[52:53], 0x3f4b2bb069efb384
	v_fmaak_f64 v[52:53], v[44:45], v[52:53], 0xbf67952daf56de9b
	s_delay_alu instid0(VALU_DEP_1) | instskip(NEXT) | instid1(VALU_DEP_1)
	v_fmaak_f64 v[52:53], v[44:45], v[52:53], 0x3f7d6d43a595c56f
	v_fmaak_f64 v[52:53], v[44:45], v[52:53], 0xbf8c6ea4a57d9582
	v_add_f64_e32 v[60:61], v[8:9], v[42:43]
	v_add_f64_e64 v[40:41], v[54:55], -v[40:41]
	s_delay_alu instid0(VALU_DEP_3) | instskip(NEXT) | instid1(VALU_DEP_1)
	v_fmaak_f64 v[52:53], v[44:45], v[52:53], 0x3f967e295f08b19f
	v_fmaak_f64 v[52:53], v[44:45], v[52:53], 0xbf9e9ae6fc27006a
	s_delay_alu instid0(VALU_DEP_1) | instskip(NEXT) | instid1(VALU_DEP_1)
	v_fmaak_f64 v[52:53], v[44:45], v[52:53], 0x3fa2c15b5711927a
	v_fmaak_f64 v[50:51], v[44:45], v[52:53], 0xbfa59976e82d3ff0
	s_delay_alu instid0(VALU_DEP_1) | instskip(SKIP_2) | instid1(VALU_DEP_3)
	v_fmaak_f64 v[50:51], v[44:45], v[50:51], 0x3fa82d5d6ef28734
	v_add_f64_e64 v[8:9], v[60:61], -v[8:9]
	v_add_f64_e32 v[40:41], v[48:49], v[40:41]
	v_fmaak_f64 v[50:51], v[44:45], v[50:51], 0xbfaae5ce6a214619
	s_delay_alu instid0(VALU_DEP_1) | instskip(NEXT) | instid1(VALU_DEP_1)
	v_fmaak_f64 v[50:51], v[44:45], v[50:51], 0x3fae1bb48427b883
	v_fmaak_f64 v[50:51], v[44:45], v[50:51], 0xbfb110e48b207f05
	v_add_f64_e64 v[8:9], v[42:43], -v[8:9]
	s_delay_alu instid0(VALU_DEP_2) | instskip(NEXT) | instid1(VALU_DEP_1)
	v_fmaak_f64 v[42:43], v[44:45], v[50:51], 0x3fb3b13657b87036
	v_fmaak_f64 v[42:43], v[44:45], v[42:43], 0xbfb745d119378e4f
	s_delay_alu instid0(VALU_DEP_1) | instskip(NEXT) | instid1(VALU_DEP_1)
	v_fmaak_f64 v[42:43], v[44:45], v[42:43], 0x3fbc71c717e1913c
	v_fmaak_f64 v[42:43], v[44:45], v[42:43], 0xbfc2492492376b7d
	v_add_f64_e32 v[8:9], v[40:41], v[8:9]
	s_delay_alu instid0(VALU_DEP_2) | instskip(NEXT) | instid1(VALU_DEP_1)
	v_fmaak_f64 v[40:41], v[44:45], v[42:43], 0x3fc99999999952cc
	v_fmaak_f64 v[40:41], v[44:45], v[40:41], 0xbfd5555555555523
	s_delay_alu instid0(VALU_DEP_1) | instskip(NEXT) | instid1(VALU_DEP_4)
	v_mul_f64_e32 v[40:41], v[44:45], v[40:41]
	v_add_f64_e32 v[8:9], v[60:61], v[8:9]
	s_delay_alu instid0(VALU_DEP_2) | instskip(NEXT) | instid1(VALU_DEP_2)
	v_fmac_f64_e32 v[6:7], v[6:7], v[40:41]
	v_dual_cndmask_b32 v8, v8, v46 :: v_dual_cndmask_b32 v9, v9, v47
	v_cmp_ngt_f64_e32 vcc_lo, 0, v[46:47]
	s_delay_alu instid0(VALU_DEP_2) | instskip(SKIP_1) | instid1(VALU_DEP_4)
	v_cndmask_b32_e32 v9, 0x7ff80000, v9, vcc_lo
	v_cmp_nge_f64_e32 vcc_lo, 0, v[46:47]
	v_cndmask_b32_e32 v8, 0, v8, vcc_lo
	v_cmp_neq_f64_e32 vcc_lo, 0, v[46:47]
	s_delay_alu instid0(VALU_DEP_4)
	v_cndmask_b32_e32 v9, 0xfff00000, v9, vcc_lo
.LBB48_517:                             ;   in Loop: Header=BB48_434 Depth=1
	s_or_b32 exec_lo, exec_lo, s2
                                        ; implicit-def: $vgpr42_vgpr43
                                        ; implicit-def: $vgpr44_vgpr45
                                        ; implicit-def: $vgpr40_vgpr41
.LBB48_518:                             ;   in Loop: Header=BB48_434 Depth=1
	s_and_not1_saveexec_b32 s35, s35
	s_cbranch_execz .LBB48_520
; %bb.519:                              ;   in Loop: Header=BB48_434 Depth=1
	s_wait_dscnt 0x0
	v_div_scale_f64 v[6:7], null, s[26:27], s[26:27], v[14:15]
	v_div_scale_f64 v[8:9], null, s[26:27], s[26:27], v[16:17]
	v_div_scale_f64 v[54:55], vcc_lo, v[14:15], s[26:27], v[14:15]
	v_min_num_f64_e32 v[42:43], v[42:43], v[44:45]
	s_and_not1_b32 s34, s34, exec_lo
	s_delay_alu instid0(VALU_DEP_4) | instskip(NEXT) | instid1(VALU_DEP_3)
	v_rcp_f64_e32 v[46:47], v[6:7]
	v_rcp_f64_e32 v[48:49], v[8:9]
	s_delay_alu instid0(TRANS32_DEP_2) | instskip(NEXT) | instid1(TRANS32_DEP_1)
	v_fma_f64 v[50:51], -v[6:7], v[46:47], 1.0
	v_fma_f64 v[52:53], -v[8:9], v[48:49], 1.0
	s_delay_alu instid0(VALU_DEP_2) | instskip(NEXT) | instid1(VALU_DEP_2)
	v_fmac_f64_e32 v[46:47], v[46:47], v[50:51]
	v_fmac_f64_e32 v[48:49], v[48:49], v[52:53]
	s_delay_alu instid0(VALU_DEP_2) | instskip(NEXT) | instid1(VALU_DEP_2)
	v_fma_f64 v[50:51], -v[6:7], v[46:47], 1.0
	v_fma_f64 v[52:53], -v[8:9], v[48:49], 1.0
	s_delay_alu instid0(VALU_DEP_2) | instskip(SKIP_1) | instid1(VALU_DEP_3)
	v_fmac_f64_e32 v[46:47], v[46:47], v[50:51]
	v_div_scale_f64 v[50:51], s2, v[16:17], s[26:27], v[16:17]
	v_fmac_f64_e32 v[48:49], v[48:49], v[52:53]
	s_delay_alu instid0(VALU_DEP_3) | instskip(NEXT) | instid1(VALU_DEP_2)
	v_mul_f64_e32 v[52:53], v[54:55], v[46:47]
	v_mul_f64_e32 v[60:61], v[50:51], v[48:49]
	s_delay_alu instid0(VALU_DEP_2) | instskip(NEXT) | instid1(VALU_DEP_2)
	v_fma_f64 v[6:7], -v[6:7], v[52:53], v[54:55]
	v_fma_f64 v[8:9], -v[8:9], v[60:61], v[50:51]
	s_delay_alu instid0(VALU_DEP_2) | instskip(SKIP_1) | instid1(VALU_DEP_2)
	v_div_fmas_f64 v[6:7], v[6:7], v[46:47], v[52:53]
	s_mov_b32 vcc_lo, s2
	v_div_fmas_f64 v[8:9], v[8:9], v[48:49], v[60:61]
	s_delay_alu instid0(VALU_DEP_2) | instskip(NEXT) | instid1(VALU_DEP_2)
	v_div_fixup_f64 v[6:7], v[6:7], s[26:27], v[14:15]
	v_div_fixup_f64 v[8:9], v[8:9], s[26:27], v[16:17]
	s_delay_alu instid0(VALU_DEP_2) | instskip(NEXT) | instid1(VALU_DEP_2)
	v_cmp_class_f64_e64 s2, v[6:7], 0x204
	v_max_num_f64_e64 v[46:47], |v[6:7]|, |v[8:9]|
	v_cmp_class_f64_e64 s36, v[8:9], 0x204
	s_delay_alu instid0(VALU_DEP_2) | instskip(SKIP_2) | instid1(VALU_DEP_2)
	v_frexp_exp_i32_f64_e32 v54, v[46:47]
	s_or_b32 s2, s2, s36
	v_cmp_class_f64_e64 s36, v[14:15], 0x204
	v_sub_nc_u32_e32 v48, 0, v54
	s_delay_alu instid0(VALU_DEP_1) | instskip(SKIP_1) | instid1(VALU_DEP_2)
	v_ldexp_f64 v[46:47], |v[8:9]|, v48
	v_ldexp_f64 v[48:49], |v[6:7]|, v48
	v_mul_f64_e32 v[46:47], v[46:47], v[46:47]
	s_delay_alu instid0(VALU_DEP_1) | instskip(NEXT) | instid1(VALU_DEP_1)
	v_fmac_f64_e32 v[46:47], v[48:49], v[48:49]
	v_rsq_f64_e32 v[48:49], v[46:47]
	v_cmp_eq_f64_e32 vcc_lo, 0, v[46:47]
	s_delay_alu instid0(TRANS32_DEP_1) | instskip(SKIP_1) | instid1(VALU_DEP_1)
	v_mul_f64_e32 v[50:51], v[46:47], v[48:49]
	v_mul_f64_e32 v[48:49], 0.5, v[48:49]
	v_fma_f64 v[52:53], -v[48:49], v[50:51], 0.5
	s_delay_alu instid0(VALU_DEP_1) | instskip(SKIP_1) | instid1(VALU_DEP_2)
	v_fmac_f64_e32 v[50:51], v[50:51], v[52:53]
	v_fmac_f64_e32 v[48:49], v[48:49], v[52:53]
	v_fma_f64 v[52:53], -v[50:51], v[50:51], v[46:47]
	s_delay_alu instid0(VALU_DEP_1) | instskip(NEXT) | instid1(VALU_DEP_1)
	v_fmac_f64_e32 v[50:51], v[52:53], v[48:49]
	v_dual_cndmask_b32 v47, v51, v47 :: v_dual_cndmask_b32 v46, v50, v46
	s_delay_alu instid0(VALU_DEP_1) | instskip(NEXT) | instid1(VALU_DEP_1)
	v_ldexp_f64 v[6:7], v[46:47], v54
	v_cndmask_b32_e64 v47, v7, 0x7ff00000, s2
	s_delay_alu instid0(VALU_DEP_2) | instskip(SKIP_1) | instid1(VALU_DEP_2)
	v_cndmask_b32_e64 v46, v6, 0, s2
	v_cmp_class_f64_e64 s2, v[16:17], 0x204
	v_frexp_mant_f64_e32 v[6:7], v[46:47]
	v_frexp_exp_i32_f64_e32 v59, v[46:47]
	s_and_b32 s2, s36, s2
	s_delay_alu instid0(SALU_CYCLE_1) | instskip(NEXT) | instid1(VALU_DEP_2)
	s_and_b32 s2, s2, exec_lo
	v_cmp_gt_f64_e32 vcc_lo, s[6:7], v[6:7]
	s_or_b32 s34, s34, s2
	v_cndmask_b32_e64 v8, 0, 1, vcc_lo
	s_delay_alu instid0(VALU_DEP_3) | instskip(SKIP_1) | instid1(VALU_DEP_3)
	v_subrev_co_ci_u32_e64 v44, null, 0, v59, vcc_lo
	v_div_scale_f64 v[66:67], vcc_lo, v[42:43], v[40:41], v[42:43]
	v_ldexp_f64 v[6:7], v[6:7], v8
	s_delay_alu instid0(VALU_DEP_3) | instskip(NEXT) | instid1(VALU_DEP_2)
	v_cvt_f64_i32_e32 v[44:45], v44
	v_add_f64_e32 v[8:9], 1.0, v[6:7]
	v_add_f64_e32 v[52:53], -1.0, v[6:7]
	s_delay_alu instid0(VALU_DEP_2) | instskip(SKIP_1) | instid1(VALU_DEP_1)
	v_rcp_f64_e32 v[48:49], v[8:9]
	v_add_f64_e32 v[54:55], -1.0, v[8:9]
	v_add_f64_e64 v[6:7], v[6:7], -v[54:55]
	s_delay_alu instid0(TRANS32_DEP_1) | instskip(NEXT) | instid1(VALU_DEP_1)
	v_fma_f64 v[50:51], -v[8:9], v[48:49], 1.0
	v_fmac_f64_e32 v[48:49], v[50:51], v[48:49]
	s_delay_alu instid0(VALU_DEP_1) | instskip(NEXT) | instid1(VALU_DEP_1)
	v_fma_f64 v[50:51], -v[8:9], v[48:49], 1.0
	v_fmac_f64_e32 v[48:49], v[50:51], v[48:49]
	s_delay_alu instid0(VALU_DEP_1) | instskip(NEXT) | instid1(VALU_DEP_1)
	v_mul_f64_e32 v[50:51], v[52:53], v[48:49]
	v_mul_f64_e32 v[60:61], v[8:9], v[50:51]
	s_delay_alu instid0(VALU_DEP_1) | instskip(NEXT) | instid1(VALU_DEP_1)
	v_fma_f64 v[8:9], v[50:51], v[8:9], -v[60:61]
	v_fmac_f64_e32 v[8:9], v[50:51], v[6:7]
	s_delay_alu instid0(VALU_DEP_1) | instskip(NEXT) | instid1(VALU_DEP_1)
	v_add_f64_e32 v[6:7], v[60:61], v[8:9]
	v_add_f64_e64 v[54:55], v[52:53], -v[6:7]
	v_add_f64_e64 v[60:61], v[6:7], -v[60:61]
	s_delay_alu instid0(VALU_DEP_2) | instskip(NEXT) | instid1(VALU_DEP_2)
	v_add_f64_e64 v[52:53], v[52:53], -v[54:55]
	v_add_f64_e64 v[8:9], v[60:61], -v[8:9]
	v_mul_f64_e32 v[60:61], 0x3fe62e42fefa39ef, v[44:45]
	s_delay_alu instid0(VALU_DEP_3) | instskip(NEXT) | instid1(VALU_DEP_2)
	v_add_f64_e64 v[6:7], v[52:53], -v[6:7]
	v_fma_f64 v[62:63], v[44:45], s[8:9], -v[60:61]
	s_delay_alu instid0(VALU_DEP_2) | instskip(NEXT) | instid1(VALU_DEP_2)
	v_add_f64_e32 v[6:7], v[8:9], v[6:7]
	v_fmac_f64_e32 v[62:63], 0x3c7abc9e3b39803f, v[44:45]
	s_delay_alu instid0(VALU_DEP_2) | instskip(NEXT) | instid1(VALU_DEP_1)
	v_add_f64_e32 v[6:7], v[54:55], v[6:7]
	v_mul_f64_e32 v[6:7], v[48:49], v[6:7]
	s_delay_alu instid0(VALU_DEP_1) | instskip(NEXT) | instid1(VALU_DEP_1)
	v_add_f64_e32 v[8:9], v[50:51], v[6:7]
	v_mul_f64_e32 v[48:49], v[8:9], v[8:9]
	s_delay_alu instid0(VALU_DEP_1) | instskip(SKIP_1) | instid1(VALU_DEP_2)
	v_fmamk_f64 v[52:53], v[48:49], 0x3fc3ab76bf559e2b, v[28:29]
	v_mul_f64_e32 v[54:55], v[8:9], v[48:49]
	v_fmaak_f64 v[52:53], v[48:49], v[52:53], 0x3fc7474dd7f4df2e
	s_delay_alu instid0(VALU_DEP_1) | instskip(NEXT) | instid1(VALU_DEP_1)
	v_fmaak_f64 v[52:53], v[48:49], v[52:53], 0x3fcc71c016291751
	v_fmaak_f64 v[52:53], v[48:49], v[52:53], 0x3fd249249b27acf1
	s_delay_alu instid0(VALU_DEP_1) | instskip(NEXT) | instid1(VALU_DEP_1)
	v_fmaak_f64 v[52:53], v[48:49], v[52:53], 0x3fd99999998ef7b6
	v_fmaak_f64 v[48:49], v[48:49], v[52:53], 0x3fe5555555555780
	v_ldexp_f64 v[52:53], v[8:9], 1
	v_add_f64_e64 v[8:9], v[8:9], -v[50:51]
	s_delay_alu instid0(VALU_DEP_3) | instskip(SKIP_1) | instid1(VALU_DEP_3)
	v_mul_f64_e32 v[48:49], v[54:55], v[48:49]
	v_div_scale_f64 v[54:55], null, v[40:41], v[40:41], v[42:43]
	v_add_f64_e64 v[6:7], v[6:7], -v[8:9]
	s_delay_alu instid0(VALU_DEP_3) | instskip(NEXT) | instid1(VALU_DEP_2)
	v_add_f64_e32 v[50:51], v[52:53], v[48:49]
	v_ldexp_f64 v[6:7], v[6:7], 1
	s_delay_alu instid0(VALU_DEP_2) | instskip(SKIP_1) | instid1(VALU_DEP_1)
	v_add_f64_e64 v[8:9], v[50:51], -v[52:53]
	v_rcp_f64_e32 v[52:53], v[54:55]
	v_add_f64_e64 v[8:9], v[48:49], -v[8:9]
	s_delay_alu instid0(TRANS32_DEP_1) | instskip(NEXT) | instid1(VALU_DEP_2)
	v_fma_f64 v[48:49], -v[54:55], v[52:53], 1.0
	v_add_f64_e32 v[6:7], v[6:7], v[8:9]
	v_add_f64_e32 v[8:9], v[60:61], v[62:63]
	s_delay_alu instid0(VALU_DEP_3) | instskip(NEXT) | instid1(VALU_DEP_3)
	v_fmac_f64_e32 v[52:53], v[52:53], v[48:49]
	v_add_f64_e32 v[44:45], v[50:51], v[6:7]
	s_delay_alu instid0(VALU_DEP_3) | instskip(NEXT) | instid1(VALU_DEP_3)
	v_add_f64_e64 v[60:61], v[8:9], -v[60:61]
	v_fma_f64 v[48:49], -v[54:55], v[52:53], 1.0
	s_delay_alu instid0(VALU_DEP_3) | instskip(SKIP_1) | instid1(VALU_DEP_4)
	v_add_f64_e32 v[64:65], v[8:9], v[44:45]
	v_add_f64_e64 v[50:51], v[44:45], -v[50:51]
	v_add_f64_e64 v[60:61], v[62:63], -v[60:61]
	s_delay_alu instid0(VALU_DEP_4) | instskip(NEXT) | instid1(VALU_DEP_4)
	v_fmac_f64_e32 v[52:53], v[52:53], v[48:49]
	v_add_f64_e64 v[48:49], v[64:65], -v[8:9]
	s_delay_alu instid0(VALU_DEP_4) | instskip(NEXT) | instid1(VALU_DEP_3)
	v_add_f64_e64 v[50:51], v[6:7], -v[50:51]
	v_mul_f64_e32 v[68:69], v[66:67], v[52:53]
	s_delay_alu instid0(VALU_DEP_3) | instskip(SKIP_1) | instid1(VALU_DEP_4)
	v_add_f64_e64 v[70:71], v[64:65], -v[48:49]
	v_add_f64_e64 v[6:7], v[44:45], -v[48:49]
	v_add_f64_e32 v[48:49], v[60:61], v[50:51]
	s_delay_alu instid0(VALU_DEP_4) | instskip(NEXT) | instid1(VALU_DEP_4)
	v_fma_f64 v[54:55], -v[54:55], v[68:69], v[66:67]
	v_add_f64_e64 v[8:9], v[8:9], -v[70:71]
	s_delay_alu instid0(VALU_DEP_2) | instskip(SKIP_1) | instid1(VALU_DEP_3)
	v_div_fmas_f64 v[44:45], v[54:55], v[52:53], v[68:69]
	v_cmp_class_f64_e64 vcc_lo, v[46:47], 0x204
	v_add_f64_e32 v[8:9], v[6:7], v[8:9]
	s_delay_alu instid0(VALU_DEP_3) | instskip(SKIP_1) | instid1(VALU_DEP_3)
	v_div_fixup_f64 v[6:7], v[44:45], v[40:41], v[42:43]
	v_add_f64_e64 v[40:41], v[48:49], -v[60:61]
	v_add_f64_e32 v[8:9], v[48:49], v[8:9]
	s_delay_alu instid0(VALU_DEP_3) | instskip(NEXT) | instid1(VALU_DEP_3)
	v_mul_f64_e32 v[42:43], v[6:7], v[6:7]
	v_add_f64_e64 v[44:45], v[48:49], -v[40:41]
	v_add_f64_e64 v[40:41], v[50:51], -v[40:41]
	s_delay_alu instid0(VALU_DEP_4) | instskip(NEXT) | instid1(VALU_DEP_4)
	v_add_f64_e32 v[48:49], v[64:65], v[8:9]
	v_fmamk_f64 v[52:53], v[42:43], 0x3eeba404b5e68a13, v[36:37]
	s_delay_alu instid0(VALU_DEP_4) | instskip(NEXT) | instid1(VALU_DEP_2)
	v_add_f64_e64 v[44:45], v[60:61], -v[44:45]
	v_fmaak_f64 v[52:53], v[42:43], v[52:53], 0x3f4b2bb069efb384
	s_delay_alu instid0(VALU_DEP_1) | instskip(NEXT) | instid1(VALU_DEP_1)
	v_fmaak_f64 v[52:53], v[42:43], v[52:53], 0xbf67952daf56de9b
	v_fmaak_f64 v[52:53], v[42:43], v[52:53], 0x3f7d6d43a595c56f
	v_add_f64_e64 v[50:51], v[48:49], -v[64:65]
	s_delay_alu instid0(VALU_DEP_2) | instskip(SKIP_1) | instid1(VALU_DEP_2)
	v_fmaak_f64 v[52:53], v[42:43], v[52:53], 0xbf8c6ea4a57d9582
	v_add_f64_e32 v[40:41], v[40:41], v[44:45]
	v_fmaak_f64 v[52:53], v[42:43], v[52:53], 0x3f967e295f08b19f
	s_delay_alu instid0(VALU_DEP_1) | instskip(NEXT) | instid1(VALU_DEP_1)
	v_fmaak_f64 v[52:53], v[42:43], v[52:53], 0xbf9e9ae6fc27006a
	v_fmaak_f64 v[52:53], v[42:43], v[52:53], 0x3fa2c15b5711927a
	s_delay_alu instid0(VALU_DEP_1) | instskip(SKIP_1) | instid1(VALU_DEP_2)
	v_fmaak_f64 v[44:45], v[42:43], v[52:53], 0xbfa59976e82d3ff0
	v_add_f64_e64 v[8:9], v[8:9], -v[50:51]
	v_fmaak_f64 v[44:45], v[42:43], v[44:45], 0x3fa82d5d6ef28734
	s_delay_alu instid0(VALU_DEP_1) | instskip(NEXT) | instid1(VALU_DEP_1)
	v_fmaak_f64 v[44:45], v[42:43], v[44:45], 0xbfaae5ce6a214619
	v_fmaak_f64 v[44:45], v[42:43], v[44:45], 0x3fae1bb48427b883
	s_delay_alu instid0(VALU_DEP_1) | instskip(SKIP_1) | instid1(VALU_DEP_2)
	v_fmaak_f64 v[44:45], v[42:43], v[44:45], 0xbfb110e48b207f05
	v_add_f64_e32 v[8:9], v[40:41], v[8:9]
	v_fmaak_f64 v[40:41], v[42:43], v[44:45], 0x3fb3b13657b87036
	s_delay_alu instid0(VALU_DEP_1) | instskip(NEXT) | instid1(VALU_DEP_1)
	v_fmaak_f64 v[40:41], v[42:43], v[40:41], 0xbfb745d119378e4f
	v_fmaak_f64 v[40:41], v[42:43], v[40:41], 0x3fbc71c717e1913c
	s_delay_alu instid0(VALU_DEP_1) | instskip(NEXT) | instid1(VALU_DEP_1)
	v_fmaak_f64 v[40:41], v[42:43], v[40:41], 0xbfc2492492376b7d
	v_fmaak_f64 v[40:41], v[42:43], v[40:41], 0x3fc99999999952cc
	v_add_f64_e32 v[8:9], v[48:49], v[8:9]
	s_delay_alu instid0(VALU_DEP_2) | instskip(NEXT) | instid1(VALU_DEP_1)
	v_fmaak_f64 v[40:41], v[42:43], v[40:41], 0xbfd5555555555523
	v_dual_mul_f64 v[40:41], v[42:43], v[40:41] :: v_dual_cndmask_b32 v9, v9, v47, vcc_lo
	s_delay_alu instid0(VALU_DEP_3) | instskip(SKIP_1) | instid1(VALU_DEP_2)
	v_cndmask_b32_e32 v8, v8, v46, vcc_lo
	v_cmp_ngt_f64_e32 vcc_lo, 0, v[46:47]
	v_add_f64_e32 v[8:9], 1.0, v[8:9]
	s_delay_alu instid0(VALU_DEP_4) | instskip(NEXT) | instid1(VALU_DEP_2)
	v_fmac_f64_e32 v[6:7], v[6:7], v[40:41]
	v_cndmask_b32_e32 v9, 0x7ff80000, v9, vcc_lo
	v_cmp_nge_f64_e32 vcc_lo, 0, v[46:47]
	s_delay_alu instid0(VALU_DEP_4) | instskip(SKIP_1) | instid1(VALU_DEP_4)
	v_cndmask_b32_e32 v8, 0, v8, vcc_lo
	v_cmp_neq_f64_e32 vcc_lo, 0, v[46:47]
	v_cndmask_b32_e32 v9, 0xfff00000, v9, vcc_lo
.LBB48_520:                             ;   in Loop: Header=BB48_434 Depth=1
	s_or_b32 exec_lo, exec_lo, s35
	s_wait_dscnt 0x0
	s_delay_alu instid0(VALU_DEP_3) | instskip(NEXT) | instid1(VALU_DEP_2)
	v_add_f64_e64 v[40:41], -v[6:7], s[20:21]
	v_add_f64_e32 v[8:9], 0x3fe62e42fefa39ef, v[8:9]
	v_cmp_gt_i32_e32 vcc_lo, 0, v15
	v_dual_cndmask_b32 v15, 0x54442d18, v57 :: v_dual_ashrrev_i32 v14, 31, v15
	s_delay_alu instid0(VALU_DEP_1) | instskip(SKIP_4) | instid1(VALU_DEP_3)
	v_and_b32_e32 v42, 0x54442d18, v14
	v_and_b32_e32 v14, 0x400921fb, v14
	v_dual_cndmask_b32 v7, v7, v41, s1 :: v_dual_cndmask_b32 v6, v6, v40, s1
	v_cmp_eq_f64_e64 s1, 0, v[16:17]
	v_cndmask_b32_e32 v16, 0x3fe921fb, v58, vcc_lo
	v_add_f64_e64 v[40:41], -v[6:7], s[22:23]
	s_delay_alu instid0(VALU_DEP_2) | instskip(NEXT) | instid1(VALU_DEP_2)
	v_bfi_b32 v16, 0x7fffffff, v16, v17
	v_dual_cndmask_b32 v6, v6, v40 :: v_dual_cndmask_b32 v7, v7, v41
	s_delay_alu instid0(VALU_DEP_1) | instskip(NEXT) | instid1(VALU_DEP_2)
	v_cndmask_b32_e64 v7, v7, v14, s1
	v_cndmask_b32_e64 v6, v6, v42, s1
	v_xor_b32_e32 v14, 0x80000000, v9
	s_delay_alu instid0(VALU_DEP_2) | instskip(NEXT) | instid1(VALU_DEP_2)
	v_dual_cndmask_b32 v7, v7, v16, s34 :: v_dual_cndmask_b32 v6, v6, v15, s34
	v_cndmask_b32_e64 v9, v14, v9, s0
	s_delay_alu instid0(VALU_DEP_2)
	v_and_b32_e32 v7, 0x7fffffff, v7
.LBB48_521:                             ;   in Loop: Header=BB48_434 Depth=1
	s_or_b32 exec_lo, exec_lo, s33
                                        ; implicit-def: $vgpr16_vgpr17
.LBB48_522:                             ;   in Loop: Header=BB48_434 Depth=1
	s_and_not1_saveexec_b32 s0, s31
	s_cbranch_execz .LBB48_536
; %bb.523:                              ;   in Loop: Header=BB48_434 Depth=1
	v_cmp_neq_f64_e64 s1, 0x7ff00000, |v[14:15]|
                                        ; implicit-def: $vgpr8_vgpr9
	s_and_saveexec_b32 s2, s1
	s_delay_alu instid0(SALU_CYCLE_1)
	s_xor_b32 s1, exec_lo, s2
	s_cbranch_execz .LBB48_533
; %bb.524:                              ;   in Loop: Header=BB48_434 Depth=1
	v_cmp_neq_f64_e64 s2, 0x7ff00000, |v[16:17]|
	s_wait_dscnt 0x0
	v_xor_b32_e32 v9, 0x80000000, v17
	v_mov_b32_e32 v8, v16
	s_and_saveexec_b32 s31, s2
	s_delay_alu instid0(SALU_CYCLE_1)
	s_xor_b32 s2, exec_lo, s31
	s_cbranch_execz .LBB48_530
; %bb.525:                              ;   in Loop: Header=BB48_434 Depth=1
	s_mov_b32 s31, exec_lo
                                        ; implicit-def: $vgpr8_vgpr9
	v_cmpx_neq_f64_e32 0, v[14:15]
	s_xor_b32 s31, exec_lo, s31
	s_cbranch_execz .LBB48_527
; %bb.526:                              ;   in Loop: Header=BB48_434 Depth=1
	v_add_f64_e32 v[6:7], 0, v[16:17]
                                        ; implicit-def: $vgpr16_vgpr17
	s_delay_alu instid0(VALU_DEP_1)
	v_add_f64_e32 v[8:9], v[14:15], v[6:7]
.LBB48_527:                             ;   in Loop: Header=BB48_434 Depth=1
	s_or_saveexec_b32 s31, s31
	s_delay_alu instid0(VALU_DEP_1)
	v_mov_b64_e32 v[6:7], v[8:9]
	s_xor_b32 exec_lo, exec_lo, s31
	s_cbranch_execz .LBB48_529
; %bb.528:                              ;   in Loop: Header=BB48_434 Depth=1
	flat_load_b64 v[6:7], v[26:27] scope:SCOPE_SYS
	s_wait_loadcnt 0x0
	v_add_f64_e32 v[8:9], v[16:17], v[16:17]
	s_wait_dscnt 0x0
	v_add_f64_e32 v[6:7], 0x3ff921fb54442d18, v[6:7]
.LBB48_529:                             ;   in Loop: Header=BB48_434 Depth=1
	s_wait_xcnt 0x0
	s_or_b32 exec_lo, exec_lo, s31
                                        ; implicit-def: $vgpr14_vgpr15
.LBB48_530:                             ;   in Loop: Header=BB48_434 Depth=1
	s_and_not1_saveexec_b32 s2, s2
; %bb.531:                              ;   in Loop: Header=BB48_434 Depth=1
	v_add_f64_e32 v[6:7], v[14:15], v[14:15]
; %bb.532:                              ;   in Loop: Header=BB48_434 Depth=1
	s_or_b32 exec_lo, exec_lo, s2
                                        ; implicit-def: $vgpr16_vgpr17
.LBB48_533:                             ;   in Loop: Header=BB48_434 Depth=1
	s_and_not1_saveexec_b32 s1, s1
	s_cbranch_execz .LBB48_535
; %bb.534:                              ;   in Loop: Header=BB48_434 Depth=1
	s_wait_dscnt 0x0
	v_add_f64_e32 v[6:7], v[16:17], v[16:17]
	v_mov_b64_e32 v[8:9], 0xfff0000000000000
.LBB48_535:                             ;   in Loop: Header=BB48_434 Depth=1
	s_or_b32 exec_lo, exec_lo, s1
.LBB48_536:                             ;   in Loop: Header=BB48_434 Depth=1
	s_delay_alu instid0(SALU_CYCLE_1)
	s_or_b32 exec_lo, exec_lo, s0
	flat_store_b64 v[26:27], v[24:25] scope:SCOPE_SYS
	s_wait_storecnt 0x0
                                        ; implicit-def: $vgpr16_vgpr17
	s_mov_b32 s0, exec_lo
	s_wait_loadcnt 0x2
	s_wait_xcnt 0x0
	v_cmpx_o_f64_e32 v[18:19], v[20:21]
	s_xor_b32 s31, exec_lo, s0
	s_cbranch_execz .LBB48_624
; %bb.537:                              ;   in Loop: Header=BB48_434 Depth=1
	v_max_num_f64_e64 v[44:45], |v[20:21]|, |v[20:21]|
	v_max_num_f64_e64 v[42:43], |v[18:19]|, |v[18:19]|
	v_cmp_gt_i64_e64 s0, 0, v[20:21]
                                        ; implicit-def: $vgpr16_vgpr17
	s_mov_b32 s1, exec_lo
	v_max_num_f64_e32 v[40:41], v[42:43], v[44:45]
	s_delay_alu instid0(VALU_DEP_1)
	v_cmpx_nlt_f64_e32 0x43300000, v[40:41]
	s_xor_b32 s33, exec_lo, s1
	s_cbranch_execz .LBB48_613
; %bb.538:                              ;   in Loop: Header=BB48_434 Depth=1
	v_cmp_neq_f64_e32 vcc_lo, 1.0, v[18:19]
	v_cmp_neq_f64_e64 s1, 0, v[20:21]
	v_xor_b32_e32 v17, 0x80000000, v21
	v_mov_b32_e32 v16, v20
	s_or_b32 s1, vcc_lo, s1
	s_delay_alu instid0(SALU_CYCLE_1) | instskip(NEXT) | instid1(SALU_CYCLE_1)
	s_and_saveexec_b32 s2, s1
	s_xor_b32 s34, exec_lo, s2
	s_cbranch_execz .LBB48_610
; %bb.539:                              ;   in Loop: Header=BB48_434 Depth=1
	flat_store_b32 v[30:31], v56 scope:SCOPE_SYS
	s_wait_storecnt 0x0
	flat_load_b32 v14, v[30:31] scope:SCOPE_SYS
	s_wait_loadcnt 0x0
	v_cmp_nlt_f64_e64 s1, |v[18:19]|, s[4:5]
	v_cmp_nlt_f64_e64 s2, |v[20:21]|, s[4:5]
	v_mov_b32_e32 v16, v20
	s_or_b32 s1, s1, s2
	s_wait_dscnt 0x0
	v_add_f32_e32 v14, 1.0, v14
	flat_store_b32 v[34:35], v14 scope:SCOPE_SYS
	s_wait_storecnt 0x0
	flat_load_b32 v14, v[34:35] scope:SCOPE_SYS
	s_wait_loadcnt 0x0
	s_wait_xcnt 0x0
	s_and_saveexec_b32 s2, s1
	s_delay_alu instid0(SALU_CYCLE_1)
	s_xor_b32 s35, exec_lo, s2
	s_cbranch_execz .LBB48_607
; %bb.540:                              ;   in Loop: Header=BB48_434 Depth=1
	s_wait_dscnt 0x0
	v_add_f64_e64 v[14:15], |v[18:19]|, -1.0
	v_add_f64_e64 v[42:43], |v[18:19]|, 1.0
	s_delay_alu instid0(VALU_DEP_2) | instskip(NEXT) | instid1(VALU_DEP_1)
	v_max_num_f64_e64 v[40:41], v[44:45], |v[14:15]|
	v_frexp_exp_i32_f64_e32 v60, v[40:41]
	s_delay_alu instid0(VALU_DEP_1) | instskip(NEXT) | instid1(VALU_DEP_1)
	v_dual_max_num_f64 v[16:17], v[44:45], v[42:43] :: v_dual_sub_nc_u32 v46, 0, v60
	v_frexp_exp_i32_f64_e32 v59, v[16:17]
	s_delay_alu instid0(VALU_DEP_2) | instskip(SKIP_1) | instid1(VALU_DEP_2)
	v_ldexp_f64 v[40:41], |v[14:15]|, v46
	v_ldexp_f64 v[46:47], |v[20:21]|, v46
	v_dual_mul_f64 v[40:41], v[40:41], v[40:41] :: v_dual_sub_nc_u32 v44, 0, v59
	s_delay_alu instid0(VALU_DEP_1) | instskip(NEXT) | instid1(VALU_DEP_2)
	v_ldexp_f64 v[16:17], v[42:43], v44
	v_fmac_f64_e32 v[40:41], v[46:47], v[46:47]
	s_delay_alu instid0(VALU_DEP_2) | instskip(SKIP_1) | instid1(VALU_DEP_3)
	v_mul_f64_e32 v[16:17], v[16:17], v[16:17]
	v_ldexp_f64 v[44:45], |v[20:21]|, v44
	v_rsq_f64_e32 v[46:47], v[40:41]
	v_cmp_eq_f64_e64 s1, 0, v[40:41]
	s_delay_alu instid0(VALU_DEP_2) | instskip(NEXT) | instid1(VALU_DEP_1)
	v_fmac_f64_e32 v[16:17], v[44:45], v[44:45]
	v_rsq_f64_e32 v[44:45], v[16:17]
	v_cmp_eq_f64_e32 vcc_lo, 0, v[16:17]
	s_delay_alu instid0(TRANS32_DEP_1) | instskip(SKIP_1) | instid1(VALU_DEP_1)
	v_mul_f64_e32 v[48:49], v[16:17], v[44:45]
	v_mul_f64_e32 v[44:45], 0.5, v[44:45]
	v_fma_f64 v[52:53], -v[44:45], v[48:49], 0.5
	s_delay_alu instid0(VALU_DEP_1) | instskip(SKIP_1) | instid1(VALU_DEP_2)
	v_fmac_f64_e32 v[48:49], v[48:49], v[52:53]
	v_fmac_f64_e32 v[44:45], v[44:45], v[52:53]
	v_fma_f64 v[52:53], -v[48:49], v[48:49], v[16:17]
	s_delay_alu instid0(VALU_DEP_1) | instskip(NEXT) | instid1(VALU_DEP_1)
	v_fmac_f64_e32 v[48:49], v[52:53], v[44:45]
	v_dual_cndmask_b32 v17, v49, v17 :: v_dual_cndmask_b32 v16, v48, v16
	v_cmp_neq_f64_e32 vcc_lo, 0x7ff00000, v[42:43]
	s_delay_alu instid0(VALU_DEP_2) | instskip(NEXT) | instid1(TRANS32_DEP_2)
	v_ldexp_f64 v[16:17], v[16:17], v59
	v_mul_f64_e32 v[50:51], v[40:41], v[46:47]
	v_mul_f64_e32 v[46:47], 0.5, v[46:47]
	s_delay_alu instid0(VALU_DEP_1) | instskip(NEXT) | instid1(VALU_DEP_1)
	v_fma_f64 v[54:55], -v[46:47], v[50:51], 0.5
	v_fmac_f64_e32 v[50:51], v[50:51], v[54:55]
	v_fmac_f64_e32 v[46:47], v[46:47], v[54:55]
	s_delay_alu instid0(VALU_DEP_2) | instskip(NEXT) | instid1(VALU_DEP_1)
	v_fma_f64 v[54:55], -v[50:51], v[50:51], v[40:41]
	v_fmac_f64_e32 v[50:51], v[54:55], v[46:47]
	v_cndmask_b32_e32 v47, 0x7ff00000, v17, vcc_lo
	s_delay_alu instid0(VALU_DEP_2) | instskip(NEXT) | instid1(VALU_DEP_3)
	v_dual_cndmask_b32 v46, 0, v16, vcc_lo :: v_dual_cndmask_b32 v41, v51, v41, s1
	v_cndmask_b32_e64 v40, v50, v40, s1
	v_cmp_neq_f64_e64 s1, 0x7ff00000, |v[14:15]|
	s_delay_alu instid0(VALU_DEP_2) | instskip(NEXT) | instid1(VALU_DEP_1)
	v_ldexp_f64 v[40:41], v[40:41], v60
	v_cndmask_b32_e64 v45, 0x7ff00000, v41, s1
	s_delay_alu instid0(VALU_DEP_2) | instskip(SKIP_1) | instid1(VALU_DEP_1)
	v_cndmask_b32_e64 v44, 0, v40, s1
	s_mov_b32 s1, exec_lo
	v_add_f64_e32 v[16:17], v[46:47], v[44:45]
	s_delay_alu instid0(VALU_DEP_1) | instskip(NEXT) | instid1(VALU_DEP_1)
	v_mul_f64_e32 v[16:17], 0.5, v[16:17]
	v_cmp_ngt_f64_e32 vcc_lo, 1.0, v[16:17]
	v_cndmask_b32_e32 v41, 0x3ff00000, v17, vcc_lo
	v_cndmask_b32_e32 v40, 0, v16, vcc_lo
                                        ; implicit-def: $vgpr16_vgpr17
	s_delay_alu instid0(VALU_DEP_1)
	v_cmpx_ngt_f64_e32 0x40240000, v[40:41]
	s_xor_b32 s1, exec_lo, s1
	s_cbranch_execz .LBB48_542
; %bb.541:                              ;   in Loop: Header=BB48_434 Depth=1
	v_fma_f64 v[16:17], v[40:41], v[40:41], -1.0
	s_delay_alu instid0(VALU_DEP_1) | instskip(SKIP_1) | instid1(VALU_DEP_1)
	v_cmp_gt_f64_e32 vcc_lo, 0x10000000, v[16:17]
	v_cndmask_b32_e64 v48, 0, 0x100, vcc_lo
	v_ldexp_f64 v[16:17], v[16:17], v48
	s_delay_alu instid0(VALU_DEP_1) | instskip(SKIP_1) | instid1(TRANS32_DEP_1)
	v_rsq_f64_e32 v[48:49], v[16:17]
	v_nop
	v_mul_f64_e32 v[50:51], v[16:17], v[48:49]
	v_mul_f64_e32 v[48:49], 0.5, v[48:49]
	s_delay_alu instid0(VALU_DEP_1) | instskip(NEXT) | instid1(VALU_DEP_1)
	v_fma_f64 v[52:53], -v[48:49], v[50:51], 0.5
	v_fmac_f64_e32 v[50:51], v[50:51], v[52:53]
	v_fmac_f64_e32 v[48:49], v[48:49], v[52:53]
	s_delay_alu instid0(VALU_DEP_2) | instskip(NEXT) | instid1(VALU_DEP_1)
	v_fma_f64 v[52:53], -v[50:51], v[50:51], v[16:17]
	v_fmac_f64_e32 v[50:51], v[52:53], v[48:49]
	s_delay_alu instid0(VALU_DEP_1) | instskip(NEXT) | instid1(VALU_DEP_1)
	v_fma_f64 v[52:53], -v[50:51], v[50:51], v[16:17]
	v_fmac_f64_e32 v[50:51], v[52:53], v[48:49]
	v_cndmask_b32_e64 v48, 0, 0xffffff80, vcc_lo
	v_cmp_class_f64_e64 vcc_lo, v[16:17], 0x260
	s_delay_alu instid0(VALU_DEP_2) | instskip(NEXT) | instid1(VALU_DEP_1)
	v_ldexp_f64 v[48:49], v[50:51], v48
	v_dual_cndmask_b32 v17, v49, v17 :: v_dual_cndmask_b32 v16, v48, v16
	s_delay_alu instid0(VALU_DEP_1) | instskip(NEXT) | instid1(VALU_DEP_1)
	v_add_f64_e32 v[16:17], v[40:41], v[16:17]
	v_frexp_mant_f64_e32 v[48:49], v[16:17]
	v_frexp_exp_i32_f64_e32 v59, v[16:17]
	s_delay_alu instid0(VALU_DEP_2) | instskip(SKIP_1) | instid1(VALU_DEP_3)
	v_cmp_gt_f64_e32 vcc_lo, s[6:7], v[48:49]
	v_cndmask_b32_e64 v50, 0, 1, vcc_lo
	v_subrev_co_ci_u32_e64 v59, null, 0, v59, vcc_lo
	v_cmp_class_f64_e64 vcc_lo, v[16:17], 0x204
	s_delay_alu instid0(VALU_DEP_3) | instskip(NEXT) | instid1(VALU_DEP_1)
	v_ldexp_f64 v[48:49], v[48:49], v50
	v_add_f64_e32 v[50:51], 1.0, v[48:49]
	v_add_f64_e32 v[60:61], -1.0, v[48:49]
	s_delay_alu instid0(VALU_DEP_2) | instskip(SKIP_1) | instid1(VALU_DEP_1)
	v_rcp_f64_e32 v[52:53], v[50:51]
	v_add_f64_e32 v[62:63], -1.0, v[50:51]
	v_add_f64_e64 v[48:49], v[48:49], -v[62:63]
	s_delay_alu instid0(TRANS32_DEP_1) | instskip(NEXT) | instid1(VALU_DEP_1)
	v_fma_f64 v[54:55], -v[50:51], v[52:53], 1.0
	v_fmac_f64_e32 v[52:53], v[54:55], v[52:53]
	s_delay_alu instid0(VALU_DEP_1) | instskip(NEXT) | instid1(VALU_DEP_1)
	v_fma_f64 v[54:55], -v[50:51], v[52:53], 1.0
	v_fmac_f64_e32 v[52:53], v[54:55], v[52:53]
	s_delay_alu instid0(VALU_DEP_1) | instskip(NEXT) | instid1(VALU_DEP_1)
	v_mul_f64_e32 v[54:55], v[60:61], v[52:53]
	v_mul_f64_e32 v[64:65], v[50:51], v[54:55]
	s_delay_alu instid0(VALU_DEP_1) | instskip(NEXT) | instid1(VALU_DEP_1)
	v_fma_f64 v[50:51], v[54:55], v[50:51], -v[64:65]
	v_fmac_f64_e32 v[50:51], v[54:55], v[48:49]
	s_delay_alu instid0(VALU_DEP_1) | instskip(NEXT) | instid1(VALU_DEP_1)
	v_add_f64_e32 v[48:49], v[64:65], v[50:51]
	v_add_f64_e64 v[62:63], v[60:61], -v[48:49]
	v_add_f64_e64 v[64:65], v[48:49], -v[64:65]
	s_delay_alu instid0(VALU_DEP_2) | instskip(NEXT) | instid1(VALU_DEP_2)
	v_add_f64_e64 v[60:61], v[60:61], -v[62:63]
	v_add_f64_e64 v[50:51], v[64:65], -v[50:51]
	s_delay_alu instid0(VALU_DEP_2) | instskip(NEXT) | instid1(VALU_DEP_1)
	v_add_f64_e64 v[48:49], v[60:61], -v[48:49]
	v_add_f64_e32 v[48:49], v[50:51], v[48:49]
	s_delay_alu instid0(VALU_DEP_1) | instskip(NEXT) | instid1(VALU_DEP_1)
	v_add_f64_e32 v[48:49], v[62:63], v[48:49]
	v_mul_f64_e32 v[48:49], v[52:53], v[48:49]
	s_delay_alu instid0(VALU_DEP_1) | instskip(NEXT) | instid1(VALU_DEP_1)
	v_add_f64_e32 v[50:51], v[54:55], v[48:49]
	v_mul_f64_e32 v[52:53], v[50:51], v[50:51]
	s_delay_alu instid0(VALU_DEP_1) | instskip(SKIP_1) | instid1(VALU_DEP_2)
	v_fmamk_f64 v[60:61], v[52:53], 0x3fc3ab76bf559e2b, v[28:29]
	v_mul_f64_e32 v[62:63], v[50:51], v[52:53]
	v_fmaak_f64 v[60:61], v[52:53], v[60:61], 0x3fc7474dd7f4df2e
	s_delay_alu instid0(VALU_DEP_1) | instskip(NEXT) | instid1(VALU_DEP_1)
	v_fmaak_f64 v[60:61], v[52:53], v[60:61], 0x3fcc71c016291751
	v_fmaak_f64 v[60:61], v[52:53], v[60:61], 0x3fd249249b27acf1
	s_delay_alu instid0(VALU_DEP_1) | instskip(NEXT) | instid1(VALU_DEP_1)
	v_fmaak_f64 v[60:61], v[52:53], v[60:61], 0x3fd99999998ef7b6
	v_fmaak_f64 v[52:53], v[52:53], v[60:61], 0x3fe5555555555780
	v_ldexp_f64 v[60:61], v[50:51], 1
	v_add_f64_e64 v[50:51], v[50:51], -v[54:55]
	s_delay_alu instid0(VALU_DEP_3) | instskip(SKIP_1) | instid1(VALU_DEP_3)
	v_mul_f64_e32 v[52:53], v[62:63], v[52:53]
	v_cvt_f64_i32_e32 v[62:63], v59
	v_add_f64_e64 v[48:49], v[48:49], -v[50:51]
	s_delay_alu instid0(VALU_DEP_3) | instskip(NEXT) | instid1(VALU_DEP_3)
	v_add_f64_e32 v[54:55], v[60:61], v[52:53]
	v_mul_f64_e32 v[64:65], 0x3fe62e42fefa39ef, v[62:63]
	s_delay_alu instid0(VALU_DEP_3) | instskip(NEXT) | instid1(VALU_DEP_3)
	v_ldexp_f64 v[48:49], v[48:49], 1
	v_add_f64_e64 v[50:51], v[54:55], -v[60:61]
	s_delay_alu instid0(VALU_DEP_3) | instskip(NEXT) | instid1(VALU_DEP_2)
	v_fma_f64 v[60:61], v[62:63], s[8:9], -v[64:65]
	v_add_f64_e64 v[50:51], v[52:53], -v[50:51]
	s_delay_alu instid0(VALU_DEP_2) | instskip(NEXT) | instid1(VALU_DEP_2)
	v_fmac_f64_e32 v[60:61], 0x3c7abc9e3b39803f, v[62:63]
	v_add_f64_e32 v[48:49], v[48:49], v[50:51]
	s_delay_alu instid0(VALU_DEP_2) | instskip(NEXT) | instid1(VALU_DEP_2)
	v_add_f64_e32 v[50:51], v[64:65], v[60:61]
	v_add_f64_e32 v[52:53], v[54:55], v[48:49]
	s_delay_alu instid0(VALU_DEP_2) | instskip(NEXT) | instid1(VALU_DEP_2)
	v_add_f64_e64 v[64:65], v[50:51], -v[64:65]
	v_add_f64_e32 v[62:63], v[50:51], v[52:53]
	v_add_f64_e64 v[54:55], v[52:53], -v[54:55]
	s_delay_alu instid0(VALU_DEP_3) | instskip(NEXT) | instid1(VALU_DEP_3)
	v_add_f64_e64 v[60:61], v[60:61], -v[64:65]
	v_add_f64_e64 v[66:67], v[62:63], -v[50:51]
	s_delay_alu instid0(VALU_DEP_3) | instskip(NEXT) | instid1(VALU_DEP_2)
	v_add_f64_e64 v[48:49], v[48:49], -v[54:55]
	v_add_f64_e64 v[68:69], v[62:63], -v[66:67]
	;; [unrolled: 1-line block ×3, first 2 shown]
	s_delay_alu instid0(VALU_DEP_3) | instskip(NEXT) | instid1(VALU_DEP_3)
	v_add_f64_e32 v[54:55], v[60:61], v[48:49]
	v_add_f64_e64 v[50:51], v[50:51], -v[68:69]
	s_delay_alu instid0(VALU_DEP_1) | instskip(NEXT) | instid1(VALU_DEP_3)
	v_add_f64_e32 v[50:51], v[52:53], v[50:51]
	v_add_f64_e64 v[52:53], v[54:55], -v[60:61]
	s_delay_alu instid0(VALU_DEP_2) | instskip(NEXT) | instid1(VALU_DEP_2)
	v_add_f64_e32 v[50:51], v[54:55], v[50:51]
	v_add_f64_e64 v[54:55], v[54:55], -v[52:53]
	v_add_f64_e64 v[48:49], v[48:49], -v[52:53]
	s_delay_alu instid0(VALU_DEP_3) | instskip(NEXT) | instid1(VALU_DEP_3)
	v_add_f64_e32 v[64:65], v[62:63], v[50:51]
	v_add_f64_e64 v[52:53], v[60:61], -v[54:55]
	s_delay_alu instid0(VALU_DEP_2) | instskip(NEXT) | instid1(VALU_DEP_2)
	v_add_f64_e64 v[54:55], v[64:65], -v[62:63]
	v_add_f64_e32 v[48:49], v[48:49], v[52:53]
	s_delay_alu instid0(VALU_DEP_2) | instskip(NEXT) | instid1(VALU_DEP_1)
	v_add_f64_e64 v[50:51], v[50:51], -v[54:55]
	v_add_f64_e32 v[48:49], v[48:49], v[50:51]
	s_delay_alu instid0(VALU_DEP_1) | instskip(NEXT) | instid1(VALU_DEP_1)
	v_add_f64_e32 v[48:49], v[64:65], v[48:49]
	v_dual_cndmask_b32 v48, v48, v16 :: v_dual_cndmask_b32 v49, v49, v17
	v_cmp_neq_f64_e32 vcc_lo, 0, v[16:17]
	s_delay_alu instid0(VALU_DEP_2) | instskip(NEXT) | instid1(VALU_DEP_3)
	v_cndmask_b32_e32 v17, 0xfff00000, v49, vcc_lo
	v_cndmask_b32_e32 v16, 0, v48, vcc_lo
.LBB48_542:                             ;   in Loop: Header=BB48_434 Depth=1
	s_or_saveexec_b32 s36, s1
	v_and_b32_e32 v49, 0x7fffffff, v21
	v_mov_b32_e32 v48, v20
	s_xor_b32 exec_lo, exec_lo, s36
	s_cbranch_execz .LBB48_564
; %bb.543:                              ;   in Loop: Header=BB48_434 Depth=1
	v_cmp_neq_f64_e64 s1, |v[18:19]|, 1.0
	v_cmp_ngt_f64_e64 s2, 0x39000000, |v[20:21]|
                                        ; implicit-def: $vgpr16_vgpr17
	s_or_b32 s1, s1, s2
	s_delay_alu instid0(SALU_CYCLE_1) | instskip(NEXT) | instid1(SALU_CYCLE_1)
	s_and_saveexec_b32 s2, s1
	s_xor_b32 s37, exec_lo, s2
	s_cbranch_execz .LBB48_561
; %bb.544:                              ;   in Loop: Header=BB48_434 Depth=1
	v_ldexp_f64 v[16:17], |v[14:15]|, 0xffffffcc
	s_delay_alu instid0(VALU_DEP_1) | instskip(SKIP_1) | instid1(SALU_CYCLE_1)
	v_cmp_ge_f64_e64 s1, |v[20:21]|, v[16:17]
                                        ; implicit-def: $vgpr16_vgpr17
	s_and_saveexec_b32 s2, s1
	s_xor_b32 s38, exec_lo, s2
	s_cbranch_execz .LBB48_554
; %bb.545:                              ;   in Loop: Header=BB48_434 Depth=1
	v_mov_b64_e32 v[16:17], v[48:49]
	s_mov_b32 s1, exec_lo
	v_cmpx_neq_f64_e32 0, v[42:43]
	s_cbranch_execz .LBB48_547
; %bb.546:                              ;   in Loop: Header=BB48_434 Depth=1
	v_mul_f64_e32 v[16:17], v[20:21], v[20:21]
	v_add_f64_e32 v[50:51], v[42:43], v[46:47]
	s_delay_alu instid0(VALU_DEP_1) | instskip(NEXT) | instid1(VALU_DEP_1)
	v_div_scale_f64 v[52:53], null, v[50:51], v[50:51], v[16:17]
	v_rcp_f64_e32 v[54:55], v[52:53]
	v_nop
	s_delay_alu instid0(TRANS32_DEP_1) | instskip(NEXT) | instid1(VALU_DEP_1)
	v_fma_f64 v[60:61], -v[52:53], v[54:55], 1.0
	v_fmac_f64_e32 v[54:55], v[54:55], v[60:61]
	s_delay_alu instid0(VALU_DEP_1) | instskip(NEXT) | instid1(VALU_DEP_1)
	v_fma_f64 v[60:61], -v[52:53], v[54:55], 1.0
	v_fmac_f64_e32 v[54:55], v[54:55], v[60:61]
	v_div_scale_f64 v[60:61], vcc_lo, v[16:17], v[50:51], v[16:17]
	s_delay_alu instid0(VALU_DEP_1) | instskip(NEXT) | instid1(VALU_DEP_1)
	v_mul_f64_e32 v[62:63], v[60:61], v[54:55]
	v_fma_f64 v[52:53], -v[52:53], v[62:63], v[60:61]
	s_delay_alu instid0(VALU_DEP_1) | instskip(NEXT) | instid1(VALU_DEP_1)
	v_div_fmas_f64 v[52:53], v[52:53], v[54:55], v[62:63]
	v_div_fixup_f64 v[16:17], v[52:53], v[50:51], v[16:17]
.LBB48_547:                             ;   in Loop: Header=BB48_434 Depth=1
	s_or_b32 exec_lo, exec_lo, s1
	v_add_f64_e64 v[52:53], -|v[18:19]|, 1.0
	s_mov_b32 s1, exec_lo
                                        ; implicit-def: $vgpr50_vgpr51
	s_delay_alu instid0(VALU_DEP_1)
	v_cmpx_ngt_f64_e32 0, v[52:53]
	s_xor_b32 s1, exec_lo, s1
	s_cbranch_execz .LBB48_551
; %bb.548:                              ;   in Loop: Header=BB48_434 Depth=1
	v_mov_b64_e32 v[50:51], v[48:49]
	s_mov_b32 s2, exec_lo
	v_cmpx_neq_f64_e32 0, v[52:53]
	s_cbranch_execz .LBB48_550
; %bb.549:                              ;   in Loop: Header=BB48_434 Depth=1
	v_mul_f64_e32 v[50:51], v[20:21], v[20:21]
	v_add_f64_e32 v[52:53], v[52:53], v[44:45]
	s_delay_alu instid0(VALU_DEP_1) | instskip(NEXT) | instid1(VALU_DEP_1)
	v_div_scale_f64 v[54:55], null, v[52:53], v[52:53], v[50:51]
	v_rcp_f64_e32 v[60:61], v[54:55]
	v_nop
	s_delay_alu instid0(TRANS32_DEP_1) | instskip(NEXT) | instid1(VALU_DEP_1)
	v_fma_f64 v[62:63], -v[54:55], v[60:61], 1.0
	v_fmac_f64_e32 v[60:61], v[60:61], v[62:63]
	s_delay_alu instid0(VALU_DEP_1) | instskip(NEXT) | instid1(VALU_DEP_1)
	v_fma_f64 v[62:63], -v[54:55], v[60:61], 1.0
	v_fmac_f64_e32 v[60:61], v[60:61], v[62:63]
	v_div_scale_f64 v[62:63], vcc_lo, v[50:51], v[52:53], v[50:51]
	s_delay_alu instid0(VALU_DEP_1) | instskip(NEXT) | instid1(VALU_DEP_1)
	v_mul_f64_e32 v[64:65], v[62:63], v[60:61]
	v_fma_f64 v[54:55], -v[54:55], v[64:65], v[62:63]
	s_delay_alu instid0(VALU_DEP_1) | instskip(NEXT) | instid1(VALU_DEP_1)
	v_div_fmas_f64 v[54:55], v[54:55], v[60:61], v[64:65]
	v_div_fixup_f64 v[50:51], v[54:55], v[52:53], v[50:51]
.LBB48_550:                             ;   in Loop: Header=BB48_434 Depth=1
	s_or_b32 exec_lo, exec_lo, s2
                                        ; implicit-def: $vgpr52_vgpr53
.LBB48_551:                             ;   in Loop: Header=BB48_434 Depth=1
	s_and_not1_saveexec_b32 s1, s1
; %bb.552:                              ;   in Loop: Header=BB48_434 Depth=1
	v_add_f64_e64 v[50:51], v[44:45], -v[52:53]
; %bb.553:                              ;   in Loop: Header=BB48_434 Depth=1
	s_or_b32 exec_lo, exec_lo, s1
	s_delay_alu instid0(VALU_DEP_1) | instskip(SKIP_1) | instid1(VALU_DEP_2)
	v_mul_f64_e32 v[50:51], 0.5, v[50:51]
	v_add_f64_e32 v[52:53], 1.0, v[40:41]
	v_fmac_f64_e32 v[50:51], 0.5, v[16:17]
	s_delay_alu instid0(VALU_DEP_1) | instskip(NEXT) | instid1(VALU_DEP_1)
	v_mul_f64_e32 v[16:17], v[52:53], v[50:51]
	v_cmp_gt_f64_e32 vcc_lo, 0x10000000, v[16:17]
	v_cndmask_b32_e64 v52, 0, 0x100, vcc_lo
	s_delay_alu instid0(VALU_DEP_1) | instskip(NEXT) | instid1(VALU_DEP_1)
	v_ldexp_f64 v[16:17], v[16:17], v52
	v_rsq_f64_e32 v[52:53], v[16:17]
	v_nop
	s_delay_alu instid0(TRANS32_DEP_1) | instskip(SKIP_1) | instid1(VALU_DEP_1)
	v_mul_f64_e32 v[54:55], v[16:17], v[52:53]
	v_mul_f64_e32 v[52:53], 0.5, v[52:53]
	v_fma_f64 v[60:61], -v[52:53], v[54:55], 0.5
	s_delay_alu instid0(VALU_DEP_1) | instskip(SKIP_1) | instid1(VALU_DEP_2)
	v_fmac_f64_e32 v[54:55], v[54:55], v[60:61]
	v_fmac_f64_e32 v[52:53], v[52:53], v[60:61]
	v_fma_f64 v[60:61], -v[54:55], v[54:55], v[16:17]
	s_delay_alu instid0(VALU_DEP_1) | instskip(NEXT) | instid1(VALU_DEP_1)
	v_fmac_f64_e32 v[54:55], v[60:61], v[52:53]
	v_fma_f64 v[60:61], -v[54:55], v[54:55], v[16:17]
	s_delay_alu instid0(VALU_DEP_1) | instskip(SKIP_2) | instid1(VALU_DEP_2)
	v_fmac_f64_e32 v[54:55], v[60:61], v[52:53]
	v_cndmask_b32_e64 v52, 0, 0xffffff80, vcc_lo
	v_cmp_class_f64_e64 vcc_lo, v[16:17], 0x260
	v_ldexp_f64 v[52:53], v[54:55], v52
	s_delay_alu instid0(VALU_DEP_1) | instskip(NEXT) | instid1(VALU_DEP_1)
	v_dual_cndmask_b32 v17, v53, v17 :: v_dual_cndmask_b32 v16, v52, v16
	v_add_f64_e32 v[50:51], v[50:51], v[16:17]
	s_delay_alu instid0(VALU_DEP_1) | instskip(SKIP_2) | instid1(VALU_DEP_3)
	v_add_f64_e32 v[16:17], 1.0, v[50:51]
	v_cmp_neq_f64_e64 s1, 0x7ff00000, v[50:51]
	v_cmp_ngt_f64_e64 s2, -1.0, v[50:51]
	v_frexp_mant_f64_e32 v[52:53], v[16:17]
	v_frexp_exp_i32_f64_e32 v59, v[16:17]
	v_add_f64_e32 v[54:55], -1.0, v[16:17]
	s_delay_alu instid0(VALU_DEP_3) | instskip(NEXT) | instid1(VALU_DEP_2)
	v_cmp_gt_f64_e32 vcc_lo, s[6:7], v[52:53]
	v_add_f64_e64 v[52:53], v[54:55], -v[16:17]
	v_add_f64_e64 v[54:55], v[50:51], -v[54:55]
	v_subrev_co_ci_u32_e64 v59, null, 0, v59, vcc_lo
	s_delay_alu instid0(VALU_DEP_3) | instskip(SKIP_1) | instid1(VALU_DEP_3)
	v_add_f64_e32 v[52:53], 1.0, v[52:53]
	v_cmp_nge_f64_e32 vcc_lo, -1.0, v[50:51]
	v_sub_nc_u32_e32 v62, 0, v59
	s_delay_alu instid0(VALU_DEP_1) | instskip(NEXT) | instid1(VALU_DEP_4)
	v_ldexp_f64 v[16:17], v[16:17], v62
	v_add_f64_e32 v[52:53], v[54:55], v[52:53]
	s_and_b32 vcc_lo, vcc_lo, s1
	s_delay_alu instid0(VALU_DEP_2) | instskip(SKIP_1) | instid1(VALU_DEP_3)
	v_add_f64_e32 v[60:61], 1.0, v[16:17]
	v_add_f64_e32 v[66:67], -1.0, v[16:17]
	v_ldexp_f64 v[52:53], v[52:53], v62
	s_delay_alu instid0(VALU_DEP_3) | instskip(NEXT) | instid1(VALU_DEP_3)
	v_add_f64_e32 v[54:55], -1.0, v[60:61]
	v_add_f64_e32 v[68:69], 1.0, v[66:67]
	s_delay_alu instid0(VALU_DEP_2) | instskip(NEXT) | instid1(VALU_DEP_2)
	v_add_f64_e64 v[54:55], v[16:17], -v[54:55]
	v_add_f64_e64 v[16:17], v[16:17], -v[68:69]
	s_delay_alu instid0(VALU_DEP_2) | instskip(NEXT) | instid1(VALU_DEP_2)
	v_add_f64_e32 v[54:55], v[52:53], v[54:55]
	v_add_f64_e32 v[16:17], v[52:53], v[16:17]
	s_delay_alu instid0(VALU_DEP_2) | instskip(NEXT) | instid1(VALU_DEP_2)
	v_add_f64_e32 v[62:63], v[60:61], v[54:55]
	v_add_f64_e32 v[68:69], v[66:67], v[16:17]
	s_delay_alu instid0(VALU_DEP_2) | instskip(SKIP_1) | instid1(VALU_DEP_2)
	v_rcp_f64_e32 v[64:65], v[62:63]
	v_add_f64_e64 v[60:61], v[62:63], -v[60:61]
	v_add_f64_e64 v[66:67], v[68:69], -v[66:67]
	s_delay_alu instid0(VALU_DEP_2) | instskip(NEXT) | instid1(VALU_DEP_2)
	v_add_f64_e64 v[54:55], v[54:55], -v[60:61]
	v_add_f64_e64 v[16:17], v[16:17], -v[66:67]
	s_delay_alu instid0(TRANS32_DEP_1) | instskip(NEXT) | instid1(VALU_DEP_1)
	v_fma_f64 v[70:71], -v[62:63], v[64:65], 1.0
	v_fmac_f64_e32 v[64:65], v[70:71], v[64:65]
	s_delay_alu instid0(VALU_DEP_1) | instskip(NEXT) | instid1(VALU_DEP_1)
	v_fma_f64 v[52:53], -v[62:63], v[64:65], 1.0
	v_fmac_f64_e32 v[64:65], v[52:53], v[64:65]
	s_delay_alu instid0(VALU_DEP_1) | instskip(NEXT) | instid1(VALU_DEP_1)
	v_mul_f64_e32 v[52:53], v[68:69], v[64:65]
	v_mul_f64_e32 v[70:71], v[62:63], v[52:53]
	s_delay_alu instid0(VALU_DEP_1) | instskip(NEXT) | instid1(VALU_DEP_1)
	v_fma_f64 v[60:61], v[52:53], v[62:63], -v[70:71]
	v_fmac_f64_e32 v[60:61], v[52:53], v[54:55]
	s_delay_alu instid0(VALU_DEP_1) | instskip(NEXT) | instid1(VALU_DEP_1)
	v_add_f64_e32 v[72:73], v[70:71], v[60:61]
	v_add_f64_e64 v[74:75], v[68:69], -v[72:73]
	v_add_f64_e64 v[66:67], v[72:73], -v[70:71]
	s_delay_alu instid0(VALU_DEP_2) | instskip(NEXT) | instid1(VALU_DEP_2)
	v_add_f64_e64 v[68:69], v[68:69], -v[74:75]
	v_add_f64_e64 v[60:61], v[66:67], -v[60:61]
	s_delay_alu instid0(VALU_DEP_2) | instskip(NEXT) | instid1(VALU_DEP_1)
	v_add_f64_e64 v[68:69], v[68:69], -v[72:73]
	v_add_f64_e32 v[16:17], v[16:17], v[68:69]
	s_delay_alu instid0(VALU_DEP_1) | instskip(NEXT) | instid1(VALU_DEP_1)
	v_add_f64_e32 v[16:17], v[60:61], v[16:17]
	v_add_f64_e32 v[60:61], v[74:75], v[16:17]
	s_delay_alu instid0(VALU_DEP_1) | instskip(SKIP_1) | instid1(VALU_DEP_2)
	v_mul_f64_e32 v[66:67], v[64:65], v[60:61]
	v_add_f64_e64 v[72:73], v[74:75], -v[60:61]
	v_mul_f64_e32 v[68:69], v[62:63], v[66:67]
	s_delay_alu instid0(VALU_DEP_2) | instskip(NEXT) | instid1(VALU_DEP_2)
	v_add_f64_e32 v[16:17], v[16:17], v[72:73]
	v_fma_f64 v[62:63], v[66:67], v[62:63], -v[68:69]
	s_delay_alu instid0(VALU_DEP_1) | instskip(NEXT) | instid1(VALU_DEP_1)
	v_fmac_f64_e32 v[62:63], v[66:67], v[54:55]
	v_add_f64_e32 v[54:55], v[68:69], v[62:63]
	s_delay_alu instid0(VALU_DEP_1) | instskip(SKIP_1) | instid1(VALU_DEP_2)
	v_add_f64_e64 v[70:71], v[60:61], -v[54:55]
	v_add_f64_e64 v[68:69], v[54:55], -v[68:69]
	;; [unrolled: 1-line block ×3, first 2 shown]
	s_delay_alu instid0(VALU_DEP_1) | instskip(NEXT) | instid1(VALU_DEP_3)
	v_add_f64_e64 v[54:55], v[60:61], -v[54:55]
	v_add_f64_e64 v[60:61], v[68:69], -v[62:63]
	s_delay_alu instid0(VALU_DEP_2) | instskip(SKIP_1) | instid1(VALU_DEP_2)
	v_add_f64_e32 v[16:17], v[16:17], v[54:55]
	v_add_f64_e32 v[54:55], v[52:53], v[66:67]
	;; [unrolled: 1-line block ×3, first 2 shown]
	s_delay_alu instid0(VALU_DEP_2) | instskip(NEXT) | instid1(VALU_DEP_2)
	v_add_f64_e64 v[52:53], v[54:55], -v[52:53]
	v_add_f64_e32 v[16:17], v[70:71], v[16:17]
	s_delay_alu instid0(VALU_DEP_2) | instskip(NEXT) | instid1(VALU_DEP_2)
	v_add_f64_e64 v[52:53], v[66:67], -v[52:53]
	v_mul_f64_e32 v[16:17], v[64:65], v[16:17]
	s_delay_alu instid0(VALU_DEP_1) | instskip(NEXT) | instid1(VALU_DEP_1)
	v_add_f64_e32 v[16:17], v[52:53], v[16:17]
	v_add_f64_e32 v[52:53], v[54:55], v[16:17]
	s_delay_alu instid0(VALU_DEP_1) | instskip(NEXT) | instid1(VALU_DEP_1)
	v_mul_f64_e32 v[60:61], v[52:53], v[52:53]
	v_fmamk_f64 v[62:63], v[60:61], 0x3fc3ab76bf559e2b, v[28:29]
	v_mul_f64_e32 v[64:65], v[52:53], v[60:61]
	s_delay_alu instid0(VALU_DEP_2) | instskip(NEXT) | instid1(VALU_DEP_1)
	v_fmaak_f64 v[62:63], v[60:61], v[62:63], 0x3fc7474dd7f4df2e
	v_fmaak_f64 v[62:63], v[60:61], v[62:63], 0x3fcc71c016291751
	s_delay_alu instid0(VALU_DEP_1) | instskip(NEXT) | instid1(VALU_DEP_1)
	v_fmaak_f64 v[62:63], v[60:61], v[62:63], 0x3fd249249b27acf1
	v_fmaak_f64 v[62:63], v[60:61], v[62:63], 0x3fd99999998ef7b6
	s_delay_alu instid0(VALU_DEP_1) | instskip(SKIP_2) | instid1(VALU_DEP_3)
	v_fmaak_f64 v[60:61], v[60:61], v[62:63], 0x3fe5555555555780
	v_ldexp_f64 v[62:63], v[52:53], 1
	v_add_f64_e64 v[52:53], v[52:53], -v[54:55]
	v_mul_f64_e32 v[60:61], v[64:65], v[60:61]
	v_cvt_f64_i32_e32 v[64:65], v59
	s_delay_alu instid0(VALU_DEP_3) | instskip(NEXT) | instid1(VALU_DEP_3)
	v_add_f64_e64 v[16:17], v[16:17], -v[52:53]
	v_add_f64_e32 v[54:55], v[62:63], v[60:61]
	s_delay_alu instid0(VALU_DEP_3) | instskip(NEXT) | instid1(VALU_DEP_3)
	v_mul_f64_e32 v[66:67], 0x3fe62e42fefa39ef, v[64:65]
	v_ldexp_f64 v[16:17], v[16:17], 1
	s_delay_alu instid0(VALU_DEP_3) | instskip(NEXT) | instid1(VALU_DEP_3)
	v_add_f64_e64 v[52:53], v[54:55], -v[62:63]
	v_fma_f64 v[62:63], v[64:65], s[8:9], -v[66:67]
	s_delay_alu instid0(VALU_DEP_2) | instskip(NEXT) | instid1(VALU_DEP_2)
	v_add_f64_e64 v[52:53], v[60:61], -v[52:53]
	v_fmac_f64_e32 v[62:63], 0x3c7abc9e3b39803f, v[64:65]
	s_delay_alu instid0(VALU_DEP_2) | instskip(NEXT) | instid1(VALU_DEP_2)
	v_add_f64_e32 v[16:17], v[16:17], v[52:53]
	v_add_f64_e32 v[52:53], v[66:67], v[62:63]
	s_delay_alu instid0(VALU_DEP_2) | instskip(NEXT) | instid1(VALU_DEP_2)
	v_add_f64_e32 v[60:61], v[54:55], v[16:17]
	v_add_f64_e64 v[66:67], v[52:53], -v[66:67]
	s_delay_alu instid0(VALU_DEP_2) | instskip(SKIP_1) | instid1(VALU_DEP_3)
	v_add_f64_e32 v[64:65], v[52:53], v[60:61]
	v_add_f64_e64 v[54:55], v[60:61], -v[54:55]
	v_add_f64_e64 v[62:63], v[62:63], -v[66:67]
	s_delay_alu instid0(VALU_DEP_3) | instskip(NEXT) | instid1(VALU_DEP_3)
	v_add_f64_e64 v[68:69], v[64:65], -v[52:53]
	v_add_f64_e64 v[16:17], v[16:17], -v[54:55]
	s_delay_alu instid0(VALU_DEP_2) | instskip(SKIP_1) | instid1(VALU_DEP_3)
	v_add_f64_e64 v[70:71], v[64:65], -v[68:69]
	v_add_f64_e64 v[54:55], v[60:61], -v[68:69]
	v_add_f64_e32 v[60:61], v[62:63], v[16:17]
	s_delay_alu instid0(VALU_DEP_3) | instskip(NEXT) | instid1(VALU_DEP_1)
	v_add_f64_e64 v[52:53], v[52:53], -v[70:71]
	v_add_f64_e32 v[52:53], v[54:55], v[52:53]
	s_delay_alu instid0(VALU_DEP_3) | instskip(NEXT) | instid1(VALU_DEP_2)
	v_add_f64_e64 v[54:55], v[60:61], -v[62:63]
	v_add_f64_e32 v[52:53], v[60:61], v[52:53]
	s_delay_alu instid0(VALU_DEP_2) | instskip(SKIP_1) | instid1(VALU_DEP_3)
	v_add_f64_e64 v[60:61], v[60:61], -v[54:55]
	v_add_f64_e64 v[16:17], v[16:17], -v[54:55]
	v_add_f64_e32 v[66:67], v[64:65], v[52:53]
	s_delay_alu instid0(VALU_DEP_3) | instskip(NEXT) | instid1(VALU_DEP_2)
	v_add_f64_e64 v[60:61], v[62:63], -v[60:61]
	v_add_f64_e64 v[54:55], v[66:67], -v[64:65]
	s_delay_alu instid0(VALU_DEP_2) | instskip(NEXT) | instid1(VALU_DEP_2)
	v_add_f64_e32 v[16:17], v[16:17], v[60:61]
	v_add_f64_e64 v[52:53], v[52:53], -v[54:55]
	s_delay_alu instid0(VALU_DEP_1) | instskip(NEXT) | instid1(VALU_DEP_1)
	v_add_f64_e32 v[16:17], v[16:17], v[52:53]
	v_add_f64_e32 v[16:17], v[66:67], v[16:17]
	s_delay_alu instid0(VALU_DEP_1) | instskip(SKIP_1) | instid1(VALU_DEP_3)
	v_cndmask_b32_e32 v16, 0, v16, vcc_lo
	v_cmp_neq_f64_e32 vcc_lo, -1.0, v[50:51]
	v_cndmask_b32_e64 v17, 0x7ff00000, v17, s1
	s_delay_alu instid0(VALU_DEP_1) | instskip(NEXT) | instid1(VALU_DEP_1)
	v_cndmask_b32_e64 v17, 0x7ff80000, v17, s2
	v_cndmask_b32_e32 v17, 0xfff00000, v17, vcc_lo
.LBB48_554:                             ;   in Loop: Header=BB48_434 Depth=1
	s_and_not1_saveexec_b32 s38, s38
	s_cbranch_execz .LBB48_560
; %bb.555:                              ;   in Loop: Header=BB48_434 Depth=1
                                        ; implicit-def: $vgpr16_vgpr17
	s_mov_b32 s2, exec_lo
	v_cmpx_nlt_f64_e64 |v[18:19]|, 1.0
	s_xor_b32 s39, exec_lo, s2
	s_cbranch_execz .LBB48_557
; %bb.556:                              ;   in Loop: Header=BB48_434 Depth=1
	v_mul_f64_e32 v[16:17], v[14:15], v[42:43]
	s_delay_alu instid0(VALU_DEP_1) | instskip(SKIP_1) | instid1(VALU_DEP_1)
	v_cmp_gt_f64_e32 vcc_lo, 0x10000000, v[16:17]
	v_cndmask_b32_e64 v50, 0, 0x100, vcc_lo
	v_ldexp_f64 v[16:17], v[16:17], v50
	s_delay_alu instid0(VALU_DEP_1) | instskip(SKIP_1) | instid1(TRANS32_DEP_1)
	v_rsq_f64_e32 v[50:51], v[16:17]
	v_nop
	v_mul_f64_e32 v[52:53], v[16:17], v[50:51]
	v_mul_f64_e32 v[50:51], 0.5, v[50:51]
	s_delay_alu instid0(VALU_DEP_1) | instskip(NEXT) | instid1(VALU_DEP_1)
	v_fma_f64 v[54:55], -v[50:51], v[52:53], 0.5
	v_fmac_f64_e32 v[52:53], v[52:53], v[54:55]
	v_fmac_f64_e32 v[50:51], v[50:51], v[54:55]
	s_delay_alu instid0(VALU_DEP_2) | instskip(NEXT) | instid1(VALU_DEP_1)
	v_fma_f64 v[54:55], -v[52:53], v[52:53], v[16:17]
	v_fmac_f64_e32 v[52:53], v[54:55], v[50:51]
	s_delay_alu instid0(VALU_DEP_1) | instskip(NEXT) | instid1(VALU_DEP_1)
	v_fma_f64 v[54:55], -v[52:53], v[52:53], v[16:17]
	v_fmac_f64_e32 v[52:53], v[54:55], v[50:51]
	v_cndmask_b32_e64 v50, 0, 0xffffff80, vcc_lo
	v_cmp_class_f64_e64 vcc_lo, v[16:17], 0x260
	s_delay_alu instid0(VALU_DEP_2) | instskip(NEXT) | instid1(VALU_DEP_1)
	v_ldexp_f64 v[50:51], v[52:53], v50
	v_dual_cndmask_b32 v17, v51, v17 :: v_dual_cndmask_b32 v16, v50, v16
	s_delay_alu instid0(VALU_DEP_1) | instskip(NEXT) | instid1(VALU_DEP_1)
	v_add_f64_e32 v[50:51], v[14:15], v[16:17]
	v_add_f64_e32 v[16:17], 1.0, v[50:51]
	v_cmp_neq_f64_e64 s1, 0x7ff00000, v[50:51]
	v_cmp_ngt_f64_e64 s2, -1.0, v[50:51]
	s_delay_alu instid0(VALU_DEP_3) | instskip(SKIP_2) | instid1(VALU_DEP_3)
	v_frexp_mant_f64_e32 v[52:53], v[16:17]
	v_frexp_exp_i32_f64_e32 v59, v[16:17]
	v_add_f64_e32 v[54:55], -1.0, v[16:17]
	v_cmp_gt_f64_e32 vcc_lo, s[6:7], v[52:53]
	s_delay_alu instid0(VALU_DEP_2) | instskip(SKIP_2) | instid1(VALU_DEP_3)
	v_add_f64_e64 v[52:53], v[54:55], -v[16:17]
	v_add_f64_e64 v[54:55], v[50:51], -v[54:55]
	v_subrev_co_ci_u32_e64 v59, null, 0, v59, vcc_lo
	v_add_f64_e32 v[52:53], 1.0, v[52:53]
	v_cmp_nge_f64_e32 vcc_lo, -1.0, v[50:51]
	s_delay_alu instid0(VALU_DEP_3) | instskip(NEXT) | instid1(VALU_DEP_1)
	v_sub_nc_u32_e32 v62, 0, v59
	v_ldexp_f64 v[16:17], v[16:17], v62
	s_delay_alu instid0(VALU_DEP_4) | instskip(SKIP_1) | instid1(VALU_DEP_2)
	v_add_f64_e32 v[52:53], v[54:55], v[52:53]
	s_and_b32 vcc_lo, vcc_lo, s1
	v_add_f64_e32 v[60:61], 1.0, v[16:17]
	v_add_f64_e32 v[66:67], -1.0, v[16:17]
	s_delay_alu instid0(VALU_DEP_3) | instskip(NEXT) | instid1(VALU_DEP_3)
	v_ldexp_f64 v[52:53], v[52:53], v62
	v_add_f64_e32 v[54:55], -1.0, v[60:61]
	s_delay_alu instid0(VALU_DEP_3) | instskip(NEXT) | instid1(VALU_DEP_2)
	v_add_f64_e32 v[68:69], 1.0, v[66:67]
	v_add_f64_e64 v[54:55], v[16:17], -v[54:55]
	s_delay_alu instid0(VALU_DEP_2) | instskip(NEXT) | instid1(VALU_DEP_2)
	v_add_f64_e64 v[16:17], v[16:17], -v[68:69]
	v_add_f64_e32 v[54:55], v[52:53], v[54:55]
	s_delay_alu instid0(VALU_DEP_2) | instskip(NEXT) | instid1(VALU_DEP_2)
	v_add_f64_e32 v[16:17], v[52:53], v[16:17]
	v_add_f64_e32 v[62:63], v[60:61], v[54:55]
	s_delay_alu instid0(VALU_DEP_2) | instskip(NEXT) | instid1(VALU_DEP_2)
	v_add_f64_e32 v[68:69], v[66:67], v[16:17]
	v_rcp_f64_e32 v[64:65], v[62:63]
	v_add_f64_e64 v[60:61], v[62:63], -v[60:61]
	s_delay_alu instid0(VALU_DEP_2) | instskip(NEXT) | instid1(VALU_DEP_2)
	v_add_f64_e64 v[66:67], v[68:69], -v[66:67]
	v_add_f64_e64 v[54:55], v[54:55], -v[60:61]
	s_delay_alu instid0(VALU_DEP_2) | instskip(NEXT) | instid1(TRANS32_DEP_1)
	v_add_f64_e64 v[16:17], v[16:17], -v[66:67]
	v_fma_f64 v[70:71], -v[62:63], v[64:65], 1.0
	s_delay_alu instid0(VALU_DEP_1) | instskip(NEXT) | instid1(VALU_DEP_1)
	v_fmac_f64_e32 v[64:65], v[70:71], v[64:65]
	v_fma_f64 v[52:53], -v[62:63], v[64:65], 1.0
	s_delay_alu instid0(VALU_DEP_1) | instskip(NEXT) | instid1(VALU_DEP_1)
	v_fmac_f64_e32 v[64:65], v[52:53], v[64:65]
	v_mul_f64_e32 v[52:53], v[68:69], v[64:65]
	s_delay_alu instid0(VALU_DEP_1) | instskip(NEXT) | instid1(VALU_DEP_1)
	v_mul_f64_e32 v[70:71], v[62:63], v[52:53]
	v_fma_f64 v[60:61], v[52:53], v[62:63], -v[70:71]
	s_delay_alu instid0(VALU_DEP_1) | instskip(NEXT) | instid1(VALU_DEP_1)
	v_fmac_f64_e32 v[60:61], v[52:53], v[54:55]
	v_add_f64_e32 v[72:73], v[70:71], v[60:61]
	s_delay_alu instid0(VALU_DEP_1) | instskip(SKIP_1) | instid1(VALU_DEP_2)
	v_add_f64_e64 v[74:75], v[68:69], -v[72:73]
	v_add_f64_e64 v[66:67], v[72:73], -v[70:71]
	;; [unrolled: 1-line block ×3, first 2 shown]
	s_delay_alu instid0(VALU_DEP_2) | instskip(NEXT) | instid1(VALU_DEP_2)
	v_add_f64_e64 v[60:61], v[66:67], -v[60:61]
	v_add_f64_e64 v[68:69], v[68:69], -v[72:73]
	s_delay_alu instid0(VALU_DEP_1) | instskip(NEXT) | instid1(VALU_DEP_1)
	v_add_f64_e32 v[16:17], v[16:17], v[68:69]
	v_add_f64_e32 v[16:17], v[60:61], v[16:17]
	s_delay_alu instid0(VALU_DEP_1) | instskip(NEXT) | instid1(VALU_DEP_1)
	v_add_f64_e32 v[60:61], v[74:75], v[16:17]
	v_mul_f64_e32 v[66:67], v[64:65], v[60:61]
	v_add_f64_e64 v[72:73], v[74:75], -v[60:61]
	s_delay_alu instid0(VALU_DEP_2) | instskip(NEXT) | instid1(VALU_DEP_2)
	v_mul_f64_e32 v[68:69], v[62:63], v[66:67]
	v_add_f64_e32 v[16:17], v[16:17], v[72:73]
	s_delay_alu instid0(VALU_DEP_2) | instskip(NEXT) | instid1(VALU_DEP_1)
	v_fma_f64 v[62:63], v[66:67], v[62:63], -v[68:69]
	v_fmac_f64_e32 v[62:63], v[66:67], v[54:55]
	s_delay_alu instid0(VALU_DEP_1) | instskip(NEXT) | instid1(VALU_DEP_1)
	v_add_f64_e32 v[54:55], v[68:69], v[62:63]
	v_add_f64_e64 v[70:71], v[60:61], -v[54:55]
	v_add_f64_e64 v[68:69], v[54:55], -v[68:69]
	s_delay_alu instid0(VALU_DEP_2) | instskip(NEXT) | instid1(VALU_DEP_1)
	v_add_f64_e64 v[60:61], v[60:61], -v[70:71]
	v_add_f64_e64 v[54:55], v[60:61], -v[54:55]
	s_delay_alu instid0(VALU_DEP_3) | instskip(NEXT) | instid1(VALU_DEP_2)
	v_add_f64_e64 v[60:61], v[68:69], -v[62:63]
	v_add_f64_e32 v[16:17], v[16:17], v[54:55]
	v_add_f64_e32 v[54:55], v[52:53], v[66:67]
	s_delay_alu instid0(VALU_DEP_2) | instskip(NEXT) | instid1(VALU_DEP_2)
	v_add_f64_e32 v[16:17], v[60:61], v[16:17]
	v_add_f64_e64 v[52:53], v[54:55], -v[52:53]
	s_delay_alu instid0(VALU_DEP_2) | instskip(NEXT) | instid1(VALU_DEP_2)
	v_add_f64_e32 v[16:17], v[70:71], v[16:17]
	v_add_f64_e64 v[52:53], v[66:67], -v[52:53]
	s_delay_alu instid0(VALU_DEP_2) | instskip(NEXT) | instid1(VALU_DEP_1)
	v_mul_f64_e32 v[16:17], v[64:65], v[16:17]
	v_add_f64_e32 v[16:17], v[52:53], v[16:17]
	s_delay_alu instid0(VALU_DEP_1) | instskip(NEXT) | instid1(VALU_DEP_1)
	v_add_f64_e32 v[52:53], v[54:55], v[16:17]
	v_mul_f64_e32 v[60:61], v[52:53], v[52:53]
	s_delay_alu instid0(VALU_DEP_1) | instskip(SKIP_1) | instid1(VALU_DEP_2)
	v_fmamk_f64 v[62:63], v[60:61], 0x3fc3ab76bf559e2b, v[28:29]
	v_mul_f64_e32 v[64:65], v[52:53], v[60:61]
	v_fmaak_f64 v[62:63], v[60:61], v[62:63], 0x3fc7474dd7f4df2e
	s_delay_alu instid0(VALU_DEP_1) | instskip(NEXT) | instid1(VALU_DEP_1)
	v_fmaak_f64 v[62:63], v[60:61], v[62:63], 0x3fcc71c016291751
	v_fmaak_f64 v[62:63], v[60:61], v[62:63], 0x3fd249249b27acf1
	s_delay_alu instid0(VALU_DEP_1) | instskip(NEXT) | instid1(VALU_DEP_1)
	v_fmaak_f64 v[62:63], v[60:61], v[62:63], 0x3fd99999998ef7b6
	v_fmaak_f64 v[60:61], v[60:61], v[62:63], 0x3fe5555555555780
	v_ldexp_f64 v[62:63], v[52:53], 1
	v_add_f64_e64 v[52:53], v[52:53], -v[54:55]
	s_delay_alu instid0(VALU_DEP_3) | instskip(SKIP_1) | instid1(VALU_DEP_3)
	v_mul_f64_e32 v[60:61], v[64:65], v[60:61]
	v_cvt_f64_i32_e32 v[64:65], v59
	v_add_f64_e64 v[16:17], v[16:17], -v[52:53]
	s_delay_alu instid0(VALU_DEP_3) | instskip(NEXT) | instid1(VALU_DEP_3)
	v_add_f64_e32 v[54:55], v[62:63], v[60:61]
	v_mul_f64_e32 v[66:67], 0x3fe62e42fefa39ef, v[64:65]
	s_delay_alu instid0(VALU_DEP_3) | instskip(NEXT) | instid1(VALU_DEP_3)
	v_ldexp_f64 v[16:17], v[16:17], 1
	v_add_f64_e64 v[52:53], v[54:55], -v[62:63]
	s_delay_alu instid0(VALU_DEP_3) | instskip(NEXT) | instid1(VALU_DEP_2)
	v_fma_f64 v[62:63], v[64:65], s[8:9], -v[66:67]
	v_add_f64_e64 v[52:53], v[60:61], -v[52:53]
	s_delay_alu instid0(VALU_DEP_2) | instskip(NEXT) | instid1(VALU_DEP_2)
	v_fmac_f64_e32 v[62:63], 0x3c7abc9e3b39803f, v[64:65]
	v_add_f64_e32 v[16:17], v[16:17], v[52:53]
	s_delay_alu instid0(VALU_DEP_2) | instskip(NEXT) | instid1(VALU_DEP_2)
	v_add_f64_e32 v[52:53], v[66:67], v[62:63]
	v_add_f64_e32 v[60:61], v[54:55], v[16:17]
	s_delay_alu instid0(VALU_DEP_2) | instskip(NEXT) | instid1(VALU_DEP_2)
	v_add_f64_e64 v[66:67], v[52:53], -v[66:67]
	v_add_f64_e32 v[64:65], v[52:53], v[60:61]
	v_add_f64_e64 v[54:55], v[60:61], -v[54:55]
	s_delay_alu instid0(VALU_DEP_3) | instskip(NEXT) | instid1(VALU_DEP_3)
	v_add_f64_e64 v[62:63], v[62:63], -v[66:67]
	v_add_f64_e64 v[68:69], v[64:65], -v[52:53]
	s_delay_alu instid0(VALU_DEP_3) | instskip(NEXT) | instid1(VALU_DEP_2)
	v_add_f64_e64 v[16:17], v[16:17], -v[54:55]
	v_add_f64_e64 v[70:71], v[64:65], -v[68:69]
	;; [unrolled: 1-line block ×3, first 2 shown]
	s_delay_alu instid0(VALU_DEP_3) | instskip(NEXT) | instid1(VALU_DEP_3)
	v_add_f64_e32 v[60:61], v[62:63], v[16:17]
	v_add_f64_e64 v[52:53], v[52:53], -v[70:71]
	s_delay_alu instid0(VALU_DEP_1) | instskip(NEXT) | instid1(VALU_DEP_3)
	v_add_f64_e32 v[52:53], v[54:55], v[52:53]
	v_add_f64_e64 v[54:55], v[60:61], -v[62:63]
	s_delay_alu instid0(VALU_DEP_2) | instskip(NEXT) | instid1(VALU_DEP_2)
	v_add_f64_e32 v[52:53], v[60:61], v[52:53]
	v_add_f64_e64 v[60:61], v[60:61], -v[54:55]
	v_add_f64_e64 v[16:17], v[16:17], -v[54:55]
	s_delay_alu instid0(VALU_DEP_3) | instskip(NEXT) | instid1(VALU_DEP_3)
	v_add_f64_e32 v[66:67], v[64:65], v[52:53]
	v_add_f64_e64 v[60:61], v[62:63], -v[60:61]
	s_delay_alu instid0(VALU_DEP_2) | instskip(NEXT) | instid1(VALU_DEP_2)
	v_add_f64_e64 v[54:55], v[66:67], -v[64:65]
	v_add_f64_e32 v[16:17], v[16:17], v[60:61]
	s_delay_alu instid0(VALU_DEP_2) | instskip(NEXT) | instid1(VALU_DEP_1)
	v_add_f64_e64 v[52:53], v[52:53], -v[54:55]
	v_add_f64_e32 v[16:17], v[16:17], v[52:53]
	s_delay_alu instid0(VALU_DEP_1) | instskip(NEXT) | instid1(VALU_DEP_1)
	v_add_f64_e32 v[16:17], v[66:67], v[16:17]
	v_cndmask_b32_e32 v16, 0, v16, vcc_lo
	v_cmp_neq_f64_e32 vcc_lo, -1.0, v[50:51]
	s_delay_alu instid0(VALU_DEP_3) | instskip(NEXT) | instid1(VALU_DEP_1)
	v_cndmask_b32_e64 v17, 0x7ff00000, v17, s1
	v_cndmask_b32_e64 v17, 0x7ff80000, v17, s2
	s_delay_alu instid0(VALU_DEP_1)
	v_cndmask_b32_e32 v17, 0xfff00000, v17, vcc_lo
.LBB48_557:                             ;   in Loop: Header=BB48_434 Depth=1
	s_and_not1_saveexec_b32 s1, s39
	s_cbranch_execz .LBB48_559
; %bb.558:                              ;   in Loop: Header=BB48_434 Depth=1
	v_add_f64_e64 v[16:17], -|v[18:19]|, 1.0
	s_delay_alu instid0(VALU_DEP_1) | instskip(NEXT) | instid1(VALU_DEP_1)
	v_mul_f64_e32 v[16:17], v[16:17], v[42:43]
	v_cmp_gt_f64_e32 vcc_lo, 0x10000000, v[16:17]
	v_cndmask_b32_e64 v50, 0, 0x100, vcc_lo
	s_delay_alu instid0(VALU_DEP_1) | instskip(NEXT) | instid1(VALU_DEP_1)
	v_ldexp_f64 v[16:17], v[16:17], v50
	v_rsq_f64_e32 v[50:51], v[16:17]
	v_nop
	s_delay_alu instid0(TRANS32_DEP_1) | instskip(SKIP_1) | instid1(VALU_DEP_1)
	v_mul_f64_e32 v[52:53], v[16:17], v[50:51]
	v_mul_f64_e32 v[50:51], 0.5, v[50:51]
	v_fma_f64 v[54:55], -v[50:51], v[52:53], 0.5
	s_delay_alu instid0(VALU_DEP_1) | instskip(SKIP_1) | instid1(VALU_DEP_2)
	v_fmac_f64_e32 v[52:53], v[52:53], v[54:55]
	v_fmac_f64_e32 v[50:51], v[50:51], v[54:55]
	v_fma_f64 v[54:55], -v[52:53], v[52:53], v[16:17]
	s_delay_alu instid0(VALU_DEP_1) | instskip(NEXT) | instid1(VALU_DEP_1)
	v_fmac_f64_e32 v[52:53], v[54:55], v[50:51]
	v_fma_f64 v[54:55], -v[52:53], v[52:53], v[16:17]
	s_delay_alu instid0(VALU_DEP_1) | instskip(SKIP_2) | instid1(VALU_DEP_2)
	v_fmac_f64_e32 v[52:53], v[54:55], v[50:51]
	v_cndmask_b32_e64 v50, 0, 0xffffff80, vcc_lo
	v_cmp_class_f64_e64 vcc_lo, v[16:17], 0x260
	v_ldexp_f64 v[50:51], v[52:53], v50
	v_dual_mov_b32 v52, v20 :: v_dual_mov_b32 v53, v49
	s_delay_alu instid0(VALU_DEP_2) | instskip(NEXT) | instid1(VALU_DEP_1)
	v_dual_cndmask_b32 v16, v50, v16 :: v_dual_cndmask_b32 v17, v51, v17
	v_div_scale_f64 v[50:51], null, v[16:17], v[16:17], v[52:53]
	v_div_scale_f64 v[52:53], vcc_lo, v[52:53], v[16:17], v[52:53]
	s_delay_alu instid0(VALU_DEP_2) | instskip(SKIP_1) | instid1(TRANS32_DEP_1)
	v_rcp_f64_e32 v[54:55], v[50:51]
	v_nop
	v_fma_f64 v[60:61], -v[50:51], v[54:55], 1.0
	s_delay_alu instid0(VALU_DEP_1) | instskip(NEXT) | instid1(VALU_DEP_1)
	v_fmac_f64_e32 v[54:55], v[54:55], v[60:61]
	v_fma_f64 v[60:61], -v[50:51], v[54:55], 1.0
	s_delay_alu instid0(VALU_DEP_1) | instskip(NEXT) | instid1(VALU_DEP_1)
	v_fmac_f64_e32 v[54:55], v[54:55], v[60:61]
	v_mul_f64_e32 v[60:61], v[52:53], v[54:55]
	s_delay_alu instid0(VALU_DEP_1) | instskip(NEXT) | instid1(VALU_DEP_1)
	v_fma_f64 v[50:51], -v[50:51], v[60:61], v[52:53]
	v_div_fmas_f64 v[50:51], v[50:51], v[54:55], v[60:61]
	s_delay_alu instid0(VALU_DEP_1)
	v_div_fixup_f64 v[16:17], v[50:51], v[16:17], |v[20:21]|
.LBB48_559:                             ;   in Loop: Header=BB48_434 Depth=1
	s_or_b32 exec_lo, exec_lo, s1
.LBB48_560:                             ;   in Loop: Header=BB48_434 Depth=1
	s_delay_alu instid0(SALU_CYCLE_1)
	s_or_b32 exec_lo, exec_lo, s38
.LBB48_561:                             ;   in Loop: Header=BB48_434 Depth=1
	s_and_not1_saveexec_b32 s1, s37
	s_cbranch_execz .LBB48_563
; %bb.562:                              ;   in Loop: Header=BB48_434 Depth=1
	v_cmp_gt_f64_e64 s2, 0x10000000, |v[20:21]|
	s_delay_alu instid0(VALU_DEP_1) | instskip(NEXT) | instid1(VALU_DEP_1)
	v_cndmask_b32_e64 v16, 0, 0x100, s2
	v_ldexp_f64 v[16:17], |v[20:21]|, v16
	s_delay_alu instid0(VALU_DEP_1) | instskip(SKIP_1) | instid1(TRANS32_DEP_1)
	v_rsq_f64_e32 v[50:51], v[16:17]
	v_cmp_class_f64_e64 vcc_lo, v[16:17], 0x260
	v_mul_f64_e32 v[52:53], v[16:17], v[50:51]
	v_mul_f64_e32 v[50:51], 0.5, v[50:51]
	s_delay_alu instid0(VALU_DEP_1) | instskip(NEXT) | instid1(VALU_DEP_1)
	v_fma_f64 v[54:55], -v[50:51], v[52:53], 0.5
	v_fmac_f64_e32 v[52:53], v[52:53], v[54:55]
	v_fmac_f64_e32 v[50:51], v[50:51], v[54:55]
	s_delay_alu instid0(VALU_DEP_2) | instskip(NEXT) | instid1(VALU_DEP_1)
	v_fma_f64 v[54:55], -v[52:53], v[52:53], v[16:17]
	v_fmac_f64_e32 v[52:53], v[54:55], v[50:51]
	s_delay_alu instid0(VALU_DEP_1) | instskip(NEXT) | instid1(VALU_DEP_1)
	v_fma_f64 v[54:55], -v[52:53], v[52:53], v[16:17]
	v_fmac_f64_e32 v[52:53], v[54:55], v[50:51]
	v_cndmask_b32_e64 v50, 0, 0xffffff80, s2
	s_delay_alu instid0(VALU_DEP_1) | instskip(NEXT) | instid1(VALU_DEP_1)
	v_ldexp_f64 v[50:51], v[52:53], v50
	v_dual_cndmask_b32 v17, v51, v17 :: v_dual_cndmask_b32 v16, v50, v16
.LBB48_563:                             ;   in Loop: Header=BB48_434 Depth=1
	s_or_b32 exec_lo, exec_lo, s1
.LBB48_564:                             ;   in Loop: Header=BB48_434 Depth=1
	s_delay_alu instid0(SALU_CYCLE_1) | instskip(SKIP_2) | instid1(SALU_CYCLE_1)
	s_or_b32 exec_lo, exec_lo, s36
	v_cmp_ngt_f64_e64 s2, 0x20200000, |v[18:19]|
                                        ; implicit-def: $sgpr1
                                        ; implicit-def: $vgpr50_vgpr51
                                        ; implicit-def: $vgpr54_vgpr55
                                        ; implicit-def: $vgpr52_vgpr53
	s_and_saveexec_b32 s36, s2
	s_xor_b32 s2, exec_lo, s36
	s_cbranch_execz .LBB48_588
; %bb.565:                              ;   in Loop: Header=BB48_434 Depth=1
	v_and_b32_e32 v53, 0x7fffffff, v19
	v_mov_b32_e32 v52, v18
	s_mov_b32 s1, 0
	s_mov_b32 s36, exec_lo
	s_delay_alu instid0(VALU_DEP_1) | instskip(NEXT) | instid1(VALU_DEP_1)
	v_div_scale_f64 v[50:51], null, v[40:41], v[40:41], v[52:53]
	v_rcp_f64_e32 v[54:55], v[50:51]
	v_nop
	s_delay_alu instid0(TRANS32_DEP_1) | instskip(NEXT) | instid1(VALU_DEP_1)
	v_fma_f64 v[60:61], -v[50:51], v[54:55], 1.0
	v_fmac_f64_e32 v[54:55], v[54:55], v[60:61]
	s_delay_alu instid0(VALU_DEP_1) | instskip(NEXT) | instid1(VALU_DEP_1)
	v_fma_f64 v[60:61], -v[50:51], v[54:55], 1.0
	v_fmac_f64_e32 v[54:55], v[54:55], v[60:61]
	v_div_scale_f64 v[60:61], vcc_lo, v[52:53], v[40:41], v[52:53]
	s_delay_alu instid0(VALU_DEP_1) | instskip(NEXT) | instid1(VALU_DEP_1)
	v_mul_f64_e32 v[62:63], v[60:61], v[54:55]
	v_fma_f64 v[50:51], -v[50:51], v[62:63], v[60:61]
	s_delay_alu instid0(VALU_DEP_1) | instskip(NEXT) | instid1(VALU_DEP_1)
	v_div_fmas_f64 v[50:51], v[50:51], v[54:55], v[62:63]
                                        ; implicit-def: $vgpr54_vgpr55
	v_div_fixup_f64 v[50:51], v[50:51], v[40:41], |v[18:19]|
	s_delay_alu instid0(VALU_DEP_1)
	v_cmpx_lt_f64_e32 s[12:13], v[50:51]
	s_cbranch_execz .LBB48_587
; %bb.566:                              ;   in Loop: Header=BB48_434 Depth=1
	v_cmp_neq_f64_e64 s1, |v[18:19]|, 1.0
	v_cmp_ngt_f64_e64 s37, 0x3c400000, |v[20:21]|
                                        ; implicit-def: $vgpr54_vgpr55
	s_or_b32 s1, s1, s37
	s_delay_alu instid0(SALU_CYCLE_1) | instskip(NEXT) | instid1(SALU_CYCLE_1)
	s_and_saveexec_b32 s37, s1
	s_xor_b32 s1, exec_lo, s37
	s_cbranch_execz .LBB48_584
; %bb.567:                              ;   in Loop: Header=BB48_434 Depth=1
	v_ldexp_f64 v[54:55], |v[14:15]|, 0xffffffcc
	s_delay_alu instid0(VALU_DEP_1) | instskip(SKIP_1) | instid1(SALU_CYCLE_1)
	v_cmp_ge_f64_e64 s37, |v[20:21]|, v[54:55]
                                        ; implicit-def: $vgpr54_vgpr55
	s_and_saveexec_b32 s38, s37
	s_xor_b32 s37, exec_lo, s38
	s_cbranch_execz .LBB48_577
; %bb.568:                              ;   in Loop: Header=BB48_434 Depth=1
	v_mov_b64_e32 v[54:55], v[48:49]
	s_mov_b32 s38, exec_lo
	v_cmpx_neq_f64_e32 0, v[42:43]
	s_cbranch_execz .LBB48_570
; %bb.569:                              ;   in Loop: Header=BB48_434 Depth=1
	v_mul_f64_e32 v[54:55], v[20:21], v[20:21]
	v_add_f64_e32 v[42:43], v[42:43], v[46:47]
	s_delay_alu instid0(VALU_DEP_1) | instskip(NEXT) | instid1(VALU_DEP_1)
	v_div_scale_f64 v[46:47], null, v[42:43], v[42:43], v[54:55]
	v_rcp_f64_e32 v[60:61], v[46:47]
	v_nop
	s_delay_alu instid0(TRANS32_DEP_1) | instskip(NEXT) | instid1(VALU_DEP_1)
	v_fma_f64 v[62:63], -v[46:47], v[60:61], 1.0
	v_fmac_f64_e32 v[60:61], v[60:61], v[62:63]
	s_delay_alu instid0(VALU_DEP_1) | instskip(NEXT) | instid1(VALU_DEP_1)
	v_fma_f64 v[62:63], -v[46:47], v[60:61], 1.0
	v_fmac_f64_e32 v[60:61], v[60:61], v[62:63]
	v_div_scale_f64 v[62:63], vcc_lo, v[54:55], v[42:43], v[54:55]
	s_delay_alu instid0(VALU_DEP_1) | instskip(NEXT) | instid1(VALU_DEP_1)
	v_mul_f64_e32 v[64:65], v[62:63], v[60:61]
	v_fma_f64 v[46:47], -v[46:47], v[64:65], v[62:63]
	s_delay_alu instid0(VALU_DEP_1) | instskip(NEXT) | instid1(VALU_DEP_1)
	v_div_fmas_f64 v[46:47], v[46:47], v[60:61], v[64:65]
	v_div_fixup_f64 v[54:55], v[46:47], v[42:43], v[54:55]
.LBB48_570:                             ;   in Loop: Header=BB48_434 Depth=1
	s_or_b32 exec_lo, exec_lo, s38
	s_delay_alu instid0(SALU_CYCLE_1)
	s_mov_b32 s38, exec_lo
	v_cmpx_ngt_f64_e32 0, v[14:15]
	s_xor_b32 s38, exec_lo, s38
	s_cbranch_execz .LBB48_574
; %bb.571:                              ;   in Loop: Header=BB48_434 Depth=1
	s_mov_b32 s39, exec_lo
	v_cmpx_neq_f64_e32 0, v[14:15]
	s_cbranch_execz .LBB48_573
; %bb.572:                              ;   in Loop: Header=BB48_434 Depth=1
	v_mul_f64_e32 v[20:21], v[20:21], v[20:21]
	v_add_f64_e32 v[14:15], v[14:15], v[44:45]
	s_delay_alu instid0(VALU_DEP_1) | instskip(NEXT) | instid1(VALU_DEP_1)
	v_div_scale_f64 v[42:43], null, v[14:15], v[14:15], v[20:21]
	v_rcp_f64_e32 v[44:45], v[42:43]
	v_nop
	s_delay_alu instid0(TRANS32_DEP_1) | instskip(NEXT) | instid1(VALU_DEP_1)
	v_fma_f64 v[46:47], -v[42:43], v[44:45], 1.0
	v_fmac_f64_e32 v[44:45], v[44:45], v[46:47]
	s_delay_alu instid0(VALU_DEP_1) | instskip(NEXT) | instid1(VALU_DEP_1)
	v_fma_f64 v[46:47], -v[42:43], v[44:45], 1.0
	v_fmac_f64_e32 v[44:45], v[44:45], v[46:47]
	v_div_scale_f64 v[46:47], vcc_lo, v[20:21], v[14:15], v[20:21]
	s_delay_alu instid0(VALU_DEP_1) | instskip(NEXT) | instid1(VALU_DEP_1)
	v_mul_f64_e32 v[48:49], v[46:47], v[44:45]
	v_fma_f64 v[42:43], -v[42:43], v[48:49], v[46:47]
	s_delay_alu instid0(VALU_DEP_1) | instskip(NEXT) | instid1(VALU_DEP_1)
	v_div_fmas_f64 v[42:43], v[42:43], v[44:45], v[48:49]
	v_div_fixup_f64 v[48:49], v[42:43], v[14:15], v[20:21]
.LBB48_573:                             ;   in Loop: Header=BB48_434 Depth=1
	s_or_b32 exec_lo, exec_lo, s39
                                        ; implicit-def: $vgpr14_vgpr15
                                        ; implicit-def: $vgpr44_vgpr45
.LBB48_574:                             ;   in Loop: Header=BB48_434 Depth=1
	s_and_not1_saveexec_b32 s38, s38
; %bb.575:                              ;   in Loop: Header=BB48_434 Depth=1
	v_add_f64_e64 v[48:49], v[44:45], -v[14:15]
; %bb.576:                              ;   in Loop: Header=BB48_434 Depth=1
	s_or_b32 exec_lo, exec_lo, s38
	s_delay_alu instid0(VALU_DEP_1) | instskip(SKIP_1) | instid1(VALU_DEP_2)
	v_mul_f64_e32 v[14:15], 0.5, v[48:49]
	v_add_f64_e64 v[20:21], |v[18:19]|, v[40:41]
	v_fmac_f64_e32 v[14:15], 0.5, v[54:55]
	s_delay_alu instid0(VALU_DEP_1) | instskip(NEXT) | instid1(VALU_DEP_1)
	v_mul_f64_e32 v[14:15], v[20:21], v[14:15]
	v_cmp_gt_f64_e32 vcc_lo, 0x10000000, v[14:15]
	v_cndmask_b32_e64 v20, 0, 0x100, vcc_lo
	s_delay_alu instid0(VALU_DEP_1) | instskip(NEXT) | instid1(VALU_DEP_1)
	v_ldexp_f64 v[14:15], v[14:15], v20
	v_rsq_f64_e32 v[20:21], v[14:15]
	v_nop
	s_delay_alu instid0(TRANS32_DEP_1) | instskip(SKIP_1) | instid1(VALU_DEP_1)
	v_mul_f64_e32 v[40:41], v[14:15], v[20:21]
	v_mul_f64_e32 v[20:21], 0.5, v[20:21]
	v_fma_f64 v[42:43], -v[20:21], v[40:41], 0.5
	s_delay_alu instid0(VALU_DEP_1) | instskip(SKIP_1) | instid1(VALU_DEP_2)
	v_fmac_f64_e32 v[40:41], v[40:41], v[42:43]
	v_fmac_f64_e32 v[20:21], v[20:21], v[42:43]
	v_fma_f64 v[42:43], -v[40:41], v[40:41], v[14:15]
	s_delay_alu instid0(VALU_DEP_1) | instskip(NEXT) | instid1(VALU_DEP_1)
	v_fmac_f64_e32 v[40:41], v[42:43], v[20:21]
	v_fma_f64 v[42:43], -v[40:41], v[40:41], v[14:15]
	s_delay_alu instid0(VALU_DEP_1) | instskip(SKIP_2) | instid1(VALU_DEP_2)
	v_fmac_f64_e32 v[40:41], v[42:43], v[20:21]
	v_cndmask_b32_e64 v20, 0, 0xffffff80, vcc_lo
	v_cmp_class_f64_e64 vcc_lo, v[14:15], 0x260
                                        ; implicit-def: $vgpr42_vgpr43
	v_ldexp_f64 v[20:21], v[40:41], v20
	s_delay_alu instid0(VALU_DEP_1)
	v_dual_cndmask_b32 v55, v21, v15 :: v_dual_cndmask_b32 v54, v20, v14
                                        ; implicit-def: $vgpr14_vgpr15
.LBB48_577:                             ;   in Loop: Header=BB48_434 Depth=1
	s_and_not1_saveexec_b32 s37, s37
	s_cbranch_execz .LBB48_583
; %bb.578:                              ;   in Loop: Header=BB48_434 Depth=1
	v_cmp_ngt_f64_e64 s38, |v[18:19]|, 1.0
                                        ; implicit-def: $vgpr54_vgpr55
	s_and_saveexec_b32 s39, s38
	s_delay_alu instid0(SALU_CYCLE_1)
	s_xor_b32 s38, exec_lo, s39
	s_cbranch_execz .LBB48_580
; %bb.579:                              ;   in Loop: Header=BB48_434 Depth=1
	v_add_f64_e64 v[14:15], -|v[18:19]|, 1.0
	s_delay_alu instid0(VALU_DEP_1) | instskip(NEXT) | instid1(VALU_DEP_1)
	v_mul_f64_e32 v[14:15], v[14:15], v[42:43]
	v_cmp_gt_f64_e32 vcc_lo, 0x10000000, v[14:15]
	v_cndmask_b32_e64 v20, 0, 0x100, vcc_lo
	s_delay_alu instid0(VALU_DEP_1) | instskip(NEXT) | instid1(VALU_DEP_1)
	v_ldexp_f64 v[14:15], v[14:15], v20
	v_rsq_f64_e32 v[20:21], v[14:15]
	v_nop
	s_delay_alu instid0(TRANS32_DEP_1) | instskip(SKIP_1) | instid1(VALU_DEP_1)
	v_mul_f64_e32 v[40:41], v[14:15], v[20:21]
	v_mul_f64_e32 v[20:21], 0.5, v[20:21]
	v_fma_f64 v[42:43], -v[20:21], v[40:41], 0.5
	s_delay_alu instid0(VALU_DEP_1) | instskip(SKIP_1) | instid1(VALU_DEP_2)
	v_fmac_f64_e32 v[40:41], v[40:41], v[42:43]
	v_fmac_f64_e32 v[20:21], v[20:21], v[42:43]
	v_fma_f64 v[42:43], -v[40:41], v[40:41], v[14:15]
	s_delay_alu instid0(VALU_DEP_1) | instskip(NEXT) | instid1(VALU_DEP_1)
	v_fmac_f64_e32 v[40:41], v[42:43], v[20:21]
	v_fma_f64 v[42:43], -v[40:41], v[40:41], v[14:15]
	s_delay_alu instid0(VALU_DEP_1) | instskip(SKIP_2) | instid1(VALU_DEP_2)
	v_fmac_f64_e32 v[40:41], v[42:43], v[20:21]
	v_cndmask_b32_e64 v20, 0, 0xffffff80, vcc_lo
	v_cmp_class_f64_e64 vcc_lo, v[14:15], 0x260
                                        ; implicit-def: $vgpr42_vgpr43
	v_ldexp_f64 v[20:21], v[40:41], v20
	s_delay_alu instid0(VALU_DEP_1)
	v_dual_cndmask_b32 v55, v21, v15 :: v_dual_cndmask_b32 v54, v20, v14
                                        ; implicit-def: $vgpr14_vgpr15
.LBB48_580:                             ;   in Loop: Header=BB48_434 Depth=1
	s_and_not1_saveexec_b32 s38, s38
	s_cbranch_execz .LBB48_582
; %bb.581:                              ;   in Loop: Header=BB48_434 Depth=1
	v_mul_f64_e32 v[14:15], v[42:43], v[14:15]
	v_ldexp_f64 v[20:21], |v[20:21]|, 0x6a
	v_ldexp_f64 v[52:53], |v[18:19]|, 0x6a
	s_delay_alu instid0(VALU_DEP_3) | instskip(NEXT) | instid1(VALU_DEP_3)
	v_cmp_gt_f64_e32 vcc_lo, 0x10000000, v[14:15]
	v_mul_f64_e64 v[20:21], |v[18:19]|, v[20:21]
	v_cndmask_b32_e64 v40, 0, 0x100, vcc_lo
	s_delay_alu instid0(VALU_DEP_1) | instskip(NEXT) | instid1(VALU_DEP_1)
	v_ldexp_f64 v[14:15], v[14:15], v40
	v_rsq_f64_e32 v[40:41], v[14:15]
	v_nop
	s_delay_alu instid0(TRANS32_DEP_1) | instskip(SKIP_1) | instid1(VALU_DEP_1)
	v_mul_f64_e32 v[42:43], v[14:15], v[40:41]
	v_mul_f64_e32 v[40:41], 0.5, v[40:41]
	v_fma_f64 v[44:45], -v[40:41], v[42:43], 0.5
	s_delay_alu instid0(VALU_DEP_1) | instskip(SKIP_1) | instid1(VALU_DEP_2)
	v_fmac_f64_e32 v[42:43], v[42:43], v[44:45]
	v_fmac_f64_e32 v[40:41], v[40:41], v[44:45]
	v_fma_f64 v[44:45], -v[42:43], v[42:43], v[14:15]
	s_delay_alu instid0(VALU_DEP_1) | instskip(NEXT) | instid1(VALU_DEP_1)
	v_fmac_f64_e32 v[42:43], v[44:45], v[40:41]
	v_fma_f64 v[44:45], -v[42:43], v[42:43], v[14:15]
	s_delay_alu instid0(VALU_DEP_1) | instskip(SKIP_2) | instid1(VALU_DEP_2)
	v_fmac_f64_e32 v[42:43], v[44:45], v[40:41]
	v_cndmask_b32_e64 v40, 0, 0xffffff80, vcc_lo
	v_cmp_class_f64_e64 vcc_lo, v[14:15], 0x260
	v_ldexp_f64 v[40:41], v[42:43], v40
	s_delay_alu instid0(VALU_DEP_1) | instskip(NEXT) | instid1(VALU_DEP_1)
	v_dual_cndmask_b32 v15, v41, v15 :: v_dual_cndmask_b32 v14, v40, v14
	v_div_scale_f64 v[40:41], null, v[14:15], v[14:15], v[20:21]
	v_div_scale_f64 v[46:47], vcc_lo, v[20:21], v[14:15], v[20:21]
	s_delay_alu instid0(VALU_DEP_2) | instskip(SKIP_1) | instid1(TRANS32_DEP_1)
	v_rcp_f64_e32 v[42:43], v[40:41]
	v_nop
	v_fma_f64 v[44:45], -v[40:41], v[42:43], 1.0
	s_delay_alu instid0(VALU_DEP_1) | instskip(NEXT) | instid1(VALU_DEP_1)
	v_fmac_f64_e32 v[42:43], v[42:43], v[44:45]
	v_fma_f64 v[44:45], -v[40:41], v[42:43], 1.0
	s_delay_alu instid0(VALU_DEP_1) | instskip(NEXT) | instid1(VALU_DEP_1)
	v_fmac_f64_e32 v[42:43], v[42:43], v[44:45]
	v_mul_f64_e32 v[44:45], v[46:47], v[42:43]
	s_delay_alu instid0(VALU_DEP_1) | instskip(NEXT) | instid1(VALU_DEP_1)
	v_fma_f64 v[40:41], -v[40:41], v[44:45], v[46:47]
	v_div_fmas_f64 v[40:41], v[40:41], v[42:43], v[44:45]
	s_delay_alu instid0(VALU_DEP_1)
	v_div_fixup_f64 v[54:55], v[40:41], v[14:15], v[20:21]
.LBB48_582:                             ;   in Loop: Header=BB48_434 Depth=1
	s_or_b32 exec_lo, exec_lo, s38
.LBB48_583:                             ;   in Loop: Header=BB48_434 Depth=1
	s_delay_alu instid0(SALU_CYCLE_1)
	s_or_b32 exec_lo, exec_lo, s37
                                        ; implicit-def: $vgpr40_vgpr41
.LBB48_584:                             ;   in Loop: Header=BB48_434 Depth=1
	s_and_not1_saveexec_b32 s37, s1
	s_cbranch_execz .LBB48_586
; %bb.585:                              ;   in Loop: Header=BB48_434 Depth=1
	v_cmp_gt_f64_e64 s1, 0x10000000, |v[20:21]|
	v_add_f64_e32 v[14:15], 1.0, v[40:41]
	s_delay_alu instid0(VALU_DEP_2) | instskip(NEXT) | instid1(VALU_DEP_1)
	v_cndmask_b32_e64 v40, 0, 0x100, s1
	v_ldexp_f64 v[20:21], |v[20:21]|, v40
	s_delay_alu instid0(VALU_DEP_3) | instskip(NEXT) | instid1(VALU_DEP_1)
	v_mul_f64_e32 v[14:15], 0.5, v[14:15]
	v_cmp_gt_f64_e32 vcc_lo, 0x10000000, v[14:15]
	v_cndmask_b32_e64 v41, 0, 0x100, vcc_lo
	s_delay_alu instid0(VALU_DEP_1) | instskip(SKIP_1) | instid1(VALU_DEP_1)
	v_ldexp_f64 v[14:15], v[14:15], v41
	v_rsq_f64_e32 v[40:41], v[20:21]
	v_rsq_f64_e32 v[42:43], v[14:15]
	v_nop
	s_delay_alu instid0(TRANS32_DEP_1) | instskip(SKIP_1) | instid1(VALU_DEP_1)
	v_mul_f64_e32 v[46:47], v[14:15], v[42:43]
	v_mul_f64_e32 v[42:43], 0.5, v[42:43]
	v_fma_f64 v[52:53], -v[42:43], v[46:47], 0.5
	s_delay_alu instid0(VALU_DEP_1) | instskip(SKIP_1) | instid1(VALU_DEP_2)
	v_fmac_f64_e32 v[46:47], v[46:47], v[52:53]
	v_fmac_f64_e32 v[42:43], v[42:43], v[52:53]
	v_fma_f64 v[52:53], -v[46:47], v[46:47], v[14:15]
	s_delay_alu instid0(VALU_DEP_1) | instskip(NEXT) | instid1(VALU_DEP_1)
	v_fmac_f64_e32 v[46:47], v[52:53], v[42:43]
	v_fma_f64 v[52:53], -v[46:47], v[46:47], v[14:15]
	s_delay_alu instid0(VALU_DEP_1) | instskip(SKIP_3) | instid1(VALU_DEP_3)
	v_fmac_f64_e32 v[46:47], v[52:53], v[42:43]
	v_cndmask_b32_e64 v42, 0, 0xffffff80, vcc_lo
	v_cmp_class_f64_e64 vcc_lo, v[20:21], 0x260
	v_mov_b64_e32 v[52:53], 1.0
	v_ldexp_f64 v[42:43], v[46:47], v42
	s_delay_alu instid0(TRANS32_DEP_2) | instskip(SKIP_1) | instid1(VALU_DEP_1)
	v_mul_f64_e32 v[44:45], v[20:21], v[40:41]
	v_mul_f64_e32 v[40:41], 0.5, v[40:41]
	v_fma_f64 v[48:49], -v[40:41], v[44:45], 0.5
	s_delay_alu instid0(VALU_DEP_1) | instskip(SKIP_1) | instid1(VALU_DEP_2)
	v_fmac_f64_e32 v[44:45], v[44:45], v[48:49]
	v_fmac_f64_e32 v[40:41], v[40:41], v[48:49]
	v_fma_f64 v[48:49], -v[44:45], v[44:45], v[20:21]
	s_delay_alu instid0(VALU_DEP_1) | instskip(NEXT) | instid1(VALU_DEP_1)
	v_fmac_f64_e32 v[44:45], v[48:49], v[40:41]
	v_fma_f64 v[48:49], -v[44:45], v[44:45], v[20:21]
	s_delay_alu instid0(VALU_DEP_1) | instskip(SKIP_2) | instid1(VALU_DEP_2)
	v_fmac_f64_e32 v[44:45], v[48:49], v[40:41]
	v_cndmask_b32_e64 v40, 0, 0xffffff80, s1
	v_cmp_class_f64_e64 s1, v[14:15], 0x260
	v_ldexp_f64 v[40:41], v[44:45], v40
	s_delay_alu instid0(VALU_DEP_2) | instskip(NEXT) | instid1(VALU_DEP_2)
	v_dual_cndmask_b32 v15, v43, v15, s1 :: v_dual_cndmask_b32 v14, v42, v14, s1
	v_dual_cndmask_b32 v21, v41, v21 :: v_dual_cndmask_b32 v20, v40, v20
	s_delay_alu instid0(VALU_DEP_1)
	v_mul_f64_e32 v[54:55], v[20:21], v[14:15]
.LBB48_586:                             ;   in Loop: Header=BB48_434 Depth=1
	s_or_b32 exec_lo, exec_lo, s37
	s_delay_alu instid0(SALU_CYCLE_1)
	s_mov_b32 s1, exec_lo
.LBB48_587:                             ;   in Loop: Header=BB48_434 Depth=1
	s_or_b32 exec_lo, exec_lo, s36
                                        ; implicit-def: $vgpr40_vgpr41
.LBB48_588:                             ;   in Loop: Header=BB48_434 Depth=1
	s_and_not1_saveexec_b32 s2, s2
	s_cbranch_execz .LBB48_590
; %bb.589:                              ;   in Loop: Header=BB48_434 Depth=1
	v_ldexp_f64 v[54:55], v[40:41], 53
	v_ldexp_f64 v[52:53], |v[18:19]|, 53
	s_or_b32 s1, s1, exec_lo
                                        ; implicit-def: $vgpr50_vgpr51
.LBB48_590:                             ;   in Loop: Header=BB48_434 Depth=1
	s_or_b32 exec_lo, exec_lo, s2
	s_xor_b32 s1, s1, -1
	v_cmp_lt_i64_e32 vcc_lo, -1, v[18:19]
	s_and_saveexec_b32 s2, s1
	s_delay_alu instid0(SALU_CYCLE_1)
	s_xor_b32 s2, exec_lo, s2
	s_cbranch_execz .LBB48_600
; %bb.591:                              ;   in Loop: Header=BB48_434 Depth=1
	s_delay_alu instid0(VALU_DEP_4) | instskip(NEXT) | instid1(SALU_CYCLE_1)
	s_and_saveexec_b32 s1, vcc_lo
	s_xor_b32 s36, exec_lo, s1
	s_cbranch_execz .LBB48_595
; %bb.592:                              ;   in Loop: Header=BB48_434 Depth=1
	v_fma_f64 v[20:21], |v[50:51]|, -0.5, 0.5
	v_mul_f64_e32 v[14:15], v[50:51], v[50:51]
	v_cmp_ge_f64_e64 s1, |v[50:51]|, 0.5
	s_delay_alu instid0(VALU_DEP_1) | instskip(NEXT) | instid1(VALU_DEP_1)
	v_dual_cndmask_b32 v15, v15, v21, s1 :: v_dual_cndmask_b32 v14, v14, v20, s1
	v_fmamk_f64 v[18:19], v[14:15], 0x3fa059859fea6a70, v[32:33]
	s_delay_alu instid0(VALU_DEP_1) | instskip(NEXT) | instid1(VALU_DEP_1)
	v_fmaak_f64 v[18:19], v[14:15], v[18:19], 0x3f94052137024d6a
	v_fmaak_f64 v[18:19], v[14:15], v[18:19], 0x3f7ab3a098a70509
	s_delay_alu instid0(VALU_DEP_1) | instskip(NEXT) | instid1(VALU_DEP_1)
	v_fmaak_f64 v[18:19], v[14:15], v[18:19], 0x3f88ed60a300c8d2
	v_fmaak_f64 v[18:19], v[14:15], v[18:19], 0x3f8c6fa84b77012b
	;; [unrolled: 3-line block ×5, first 2 shown]
	s_delay_alu instid0(VALU_DEP_1) | instskip(NEXT) | instid1(VALU_DEP_1)
	v_mul_f64_e32 v[18:19], v[14:15], v[18:19]
	v_fma_f64 v[14:15], v[50:51], v[18:19], v[50:51]
	s_delay_alu instid0(VALU_DEP_1)
	v_fma_f64 v[14:15], s[16:17], s[14:15], -v[14:15]
	s_and_saveexec_b32 s37, s1
	s_cbranch_execz .LBB48_594
; %bb.593:                              ;   in Loop: Header=BB48_434 Depth=1
	v_rsq_f64_e32 v[14:15], v[20:21]
	v_cmp_eq_f64_e64 s1, 0, v[20:21]
	s_delay_alu instid0(TRANS32_DEP_1) | instskip(SKIP_1) | instid1(VALU_DEP_1)
	v_mul_f64_e32 v[40:41], v[20:21], v[14:15]
	v_mul_f64_e32 v[14:15], 0.5, v[14:15]
	v_fma_f64 v[42:43], -v[14:15], v[40:41], 0.5
	s_delay_alu instid0(VALU_DEP_1) | instskip(SKIP_1) | instid1(VALU_DEP_2)
	v_fmac_f64_e32 v[40:41], v[40:41], v[42:43]
	v_fmac_f64_e32 v[14:15], v[14:15], v[42:43]
	v_fma_f64 v[42:43], -v[40:41], v[40:41], v[20:21]
	s_delay_alu instid0(VALU_DEP_1) | instskip(NEXT) | instid1(VALU_DEP_1)
	v_fmac_f64_e32 v[40:41], v[42:43], v[14:15]
	v_dual_cndmask_b32 v15, v41, v21, s1 :: v_dual_cndmask_b32 v14, v40, v20, s1
	s_delay_alu instid0(VALU_DEP_1) | instskip(SKIP_1) | instid1(VALU_DEP_2)
	v_add_f64_e32 v[40:41], v[14:15], v[14:15]
	v_mul_f64_e32 v[42:43], v[14:15], v[14:15]
	v_rcp_f64_e32 v[44:45], v[40:41]
	s_delay_alu instid0(VALU_DEP_1) | instskip(SKIP_1) | instid1(VALU_DEP_2)
	v_add_f64_e64 v[46:47], v[20:21], -v[42:43]
	v_fma_f64 v[52:53], v[14:15], v[14:15], -v[42:43]
	v_add_f64_e64 v[20:21], v[20:21], -v[46:47]
	s_delay_alu instid0(TRANS32_DEP_1) | instskip(NEXT) | instid1(VALU_DEP_2)
	v_fma_f64 v[48:49], -v[40:41], v[44:45], 1.0
	v_add_f64_e64 v[20:21], v[20:21], -v[42:43]
	s_delay_alu instid0(VALU_DEP_2) | instskip(NEXT) | instid1(VALU_DEP_2)
	v_fmac_f64_e32 v[44:45], v[48:49], v[44:45]
	v_add_f64_e64 v[20:21], v[20:21], -v[52:53]
	s_delay_alu instid0(VALU_DEP_2) | instskip(NEXT) | instid1(VALU_DEP_2)
	v_fma_f64 v[42:43], -v[40:41], v[44:45], 1.0
	v_add_f64_e32 v[20:21], v[46:47], v[20:21]
	s_delay_alu instid0(VALU_DEP_2) | instskip(NEXT) | instid1(VALU_DEP_1)
	v_fmac_f64_e32 v[44:45], v[42:43], v[44:45]
	v_mul_f64_e32 v[42:43], v[20:21], v[44:45]
	s_delay_alu instid0(VALU_DEP_1) | instskip(NEXT) | instid1(VALU_DEP_1)
	v_fma_f64 v[20:21], -v[40:41], v[42:43], v[20:21]
	v_fmac_f64_e32 v[42:43], v[20:21], v[44:45]
	s_delay_alu instid0(VALU_DEP_1) | instskip(NEXT) | instid1(VALU_DEP_2)
	v_cndmask_b32_e64 v21, v43, 0, s1
	v_cndmask_b32_e64 v20, v42, 0, s1
	v_cmp_neq_f64_e64 s1, 1.0, v[50:51]
	s_delay_alu instid0(VALU_DEP_2) | instskip(NEXT) | instid1(VALU_DEP_1)
	v_add_f64_e32 v[40:41], v[14:15], v[20:21]
	v_add_f64_e64 v[14:15], v[40:41], -v[14:15]
	s_delay_alu instid0(VALU_DEP_1) | instskip(NEXT) | instid1(VALU_DEP_1)
	v_add_f64_e64 v[14:15], v[20:21], -v[14:15]
	v_fmac_f64_e32 v[14:15], v[40:41], v[18:19]
	s_delay_alu instid0(VALU_DEP_1) | instskip(NEXT) | instid1(VALU_DEP_1)
	v_add_f64_e32 v[14:15], v[40:41], v[14:15]
	v_add_f64_e32 v[14:15], v[14:15], v[14:15]
	s_delay_alu instid0(VALU_DEP_1)
	v_dual_cndmask_b32 v15, 0, v15, s1 :: v_dual_cndmask_b32 v14, 0, v14, s1
.LBB48_594:                             ;   in Loop: Header=BB48_434 Depth=1
	s_or_b32 exec_lo, exec_lo, s37
                                        ; implicit-def: $vgpr50_vgpr51
.LBB48_595:                             ;   in Loop: Header=BB48_434 Depth=1
	s_and_not1_saveexec_b32 s36, s36
	s_cbranch_execz .LBB48_599
; %bb.596:                              ;   in Loop: Header=BB48_434 Depth=1
	v_fma_f64 v[20:21], |v[50:51]|, -0.5, 0.5
	v_mul_f64_e32 v[14:15], v[50:51], v[50:51]
	v_cmp_ge_f64_e64 s1, |v[50:51]|, 0.5
	s_delay_alu instid0(VALU_DEP_1) | instskip(NEXT) | instid1(VALU_DEP_1)
	v_dual_cndmask_b32 v15, v15, v21, s1 :: v_dual_cndmask_b32 v14, v14, v20, s1
	v_fmamk_f64 v[18:19], v[14:15], 0x3fa059859fea6a70, v[32:33]
	s_delay_alu instid0(VALU_DEP_1) | instskip(NEXT) | instid1(VALU_DEP_1)
	v_fmaak_f64 v[18:19], v[14:15], v[18:19], 0x3f94052137024d6a
	v_fmaak_f64 v[18:19], v[14:15], v[18:19], 0x3f7ab3a098a70509
	s_delay_alu instid0(VALU_DEP_1) | instskip(NEXT) | instid1(VALU_DEP_1)
	v_fmaak_f64 v[18:19], v[14:15], v[18:19], 0x3f88ed60a300c8d2
	v_fmaak_f64 v[18:19], v[14:15], v[18:19], 0x3f8c6fa84b77012b
	;; [unrolled: 3-line block ×5, first 2 shown]
	s_delay_alu instid0(VALU_DEP_1) | instskip(NEXT) | instid1(VALU_DEP_1)
	v_mul_f64_e32 v[18:19], v[14:15], v[18:19]
	v_fma_f64 v[14:15], -v[50:51], v[18:19], -v[50:51]
	s_delay_alu instid0(VALU_DEP_1)
	v_fma_f64 v[14:15], s[16:17], s[14:15], -v[14:15]
	s_and_saveexec_b32 s37, s1
	s_cbranch_execz .LBB48_598
; %bb.597:                              ;   in Loop: Header=BB48_434 Depth=1
	v_rsq_f64_e32 v[14:15], v[20:21]
	v_cmp_eq_f64_e64 s1, 0, v[20:21]
	s_delay_alu instid0(TRANS32_DEP_1) | instskip(SKIP_1) | instid1(VALU_DEP_1)
	v_mul_f64_e32 v[40:41], v[20:21], v[14:15]
	v_mul_f64_e32 v[14:15], 0.5, v[14:15]
	v_fma_f64 v[42:43], -v[14:15], v[40:41], 0.5
	s_delay_alu instid0(VALU_DEP_1) | instskip(SKIP_1) | instid1(VALU_DEP_2)
	v_fmac_f64_e32 v[40:41], v[40:41], v[42:43]
	v_fmac_f64_e32 v[14:15], v[14:15], v[42:43]
	v_fma_f64 v[42:43], -v[40:41], v[40:41], v[20:21]
	s_delay_alu instid0(VALU_DEP_1) | instskip(NEXT) | instid1(VALU_DEP_1)
	v_fmac_f64_e32 v[40:41], v[42:43], v[14:15]
	v_dual_cndmask_b32 v15, v41, v21, s1 :: v_dual_cndmask_b32 v14, v40, v20, s1
	s_delay_alu instid0(VALU_DEP_1) | instskip(SKIP_1) | instid1(VALU_DEP_2)
	v_add_f64_e32 v[40:41], v[14:15], v[14:15]
	v_mul_f64_e32 v[42:43], v[14:15], v[14:15]
	v_rcp_f64_e32 v[44:45], v[40:41]
	s_delay_alu instid0(VALU_DEP_1) | instskip(SKIP_1) | instid1(VALU_DEP_2)
	v_add_f64_e64 v[46:47], v[20:21], -v[42:43]
	v_fma_f64 v[52:53], v[14:15], v[14:15], -v[42:43]
	v_add_f64_e64 v[20:21], v[20:21], -v[46:47]
	s_delay_alu instid0(TRANS32_DEP_1) | instskip(NEXT) | instid1(VALU_DEP_2)
	v_fma_f64 v[48:49], -v[40:41], v[44:45], 1.0
	v_add_f64_e64 v[20:21], v[20:21], -v[42:43]
	s_delay_alu instid0(VALU_DEP_2) | instskip(NEXT) | instid1(VALU_DEP_2)
	v_fmac_f64_e32 v[44:45], v[48:49], v[44:45]
	v_add_f64_e64 v[20:21], v[20:21], -v[52:53]
	s_delay_alu instid0(VALU_DEP_2) | instskip(NEXT) | instid1(VALU_DEP_2)
	v_fma_f64 v[42:43], -v[40:41], v[44:45], 1.0
	v_add_f64_e32 v[20:21], v[46:47], v[20:21]
	s_delay_alu instid0(VALU_DEP_2) | instskip(NEXT) | instid1(VALU_DEP_1)
	v_fmac_f64_e32 v[44:45], v[42:43], v[44:45]
	v_mul_f64_e32 v[42:43], v[20:21], v[44:45]
	s_delay_alu instid0(VALU_DEP_1) | instskip(NEXT) | instid1(VALU_DEP_1)
	v_fma_f64 v[20:21], -v[40:41], v[42:43], v[20:21]
	v_fmac_f64_e32 v[42:43], v[20:21], v[44:45]
	s_delay_alu instid0(VALU_DEP_1) | instskip(NEXT) | instid1(VALU_DEP_2)
	v_cndmask_b32_e64 v21, v43, 0, s1
	v_cndmask_b32_e64 v20, v42, 0, s1
	v_cmp_lt_f64_e64 s1, 0, v[50:51]
	s_delay_alu instid0(VALU_DEP_2) | instskip(NEXT) | instid1(VALU_DEP_1)
	v_add_f64_e32 v[40:41], v[14:15], v[20:21]
	v_add_f64_e64 v[14:15], v[40:41], -v[14:15]
	s_delay_alu instid0(VALU_DEP_1) | instskip(SKIP_1) | instid1(VALU_DEP_2)
	v_add_f64_e64 v[14:15], v[20:21], -v[14:15]
	v_fma_f64 v[20:21], v[40:41], v[18:19], v[40:41]
	v_fmac_f64_e32 v[14:15], v[40:41], v[18:19]
	s_delay_alu instid0(VALU_DEP_2) | instskip(NEXT) | instid1(VALU_DEP_2)
	v_mul_f64_e32 v[18:19], -2.0, v[20:21]
	v_add_f64_e32 v[14:15], v[40:41], v[14:15]
	s_delay_alu instid0(VALU_DEP_2) | instskip(NEXT) | instid1(VALU_DEP_2)
	v_fmac_f64_e64 v[18:19], s[18:19], s[14:15]
	v_add_f64_e32 v[14:15], v[14:15], v[14:15]
	s_delay_alu instid0(VALU_DEP_1) | instskip(SKIP_1) | instid1(VALU_DEP_1)
	v_dual_cndmask_b32 v14, v14, v18, s1 :: v_dual_cndmask_b32 v15, v15, v19, s1
	v_cmp_neq_f64_e64 s1, 1.0, v[50:51]
	v_cndmask_b32_e64 v15, 0x400921fb, v15, s1
	s_delay_alu instid0(VALU_DEP_3)
	v_cndmask_b32_e64 v14, 0x54442d18, v14, s1
.LBB48_598:                             ;   in Loop: Header=BB48_434 Depth=1
	s_or_b32 exec_lo, exec_lo, s37
.LBB48_599:                             ;   in Loop: Header=BB48_434 Depth=1
	s_delay_alu instid0(SALU_CYCLE_1)
	s_or_b32 exec_lo, exec_lo, s36
                                        ; implicit-def: $vgpr52_vgpr53
                                        ; implicit-def: $vgpr54_vgpr55
.LBB48_600:                             ;   in Loop: Header=BB48_434 Depth=1
	s_and_not1_saveexec_b32 s36, s2
	s_cbranch_execz .LBB48_606
; %bb.601:                              ;   in Loop: Header=BB48_434 Depth=1
	s_delay_alu instid0(VALU_DEP_4) | instskip(NEXT) | instid1(SALU_CYCLE_1)
	s_and_saveexec_b32 s1, vcc_lo
	s_xor_b32 s37, exec_lo, s1
	s_cbranch_execz .LBB48_603
; %bb.602:                              ;   in Loop: Header=BB48_434 Depth=1
	s_delay_alu instid0(VALU_DEP_2) | instskip(NEXT) | instid1(VALU_DEP_3)
	v_max_num_f64_e64 v[14:15], |v[54:55]|, |v[54:55]|
	v_max_num_f64_e32 v[18:19], v[52:53], v[52:53]
	v_cmp_eq_f64_e64 s1, 0, v[54:55]
	v_cmp_class_f64_e64 s38, v[54:55], 0x204
	v_cmp_eq_f64_e64 s2, 0x7ff00000, v[52:53]
	s_delay_alu instid0(VALU_DEP_4) | instskip(SKIP_1) | instid1(VALU_DEP_1)
	v_max_num_f64_e32 v[20:21], v[18:19], v[14:15]
	v_min_num_f64_e32 v[14:15], v[18:19], v[14:15]
	v_div_scale_f64 v[18:19], null, v[20:21], v[20:21], v[14:15]
	v_div_scale_f64 v[44:45], vcc_lo, v[14:15], v[20:21], v[14:15]
	s_delay_alu instid0(VALU_DEP_2) | instskip(SKIP_1) | instid1(TRANS32_DEP_1)
	v_rcp_f64_e32 v[40:41], v[18:19]
	v_nop
	v_fma_f64 v[42:43], -v[18:19], v[40:41], 1.0
	s_delay_alu instid0(VALU_DEP_1) | instskip(NEXT) | instid1(VALU_DEP_1)
	v_fmac_f64_e32 v[40:41], v[40:41], v[42:43]
	v_fma_f64 v[42:43], -v[18:19], v[40:41], 1.0
	s_delay_alu instid0(VALU_DEP_1) | instskip(NEXT) | instid1(VALU_DEP_1)
	v_fmac_f64_e32 v[40:41], v[40:41], v[42:43]
	v_mul_f64_e32 v[42:43], v[44:45], v[40:41]
	s_delay_alu instid0(VALU_DEP_1) | instskip(NEXT) | instid1(VALU_DEP_1)
	v_fma_f64 v[18:19], -v[18:19], v[42:43], v[44:45]
	v_div_fmas_f64 v[18:19], v[18:19], v[40:41], v[42:43]
	v_cmp_lt_f64_e64 vcc_lo, v[52:53], |v[54:55]|
	s_delay_alu instid0(VALU_DEP_2) | instskip(NEXT) | instid1(VALU_DEP_1)
	v_div_fixup_f64 v[14:15], v[18:19], v[20:21], v[14:15]
	v_mul_f64_e32 v[18:19], v[14:15], v[14:15]
	s_delay_alu instid0(VALU_DEP_1) | instskip(NEXT) | instid1(VALU_DEP_1)
	v_fmamk_f64 v[20:21], v[18:19], 0x3eeba404b5e68a13, v[36:37]
	v_fmaak_f64 v[20:21], v[18:19], v[20:21], 0x3f4b2bb069efb384
	s_delay_alu instid0(VALU_DEP_1) | instskip(NEXT) | instid1(VALU_DEP_1)
	v_fmaak_f64 v[20:21], v[18:19], v[20:21], 0xbf67952daf56de9b
	v_fmaak_f64 v[20:21], v[18:19], v[20:21], 0x3f7d6d43a595c56f
	s_delay_alu instid0(VALU_DEP_1) | instskip(NEXT) | instid1(VALU_DEP_1)
	v_fmaak_f64 v[20:21], v[18:19], v[20:21], 0xbf8c6ea4a57d9582
	;; [unrolled: 3-line block ×9, first 2 shown]
	v_mul_f64_e32 v[18:19], v[18:19], v[20:21]
	v_ashrrev_i32_e32 v20, 31, v53
	s_delay_alu instid0(VALU_DEP_1) | instskip(NEXT) | instid1(VALU_DEP_3)
	v_and_b32_e32 v40, 0x54442d18, v20
	v_fmac_f64_e32 v[14:15], v[14:15], v[18:19]
	s_delay_alu instid0(VALU_DEP_1) | instskip(NEXT) | instid1(VALU_DEP_1)
	v_add_f64_e64 v[18:19], -v[14:15], s[20:21]
	v_dual_cndmask_b32 v15, v15, v19 :: v_dual_cndmask_b32 v14, v14, v18
	v_cmp_gt_i32_e32 vcc_lo, 0, v53
                                        ; implicit-def: $vgpr52_vgpr53
	s_delay_alu instid0(VALU_DEP_2) | instskip(SKIP_1) | instid1(VALU_DEP_2)
	v_add_f64_e64 v[18:19], -v[14:15], s[22:23]
	v_cndmask_b32_e32 v21, 0x54442d18, v57, vcc_lo
	v_dual_cndmask_b32 v15, v15, v19 :: v_dual_cndmask_b32 v14, v14, v18
	v_and_b32_e32 v18, 0x400921fb, v20
	v_cndmask_b32_e32 v19, 0x3fe921fb, v58, vcc_lo
	s_and_b32 vcc_lo, s2, s38
	s_delay_alu instid0(VALU_DEP_2) | instskip(NEXT) | instid1(VALU_DEP_1)
	v_dual_cndmask_b32 v15, v15, v18, s1 :: v_dual_cndmask_b32 v14, v14, v40, s1
	v_dual_cndmask_b32 v15, v15, v19 :: v_dual_cndmask_b32 v14, v14, v21
	v_cmp_o_f64_e32 vcc_lo, v[54:55], v[54:55]
	s_delay_alu instid0(VALU_DEP_2) | instskip(NEXT) | instid1(VALU_DEP_3)
	v_cndmask_b32_e32 v15, 0x7ff80000, v15, vcc_lo
	v_cndmask_b32_e32 v14, 0, v14, vcc_lo
	s_delay_alu instid0(VALU_DEP_2)
	v_bfi_b32 v15, 0x7fffffff, v15, v55
                                        ; implicit-def: $vgpr54_vgpr55
.LBB48_603:                             ;   in Loop: Header=BB48_434 Depth=1
	s_and_not1_saveexec_b32 s37, s37
	s_cbranch_execz .LBB48_605
; %bb.604:                              ;   in Loop: Header=BB48_434 Depth=1
	s_delay_alu instid0(VALU_DEP_2) | instskip(NEXT) | instid1(VALU_DEP_3)
	v_max_num_f64_e64 v[14:15], |v[54:55]|, |v[54:55]|
	v_max_num_f64_e32 v[18:19], v[52:53], v[52:53]
	v_cmp_eq_f64_e64 s1, 0, v[54:55]
	v_cmp_class_f64_e64 s38, v[54:55], 0x204
	v_cmp_eq_f64_e64 s2, 0x7ff00000, v[52:53]
	s_delay_alu instid0(VALU_DEP_4) | instskip(SKIP_1) | instid1(VALU_DEP_1)
	v_max_num_f64_e32 v[20:21], v[18:19], v[14:15]
	v_min_num_f64_e32 v[14:15], v[18:19], v[14:15]
	v_div_scale_f64 v[18:19], null, v[20:21], v[20:21], v[14:15]
	v_div_scale_f64 v[44:45], vcc_lo, v[14:15], v[20:21], v[14:15]
	s_delay_alu instid0(VALU_DEP_2) | instskip(SKIP_1) | instid1(TRANS32_DEP_1)
	v_rcp_f64_e32 v[40:41], v[18:19]
	v_nop
	v_fma_f64 v[42:43], -v[18:19], v[40:41], 1.0
	s_delay_alu instid0(VALU_DEP_1) | instskip(NEXT) | instid1(VALU_DEP_1)
	v_fmac_f64_e32 v[40:41], v[40:41], v[42:43]
	v_fma_f64 v[42:43], -v[18:19], v[40:41], 1.0
	s_delay_alu instid0(VALU_DEP_1) | instskip(NEXT) | instid1(VALU_DEP_1)
	v_fmac_f64_e32 v[40:41], v[40:41], v[42:43]
	v_mul_f64_e32 v[42:43], v[44:45], v[40:41]
	s_delay_alu instid0(VALU_DEP_1) | instskip(NEXT) | instid1(VALU_DEP_1)
	v_fma_f64 v[18:19], -v[18:19], v[42:43], v[44:45]
	v_div_fmas_f64 v[18:19], v[18:19], v[40:41], v[42:43]
	v_cmp_lt_f64_e64 vcc_lo, v[52:53], |v[54:55]|
	s_delay_alu instid0(VALU_DEP_2) | instskip(NEXT) | instid1(VALU_DEP_1)
	v_div_fixup_f64 v[14:15], v[18:19], v[20:21], v[14:15]
	v_mul_f64_e32 v[18:19], v[14:15], v[14:15]
	s_delay_alu instid0(VALU_DEP_1) | instskip(NEXT) | instid1(VALU_DEP_1)
	v_fmamk_f64 v[20:21], v[18:19], 0x3eeba404b5e68a13, v[36:37]
	v_fmaak_f64 v[20:21], v[18:19], v[20:21], 0x3f4b2bb069efb384
	s_delay_alu instid0(VALU_DEP_1) | instskip(NEXT) | instid1(VALU_DEP_1)
	v_fmaak_f64 v[20:21], v[18:19], v[20:21], 0xbf67952daf56de9b
	v_fmaak_f64 v[20:21], v[18:19], v[20:21], 0x3f7d6d43a595c56f
	s_delay_alu instid0(VALU_DEP_1) | instskip(NEXT) | instid1(VALU_DEP_1)
	v_fmaak_f64 v[20:21], v[18:19], v[20:21], 0xbf8c6ea4a57d9582
	;; [unrolled: 3-line block ×9, first 2 shown]
	v_mul_f64_e32 v[18:19], v[18:19], v[20:21]
	v_xor_b32_e32 v20, 0x80000000, v53
	s_delay_alu instid0(VALU_DEP_1) | instskip(NEXT) | instid1(VALU_DEP_1)
	v_ashrrev_i32_e32 v21, 31, v20
	v_and_b32_e32 v40, 0x54442d18, v21
	s_delay_alu instid0(VALU_DEP_4) | instskip(NEXT) | instid1(VALU_DEP_1)
	v_fmac_f64_e32 v[14:15], v[14:15], v[18:19]
	v_add_f64_e64 v[18:19], -v[14:15], s[20:21]
	s_delay_alu instid0(VALU_DEP_1) | instskip(SKIP_1) | instid1(VALU_DEP_2)
	v_dual_cndmask_b32 v15, v15, v19 :: v_dual_cndmask_b32 v14, v14, v18
	v_cmp_gt_i32_e32 vcc_lo, 0, v20
	v_add_f64_e64 v[18:19], -v[14:15], s[22:23]
	v_cndmask_b32_e32 v20, 0x54442d18, v57, vcc_lo
	s_delay_alu instid0(VALU_DEP_2) | instskip(SKIP_3) | instid1(VALU_DEP_2)
	v_dual_cndmask_b32 v15, v15, v19 :: v_dual_cndmask_b32 v14, v14, v18
	v_and_b32_e32 v18, 0x400921fb, v21
	v_cndmask_b32_e32 v19, 0x3fe921fb, v58, vcc_lo
	s_and_b32 vcc_lo, s2, s38
	v_dual_cndmask_b32 v15, v15, v18, s1 :: v_dual_cndmask_b32 v14, v14, v40, s1
	s_delay_alu instid0(VALU_DEP_1) | instskip(SKIP_1) | instid1(VALU_DEP_2)
	v_dual_cndmask_b32 v15, v15, v19 :: v_dual_cndmask_b32 v14, v14, v20
	v_cmp_o_f64_e32 vcc_lo, v[54:55], v[54:55]
	v_cndmask_b32_e32 v15, 0x7ff80000, v15, vcc_lo
	s_delay_alu instid0(VALU_DEP_3) | instskip(NEXT) | instid1(VALU_DEP_2)
	v_cndmask_b32_e32 v14, 0, v14, vcc_lo
	v_bfi_b32 v15, 0x7fffffff, v15, v55
.LBB48_605:                             ;   in Loop: Header=BB48_434 Depth=1
	s_or_b32 exec_lo, exec_lo, s37
.LBB48_606:                             ;   in Loop: Header=BB48_434 Depth=1
	s_delay_alu instid0(SALU_CYCLE_1) | instskip(SKIP_1) | instid1(VALU_DEP_1)
	s_or_b32 exec_lo, exec_lo, s36
	v_xor_b32_e32 v18, 0x80000000, v17
	v_cndmask_b32_e64 v17, v18, v17, s0
                                        ; implicit-def: $vgpr18_vgpr19
.LBB48_607:                             ;   in Loop: Header=BB48_434 Depth=1
	s_and_not1_saveexec_b32 s1, s35
	s_cbranch_execz .LBB48_609
; %bb.608:                              ;   in Loop: Header=BB48_434 Depth=1
	s_wait_dscnt 0x0
	flat_load_b64 v[14:15], v[26:27] scope:SCOPE_SYS
	s_wait_loadcnt_dscnt 0x0
	v_add_f64_e64 v[14:15], v[14:15], -v[18:19]
	s_delay_alu instid0(VALU_DEP_1)
	v_add_f64_e32 v[14:15], 0x3ff921fb54442d18, v[14:15]
.LBB48_609:                             ;   in Loop: Header=BB48_434 Depth=1
	s_or_b32 exec_lo, exec_lo, s1
.LBB48_610:                             ;   in Loop: Header=BB48_434 Depth=1
	s_and_not1_saveexec_b32 s1, s34
	s_cbranch_execz .LBB48_612
; %bb.611:                              ;   in Loop: Header=BB48_434 Depth=1
	s_wait_dscnt 0x0
	v_mov_b64_e32 v[14:15], 0
.LBB48_612:                             ;   in Loop: Header=BB48_434 Depth=1
	s_or_b32 exec_lo, exec_lo, s1
                                        ; implicit-def: $vgpr18_vgpr19
                                        ; implicit-def: $vgpr42_vgpr43
                                        ; implicit-def: $vgpr44_vgpr45
                                        ; implicit-def: $vgpr40_vgpr41
.LBB48_613:                             ;   in Loop: Header=BB48_434 Depth=1
	s_and_not1_saveexec_b32 s33, s33
	s_cbranch_execz .LBB48_623
; %bb.614:                              ;   in Loop: Header=BB48_434 Depth=1
	v_cmp_lt_f64_e64 s1, |v[18:19]|, |v[20:21]|
	v_and_b32_e32 v48, 0x7fffffff, v19
	v_and_b32_e32 v49, 0x7fffffff, v21
                                        ; implicit-def: $sgpr34
                                        ; implicit-def: $vgpr16_vgpr17
                                        ; implicit-def: $vgpr14_vgpr15
	s_mov_b32 s2, exec_lo
	s_delay_alu instid0(VALU_DEP_1) | instskip(NEXT) | instid1(VALU_DEP_1)
	v_dual_cndmask_b32 v47, v48, v49, s1 :: v_dual_cndmask_b32 v46, v18, v20, s1
	v_cmpx_nlt_f64_e32 s[24:25], v[46:47]
	s_xor_b32 s35, exec_lo, s2
	s_cbranch_execz .LBB48_620
; %bb.615:                              ;   in Loop: Header=BB48_434 Depth=1
	v_dual_cndmask_b32 v49, v49, v48, s1 :: v_dual_cndmask_b32 v48, v20, v18, s1
	v_cmp_nlt_f64_e32 vcc_lo, 0x20200000, v[46:47]
                                        ; implicit-def: $sgpr34
                                        ; implicit-def: $vgpr16_vgpr17
                                        ; implicit-def: $vgpr14_vgpr15
	s_delay_alu instid0(VALU_DEP_2) | instskip(SKIP_1) | instid1(SALU_CYCLE_1)
	v_cmp_ngt_f64_e64 s2, 0x20000000, v[48:49]
	s_and_b32 s2, vcc_lo, s2
	s_and_saveexec_b32 s36, s2
	s_delay_alu instid0(SALU_CYCLE_1)
	s_xor_b32 s2, exec_lo, s36
	s_cbranch_execz .LBB48_617
; %bb.616:                              ;   in Loop: Header=BB48_434 Depth=1
	v_mul_f64_e32 v[16:17], v[48:49], v[48:49]
	v_min_num_f64_e32 v[42:43], v[42:43], v[44:45]
	v_cmp_class_f64_e64 s34, v[20:21], 0x204
	v_cmp_class_f64_e64 s36, v[18:19], 0x204
	s_delay_alu instid0(VALU_DEP_4) | instskip(SKIP_2) | instid1(VALU_DEP_1)
	v_fmac_f64_e32 v[16:17], v[46:47], v[46:47]
	s_and_b32 s34, s36, s34
	s_wait_dscnt 0x0
	v_frexp_mant_f64_e32 v[14:15], v[16:17]
	s_delay_alu instid0(VALU_DEP_1) | instskip(SKIP_1) | instid1(VALU_DEP_1)
	v_cmp_gt_f64_e32 vcc_lo, s[6:7], v[14:15]
	v_cndmask_b32_e64 v46, 0, 1, vcc_lo
	v_ldexp_f64 v[14:15], v[14:15], v46
	s_delay_alu instid0(VALU_DEP_1) | instskip(SKIP_1) | instid1(VALU_DEP_2)
	v_add_f64_e32 v[46:47], 1.0, v[14:15]
	v_add_f64_e32 v[52:53], -1.0, v[14:15]
	v_rcp_f64_e32 v[48:49], v[46:47]
	v_add_f64_e32 v[54:55], -1.0, v[46:47]
	s_delay_alu instid0(VALU_DEP_1) | instskip(NEXT) | instid1(TRANS32_DEP_1)
	v_add_f64_e64 v[14:15], v[14:15], -v[54:55]
	v_fma_f64 v[50:51], -v[46:47], v[48:49], 1.0
	s_delay_alu instid0(VALU_DEP_1) | instskip(NEXT) | instid1(VALU_DEP_1)
	v_fmac_f64_e32 v[48:49], v[50:51], v[48:49]
	v_fma_f64 v[50:51], -v[46:47], v[48:49], 1.0
	s_delay_alu instid0(VALU_DEP_1) | instskip(NEXT) | instid1(VALU_DEP_1)
	v_fmac_f64_e32 v[48:49], v[50:51], v[48:49]
	v_mul_f64_e32 v[50:51], v[52:53], v[48:49]
	s_delay_alu instid0(VALU_DEP_1) | instskip(NEXT) | instid1(VALU_DEP_1)
	v_mul_f64_e32 v[60:61], v[46:47], v[50:51]
	v_fma_f64 v[46:47], v[50:51], v[46:47], -v[60:61]
	s_delay_alu instid0(VALU_DEP_1) | instskip(NEXT) | instid1(VALU_DEP_1)
	v_fmac_f64_e32 v[46:47], v[50:51], v[14:15]
	v_add_f64_e32 v[14:15], v[60:61], v[46:47]
	s_delay_alu instid0(VALU_DEP_1) | instskip(SKIP_1) | instid1(VALU_DEP_2)
	v_add_f64_e64 v[54:55], v[52:53], -v[14:15]
	v_add_f64_e64 v[60:61], v[14:15], -v[60:61]
	;; [unrolled: 1-line block ×3, first 2 shown]
	s_delay_alu instid0(VALU_DEP_2) | instskip(NEXT) | instid1(VALU_DEP_2)
	v_add_f64_e64 v[46:47], v[60:61], -v[46:47]
	v_add_f64_e64 v[14:15], v[52:53], -v[14:15]
	s_delay_alu instid0(VALU_DEP_1) | instskip(NEXT) | instid1(VALU_DEP_1)
	v_add_f64_e32 v[14:15], v[46:47], v[14:15]
	v_add_f64_e32 v[14:15], v[54:55], v[14:15]
	s_delay_alu instid0(VALU_DEP_1) | instskip(NEXT) | instid1(VALU_DEP_1)
	v_mul_f64_e32 v[14:15], v[48:49], v[14:15]
	v_add_f64_e32 v[46:47], v[50:51], v[14:15]
	s_delay_alu instid0(VALU_DEP_1) | instskip(SKIP_1) | instid1(VALU_DEP_2)
	v_mul_f64_e32 v[48:49], v[46:47], v[46:47]
	v_ldexp_f64 v[44:45], v[46:47], 1
	v_fmamk_f64 v[52:53], v[48:49], 0x3fc3ab76bf559e2b, v[28:29]
	v_mul_f64_e32 v[54:55], v[46:47], v[48:49]
	v_add_f64_e64 v[46:47], v[46:47], -v[50:51]
	s_delay_alu instid0(VALU_DEP_3) | instskip(NEXT) | instid1(VALU_DEP_1)
	v_fmaak_f64 v[52:53], v[48:49], v[52:53], 0x3fc7474dd7f4df2e
	v_fmaak_f64 v[52:53], v[48:49], v[52:53], 0x3fcc71c016291751
	s_delay_alu instid0(VALU_DEP_1) | instskip(NEXT) | instid1(VALU_DEP_1)
	v_fmaak_f64 v[52:53], v[48:49], v[52:53], 0x3fd249249b27acf1
	v_fmaak_f64 v[52:53], v[48:49], v[52:53], 0x3fd99999998ef7b6
	v_add_f64_e64 v[14:15], v[14:15], -v[46:47]
	s_delay_alu instid0(VALU_DEP_2) | instskip(SKIP_1) | instid1(VALU_DEP_2)
	v_fmaak_f64 v[48:49], v[48:49], v[52:53], 0x3fe5555555555780
	v_frexp_exp_i32_f64_e32 v52, v[16:17]
	v_mul_f64_e32 v[48:49], v[54:55], v[48:49]
	s_delay_alu instid0(VALU_DEP_4) | instskip(NEXT) | instid1(VALU_DEP_3)
	v_ldexp_f64 v[14:15], v[14:15], 1
	v_subrev_co_ci_u32_e64 v54, null, 0, v52, vcc_lo
	v_div_scale_f64 v[52:53], null, v[40:41], v[40:41], v[42:43]
	v_div_scale_f64 v[66:67], vcc_lo, v[42:43], v[40:41], v[42:43]
	s_delay_alu instid0(VALU_DEP_3) | instskip(SKIP_1) | instid1(VALU_DEP_4)
	v_cvt_f64_i32_e32 v[54:55], v54
	v_add_f64_e32 v[50:51], v[44:45], v[48:49]
	v_rcp_f64_e32 v[60:61], v[52:53]
	s_delay_alu instid0(VALU_DEP_2) | instskip(NEXT) | instid1(VALU_DEP_2)
	v_mul_f64_e32 v[62:63], 0x3fe62e42fefa39ef, v[54:55]
	v_add_f64_e64 v[44:45], v[50:51], -v[44:45]
	s_delay_alu instid0(VALU_DEP_2) | instskip(NEXT) | instid1(VALU_DEP_2)
	v_fma_f64 v[46:47], v[54:55], s[8:9], -v[62:63]
	v_add_f64_e64 v[44:45], v[48:49], -v[44:45]
	s_delay_alu instid0(TRANS32_DEP_1) | instskip(NEXT) | instid1(VALU_DEP_3)
	v_fma_f64 v[48:49], -v[52:53], v[60:61], 1.0
	v_fmac_f64_e32 v[46:47], 0x3c7abc9e3b39803f, v[54:55]
	s_delay_alu instid0(VALU_DEP_3) | instskip(NEXT) | instid1(VALU_DEP_3)
	v_add_f64_e32 v[14:15], v[14:15], v[44:45]
	v_fmac_f64_e32 v[60:61], v[60:61], v[48:49]
	s_delay_alu instid0(VALU_DEP_3) | instskip(NEXT) | instid1(VALU_DEP_3)
	v_add_f64_e32 v[44:45], v[62:63], v[46:47]
	v_add_f64_e32 v[48:49], v[50:51], v[14:15]
	s_delay_alu instid0(VALU_DEP_3) | instskip(NEXT) | instid1(VALU_DEP_3)
	v_fma_f64 v[54:55], -v[52:53], v[60:61], 1.0
	v_add_f64_e64 v[62:63], v[44:45], -v[62:63]
	s_delay_alu instid0(VALU_DEP_3) | instskip(NEXT) | instid1(VALU_DEP_3)
	v_add_f64_e32 v[64:65], v[44:45], v[48:49]
	v_fmac_f64_e32 v[60:61], v[60:61], v[54:55]
	v_add_f64_e64 v[50:51], v[48:49], -v[50:51]
	s_delay_alu instid0(VALU_DEP_4) | instskip(NEXT) | instid1(VALU_DEP_4)
	v_add_f64_e64 v[46:47], v[46:47], -v[62:63]
	v_add_f64_e64 v[54:55], v[64:65], -v[44:45]
	s_delay_alu instid0(VALU_DEP_4) | instskip(NEXT) | instid1(VALU_DEP_4)
	v_mul_f64_e32 v[68:69], v[66:67], v[60:61]
	v_add_f64_e64 v[50:51], v[14:15], -v[50:51]
	s_delay_alu instid0(VALU_DEP_3) | instskip(NEXT) | instid1(VALU_DEP_3)
	v_add_f64_e64 v[70:71], v[64:65], -v[54:55]
	v_fma_f64 v[52:53], -v[52:53], v[68:69], v[66:67]
	v_add_f64_e64 v[14:15], v[48:49], -v[54:55]
	s_delay_alu instid0(VALU_DEP_3) | instskip(NEXT) | instid1(VALU_DEP_3)
	v_add_f64_e64 v[44:45], v[44:45], -v[70:71]
	v_div_fmas_f64 v[48:49], v[52:53], v[60:61], v[68:69]
	v_add_f64_e32 v[52:53], v[46:47], v[50:51]
	v_cmp_class_f64_e64 vcc_lo, v[16:17], 0x204
	s_delay_alu instid0(VALU_DEP_4) | instskip(NEXT) | instid1(VALU_DEP_4)
	v_add_f64_e32 v[44:45], v[14:15], v[44:45]
	v_div_fixup_f64 v[14:15], v[48:49], v[40:41], v[42:43]
	s_delay_alu instid0(VALU_DEP_4) | instskip(NEXT) | instid1(VALU_DEP_3)
	v_add_f64_e64 v[40:41], v[52:53], -v[46:47]
	v_add_f64_e32 v[42:43], v[52:53], v[44:45]
	s_delay_alu instid0(VALU_DEP_3) | instskip(NEXT) | instid1(VALU_DEP_3)
	v_mul_f64_e32 v[44:45], v[14:15], v[14:15]
	v_add_f64_e64 v[48:49], v[52:53], -v[40:41]
	v_add_f64_e64 v[40:41], v[50:51], -v[40:41]
	s_delay_alu instid0(VALU_DEP_4) | instskip(NEXT) | instid1(VALU_DEP_4)
	v_add_f64_e32 v[52:53], v[64:65], v[42:43]
	v_fmamk_f64 v[54:55], v[44:45], 0x3eeba404b5e68a13, v[36:37]
	s_delay_alu instid0(VALU_DEP_4) | instskip(NEXT) | instid1(VALU_DEP_2)
	v_add_f64_e64 v[46:47], v[46:47], -v[48:49]
	v_fmaak_f64 v[54:55], v[44:45], v[54:55], 0x3f4b2bb069efb384
	s_delay_alu instid0(VALU_DEP_1) | instskip(NEXT) | instid1(VALU_DEP_1)
	v_fmaak_f64 v[54:55], v[44:45], v[54:55], 0xbf67952daf56de9b
	v_fmaak_f64 v[54:55], v[44:45], v[54:55], 0x3f7d6d43a595c56f
	s_delay_alu instid0(VALU_DEP_1) | instskip(SKIP_2) | instid1(VALU_DEP_3)
	v_fmaak_f64 v[50:51], v[44:45], v[54:55], 0xbf8c6ea4a57d9582
	v_add_f64_e64 v[48:49], v[52:53], -v[64:65]
	v_add_f64_e32 v[40:41], v[40:41], v[46:47]
	v_fmaak_f64 v[50:51], v[44:45], v[50:51], 0x3f967e295f08b19f
	s_delay_alu instid0(VALU_DEP_1) | instskip(NEXT) | instid1(VALU_DEP_1)
	v_fmaak_f64 v[50:51], v[44:45], v[50:51], 0xbf9e9ae6fc27006a
	v_fmaak_f64 v[50:51], v[44:45], v[50:51], 0x3fa2c15b5711927a
	s_delay_alu instid0(VALU_DEP_1) | instskip(NEXT) | instid1(VALU_DEP_1)
	v_fmaak_f64 v[50:51], v[44:45], v[50:51], 0xbfa59976e82d3ff0
	v_fmaak_f64 v[46:47], v[44:45], v[50:51], 0x3fa82d5d6ef28734
	v_add_f64_e64 v[42:43], v[42:43], -v[48:49]
	s_delay_alu instid0(VALU_DEP_2) | instskip(NEXT) | instid1(VALU_DEP_1)
	v_fmaak_f64 v[46:47], v[44:45], v[46:47], 0xbfaae5ce6a214619
	v_fmaak_f64 v[46:47], v[44:45], v[46:47], 0x3fae1bb48427b883
	s_delay_alu instid0(VALU_DEP_1) | instskip(NEXT) | instid1(VALU_DEP_4)
	v_fmaak_f64 v[46:47], v[44:45], v[46:47], 0xbfb110e48b207f05
	v_add_f64_e32 v[40:41], v[40:41], v[42:43]
	s_delay_alu instid0(VALU_DEP_2) | instskip(NEXT) | instid1(VALU_DEP_1)
	v_fmaak_f64 v[42:43], v[44:45], v[46:47], 0x3fb3b13657b87036
	v_fmaak_f64 v[42:43], v[44:45], v[42:43], 0xbfb745d119378e4f
	s_delay_alu instid0(VALU_DEP_1) | instskip(NEXT) | instid1(VALU_DEP_1)
	v_fmaak_f64 v[42:43], v[44:45], v[42:43], 0x3fbc71c717e1913c
	v_fmaak_f64 v[42:43], v[44:45], v[42:43], 0xbfc2492492376b7d
	s_delay_alu instid0(VALU_DEP_1) | instskip(SKIP_1) | instid1(VALU_DEP_2)
	v_fmaak_f64 v[42:43], v[44:45], v[42:43], 0x3fc99999999952cc
	v_add_f64_e32 v[40:41], v[52:53], v[40:41]
	v_fmaak_f64 v[42:43], v[44:45], v[42:43], 0xbfd5555555555523
	s_delay_alu instid0(VALU_DEP_1) | instskip(NEXT) | instid1(VALU_DEP_3)
	v_mul_f64_e32 v[42:43], v[44:45], v[42:43]
                                        ; implicit-def: $vgpr44_vgpr45
	v_dual_cndmask_b32 v41, v41, v17 :: v_dual_cndmask_b32 v40, v40, v16
	v_cmp_neq_f64_e32 vcc_lo, 0, v[16:17]
	s_delay_alu instid0(VALU_DEP_2) | instskip(NEXT) | instid1(VALU_DEP_4)
	v_mul_f64_e32 v[40:41], 0.5, v[40:41]
	v_fmac_f64_e32 v[14:15], v[14:15], v[42:43]
                                        ; implicit-def: $vgpr42_vgpr43
	s_delay_alu instid0(VALU_DEP_2) | instskip(NEXT) | instid1(VALU_DEP_3)
	v_cndmask_b32_e32 v17, 0xfff00000, v41, vcc_lo
	v_cndmask_b32_e32 v16, 0, v40, vcc_lo
                                        ; implicit-def: $vgpr40_vgpr41
.LBB48_617:                             ;   in Loop: Header=BB48_434 Depth=1
	s_and_not1_saveexec_b32 s2, s2
	s_cbranch_execz .LBB48_619
; %bb.618:                              ;   in Loop: Header=BB48_434 Depth=1
	v_frexp_exp_i32_f64_e32 v50, v[40:41]
	v_cmp_class_f64_e64 s36, v[18:19], 0x204
	v_cmp_class_f64_e64 s37, v[20:21], 0x204
	v_min_num_f64_e32 v[42:43], v[42:43], v[44:45]
	s_and_not1_b32 s34, s34, exec_lo
	v_sub_nc_u32_e32 v16, 0, v50
	s_or_b32 s38, s36, s37
	s_and_b32 s36, s36, s37
	s_delay_alu instid0(SALU_CYCLE_1) | instskip(SKIP_4) | instid1(VALU_DEP_2)
	s_and_b32 s36, s36, exec_lo
	s_wait_dscnt 0x0
	v_ldexp_f64 v[14:15], |v[20:21]|, v16
	v_ldexp_f64 v[16:17], |v[18:19]|, v16
	s_or_b32 s34, s34, s36
	v_mul_f64_e32 v[14:15], v[14:15], v[14:15]
	s_delay_alu instid0(VALU_DEP_1) | instskip(NEXT) | instid1(VALU_DEP_1)
	v_fmac_f64_e32 v[14:15], v[16:17], v[16:17]
	v_rsq_f64_e32 v[16:17], v[14:15]
	v_cmp_eq_f64_e32 vcc_lo, 0, v[14:15]
	s_delay_alu instid0(TRANS32_DEP_1) | instskip(SKIP_1) | instid1(VALU_DEP_1)
	v_mul_f64_e32 v[46:47], v[14:15], v[16:17]
	v_mul_f64_e32 v[16:17], 0.5, v[16:17]
	v_fma_f64 v[48:49], -v[16:17], v[46:47], 0.5
	s_delay_alu instid0(VALU_DEP_1) | instskip(SKIP_1) | instid1(VALU_DEP_2)
	v_fmac_f64_e32 v[46:47], v[46:47], v[48:49]
	v_fmac_f64_e32 v[16:17], v[16:17], v[48:49]
	v_fma_f64 v[48:49], -v[46:47], v[46:47], v[14:15]
	s_delay_alu instid0(VALU_DEP_1) | instskip(NEXT) | instid1(VALU_DEP_1)
	v_fmac_f64_e32 v[46:47], v[48:49], v[16:17]
	v_dual_cndmask_b32 v15, v47, v15 :: v_dual_cndmask_b32 v14, v46, v14
	s_delay_alu instid0(VALU_DEP_1) | instskip(NEXT) | instid1(VALU_DEP_1)
	v_ldexp_f64 v[14:15], v[14:15], v50
	v_cndmask_b32_e64 v47, v15, 0x7ff00000, s38
	s_delay_alu instid0(VALU_DEP_2) | instskip(NEXT) | instid1(VALU_DEP_1)
	v_cndmask_b32_e64 v46, v14, 0, s38
	v_frexp_mant_f64_e32 v[14:15], v[46:47]
	v_frexp_exp_i32_f64_e32 v59, v[46:47]
	s_delay_alu instid0(VALU_DEP_2) | instskip(SKIP_1) | instid1(VALU_DEP_1)
	v_cmp_gt_f64_e32 vcc_lo, s[6:7], v[14:15]
	v_cndmask_b32_e64 v16, 0, 1, vcc_lo
	v_ldexp_f64 v[14:15], v[14:15], v16
	s_delay_alu instid0(VALU_DEP_1) | instskip(SKIP_1) | instid1(VALU_DEP_2)
	v_add_f64_e32 v[16:17], 1.0, v[14:15]
	v_add_f64_e32 v[52:53], -1.0, v[14:15]
	v_rcp_f64_e32 v[48:49], v[16:17]
	v_add_f64_e32 v[54:55], -1.0, v[16:17]
	s_delay_alu instid0(VALU_DEP_1) | instskip(NEXT) | instid1(TRANS32_DEP_1)
	v_add_f64_e64 v[14:15], v[14:15], -v[54:55]
	v_fma_f64 v[50:51], -v[16:17], v[48:49], 1.0
	s_delay_alu instid0(VALU_DEP_1) | instskip(NEXT) | instid1(VALU_DEP_1)
	v_fmac_f64_e32 v[48:49], v[50:51], v[48:49]
	v_fma_f64 v[50:51], -v[16:17], v[48:49], 1.0
	s_delay_alu instid0(VALU_DEP_1) | instskip(NEXT) | instid1(VALU_DEP_1)
	v_fmac_f64_e32 v[48:49], v[50:51], v[48:49]
	v_mul_f64_e32 v[50:51], v[52:53], v[48:49]
	s_delay_alu instid0(VALU_DEP_1) | instskip(NEXT) | instid1(VALU_DEP_1)
	v_mul_f64_e32 v[60:61], v[16:17], v[50:51]
	v_fma_f64 v[16:17], v[50:51], v[16:17], -v[60:61]
	s_delay_alu instid0(VALU_DEP_1) | instskip(NEXT) | instid1(VALU_DEP_1)
	v_fmac_f64_e32 v[16:17], v[50:51], v[14:15]
	v_add_f64_e32 v[14:15], v[60:61], v[16:17]
	s_delay_alu instid0(VALU_DEP_1) | instskip(SKIP_1) | instid1(VALU_DEP_2)
	v_add_f64_e64 v[54:55], v[52:53], -v[14:15]
	v_add_f64_e64 v[60:61], v[14:15], -v[60:61]
	;; [unrolled: 1-line block ×3, first 2 shown]
	s_delay_alu instid0(VALU_DEP_2) | instskip(NEXT) | instid1(VALU_DEP_2)
	v_add_f64_e64 v[16:17], v[60:61], -v[16:17]
	v_add_f64_e64 v[14:15], v[52:53], -v[14:15]
	s_delay_alu instid0(VALU_DEP_1) | instskip(NEXT) | instid1(VALU_DEP_1)
	v_add_f64_e32 v[14:15], v[16:17], v[14:15]
	v_add_f64_e32 v[14:15], v[54:55], v[14:15]
	s_delay_alu instid0(VALU_DEP_1) | instskip(NEXT) | instid1(VALU_DEP_1)
	v_mul_f64_e32 v[14:15], v[48:49], v[14:15]
	v_add_f64_e32 v[16:17], v[50:51], v[14:15]
	s_delay_alu instid0(VALU_DEP_1) | instskip(NEXT) | instid1(VALU_DEP_1)
	v_mul_f64_e32 v[48:49], v[16:17], v[16:17]
	v_fmamk_f64 v[52:53], v[48:49], 0x3fc3ab76bf559e2b, v[28:29]
	v_mul_f64_e32 v[54:55], v[16:17], v[48:49]
	s_delay_alu instid0(VALU_DEP_2) | instskip(NEXT) | instid1(VALU_DEP_1)
	v_fmaak_f64 v[52:53], v[48:49], v[52:53], 0x3fc7474dd7f4df2e
	v_fmaak_f64 v[44:45], v[48:49], v[52:53], 0x3fcc71c016291751
	v_div_scale_f64 v[52:53], null, v[40:41], v[40:41], v[42:43]
	s_delay_alu instid0(VALU_DEP_2) | instskip(NEXT) | instid1(VALU_DEP_1)
	v_fmaak_f64 v[44:45], v[48:49], v[44:45], 0x3fd249249b27acf1
	v_fmaak_f64 v[44:45], v[48:49], v[44:45], 0x3fd99999998ef7b6
	s_delay_alu instid0(VALU_DEP_1) | instskip(SKIP_2) | instid1(VALU_DEP_3)
	v_fmaak_f64 v[44:45], v[48:49], v[44:45], 0x3fe5555555555780
	v_ldexp_f64 v[48:49], v[16:17], 1
	v_add_f64_e64 v[16:17], v[16:17], -v[50:51]
	v_mul_f64_e32 v[44:45], v[54:55], v[44:45]
	v_subrev_co_ci_u32_e64 v54, null, 0, v59, vcc_lo
	v_rcp_f64_e32 v[60:61], v[52:53]
	s_delay_alu instid0(VALU_DEP_1) | instskip(NEXT) | instid1(VALU_DEP_4)
	v_cvt_f64_i32_e32 v[54:55], v54
	v_add_f64_e64 v[14:15], v[14:15], -v[16:17]
	s_delay_alu instid0(VALU_DEP_4) | instskip(NEXT) | instid1(VALU_DEP_3)
	v_add_f64_e32 v[50:51], v[48:49], v[44:45]
	v_mul_f64_e32 v[62:63], 0x3fe62e42fefa39ef, v[54:55]
	s_delay_alu instid0(VALU_DEP_3) | instskip(NEXT) | instid1(VALU_DEP_3)
	v_ldexp_f64 v[14:15], v[14:15], 1
	v_add_f64_e64 v[16:17], v[50:51], -v[48:49]
	s_delay_alu instid0(TRANS32_DEP_1) | instskip(NEXT) | instid1(VALU_DEP_4)
	v_fma_f64 v[48:49], -v[52:53], v[60:61], 1.0
	v_fma_f64 v[64:65], v[54:55], s[8:9], -v[62:63]
	s_delay_alu instid0(VALU_DEP_3) | instskip(NEXT) | instid1(VALU_DEP_3)
	v_add_f64_e64 v[16:17], v[44:45], -v[16:17]
	v_fmac_f64_e32 v[60:61], v[60:61], v[48:49]
	s_delay_alu instid0(VALU_DEP_3) | instskip(SKIP_1) | instid1(VALU_DEP_4)
	v_fmac_f64_e32 v[64:65], 0x3c7abc9e3b39803f, v[54:55]
	v_div_scale_f64 v[54:55], vcc_lo, v[42:43], v[40:41], v[42:43]
	v_add_f64_e32 v[14:15], v[14:15], v[16:17]
	s_delay_alu instid0(VALU_DEP_4) | instskip(NEXT) | instid1(VALU_DEP_4)
	v_fma_f64 v[16:17], -v[52:53], v[60:61], 1.0
	v_add_f64_e32 v[44:45], v[62:63], v[64:65]
	s_delay_alu instid0(VALU_DEP_3) | instskip(NEXT) | instid1(VALU_DEP_3)
	v_add_f64_e32 v[48:49], v[50:51], v[14:15]
	v_fmac_f64_e32 v[60:61], v[60:61], v[16:17]
	s_delay_alu instid0(VALU_DEP_2) | instskip(NEXT) | instid1(VALU_DEP_2)
	v_add_f64_e32 v[16:17], v[44:45], v[48:49]
	v_mul_f64_e32 v[66:67], v[54:55], v[60:61]
	v_add_f64_e64 v[50:51], v[48:49], -v[50:51]
	s_delay_alu instid0(VALU_DEP_3) | instskip(NEXT) | instid1(VALU_DEP_3)
	v_add_f64_e64 v[68:69], v[16:17], -v[44:45]
	v_fma_f64 v[52:53], -v[52:53], v[66:67], v[54:55]
	v_add_f64_e64 v[54:55], v[44:45], -v[62:63]
	s_delay_alu instid0(VALU_DEP_4) | instskip(NEXT) | instid1(VALU_DEP_4)
	v_add_f64_e64 v[50:51], v[14:15], -v[50:51]
	v_add_f64_e64 v[62:63], v[16:17], -v[68:69]
	s_delay_alu instid0(VALU_DEP_4) | instskip(NEXT) | instid1(VALU_DEP_4)
	v_div_fmas_f64 v[52:53], v[52:53], v[60:61], v[66:67]
	v_add_f64_e64 v[54:55], v[64:65], -v[54:55]
	v_add_f64_e64 v[48:49], v[48:49], -v[68:69]
	v_cmp_class_f64_e64 vcc_lo, v[46:47], 0x204
	v_add_f64_e64 v[44:45], v[44:45], -v[62:63]
	v_div_fixup_f64 v[14:15], v[52:53], v[40:41], v[42:43]
	v_add_f64_e32 v[40:41], v[54:55], v[50:51]
	s_delay_alu instid0(VALU_DEP_3) | instskip(NEXT) | instid1(VALU_DEP_3)
	v_add_f64_e32 v[42:43], v[48:49], v[44:45]
	v_mul_f64_e32 v[44:45], v[14:15], v[14:15]
	s_delay_alu instid0(VALU_DEP_3) | instskip(NEXT) | instid1(VALU_DEP_3)
	v_add_f64_e64 v[48:49], v[40:41], -v[54:55]
	v_add_f64_e32 v[42:43], v[40:41], v[42:43]
	s_delay_alu instid0(VALU_DEP_3) | instskip(NEXT) | instid1(VALU_DEP_3)
	v_fmamk_f64 v[52:53], v[44:45], 0x3eeba404b5e68a13, v[36:37]
	v_add_f64_e64 v[40:41], v[40:41], -v[48:49]
	v_add_f64_e64 v[48:49], v[50:51], -v[48:49]
	s_delay_alu instid0(VALU_DEP_3) | instskip(NEXT) | instid1(VALU_DEP_1)
	v_fmaak_f64 v[52:53], v[44:45], v[52:53], 0x3f4b2bb069efb384
	v_fmaak_f64 v[52:53], v[44:45], v[52:53], 0xbf67952daf56de9b
	s_delay_alu instid0(VALU_DEP_1) | instskip(NEXT) | instid1(VALU_DEP_1)
	v_fmaak_f64 v[52:53], v[44:45], v[52:53], 0x3f7d6d43a595c56f
	v_fmaak_f64 v[52:53], v[44:45], v[52:53], 0xbf8c6ea4a57d9582
	v_add_f64_e32 v[60:61], v[16:17], v[42:43]
	v_add_f64_e64 v[40:41], v[54:55], -v[40:41]
	s_delay_alu instid0(VALU_DEP_3) | instskip(NEXT) | instid1(VALU_DEP_1)
	v_fmaak_f64 v[52:53], v[44:45], v[52:53], 0x3f967e295f08b19f
	v_fmaak_f64 v[52:53], v[44:45], v[52:53], 0xbf9e9ae6fc27006a
	s_delay_alu instid0(VALU_DEP_1) | instskip(NEXT) | instid1(VALU_DEP_1)
	v_fmaak_f64 v[52:53], v[44:45], v[52:53], 0x3fa2c15b5711927a
	v_fmaak_f64 v[50:51], v[44:45], v[52:53], 0xbfa59976e82d3ff0
	s_delay_alu instid0(VALU_DEP_1) | instskip(SKIP_2) | instid1(VALU_DEP_3)
	v_fmaak_f64 v[50:51], v[44:45], v[50:51], 0x3fa82d5d6ef28734
	v_add_f64_e64 v[16:17], v[60:61], -v[16:17]
	v_add_f64_e32 v[40:41], v[48:49], v[40:41]
	v_fmaak_f64 v[50:51], v[44:45], v[50:51], 0xbfaae5ce6a214619
	s_delay_alu instid0(VALU_DEP_1) | instskip(NEXT) | instid1(VALU_DEP_1)
	v_fmaak_f64 v[50:51], v[44:45], v[50:51], 0x3fae1bb48427b883
	v_fmaak_f64 v[50:51], v[44:45], v[50:51], 0xbfb110e48b207f05
	v_add_f64_e64 v[16:17], v[42:43], -v[16:17]
	s_delay_alu instid0(VALU_DEP_2) | instskip(NEXT) | instid1(VALU_DEP_1)
	v_fmaak_f64 v[42:43], v[44:45], v[50:51], 0x3fb3b13657b87036
	v_fmaak_f64 v[42:43], v[44:45], v[42:43], 0xbfb745d119378e4f
	s_delay_alu instid0(VALU_DEP_1) | instskip(NEXT) | instid1(VALU_DEP_1)
	v_fmaak_f64 v[42:43], v[44:45], v[42:43], 0x3fbc71c717e1913c
	v_fmaak_f64 v[42:43], v[44:45], v[42:43], 0xbfc2492492376b7d
	v_add_f64_e32 v[16:17], v[40:41], v[16:17]
	s_delay_alu instid0(VALU_DEP_2) | instskip(NEXT) | instid1(VALU_DEP_1)
	v_fmaak_f64 v[40:41], v[44:45], v[42:43], 0x3fc99999999952cc
	v_fmaak_f64 v[40:41], v[44:45], v[40:41], 0xbfd5555555555523
	s_delay_alu instid0(VALU_DEP_1) | instskip(NEXT) | instid1(VALU_DEP_4)
	v_mul_f64_e32 v[40:41], v[44:45], v[40:41]
	v_add_f64_e32 v[16:17], v[60:61], v[16:17]
	s_delay_alu instid0(VALU_DEP_2) | instskip(NEXT) | instid1(VALU_DEP_2)
	v_fmac_f64_e32 v[14:15], v[14:15], v[40:41]
	v_dual_cndmask_b32 v16, v16, v46 :: v_dual_cndmask_b32 v17, v17, v47
	v_cmp_ngt_f64_e32 vcc_lo, 0, v[46:47]
	s_delay_alu instid0(VALU_DEP_2) | instskip(SKIP_1) | instid1(VALU_DEP_4)
	v_cndmask_b32_e32 v17, 0x7ff80000, v17, vcc_lo
	v_cmp_nge_f64_e32 vcc_lo, 0, v[46:47]
	v_cndmask_b32_e32 v16, 0, v16, vcc_lo
	v_cmp_neq_f64_e32 vcc_lo, 0, v[46:47]
	s_delay_alu instid0(VALU_DEP_4)
	v_cndmask_b32_e32 v17, 0xfff00000, v17, vcc_lo
.LBB48_619:                             ;   in Loop: Header=BB48_434 Depth=1
	s_or_b32 exec_lo, exec_lo, s2
                                        ; implicit-def: $vgpr42_vgpr43
                                        ; implicit-def: $vgpr44_vgpr45
                                        ; implicit-def: $vgpr40_vgpr41
.LBB48_620:                             ;   in Loop: Header=BB48_434 Depth=1
	s_and_not1_saveexec_b32 s35, s35
	s_cbranch_execz .LBB48_622
; %bb.621:                              ;   in Loop: Header=BB48_434 Depth=1
	s_wait_dscnt 0x0
	v_div_scale_f64 v[14:15], null, s[26:27], s[26:27], v[18:19]
	v_div_scale_f64 v[16:17], null, s[26:27], s[26:27], v[20:21]
	v_div_scale_f64 v[54:55], vcc_lo, v[18:19], s[26:27], v[18:19]
	v_min_num_f64_e32 v[42:43], v[42:43], v[44:45]
	s_and_not1_b32 s34, s34, exec_lo
	s_delay_alu instid0(VALU_DEP_4) | instskip(NEXT) | instid1(VALU_DEP_3)
	v_rcp_f64_e32 v[46:47], v[14:15]
	v_rcp_f64_e32 v[48:49], v[16:17]
	s_delay_alu instid0(TRANS32_DEP_2) | instskip(NEXT) | instid1(TRANS32_DEP_1)
	v_fma_f64 v[50:51], -v[14:15], v[46:47], 1.0
	v_fma_f64 v[52:53], -v[16:17], v[48:49], 1.0
	s_delay_alu instid0(VALU_DEP_2) | instskip(NEXT) | instid1(VALU_DEP_2)
	v_fmac_f64_e32 v[46:47], v[46:47], v[50:51]
	v_fmac_f64_e32 v[48:49], v[48:49], v[52:53]
	s_delay_alu instid0(VALU_DEP_2) | instskip(NEXT) | instid1(VALU_DEP_2)
	v_fma_f64 v[50:51], -v[14:15], v[46:47], 1.0
	v_fma_f64 v[52:53], -v[16:17], v[48:49], 1.0
	s_delay_alu instid0(VALU_DEP_2) | instskip(SKIP_1) | instid1(VALU_DEP_3)
	v_fmac_f64_e32 v[46:47], v[46:47], v[50:51]
	v_div_scale_f64 v[50:51], s2, v[20:21], s[26:27], v[20:21]
	v_fmac_f64_e32 v[48:49], v[48:49], v[52:53]
	s_delay_alu instid0(VALU_DEP_3) | instskip(NEXT) | instid1(VALU_DEP_2)
	v_mul_f64_e32 v[52:53], v[54:55], v[46:47]
	v_mul_f64_e32 v[60:61], v[50:51], v[48:49]
	s_delay_alu instid0(VALU_DEP_2) | instskip(NEXT) | instid1(VALU_DEP_2)
	v_fma_f64 v[14:15], -v[14:15], v[52:53], v[54:55]
	v_fma_f64 v[16:17], -v[16:17], v[60:61], v[50:51]
	s_delay_alu instid0(VALU_DEP_2) | instskip(SKIP_1) | instid1(VALU_DEP_2)
	v_div_fmas_f64 v[14:15], v[14:15], v[46:47], v[52:53]
	s_mov_b32 vcc_lo, s2
	v_div_fmas_f64 v[16:17], v[16:17], v[48:49], v[60:61]
	s_delay_alu instid0(VALU_DEP_2) | instskip(NEXT) | instid1(VALU_DEP_2)
	v_div_fixup_f64 v[14:15], v[14:15], s[26:27], v[18:19]
	v_div_fixup_f64 v[16:17], v[16:17], s[26:27], v[20:21]
	s_delay_alu instid0(VALU_DEP_2) | instskip(NEXT) | instid1(VALU_DEP_2)
	v_cmp_class_f64_e64 s2, v[14:15], 0x204
	v_max_num_f64_e64 v[46:47], |v[14:15]|, |v[16:17]|
	v_cmp_class_f64_e64 s36, v[16:17], 0x204
	s_delay_alu instid0(VALU_DEP_2) | instskip(SKIP_2) | instid1(VALU_DEP_2)
	v_frexp_exp_i32_f64_e32 v54, v[46:47]
	s_or_b32 s2, s2, s36
	v_cmp_class_f64_e64 s36, v[18:19], 0x204
	v_sub_nc_u32_e32 v48, 0, v54
	s_delay_alu instid0(VALU_DEP_1) | instskip(SKIP_1) | instid1(VALU_DEP_2)
	v_ldexp_f64 v[46:47], |v[16:17]|, v48
	v_ldexp_f64 v[48:49], |v[14:15]|, v48
	v_mul_f64_e32 v[46:47], v[46:47], v[46:47]
	s_delay_alu instid0(VALU_DEP_1) | instskip(NEXT) | instid1(VALU_DEP_1)
	v_fmac_f64_e32 v[46:47], v[48:49], v[48:49]
	v_rsq_f64_e32 v[48:49], v[46:47]
	v_cmp_eq_f64_e32 vcc_lo, 0, v[46:47]
	s_delay_alu instid0(TRANS32_DEP_1) | instskip(SKIP_1) | instid1(VALU_DEP_1)
	v_mul_f64_e32 v[50:51], v[46:47], v[48:49]
	v_mul_f64_e32 v[48:49], 0.5, v[48:49]
	v_fma_f64 v[52:53], -v[48:49], v[50:51], 0.5
	s_delay_alu instid0(VALU_DEP_1) | instskip(SKIP_1) | instid1(VALU_DEP_2)
	v_fmac_f64_e32 v[50:51], v[50:51], v[52:53]
	v_fmac_f64_e32 v[48:49], v[48:49], v[52:53]
	v_fma_f64 v[52:53], -v[50:51], v[50:51], v[46:47]
	s_delay_alu instid0(VALU_DEP_1) | instskip(NEXT) | instid1(VALU_DEP_1)
	v_fmac_f64_e32 v[50:51], v[52:53], v[48:49]
	v_dual_cndmask_b32 v47, v51, v47 :: v_dual_cndmask_b32 v46, v50, v46
	s_delay_alu instid0(VALU_DEP_1) | instskip(NEXT) | instid1(VALU_DEP_1)
	v_ldexp_f64 v[14:15], v[46:47], v54
	v_cndmask_b32_e64 v47, v15, 0x7ff00000, s2
	s_delay_alu instid0(VALU_DEP_2) | instskip(SKIP_1) | instid1(VALU_DEP_2)
	v_cndmask_b32_e64 v46, v14, 0, s2
	v_cmp_class_f64_e64 s2, v[20:21], 0x204
	v_frexp_mant_f64_e32 v[14:15], v[46:47]
	v_frexp_exp_i32_f64_e32 v59, v[46:47]
	s_and_b32 s2, s36, s2
	s_delay_alu instid0(SALU_CYCLE_1) | instskip(NEXT) | instid1(VALU_DEP_2)
	s_and_b32 s2, s2, exec_lo
	v_cmp_gt_f64_e32 vcc_lo, s[6:7], v[14:15]
	s_or_b32 s34, s34, s2
	v_cndmask_b32_e64 v16, 0, 1, vcc_lo
	s_delay_alu instid0(VALU_DEP_3) | instskip(SKIP_1) | instid1(VALU_DEP_3)
	v_subrev_co_ci_u32_e64 v44, null, 0, v59, vcc_lo
	v_div_scale_f64 v[66:67], vcc_lo, v[42:43], v[40:41], v[42:43]
	v_ldexp_f64 v[14:15], v[14:15], v16
	s_delay_alu instid0(VALU_DEP_3) | instskip(NEXT) | instid1(VALU_DEP_2)
	v_cvt_f64_i32_e32 v[44:45], v44
	v_add_f64_e32 v[16:17], 1.0, v[14:15]
	v_add_f64_e32 v[52:53], -1.0, v[14:15]
	s_delay_alu instid0(VALU_DEP_2) | instskip(SKIP_1) | instid1(VALU_DEP_1)
	v_rcp_f64_e32 v[48:49], v[16:17]
	v_add_f64_e32 v[54:55], -1.0, v[16:17]
	v_add_f64_e64 v[14:15], v[14:15], -v[54:55]
	s_delay_alu instid0(TRANS32_DEP_1) | instskip(NEXT) | instid1(VALU_DEP_1)
	v_fma_f64 v[50:51], -v[16:17], v[48:49], 1.0
	v_fmac_f64_e32 v[48:49], v[50:51], v[48:49]
	s_delay_alu instid0(VALU_DEP_1) | instskip(NEXT) | instid1(VALU_DEP_1)
	v_fma_f64 v[50:51], -v[16:17], v[48:49], 1.0
	v_fmac_f64_e32 v[48:49], v[50:51], v[48:49]
	s_delay_alu instid0(VALU_DEP_1) | instskip(NEXT) | instid1(VALU_DEP_1)
	v_mul_f64_e32 v[50:51], v[52:53], v[48:49]
	v_mul_f64_e32 v[60:61], v[16:17], v[50:51]
	s_delay_alu instid0(VALU_DEP_1) | instskip(NEXT) | instid1(VALU_DEP_1)
	v_fma_f64 v[16:17], v[50:51], v[16:17], -v[60:61]
	v_fmac_f64_e32 v[16:17], v[50:51], v[14:15]
	s_delay_alu instid0(VALU_DEP_1) | instskip(NEXT) | instid1(VALU_DEP_1)
	v_add_f64_e32 v[14:15], v[60:61], v[16:17]
	v_add_f64_e64 v[54:55], v[52:53], -v[14:15]
	v_add_f64_e64 v[60:61], v[14:15], -v[60:61]
	s_delay_alu instid0(VALU_DEP_2) | instskip(NEXT) | instid1(VALU_DEP_2)
	v_add_f64_e64 v[52:53], v[52:53], -v[54:55]
	v_add_f64_e64 v[16:17], v[60:61], -v[16:17]
	v_mul_f64_e32 v[60:61], 0x3fe62e42fefa39ef, v[44:45]
	s_delay_alu instid0(VALU_DEP_3) | instskip(NEXT) | instid1(VALU_DEP_2)
	v_add_f64_e64 v[14:15], v[52:53], -v[14:15]
	v_fma_f64 v[62:63], v[44:45], s[8:9], -v[60:61]
	s_delay_alu instid0(VALU_DEP_2) | instskip(NEXT) | instid1(VALU_DEP_2)
	v_add_f64_e32 v[14:15], v[16:17], v[14:15]
	v_fmac_f64_e32 v[62:63], 0x3c7abc9e3b39803f, v[44:45]
	s_delay_alu instid0(VALU_DEP_2) | instskip(NEXT) | instid1(VALU_DEP_1)
	v_add_f64_e32 v[14:15], v[54:55], v[14:15]
	v_mul_f64_e32 v[14:15], v[48:49], v[14:15]
	s_delay_alu instid0(VALU_DEP_1) | instskip(NEXT) | instid1(VALU_DEP_1)
	v_add_f64_e32 v[16:17], v[50:51], v[14:15]
	v_mul_f64_e32 v[48:49], v[16:17], v[16:17]
	s_delay_alu instid0(VALU_DEP_1) | instskip(SKIP_1) | instid1(VALU_DEP_2)
	v_fmamk_f64 v[52:53], v[48:49], 0x3fc3ab76bf559e2b, v[28:29]
	v_mul_f64_e32 v[54:55], v[16:17], v[48:49]
	v_fmaak_f64 v[52:53], v[48:49], v[52:53], 0x3fc7474dd7f4df2e
	s_delay_alu instid0(VALU_DEP_1) | instskip(NEXT) | instid1(VALU_DEP_1)
	v_fmaak_f64 v[52:53], v[48:49], v[52:53], 0x3fcc71c016291751
	v_fmaak_f64 v[52:53], v[48:49], v[52:53], 0x3fd249249b27acf1
	s_delay_alu instid0(VALU_DEP_1) | instskip(NEXT) | instid1(VALU_DEP_1)
	v_fmaak_f64 v[52:53], v[48:49], v[52:53], 0x3fd99999998ef7b6
	v_fmaak_f64 v[48:49], v[48:49], v[52:53], 0x3fe5555555555780
	v_ldexp_f64 v[52:53], v[16:17], 1
	v_add_f64_e64 v[16:17], v[16:17], -v[50:51]
	s_delay_alu instid0(VALU_DEP_3) | instskip(SKIP_1) | instid1(VALU_DEP_3)
	v_mul_f64_e32 v[48:49], v[54:55], v[48:49]
	v_div_scale_f64 v[54:55], null, v[40:41], v[40:41], v[42:43]
	v_add_f64_e64 v[14:15], v[14:15], -v[16:17]
	s_delay_alu instid0(VALU_DEP_3) | instskip(NEXT) | instid1(VALU_DEP_2)
	v_add_f64_e32 v[50:51], v[52:53], v[48:49]
	v_ldexp_f64 v[14:15], v[14:15], 1
	s_delay_alu instid0(VALU_DEP_2) | instskip(SKIP_1) | instid1(VALU_DEP_1)
	v_add_f64_e64 v[16:17], v[50:51], -v[52:53]
	v_rcp_f64_e32 v[52:53], v[54:55]
	v_add_f64_e64 v[16:17], v[48:49], -v[16:17]
	s_delay_alu instid0(TRANS32_DEP_1) | instskip(NEXT) | instid1(VALU_DEP_2)
	v_fma_f64 v[48:49], -v[54:55], v[52:53], 1.0
	v_add_f64_e32 v[14:15], v[14:15], v[16:17]
	v_add_f64_e32 v[16:17], v[60:61], v[62:63]
	s_delay_alu instid0(VALU_DEP_3) | instskip(NEXT) | instid1(VALU_DEP_3)
	v_fmac_f64_e32 v[52:53], v[52:53], v[48:49]
	v_add_f64_e32 v[44:45], v[50:51], v[14:15]
	s_delay_alu instid0(VALU_DEP_3) | instskip(NEXT) | instid1(VALU_DEP_3)
	v_add_f64_e64 v[60:61], v[16:17], -v[60:61]
	v_fma_f64 v[48:49], -v[54:55], v[52:53], 1.0
	s_delay_alu instid0(VALU_DEP_3) | instskip(SKIP_1) | instid1(VALU_DEP_4)
	v_add_f64_e32 v[64:65], v[16:17], v[44:45]
	v_add_f64_e64 v[50:51], v[44:45], -v[50:51]
	v_add_f64_e64 v[60:61], v[62:63], -v[60:61]
	s_delay_alu instid0(VALU_DEP_4) | instskip(NEXT) | instid1(VALU_DEP_4)
	v_fmac_f64_e32 v[52:53], v[52:53], v[48:49]
	v_add_f64_e64 v[48:49], v[64:65], -v[16:17]
	s_delay_alu instid0(VALU_DEP_4) | instskip(NEXT) | instid1(VALU_DEP_3)
	v_add_f64_e64 v[50:51], v[14:15], -v[50:51]
	v_mul_f64_e32 v[68:69], v[66:67], v[52:53]
	s_delay_alu instid0(VALU_DEP_3) | instskip(SKIP_1) | instid1(VALU_DEP_4)
	v_add_f64_e64 v[70:71], v[64:65], -v[48:49]
	v_add_f64_e64 v[14:15], v[44:45], -v[48:49]
	v_add_f64_e32 v[48:49], v[60:61], v[50:51]
	s_delay_alu instid0(VALU_DEP_4) | instskip(NEXT) | instid1(VALU_DEP_4)
	v_fma_f64 v[54:55], -v[54:55], v[68:69], v[66:67]
	v_add_f64_e64 v[16:17], v[16:17], -v[70:71]
	s_delay_alu instid0(VALU_DEP_2) | instskip(SKIP_1) | instid1(VALU_DEP_3)
	v_div_fmas_f64 v[44:45], v[54:55], v[52:53], v[68:69]
	v_cmp_class_f64_e64 vcc_lo, v[46:47], 0x204
	v_add_f64_e32 v[16:17], v[14:15], v[16:17]
	s_delay_alu instid0(VALU_DEP_3) | instskip(SKIP_1) | instid1(VALU_DEP_3)
	v_div_fixup_f64 v[14:15], v[44:45], v[40:41], v[42:43]
	v_add_f64_e64 v[40:41], v[48:49], -v[60:61]
	v_add_f64_e32 v[16:17], v[48:49], v[16:17]
	s_delay_alu instid0(VALU_DEP_3) | instskip(NEXT) | instid1(VALU_DEP_3)
	v_mul_f64_e32 v[42:43], v[14:15], v[14:15]
	v_add_f64_e64 v[44:45], v[48:49], -v[40:41]
	v_add_f64_e64 v[40:41], v[50:51], -v[40:41]
	s_delay_alu instid0(VALU_DEP_4) | instskip(NEXT) | instid1(VALU_DEP_4)
	v_add_f64_e32 v[48:49], v[64:65], v[16:17]
	v_fmamk_f64 v[52:53], v[42:43], 0x3eeba404b5e68a13, v[36:37]
	s_delay_alu instid0(VALU_DEP_4) | instskip(NEXT) | instid1(VALU_DEP_2)
	v_add_f64_e64 v[44:45], v[60:61], -v[44:45]
	v_fmaak_f64 v[52:53], v[42:43], v[52:53], 0x3f4b2bb069efb384
	s_delay_alu instid0(VALU_DEP_1) | instskip(NEXT) | instid1(VALU_DEP_1)
	v_fmaak_f64 v[52:53], v[42:43], v[52:53], 0xbf67952daf56de9b
	v_fmaak_f64 v[52:53], v[42:43], v[52:53], 0x3f7d6d43a595c56f
	v_add_f64_e64 v[50:51], v[48:49], -v[64:65]
	s_delay_alu instid0(VALU_DEP_2) | instskip(SKIP_1) | instid1(VALU_DEP_2)
	v_fmaak_f64 v[52:53], v[42:43], v[52:53], 0xbf8c6ea4a57d9582
	v_add_f64_e32 v[40:41], v[40:41], v[44:45]
	v_fmaak_f64 v[52:53], v[42:43], v[52:53], 0x3f967e295f08b19f
	s_delay_alu instid0(VALU_DEP_1) | instskip(NEXT) | instid1(VALU_DEP_1)
	v_fmaak_f64 v[52:53], v[42:43], v[52:53], 0xbf9e9ae6fc27006a
	v_fmaak_f64 v[52:53], v[42:43], v[52:53], 0x3fa2c15b5711927a
	s_delay_alu instid0(VALU_DEP_1) | instskip(SKIP_1) | instid1(VALU_DEP_2)
	v_fmaak_f64 v[44:45], v[42:43], v[52:53], 0xbfa59976e82d3ff0
	v_add_f64_e64 v[16:17], v[16:17], -v[50:51]
	v_fmaak_f64 v[44:45], v[42:43], v[44:45], 0x3fa82d5d6ef28734
	s_delay_alu instid0(VALU_DEP_1) | instskip(NEXT) | instid1(VALU_DEP_1)
	v_fmaak_f64 v[44:45], v[42:43], v[44:45], 0xbfaae5ce6a214619
	v_fmaak_f64 v[44:45], v[42:43], v[44:45], 0x3fae1bb48427b883
	s_delay_alu instid0(VALU_DEP_1) | instskip(SKIP_1) | instid1(VALU_DEP_2)
	v_fmaak_f64 v[44:45], v[42:43], v[44:45], 0xbfb110e48b207f05
	v_add_f64_e32 v[16:17], v[40:41], v[16:17]
	v_fmaak_f64 v[40:41], v[42:43], v[44:45], 0x3fb3b13657b87036
	s_delay_alu instid0(VALU_DEP_1) | instskip(NEXT) | instid1(VALU_DEP_1)
	v_fmaak_f64 v[40:41], v[42:43], v[40:41], 0xbfb745d119378e4f
	v_fmaak_f64 v[40:41], v[42:43], v[40:41], 0x3fbc71c717e1913c
	s_delay_alu instid0(VALU_DEP_1) | instskip(NEXT) | instid1(VALU_DEP_1)
	v_fmaak_f64 v[40:41], v[42:43], v[40:41], 0xbfc2492492376b7d
	v_fmaak_f64 v[40:41], v[42:43], v[40:41], 0x3fc99999999952cc
	v_add_f64_e32 v[16:17], v[48:49], v[16:17]
	s_delay_alu instid0(VALU_DEP_2) | instskip(NEXT) | instid1(VALU_DEP_1)
	v_fmaak_f64 v[40:41], v[42:43], v[40:41], 0xbfd5555555555523
	v_dual_mul_f64 v[40:41], v[42:43], v[40:41] :: v_dual_cndmask_b32 v17, v17, v47, vcc_lo
	s_delay_alu instid0(VALU_DEP_3) | instskip(SKIP_1) | instid1(VALU_DEP_2)
	v_cndmask_b32_e32 v16, v16, v46, vcc_lo
	v_cmp_ngt_f64_e32 vcc_lo, 0, v[46:47]
	v_add_f64_e32 v[16:17], 1.0, v[16:17]
	s_delay_alu instid0(VALU_DEP_4) | instskip(NEXT) | instid1(VALU_DEP_2)
	v_fmac_f64_e32 v[14:15], v[14:15], v[40:41]
	v_cndmask_b32_e32 v17, 0x7ff80000, v17, vcc_lo
	v_cmp_nge_f64_e32 vcc_lo, 0, v[46:47]
	s_delay_alu instid0(VALU_DEP_4) | instskip(SKIP_1) | instid1(VALU_DEP_4)
	v_cndmask_b32_e32 v16, 0, v16, vcc_lo
	v_cmp_neq_f64_e32 vcc_lo, 0, v[46:47]
	v_cndmask_b32_e32 v17, 0xfff00000, v17, vcc_lo
.LBB48_622:                             ;   in Loop: Header=BB48_434 Depth=1
	s_or_b32 exec_lo, exec_lo, s35
	s_wait_dscnt 0x0
	s_delay_alu instid0(VALU_DEP_3) | instskip(NEXT) | instid1(VALU_DEP_2)
	v_add_f64_e64 v[40:41], -v[14:15], s[20:21]
	v_add_f64_e32 v[16:17], 0x3fe62e42fefa39ef, v[16:17]
	v_cmp_gt_i32_e32 vcc_lo, 0, v19
	v_dual_cndmask_b32 v19, 0x54442d18, v57 :: v_dual_ashrrev_i32 v18, 31, v19
	s_delay_alu instid0(VALU_DEP_1) | instskip(SKIP_4) | instid1(VALU_DEP_3)
	v_and_b32_e32 v42, 0x54442d18, v18
	v_and_b32_e32 v18, 0x400921fb, v18
	v_dual_cndmask_b32 v15, v15, v41, s1 :: v_dual_cndmask_b32 v14, v14, v40, s1
	v_cmp_eq_f64_e64 s1, 0, v[20:21]
	v_cndmask_b32_e32 v20, 0x3fe921fb, v58, vcc_lo
	v_add_f64_e64 v[40:41], -v[14:15], s[22:23]
	s_delay_alu instid0(VALU_DEP_2) | instskip(NEXT) | instid1(VALU_DEP_2)
	v_bfi_b32 v20, 0x7fffffff, v20, v21
	v_dual_cndmask_b32 v14, v14, v40 :: v_dual_cndmask_b32 v15, v15, v41
	s_delay_alu instid0(VALU_DEP_1) | instskip(NEXT) | instid1(VALU_DEP_2)
	v_cndmask_b32_e64 v15, v15, v18, s1
	v_cndmask_b32_e64 v14, v14, v42, s1
	v_xor_b32_e32 v18, 0x80000000, v17
	s_delay_alu instid0(VALU_DEP_2) | instskip(NEXT) | instid1(VALU_DEP_2)
	v_dual_cndmask_b32 v15, v15, v20, s34 :: v_dual_cndmask_b32 v14, v14, v19, s34
	v_cndmask_b32_e64 v17, v18, v17, s0
	s_delay_alu instid0(VALU_DEP_2)
	v_and_b32_e32 v15, 0x7fffffff, v15
.LBB48_623:                             ;   in Loop: Header=BB48_434 Depth=1
	s_or_b32 exec_lo, exec_lo, s33
                                        ; implicit-def: $vgpr20_vgpr21
.LBB48_624:                             ;   in Loop: Header=BB48_434 Depth=1
	s_and_not1_saveexec_b32 s0, s31
	s_cbranch_execz .LBB48_638
; %bb.625:                              ;   in Loop: Header=BB48_434 Depth=1
	v_cmp_neq_f64_e64 s1, 0x7ff00000, |v[18:19]|
                                        ; implicit-def: $vgpr16_vgpr17
	s_and_saveexec_b32 s2, s1
	s_delay_alu instid0(SALU_CYCLE_1)
	s_xor_b32 s1, exec_lo, s2
	s_cbranch_execz .LBB48_635
; %bb.626:                              ;   in Loop: Header=BB48_434 Depth=1
	v_cmp_neq_f64_e64 s2, 0x7ff00000, |v[20:21]|
	s_wait_dscnt 0x0
	v_xor_b32_e32 v17, 0x80000000, v21
	v_mov_b32_e32 v16, v20
	s_and_saveexec_b32 s31, s2
	s_delay_alu instid0(SALU_CYCLE_1)
	s_xor_b32 s2, exec_lo, s31
	s_cbranch_execz .LBB48_632
; %bb.627:                              ;   in Loop: Header=BB48_434 Depth=1
	s_mov_b32 s31, exec_lo
                                        ; implicit-def: $vgpr16_vgpr17
	v_cmpx_neq_f64_e32 0, v[18:19]
	s_xor_b32 s31, exec_lo, s31
	s_cbranch_execz .LBB48_629
; %bb.628:                              ;   in Loop: Header=BB48_434 Depth=1
	v_add_f64_e32 v[14:15], 0, v[20:21]
                                        ; implicit-def: $vgpr20_vgpr21
	s_delay_alu instid0(VALU_DEP_1)
	v_add_f64_e32 v[16:17], v[18:19], v[14:15]
.LBB48_629:                             ;   in Loop: Header=BB48_434 Depth=1
	s_or_saveexec_b32 s31, s31
	s_delay_alu instid0(VALU_DEP_1)
	v_mov_b64_e32 v[14:15], v[16:17]
	s_xor_b32 exec_lo, exec_lo, s31
	s_cbranch_execz .LBB48_631
; %bb.630:                              ;   in Loop: Header=BB48_434 Depth=1
	flat_load_b64 v[14:15], v[26:27] scope:SCOPE_SYS
	s_wait_loadcnt 0x0
	v_add_f64_e32 v[16:17], v[20:21], v[20:21]
	s_wait_dscnt 0x0
	v_add_f64_e32 v[14:15], 0x3ff921fb54442d18, v[14:15]
.LBB48_631:                             ;   in Loop: Header=BB48_434 Depth=1
	s_wait_xcnt 0x0
	s_or_b32 exec_lo, exec_lo, s31
                                        ; implicit-def: $vgpr18_vgpr19
.LBB48_632:                             ;   in Loop: Header=BB48_434 Depth=1
	s_and_not1_saveexec_b32 s2, s2
; %bb.633:                              ;   in Loop: Header=BB48_434 Depth=1
	v_add_f64_e32 v[14:15], v[18:19], v[18:19]
; %bb.634:                              ;   in Loop: Header=BB48_434 Depth=1
	s_or_b32 exec_lo, exec_lo, s2
                                        ; implicit-def: $vgpr20_vgpr21
.LBB48_635:                             ;   in Loop: Header=BB48_434 Depth=1
	s_and_not1_saveexec_b32 s1, s1
	s_cbranch_execz .LBB48_637
; %bb.636:                              ;   in Loop: Header=BB48_434 Depth=1
	s_wait_dscnt 0x0
	v_add_f64_e32 v[14:15], v[20:21], v[20:21]
	v_mov_b64_e32 v[16:17], 0xfff0000000000000
.LBB48_637:                             ;   in Loop: Header=BB48_434 Depth=1
	s_or_b32 exec_lo, exec_lo, s1
.LBB48_638:                             ;   in Loop: Header=BB48_434 Depth=1
	s_delay_alu instid0(SALU_CYCLE_1)
	s_or_b32 exec_lo, exec_lo, s0
	flat_store_b64 v[26:27], v[24:25] scope:SCOPE_SYS
	s_wait_storecnt 0x0
                                        ; implicit-def: $vgpr20_vgpr21
	s_mov_b32 s0, exec_lo
	s_wait_loadcnt 0x0
	v_cmpx_o_f64_e32 v[10:11], v[12:13]
	s_xor_b32 s31, exec_lo, s0
	s_cbranch_execz .LBB48_726
; %bb.639:                              ;   in Loop: Header=BB48_434 Depth=1
	v_max_num_f64_e64 v[44:45], |v[12:13]|, |v[12:13]|
	v_max_num_f64_e64 v[42:43], |v[10:11]|, |v[10:11]|
	v_cmp_gt_i64_e64 s0, 0, v[12:13]
                                        ; implicit-def: $vgpr20_vgpr21
	s_mov_b32 s1, exec_lo
	v_max_num_f64_e32 v[40:41], v[42:43], v[44:45]
	s_delay_alu instid0(VALU_DEP_1)
	v_cmpx_nlt_f64_e32 0x43300000, v[40:41]
	s_xor_b32 s33, exec_lo, s1
	s_cbranch_execz .LBB48_715
; %bb.640:                              ;   in Loop: Header=BB48_434 Depth=1
	v_cmp_neq_f64_e32 vcc_lo, 1.0, v[10:11]
	v_cmp_neq_f64_e64 s1, 0, v[12:13]
	v_xor_b32_e32 v21, 0x80000000, v13
	v_mov_b32_e32 v20, v12
	s_or_b32 s1, vcc_lo, s1
	s_delay_alu instid0(SALU_CYCLE_1) | instskip(NEXT) | instid1(SALU_CYCLE_1)
	s_and_saveexec_b32 s2, s1
	s_xor_b32 s34, exec_lo, s2
	s_cbranch_execz .LBB48_712
; %bb.641:                              ;   in Loop: Header=BB48_434 Depth=1
	flat_store_b32 v[30:31], v56 scope:SCOPE_SYS
	s_wait_storecnt 0x0
	flat_load_b32 v18, v[30:31] scope:SCOPE_SYS
	s_wait_loadcnt 0x0
	v_cmp_nlt_f64_e64 s1, |v[10:11]|, s[4:5]
	v_cmp_nlt_f64_e64 s2, |v[12:13]|, s[4:5]
	v_mov_b32_e32 v20, v12
	s_or_b32 s1, s1, s2
	s_wait_dscnt 0x0
	v_add_f32_e32 v18, 1.0, v18
	flat_store_b32 v[34:35], v18 scope:SCOPE_SYS
	s_wait_storecnt 0x0
	flat_load_b32 v18, v[34:35] scope:SCOPE_SYS
	s_wait_loadcnt 0x0
	s_wait_xcnt 0x0
	s_and_saveexec_b32 s2, s1
	s_delay_alu instid0(SALU_CYCLE_1)
	s_xor_b32 s35, exec_lo, s2
	s_cbranch_execz .LBB48_709
; %bb.642:                              ;   in Loop: Header=BB48_434 Depth=1
	s_wait_dscnt 0x0
	v_add_f64_e64 v[18:19], |v[10:11]|, -1.0
	v_add_f64_e64 v[42:43], |v[10:11]|, 1.0
	s_delay_alu instid0(VALU_DEP_2) | instskip(NEXT) | instid1(VALU_DEP_1)
	v_max_num_f64_e64 v[40:41], v[44:45], |v[18:19]|
	v_frexp_exp_i32_f64_e32 v60, v[40:41]
	s_delay_alu instid0(VALU_DEP_1) | instskip(NEXT) | instid1(VALU_DEP_1)
	v_dual_max_num_f64 v[20:21], v[44:45], v[42:43] :: v_dual_sub_nc_u32 v46, 0, v60
	v_frexp_exp_i32_f64_e32 v59, v[20:21]
	s_delay_alu instid0(VALU_DEP_2) | instskip(SKIP_1) | instid1(VALU_DEP_2)
	v_ldexp_f64 v[40:41], |v[18:19]|, v46
	v_ldexp_f64 v[46:47], |v[12:13]|, v46
	v_dual_mul_f64 v[40:41], v[40:41], v[40:41] :: v_dual_sub_nc_u32 v44, 0, v59
	s_delay_alu instid0(VALU_DEP_1) | instskip(NEXT) | instid1(VALU_DEP_2)
	v_ldexp_f64 v[20:21], v[42:43], v44
	v_fmac_f64_e32 v[40:41], v[46:47], v[46:47]
	s_delay_alu instid0(VALU_DEP_2) | instskip(SKIP_1) | instid1(VALU_DEP_3)
	v_mul_f64_e32 v[20:21], v[20:21], v[20:21]
	v_ldexp_f64 v[44:45], |v[12:13]|, v44
	v_rsq_f64_e32 v[46:47], v[40:41]
	v_cmp_eq_f64_e64 s1, 0, v[40:41]
	s_delay_alu instid0(VALU_DEP_2) | instskip(NEXT) | instid1(VALU_DEP_1)
	v_fmac_f64_e32 v[20:21], v[44:45], v[44:45]
	v_rsq_f64_e32 v[44:45], v[20:21]
	v_cmp_eq_f64_e32 vcc_lo, 0, v[20:21]
	s_delay_alu instid0(TRANS32_DEP_1) | instskip(SKIP_1) | instid1(VALU_DEP_1)
	v_mul_f64_e32 v[48:49], v[20:21], v[44:45]
	v_mul_f64_e32 v[44:45], 0.5, v[44:45]
	v_fma_f64 v[52:53], -v[44:45], v[48:49], 0.5
	s_delay_alu instid0(VALU_DEP_1) | instskip(SKIP_1) | instid1(VALU_DEP_2)
	v_fmac_f64_e32 v[48:49], v[48:49], v[52:53]
	v_fmac_f64_e32 v[44:45], v[44:45], v[52:53]
	v_fma_f64 v[52:53], -v[48:49], v[48:49], v[20:21]
	s_delay_alu instid0(VALU_DEP_1) | instskip(NEXT) | instid1(VALU_DEP_1)
	v_fmac_f64_e32 v[48:49], v[52:53], v[44:45]
	v_dual_cndmask_b32 v21, v49, v21 :: v_dual_cndmask_b32 v20, v48, v20
	v_cmp_neq_f64_e32 vcc_lo, 0x7ff00000, v[42:43]
	s_delay_alu instid0(VALU_DEP_2) | instskip(NEXT) | instid1(TRANS32_DEP_2)
	v_ldexp_f64 v[20:21], v[20:21], v59
	v_mul_f64_e32 v[50:51], v[40:41], v[46:47]
	v_mul_f64_e32 v[46:47], 0.5, v[46:47]
	s_delay_alu instid0(VALU_DEP_1) | instskip(NEXT) | instid1(VALU_DEP_1)
	v_fma_f64 v[54:55], -v[46:47], v[50:51], 0.5
	v_fmac_f64_e32 v[50:51], v[50:51], v[54:55]
	v_fmac_f64_e32 v[46:47], v[46:47], v[54:55]
	s_delay_alu instid0(VALU_DEP_2) | instskip(NEXT) | instid1(VALU_DEP_1)
	v_fma_f64 v[54:55], -v[50:51], v[50:51], v[40:41]
	v_fmac_f64_e32 v[50:51], v[54:55], v[46:47]
	v_cndmask_b32_e32 v47, 0x7ff00000, v21, vcc_lo
	s_delay_alu instid0(VALU_DEP_2) | instskip(NEXT) | instid1(VALU_DEP_3)
	v_dual_cndmask_b32 v46, 0, v20, vcc_lo :: v_dual_cndmask_b32 v41, v51, v41, s1
	v_cndmask_b32_e64 v40, v50, v40, s1
	v_cmp_neq_f64_e64 s1, 0x7ff00000, |v[18:19]|
	s_delay_alu instid0(VALU_DEP_2) | instskip(NEXT) | instid1(VALU_DEP_1)
	v_ldexp_f64 v[40:41], v[40:41], v60
	v_cndmask_b32_e64 v45, 0x7ff00000, v41, s1
	s_delay_alu instid0(VALU_DEP_2) | instskip(SKIP_1) | instid1(VALU_DEP_1)
	v_cndmask_b32_e64 v44, 0, v40, s1
	s_mov_b32 s1, exec_lo
	v_add_f64_e32 v[20:21], v[46:47], v[44:45]
	s_delay_alu instid0(VALU_DEP_1) | instskip(NEXT) | instid1(VALU_DEP_1)
	v_mul_f64_e32 v[20:21], 0.5, v[20:21]
	v_cmp_ngt_f64_e32 vcc_lo, 1.0, v[20:21]
	v_cndmask_b32_e32 v41, 0x3ff00000, v21, vcc_lo
	v_cndmask_b32_e32 v40, 0, v20, vcc_lo
                                        ; implicit-def: $vgpr20_vgpr21
	s_delay_alu instid0(VALU_DEP_1)
	v_cmpx_ngt_f64_e32 0x40240000, v[40:41]
	s_xor_b32 s1, exec_lo, s1
	s_cbranch_execz .LBB48_644
; %bb.643:                              ;   in Loop: Header=BB48_434 Depth=1
	v_fma_f64 v[20:21], v[40:41], v[40:41], -1.0
	s_delay_alu instid0(VALU_DEP_1) | instskip(SKIP_1) | instid1(VALU_DEP_1)
	v_cmp_gt_f64_e32 vcc_lo, 0x10000000, v[20:21]
	v_cndmask_b32_e64 v48, 0, 0x100, vcc_lo
	v_ldexp_f64 v[20:21], v[20:21], v48
	s_delay_alu instid0(VALU_DEP_1) | instskip(SKIP_1) | instid1(TRANS32_DEP_1)
	v_rsq_f64_e32 v[48:49], v[20:21]
	v_nop
	v_mul_f64_e32 v[50:51], v[20:21], v[48:49]
	v_mul_f64_e32 v[48:49], 0.5, v[48:49]
	s_delay_alu instid0(VALU_DEP_1) | instskip(NEXT) | instid1(VALU_DEP_1)
	v_fma_f64 v[52:53], -v[48:49], v[50:51], 0.5
	v_fmac_f64_e32 v[50:51], v[50:51], v[52:53]
	v_fmac_f64_e32 v[48:49], v[48:49], v[52:53]
	s_delay_alu instid0(VALU_DEP_2) | instskip(NEXT) | instid1(VALU_DEP_1)
	v_fma_f64 v[52:53], -v[50:51], v[50:51], v[20:21]
	v_fmac_f64_e32 v[50:51], v[52:53], v[48:49]
	s_delay_alu instid0(VALU_DEP_1) | instskip(NEXT) | instid1(VALU_DEP_1)
	v_fma_f64 v[52:53], -v[50:51], v[50:51], v[20:21]
	v_fmac_f64_e32 v[50:51], v[52:53], v[48:49]
	v_cndmask_b32_e64 v48, 0, 0xffffff80, vcc_lo
	v_cmp_class_f64_e64 vcc_lo, v[20:21], 0x260
	s_delay_alu instid0(VALU_DEP_2) | instskip(NEXT) | instid1(VALU_DEP_1)
	v_ldexp_f64 v[48:49], v[50:51], v48
	v_dual_cndmask_b32 v21, v49, v21 :: v_dual_cndmask_b32 v20, v48, v20
	s_delay_alu instid0(VALU_DEP_1) | instskip(NEXT) | instid1(VALU_DEP_1)
	v_add_f64_e32 v[20:21], v[40:41], v[20:21]
	v_frexp_mant_f64_e32 v[48:49], v[20:21]
	v_frexp_exp_i32_f64_e32 v59, v[20:21]
	s_delay_alu instid0(VALU_DEP_2) | instskip(SKIP_1) | instid1(VALU_DEP_3)
	v_cmp_gt_f64_e32 vcc_lo, s[6:7], v[48:49]
	v_cndmask_b32_e64 v50, 0, 1, vcc_lo
	v_subrev_co_ci_u32_e64 v59, null, 0, v59, vcc_lo
	v_cmp_class_f64_e64 vcc_lo, v[20:21], 0x204
	s_delay_alu instid0(VALU_DEP_3) | instskip(NEXT) | instid1(VALU_DEP_1)
	v_ldexp_f64 v[48:49], v[48:49], v50
	v_add_f64_e32 v[50:51], 1.0, v[48:49]
	v_add_f64_e32 v[60:61], -1.0, v[48:49]
	s_delay_alu instid0(VALU_DEP_2) | instskip(SKIP_1) | instid1(VALU_DEP_1)
	v_rcp_f64_e32 v[52:53], v[50:51]
	v_add_f64_e32 v[62:63], -1.0, v[50:51]
	v_add_f64_e64 v[48:49], v[48:49], -v[62:63]
	s_delay_alu instid0(TRANS32_DEP_1) | instskip(NEXT) | instid1(VALU_DEP_1)
	v_fma_f64 v[54:55], -v[50:51], v[52:53], 1.0
	v_fmac_f64_e32 v[52:53], v[54:55], v[52:53]
	s_delay_alu instid0(VALU_DEP_1) | instskip(NEXT) | instid1(VALU_DEP_1)
	v_fma_f64 v[54:55], -v[50:51], v[52:53], 1.0
	v_fmac_f64_e32 v[52:53], v[54:55], v[52:53]
	s_delay_alu instid0(VALU_DEP_1) | instskip(NEXT) | instid1(VALU_DEP_1)
	v_mul_f64_e32 v[54:55], v[60:61], v[52:53]
	v_mul_f64_e32 v[64:65], v[50:51], v[54:55]
	s_delay_alu instid0(VALU_DEP_1) | instskip(NEXT) | instid1(VALU_DEP_1)
	v_fma_f64 v[50:51], v[54:55], v[50:51], -v[64:65]
	v_fmac_f64_e32 v[50:51], v[54:55], v[48:49]
	s_delay_alu instid0(VALU_DEP_1) | instskip(NEXT) | instid1(VALU_DEP_1)
	v_add_f64_e32 v[48:49], v[64:65], v[50:51]
	v_add_f64_e64 v[62:63], v[60:61], -v[48:49]
	v_add_f64_e64 v[64:65], v[48:49], -v[64:65]
	s_delay_alu instid0(VALU_DEP_2) | instskip(NEXT) | instid1(VALU_DEP_2)
	v_add_f64_e64 v[60:61], v[60:61], -v[62:63]
	v_add_f64_e64 v[50:51], v[64:65], -v[50:51]
	s_delay_alu instid0(VALU_DEP_2) | instskip(NEXT) | instid1(VALU_DEP_1)
	v_add_f64_e64 v[48:49], v[60:61], -v[48:49]
	v_add_f64_e32 v[48:49], v[50:51], v[48:49]
	s_delay_alu instid0(VALU_DEP_1) | instskip(NEXT) | instid1(VALU_DEP_1)
	v_add_f64_e32 v[48:49], v[62:63], v[48:49]
	v_mul_f64_e32 v[48:49], v[52:53], v[48:49]
	s_delay_alu instid0(VALU_DEP_1) | instskip(NEXT) | instid1(VALU_DEP_1)
	v_add_f64_e32 v[50:51], v[54:55], v[48:49]
	v_mul_f64_e32 v[52:53], v[50:51], v[50:51]
	s_delay_alu instid0(VALU_DEP_1) | instskip(SKIP_1) | instid1(VALU_DEP_2)
	v_fmamk_f64 v[60:61], v[52:53], 0x3fc3ab76bf559e2b, v[28:29]
	v_mul_f64_e32 v[62:63], v[50:51], v[52:53]
	v_fmaak_f64 v[60:61], v[52:53], v[60:61], 0x3fc7474dd7f4df2e
	s_delay_alu instid0(VALU_DEP_1) | instskip(NEXT) | instid1(VALU_DEP_1)
	v_fmaak_f64 v[60:61], v[52:53], v[60:61], 0x3fcc71c016291751
	v_fmaak_f64 v[60:61], v[52:53], v[60:61], 0x3fd249249b27acf1
	s_delay_alu instid0(VALU_DEP_1) | instskip(NEXT) | instid1(VALU_DEP_1)
	v_fmaak_f64 v[60:61], v[52:53], v[60:61], 0x3fd99999998ef7b6
	v_fmaak_f64 v[52:53], v[52:53], v[60:61], 0x3fe5555555555780
	v_ldexp_f64 v[60:61], v[50:51], 1
	v_add_f64_e64 v[50:51], v[50:51], -v[54:55]
	s_delay_alu instid0(VALU_DEP_3) | instskip(SKIP_1) | instid1(VALU_DEP_3)
	v_mul_f64_e32 v[52:53], v[62:63], v[52:53]
	v_cvt_f64_i32_e32 v[62:63], v59
	v_add_f64_e64 v[48:49], v[48:49], -v[50:51]
	s_delay_alu instid0(VALU_DEP_3) | instskip(NEXT) | instid1(VALU_DEP_3)
	v_add_f64_e32 v[54:55], v[60:61], v[52:53]
	v_mul_f64_e32 v[64:65], 0x3fe62e42fefa39ef, v[62:63]
	s_delay_alu instid0(VALU_DEP_3) | instskip(NEXT) | instid1(VALU_DEP_3)
	v_ldexp_f64 v[48:49], v[48:49], 1
	v_add_f64_e64 v[50:51], v[54:55], -v[60:61]
	s_delay_alu instid0(VALU_DEP_3) | instskip(NEXT) | instid1(VALU_DEP_2)
	v_fma_f64 v[60:61], v[62:63], s[8:9], -v[64:65]
	v_add_f64_e64 v[50:51], v[52:53], -v[50:51]
	s_delay_alu instid0(VALU_DEP_2) | instskip(NEXT) | instid1(VALU_DEP_2)
	v_fmac_f64_e32 v[60:61], 0x3c7abc9e3b39803f, v[62:63]
	v_add_f64_e32 v[48:49], v[48:49], v[50:51]
	s_delay_alu instid0(VALU_DEP_2) | instskip(NEXT) | instid1(VALU_DEP_2)
	v_add_f64_e32 v[50:51], v[64:65], v[60:61]
	v_add_f64_e32 v[52:53], v[54:55], v[48:49]
	s_delay_alu instid0(VALU_DEP_2) | instskip(NEXT) | instid1(VALU_DEP_2)
	v_add_f64_e64 v[64:65], v[50:51], -v[64:65]
	v_add_f64_e32 v[62:63], v[50:51], v[52:53]
	v_add_f64_e64 v[54:55], v[52:53], -v[54:55]
	s_delay_alu instid0(VALU_DEP_3) | instskip(NEXT) | instid1(VALU_DEP_3)
	v_add_f64_e64 v[60:61], v[60:61], -v[64:65]
	v_add_f64_e64 v[66:67], v[62:63], -v[50:51]
	s_delay_alu instid0(VALU_DEP_3) | instskip(NEXT) | instid1(VALU_DEP_2)
	v_add_f64_e64 v[48:49], v[48:49], -v[54:55]
	v_add_f64_e64 v[68:69], v[62:63], -v[66:67]
	v_add_f64_e64 v[52:53], v[52:53], -v[66:67]
	s_delay_alu instid0(VALU_DEP_3) | instskip(NEXT) | instid1(VALU_DEP_3)
	v_add_f64_e32 v[54:55], v[60:61], v[48:49]
	v_add_f64_e64 v[50:51], v[50:51], -v[68:69]
	s_delay_alu instid0(VALU_DEP_1) | instskip(NEXT) | instid1(VALU_DEP_3)
	v_add_f64_e32 v[50:51], v[52:53], v[50:51]
	v_add_f64_e64 v[52:53], v[54:55], -v[60:61]
	s_delay_alu instid0(VALU_DEP_2) | instskip(NEXT) | instid1(VALU_DEP_2)
	v_add_f64_e32 v[50:51], v[54:55], v[50:51]
	v_add_f64_e64 v[54:55], v[54:55], -v[52:53]
	v_add_f64_e64 v[48:49], v[48:49], -v[52:53]
	s_delay_alu instid0(VALU_DEP_3) | instskip(NEXT) | instid1(VALU_DEP_3)
	v_add_f64_e32 v[64:65], v[62:63], v[50:51]
	v_add_f64_e64 v[52:53], v[60:61], -v[54:55]
	s_delay_alu instid0(VALU_DEP_2) | instskip(NEXT) | instid1(VALU_DEP_2)
	v_add_f64_e64 v[54:55], v[64:65], -v[62:63]
	v_add_f64_e32 v[48:49], v[48:49], v[52:53]
	s_delay_alu instid0(VALU_DEP_2) | instskip(NEXT) | instid1(VALU_DEP_1)
	v_add_f64_e64 v[50:51], v[50:51], -v[54:55]
	v_add_f64_e32 v[48:49], v[48:49], v[50:51]
	s_delay_alu instid0(VALU_DEP_1) | instskip(NEXT) | instid1(VALU_DEP_1)
	v_add_f64_e32 v[48:49], v[64:65], v[48:49]
	v_dual_cndmask_b32 v48, v48, v20 :: v_dual_cndmask_b32 v49, v49, v21
	v_cmp_neq_f64_e32 vcc_lo, 0, v[20:21]
	s_delay_alu instid0(VALU_DEP_2) | instskip(NEXT) | instid1(VALU_DEP_3)
	v_cndmask_b32_e32 v21, 0xfff00000, v49, vcc_lo
	v_cndmask_b32_e32 v20, 0, v48, vcc_lo
.LBB48_644:                             ;   in Loop: Header=BB48_434 Depth=1
	s_or_saveexec_b32 s36, s1
	v_and_b32_e32 v49, 0x7fffffff, v13
	v_mov_b32_e32 v48, v12
	s_xor_b32 exec_lo, exec_lo, s36
	s_cbranch_execz .LBB48_666
; %bb.645:                              ;   in Loop: Header=BB48_434 Depth=1
	v_cmp_neq_f64_e64 s1, |v[10:11]|, 1.0
	v_cmp_ngt_f64_e64 s2, 0x39000000, |v[12:13]|
                                        ; implicit-def: $vgpr20_vgpr21
	s_or_b32 s1, s1, s2
	s_delay_alu instid0(SALU_CYCLE_1) | instskip(NEXT) | instid1(SALU_CYCLE_1)
	s_and_saveexec_b32 s2, s1
	s_xor_b32 s37, exec_lo, s2
	s_cbranch_execz .LBB48_663
; %bb.646:                              ;   in Loop: Header=BB48_434 Depth=1
	v_ldexp_f64 v[20:21], |v[18:19]|, 0xffffffcc
	s_delay_alu instid0(VALU_DEP_1) | instskip(SKIP_1) | instid1(SALU_CYCLE_1)
	v_cmp_ge_f64_e64 s1, |v[12:13]|, v[20:21]
                                        ; implicit-def: $vgpr20_vgpr21
	s_and_saveexec_b32 s2, s1
	s_xor_b32 s38, exec_lo, s2
	s_cbranch_execz .LBB48_656
; %bb.647:                              ;   in Loop: Header=BB48_434 Depth=1
	v_mov_b64_e32 v[20:21], v[48:49]
	s_mov_b32 s1, exec_lo
	v_cmpx_neq_f64_e32 0, v[42:43]
	s_cbranch_execz .LBB48_649
; %bb.648:                              ;   in Loop: Header=BB48_434 Depth=1
	v_mul_f64_e32 v[20:21], v[12:13], v[12:13]
	v_add_f64_e32 v[50:51], v[42:43], v[46:47]
	s_delay_alu instid0(VALU_DEP_1) | instskip(NEXT) | instid1(VALU_DEP_1)
	v_div_scale_f64 v[52:53], null, v[50:51], v[50:51], v[20:21]
	v_rcp_f64_e32 v[54:55], v[52:53]
	v_nop
	s_delay_alu instid0(TRANS32_DEP_1) | instskip(NEXT) | instid1(VALU_DEP_1)
	v_fma_f64 v[60:61], -v[52:53], v[54:55], 1.0
	v_fmac_f64_e32 v[54:55], v[54:55], v[60:61]
	s_delay_alu instid0(VALU_DEP_1) | instskip(NEXT) | instid1(VALU_DEP_1)
	v_fma_f64 v[60:61], -v[52:53], v[54:55], 1.0
	v_fmac_f64_e32 v[54:55], v[54:55], v[60:61]
	v_div_scale_f64 v[60:61], vcc_lo, v[20:21], v[50:51], v[20:21]
	s_delay_alu instid0(VALU_DEP_1) | instskip(NEXT) | instid1(VALU_DEP_1)
	v_mul_f64_e32 v[62:63], v[60:61], v[54:55]
	v_fma_f64 v[52:53], -v[52:53], v[62:63], v[60:61]
	s_delay_alu instid0(VALU_DEP_1) | instskip(NEXT) | instid1(VALU_DEP_1)
	v_div_fmas_f64 v[52:53], v[52:53], v[54:55], v[62:63]
	v_div_fixup_f64 v[20:21], v[52:53], v[50:51], v[20:21]
.LBB48_649:                             ;   in Loop: Header=BB48_434 Depth=1
	s_or_b32 exec_lo, exec_lo, s1
	v_add_f64_e64 v[52:53], -|v[10:11]|, 1.0
	s_mov_b32 s1, exec_lo
                                        ; implicit-def: $vgpr50_vgpr51
	s_delay_alu instid0(VALU_DEP_1)
	v_cmpx_ngt_f64_e32 0, v[52:53]
	s_xor_b32 s1, exec_lo, s1
	s_cbranch_execz .LBB48_653
; %bb.650:                              ;   in Loop: Header=BB48_434 Depth=1
	v_mov_b64_e32 v[50:51], v[48:49]
	s_mov_b32 s2, exec_lo
	v_cmpx_neq_f64_e32 0, v[52:53]
	s_cbranch_execz .LBB48_652
; %bb.651:                              ;   in Loop: Header=BB48_434 Depth=1
	v_mul_f64_e32 v[50:51], v[12:13], v[12:13]
	v_add_f64_e32 v[52:53], v[52:53], v[44:45]
	s_delay_alu instid0(VALU_DEP_1) | instskip(NEXT) | instid1(VALU_DEP_1)
	v_div_scale_f64 v[54:55], null, v[52:53], v[52:53], v[50:51]
	v_rcp_f64_e32 v[60:61], v[54:55]
	v_nop
	s_delay_alu instid0(TRANS32_DEP_1) | instskip(NEXT) | instid1(VALU_DEP_1)
	v_fma_f64 v[62:63], -v[54:55], v[60:61], 1.0
	v_fmac_f64_e32 v[60:61], v[60:61], v[62:63]
	s_delay_alu instid0(VALU_DEP_1) | instskip(NEXT) | instid1(VALU_DEP_1)
	v_fma_f64 v[62:63], -v[54:55], v[60:61], 1.0
	v_fmac_f64_e32 v[60:61], v[60:61], v[62:63]
	v_div_scale_f64 v[62:63], vcc_lo, v[50:51], v[52:53], v[50:51]
	s_delay_alu instid0(VALU_DEP_1) | instskip(NEXT) | instid1(VALU_DEP_1)
	v_mul_f64_e32 v[64:65], v[62:63], v[60:61]
	v_fma_f64 v[54:55], -v[54:55], v[64:65], v[62:63]
	s_delay_alu instid0(VALU_DEP_1) | instskip(NEXT) | instid1(VALU_DEP_1)
	v_div_fmas_f64 v[54:55], v[54:55], v[60:61], v[64:65]
	v_div_fixup_f64 v[50:51], v[54:55], v[52:53], v[50:51]
.LBB48_652:                             ;   in Loop: Header=BB48_434 Depth=1
	s_or_b32 exec_lo, exec_lo, s2
                                        ; implicit-def: $vgpr52_vgpr53
.LBB48_653:                             ;   in Loop: Header=BB48_434 Depth=1
	s_and_not1_saveexec_b32 s1, s1
; %bb.654:                              ;   in Loop: Header=BB48_434 Depth=1
	v_add_f64_e64 v[50:51], v[44:45], -v[52:53]
; %bb.655:                              ;   in Loop: Header=BB48_434 Depth=1
	s_or_b32 exec_lo, exec_lo, s1
	s_delay_alu instid0(VALU_DEP_1) | instskip(SKIP_1) | instid1(VALU_DEP_2)
	v_mul_f64_e32 v[50:51], 0.5, v[50:51]
	v_add_f64_e32 v[52:53], 1.0, v[40:41]
	v_fmac_f64_e32 v[50:51], 0.5, v[20:21]
	s_delay_alu instid0(VALU_DEP_1) | instskip(NEXT) | instid1(VALU_DEP_1)
	v_mul_f64_e32 v[20:21], v[52:53], v[50:51]
	v_cmp_gt_f64_e32 vcc_lo, 0x10000000, v[20:21]
	v_cndmask_b32_e64 v52, 0, 0x100, vcc_lo
	s_delay_alu instid0(VALU_DEP_1) | instskip(NEXT) | instid1(VALU_DEP_1)
	v_ldexp_f64 v[20:21], v[20:21], v52
	v_rsq_f64_e32 v[52:53], v[20:21]
	v_nop
	s_delay_alu instid0(TRANS32_DEP_1) | instskip(SKIP_1) | instid1(VALU_DEP_1)
	v_mul_f64_e32 v[54:55], v[20:21], v[52:53]
	v_mul_f64_e32 v[52:53], 0.5, v[52:53]
	v_fma_f64 v[60:61], -v[52:53], v[54:55], 0.5
	s_delay_alu instid0(VALU_DEP_1) | instskip(SKIP_1) | instid1(VALU_DEP_2)
	v_fmac_f64_e32 v[54:55], v[54:55], v[60:61]
	v_fmac_f64_e32 v[52:53], v[52:53], v[60:61]
	v_fma_f64 v[60:61], -v[54:55], v[54:55], v[20:21]
	s_delay_alu instid0(VALU_DEP_1) | instskip(NEXT) | instid1(VALU_DEP_1)
	v_fmac_f64_e32 v[54:55], v[60:61], v[52:53]
	v_fma_f64 v[60:61], -v[54:55], v[54:55], v[20:21]
	s_delay_alu instid0(VALU_DEP_1) | instskip(SKIP_2) | instid1(VALU_DEP_2)
	v_fmac_f64_e32 v[54:55], v[60:61], v[52:53]
	v_cndmask_b32_e64 v52, 0, 0xffffff80, vcc_lo
	v_cmp_class_f64_e64 vcc_lo, v[20:21], 0x260
	v_ldexp_f64 v[52:53], v[54:55], v52
	s_delay_alu instid0(VALU_DEP_1) | instskip(NEXT) | instid1(VALU_DEP_1)
	v_dual_cndmask_b32 v21, v53, v21 :: v_dual_cndmask_b32 v20, v52, v20
	v_add_f64_e32 v[50:51], v[50:51], v[20:21]
	s_delay_alu instid0(VALU_DEP_1) | instskip(SKIP_2) | instid1(VALU_DEP_3)
	v_add_f64_e32 v[20:21], 1.0, v[50:51]
	v_cmp_neq_f64_e64 s1, 0x7ff00000, v[50:51]
	v_cmp_ngt_f64_e64 s2, -1.0, v[50:51]
	v_frexp_mant_f64_e32 v[52:53], v[20:21]
	v_frexp_exp_i32_f64_e32 v59, v[20:21]
	v_add_f64_e32 v[54:55], -1.0, v[20:21]
	s_delay_alu instid0(VALU_DEP_3) | instskip(NEXT) | instid1(VALU_DEP_2)
	v_cmp_gt_f64_e32 vcc_lo, s[6:7], v[52:53]
	v_add_f64_e64 v[52:53], v[54:55], -v[20:21]
	v_add_f64_e64 v[54:55], v[50:51], -v[54:55]
	v_subrev_co_ci_u32_e64 v59, null, 0, v59, vcc_lo
	s_delay_alu instid0(VALU_DEP_3) | instskip(SKIP_1) | instid1(VALU_DEP_3)
	v_add_f64_e32 v[52:53], 1.0, v[52:53]
	v_cmp_nge_f64_e32 vcc_lo, -1.0, v[50:51]
	v_sub_nc_u32_e32 v62, 0, v59
	s_delay_alu instid0(VALU_DEP_1) | instskip(NEXT) | instid1(VALU_DEP_4)
	v_ldexp_f64 v[20:21], v[20:21], v62
	v_add_f64_e32 v[52:53], v[54:55], v[52:53]
	s_and_b32 vcc_lo, vcc_lo, s1
	s_delay_alu instid0(VALU_DEP_2) | instskip(SKIP_1) | instid1(VALU_DEP_3)
	v_add_f64_e32 v[60:61], 1.0, v[20:21]
	v_add_f64_e32 v[66:67], -1.0, v[20:21]
	v_ldexp_f64 v[52:53], v[52:53], v62
	s_delay_alu instid0(VALU_DEP_3) | instskip(NEXT) | instid1(VALU_DEP_3)
	v_add_f64_e32 v[54:55], -1.0, v[60:61]
	v_add_f64_e32 v[68:69], 1.0, v[66:67]
	s_delay_alu instid0(VALU_DEP_2) | instskip(NEXT) | instid1(VALU_DEP_2)
	v_add_f64_e64 v[54:55], v[20:21], -v[54:55]
	v_add_f64_e64 v[20:21], v[20:21], -v[68:69]
	s_delay_alu instid0(VALU_DEP_2) | instskip(NEXT) | instid1(VALU_DEP_2)
	v_add_f64_e32 v[54:55], v[52:53], v[54:55]
	v_add_f64_e32 v[20:21], v[52:53], v[20:21]
	s_delay_alu instid0(VALU_DEP_2) | instskip(NEXT) | instid1(VALU_DEP_2)
	v_add_f64_e32 v[62:63], v[60:61], v[54:55]
	v_add_f64_e32 v[68:69], v[66:67], v[20:21]
	s_delay_alu instid0(VALU_DEP_2) | instskip(SKIP_1) | instid1(VALU_DEP_2)
	v_rcp_f64_e32 v[64:65], v[62:63]
	v_add_f64_e64 v[60:61], v[62:63], -v[60:61]
	v_add_f64_e64 v[66:67], v[68:69], -v[66:67]
	s_delay_alu instid0(VALU_DEP_2) | instskip(NEXT) | instid1(VALU_DEP_2)
	v_add_f64_e64 v[54:55], v[54:55], -v[60:61]
	v_add_f64_e64 v[20:21], v[20:21], -v[66:67]
	s_delay_alu instid0(TRANS32_DEP_1) | instskip(NEXT) | instid1(VALU_DEP_1)
	v_fma_f64 v[70:71], -v[62:63], v[64:65], 1.0
	v_fmac_f64_e32 v[64:65], v[70:71], v[64:65]
	s_delay_alu instid0(VALU_DEP_1) | instskip(NEXT) | instid1(VALU_DEP_1)
	v_fma_f64 v[52:53], -v[62:63], v[64:65], 1.0
	v_fmac_f64_e32 v[64:65], v[52:53], v[64:65]
	s_delay_alu instid0(VALU_DEP_1) | instskip(NEXT) | instid1(VALU_DEP_1)
	v_mul_f64_e32 v[52:53], v[68:69], v[64:65]
	v_mul_f64_e32 v[70:71], v[62:63], v[52:53]
	s_delay_alu instid0(VALU_DEP_1) | instskip(NEXT) | instid1(VALU_DEP_1)
	v_fma_f64 v[60:61], v[52:53], v[62:63], -v[70:71]
	v_fmac_f64_e32 v[60:61], v[52:53], v[54:55]
	s_delay_alu instid0(VALU_DEP_1) | instskip(NEXT) | instid1(VALU_DEP_1)
	v_add_f64_e32 v[72:73], v[70:71], v[60:61]
	v_add_f64_e64 v[74:75], v[68:69], -v[72:73]
	v_add_f64_e64 v[66:67], v[72:73], -v[70:71]
	s_delay_alu instid0(VALU_DEP_2) | instskip(NEXT) | instid1(VALU_DEP_2)
	v_add_f64_e64 v[68:69], v[68:69], -v[74:75]
	v_add_f64_e64 v[60:61], v[66:67], -v[60:61]
	s_delay_alu instid0(VALU_DEP_2) | instskip(NEXT) | instid1(VALU_DEP_1)
	v_add_f64_e64 v[68:69], v[68:69], -v[72:73]
	v_add_f64_e32 v[20:21], v[20:21], v[68:69]
	s_delay_alu instid0(VALU_DEP_1) | instskip(NEXT) | instid1(VALU_DEP_1)
	v_add_f64_e32 v[20:21], v[60:61], v[20:21]
	v_add_f64_e32 v[60:61], v[74:75], v[20:21]
	s_delay_alu instid0(VALU_DEP_1) | instskip(SKIP_1) | instid1(VALU_DEP_2)
	v_mul_f64_e32 v[66:67], v[64:65], v[60:61]
	v_add_f64_e64 v[72:73], v[74:75], -v[60:61]
	v_mul_f64_e32 v[68:69], v[62:63], v[66:67]
	s_delay_alu instid0(VALU_DEP_2) | instskip(NEXT) | instid1(VALU_DEP_2)
	v_add_f64_e32 v[20:21], v[20:21], v[72:73]
	v_fma_f64 v[62:63], v[66:67], v[62:63], -v[68:69]
	s_delay_alu instid0(VALU_DEP_1) | instskip(NEXT) | instid1(VALU_DEP_1)
	v_fmac_f64_e32 v[62:63], v[66:67], v[54:55]
	v_add_f64_e32 v[54:55], v[68:69], v[62:63]
	s_delay_alu instid0(VALU_DEP_1) | instskip(SKIP_1) | instid1(VALU_DEP_2)
	v_add_f64_e64 v[70:71], v[60:61], -v[54:55]
	v_add_f64_e64 v[68:69], v[54:55], -v[68:69]
	;; [unrolled: 1-line block ×3, first 2 shown]
	s_delay_alu instid0(VALU_DEP_1) | instskip(NEXT) | instid1(VALU_DEP_3)
	v_add_f64_e64 v[54:55], v[60:61], -v[54:55]
	v_add_f64_e64 v[60:61], v[68:69], -v[62:63]
	s_delay_alu instid0(VALU_DEP_2) | instskip(SKIP_1) | instid1(VALU_DEP_2)
	v_add_f64_e32 v[20:21], v[20:21], v[54:55]
	v_add_f64_e32 v[54:55], v[52:53], v[66:67]
	;; [unrolled: 1-line block ×3, first 2 shown]
	s_delay_alu instid0(VALU_DEP_2) | instskip(NEXT) | instid1(VALU_DEP_2)
	v_add_f64_e64 v[52:53], v[54:55], -v[52:53]
	v_add_f64_e32 v[20:21], v[70:71], v[20:21]
	s_delay_alu instid0(VALU_DEP_2) | instskip(NEXT) | instid1(VALU_DEP_2)
	v_add_f64_e64 v[52:53], v[66:67], -v[52:53]
	v_mul_f64_e32 v[20:21], v[64:65], v[20:21]
	s_delay_alu instid0(VALU_DEP_1) | instskip(NEXT) | instid1(VALU_DEP_1)
	v_add_f64_e32 v[20:21], v[52:53], v[20:21]
	v_add_f64_e32 v[52:53], v[54:55], v[20:21]
	s_delay_alu instid0(VALU_DEP_1) | instskip(NEXT) | instid1(VALU_DEP_1)
	v_mul_f64_e32 v[60:61], v[52:53], v[52:53]
	v_fmamk_f64 v[62:63], v[60:61], 0x3fc3ab76bf559e2b, v[28:29]
	v_mul_f64_e32 v[64:65], v[52:53], v[60:61]
	s_delay_alu instid0(VALU_DEP_2) | instskip(NEXT) | instid1(VALU_DEP_1)
	v_fmaak_f64 v[62:63], v[60:61], v[62:63], 0x3fc7474dd7f4df2e
	v_fmaak_f64 v[62:63], v[60:61], v[62:63], 0x3fcc71c016291751
	s_delay_alu instid0(VALU_DEP_1) | instskip(NEXT) | instid1(VALU_DEP_1)
	v_fmaak_f64 v[62:63], v[60:61], v[62:63], 0x3fd249249b27acf1
	v_fmaak_f64 v[62:63], v[60:61], v[62:63], 0x3fd99999998ef7b6
	s_delay_alu instid0(VALU_DEP_1) | instskip(SKIP_2) | instid1(VALU_DEP_3)
	v_fmaak_f64 v[60:61], v[60:61], v[62:63], 0x3fe5555555555780
	v_ldexp_f64 v[62:63], v[52:53], 1
	v_add_f64_e64 v[52:53], v[52:53], -v[54:55]
	v_mul_f64_e32 v[60:61], v[64:65], v[60:61]
	v_cvt_f64_i32_e32 v[64:65], v59
	s_delay_alu instid0(VALU_DEP_3) | instskip(NEXT) | instid1(VALU_DEP_3)
	v_add_f64_e64 v[20:21], v[20:21], -v[52:53]
	v_add_f64_e32 v[54:55], v[62:63], v[60:61]
	s_delay_alu instid0(VALU_DEP_3) | instskip(NEXT) | instid1(VALU_DEP_3)
	v_mul_f64_e32 v[66:67], 0x3fe62e42fefa39ef, v[64:65]
	v_ldexp_f64 v[20:21], v[20:21], 1
	s_delay_alu instid0(VALU_DEP_3) | instskip(NEXT) | instid1(VALU_DEP_3)
	v_add_f64_e64 v[52:53], v[54:55], -v[62:63]
	v_fma_f64 v[62:63], v[64:65], s[8:9], -v[66:67]
	s_delay_alu instid0(VALU_DEP_2) | instskip(NEXT) | instid1(VALU_DEP_2)
	v_add_f64_e64 v[52:53], v[60:61], -v[52:53]
	v_fmac_f64_e32 v[62:63], 0x3c7abc9e3b39803f, v[64:65]
	s_delay_alu instid0(VALU_DEP_2) | instskip(NEXT) | instid1(VALU_DEP_2)
	v_add_f64_e32 v[20:21], v[20:21], v[52:53]
	v_add_f64_e32 v[52:53], v[66:67], v[62:63]
	s_delay_alu instid0(VALU_DEP_2) | instskip(NEXT) | instid1(VALU_DEP_2)
	v_add_f64_e32 v[60:61], v[54:55], v[20:21]
	v_add_f64_e64 v[66:67], v[52:53], -v[66:67]
	s_delay_alu instid0(VALU_DEP_2) | instskip(SKIP_1) | instid1(VALU_DEP_3)
	v_add_f64_e32 v[64:65], v[52:53], v[60:61]
	v_add_f64_e64 v[54:55], v[60:61], -v[54:55]
	v_add_f64_e64 v[62:63], v[62:63], -v[66:67]
	s_delay_alu instid0(VALU_DEP_3) | instskip(NEXT) | instid1(VALU_DEP_3)
	v_add_f64_e64 v[68:69], v[64:65], -v[52:53]
	v_add_f64_e64 v[20:21], v[20:21], -v[54:55]
	s_delay_alu instid0(VALU_DEP_2) | instskip(SKIP_1) | instid1(VALU_DEP_3)
	v_add_f64_e64 v[70:71], v[64:65], -v[68:69]
	v_add_f64_e64 v[54:55], v[60:61], -v[68:69]
	v_add_f64_e32 v[60:61], v[62:63], v[20:21]
	s_delay_alu instid0(VALU_DEP_3) | instskip(NEXT) | instid1(VALU_DEP_1)
	v_add_f64_e64 v[52:53], v[52:53], -v[70:71]
	v_add_f64_e32 v[52:53], v[54:55], v[52:53]
	s_delay_alu instid0(VALU_DEP_3) | instskip(NEXT) | instid1(VALU_DEP_2)
	v_add_f64_e64 v[54:55], v[60:61], -v[62:63]
	v_add_f64_e32 v[52:53], v[60:61], v[52:53]
	s_delay_alu instid0(VALU_DEP_2) | instskip(SKIP_1) | instid1(VALU_DEP_3)
	v_add_f64_e64 v[60:61], v[60:61], -v[54:55]
	v_add_f64_e64 v[20:21], v[20:21], -v[54:55]
	v_add_f64_e32 v[66:67], v[64:65], v[52:53]
	s_delay_alu instid0(VALU_DEP_3) | instskip(NEXT) | instid1(VALU_DEP_2)
	v_add_f64_e64 v[60:61], v[62:63], -v[60:61]
	v_add_f64_e64 v[54:55], v[66:67], -v[64:65]
	s_delay_alu instid0(VALU_DEP_2) | instskip(NEXT) | instid1(VALU_DEP_2)
	v_add_f64_e32 v[20:21], v[20:21], v[60:61]
	v_add_f64_e64 v[52:53], v[52:53], -v[54:55]
	s_delay_alu instid0(VALU_DEP_1) | instskip(NEXT) | instid1(VALU_DEP_1)
	v_add_f64_e32 v[20:21], v[20:21], v[52:53]
	v_add_f64_e32 v[20:21], v[66:67], v[20:21]
	s_delay_alu instid0(VALU_DEP_1) | instskip(SKIP_1) | instid1(VALU_DEP_3)
	v_cndmask_b32_e32 v20, 0, v20, vcc_lo
	v_cmp_neq_f64_e32 vcc_lo, -1.0, v[50:51]
	v_cndmask_b32_e64 v21, 0x7ff00000, v21, s1
	s_delay_alu instid0(VALU_DEP_1) | instskip(NEXT) | instid1(VALU_DEP_1)
	v_cndmask_b32_e64 v21, 0x7ff80000, v21, s2
	v_cndmask_b32_e32 v21, 0xfff00000, v21, vcc_lo
.LBB48_656:                             ;   in Loop: Header=BB48_434 Depth=1
	s_and_not1_saveexec_b32 s38, s38
	s_cbranch_execz .LBB48_662
; %bb.657:                              ;   in Loop: Header=BB48_434 Depth=1
                                        ; implicit-def: $vgpr20_vgpr21
	s_mov_b32 s2, exec_lo
	v_cmpx_nlt_f64_e64 |v[10:11]|, 1.0
	s_xor_b32 s39, exec_lo, s2
	s_cbranch_execz .LBB48_659
; %bb.658:                              ;   in Loop: Header=BB48_434 Depth=1
	v_mul_f64_e32 v[20:21], v[18:19], v[42:43]
	s_delay_alu instid0(VALU_DEP_1) | instskip(SKIP_1) | instid1(VALU_DEP_1)
	v_cmp_gt_f64_e32 vcc_lo, 0x10000000, v[20:21]
	v_cndmask_b32_e64 v50, 0, 0x100, vcc_lo
	v_ldexp_f64 v[20:21], v[20:21], v50
	s_delay_alu instid0(VALU_DEP_1) | instskip(SKIP_1) | instid1(TRANS32_DEP_1)
	v_rsq_f64_e32 v[50:51], v[20:21]
	v_nop
	v_mul_f64_e32 v[52:53], v[20:21], v[50:51]
	v_mul_f64_e32 v[50:51], 0.5, v[50:51]
	s_delay_alu instid0(VALU_DEP_1) | instskip(NEXT) | instid1(VALU_DEP_1)
	v_fma_f64 v[54:55], -v[50:51], v[52:53], 0.5
	v_fmac_f64_e32 v[52:53], v[52:53], v[54:55]
	v_fmac_f64_e32 v[50:51], v[50:51], v[54:55]
	s_delay_alu instid0(VALU_DEP_2) | instskip(NEXT) | instid1(VALU_DEP_1)
	v_fma_f64 v[54:55], -v[52:53], v[52:53], v[20:21]
	v_fmac_f64_e32 v[52:53], v[54:55], v[50:51]
	s_delay_alu instid0(VALU_DEP_1) | instskip(NEXT) | instid1(VALU_DEP_1)
	v_fma_f64 v[54:55], -v[52:53], v[52:53], v[20:21]
	v_fmac_f64_e32 v[52:53], v[54:55], v[50:51]
	v_cndmask_b32_e64 v50, 0, 0xffffff80, vcc_lo
	v_cmp_class_f64_e64 vcc_lo, v[20:21], 0x260
	s_delay_alu instid0(VALU_DEP_2) | instskip(NEXT) | instid1(VALU_DEP_1)
	v_ldexp_f64 v[50:51], v[52:53], v50
	v_dual_cndmask_b32 v21, v51, v21 :: v_dual_cndmask_b32 v20, v50, v20
	s_delay_alu instid0(VALU_DEP_1) | instskip(NEXT) | instid1(VALU_DEP_1)
	v_add_f64_e32 v[50:51], v[18:19], v[20:21]
	v_add_f64_e32 v[20:21], 1.0, v[50:51]
	v_cmp_neq_f64_e64 s1, 0x7ff00000, v[50:51]
	v_cmp_ngt_f64_e64 s2, -1.0, v[50:51]
	s_delay_alu instid0(VALU_DEP_3) | instskip(SKIP_2) | instid1(VALU_DEP_3)
	v_frexp_mant_f64_e32 v[52:53], v[20:21]
	v_frexp_exp_i32_f64_e32 v59, v[20:21]
	v_add_f64_e32 v[54:55], -1.0, v[20:21]
	v_cmp_gt_f64_e32 vcc_lo, s[6:7], v[52:53]
	s_delay_alu instid0(VALU_DEP_2) | instskip(SKIP_2) | instid1(VALU_DEP_3)
	v_add_f64_e64 v[52:53], v[54:55], -v[20:21]
	v_add_f64_e64 v[54:55], v[50:51], -v[54:55]
	v_subrev_co_ci_u32_e64 v59, null, 0, v59, vcc_lo
	v_add_f64_e32 v[52:53], 1.0, v[52:53]
	v_cmp_nge_f64_e32 vcc_lo, -1.0, v[50:51]
	s_delay_alu instid0(VALU_DEP_3) | instskip(NEXT) | instid1(VALU_DEP_1)
	v_sub_nc_u32_e32 v62, 0, v59
	v_ldexp_f64 v[20:21], v[20:21], v62
	s_delay_alu instid0(VALU_DEP_4) | instskip(SKIP_1) | instid1(VALU_DEP_2)
	v_add_f64_e32 v[52:53], v[54:55], v[52:53]
	s_and_b32 vcc_lo, vcc_lo, s1
	v_add_f64_e32 v[60:61], 1.0, v[20:21]
	v_add_f64_e32 v[66:67], -1.0, v[20:21]
	s_delay_alu instid0(VALU_DEP_3) | instskip(NEXT) | instid1(VALU_DEP_3)
	v_ldexp_f64 v[52:53], v[52:53], v62
	v_add_f64_e32 v[54:55], -1.0, v[60:61]
	s_delay_alu instid0(VALU_DEP_3) | instskip(NEXT) | instid1(VALU_DEP_2)
	v_add_f64_e32 v[68:69], 1.0, v[66:67]
	v_add_f64_e64 v[54:55], v[20:21], -v[54:55]
	s_delay_alu instid0(VALU_DEP_2) | instskip(NEXT) | instid1(VALU_DEP_2)
	v_add_f64_e64 v[20:21], v[20:21], -v[68:69]
	v_add_f64_e32 v[54:55], v[52:53], v[54:55]
	s_delay_alu instid0(VALU_DEP_2) | instskip(NEXT) | instid1(VALU_DEP_2)
	v_add_f64_e32 v[20:21], v[52:53], v[20:21]
	v_add_f64_e32 v[62:63], v[60:61], v[54:55]
	s_delay_alu instid0(VALU_DEP_2) | instskip(NEXT) | instid1(VALU_DEP_2)
	v_add_f64_e32 v[68:69], v[66:67], v[20:21]
	v_rcp_f64_e32 v[64:65], v[62:63]
	v_add_f64_e64 v[60:61], v[62:63], -v[60:61]
	s_delay_alu instid0(VALU_DEP_2) | instskip(NEXT) | instid1(VALU_DEP_2)
	v_add_f64_e64 v[66:67], v[68:69], -v[66:67]
	v_add_f64_e64 v[54:55], v[54:55], -v[60:61]
	s_delay_alu instid0(VALU_DEP_2) | instskip(NEXT) | instid1(TRANS32_DEP_1)
	v_add_f64_e64 v[20:21], v[20:21], -v[66:67]
	v_fma_f64 v[70:71], -v[62:63], v[64:65], 1.0
	s_delay_alu instid0(VALU_DEP_1) | instskip(NEXT) | instid1(VALU_DEP_1)
	v_fmac_f64_e32 v[64:65], v[70:71], v[64:65]
	v_fma_f64 v[52:53], -v[62:63], v[64:65], 1.0
	s_delay_alu instid0(VALU_DEP_1) | instskip(NEXT) | instid1(VALU_DEP_1)
	v_fmac_f64_e32 v[64:65], v[52:53], v[64:65]
	v_mul_f64_e32 v[52:53], v[68:69], v[64:65]
	s_delay_alu instid0(VALU_DEP_1) | instskip(NEXT) | instid1(VALU_DEP_1)
	v_mul_f64_e32 v[70:71], v[62:63], v[52:53]
	v_fma_f64 v[60:61], v[52:53], v[62:63], -v[70:71]
	s_delay_alu instid0(VALU_DEP_1) | instskip(NEXT) | instid1(VALU_DEP_1)
	v_fmac_f64_e32 v[60:61], v[52:53], v[54:55]
	v_add_f64_e32 v[72:73], v[70:71], v[60:61]
	s_delay_alu instid0(VALU_DEP_1) | instskip(SKIP_1) | instid1(VALU_DEP_2)
	v_add_f64_e64 v[74:75], v[68:69], -v[72:73]
	v_add_f64_e64 v[66:67], v[72:73], -v[70:71]
	;; [unrolled: 1-line block ×3, first 2 shown]
	s_delay_alu instid0(VALU_DEP_2) | instskip(NEXT) | instid1(VALU_DEP_2)
	v_add_f64_e64 v[60:61], v[66:67], -v[60:61]
	v_add_f64_e64 v[68:69], v[68:69], -v[72:73]
	s_delay_alu instid0(VALU_DEP_1) | instskip(NEXT) | instid1(VALU_DEP_1)
	v_add_f64_e32 v[20:21], v[20:21], v[68:69]
	v_add_f64_e32 v[20:21], v[60:61], v[20:21]
	s_delay_alu instid0(VALU_DEP_1) | instskip(NEXT) | instid1(VALU_DEP_1)
	v_add_f64_e32 v[60:61], v[74:75], v[20:21]
	v_mul_f64_e32 v[66:67], v[64:65], v[60:61]
	v_add_f64_e64 v[72:73], v[74:75], -v[60:61]
	s_delay_alu instid0(VALU_DEP_2) | instskip(NEXT) | instid1(VALU_DEP_2)
	v_mul_f64_e32 v[68:69], v[62:63], v[66:67]
	v_add_f64_e32 v[20:21], v[20:21], v[72:73]
	s_delay_alu instid0(VALU_DEP_2) | instskip(NEXT) | instid1(VALU_DEP_1)
	v_fma_f64 v[62:63], v[66:67], v[62:63], -v[68:69]
	v_fmac_f64_e32 v[62:63], v[66:67], v[54:55]
	s_delay_alu instid0(VALU_DEP_1) | instskip(NEXT) | instid1(VALU_DEP_1)
	v_add_f64_e32 v[54:55], v[68:69], v[62:63]
	v_add_f64_e64 v[70:71], v[60:61], -v[54:55]
	v_add_f64_e64 v[68:69], v[54:55], -v[68:69]
	s_delay_alu instid0(VALU_DEP_2) | instskip(NEXT) | instid1(VALU_DEP_1)
	v_add_f64_e64 v[60:61], v[60:61], -v[70:71]
	v_add_f64_e64 v[54:55], v[60:61], -v[54:55]
	s_delay_alu instid0(VALU_DEP_3) | instskip(NEXT) | instid1(VALU_DEP_2)
	v_add_f64_e64 v[60:61], v[68:69], -v[62:63]
	v_add_f64_e32 v[20:21], v[20:21], v[54:55]
	v_add_f64_e32 v[54:55], v[52:53], v[66:67]
	s_delay_alu instid0(VALU_DEP_2) | instskip(NEXT) | instid1(VALU_DEP_2)
	v_add_f64_e32 v[20:21], v[60:61], v[20:21]
	v_add_f64_e64 v[52:53], v[54:55], -v[52:53]
	s_delay_alu instid0(VALU_DEP_2) | instskip(NEXT) | instid1(VALU_DEP_2)
	v_add_f64_e32 v[20:21], v[70:71], v[20:21]
	v_add_f64_e64 v[52:53], v[66:67], -v[52:53]
	s_delay_alu instid0(VALU_DEP_2) | instskip(NEXT) | instid1(VALU_DEP_1)
	v_mul_f64_e32 v[20:21], v[64:65], v[20:21]
	v_add_f64_e32 v[20:21], v[52:53], v[20:21]
	s_delay_alu instid0(VALU_DEP_1) | instskip(NEXT) | instid1(VALU_DEP_1)
	v_add_f64_e32 v[52:53], v[54:55], v[20:21]
	v_mul_f64_e32 v[60:61], v[52:53], v[52:53]
	s_delay_alu instid0(VALU_DEP_1) | instskip(SKIP_1) | instid1(VALU_DEP_2)
	v_fmamk_f64 v[62:63], v[60:61], 0x3fc3ab76bf559e2b, v[28:29]
	v_mul_f64_e32 v[64:65], v[52:53], v[60:61]
	v_fmaak_f64 v[62:63], v[60:61], v[62:63], 0x3fc7474dd7f4df2e
	s_delay_alu instid0(VALU_DEP_1) | instskip(NEXT) | instid1(VALU_DEP_1)
	v_fmaak_f64 v[62:63], v[60:61], v[62:63], 0x3fcc71c016291751
	v_fmaak_f64 v[62:63], v[60:61], v[62:63], 0x3fd249249b27acf1
	s_delay_alu instid0(VALU_DEP_1) | instskip(NEXT) | instid1(VALU_DEP_1)
	v_fmaak_f64 v[62:63], v[60:61], v[62:63], 0x3fd99999998ef7b6
	v_fmaak_f64 v[60:61], v[60:61], v[62:63], 0x3fe5555555555780
	v_ldexp_f64 v[62:63], v[52:53], 1
	v_add_f64_e64 v[52:53], v[52:53], -v[54:55]
	s_delay_alu instid0(VALU_DEP_3) | instskip(SKIP_1) | instid1(VALU_DEP_3)
	v_mul_f64_e32 v[60:61], v[64:65], v[60:61]
	v_cvt_f64_i32_e32 v[64:65], v59
	v_add_f64_e64 v[20:21], v[20:21], -v[52:53]
	s_delay_alu instid0(VALU_DEP_3) | instskip(NEXT) | instid1(VALU_DEP_3)
	v_add_f64_e32 v[54:55], v[62:63], v[60:61]
	v_mul_f64_e32 v[66:67], 0x3fe62e42fefa39ef, v[64:65]
	s_delay_alu instid0(VALU_DEP_3) | instskip(NEXT) | instid1(VALU_DEP_3)
	v_ldexp_f64 v[20:21], v[20:21], 1
	v_add_f64_e64 v[52:53], v[54:55], -v[62:63]
	s_delay_alu instid0(VALU_DEP_3) | instskip(NEXT) | instid1(VALU_DEP_2)
	v_fma_f64 v[62:63], v[64:65], s[8:9], -v[66:67]
	v_add_f64_e64 v[52:53], v[60:61], -v[52:53]
	s_delay_alu instid0(VALU_DEP_2) | instskip(NEXT) | instid1(VALU_DEP_2)
	v_fmac_f64_e32 v[62:63], 0x3c7abc9e3b39803f, v[64:65]
	v_add_f64_e32 v[20:21], v[20:21], v[52:53]
	s_delay_alu instid0(VALU_DEP_2) | instskip(NEXT) | instid1(VALU_DEP_2)
	v_add_f64_e32 v[52:53], v[66:67], v[62:63]
	v_add_f64_e32 v[60:61], v[54:55], v[20:21]
	s_delay_alu instid0(VALU_DEP_2) | instskip(NEXT) | instid1(VALU_DEP_2)
	v_add_f64_e64 v[66:67], v[52:53], -v[66:67]
	v_add_f64_e32 v[64:65], v[52:53], v[60:61]
	v_add_f64_e64 v[54:55], v[60:61], -v[54:55]
	s_delay_alu instid0(VALU_DEP_3) | instskip(NEXT) | instid1(VALU_DEP_3)
	v_add_f64_e64 v[62:63], v[62:63], -v[66:67]
	v_add_f64_e64 v[68:69], v[64:65], -v[52:53]
	s_delay_alu instid0(VALU_DEP_3) | instskip(NEXT) | instid1(VALU_DEP_2)
	v_add_f64_e64 v[20:21], v[20:21], -v[54:55]
	v_add_f64_e64 v[70:71], v[64:65], -v[68:69]
	;; [unrolled: 1-line block ×3, first 2 shown]
	s_delay_alu instid0(VALU_DEP_3) | instskip(NEXT) | instid1(VALU_DEP_3)
	v_add_f64_e32 v[60:61], v[62:63], v[20:21]
	v_add_f64_e64 v[52:53], v[52:53], -v[70:71]
	s_delay_alu instid0(VALU_DEP_1) | instskip(NEXT) | instid1(VALU_DEP_3)
	v_add_f64_e32 v[52:53], v[54:55], v[52:53]
	v_add_f64_e64 v[54:55], v[60:61], -v[62:63]
	s_delay_alu instid0(VALU_DEP_2) | instskip(NEXT) | instid1(VALU_DEP_2)
	v_add_f64_e32 v[52:53], v[60:61], v[52:53]
	v_add_f64_e64 v[60:61], v[60:61], -v[54:55]
	v_add_f64_e64 v[20:21], v[20:21], -v[54:55]
	s_delay_alu instid0(VALU_DEP_3) | instskip(NEXT) | instid1(VALU_DEP_3)
	v_add_f64_e32 v[66:67], v[64:65], v[52:53]
	v_add_f64_e64 v[60:61], v[62:63], -v[60:61]
	s_delay_alu instid0(VALU_DEP_2) | instskip(NEXT) | instid1(VALU_DEP_2)
	v_add_f64_e64 v[54:55], v[66:67], -v[64:65]
	v_add_f64_e32 v[20:21], v[20:21], v[60:61]
	s_delay_alu instid0(VALU_DEP_2) | instskip(NEXT) | instid1(VALU_DEP_1)
	v_add_f64_e64 v[52:53], v[52:53], -v[54:55]
	v_add_f64_e32 v[20:21], v[20:21], v[52:53]
	s_delay_alu instid0(VALU_DEP_1) | instskip(NEXT) | instid1(VALU_DEP_1)
	v_add_f64_e32 v[20:21], v[66:67], v[20:21]
	v_cndmask_b32_e32 v20, 0, v20, vcc_lo
	v_cmp_neq_f64_e32 vcc_lo, -1.0, v[50:51]
	s_delay_alu instid0(VALU_DEP_3) | instskip(NEXT) | instid1(VALU_DEP_1)
	v_cndmask_b32_e64 v21, 0x7ff00000, v21, s1
	v_cndmask_b32_e64 v21, 0x7ff80000, v21, s2
	s_delay_alu instid0(VALU_DEP_1)
	v_cndmask_b32_e32 v21, 0xfff00000, v21, vcc_lo
.LBB48_659:                             ;   in Loop: Header=BB48_434 Depth=1
	s_and_not1_saveexec_b32 s1, s39
	s_cbranch_execz .LBB48_661
; %bb.660:                              ;   in Loop: Header=BB48_434 Depth=1
	v_add_f64_e64 v[20:21], -|v[10:11]|, 1.0
	s_delay_alu instid0(VALU_DEP_1) | instskip(NEXT) | instid1(VALU_DEP_1)
	v_mul_f64_e32 v[20:21], v[20:21], v[42:43]
	v_cmp_gt_f64_e32 vcc_lo, 0x10000000, v[20:21]
	v_cndmask_b32_e64 v50, 0, 0x100, vcc_lo
	s_delay_alu instid0(VALU_DEP_1) | instskip(NEXT) | instid1(VALU_DEP_1)
	v_ldexp_f64 v[20:21], v[20:21], v50
	v_rsq_f64_e32 v[50:51], v[20:21]
	v_nop
	s_delay_alu instid0(TRANS32_DEP_1) | instskip(SKIP_1) | instid1(VALU_DEP_1)
	v_mul_f64_e32 v[52:53], v[20:21], v[50:51]
	v_mul_f64_e32 v[50:51], 0.5, v[50:51]
	v_fma_f64 v[54:55], -v[50:51], v[52:53], 0.5
	s_delay_alu instid0(VALU_DEP_1) | instskip(SKIP_1) | instid1(VALU_DEP_2)
	v_fmac_f64_e32 v[52:53], v[52:53], v[54:55]
	v_fmac_f64_e32 v[50:51], v[50:51], v[54:55]
	v_fma_f64 v[54:55], -v[52:53], v[52:53], v[20:21]
	s_delay_alu instid0(VALU_DEP_1) | instskip(NEXT) | instid1(VALU_DEP_1)
	v_fmac_f64_e32 v[52:53], v[54:55], v[50:51]
	v_fma_f64 v[54:55], -v[52:53], v[52:53], v[20:21]
	s_delay_alu instid0(VALU_DEP_1) | instskip(SKIP_2) | instid1(VALU_DEP_2)
	v_fmac_f64_e32 v[52:53], v[54:55], v[50:51]
	v_cndmask_b32_e64 v50, 0, 0xffffff80, vcc_lo
	v_cmp_class_f64_e64 vcc_lo, v[20:21], 0x260
	v_ldexp_f64 v[50:51], v[52:53], v50
	v_dual_mov_b32 v52, v12 :: v_dual_mov_b32 v53, v49
	s_delay_alu instid0(VALU_DEP_2) | instskip(NEXT) | instid1(VALU_DEP_1)
	v_dual_cndmask_b32 v20, v50, v20 :: v_dual_cndmask_b32 v21, v51, v21
	v_div_scale_f64 v[50:51], null, v[20:21], v[20:21], v[52:53]
	v_div_scale_f64 v[52:53], vcc_lo, v[52:53], v[20:21], v[52:53]
	s_delay_alu instid0(VALU_DEP_2) | instskip(SKIP_1) | instid1(TRANS32_DEP_1)
	v_rcp_f64_e32 v[54:55], v[50:51]
	v_nop
	v_fma_f64 v[60:61], -v[50:51], v[54:55], 1.0
	s_delay_alu instid0(VALU_DEP_1) | instskip(NEXT) | instid1(VALU_DEP_1)
	v_fmac_f64_e32 v[54:55], v[54:55], v[60:61]
	v_fma_f64 v[60:61], -v[50:51], v[54:55], 1.0
	s_delay_alu instid0(VALU_DEP_1) | instskip(NEXT) | instid1(VALU_DEP_1)
	v_fmac_f64_e32 v[54:55], v[54:55], v[60:61]
	v_mul_f64_e32 v[60:61], v[52:53], v[54:55]
	s_delay_alu instid0(VALU_DEP_1) | instskip(NEXT) | instid1(VALU_DEP_1)
	v_fma_f64 v[50:51], -v[50:51], v[60:61], v[52:53]
	v_div_fmas_f64 v[50:51], v[50:51], v[54:55], v[60:61]
	s_delay_alu instid0(VALU_DEP_1)
	v_div_fixup_f64 v[20:21], v[50:51], v[20:21], |v[12:13]|
.LBB48_661:                             ;   in Loop: Header=BB48_434 Depth=1
	s_or_b32 exec_lo, exec_lo, s1
.LBB48_662:                             ;   in Loop: Header=BB48_434 Depth=1
	s_delay_alu instid0(SALU_CYCLE_1)
	s_or_b32 exec_lo, exec_lo, s38
.LBB48_663:                             ;   in Loop: Header=BB48_434 Depth=1
	s_and_not1_saveexec_b32 s1, s37
	s_cbranch_execz .LBB48_665
; %bb.664:                              ;   in Loop: Header=BB48_434 Depth=1
	v_cmp_gt_f64_e64 s2, 0x10000000, |v[12:13]|
	s_delay_alu instid0(VALU_DEP_1) | instskip(NEXT) | instid1(VALU_DEP_1)
	v_cndmask_b32_e64 v20, 0, 0x100, s2
	v_ldexp_f64 v[20:21], |v[12:13]|, v20
	s_delay_alu instid0(VALU_DEP_1) | instskip(SKIP_1) | instid1(TRANS32_DEP_1)
	v_rsq_f64_e32 v[50:51], v[20:21]
	v_cmp_class_f64_e64 vcc_lo, v[20:21], 0x260
	v_mul_f64_e32 v[52:53], v[20:21], v[50:51]
	v_mul_f64_e32 v[50:51], 0.5, v[50:51]
	s_delay_alu instid0(VALU_DEP_1) | instskip(NEXT) | instid1(VALU_DEP_1)
	v_fma_f64 v[54:55], -v[50:51], v[52:53], 0.5
	v_fmac_f64_e32 v[52:53], v[52:53], v[54:55]
	v_fmac_f64_e32 v[50:51], v[50:51], v[54:55]
	s_delay_alu instid0(VALU_DEP_2) | instskip(NEXT) | instid1(VALU_DEP_1)
	v_fma_f64 v[54:55], -v[52:53], v[52:53], v[20:21]
	v_fmac_f64_e32 v[52:53], v[54:55], v[50:51]
	s_delay_alu instid0(VALU_DEP_1) | instskip(NEXT) | instid1(VALU_DEP_1)
	v_fma_f64 v[54:55], -v[52:53], v[52:53], v[20:21]
	v_fmac_f64_e32 v[52:53], v[54:55], v[50:51]
	v_cndmask_b32_e64 v50, 0, 0xffffff80, s2
	s_delay_alu instid0(VALU_DEP_1) | instskip(NEXT) | instid1(VALU_DEP_1)
	v_ldexp_f64 v[50:51], v[52:53], v50
	v_dual_cndmask_b32 v21, v51, v21 :: v_dual_cndmask_b32 v20, v50, v20
.LBB48_665:                             ;   in Loop: Header=BB48_434 Depth=1
	s_or_b32 exec_lo, exec_lo, s1
.LBB48_666:                             ;   in Loop: Header=BB48_434 Depth=1
	s_delay_alu instid0(SALU_CYCLE_1) | instskip(SKIP_2) | instid1(SALU_CYCLE_1)
	s_or_b32 exec_lo, exec_lo, s36
	v_cmp_ngt_f64_e64 s2, 0x20200000, |v[10:11]|
                                        ; implicit-def: $sgpr1
                                        ; implicit-def: $vgpr50_vgpr51
                                        ; implicit-def: $vgpr54_vgpr55
                                        ; implicit-def: $vgpr52_vgpr53
	s_and_saveexec_b32 s36, s2
	s_xor_b32 s2, exec_lo, s36
	s_cbranch_execz .LBB48_690
; %bb.667:                              ;   in Loop: Header=BB48_434 Depth=1
	v_and_b32_e32 v53, 0x7fffffff, v11
	v_mov_b32_e32 v52, v10
	s_mov_b32 s1, 0
	s_mov_b32 s36, exec_lo
	s_delay_alu instid0(VALU_DEP_1) | instskip(NEXT) | instid1(VALU_DEP_1)
	v_div_scale_f64 v[50:51], null, v[40:41], v[40:41], v[52:53]
	v_rcp_f64_e32 v[54:55], v[50:51]
	v_nop
	s_delay_alu instid0(TRANS32_DEP_1) | instskip(NEXT) | instid1(VALU_DEP_1)
	v_fma_f64 v[60:61], -v[50:51], v[54:55], 1.0
	v_fmac_f64_e32 v[54:55], v[54:55], v[60:61]
	s_delay_alu instid0(VALU_DEP_1) | instskip(NEXT) | instid1(VALU_DEP_1)
	v_fma_f64 v[60:61], -v[50:51], v[54:55], 1.0
	v_fmac_f64_e32 v[54:55], v[54:55], v[60:61]
	v_div_scale_f64 v[60:61], vcc_lo, v[52:53], v[40:41], v[52:53]
	s_delay_alu instid0(VALU_DEP_1) | instskip(NEXT) | instid1(VALU_DEP_1)
	v_mul_f64_e32 v[62:63], v[60:61], v[54:55]
	v_fma_f64 v[50:51], -v[50:51], v[62:63], v[60:61]
	s_delay_alu instid0(VALU_DEP_1) | instskip(NEXT) | instid1(VALU_DEP_1)
	v_div_fmas_f64 v[50:51], v[50:51], v[54:55], v[62:63]
                                        ; implicit-def: $vgpr54_vgpr55
	v_div_fixup_f64 v[50:51], v[50:51], v[40:41], |v[10:11]|
	s_delay_alu instid0(VALU_DEP_1)
	v_cmpx_lt_f64_e32 s[12:13], v[50:51]
	s_cbranch_execz .LBB48_689
; %bb.668:                              ;   in Loop: Header=BB48_434 Depth=1
	v_cmp_neq_f64_e64 s1, |v[10:11]|, 1.0
	v_cmp_ngt_f64_e64 s37, 0x3c400000, |v[12:13]|
                                        ; implicit-def: $vgpr54_vgpr55
	s_or_b32 s1, s1, s37
	s_delay_alu instid0(SALU_CYCLE_1) | instskip(NEXT) | instid1(SALU_CYCLE_1)
	s_and_saveexec_b32 s37, s1
	s_xor_b32 s1, exec_lo, s37
	s_cbranch_execz .LBB48_686
; %bb.669:                              ;   in Loop: Header=BB48_434 Depth=1
	v_ldexp_f64 v[54:55], |v[18:19]|, 0xffffffcc
	s_delay_alu instid0(VALU_DEP_1) | instskip(SKIP_1) | instid1(SALU_CYCLE_1)
	v_cmp_ge_f64_e64 s37, |v[12:13]|, v[54:55]
                                        ; implicit-def: $vgpr54_vgpr55
	s_and_saveexec_b32 s38, s37
	s_xor_b32 s37, exec_lo, s38
	s_cbranch_execz .LBB48_679
; %bb.670:                              ;   in Loop: Header=BB48_434 Depth=1
	v_mov_b64_e32 v[54:55], v[48:49]
	s_mov_b32 s38, exec_lo
	v_cmpx_neq_f64_e32 0, v[42:43]
	s_cbranch_execz .LBB48_672
; %bb.671:                              ;   in Loop: Header=BB48_434 Depth=1
	v_mul_f64_e32 v[54:55], v[12:13], v[12:13]
	v_add_f64_e32 v[42:43], v[42:43], v[46:47]
	s_delay_alu instid0(VALU_DEP_1) | instskip(NEXT) | instid1(VALU_DEP_1)
	v_div_scale_f64 v[46:47], null, v[42:43], v[42:43], v[54:55]
	v_rcp_f64_e32 v[60:61], v[46:47]
	v_nop
	s_delay_alu instid0(TRANS32_DEP_1) | instskip(NEXT) | instid1(VALU_DEP_1)
	v_fma_f64 v[62:63], -v[46:47], v[60:61], 1.0
	v_fmac_f64_e32 v[60:61], v[60:61], v[62:63]
	s_delay_alu instid0(VALU_DEP_1) | instskip(NEXT) | instid1(VALU_DEP_1)
	v_fma_f64 v[62:63], -v[46:47], v[60:61], 1.0
	v_fmac_f64_e32 v[60:61], v[60:61], v[62:63]
	v_div_scale_f64 v[62:63], vcc_lo, v[54:55], v[42:43], v[54:55]
	s_delay_alu instid0(VALU_DEP_1) | instskip(NEXT) | instid1(VALU_DEP_1)
	v_mul_f64_e32 v[64:65], v[62:63], v[60:61]
	v_fma_f64 v[46:47], -v[46:47], v[64:65], v[62:63]
	s_delay_alu instid0(VALU_DEP_1) | instskip(NEXT) | instid1(VALU_DEP_1)
	v_div_fmas_f64 v[46:47], v[46:47], v[60:61], v[64:65]
	v_div_fixup_f64 v[54:55], v[46:47], v[42:43], v[54:55]
.LBB48_672:                             ;   in Loop: Header=BB48_434 Depth=1
	s_or_b32 exec_lo, exec_lo, s38
	s_delay_alu instid0(SALU_CYCLE_1)
	s_mov_b32 s38, exec_lo
	v_cmpx_ngt_f64_e32 0, v[18:19]
	s_xor_b32 s38, exec_lo, s38
	s_cbranch_execz .LBB48_676
; %bb.673:                              ;   in Loop: Header=BB48_434 Depth=1
	s_mov_b32 s39, exec_lo
	v_cmpx_neq_f64_e32 0, v[18:19]
	s_cbranch_execz .LBB48_675
; %bb.674:                              ;   in Loop: Header=BB48_434 Depth=1
	v_mul_f64_e32 v[12:13], v[12:13], v[12:13]
	v_add_f64_e32 v[18:19], v[18:19], v[44:45]
	s_delay_alu instid0(VALU_DEP_1) | instskip(NEXT) | instid1(VALU_DEP_1)
	v_div_scale_f64 v[42:43], null, v[18:19], v[18:19], v[12:13]
	v_rcp_f64_e32 v[44:45], v[42:43]
	v_nop
	s_delay_alu instid0(TRANS32_DEP_1) | instskip(NEXT) | instid1(VALU_DEP_1)
	v_fma_f64 v[46:47], -v[42:43], v[44:45], 1.0
	v_fmac_f64_e32 v[44:45], v[44:45], v[46:47]
	s_delay_alu instid0(VALU_DEP_1) | instskip(NEXT) | instid1(VALU_DEP_1)
	v_fma_f64 v[46:47], -v[42:43], v[44:45], 1.0
	v_fmac_f64_e32 v[44:45], v[44:45], v[46:47]
	v_div_scale_f64 v[46:47], vcc_lo, v[12:13], v[18:19], v[12:13]
	s_delay_alu instid0(VALU_DEP_1) | instskip(NEXT) | instid1(VALU_DEP_1)
	v_mul_f64_e32 v[48:49], v[46:47], v[44:45]
	v_fma_f64 v[42:43], -v[42:43], v[48:49], v[46:47]
	s_delay_alu instid0(VALU_DEP_1) | instskip(NEXT) | instid1(VALU_DEP_1)
	v_div_fmas_f64 v[42:43], v[42:43], v[44:45], v[48:49]
	v_div_fixup_f64 v[48:49], v[42:43], v[18:19], v[12:13]
.LBB48_675:                             ;   in Loop: Header=BB48_434 Depth=1
	s_or_b32 exec_lo, exec_lo, s39
                                        ; implicit-def: $vgpr18_vgpr19
                                        ; implicit-def: $vgpr44_vgpr45
.LBB48_676:                             ;   in Loop: Header=BB48_434 Depth=1
	s_and_not1_saveexec_b32 s38, s38
; %bb.677:                              ;   in Loop: Header=BB48_434 Depth=1
	v_add_f64_e64 v[48:49], v[44:45], -v[18:19]
; %bb.678:                              ;   in Loop: Header=BB48_434 Depth=1
	s_or_b32 exec_lo, exec_lo, s38
	s_delay_alu instid0(VALU_DEP_1) | instskip(SKIP_1) | instid1(VALU_DEP_2)
	v_mul_f64_e32 v[12:13], 0.5, v[48:49]
	v_add_f64_e64 v[18:19], |v[10:11]|, v[40:41]
	v_fmac_f64_e32 v[12:13], 0.5, v[54:55]
	s_delay_alu instid0(VALU_DEP_1) | instskip(NEXT) | instid1(VALU_DEP_1)
	v_mul_f64_e32 v[12:13], v[18:19], v[12:13]
	v_cmp_gt_f64_e32 vcc_lo, 0x10000000, v[12:13]
	v_cndmask_b32_e64 v18, 0, 0x100, vcc_lo
	s_delay_alu instid0(VALU_DEP_1) | instskip(NEXT) | instid1(VALU_DEP_1)
	v_ldexp_f64 v[12:13], v[12:13], v18
	v_rsq_f64_e32 v[18:19], v[12:13]
	v_nop
	s_delay_alu instid0(TRANS32_DEP_1) | instskip(SKIP_1) | instid1(VALU_DEP_1)
	v_mul_f64_e32 v[40:41], v[12:13], v[18:19]
	v_mul_f64_e32 v[18:19], 0.5, v[18:19]
	v_fma_f64 v[42:43], -v[18:19], v[40:41], 0.5
	s_delay_alu instid0(VALU_DEP_1) | instskip(SKIP_1) | instid1(VALU_DEP_2)
	v_fmac_f64_e32 v[40:41], v[40:41], v[42:43]
	v_fmac_f64_e32 v[18:19], v[18:19], v[42:43]
	v_fma_f64 v[42:43], -v[40:41], v[40:41], v[12:13]
	s_delay_alu instid0(VALU_DEP_1) | instskip(NEXT) | instid1(VALU_DEP_1)
	v_fmac_f64_e32 v[40:41], v[42:43], v[18:19]
	v_fma_f64 v[42:43], -v[40:41], v[40:41], v[12:13]
	s_delay_alu instid0(VALU_DEP_1) | instskip(SKIP_2) | instid1(VALU_DEP_2)
	v_fmac_f64_e32 v[40:41], v[42:43], v[18:19]
	v_cndmask_b32_e64 v18, 0, 0xffffff80, vcc_lo
	v_cmp_class_f64_e64 vcc_lo, v[12:13], 0x260
                                        ; implicit-def: $vgpr42_vgpr43
	v_ldexp_f64 v[18:19], v[40:41], v18
	s_delay_alu instid0(VALU_DEP_1)
	v_dual_cndmask_b32 v55, v19, v13 :: v_dual_cndmask_b32 v54, v18, v12
                                        ; implicit-def: $vgpr18_vgpr19
.LBB48_679:                             ;   in Loop: Header=BB48_434 Depth=1
	s_and_not1_saveexec_b32 s37, s37
	s_cbranch_execz .LBB48_685
; %bb.680:                              ;   in Loop: Header=BB48_434 Depth=1
	v_cmp_ngt_f64_e64 s38, |v[10:11]|, 1.0
                                        ; implicit-def: $vgpr54_vgpr55
	s_and_saveexec_b32 s39, s38
	s_delay_alu instid0(SALU_CYCLE_1)
	s_xor_b32 s38, exec_lo, s39
	s_cbranch_execz .LBB48_682
; %bb.681:                              ;   in Loop: Header=BB48_434 Depth=1
	v_add_f64_e64 v[12:13], -|v[10:11]|, 1.0
	s_delay_alu instid0(VALU_DEP_1) | instskip(NEXT) | instid1(VALU_DEP_1)
	v_mul_f64_e32 v[12:13], v[12:13], v[42:43]
	v_cmp_gt_f64_e32 vcc_lo, 0x10000000, v[12:13]
	v_cndmask_b32_e64 v18, 0, 0x100, vcc_lo
	s_delay_alu instid0(VALU_DEP_1) | instskip(NEXT) | instid1(VALU_DEP_1)
	v_ldexp_f64 v[12:13], v[12:13], v18
	v_rsq_f64_e32 v[18:19], v[12:13]
	v_nop
	s_delay_alu instid0(TRANS32_DEP_1) | instskip(SKIP_1) | instid1(VALU_DEP_1)
	v_mul_f64_e32 v[40:41], v[12:13], v[18:19]
	v_mul_f64_e32 v[18:19], 0.5, v[18:19]
	v_fma_f64 v[42:43], -v[18:19], v[40:41], 0.5
	s_delay_alu instid0(VALU_DEP_1) | instskip(SKIP_1) | instid1(VALU_DEP_2)
	v_fmac_f64_e32 v[40:41], v[40:41], v[42:43]
	v_fmac_f64_e32 v[18:19], v[18:19], v[42:43]
	v_fma_f64 v[42:43], -v[40:41], v[40:41], v[12:13]
	s_delay_alu instid0(VALU_DEP_1) | instskip(NEXT) | instid1(VALU_DEP_1)
	v_fmac_f64_e32 v[40:41], v[42:43], v[18:19]
	v_fma_f64 v[42:43], -v[40:41], v[40:41], v[12:13]
	s_delay_alu instid0(VALU_DEP_1) | instskip(SKIP_2) | instid1(VALU_DEP_2)
	v_fmac_f64_e32 v[40:41], v[42:43], v[18:19]
	v_cndmask_b32_e64 v18, 0, 0xffffff80, vcc_lo
	v_cmp_class_f64_e64 vcc_lo, v[12:13], 0x260
                                        ; implicit-def: $vgpr42_vgpr43
	v_ldexp_f64 v[18:19], v[40:41], v18
	s_delay_alu instid0(VALU_DEP_1)
	v_dual_cndmask_b32 v55, v19, v13 :: v_dual_cndmask_b32 v54, v18, v12
                                        ; implicit-def: $vgpr18_vgpr19
.LBB48_682:                             ;   in Loop: Header=BB48_434 Depth=1
	s_and_not1_saveexec_b32 s38, s38
	s_cbranch_execz .LBB48_684
; %bb.683:                              ;   in Loop: Header=BB48_434 Depth=1
	v_mul_f64_e32 v[18:19], v[42:43], v[18:19]
	v_ldexp_f64 v[12:13], |v[12:13]|, 0x6a
	v_ldexp_f64 v[52:53], |v[10:11]|, 0x6a
	s_delay_alu instid0(VALU_DEP_3) | instskip(NEXT) | instid1(VALU_DEP_3)
	v_cmp_gt_f64_e32 vcc_lo, 0x10000000, v[18:19]
	v_mul_f64_e64 v[12:13], |v[10:11]|, v[12:13]
	v_cndmask_b32_e64 v40, 0, 0x100, vcc_lo
	s_delay_alu instid0(VALU_DEP_1) | instskip(NEXT) | instid1(VALU_DEP_1)
	v_ldexp_f64 v[18:19], v[18:19], v40
	v_rsq_f64_e32 v[40:41], v[18:19]
	v_nop
	s_delay_alu instid0(TRANS32_DEP_1) | instskip(SKIP_1) | instid1(VALU_DEP_1)
	v_mul_f64_e32 v[42:43], v[18:19], v[40:41]
	v_mul_f64_e32 v[40:41], 0.5, v[40:41]
	v_fma_f64 v[44:45], -v[40:41], v[42:43], 0.5
	s_delay_alu instid0(VALU_DEP_1) | instskip(SKIP_1) | instid1(VALU_DEP_2)
	v_fmac_f64_e32 v[42:43], v[42:43], v[44:45]
	v_fmac_f64_e32 v[40:41], v[40:41], v[44:45]
	v_fma_f64 v[44:45], -v[42:43], v[42:43], v[18:19]
	s_delay_alu instid0(VALU_DEP_1) | instskip(NEXT) | instid1(VALU_DEP_1)
	v_fmac_f64_e32 v[42:43], v[44:45], v[40:41]
	v_fma_f64 v[44:45], -v[42:43], v[42:43], v[18:19]
	s_delay_alu instid0(VALU_DEP_1) | instskip(SKIP_2) | instid1(VALU_DEP_2)
	v_fmac_f64_e32 v[42:43], v[44:45], v[40:41]
	v_cndmask_b32_e64 v40, 0, 0xffffff80, vcc_lo
	v_cmp_class_f64_e64 vcc_lo, v[18:19], 0x260
	v_ldexp_f64 v[40:41], v[42:43], v40
	s_delay_alu instid0(VALU_DEP_1) | instskip(NEXT) | instid1(VALU_DEP_1)
	v_dual_cndmask_b32 v19, v41, v19 :: v_dual_cndmask_b32 v18, v40, v18
	v_div_scale_f64 v[40:41], null, v[18:19], v[18:19], v[12:13]
	v_div_scale_f64 v[46:47], vcc_lo, v[12:13], v[18:19], v[12:13]
	s_delay_alu instid0(VALU_DEP_2) | instskip(SKIP_1) | instid1(TRANS32_DEP_1)
	v_rcp_f64_e32 v[42:43], v[40:41]
	v_nop
	v_fma_f64 v[44:45], -v[40:41], v[42:43], 1.0
	s_delay_alu instid0(VALU_DEP_1) | instskip(NEXT) | instid1(VALU_DEP_1)
	v_fmac_f64_e32 v[42:43], v[42:43], v[44:45]
	v_fma_f64 v[44:45], -v[40:41], v[42:43], 1.0
	s_delay_alu instid0(VALU_DEP_1) | instskip(NEXT) | instid1(VALU_DEP_1)
	v_fmac_f64_e32 v[42:43], v[42:43], v[44:45]
	v_mul_f64_e32 v[44:45], v[46:47], v[42:43]
	s_delay_alu instid0(VALU_DEP_1) | instskip(NEXT) | instid1(VALU_DEP_1)
	v_fma_f64 v[40:41], -v[40:41], v[44:45], v[46:47]
	v_div_fmas_f64 v[40:41], v[40:41], v[42:43], v[44:45]
	s_delay_alu instid0(VALU_DEP_1)
	v_div_fixup_f64 v[54:55], v[40:41], v[18:19], v[12:13]
.LBB48_684:                             ;   in Loop: Header=BB48_434 Depth=1
	s_or_b32 exec_lo, exec_lo, s38
.LBB48_685:                             ;   in Loop: Header=BB48_434 Depth=1
	s_delay_alu instid0(SALU_CYCLE_1)
	s_or_b32 exec_lo, exec_lo, s37
                                        ; implicit-def: $vgpr40_vgpr41
.LBB48_686:                             ;   in Loop: Header=BB48_434 Depth=1
	s_and_not1_saveexec_b32 s37, s1
	s_cbranch_execz .LBB48_688
; %bb.687:                              ;   in Loop: Header=BB48_434 Depth=1
	v_cmp_gt_f64_e64 s1, 0x10000000, |v[12:13]|
	v_add_f64_e32 v[18:19], 1.0, v[40:41]
	s_delay_alu instid0(VALU_DEP_2) | instskip(NEXT) | instid1(VALU_DEP_1)
	v_cndmask_b32_e64 v40, 0, 0x100, s1
	v_ldexp_f64 v[12:13], |v[12:13]|, v40
	s_delay_alu instid0(VALU_DEP_3) | instskip(NEXT) | instid1(VALU_DEP_1)
	v_mul_f64_e32 v[18:19], 0.5, v[18:19]
	v_cmp_gt_f64_e32 vcc_lo, 0x10000000, v[18:19]
	v_cndmask_b32_e64 v41, 0, 0x100, vcc_lo
	s_delay_alu instid0(VALU_DEP_1) | instskip(SKIP_1) | instid1(VALU_DEP_1)
	v_ldexp_f64 v[18:19], v[18:19], v41
	v_rsq_f64_e32 v[40:41], v[12:13]
	v_rsq_f64_e32 v[42:43], v[18:19]
	v_nop
	s_delay_alu instid0(TRANS32_DEP_1) | instskip(SKIP_1) | instid1(VALU_DEP_1)
	v_mul_f64_e32 v[46:47], v[18:19], v[42:43]
	v_mul_f64_e32 v[42:43], 0.5, v[42:43]
	v_fma_f64 v[52:53], -v[42:43], v[46:47], 0.5
	s_delay_alu instid0(VALU_DEP_1) | instskip(SKIP_1) | instid1(VALU_DEP_2)
	v_fmac_f64_e32 v[46:47], v[46:47], v[52:53]
	v_fmac_f64_e32 v[42:43], v[42:43], v[52:53]
	v_fma_f64 v[52:53], -v[46:47], v[46:47], v[18:19]
	s_delay_alu instid0(VALU_DEP_1) | instskip(NEXT) | instid1(VALU_DEP_1)
	v_fmac_f64_e32 v[46:47], v[52:53], v[42:43]
	v_fma_f64 v[52:53], -v[46:47], v[46:47], v[18:19]
	s_delay_alu instid0(VALU_DEP_1) | instskip(SKIP_3) | instid1(VALU_DEP_3)
	v_fmac_f64_e32 v[46:47], v[52:53], v[42:43]
	v_cndmask_b32_e64 v42, 0, 0xffffff80, vcc_lo
	v_cmp_class_f64_e64 vcc_lo, v[12:13], 0x260
	v_mov_b64_e32 v[52:53], 1.0
	v_ldexp_f64 v[42:43], v[46:47], v42
	s_delay_alu instid0(TRANS32_DEP_2) | instskip(SKIP_1) | instid1(VALU_DEP_1)
	v_mul_f64_e32 v[44:45], v[12:13], v[40:41]
	v_mul_f64_e32 v[40:41], 0.5, v[40:41]
	v_fma_f64 v[48:49], -v[40:41], v[44:45], 0.5
	s_delay_alu instid0(VALU_DEP_1) | instskip(SKIP_1) | instid1(VALU_DEP_2)
	v_fmac_f64_e32 v[44:45], v[44:45], v[48:49]
	v_fmac_f64_e32 v[40:41], v[40:41], v[48:49]
	v_fma_f64 v[48:49], -v[44:45], v[44:45], v[12:13]
	s_delay_alu instid0(VALU_DEP_1) | instskip(NEXT) | instid1(VALU_DEP_1)
	v_fmac_f64_e32 v[44:45], v[48:49], v[40:41]
	v_fma_f64 v[48:49], -v[44:45], v[44:45], v[12:13]
	s_delay_alu instid0(VALU_DEP_1) | instskip(SKIP_2) | instid1(VALU_DEP_2)
	v_fmac_f64_e32 v[44:45], v[48:49], v[40:41]
	v_cndmask_b32_e64 v40, 0, 0xffffff80, s1
	v_cmp_class_f64_e64 s1, v[18:19], 0x260
	v_ldexp_f64 v[40:41], v[44:45], v40
	s_delay_alu instid0(VALU_DEP_2) | instskip(NEXT) | instid1(VALU_DEP_2)
	v_dual_cndmask_b32 v19, v43, v19, s1 :: v_dual_cndmask_b32 v18, v42, v18, s1
	v_dual_cndmask_b32 v13, v41, v13 :: v_dual_cndmask_b32 v12, v40, v12
	s_delay_alu instid0(VALU_DEP_1)
	v_mul_f64_e32 v[54:55], v[12:13], v[18:19]
.LBB48_688:                             ;   in Loop: Header=BB48_434 Depth=1
	s_or_b32 exec_lo, exec_lo, s37
	s_delay_alu instid0(SALU_CYCLE_1)
	s_mov_b32 s1, exec_lo
.LBB48_689:                             ;   in Loop: Header=BB48_434 Depth=1
	s_or_b32 exec_lo, exec_lo, s36
                                        ; implicit-def: $vgpr40_vgpr41
.LBB48_690:                             ;   in Loop: Header=BB48_434 Depth=1
	s_and_not1_saveexec_b32 s2, s2
	s_cbranch_execz .LBB48_692
; %bb.691:                              ;   in Loop: Header=BB48_434 Depth=1
	v_ldexp_f64 v[54:55], v[40:41], 53
	v_ldexp_f64 v[52:53], |v[10:11]|, 53
	s_or_b32 s1, s1, exec_lo
                                        ; implicit-def: $vgpr50_vgpr51
.LBB48_692:                             ;   in Loop: Header=BB48_434 Depth=1
	s_or_b32 exec_lo, exec_lo, s2
	s_xor_b32 s1, s1, -1
	v_cmp_lt_i64_e32 vcc_lo, -1, v[10:11]
	s_and_saveexec_b32 s2, s1
	s_delay_alu instid0(SALU_CYCLE_1)
	s_xor_b32 s2, exec_lo, s2
	s_cbranch_execz .LBB48_702
; %bb.693:                              ;   in Loop: Header=BB48_434 Depth=1
	s_delay_alu instid0(VALU_DEP_4) | instskip(NEXT) | instid1(SALU_CYCLE_1)
	s_and_saveexec_b32 s1, vcc_lo
	s_xor_b32 s36, exec_lo, s1
	s_cbranch_execz .LBB48_697
; %bb.694:                              ;   in Loop: Header=BB48_434 Depth=1
	v_fma_f64 v[12:13], |v[50:51]|, -0.5, 0.5
	v_mul_f64_e32 v[10:11], v[50:51], v[50:51]
	v_cmp_ge_f64_e64 s1, |v[50:51]|, 0.5
	s_delay_alu instid0(VALU_DEP_1) | instskip(NEXT) | instid1(VALU_DEP_1)
	v_dual_cndmask_b32 v11, v11, v13, s1 :: v_dual_cndmask_b32 v10, v10, v12, s1
	v_fmamk_f64 v[18:19], v[10:11], 0x3fa059859fea6a70, v[32:33]
	s_delay_alu instid0(VALU_DEP_1) | instskip(NEXT) | instid1(VALU_DEP_1)
	v_fmaak_f64 v[18:19], v[10:11], v[18:19], 0x3f94052137024d6a
	v_fmaak_f64 v[18:19], v[10:11], v[18:19], 0x3f7ab3a098a70509
	s_delay_alu instid0(VALU_DEP_1) | instskip(NEXT) | instid1(VALU_DEP_1)
	v_fmaak_f64 v[18:19], v[10:11], v[18:19], 0x3f88ed60a300c8d2
	v_fmaak_f64 v[18:19], v[10:11], v[18:19], 0x3f8c6fa84b77012b
	;; [unrolled: 3-line block ×5, first 2 shown]
	s_delay_alu instid0(VALU_DEP_1) | instskip(NEXT) | instid1(VALU_DEP_1)
	v_mul_f64_e32 v[10:11], v[10:11], v[18:19]
	v_fma_f64 v[18:19], v[50:51], v[10:11], v[50:51]
	s_delay_alu instid0(VALU_DEP_1)
	v_fma_f64 v[18:19], s[16:17], s[14:15], -v[18:19]
	s_and_saveexec_b32 s37, s1
	s_cbranch_execz .LBB48_696
; %bb.695:                              ;   in Loop: Header=BB48_434 Depth=1
	v_rsq_f64_e32 v[18:19], v[12:13]
	v_cmp_eq_f64_e64 s1, 0, v[12:13]
	s_delay_alu instid0(TRANS32_DEP_1) | instskip(SKIP_1) | instid1(VALU_DEP_1)
	v_mul_f64_e32 v[40:41], v[12:13], v[18:19]
	v_mul_f64_e32 v[18:19], 0.5, v[18:19]
	v_fma_f64 v[42:43], -v[18:19], v[40:41], 0.5
	s_delay_alu instid0(VALU_DEP_1) | instskip(SKIP_1) | instid1(VALU_DEP_2)
	v_fmac_f64_e32 v[40:41], v[40:41], v[42:43]
	v_fmac_f64_e32 v[18:19], v[18:19], v[42:43]
	v_fma_f64 v[42:43], -v[40:41], v[40:41], v[12:13]
	s_delay_alu instid0(VALU_DEP_1) | instskip(NEXT) | instid1(VALU_DEP_1)
	v_fmac_f64_e32 v[40:41], v[42:43], v[18:19]
	v_dual_cndmask_b32 v19, v41, v13, s1 :: v_dual_cndmask_b32 v18, v40, v12, s1
	s_delay_alu instid0(VALU_DEP_1) | instskip(SKIP_1) | instid1(VALU_DEP_2)
	v_add_f64_e32 v[40:41], v[18:19], v[18:19]
	v_mul_f64_e32 v[42:43], v[18:19], v[18:19]
	v_rcp_f64_e32 v[44:45], v[40:41]
	s_delay_alu instid0(VALU_DEP_1) | instskip(SKIP_1) | instid1(VALU_DEP_2)
	v_add_f64_e64 v[46:47], v[12:13], -v[42:43]
	v_fma_f64 v[52:53], v[18:19], v[18:19], -v[42:43]
	v_add_f64_e64 v[12:13], v[12:13], -v[46:47]
	s_delay_alu instid0(TRANS32_DEP_1) | instskip(NEXT) | instid1(VALU_DEP_2)
	v_fma_f64 v[48:49], -v[40:41], v[44:45], 1.0
	v_add_f64_e64 v[12:13], v[12:13], -v[42:43]
	s_delay_alu instid0(VALU_DEP_2) | instskip(NEXT) | instid1(VALU_DEP_2)
	v_fmac_f64_e32 v[44:45], v[48:49], v[44:45]
	v_add_f64_e64 v[12:13], v[12:13], -v[52:53]
	s_delay_alu instid0(VALU_DEP_2) | instskip(NEXT) | instid1(VALU_DEP_2)
	v_fma_f64 v[42:43], -v[40:41], v[44:45], 1.0
	v_add_f64_e32 v[12:13], v[46:47], v[12:13]
	s_delay_alu instid0(VALU_DEP_2) | instskip(NEXT) | instid1(VALU_DEP_1)
	v_fmac_f64_e32 v[44:45], v[42:43], v[44:45]
	v_mul_f64_e32 v[42:43], v[12:13], v[44:45]
	s_delay_alu instid0(VALU_DEP_1) | instskip(NEXT) | instid1(VALU_DEP_1)
	v_fma_f64 v[12:13], -v[40:41], v[42:43], v[12:13]
	v_fmac_f64_e32 v[42:43], v[12:13], v[44:45]
	s_delay_alu instid0(VALU_DEP_1) | instskip(NEXT) | instid1(VALU_DEP_2)
	v_cndmask_b32_e64 v13, v43, 0, s1
	v_cndmask_b32_e64 v12, v42, 0, s1
	v_cmp_neq_f64_e64 s1, 1.0, v[50:51]
	s_delay_alu instid0(VALU_DEP_2) | instskip(NEXT) | instid1(VALU_DEP_1)
	v_add_f64_e32 v[40:41], v[18:19], v[12:13]
	v_add_f64_e64 v[18:19], v[40:41], -v[18:19]
	s_delay_alu instid0(VALU_DEP_1) | instskip(NEXT) | instid1(VALU_DEP_1)
	v_add_f64_e64 v[12:13], v[12:13], -v[18:19]
	v_fmac_f64_e32 v[12:13], v[40:41], v[10:11]
	s_delay_alu instid0(VALU_DEP_1) | instskip(NEXT) | instid1(VALU_DEP_1)
	v_add_f64_e32 v[10:11], v[40:41], v[12:13]
	v_add_f64_e32 v[10:11], v[10:11], v[10:11]
	s_delay_alu instid0(VALU_DEP_1)
	v_dual_cndmask_b32 v19, 0, v11, s1 :: v_dual_cndmask_b32 v18, 0, v10, s1
.LBB48_696:                             ;   in Loop: Header=BB48_434 Depth=1
	s_or_b32 exec_lo, exec_lo, s37
                                        ; implicit-def: $vgpr50_vgpr51
.LBB48_697:                             ;   in Loop: Header=BB48_434 Depth=1
	s_and_not1_saveexec_b32 s36, s36
	s_cbranch_execz .LBB48_701
; %bb.698:                              ;   in Loop: Header=BB48_434 Depth=1
	v_fma_f64 v[12:13], |v[50:51]|, -0.5, 0.5
	v_mul_f64_e32 v[10:11], v[50:51], v[50:51]
	v_cmp_ge_f64_e64 s1, |v[50:51]|, 0.5
	s_delay_alu instid0(VALU_DEP_1) | instskip(NEXT) | instid1(VALU_DEP_1)
	v_dual_cndmask_b32 v11, v11, v13, s1 :: v_dual_cndmask_b32 v10, v10, v12, s1
	v_fmamk_f64 v[18:19], v[10:11], 0x3fa059859fea6a70, v[32:33]
	s_delay_alu instid0(VALU_DEP_1) | instskip(NEXT) | instid1(VALU_DEP_1)
	v_fmaak_f64 v[18:19], v[10:11], v[18:19], 0x3f94052137024d6a
	v_fmaak_f64 v[18:19], v[10:11], v[18:19], 0x3f7ab3a098a70509
	s_delay_alu instid0(VALU_DEP_1) | instskip(NEXT) | instid1(VALU_DEP_1)
	v_fmaak_f64 v[18:19], v[10:11], v[18:19], 0x3f88ed60a300c8d2
	v_fmaak_f64 v[18:19], v[10:11], v[18:19], 0x3f8c6fa84b77012b
	;; [unrolled: 3-line block ×5, first 2 shown]
	s_delay_alu instid0(VALU_DEP_1) | instskip(NEXT) | instid1(VALU_DEP_1)
	v_mul_f64_e32 v[10:11], v[10:11], v[18:19]
	v_fma_f64 v[18:19], -v[50:51], v[10:11], -v[50:51]
	s_delay_alu instid0(VALU_DEP_1)
	v_fma_f64 v[18:19], s[16:17], s[14:15], -v[18:19]
	s_and_saveexec_b32 s37, s1
	s_cbranch_execz .LBB48_700
; %bb.699:                              ;   in Loop: Header=BB48_434 Depth=1
	v_rsq_f64_e32 v[18:19], v[12:13]
	v_cmp_eq_f64_e64 s1, 0, v[12:13]
	s_delay_alu instid0(TRANS32_DEP_1) | instskip(SKIP_1) | instid1(VALU_DEP_1)
	v_mul_f64_e32 v[40:41], v[12:13], v[18:19]
	v_mul_f64_e32 v[18:19], 0.5, v[18:19]
	v_fma_f64 v[42:43], -v[18:19], v[40:41], 0.5
	s_delay_alu instid0(VALU_DEP_1) | instskip(SKIP_1) | instid1(VALU_DEP_2)
	v_fmac_f64_e32 v[40:41], v[40:41], v[42:43]
	v_fmac_f64_e32 v[18:19], v[18:19], v[42:43]
	v_fma_f64 v[42:43], -v[40:41], v[40:41], v[12:13]
	s_delay_alu instid0(VALU_DEP_1) | instskip(NEXT) | instid1(VALU_DEP_1)
	v_fmac_f64_e32 v[40:41], v[42:43], v[18:19]
	v_dual_cndmask_b32 v19, v41, v13, s1 :: v_dual_cndmask_b32 v18, v40, v12, s1
	s_delay_alu instid0(VALU_DEP_1) | instskip(SKIP_1) | instid1(VALU_DEP_2)
	v_add_f64_e32 v[40:41], v[18:19], v[18:19]
	v_mul_f64_e32 v[42:43], v[18:19], v[18:19]
	v_rcp_f64_e32 v[44:45], v[40:41]
	s_delay_alu instid0(VALU_DEP_1) | instskip(SKIP_1) | instid1(VALU_DEP_2)
	v_add_f64_e64 v[46:47], v[12:13], -v[42:43]
	v_fma_f64 v[52:53], v[18:19], v[18:19], -v[42:43]
	v_add_f64_e64 v[12:13], v[12:13], -v[46:47]
	s_delay_alu instid0(TRANS32_DEP_1) | instskip(NEXT) | instid1(VALU_DEP_2)
	v_fma_f64 v[48:49], -v[40:41], v[44:45], 1.0
	v_add_f64_e64 v[12:13], v[12:13], -v[42:43]
	s_delay_alu instid0(VALU_DEP_2) | instskip(NEXT) | instid1(VALU_DEP_2)
	v_fmac_f64_e32 v[44:45], v[48:49], v[44:45]
	v_add_f64_e64 v[12:13], v[12:13], -v[52:53]
	s_delay_alu instid0(VALU_DEP_2) | instskip(NEXT) | instid1(VALU_DEP_2)
	v_fma_f64 v[42:43], -v[40:41], v[44:45], 1.0
	v_add_f64_e32 v[12:13], v[46:47], v[12:13]
	s_delay_alu instid0(VALU_DEP_2) | instskip(NEXT) | instid1(VALU_DEP_1)
	v_fmac_f64_e32 v[44:45], v[42:43], v[44:45]
	v_mul_f64_e32 v[42:43], v[12:13], v[44:45]
	s_delay_alu instid0(VALU_DEP_1) | instskip(NEXT) | instid1(VALU_DEP_1)
	v_fma_f64 v[12:13], -v[40:41], v[42:43], v[12:13]
	v_fmac_f64_e32 v[42:43], v[12:13], v[44:45]
	s_delay_alu instid0(VALU_DEP_1) | instskip(NEXT) | instid1(VALU_DEP_2)
	v_cndmask_b32_e64 v13, v43, 0, s1
	v_cndmask_b32_e64 v12, v42, 0, s1
	v_cmp_lt_f64_e64 s1, 0, v[50:51]
	s_delay_alu instid0(VALU_DEP_2) | instskip(NEXT) | instid1(VALU_DEP_1)
	v_add_f64_e32 v[40:41], v[18:19], v[12:13]
	v_add_f64_e64 v[18:19], v[40:41], -v[18:19]
	s_delay_alu instid0(VALU_DEP_1) | instskip(SKIP_1) | instid1(VALU_DEP_2)
	v_add_f64_e64 v[12:13], v[12:13], -v[18:19]
	v_fma_f64 v[18:19], v[40:41], v[10:11], v[40:41]
	v_fmac_f64_e32 v[12:13], v[40:41], v[10:11]
	s_delay_alu instid0(VALU_DEP_2) | instskip(NEXT) | instid1(VALU_DEP_2)
	v_mul_f64_e32 v[10:11], -2.0, v[18:19]
	v_add_f64_e32 v[12:13], v[40:41], v[12:13]
	s_delay_alu instid0(VALU_DEP_2) | instskip(NEXT) | instid1(VALU_DEP_2)
	v_fmac_f64_e64 v[10:11], s[18:19], s[14:15]
	v_add_f64_e32 v[12:13], v[12:13], v[12:13]
	s_delay_alu instid0(VALU_DEP_1) | instskip(SKIP_1) | instid1(VALU_DEP_1)
	v_dual_cndmask_b32 v10, v12, v10, s1 :: v_dual_cndmask_b32 v11, v13, v11, s1
	v_cmp_neq_f64_e64 s1, 1.0, v[50:51]
	v_cndmask_b32_e64 v19, 0x400921fb, v11, s1
	s_delay_alu instid0(VALU_DEP_3)
	v_cndmask_b32_e64 v18, 0x54442d18, v10, s1
.LBB48_700:                             ;   in Loop: Header=BB48_434 Depth=1
	s_or_b32 exec_lo, exec_lo, s37
.LBB48_701:                             ;   in Loop: Header=BB48_434 Depth=1
	s_delay_alu instid0(SALU_CYCLE_1)
	s_or_b32 exec_lo, exec_lo, s36
                                        ; implicit-def: $vgpr52_vgpr53
                                        ; implicit-def: $vgpr54_vgpr55
.LBB48_702:                             ;   in Loop: Header=BB48_434 Depth=1
	s_and_not1_saveexec_b32 s36, s2
	s_cbranch_execz .LBB48_708
; %bb.703:                              ;   in Loop: Header=BB48_434 Depth=1
	s_delay_alu instid0(VALU_DEP_4) | instskip(NEXT) | instid1(SALU_CYCLE_1)
	s_and_saveexec_b32 s1, vcc_lo
	s_xor_b32 s37, exec_lo, s1
	s_cbranch_execz .LBB48_705
; %bb.704:                              ;   in Loop: Header=BB48_434 Depth=1
	s_delay_alu instid0(VALU_DEP_2) | instskip(NEXT) | instid1(VALU_DEP_3)
	v_max_num_f64_e64 v[10:11], |v[54:55]|, |v[54:55]|
	v_max_num_f64_e32 v[12:13], v[52:53], v[52:53]
	v_cmp_eq_f64_e64 s1, 0, v[54:55]
	v_cmp_class_f64_e64 s38, v[54:55], 0x204
	v_cmp_eq_f64_e64 s2, 0x7ff00000, v[52:53]
	s_delay_alu instid0(VALU_DEP_4) | instskip(SKIP_1) | instid1(VALU_DEP_1)
	v_max_num_f64_e32 v[18:19], v[12:13], v[10:11]
	v_min_num_f64_e32 v[10:11], v[12:13], v[10:11]
	v_div_scale_f64 v[12:13], null, v[18:19], v[18:19], v[10:11]
	v_div_scale_f64 v[44:45], vcc_lo, v[10:11], v[18:19], v[10:11]
	s_delay_alu instid0(VALU_DEP_2) | instskip(SKIP_1) | instid1(TRANS32_DEP_1)
	v_rcp_f64_e32 v[40:41], v[12:13]
	v_nop
	v_fma_f64 v[42:43], -v[12:13], v[40:41], 1.0
	s_delay_alu instid0(VALU_DEP_1) | instskip(NEXT) | instid1(VALU_DEP_1)
	v_fmac_f64_e32 v[40:41], v[40:41], v[42:43]
	v_fma_f64 v[42:43], -v[12:13], v[40:41], 1.0
	s_delay_alu instid0(VALU_DEP_1) | instskip(NEXT) | instid1(VALU_DEP_1)
	v_fmac_f64_e32 v[40:41], v[40:41], v[42:43]
	v_mul_f64_e32 v[42:43], v[44:45], v[40:41]
	s_delay_alu instid0(VALU_DEP_1) | instskip(NEXT) | instid1(VALU_DEP_1)
	v_fma_f64 v[12:13], -v[12:13], v[42:43], v[44:45]
	v_div_fmas_f64 v[12:13], v[12:13], v[40:41], v[42:43]
	v_cmp_lt_f64_e64 vcc_lo, v[52:53], |v[54:55]|
	s_delay_alu instid0(VALU_DEP_2) | instskip(NEXT) | instid1(VALU_DEP_1)
	v_div_fixup_f64 v[10:11], v[12:13], v[18:19], v[10:11]
	v_mul_f64_e32 v[12:13], v[10:11], v[10:11]
	s_delay_alu instid0(VALU_DEP_1) | instskip(NEXT) | instid1(VALU_DEP_1)
	v_fmamk_f64 v[18:19], v[12:13], 0x3eeba404b5e68a13, v[36:37]
	v_fmaak_f64 v[18:19], v[12:13], v[18:19], 0x3f4b2bb069efb384
	s_delay_alu instid0(VALU_DEP_1) | instskip(NEXT) | instid1(VALU_DEP_1)
	v_fmaak_f64 v[18:19], v[12:13], v[18:19], 0xbf67952daf56de9b
	v_fmaak_f64 v[18:19], v[12:13], v[18:19], 0x3f7d6d43a595c56f
	s_delay_alu instid0(VALU_DEP_1) | instskip(NEXT) | instid1(VALU_DEP_1)
	v_fmaak_f64 v[18:19], v[12:13], v[18:19], 0xbf8c6ea4a57d9582
	;; [unrolled: 3-line block ×9, first 2 shown]
	v_dual_mul_f64 v[12:13], v[12:13], v[18:19] :: v_dual_ashrrev_i32 v18, 31, v53
	s_delay_alu instid0(VALU_DEP_1) | instskip(NEXT) | instid1(VALU_DEP_2)
	v_and_b32_e32 v40, 0x54442d18, v18
	v_fmac_f64_e32 v[10:11], v[10:11], v[12:13]
	s_delay_alu instid0(VALU_DEP_1) | instskip(NEXT) | instid1(VALU_DEP_1)
	v_add_f64_e64 v[12:13], -v[10:11], s[20:21]
	v_dual_cndmask_b32 v11, v11, v13 :: v_dual_cndmask_b32 v10, v10, v12
	v_cmp_gt_i32_e32 vcc_lo, 0, v53
                                        ; implicit-def: $vgpr52_vgpr53
	s_delay_alu instid0(VALU_DEP_2) | instskip(SKIP_1) | instid1(VALU_DEP_2)
	v_add_f64_e64 v[12:13], -v[10:11], s[22:23]
	v_cndmask_b32_e32 v19, 0x54442d18, v57, vcc_lo
	v_dual_cndmask_b32 v11, v11, v13 :: v_dual_cndmask_b32 v10, v10, v12
	v_and_b32_e32 v12, 0x400921fb, v18
	v_cndmask_b32_e32 v13, 0x3fe921fb, v58, vcc_lo
	s_and_b32 vcc_lo, s2, s38
	s_delay_alu instid0(VALU_DEP_2) | instskip(NEXT) | instid1(VALU_DEP_1)
	v_cndmask_b32_e64 v11, v11, v12, s1
	v_dual_cndmask_b32 v10, v10, v40, s1 :: v_dual_cndmask_b32 v11, v11, v13, vcc_lo
	s_delay_alu instid0(VALU_DEP_1) | instskip(SKIP_1) | instid1(VALU_DEP_2)
	v_cndmask_b32_e32 v10, v10, v19, vcc_lo
	v_cmp_o_f64_e32 vcc_lo, v[54:55], v[54:55]
	v_cndmask_b32_e32 v18, 0, v10, vcc_lo
	s_delay_alu instid0(VALU_DEP_4) | instskip(NEXT) | instid1(VALU_DEP_1)
	v_cndmask_b32_e32 v10, 0x7ff80000, v11, vcc_lo
	v_bfi_b32 v19, 0x7fffffff, v10, v55
                                        ; implicit-def: $vgpr54_vgpr55
.LBB48_705:                             ;   in Loop: Header=BB48_434 Depth=1
	s_and_not1_saveexec_b32 s37, s37
	s_cbranch_execz .LBB48_707
; %bb.706:                              ;   in Loop: Header=BB48_434 Depth=1
	s_delay_alu instid0(VALU_DEP_2) | instskip(NEXT) | instid1(VALU_DEP_3)
	v_max_num_f64_e64 v[10:11], |v[54:55]|, |v[54:55]|
	v_max_num_f64_e32 v[12:13], v[52:53], v[52:53]
	v_cmp_eq_f64_e64 s1, 0, v[54:55]
	v_cmp_class_f64_e64 s38, v[54:55], 0x204
	v_cmp_eq_f64_e64 s2, 0x7ff00000, v[52:53]
	s_delay_alu instid0(VALU_DEP_4) | instskip(SKIP_1) | instid1(VALU_DEP_1)
	v_max_num_f64_e32 v[18:19], v[12:13], v[10:11]
	v_min_num_f64_e32 v[10:11], v[12:13], v[10:11]
	v_div_scale_f64 v[12:13], null, v[18:19], v[18:19], v[10:11]
	v_div_scale_f64 v[44:45], vcc_lo, v[10:11], v[18:19], v[10:11]
	s_delay_alu instid0(VALU_DEP_2) | instskip(SKIP_1) | instid1(TRANS32_DEP_1)
	v_rcp_f64_e32 v[40:41], v[12:13]
	v_nop
	v_fma_f64 v[42:43], -v[12:13], v[40:41], 1.0
	s_delay_alu instid0(VALU_DEP_1) | instskip(NEXT) | instid1(VALU_DEP_1)
	v_fmac_f64_e32 v[40:41], v[40:41], v[42:43]
	v_fma_f64 v[42:43], -v[12:13], v[40:41], 1.0
	s_delay_alu instid0(VALU_DEP_1) | instskip(NEXT) | instid1(VALU_DEP_1)
	v_fmac_f64_e32 v[40:41], v[40:41], v[42:43]
	v_mul_f64_e32 v[42:43], v[44:45], v[40:41]
	s_delay_alu instid0(VALU_DEP_1) | instskip(NEXT) | instid1(VALU_DEP_1)
	v_fma_f64 v[12:13], -v[12:13], v[42:43], v[44:45]
	v_div_fmas_f64 v[12:13], v[12:13], v[40:41], v[42:43]
	v_cmp_lt_f64_e64 vcc_lo, v[52:53], |v[54:55]|
	s_delay_alu instid0(VALU_DEP_2) | instskip(NEXT) | instid1(VALU_DEP_1)
	v_div_fixup_f64 v[10:11], v[12:13], v[18:19], v[10:11]
	v_mul_f64_e32 v[12:13], v[10:11], v[10:11]
	s_delay_alu instid0(VALU_DEP_1) | instskip(NEXT) | instid1(VALU_DEP_1)
	v_fmamk_f64 v[18:19], v[12:13], 0x3eeba404b5e68a13, v[36:37]
	v_fmaak_f64 v[18:19], v[12:13], v[18:19], 0x3f4b2bb069efb384
	s_delay_alu instid0(VALU_DEP_1) | instskip(NEXT) | instid1(VALU_DEP_1)
	v_fmaak_f64 v[18:19], v[12:13], v[18:19], 0xbf67952daf56de9b
	v_fmaak_f64 v[18:19], v[12:13], v[18:19], 0x3f7d6d43a595c56f
	s_delay_alu instid0(VALU_DEP_1) | instskip(NEXT) | instid1(VALU_DEP_1)
	v_fmaak_f64 v[18:19], v[12:13], v[18:19], 0xbf8c6ea4a57d9582
	v_fmaak_f64 v[18:19], v[12:13], v[18:19], 0x3f967e295f08b19f
	s_delay_alu instid0(VALU_DEP_1) | instskip(NEXT) | instid1(VALU_DEP_1)
	v_fmaak_f64 v[18:19], v[12:13], v[18:19], 0xbf9e9ae6fc27006a
	v_fmaak_f64 v[18:19], v[12:13], v[18:19], 0x3fa2c15b5711927a
	s_delay_alu instid0(VALU_DEP_1) | instskip(NEXT) | instid1(VALU_DEP_1)
	v_fmaak_f64 v[18:19], v[12:13], v[18:19], 0xbfa59976e82d3ff0
	v_fmaak_f64 v[18:19], v[12:13], v[18:19], 0x3fa82d5d6ef28734
	s_delay_alu instid0(VALU_DEP_1) | instskip(NEXT) | instid1(VALU_DEP_1)
	v_fmaak_f64 v[18:19], v[12:13], v[18:19], 0xbfaae5ce6a214619
	v_fmaak_f64 v[18:19], v[12:13], v[18:19], 0x3fae1bb48427b883
	s_delay_alu instid0(VALU_DEP_1) | instskip(NEXT) | instid1(VALU_DEP_1)
	v_fmaak_f64 v[18:19], v[12:13], v[18:19], 0xbfb110e48b207f05
	v_fmaak_f64 v[18:19], v[12:13], v[18:19], 0x3fb3b13657b87036
	s_delay_alu instid0(VALU_DEP_1) | instskip(NEXT) | instid1(VALU_DEP_1)
	v_fmaak_f64 v[18:19], v[12:13], v[18:19], 0xbfb745d119378e4f
	v_fmaak_f64 v[18:19], v[12:13], v[18:19], 0x3fbc71c717e1913c
	s_delay_alu instid0(VALU_DEP_1) | instskip(NEXT) | instid1(VALU_DEP_1)
	v_fmaak_f64 v[18:19], v[12:13], v[18:19], 0xbfc2492492376b7d
	v_fmaak_f64 v[18:19], v[12:13], v[18:19], 0x3fc99999999952cc
	s_delay_alu instid0(VALU_DEP_1) | instskip(NEXT) | instid1(VALU_DEP_1)
	v_fmaak_f64 v[18:19], v[12:13], v[18:19], 0xbfd5555555555523
	v_mul_f64_e32 v[12:13], v[12:13], v[18:19]
	v_xor_b32_e32 v18, 0x80000000, v53
	s_delay_alu instid0(VALU_DEP_1) | instskip(NEXT) | instid1(VALU_DEP_1)
	v_ashrrev_i32_e32 v19, 31, v18
	v_and_b32_e32 v40, 0x54442d18, v19
	s_delay_alu instid0(VALU_DEP_4) | instskip(NEXT) | instid1(VALU_DEP_1)
	v_fmac_f64_e32 v[10:11], v[10:11], v[12:13]
	v_add_f64_e64 v[12:13], -v[10:11], s[20:21]
	s_delay_alu instid0(VALU_DEP_1) | instskip(SKIP_1) | instid1(VALU_DEP_2)
	v_dual_cndmask_b32 v11, v11, v13 :: v_dual_cndmask_b32 v10, v10, v12
	v_cmp_gt_i32_e32 vcc_lo, 0, v18
	v_add_f64_e64 v[12:13], -v[10:11], s[22:23]
	v_cndmask_b32_e32 v18, 0x54442d18, v57, vcc_lo
	s_delay_alu instid0(VALU_DEP_2) | instskip(SKIP_3) | instid1(VALU_DEP_2)
	v_dual_cndmask_b32 v11, v11, v13 :: v_dual_cndmask_b32 v10, v10, v12
	v_and_b32_e32 v12, 0x400921fb, v19
	v_cndmask_b32_e32 v13, 0x3fe921fb, v58, vcc_lo
	s_and_b32 vcc_lo, s2, s38
	v_cndmask_b32_e64 v11, v11, v12, s1
	v_cndmask_b32_e64 v10, v10, v40, s1
	s_delay_alu instid0(VALU_DEP_1) | instskip(SKIP_1) | instid1(VALU_DEP_2)
	v_dual_cndmask_b32 v10, v10, v18 :: v_dual_cndmask_b32 v11, v11, v13
	v_cmp_o_f64_e32 vcc_lo, v[54:55], v[54:55]
	v_cndmask_b32_e32 v18, 0, v10, vcc_lo
	s_delay_alu instid0(VALU_DEP_3) | instskip(NEXT) | instid1(VALU_DEP_1)
	v_cndmask_b32_e32 v10, 0x7ff80000, v11, vcc_lo
	v_bfi_b32 v19, 0x7fffffff, v10, v55
.LBB48_707:                             ;   in Loop: Header=BB48_434 Depth=1
	s_or_b32 exec_lo, exec_lo, s37
.LBB48_708:                             ;   in Loop: Header=BB48_434 Depth=1
	s_delay_alu instid0(SALU_CYCLE_1) | instskip(SKIP_1) | instid1(VALU_DEP_1)
	s_or_b32 exec_lo, exec_lo, s36
	v_xor_b32_e32 v10, 0x80000000, v21
	v_cndmask_b32_e64 v21, v10, v21, s0
                                        ; implicit-def: $vgpr10_vgpr11
.LBB48_709:                             ;   in Loop: Header=BB48_434 Depth=1
	s_and_not1_saveexec_b32 s1, s35
	s_cbranch_execz .LBB48_711
; %bb.710:                              ;   in Loop: Header=BB48_434 Depth=1
	flat_load_b64 v[12:13], v[26:27] scope:SCOPE_SYS
	s_wait_loadcnt_dscnt 0x0
	v_add_f64_e64 v[10:11], v[12:13], -v[10:11]
	s_delay_alu instid0(VALU_DEP_1)
	v_add_f64_e32 v[18:19], 0x3ff921fb54442d18, v[10:11]
.LBB48_711:                             ;   in Loop: Header=BB48_434 Depth=1
	s_or_b32 exec_lo, exec_lo, s1
.LBB48_712:                             ;   in Loop: Header=BB48_434 Depth=1
	s_and_not1_saveexec_b32 s1, s34
	s_cbranch_execz .LBB48_714
; %bb.713:                              ;   in Loop: Header=BB48_434 Depth=1
	s_wait_dscnt 0x0
	v_mov_b64_e32 v[18:19], 0
.LBB48_714:                             ;   in Loop: Header=BB48_434 Depth=1
	s_or_b32 exec_lo, exec_lo, s1
                                        ; implicit-def: $vgpr10_vgpr11
                                        ; implicit-def: $vgpr42_vgpr43
                                        ; implicit-def: $vgpr44_vgpr45
                                        ; implicit-def: $vgpr40_vgpr41
.LBB48_715:                             ;   in Loop: Header=BB48_434 Depth=1
	s_and_not1_saveexec_b32 s33, s33
	s_cbranch_execz .LBB48_725
; %bb.716:                              ;   in Loop: Header=BB48_434 Depth=1
	v_cmp_lt_f64_e64 s1, |v[10:11]|, |v[12:13]|
	v_and_b32_e32 v48, 0x7fffffff, v11
	v_and_b32_e32 v49, 0x7fffffff, v13
                                        ; implicit-def: $sgpr34
                                        ; implicit-def: $vgpr20_vgpr21
                                        ; implicit-def: $vgpr18_vgpr19
	s_mov_b32 s2, exec_lo
	s_delay_alu instid0(VALU_DEP_1) | instskip(NEXT) | instid1(VALU_DEP_1)
	v_dual_cndmask_b32 v47, v48, v49, s1 :: v_dual_cndmask_b32 v46, v10, v12, s1
	v_cmpx_nlt_f64_e32 s[24:25], v[46:47]
	s_xor_b32 s35, exec_lo, s2
	s_cbranch_execz .LBB48_722
; %bb.717:                              ;   in Loop: Header=BB48_434 Depth=1
	v_dual_cndmask_b32 v49, v49, v48, s1 :: v_dual_cndmask_b32 v48, v12, v10, s1
	v_cmp_nlt_f64_e32 vcc_lo, 0x20200000, v[46:47]
                                        ; implicit-def: $sgpr34
                                        ; implicit-def: $vgpr20_vgpr21
                                        ; implicit-def: $vgpr18_vgpr19
	s_delay_alu instid0(VALU_DEP_2) | instskip(SKIP_1) | instid1(SALU_CYCLE_1)
	v_cmp_ngt_f64_e64 s2, 0x20000000, v[48:49]
	s_and_b32 s2, vcc_lo, s2
	s_and_saveexec_b32 s36, s2
	s_delay_alu instid0(SALU_CYCLE_1)
	s_xor_b32 s2, exec_lo, s36
	s_cbranch_execz .LBB48_719
; %bb.718:                              ;   in Loop: Header=BB48_434 Depth=1
	v_mul_f64_e32 v[20:21], v[48:49], v[48:49]
	v_min_num_f64_e32 v[42:43], v[42:43], v[44:45]
	v_cmp_class_f64_e64 s34, v[12:13], 0x204
	v_cmp_class_f64_e64 s36, v[10:11], 0x204
	s_delay_alu instid0(VALU_DEP_4) | instskip(SKIP_2) | instid1(VALU_DEP_1)
	v_fmac_f64_e32 v[20:21], v[46:47], v[46:47]
	s_and_b32 s34, s36, s34
	s_wait_dscnt 0x0
	v_frexp_mant_f64_e32 v[18:19], v[20:21]
	s_delay_alu instid0(VALU_DEP_1) | instskip(SKIP_1) | instid1(VALU_DEP_1)
	v_cmp_gt_f64_e32 vcc_lo, s[6:7], v[18:19]
	v_cndmask_b32_e64 v46, 0, 1, vcc_lo
	v_ldexp_f64 v[18:19], v[18:19], v46
	s_delay_alu instid0(VALU_DEP_1) | instskip(SKIP_1) | instid1(VALU_DEP_2)
	v_add_f64_e32 v[46:47], 1.0, v[18:19]
	v_add_f64_e32 v[52:53], -1.0, v[18:19]
	v_rcp_f64_e32 v[48:49], v[46:47]
	v_add_f64_e32 v[54:55], -1.0, v[46:47]
	s_delay_alu instid0(VALU_DEP_1) | instskip(NEXT) | instid1(TRANS32_DEP_1)
	v_add_f64_e64 v[18:19], v[18:19], -v[54:55]
	v_fma_f64 v[50:51], -v[46:47], v[48:49], 1.0
	s_delay_alu instid0(VALU_DEP_1) | instskip(NEXT) | instid1(VALU_DEP_1)
	v_fmac_f64_e32 v[48:49], v[50:51], v[48:49]
	v_fma_f64 v[50:51], -v[46:47], v[48:49], 1.0
	s_delay_alu instid0(VALU_DEP_1) | instskip(NEXT) | instid1(VALU_DEP_1)
	v_fmac_f64_e32 v[48:49], v[50:51], v[48:49]
	v_mul_f64_e32 v[50:51], v[52:53], v[48:49]
	s_delay_alu instid0(VALU_DEP_1) | instskip(NEXT) | instid1(VALU_DEP_1)
	v_mul_f64_e32 v[60:61], v[46:47], v[50:51]
	v_fma_f64 v[46:47], v[50:51], v[46:47], -v[60:61]
	s_delay_alu instid0(VALU_DEP_1) | instskip(NEXT) | instid1(VALU_DEP_1)
	v_fmac_f64_e32 v[46:47], v[50:51], v[18:19]
	v_add_f64_e32 v[18:19], v[60:61], v[46:47]
	s_delay_alu instid0(VALU_DEP_1) | instskip(SKIP_1) | instid1(VALU_DEP_2)
	v_add_f64_e64 v[54:55], v[52:53], -v[18:19]
	v_add_f64_e64 v[60:61], v[18:19], -v[60:61]
	;; [unrolled: 1-line block ×3, first 2 shown]
	s_delay_alu instid0(VALU_DEP_2) | instskip(NEXT) | instid1(VALU_DEP_2)
	v_add_f64_e64 v[46:47], v[60:61], -v[46:47]
	v_add_f64_e64 v[18:19], v[52:53], -v[18:19]
	s_delay_alu instid0(VALU_DEP_1) | instskip(NEXT) | instid1(VALU_DEP_1)
	v_add_f64_e32 v[18:19], v[46:47], v[18:19]
	v_add_f64_e32 v[18:19], v[54:55], v[18:19]
	s_delay_alu instid0(VALU_DEP_1) | instskip(NEXT) | instid1(VALU_DEP_1)
	v_mul_f64_e32 v[18:19], v[48:49], v[18:19]
	v_add_f64_e32 v[46:47], v[50:51], v[18:19]
	s_delay_alu instid0(VALU_DEP_1) | instskip(SKIP_1) | instid1(VALU_DEP_2)
	v_mul_f64_e32 v[48:49], v[46:47], v[46:47]
	v_ldexp_f64 v[44:45], v[46:47], 1
	v_fmamk_f64 v[52:53], v[48:49], 0x3fc3ab76bf559e2b, v[28:29]
	v_mul_f64_e32 v[54:55], v[46:47], v[48:49]
	v_add_f64_e64 v[46:47], v[46:47], -v[50:51]
	s_delay_alu instid0(VALU_DEP_3) | instskip(NEXT) | instid1(VALU_DEP_1)
	v_fmaak_f64 v[52:53], v[48:49], v[52:53], 0x3fc7474dd7f4df2e
	v_fmaak_f64 v[52:53], v[48:49], v[52:53], 0x3fcc71c016291751
	s_delay_alu instid0(VALU_DEP_1) | instskip(NEXT) | instid1(VALU_DEP_1)
	v_fmaak_f64 v[52:53], v[48:49], v[52:53], 0x3fd249249b27acf1
	v_fmaak_f64 v[52:53], v[48:49], v[52:53], 0x3fd99999998ef7b6
	v_add_f64_e64 v[18:19], v[18:19], -v[46:47]
	s_delay_alu instid0(VALU_DEP_2) | instskip(SKIP_1) | instid1(VALU_DEP_2)
	v_fmaak_f64 v[48:49], v[48:49], v[52:53], 0x3fe5555555555780
	v_frexp_exp_i32_f64_e32 v52, v[20:21]
	v_mul_f64_e32 v[48:49], v[54:55], v[48:49]
	s_delay_alu instid0(VALU_DEP_4) | instskip(NEXT) | instid1(VALU_DEP_3)
	v_ldexp_f64 v[18:19], v[18:19], 1
	v_subrev_co_ci_u32_e64 v54, null, 0, v52, vcc_lo
	v_div_scale_f64 v[52:53], null, v[40:41], v[40:41], v[42:43]
	v_div_scale_f64 v[66:67], vcc_lo, v[42:43], v[40:41], v[42:43]
	s_delay_alu instid0(VALU_DEP_3) | instskip(SKIP_1) | instid1(VALU_DEP_4)
	v_cvt_f64_i32_e32 v[54:55], v54
	v_add_f64_e32 v[50:51], v[44:45], v[48:49]
	v_rcp_f64_e32 v[60:61], v[52:53]
	s_delay_alu instid0(VALU_DEP_2) | instskip(NEXT) | instid1(VALU_DEP_2)
	v_mul_f64_e32 v[62:63], 0x3fe62e42fefa39ef, v[54:55]
	v_add_f64_e64 v[44:45], v[50:51], -v[44:45]
	s_delay_alu instid0(VALU_DEP_2) | instskip(NEXT) | instid1(VALU_DEP_2)
	v_fma_f64 v[46:47], v[54:55], s[8:9], -v[62:63]
	v_add_f64_e64 v[44:45], v[48:49], -v[44:45]
	s_delay_alu instid0(TRANS32_DEP_1) | instskip(NEXT) | instid1(VALU_DEP_3)
	v_fma_f64 v[48:49], -v[52:53], v[60:61], 1.0
	v_fmac_f64_e32 v[46:47], 0x3c7abc9e3b39803f, v[54:55]
	s_delay_alu instid0(VALU_DEP_3) | instskip(NEXT) | instid1(VALU_DEP_3)
	v_add_f64_e32 v[18:19], v[18:19], v[44:45]
	v_fmac_f64_e32 v[60:61], v[60:61], v[48:49]
	s_delay_alu instid0(VALU_DEP_3) | instskip(NEXT) | instid1(VALU_DEP_3)
	v_add_f64_e32 v[44:45], v[62:63], v[46:47]
	v_add_f64_e32 v[48:49], v[50:51], v[18:19]
	s_delay_alu instid0(VALU_DEP_3) | instskip(NEXT) | instid1(VALU_DEP_3)
	v_fma_f64 v[54:55], -v[52:53], v[60:61], 1.0
	v_add_f64_e64 v[62:63], v[44:45], -v[62:63]
	s_delay_alu instid0(VALU_DEP_3) | instskip(NEXT) | instid1(VALU_DEP_3)
	v_add_f64_e32 v[64:65], v[44:45], v[48:49]
	v_fmac_f64_e32 v[60:61], v[60:61], v[54:55]
	v_add_f64_e64 v[50:51], v[48:49], -v[50:51]
	s_delay_alu instid0(VALU_DEP_4) | instskip(NEXT) | instid1(VALU_DEP_4)
	v_add_f64_e64 v[46:47], v[46:47], -v[62:63]
	v_add_f64_e64 v[54:55], v[64:65], -v[44:45]
	s_delay_alu instid0(VALU_DEP_4) | instskip(NEXT) | instid1(VALU_DEP_4)
	v_mul_f64_e32 v[68:69], v[66:67], v[60:61]
	v_add_f64_e64 v[50:51], v[18:19], -v[50:51]
	s_delay_alu instid0(VALU_DEP_3) | instskip(NEXT) | instid1(VALU_DEP_3)
	v_add_f64_e64 v[70:71], v[64:65], -v[54:55]
	v_fma_f64 v[52:53], -v[52:53], v[68:69], v[66:67]
	v_add_f64_e64 v[18:19], v[48:49], -v[54:55]
	s_delay_alu instid0(VALU_DEP_3) | instskip(NEXT) | instid1(VALU_DEP_3)
	v_add_f64_e64 v[44:45], v[44:45], -v[70:71]
	v_div_fmas_f64 v[48:49], v[52:53], v[60:61], v[68:69]
	v_add_f64_e32 v[52:53], v[46:47], v[50:51]
	v_cmp_class_f64_e64 vcc_lo, v[20:21], 0x204
	s_delay_alu instid0(VALU_DEP_4) | instskip(NEXT) | instid1(VALU_DEP_4)
	v_add_f64_e32 v[44:45], v[18:19], v[44:45]
	v_div_fixup_f64 v[18:19], v[48:49], v[40:41], v[42:43]
	s_delay_alu instid0(VALU_DEP_4) | instskip(NEXT) | instid1(VALU_DEP_3)
	v_add_f64_e64 v[40:41], v[52:53], -v[46:47]
	v_add_f64_e32 v[42:43], v[52:53], v[44:45]
	s_delay_alu instid0(VALU_DEP_3) | instskip(NEXT) | instid1(VALU_DEP_3)
	v_mul_f64_e32 v[44:45], v[18:19], v[18:19]
	v_add_f64_e64 v[48:49], v[52:53], -v[40:41]
	v_add_f64_e64 v[40:41], v[50:51], -v[40:41]
	s_delay_alu instid0(VALU_DEP_4) | instskip(NEXT) | instid1(VALU_DEP_4)
	v_add_f64_e32 v[52:53], v[64:65], v[42:43]
	v_fmamk_f64 v[54:55], v[44:45], 0x3eeba404b5e68a13, v[36:37]
	s_delay_alu instid0(VALU_DEP_4) | instskip(NEXT) | instid1(VALU_DEP_2)
	v_add_f64_e64 v[46:47], v[46:47], -v[48:49]
	v_fmaak_f64 v[54:55], v[44:45], v[54:55], 0x3f4b2bb069efb384
	s_delay_alu instid0(VALU_DEP_1) | instskip(NEXT) | instid1(VALU_DEP_1)
	v_fmaak_f64 v[54:55], v[44:45], v[54:55], 0xbf67952daf56de9b
	v_fmaak_f64 v[54:55], v[44:45], v[54:55], 0x3f7d6d43a595c56f
	s_delay_alu instid0(VALU_DEP_1) | instskip(SKIP_2) | instid1(VALU_DEP_3)
	v_fmaak_f64 v[50:51], v[44:45], v[54:55], 0xbf8c6ea4a57d9582
	v_add_f64_e64 v[48:49], v[52:53], -v[64:65]
	v_add_f64_e32 v[40:41], v[40:41], v[46:47]
	v_fmaak_f64 v[50:51], v[44:45], v[50:51], 0x3f967e295f08b19f
	s_delay_alu instid0(VALU_DEP_1) | instskip(NEXT) | instid1(VALU_DEP_1)
	v_fmaak_f64 v[50:51], v[44:45], v[50:51], 0xbf9e9ae6fc27006a
	v_fmaak_f64 v[50:51], v[44:45], v[50:51], 0x3fa2c15b5711927a
	s_delay_alu instid0(VALU_DEP_1) | instskip(NEXT) | instid1(VALU_DEP_1)
	v_fmaak_f64 v[50:51], v[44:45], v[50:51], 0xbfa59976e82d3ff0
	v_fmaak_f64 v[46:47], v[44:45], v[50:51], 0x3fa82d5d6ef28734
	v_add_f64_e64 v[42:43], v[42:43], -v[48:49]
	s_delay_alu instid0(VALU_DEP_2) | instskip(NEXT) | instid1(VALU_DEP_1)
	v_fmaak_f64 v[46:47], v[44:45], v[46:47], 0xbfaae5ce6a214619
	v_fmaak_f64 v[46:47], v[44:45], v[46:47], 0x3fae1bb48427b883
	s_delay_alu instid0(VALU_DEP_1) | instskip(NEXT) | instid1(VALU_DEP_4)
	v_fmaak_f64 v[46:47], v[44:45], v[46:47], 0xbfb110e48b207f05
	v_add_f64_e32 v[40:41], v[40:41], v[42:43]
	s_delay_alu instid0(VALU_DEP_2) | instskip(NEXT) | instid1(VALU_DEP_1)
	v_fmaak_f64 v[42:43], v[44:45], v[46:47], 0x3fb3b13657b87036
	v_fmaak_f64 v[42:43], v[44:45], v[42:43], 0xbfb745d119378e4f
	s_delay_alu instid0(VALU_DEP_1) | instskip(NEXT) | instid1(VALU_DEP_1)
	v_fmaak_f64 v[42:43], v[44:45], v[42:43], 0x3fbc71c717e1913c
	v_fmaak_f64 v[42:43], v[44:45], v[42:43], 0xbfc2492492376b7d
	s_delay_alu instid0(VALU_DEP_1) | instskip(SKIP_1) | instid1(VALU_DEP_2)
	v_fmaak_f64 v[42:43], v[44:45], v[42:43], 0x3fc99999999952cc
	v_add_f64_e32 v[40:41], v[52:53], v[40:41]
	v_fmaak_f64 v[42:43], v[44:45], v[42:43], 0xbfd5555555555523
	s_delay_alu instid0(VALU_DEP_1) | instskip(NEXT) | instid1(VALU_DEP_3)
	v_mul_f64_e32 v[42:43], v[44:45], v[42:43]
                                        ; implicit-def: $vgpr44_vgpr45
	v_dual_cndmask_b32 v41, v41, v21 :: v_dual_cndmask_b32 v40, v40, v20
	v_cmp_neq_f64_e32 vcc_lo, 0, v[20:21]
	s_delay_alu instid0(VALU_DEP_2) | instskip(NEXT) | instid1(VALU_DEP_4)
	v_mul_f64_e32 v[40:41], 0.5, v[40:41]
	v_fmac_f64_e32 v[18:19], v[18:19], v[42:43]
                                        ; implicit-def: $vgpr42_vgpr43
	s_delay_alu instid0(VALU_DEP_2) | instskip(NEXT) | instid1(VALU_DEP_3)
	v_cndmask_b32_e32 v21, 0xfff00000, v41, vcc_lo
	v_cndmask_b32_e32 v20, 0, v40, vcc_lo
                                        ; implicit-def: $vgpr40_vgpr41
.LBB48_719:                             ;   in Loop: Header=BB48_434 Depth=1
	s_and_not1_saveexec_b32 s2, s2
	s_cbranch_execz .LBB48_721
; %bb.720:                              ;   in Loop: Header=BB48_434 Depth=1
	v_frexp_exp_i32_f64_e32 v50, v[40:41]
	v_cmp_class_f64_e64 s36, v[10:11], 0x204
	v_cmp_class_f64_e64 s37, v[12:13], 0x204
	v_min_num_f64_e32 v[42:43], v[42:43], v[44:45]
	s_and_not1_b32 s34, s34, exec_lo
	v_sub_nc_u32_e32 v20, 0, v50
	s_or_b32 s38, s36, s37
	s_and_b32 s36, s36, s37
	s_delay_alu instid0(SALU_CYCLE_1) | instskip(SKIP_4) | instid1(VALU_DEP_2)
	s_and_b32 s36, s36, exec_lo
	s_wait_dscnt 0x0
	v_ldexp_f64 v[18:19], |v[12:13]|, v20
	v_ldexp_f64 v[20:21], |v[10:11]|, v20
	s_or_b32 s34, s34, s36
	v_mul_f64_e32 v[18:19], v[18:19], v[18:19]
	s_delay_alu instid0(VALU_DEP_1) | instskip(NEXT) | instid1(VALU_DEP_1)
	v_fmac_f64_e32 v[18:19], v[20:21], v[20:21]
	v_rsq_f64_e32 v[20:21], v[18:19]
	v_cmp_eq_f64_e32 vcc_lo, 0, v[18:19]
	s_delay_alu instid0(TRANS32_DEP_1) | instskip(SKIP_1) | instid1(VALU_DEP_1)
	v_mul_f64_e32 v[46:47], v[18:19], v[20:21]
	v_mul_f64_e32 v[20:21], 0.5, v[20:21]
	v_fma_f64 v[48:49], -v[20:21], v[46:47], 0.5
	s_delay_alu instid0(VALU_DEP_1) | instskip(SKIP_1) | instid1(VALU_DEP_2)
	v_fmac_f64_e32 v[46:47], v[46:47], v[48:49]
	v_fmac_f64_e32 v[20:21], v[20:21], v[48:49]
	v_fma_f64 v[48:49], -v[46:47], v[46:47], v[18:19]
	s_delay_alu instid0(VALU_DEP_1) | instskip(NEXT) | instid1(VALU_DEP_1)
	v_fmac_f64_e32 v[46:47], v[48:49], v[20:21]
	v_dual_cndmask_b32 v19, v47, v19 :: v_dual_cndmask_b32 v18, v46, v18
	s_delay_alu instid0(VALU_DEP_1) | instskip(NEXT) | instid1(VALU_DEP_1)
	v_ldexp_f64 v[18:19], v[18:19], v50
	v_cndmask_b32_e64 v47, v19, 0x7ff00000, s38
	s_delay_alu instid0(VALU_DEP_2) | instskip(NEXT) | instid1(VALU_DEP_1)
	v_cndmask_b32_e64 v46, v18, 0, s38
	v_frexp_mant_f64_e32 v[18:19], v[46:47]
	v_frexp_exp_i32_f64_e32 v59, v[46:47]
	s_delay_alu instid0(VALU_DEP_2) | instskip(SKIP_1) | instid1(VALU_DEP_1)
	v_cmp_gt_f64_e32 vcc_lo, s[6:7], v[18:19]
	v_cndmask_b32_e64 v20, 0, 1, vcc_lo
	v_ldexp_f64 v[18:19], v[18:19], v20
	s_delay_alu instid0(VALU_DEP_1) | instskip(SKIP_1) | instid1(VALU_DEP_2)
	v_add_f64_e32 v[20:21], 1.0, v[18:19]
	v_add_f64_e32 v[52:53], -1.0, v[18:19]
	v_rcp_f64_e32 v[48:49], v[20:21]
	v_add_f64_e32 v[54:55], -1.0, v[20:21]
	s_delay_alu instid0(VALU_DEP_1) | instskip(NEXT) | instid1(TRANS32_DEP_1)
	v_add_f64_e64 v[18:19], v[18:19], -v[54:55]
	v_fma_f64 v[50:51], -v[20:21], v[48:49], 1.0
	s_delay_alu instid0(VALU_DEP_1) | instskip(NEXT) | instid1(VALU_DEP_1)
	v_fmac_f64_e32 v[48:49], v[50:51], v[48:49]
	v_fma_f64 v[50:51], -v[20:21], v[48:49], 1.0
	s_delay_alu instid0(VALU_DEP_1) | instskip(NEXT) | instid1(VALU_DEP_1)
	v_fmac_f64_e32 v[48:49], v[50:51], v[48:49]
	v_mul_f64_e32 v[50:51], v[52:53], v[48:49]
	s_delay_alu instid0(VALU_DEP_1) | instskip(NEXT) | instid1(VALU_DEP_1)
	v_mul_f64_e32 v[60:61], v[20:21], v[50:51]
	v_fma_f64 v[20:21], v[50:51], v[20:21], -v[60:61]
	s_delay_alu instid0(VALU_DEP_1) | instskip(NEXT) | instid1(VALU_DEP_1)
	v_fmac_f64_e32 v[20:21], v[50:51], v[18:19]
	v_add_f64_e32 v[18:19], v[60:61], v[20:21]
	s_delay_alu instid0(VALU_DEP_1) | instskip(SKIP_1) | instid1(VALU_DEP_2)
	v_add_f64_e64 v[54:55], v[52:53], -v[18:19]
	v_add_f64_e64 v[60:61], v[18:19], -v[60:61]
	;; [unrolled: 1-line block ×3, first 2 shown]
	s_delay_alu instid0(VALU_DEP_2) | instskip(NEXT) | instid1(VALU_DEP_2)
	v_add_f64_e64 v[20:21], v[60:61], -v[20:21]
	v_add_f64_e64 v[18:19], v[52:53], -v[18:19]
	s_delay_alu instid0(VALU_DEP_1) | instskip(NEXT) | instid1(VALU_DEP_1)
	v_add_f64_e32 v[18:19], v[20:21], v[18:19]
	v_add_f64_e32 v[18:19], v[54:55], v[18:19]
	s_delay_alu instid0(VALU_DEP_1) | instskip(NEXT) | instid1(VALU_DEP_1)
	v_mul_f64_e32 v[18:19], v[48:49], v[18:19]
	v_add_f64_e32 v[20:21], v[50:51], v[18:19]
	s_delay_alu instid0(VALU_DEP_1) | instskip(NEXT) | instid1(VALU_DEP_1)
	v_mul_f64_e32 v[48:49], v[20:21], v[20:21]
	v_fmamk_f64 v[52:53], v[48:49], 0x3fc3ab76bf559e2b, v[28:29]
	v_mul_f64_e32 v[54:55], v[20:21], v[48:49]
	s_delay_alu instid0(VALU_DEP_2) | instskip(NEXT) | instid1(VALU_DEP_1)
	v_fmaak_f64 v[52:53], v[48:49], v[52:53], 0x3fc7474dd7f4df2e
	v_fmaak_f64 v[44:45], v[48:49], v[52:53], 0x3fcc71c016291751
	v_div_scale_f64 v[52:53], null, v[40:41], v[40:41], v[42:43]
	s_delay_alu instid0(VALU_DEP_2) | instskip(NEXT) | instid1(VALU_DEP_1)
	v_fmaak_f64 v[44:45], v[48:49], v[44:45], 0x3fd249249b27acf1
	v_fmaak_f64 v[44:45], v[48:49], v[44:45], 0x3fd99999998ef7b6
	s_delay_alu instid0(VALU_DEP_1) | instskip(SKIP_2) | instid1(VALU_DEP_3)
	v_fmaak_f64 v[44:45], v[48:49], v[44:45], 0x3fe5555555555780
	v_ldexp_f64 v[48:49], v[20:21], 1
	v_add_f64_e64 v[20:21], v[20:21], -v[50:51]
	v_mul_f64_e32 v[44:45], v[54:55], v[44:45]
	v_subrev_co_ci_u32_e64 v54, null, 0, v59, vcc_lo
	v_rcp_f64_e32 v[60:61], v[52:53]
	s_delay_alu instid0(VALU_DEP_1) | instskip(NEXT) | instid1(VALU_DEP_4)
	v_cvt_f64_i32_e32 v[54:55], v54
	v_add_f64_e64 v[18:19], v[18:19], -v[20:21]
	s_delay_alu instid0(VALU_DEP_4) | instskip(NEXT) | instid1(VALU_DEP_3)
	v_add_f64_e32 v[50:51], v[48:49], v[44:45]
	v_mul_f64_e32 v[62:63], 0x3fe62e42fefa39ef, v[54:55]
	s_delay_alu instid0(VALU_DEP_3) | instskip(NEXT) | instid1(VALU_DEP_3)
	v_ldexp_f64 v[18:19], v[18:19], 1
	v_add_f64_e64 v[20:21], v[50:51], -v[48:49]
	s_delay_alu instid0(TRANS32_DEP_1) | instskip(NEXT) | instid1(VALU_DEP_4)
	v_fma_f64 v[48:49], -v[52:53], v[60:61], 1.0
	v_fma_f64 v[64:65], v[54:55], s[8:9], -v[62:63]
	s_delay_alu instid0(VALU_DEP_3) | instskip(NEXT) | instid1(VALU_DEP_3)
	v_add_f64_e64 v[20:21], v[44:45], -v[20:21]
	v_fmac_f64_e32 v[60:61], v[60:61], v[48:49]
	s_delay_alu instid0(VALU_DEP_3) | instskip(SKIP_1) | instid1(VALU_DEP_4)
	v_fmac_f64_e32 v[64:65], 0x3c7abc9e3b39803f, v[54:55]
	v_div_scale_f64 v[54:55], vcc_lo, v[42:43], v[40:41], v[42:43]
	v_add_f64_e32 v[18:19], v[18:19], v[20:21]
	s_delay_alu instid0(VALU_DEP_4) | instskip(NEXT) | instid1(VALU_DEP_4)
	v_fma_f64 v[20:21], -v[52:53], v[60:61], 1.0
	v_add_f64_e32 v[44:45], v[62:63], v[64:65]
	s_delay_alu instid0(VALU_DEP_3) | instskip(NEXT) | instid1(VALU_DEP_3)
	v_add_f64_e32 v[48:49], v[50:51], v[18:19]
	v_fmac_f64_e32 v[60:61], v[60:61], v[20:21]
	s_delay_alu instid0(VALU_DEP_2) | instskip(NEXT) | instid1(VALU_DEP_2)
	v_add_f64_e32 v[20:21], v[44:45], v[48:49]
	v_mul_f64_e32 v[66:67], v[54:55], v[60:61]
	v_add_f64_e64 v[50:51], v[48:49], -v[50:51]
	s_delay_alu instid0(VALU_DEP_3) | instskip(NEXT) | instid1(VALU_DEP_3)
	v_add_f64_e64 v[68:69], v[20:21], -v[44:45]
	v_fma_f64 v[52:53], -v[52:53], v[66:67], v[54:55]
	v_add_f64_e64 v[54:55], v[44:45], -v[62:63]
	s_delay_alu instid0(VALU_DEP_4) | instskip(NEXT) | instid1(VALU_DEP_4)
	v_add_f64_e64 v[50:51], v[18:19], -v[50:51]
	v_add_f64_e64 v[62:63], v[20:21], -v[68:69]
	s_delay_alu instid0(VALU_DEP_4) | instskip(NEXT) | instid1(VALU_DEP_4)
	v_div_fmas_f64 v[52:53], v[52:53], v[60:61], v[66:67]
	v_add_f64_e64 v[54:55], v[64:65], -v[54:55]
	v_add_f64_e64 v[48:49], v[48:49], -v[68:69]
	v_cmp_class_f64_e64 vcc_lo, v[46:47], 0x204
	v_add_f64_e64 v[44:45], v[44:45], -v[62:63]
	v_div_fixup_f64 v[18:19], v[52:53], v[40:41], v[42:43]
	v_add_f64_e32 v[40:41], v[54:55], v[50:51]
	s_delay_alu instid0(VALU_DEP_3) | instskip(NEXT) | instid1(VALU_DEP_3)
	v_add_f64_e32 v[42:43], v[48:49], v[44:45]
	v_mul_f64_e32 v[44:45], v[18:19], v[18:19]
	s_delay_alu instid0(VALU_DEP_3) | instskip(NEXT) | instid1(VALU_DEP_3)
	v_add_f64_e64 v[48:49], v[40:41], -v[54:55]
	v_add_f64_e32 v[42:43], v[40:41], v[42:43]
	s_delay_alu instid0(VALU_DEP_3) | instskip(NEXT) | instid1(VALU_DEP_3)
	v_fmamk_f64 v[52:53], v[44:45], 0x3eeba404b5e68a13, v[36:37]
	v_add_f64_e64 v[40:41], v[40:41], -v[48:49]
	v_add_f64_e64 v[48:49], v[50:51], -v[48:49]
	s_delay_alu instid0(VALU_DEP_3) | instskip(NEXT) | instid1(VALU_DEP_1)
	v_fmaak_f64 v[52:53], v[44:45], v[52:53], 0x3f4b2bb069efb384
	v_fmaak_f64 v[52:53], v[44:45], v[52:53], 0xbf67952daf56de9b
	s_delay_alu instid0(VALU_DEP_1) | instskip(NEXT) | instid1(VALU_DEP_1)
	v_fmaak_f64 v[52:53], v[44:45], v[52:53], 0x3f7d6d43a595c56f
	v_fmaak_f64 v[52:53], v[44:45], v[52:53], 0xbf8c6ea4a57d9582
	v_add_f64_e32 v[60:61], v[20:21], v[42:43]
	v_add_f64_e64 v[40:41], v[54:55], -v[40:41]
	s_delay_alu instid0(VALU_DEP_3) | instskip(NEXT) | instid1(VALU_DEP_1)
	v_fmaak_f64 v[52:53], v[44:45], v[52:53], 0x3f967e295f08b19f
	v_fmaak_f64 v[52:53], v[44:45], v[52:53], 0xbf9e9ae6fc27006a
	s_delay_alu instid0(VALU_DEP_1) | instskip(NEXT) | instid1(VALU_DEP_1)
	v_fmaak_f64 v[52:53], v[44:45], v[52:53], 0x3fa2c15b5711927a
	v_fmaak_f64 v[50:51], v[44:45], v[52:53], 0xbfa59976e82d3ff0
	s_delay_alu instid0(VALU_DEP_1) | instskip(SKIP_2) | instid1(VALU_DEP_3)
	v_fmaak_f64 v[50:51], v[44:45], v[50:51], 0x3fa82d5d6ef28734
	v_add_f64_e64 v[20:21], v[60:61], -v[20:21]
	v_add_f64_e32 v[40:41], v[48:49], v[40:41]
	v_fmaak_f64 v[50:51], v[44:45], v[50:51], 0xbfaae5ce6a214619
	s_delay_alu instid0(VALU_DEP_1) | instskip(NEXT) | instid1(VALU_DEP_1)
	v_fmaak_f64 v[50:51], v[44:45], v[50:51], 0x3fae1bb48427b883
	v_fmaak_f64 v[50:51], v[44:45], v[50:51], 0xbfb110e48b207f05
	v_add_f64_e64 v[20:21], v[42:43], -v[20:21]
	s_delay_alu instid0(VALU_DEP_2) | instskip(NEXT) | instid1(VALU_DEP_1)
	v_fmaak_f64 v[42:43], v[44:45], v[50:51], 0x3fb3b13657b87036
	v_fmaak_f64 v[42:43], v[44:45], v[42:43], 0xbfb745d119378e4f
	s_delay_alu instid0(VALU_DEP_1) | instskip(NEXT) | instid1(VALU_DEP_1)
	v_fmaak_f64 v[42:43], v[44:45], v[42:43], 0x3fbc71c717e1913c
	v_fmaak_f64 v[42:43], v[44:45], v[42:43], 0xbfc2492492376b7d
	v_add_f64_e32 v[20:21], v[40:41], v[20:21]
	s_delay_alu instid0(VALU_DEP_2) | instskip(NEXT) | instid1(VALU_DEP_1)
	v_fmaak_f64 v[40:41], v[44:45], v[42:43], 0x3fc99999999952cc
	v_fmaak_f64 v[40:41], v[44:45], v[40:41], 0xbfd5555555555523
	s_delay_alu instid0(VALU_DEP_1) | instskip(NEXT) | instid1(VALU_DEP_4)
	v_mul_f64_e32 v[40:41], v[44:45], v[40:41]
	v_add_f64_e32 v[20:21], v[60:61], v[20:21]
	s_delay_alu instid0(VALU_DEP_2) | instskip(NEXT) | instid1(VALU_DEP_2)
	v_fmac_f64_e32 v[18:19], v[18:19], v[40:41]
	v_dual_cndmask_b32 v20, v20, v46 :: v_dual_cndmask_b32 v21, v21, v47
	v_cmp_ngt_f64_e32 vcc_lo, 0, v[46:47]
	s_delay_alu instid0(VALU_DEP_2) | instskip(SKIP_1) | instid1(VALU_DEP_4)
	v_cndmask_b32_e32 v21, 0x7ff80000, v21, vcc_lo
	v_cmp_nge_f64_e32 vcc_lo, 0, v[46:47]
	v_cndmask_b32_e32 v20, 0, v20, vcc_lo
	v_cmp_neq_f64_e32 vcc_lo, 0, v[46:47]
	s_delay_alu instid0(VALU_DEP_4)
	v_cndmask_b32_e32 v21, 0xfff00000, v21, vcc_lo
.LBB48_721:                             ;   in Loop: Header=BB48_434 Depth=1
	s_or_b32 exec_lo, exec_lo, s2
                                        ; implicit-def: $vgpr42_vgpr43
                                        ; implicit-def: $vgpr44_vgpr45
                                        ; implicit-def: $vgpr40_vgpr41
.LBB48_722:                             ;   in Loop: Header=BB48_434 Depth=1
	s_and_not1_saveexec_b32 s35, s35
	s_cbranch_execz .LBB48_724
; %bb.723:                              ;   in Loop: Header=BB48_434 Depth=1
	s_wait_dscnt 0x0
	v_div_scale_f64 v[18:19], null, s[26:27], s[26:27], v[10:11]
	v_div_scale_f64 v[20:21], null, s[26:27], s[26:27], v[12:13]
	v_div_scale_f64 v[54:55], vcc_lo, v[10:11], s[26:27], v[10:11]
	v_min_num_f64_e32 v[42:43], v[42:43], v[44:45]
	s_and_not1_b32 s34, s34, exec_lo
	s_delay_alu instid0(VALU_DEP_4) | instskip(NEXT) | instid1(VALU_DEP_3)
	v_rcp_f64_e32 v[46:47], v[18:19]
	v_rcp_f64_e32 v[48:49], v[20:21]
	s_delay_alu instid0(TRANS32_DEP_2) | instskip(NEXT) | instid1(TRANS32_DEP_1)
	v_fma_f64 v[50:51], -v[18:19], v[46:47], 1.0
	v_fma_f64 v[52:53], -v[20:21], v[48:49], 1.0
	s_delay_alu instid0(VALU_DEP_2) | instskip(NEXT) | instid1(VALU_DEP_2)
	v_fmac_f64_e32 v[46:47], v[46:47], v[50:51]
	v_fmac_f64_e32 v[48:49], v[48:49], v[52:53]
	s_delay_alu instid0(VALU_DEP_2) | instskip(NEXT) | instid1(VALU_DEP_2)
	v_fma_f64 v[50:51], -v[18:19], v[46:47], 1.0
	v_fma_f64 v[52:53], -v[20:21], v[48:49], 1.0
	s_delay_alu instid0(VALU_DEP_2) | instskip(SKIP_1) | instid1(VALU_DEP_3)
	v_fmac_f64_e32 v[46:47], v[46:47], v[50:51]
	v_div_scale_f64 v[50:51], s2, v[12:13], s[26:27], v[12:13]
	v_fmac_f64_e32 v[48:49], v[48:49], v[52:53]
	s_delay_alu instid0(VALU_DEP_3) | instskip(NEXT) | instid1(VALU_DEP_2)
	v_mul_f64_e32 v[52:53], v[54:55], v[46:47]
	v_mul_f64_e32 v[60:61], v[50:51], v[48:49]
	s_delay_alu instid0(VALU_DEP_2) | instskip(NEXT) | instid1(VALU_DEP_2)
	v_fma_f64 v[18:19], -v[18:19], v[52:53], v[54:55]
	v_fma_f64 v[20:21], -v[20:21], v[60:61], v[50:51]
	s_delay_alu instid0(VALU_DEP_2) | instskip(SKIP_1) | instid1(VALU_DEP_2)
	v_div_fmas_f64 v[18:19], v[18:19], v[46:47], v[52:53]
	s_mov_b32 vcc_lo, s2
	v_div_fmas_f64 v[20:21], v[20:21], v[48:49], v[60:61]
	s_delay_alu instid0(VALU_DEP_2) | instskip(NEXT) | instid1(VALU_DEP_2)
	v_div_fixup_f64 v[18:19], v[18:19], s[26:27], v[10:11]
	v_div_fixup_f64 v[20:21], v[20:21], s[26:27], v[12:13]
	s_delay_alu instid0(VALU_DEP_2) | instskip(NEXT) | instid1(VALU_DEP_2)
	v_cmp_class_f64_e64 s2, v[18:19], 0x204
	v_max_num_f64_e64 v[46:47], |v[18:19]|, |v[20:21]|
	v_cmp_class_f64_e64 s36, v[20:21], 0x204
	s_delay_alu instid0(VALU_DEP_2) | instskip(SKIP_2) | instid1(VALU_DEP_2)
	v_frexp_exp_i32_f64_e32 v54, v[46:47]
	s_or_b32 s2, s2, s36
	v_cmp_class_f64_e64 s36, v[10:11], 0x204
	v_sub_nc_u32_e32 v48, 0, v54
	s_delay_alu instid0(VALU_DEP_1) | instskip(SKIP_1) | instid1(VALU_DEP_2)
	v_ldexp_f64 v[46:47], |v[20:21]|, v48
	v_ldexp_f64 v[48:49], |v[18:19]|, v48
	v_mul_f64_e32 v[46:47], v[46:47], v[46:47]
	s_delay_alu instid0(VALU_DEP_1) | instskip(NEXT) | instid1(VALU_DEP_1)
	v_fmac_f64_e32 v[46:47], v[48:49], v[48:49]
	v_rsq_f64_e32 v[48:49], v[46:47]
	v_cmp_eq_f64_e32 vcc_lo, 0, v[46:47]
	s_delay_alu instid0(TRANS32_DEP_1) | instskip(SKIP_1) | instid1(VALU_DEP_1)
	v_mul_f64_e32 v[50:51], v[46:47], v[48:49]
	v_mul_f64_e32 v[48:49], 0.5, v[48:49]
	v_fma_f64 v[52:53], -v[48:49], v[50:51], 0.5
	s_delay_alu instid0(VALU_DEP_1) | instskip(SKIP_1) | instid1(VALU_DEP_2)
	v_fmac_f64_e32 v[50:51], v[50:51], v[52:53]
	v_fmac_f64_e32 v[48:49], v[48:49], v[52:53]
	v_fma_f64 v[52:53], -v[50:51], v[50:51], v[46:47]
	s_delay_alu instid0(VALU_DEP_1) | instskip(NEXT) | instid1(VALU_DEP_1)
	v_fmac_f64_e32 v[50:51], v[52:53], v[48:49]
	v_dual_cndmask_b32 v47, v51, v47 :: v_dual_cndmask_b32 v46, v50, v46
	s_delay_alu instid0(VALU_DEP_1) | instskip(NEXT) | instid1(VALU_DEP_1)
	v_ldexp_f64 v[18:19], v[46:47], v54
	v_cndmask_b32_e64 v47, v19, 0x7ff00000, s2
	s_delay_alu instid0(VALU_DEP_2) | instskip(SKIP_1) | instid1(VALU_DEP_2)
	v_cndmask_b32_e64 v46, v18, 0, s2
	v_cmp_class_f64_e64 s2, v[12:13], 0x204
	v_frexp_mant_f64_e32 v[18:19], v[46:47]
	v_frexp_exp_i32_f64_e32 v59, v[46:47]
	s_and_b32 s2, s36, s2
	s_delay_alu instid0(SALU_CYCLE_1) | instskip(NEXT) | instid1(VALU_DEP_2)
	s_and_b32 s2, s2, exec_lo
	v_cmp_gt_f64_e32 vcc_lo, s[6:7], v[18:19]
	s_or_b32 s34, s34, s2
	v_cndmask_b32_e64 v20, 0, 1, vcc_lo
	s_delay_alu instid0(VALU_DEP_3) | instskip(SKIP_1) | instid1(VALU_DEP_3)
	v_subrev_co_ci_u32_e64 v44, null, 0, v59, vcc_lo
	v_div_scale_f64 v[66:67], vcc_lo, v[42:43], v[40:41], v[42:43]
	v_ldexp_f64 v[18:19], v[18:19], v20
	s_delay_alu instid0(VALU_DEP_3) | instskip(NEXT) | instid1(VALU_DEP_2)
	v_cvt_f64_i32_e32 v[44:45], v44
	v_add_f64_e32 v[20:21], 1.0, v[18:19]
	v_add_f64_e32 v[52:53], -1.0, v[18:19]
	s_delay_alu instid0(VALU_DEP_2) | instskip(SKIP_1) | instid1(VALU_DEP_1)
	v_rcp_f64_e32 v[48:49], v[20:21]
	v_add_f64_e32 v[54:55], -1.0, v[20:21]
	v_add_f64_e64 v[18:19], v[18:19], -v[54:55]
	s_delay_alu instid0(TRANS32_DEP_1) | instskip(NEXT) | instid1(VALU_DEP_1)
	v_fma_f64 v[50:51], -v[20:21], v[48:49], 1.0
	v_fmac_f64_e32 v[48:49], v[50:51], v[48:49]
	s_delay_alu instid0(VALU_DEP_1) | instskip(NEXT) | instid1(VALU_DEP_1)
	v_fma_f64 v[50:51], -v[20:21], v[48:49], 1.0
	v_fmac_f64_e32 v[48:49], v[50:51], v[48:49]
	s_delay_alu instid0(VALU_DEP_1) | instskip(NEXT) | instid1(VALU_DEP_1)
	v_mul_f64_e32 v[50:51], v[52:53], v[48:49]
	v_mul_f64_e32 v[60:61], v[20:21], v[50:51]
	s_delay_alu instid0(VALU_DEP_1) | instskip(NEXT) | instid1(VALU_DEP_1)
	v_fma_f64 v[20:21], v[50:51], v[20:21], -v[60:61]
	v_fmac_f64_e32 v[20:21], v[50:51], v[18:19]
	s_delay_alu instid0(VALU_DEP_1) | instskip(NEXT) | instid1(VALU_DEP_1)
	v_add_f64_e32 v[18:19], v[60:61], v[20:21]
	v_add_f64_e64 v[54:55], v[52:53], -v[18:19]
	v_add_f64_e64 v[60:61], v[18:19], -v[60:61]
	s_delay_alu instid0(VALU_DEP_2) | instskip(NEXT) | instid1(VALU_DEP_2)
	v_add_f64_e64 v[52:53], v[52:53], -v[54:55]
	v_add_f64_e64 v[20:21], v[60:61], -v[20:21]
	v_mul_f64_e32 v[60:61], 0x3fe62e42fefa39ef, v[44:45]
	s_delay_alu instid0(VALU_DEP_3) | instskip(NEXT) | instid1(VALU_DEP_2)
	v_add_f64_e64 v[18:19], v[52:53], -v[18:19]
	v_fma_f64 v[62:63], v[44:45], s[8:9], -v[60:61]
	s_delay_alu instid0(VALU_DEP_2) | instskip(NEXT) | instid1(VALU_DEP_2)
	v_add_f64_e32 v[18:19], v[20:21], v[18:19]
	v_fmac_f64_e32 v[62:63], 0x3c7abc9e3b39803f, v[44:45]
	s_delay_alu instid0(VALU_DEP_2) | instskip(NEXT) | instid1(VALU_DEP_1)
	v_add_f64_e32 v[18:19], v[54:55], v[18:19]
	v_mul_f64_e32 v[18:19], v[48:49], v[18:19]
	s_delay_alu instid0(VALU_DEP_1) | instskip(NEXT) | instid1(VALU_DEP_1)
	v_add_f64_e32 v[20:21], v[50:51], v[18:19]
	v_mul_f64_e32 v[48:49], v[20:21], v[20:21]
	s_delay_alu instid0(VALU_DEP_1) | instskip(SKIP_1) | instid1(VALU_DEP_2)
	v_fmamk_f64 v[52:53], v[48:49], 0x3fc3ab76bf559e2b, v[28:29]
	v_mul_f64_e32 v[54:55], v[20:21], v[48:49]
	v_fmaak_f64 v[52:53], v[48:49], v[52:53], 0x3fc7474dd7f4df2e
	s_delay_alu instid0(VALU_DEP_1) | instskip(NEXT) | instid1(VALU_DEP_1)
	v_fmaak_f64 v[52:53], v[48:49], v[52:53], 0x3fcc71c016291751
	v_fmaak_f64 v[52:53], v[48:49], v[52:53], 0x3fd249249b27acf1
	s_delay_alu instid0(VALU_DEP_1) | instskip(NEXT) | instid1(VALU_DEP_1)
	v_fmaak_f64 v[52:53], v[48:49], v[52:53], 0x3fd99999998ef7b6
	v_fmaak_f64 v[48:49], v[48:49], v[52:53], 0x3fe5555555555780
	v_ldexp_f64 v[52:53], v[20:21], 1
	v_add_f64_e64 v[20:21], v[20:21], -v[50:51]
	s_delay_alu instid0(VALU_DEP_3) | instskip(SKIP_1) | instid1(VALU_DEP_3)
	v_mul_f64_e32 v[48:49], v[54:55], v[48:49]
	v_div_scale_f64 v[54:55], null, v[40:41], v[40:41], v[42:43]
	v_add_f64_e64 v[18:19], v[18:19], -v[20:21]
	s_delay_alu instid0(VALU_DEP_3) | instskip(NEXT) | instid1(VALU_DEP_2)
	v_add_f64_e32 v[50:51], v[52:53], v[48:49]
	v_ldexp_f64 v[18:19], v[18:19], 1
	s_delay_alu instid0(VALU_DEP_2) | instskip(SKIP_1) | instid1(VALU_DEP_1)
	v_add_f64_e64 v[20:21], v[50:51], -v[52:53]
	v_rcp_f64_e32 v[52:53], v[54:55]
	v_add_f64_e64 v[20:21], v[48:49], -v[20:21]
	s_delay_alu instid0(TRANS32_DEP_1) | instskip(NEXT) | instid1(VALU_DEP_2)
	v_fma_f64 v[48:49], -v[54:55], v[52:53], 1.0
	v_add_f64_e32 v[18:19], v[18:19], v[20:21]
	v_add_f64_e32 v[20:21], v[60:61], v[62:63]
	s_delay_alu instid0(VALU_DEP_3) | instskip(NEXT) | instid1(VALU_DEP_3)
	v_fmac_f64_e32 v[52:53], v[52:53], v[48:49]
	v_add_f64_e32 v[44:45], v[50:51], v[18:19]
	s_delay_alu instid0(VALU_DEP_3) | instskip(NEXT) | instid1(VALU_DEP_3)
	v_add_f64_e64 v[60:61], v[20:21], -v[60:61]
	v_fma_f64 v[48:49], -v[54:55], v[52:53], 1.0
	s_delay_alu instid0(VALU_DEP_3) | instskip(SKIP_1) | instid1(VALU_DEP_4)
	v_add_f64_e32 v[64:65], v[20:21], v[44:45]
	v_add_f64_e64 v[50:51], v[44:45], -v[50:51]
	v_add_f64_e64 v[60:61], v[62:63], -v[60:61]
	s_delay_alu instid0(VALU_DEP_4) | instskip(NEXT) | instid1(VALU_DEP_4)
	v_fmac_f64_e32 v[52:53], v[52:53], v[48:49]
	v_add_f64_e64 v[48:49], v[64:65], -v[20:21]
	s_delay_alu instid0(VALU_DEP_4) | instskip(NEXT) | instid1(VALU_DEP_3)
	v_add_f64_e64 v[50:51], v[18:19], -v[50:51]
	v_mul_f64_e32 v[68:69], v[66:67], v[52:53]
	s_delay_alu instid0(VALU_DEP_3) | instskip(SKIP_1) | instid1(VALU_DEP_4)
	v_add_f64_e64 v[70:71], v[64:65], -v[48:49]
	v_add_f64_e64 v[18:19], v[44:45], -v[48:49]
	v_add_f64_e32 v[48:49], v[60:61], v[50:51]
	s_delay_alu instid0(VALU_DEP_4) | instskip(NEXT) | instid1(VALU_DEP_4)
	v_fma_f64 v[54:55], -v[54:55], v[68:69], v[66:67]
	v_add_f64_e64 v[20:21], v[20:21], -v[70:71]
	s_delay_alu instid0(VALU_DEP_2) | instskip(SKIP_1) | instid1(VALU_DEP_3)
	v_div_fmas_f64 v[44:45], v[54:55], v[52:53], v[68:69]
	v_cmp_class_f64_e64 vcc_lo, v[46:47], 0x204
	v_add_f64_e32 v[20:21], v[18:19], v[20:21]
	s_delay_alu instid0(VALU_DEP_3) | instskip(SKIP_1) | instid1(VALU_DEP_3)
	v_div_fixup_f64 v[18:19], v[44:45], v[40:41], v[42:43]
	v_add_f64_e64 v[40:41], v[48:49], -v[60:61]
	v_add_f64_e32 v[20:21], v[48:49], v[20:21]
	s_delay_alu instid0(VALU_DEP_3) | instskip(NEXT) | instid1(VALU_DEP_3)
	v_mul_f64_e32 v[42:43], v[18:19], v[18:19]
	v_add_f64_e64 v[44:45], v[48:49], -v[40:41]
	v_add_f64_e64 v[40:41], v[50:51], -v[40:41]
	s_delay_alu instid0(VALU_DEP_4) | instskip(NEXT) | instid1(VALU_DEP_4)
	v_add_f64_e32 v[48:49], v[64:65], v[20:21]
	v_fmamk_f64 v[52:53], v[42:43], 0x3eeba404b5e68a13, v[36:37]
	s_delay_alu instid0(VALU_DEP_4) | instskip(NEXT) | instid1(VALU_DEP_2)
	v_add_f64_e64 v[44:45], v[60:61], -v[44:45]
	v_fmaak_f64 v[52:53], v[42:43], v[52:53], 0x3f4b2bb069efb384
	s_delay_alu instid0(VALU_DEP_1) | instskip(NEXT) | instid1(VALU_DEP_1)
	v_fmaak_f64 v[52:53], v[42:43], v[52:53], 0xbf67952daf56de9b
	v_fmaak_f64 v[52:53], v[42:43], v[52:53], 0x3f7d6d43a595c56f
	v_add_f64_e64 v[50:51], v[48:49], -v[64:65]
	s_delay_alu instid0(VALU_DEP_2) | instskip(SKIP_1) | instid1(VALU_DEP_2)
	v_fmaak_f64 v[52:53], v[42:43], v[52:53], 0xbf8c6ea4a57d9582
	v_add_f64_e32 v[40:41], v[40:41], v[44:45]
	v_fmaak_f64 v[52:53], v[42:43], v[52:53], 0x3f967e295f08b19f
	s_delay_alu instid0(VALU_DEP_1) | instskip(NEXT) | instid1(VALU_DEP_1)
	v_fmaak_f64 v[52:53], v[42:43], v[52:53], 0xbf9e9ae6fc27006a
	v_fmaak_f64 v[52:53], v[42:43], v[52:53], 0x3fa2c15b5711927a
	s_delay_alu instid0(VALU_DEP_1) | instskip(SKIP_1) | instid1(VALU_DEP_2)
	v_fmaak_f64 v[44:45], v[42:43], v[52:53], 0xbfa59976e82d3ff0
	v_add_f64_e64 v[20:21], v[20:21], -v[50:51]
	v_fmaak_f64 v[44:45], v[42:43], v[44:45], 0x3fa82d5d6ef28734
	s_delay_alu instid0(VALU_DEP_1) | instskip(NEXT) | instid1(VALU_DEP_1)
	v_fmaak_f64 v[44:45], v[42:43], v[44:45], 0xbfaae5ce6a214619
	v_fmaak_f64 v[44:45], v[42:43], v[44:45], 0x3fae1bb48427b883
	s_delay_alu instid0(VALU_DEP_1) | instskip(SKIP_1) | instid1(VALU_DEP_2)
	v_fmaak_f64 v[44:45], v[42:43], v[44:45], 0xbfb110e48b207f05
	v_add_f64_e32 v[20:21], v[40:41], v[20:21]
	v_fmaak_f64 v[40:41], v[42:43], v[44:45], 0x3fb3b13657b87036
	s_delay_alu instid0(VALU_DEP_1) | instskip(NEXT) | instid1(VALU_DEP_1)
	v_fmaak_f64 v[40:41], v[42:43], v[40:41], 0xbfb745d119378e4f
	v_fmaak_f64 v[40:41], v[42:43], v[40:41], 0x3fbc71c717e1913c
	s_delay_alu instid0(VALU_DEP_1) | instskip(NEXT) | instid1(VALU_DEP_1)
	v_fmaak_f64 v[40:41], v[42:43], v[40:41], 0xbfc2492492376b7d
	v_fmaak_f64 v[40:41], v[42:43], v[40:41], 0x3fc99999999952cc
	v_add_f64_e32 v[20:21], v[48:49], v[20:21]
	s_delay_alu instid0(VALU_DEP_2) | instskip(NEXT) | instid1(VALU_DEP_1)
	v_fmaak_f64 v[40:41], v[42:43], v[40:41], 0xbfd5555555555523
	v_dual_mul_f64 v[40:41], v[42:43], v[40:41] :: v_dual_cndmask_b32 v21, v21, v47, vcc_lo
	s_delay_alu instid0(VALU_DEP_3) | instskip(SKIP_1) | instid1(VALU_DEP_2)
	v_cndmask_b32_e32 v20, v20, v46, vcc_lo
	v_cmp_ngt_f64_e32 vcc_lo, 0, v[46:47]
	v_add_f64_e32 v[20:21], 1.0, v[20:21]
	s_delay_alu instid0(VALU_DEP_4) | instskip(NEXT) | instid1(VALU_DEP_2)
	v_fmac_f64_e32 v[18:19], v[18:19], v[40:41]
	v_cndmask_b32_e32 v10, 0x7ff80000, v21, vcc_lo
	v_cmp_nge_f64_e32 vcc_lo, 0, v[46:47]
	s_delay_alu instid0(VALU_DEP_4) | instskip(SKIP_1) | instid1(VALU_DEP_4)
	v_cndmask_b32_e32 v20, 0, v20, vcc_lo
	v_cmp_neq_f64_e32 vcc_lo, 0, v[46:47]
	v_cndmask_b32_e32 v21, 0xfff00000, v10, vcc_lo
.LBB48_724:                             ;   in Loop: Header=BB48_434 Depth=1
	s_or_b32 exec_lo, exec_lo, s35
	s_wait_dscnt 0x0
	s_delay_alu instid0(VALU_DEP_3) | instskip(NEXT) | instid1(VALU_DEP_2)
	v_add_f64_e64 v[40:41], -v[18:19], s[20:21]
	v_add_f64_e32 v[20:21], 0x3fe62e42fefa39ef, v[20:21]
	v_cmp_gt_i32_e32 vcc_lo, 0, v11
	v_dual_cndmask_b32 v11, 0x54442d18, v57 :: v_dual_ashrrev_i32 v10, 31, v11
	s_delay_alu instid0(VALU_DEP_1) | instskip(SKIP_4) | instid1(VALU_DEP_3)
	v_and_b32_e32 v42, 0x54442d18, v10
	v_and_b32_e32 v10, 0x400921fb, v10
	v_dual_cndmask_b32 v19, v19, v41, s1 :: v_dual_cndmask_b32 v18, v18, v40, s1
	v_cmp_eq_f64_e64 s1, 0, v[12:13]
	v_cndmask_b32_e32 v12, 0x3fe921fb, v58, vcc_lo
	v_add_f64_e64 v[40:41], -v[18:19], s[22:23]
	s_delay_alu instid0(VALU_DEP_2) | instskip(NEXT) | instid1(VALU_DEP_2)
	v_bfi_b32 v12, 0x7fffffff, v12, v13
	v_dual_cndmask_b32 v18, v18, v40 :: v_dual_cndmask_b32 v19, v19, v41
	s_delay_alu instid0(VALU_DEP_1) | instskip(NEXT) | instid1(VALU_DEP_1)
	v_cndmask_b32_e64 v10, v19, v10, s1
	v_cndmask_b32_e64 v10, v10, v12, s34
	v_xor_b32_e32 v12, 0x80000000, v21
	s_delay_alu instid0(VALU_DEP_4) | instskip(NEXT) | instid1(VALU_DEP_3)
	v_cndmask_b32_e64 v13, v18, v42, s1
	v_and_b32_e32 v19, 0x7fffffff, v10
	s_delay_alu instid0(VALU_DEP_2)
	v_dual_cndmask_b32 v21, v12, v21, s0 :: v_dual_cndmask_b32 v18, v13, v11, s34
.LBB48_725:                             ;   in Loop: Header=BB48_434 Depth=1
	s_or_b32 exec_lo, exec_lo, s33
                                        ; implicit-def: $vgpr12_vgpr13
.LBB48_726:                             ;   in Loop: Header=BB48_434 Depth=1
	s_and_not1_saveexec_b32 s0, s31
	s_cbranch_execz .LBB48_740
; %bb.727:                              ;   in Loop: Header=BB48_434 Depth=1
	v_cmp_neq_f64_e64 s1, 0x7ff00000, |v[10:11]|
                                        ; implicit-def: $vgpr20_vgpr21
	s_and_saveexec_b32 s2, s1
	s_delay_alu instid0(SALU_CYCLE_1)
	s_xor_b32 s1, exec_lo, s2
	s_cbranch_execz .LBB48_737
; %bb.728:                              ;   in Loop: Header=BB48_434 Depth=1
	v_cmp_neq_f64_e64 s2, 0x7ff00000, |v[12:13]|
	s_wait_dscnt 0x0
	v_xor_b32_e32 v21, 0x80000000, v13
	v_mov_b32_e32 v20, v12
	s_and_saveexec_b32 s31, s2
	s_delay_alu instid0(SALU_CYCLE_1)
	s_xor_b32 s2, exec_lo, s31
	s_cbranch_execz .LBB48_734
; %bb.729:                              ;   in Loop: Header=BB48_434 Depth=1
	s_mov_b32 s31, exec_lo
                                        ; implicit-def: $vgpr20_vgpr21
	v_cmpx_neq_f64_e32 0, v[10:11]
	s_xor_b32 s31, exec_lo, s31
	s_cbranch_execz .LBB48_731
; %bb.730:                              ;   in Loop: Header=BB48_434 Depth=1
	v_add_f64_e32 v[12:13], 0, v[12:13]
	s_delay_alu instid0(VALU_DEP_1)
	v_add_f64_e32 v[20:21], v[10:11], v[12:13]
                                        ; implicit-def: $vgpr12_vgpr13
.LBB48_731:                             ;   in Loop: Header=BB48_434 Depth=1
	s_or_saveexec_b32 s31, s31
	s_delay_alu instid0(VALU_DEP_1)
	v_mov_b64_e32 v[18:19], v[20:21]
	s_xor_b32 exec_lo, exec_lo, s31
	s_cbranch_execz .LBB48_733
; %bb.732:                              ;   in Loop: Header=BB48_434 Depth=1
	flat_load_b64 v[10:11], v[26:27] scope:SCOPE_SYS
	s_wait_loadcnt 0x0
	v_add_f64_e32 v[20:21], v[12:13], v[12:13]
	s_wait_dscnt 0x0
	v_add_f64_e32 v[18:19], 0x3ff921fb54442d18, v[10:11]
.LBB48_733:                             ;   in Loop: Header=BB48_434 Depth=1
	s_wait_xcnt 0x0
	s_or_b32 exec_lo, exec_lo, s31
                                        ; implicit-def: $vgpr10_vgpr11
.LBB48_734:                             ;   in Loop: Header=BB48_434 Depth=1
	s_and_not1_saveexec_b32 s2, s2
; %bb.735:                              ;   in Loop: Header=BB48_434 Depth=1
	v_add_f64_e32 v[18:19], v[10:11], v[10:11]
; %bb.736:                              ;   in Loop: Header=BB48_434 Depth=1
	s_or_b32 exec_lo, exec_lo, s2
                                        ; implicit-def: $vgpr12_vgpr13
.LBB48_737:                             ;   in Loop: Header=BB48_434 Depth=1
	s_and_not1_saveexec_b32 s1, s1
	s_cbranch_execz .LBB48_739
; %bb.738:                              ;   in Loop: Header=BB48_434 Depth=1
	s_wait_dscnt 0x0
	v_add_f64_e32 v[18:19], v[12:13], v[12:13]
	v_mov_b64_e32 v[20:21], 0xfff0000000000000
.LBB48_739:                             ;   in Loop: Header=BB48_434 Depth=1
	s_or_b32 exec_lo, exec_lo, s1
.LBB48_740:                             ;   in Loop: Header=BB48_434 Depth=1
	s_delay_alu instid0(SALU_CYCLE_1)
	s_or_b32 exec_lo, exec_lo, s0
	flat_store_b64 v[26:27], v[24:25] scope:SCOPE_SYS
	s_wait_storecnt 0x0
                                        ; implicit-def: $vgpr12_vgpr13
	s_mov_b32 s0, exec_lo
	s_wait_xcnt 0x0
	v_cmpx_o_f64_e32 v[2:3], v[4:5]
	s_xor_b32 s31, exec_lo, s0
	s_cbranch_execz .LBB48_828
; %bb.741:                              ;   in Loop: Header=BB48_434 Depth=1
	v_max_num_f64_e64 v[44:45], |v[4:5]|, |v[4:5]|
	v_max_num_f64_e64 v[42:43], |v[2:3]|, |v[2:3]|
	v_cmp_gt_i64_e64 s0, 0, v[4:5]
                                        ; implicit-def: $vgpr12_vgpr13
	s_mov_b32 s1, exec_lo
	v_max_num_f64_e32 v[40:41], v[42:43], v[44:45]
	s_delay_alu instid0(VALU_DEP_1)
	v_cmpx_nlt_f64_e32 0x43300000, v[40:41]
	s_xor_b32 s33, exec_lo, s1
	s_cbranch_execz .LBB48_817
; %bb.742:                              ;   in Loop: Header=BB48_434 Depth=1
	v_cmp_neq_f64_e32 vcc_lo, 1.0, v[2:3]
	v_cmp_neq_f64_e64 s1, 0, v[4:5]
	v_xor_b32_e32 v13, 0x80000000, v5
	v_mov_b32_e32 v12, v4
	s_or_b32 s1, vcc_lo, s1
	s_delay_alu instid0(SALU_CYCLE_1) | instskip(NEXT) | instid1(SALU_CYCLE_1)
	s_and_saveexec_b32 s2, s1
	s_xor_b32 s34, exec_lo, s2
	s_cbranch_execz .LBB48_814
; %bb.743:                              ;   in Loop: Header=BB48_434 Depth=1
	flat_store_b32 v[30:31], v56 scope:SCOPE_SYS
	s_wait_storecnt 0x0
	flat_load_b32 v10, v[30:31] scope:SCOPE_SYS
	s_wait_loadcnt 0x0
	v_cmp_nlt_f64_e64 s1, |v[2:3]|, s[4:5]
	v_cmp_nlt_f64_e64 s2, |v[4:5]|, s[4:5]
	v_mov_b32_e32 v12, v4
	s_or_b32 s1, s1, s2
	s_wait_dscnt 0x0
	v_add_f32_e32 v10, 1.0, v10
	flat_store_b32 v[34:35], v10 scope:SCOPE_SYS
	s_wait_storecnt 0x0
	flat_load_b32 v10, v[34:35] scope:SCOPE_SYS
	s_wait_loadcnt 0x0
	s_wait_xcnt 0x0
	s_and_saveexec_b32 s2, s1
	s_delay_alu instid0(SALU_CYCLE_1)
	s_xor_b32 s35, exec_lo, s2
	s_cbranch_execz .LBB48_811
; %bb.744:                              ;   in Loop: Header=BB48_434 Depth=1
	s_wait_dscnt 0x0
	v_add_f64_e64 v[10:11], |v[2:3]|, -1.0
	v_add_f64_e64 v[42:43], |v[2:3]|, 1.0
	s_delay_alu instid0(VALU_DEP_2) | instskip(NEXT) | instid1(VALU_DEP_1)
	v_max_num_f64_e64 v[40:41], v[44:45], |v[10:11]|
	v_frexp_exp_i32_f64_e32 v60, v[40:41]
	s_delay_alu instid0(VALU_DEP_1) | instskip(NEXT) | instid1(VALU_DEP_1)
	v_dual_max_num_f64 v[12:13], v[44:45], v[42:43] :: v_dual_sub_nc_u32 v46, 0, v60
	v_frexp_exp_i32_f64_e32 v59, v[12:13]
	s_delay_alu instid0(VALU_DEP_2) | instskip(SKIP_1) | instid1(VALU_DEP_2)
	v_ldexp_f64 v[40:41], |v[10:11]|, v46
	v_ldexp_f64 v[46:47], |v[4:5]|, v46
	v_dual_mul_f64 v[40:41], v[40:41], v[40:41] :: v_dual_sub_nc_u32 v44, 0, v59
	s_delay_alu instid0(VALU_DEP_1) | instskip(NEXT) | instid1(VALU_DEP_2)
	v_ldexp_f64 v[12:13], v[42:43], v44
	v_fmac_f64_e32 v[40:41], v[46:47], v[46:47]
	s_delay_alu instid0(VALU_DEP_2) | instskip(SKIP_1) | instid1(VALU_DEP_3)
	v_mul_f64_e32 v[12:13], v[12:13], v[12:13]
	v_ldexp_f64 v[44:45], |v[4:5]|, v44
	v_rsq_f64_e32 v[46:47], v[40:41]
	v_cmp_eq_f64_e64 s1, 0, v[40:41]
	s_delay_alu instid0(VALU_DEP_2) | instskip(NEXT) | instid1(VALU_DEP_1)
	v_fmac_f64_e32 v[12:13], v[44:45], v[44:45]
	v_rsq_f64_e32 v[44:45], v[12:13]
	v_cmp_eq_f64_e32 vcc_lo, 0, v[12:13]
	s_delay_alu instid0(TRANS32_DEP_1) | instskip(SKIP_1) | instid1(VALU_DEP_1)
	v_mul_f64_e32 v[48:49], v[12:13], v[44:45]
	v_mul_f64_e32 v[44:45], 0.5, v[44:45]
	v_fma_f64 v[52:53], -v[44:45], v[48:49], 0.5
	s_delay_alu instid0(VALU_DEP_1) | instskip(SKIP_1) | instid1(VALU_DEP_2)
	v_fmac_f64_e32 v[48:49], v[48:49], v[52:53]
	v_fmac_f64_e32 v[44:45], v[44:45], v[52:53]
	v_fma_f64 v[52:53], -v[48:49], v[48:49], v[12:13]
	s_delay_alu instid0(VALU_DEP_1) | instskip(NEXT) | instid1(VALU_DEP_1)
	v_fmac_f64_e32 v[48:49], v[52:53], v[44:45]
	v_dual_cndmask_b32 v13, v49, v13 :: v_dual_cndmask_b32 v12, v48, v12
	v_cmp_neq_f64_e32 vcc_lo, 0x7ff00000, v[42:43]
	s_delay_alu instid0(VALU_DEP_2) | instskip(NEXT) | instid1(TRANS32_DEP_2)
	v_ldexp_f64 v[12:13], v[12:13], v59
	v_mul_f64_e32 v[50:51], v[40:41], v[46:47]
	v_mul_f64_e32 v[46:47], 0.5, v[46:47]
	s_delay_alu instid0(VALU_DEP_1) | instskip(NEXT) | instid1(VALU_DEP_1)
	v_fma_f64 v[54:55], -v[46:47], v[50:51], 0.5
	v_fmac_f64_e32 v[50:51], v[50:51], v[54:55]
	v_fmac_f64_e32 v[46:47], v[46:47], v[54:55]
	s_delay_alu instid0(VALU_DEP_2) | instskip(NEXT) | instid1(VALU_DEP_1)
	v_fma_f64 v[54:55], -v[50:51], v[50:51], v[40:41]
	v_fmac_f64_e32 v[50:51], v[54:55], v[46:47]
	v_cndmask_b32_e32 v47, 0x7ff00000, v13, vcc_lo
	s_delay_alu instid0(VALU_DEP_2) | instskip(NEXT) | instid1(VALU_DEP_3)
	v_dual_cndmask_b32 v46, 0, v12, vcc_lo :: v_dual_cndmask_b32 v41, v51, v41, s1
	v_cndmask_b32_e64 v40, v50, v40, s1
	v_cmp_neq_f64_e64 s1, 0x7ff00000, |v[10:11]|
	s_delay_alu instid0(VALU_DEP_2) | instskip(NEXT) | instid1(VALU_DEP_1)
	v_ldexp_f64 v[40:41], v[40:41], v60
	v_cndmask_b32_e64 v45, 0x7ff00000, v41, s1
	s_delay_alu instid0(VALU_DEP_2) | instskip(SKIP_1) | instid1(VALU_DEP_1)
	v_cndmask_b32_e64 v44, 0, v40, s1
	s_mov_b32 s1, exec_lo
	v_add_f64_e32 v[12:13], v[46:47], v[44:45]
	s_delay_alu instid0(VALU_DEP_1) | instskip(NEXT) | instid1(VALU_DEP_1)
	v_mul_f64_e32 v[12:13], 0.5, v[12:13]
	v_cmp_ngt_f64_e32 vcc_lo, 1.0, v[12:13]
	v_cndmask_b32_e32 v41, 0x3ff00000, v13, vcc_lo
	v_cndmask_b32_e32 v40, 0, v12, vcc_lo
                                        ; implicit-def: $vgpr12_vgpr13
	s_delay_alu instid0(VALU_DEP_1)
	v_cmpx_ngt_f64_e32 0x40240000, v[40:41]
	s_xor_b32 s1, exec_lo, s1
	s_cbranch_execz .LBB48_746
; %bb.745:                              ;   in Loop: Header=BB48_434 Depth=1
	v_fma_f64 v[12:13], v[40:41], v[40:41], -1.0
	s_delay_alu instid0(VALU_DEP_1) | instskip(SKIP_1) | instid1(VALU_DEP_1)
	v_cmp_gt_f64_e32 vcc_lo, 0x10000000, v[12:13]
	v_cndmask_b32_e64 v48, 0, 0x100, vcc_lo
	v_ldexp_f64 v[12:13], v[12:13], v48
	s_delay_alu instid0(VALU_DEP_1) | instskip(SKIP_1) | instid1(TRANS32_DEP_1)
	v_rsq_f64_e32 v[48:49], v[12:13]
	v_nop
	v_mul_f64_e32 v[50:51], v[12:13], v[48:49]
	v_mul_f64_e32 v[48:49], 0.5, v[48:49]
	s_delay_alu instid0(VALU_DEP_1) | instskip(NEXT) | instid1(VALU_DEP_1)
	v_fma_f64 v[52:53], -v[48:49], v[50:51], 0.5
	v_fmac_f64_e32 v[50:51], v[50:51], v[52:53]
	v_fmac_f64_e32 v[48:49], v[48:49], v[52:53]
	s_delay_alu instid0(VALU_DEP_2) | instskip(NEXT) | instid1(VALU_DEP_1)
	v_fma_f64 v[52:53], -v[50:51], v[50:51], v[12:13]
	v_fmac_f64_e32 v[50:51], v[52:53], v[48:49]
	s_delay_alu instid0(VALU_DEP_1) | instskip(NEXT) | instid1(VALU_DEP_1)
	v_fma_f64 v[52:53], -v[50:51], v[50:51], v[12:13]
	v_fmac_f64_e32 v[50:51], v[52:53], v[48:49]
	v_cndmask_b32_e64 v48, 0, 0xffffff80, vcc_lo
	v_cmp_class_f64_e64 vcc_lo, v[12:13], 0x260
	s_delay_alu instid0(VALU_DEP_2) | instskip(NEXT) | instid1(VALU_DEP_1)
	v_ldexp_f64 v[48:49], v[50:51], v48
	v_dual_cndmask_b32 v13, v49, v13 :: v_dual_cndmask_b32 v12, v48, v12
	s_delay_alu instid0(VALU_DEP_1) | instskip(NEXT) | instid1(VALU_DEP_1)
	v_add_f64_e32 v[12:13], v[40:41], v[12:13]
	v_frexp_mant_f64_e32 v[48:49], v[12:13]
	v_frexp_exp_i32_f64_e32 v59, v[12:13]
	s_delay_alu instid0(VALU_DEP_2) | instskip(SKIP_1) | instid1(VALU_DEP_3)
	v_cmp_gt_f64_e32 vcc_lo, s[6:7], v[48:49]
	v_cndmask_b32_e64 v50, 0, 1, vcc_lo
	v_subrev_co_ci_u32_e64 v59, null, 0, v59, vcc_lo
	v_cmp_class_f64_e64 vcc_lo, v[12:13], 0x204
	s_delay_alu instid0(VALU_DEP_3) | instskip(NEXT) | instid1(VALU_DEP_1)
	v_ldexp_f64 v[48:49], v[48:49], v50
	v_add_f64_e32 v[50:51], 1.0, v[48:49]
	v_add_f64_e32 v[60:61], -1.0, v[48:49]
	s_delay_alu instid0(VALU_DEP_2) | instskip(SKIP_1) | instid1(VALU_DEP_1)
	v_rcp_f64_e32 v[52:53], v[50:51]
	v_add_f64_e32 v[62:63], -1.0, v[50:51]
	v_add_f64_e64 v[48:49], v[48:49], -v[62:63]
	s_delay_alu instid0(TRANS32_DEP_1) | instskip(NEXT) | instid1(VALU_DEP_1)
	v_fma_f64 v[54:55], -v[50:51], v[52:53], 1.0
	v_fmac_f64_e32 v[52:53], v[54:55], v[52:53]
	s_delay_alu instid0(VALU_DEP_1) | instskip(NEXT) | instid1(VALU_DEP_1)
	v_fma_f64 v[54:55], -v[50:51], v[52:53], 1.0
	v_fmac_f64_e32 v[52:53], v[54:55], v[52:53]
	s_delay_alu instid0(VALU_DEP_1) | instskip(NEXT) | instid1(VALU_DEP_1)
	v_mul_f64_e32 v[54:55], v[60:61], v[52:53]
	v_mul_f64_e32 v[64:65], v[50:51], v[54:55]
	s_delay_alu instid0(VALU_DEP_1) | instskip(NEXT) | instid1(VALU_DEP_1)
	v_fma_f64 v[50:51], v[54:55], v[50:51], -v[64:65]
	v_fmac_f64_e32 v[50:51], v[54:55], v[48:49]
	s_delay_alu instid0(VALU_DEP_1) | instskip(NEXT) | instid1(VALU_DEP_1)
	v_add_f64_e32 v[48:49], v[64:65], v[50:51]
	v_add_f64_e64 v[62:63], v[60:61], -v[48:49]
	v_add_f64_e64 v[64:65], v[48:49], -v[64:65]
	s_delay_alu instid0(VALU_DEP_2) | instskip(NEXT) | instid1(VALU_DEP_2)
	v_add_f64_e64 v[60:61], v[60:61], -v[62:63]
	v_add_f64_e64 v[50:51], v[64:65], -v[50:51]
	s_delay_alu instid0(VALU_DEP_2) | instskip(NEXT) | instid1(VALU_DEP_1)
	v_add_f64_e64 v[48:49], v[60:61], -v[48:49]
	v_add_f64_e32 v[48:49], v[50:51], v[48:49]
	s_delay_alu instid0(VALU_DEP_1) | instskip(NEXT) | instid1(VALU_DEP_1)
	v_add_f64_e32 v[48:49], v[62:63], v[48:49]
	v_mul_f64_e32 v[48:49], v[52:53], v[48:49]
	s_delay_alu instid0(VALU_DEP_1) | instskip(NEXT) | instid1(VALU_DEP_1)
	v_add_f64_e32 v[50:51], v[54:55], v[48:49]
	v_mul_f64_e32 v[52:53], v[50:51], v[50:51]
	s_delay_alu instid0(VALU_DEP_1) | instskip(SKIP_1) | instid1(VALU_DEP_2)
	v_fmamk_f64 v[60:61], v[52:53], 0x3fc3ab76bf559e2b, v[28:29]
	v_mul_f64_e32 v[62:63], v[50:51], v[52:53]
	v_fmaak_f64 v[60:61], v[52:53], v[60:61], 0x3fc7474dd7f4df2e
	s_delay_alu instid0(VALU_DEP_1) | instskip(NEXT) | instid1(VALU_DEP_1)
	v_fmaak_f64 v[60:61], v[52:53], v[60:61], 0x3fcc71c016291751
	v_fmaak_f64 v[60:61], v[52:53], v[60:61], 0x3fd249249b27acf1
	s_delay_alu instid0(VALU_DEP_1) | instskip(NEXT) | instid1(VALU_DEP_1)
	v_fmaak_f64 v[60:61], v[52:53], v[60:61], 0x3fd99999998ef7b6
	v_fmaak_f64 v[52:53], v[52:53], v[60:61], 0x3fe5555555555780
	v_ldexp_f64 v[60:61], v[50:51], 1
	v_add_f64_e64 v[50:51], v[50:51], -v[54:55]
	s_delay_alu instid0(VALU_DEP_3) | instskip(SKIP_1) | instid1(VALU_DEP_3)
	v_mul_f64_e32 v[52:53], v[62:63], v[52:53]
	v_cvt_f64_i32_e32 v[62:63], v59
	v_add_f64_e64 v[48:49], v[48:49], -v[50:51]
	s_delay_alu instid0(VALU_DEP_3) | instskip(NEXT) | instid1(VALU_DEP_3)
	v_add_f64_e32 v[54:55], v[60:61], v[52:53]
	v_mul_f64_e32 v[64:65], 0x3fe62e42fefa39ef, v[62:63]
	s_delay_alu instid0(VALU_DEP_3) | instskip(NEXT) | instid1(VALU_DEP_3)
	v_ldexp_f64 v[48:49], v[48:49], 1
	v_add_f64_e64 v[50:51], v[54:55], -v[60:61]
	s_delay_alu instid0(VALU_DEP_3) | instskip(NEXT) | instid1(VALU_DEP_2)
	v_fma_f64 v[60:61], v[62:63], s[8:9], -v[64:65]
	v_add_f64_e64 v[50:51], v[52:53], -v[50:51]
	s_delay_alu instid0(VALU_DEP_2) | instskip(NEXT) | instid1(VALU_DEP_2)
	v_fmac_f64_e32 v[60:61], 0x3c7abc9e3b39803f, v[62:63]
	v_add_f64_e32 v[48:49], v[48:49], v[50:51]
	s_delay_alu instid0(VALU_DEP_2) | instskip(NEXT) | instid1(VALU_DEP_2)
	v_add_f64_e32 v[50:51], v[64:65], v[60:61]
	v_add_f64_e32 v[52:53], v[54:55], v[48:49]
	s_delay_alu instid0(VALU_DEP_2) | instskip(NEXT) | instid1(VALU_DEP_2)
	v_add_f64_e64 v[64:65], v[50:51], -v[64:65]
	v_add_f64_e32 v[62:63], v[50:51], v[52:53]
	v_add_f64_e64 v[54:55], v[52:53], -v[54:55]
	s_delay_alu instid0(VALU_DEP_3) | instskip(NEXT) | instid1(VALU_DEP_3)
	v_add_f64_e64 v[60:61], v[60:61], -v[64:65]
	v_add_f64_e64 v[66:67], v[62:63], -v[50:51]
	s_delay_alu instid0(VALU_DEP_3) | instskip(NEXT) | instid1(VALU_DEP_2)
	v_add_f64_e64 v[48:49], v[48:49], -v[54:55]
	v_add_f64_e64 v[68:69], v[62:63], -v[66:67]
	;; [unrolled: 1-line block ×3, first 2 shown]
	s_delay_alu instid0(VALU_DEP_3) | instskip(NEXT) | instid1(VALU_DEP_3)
	v_add_f64_e32 v[54:55], v[60:61], v[48:49]
	v_add_f64_e64 v[50:51], v[50:51], -v[68:69]
	s_delay_alu instid0(VALU_DEP_1) | instskip(NEXT) | instid1(VALU_DEP_3)
	v_add_f64_e32 v[50:51], v[52:53], v[50:51]
	v_add_f64_e64 v[52:53], v[54:55], -v[60:61]
	s_delay_alu instid0(VALU_DEP_2) | instskip(NEXT) | instid1(VALU_DEP_2)
	v_add_f64_e32 v[50:51], v[54:55], v[50:51]
	v_add_f64_e64 v[54:55], v[54:55], -v[52:53]
	v_add_f64_e64 v[48:49], v[48:49], -v[52:53]
	s_delay_alu instid0(VALU_DEP_3) | instskip(NEXT) | instid1(VALU_DEP_3)
	v_add_f64_e32 v[64:65], v[62:63], v[50:51]
	v_add_f64_e64 v[52:53], v[60:61], -v[54:55]
	s_delay_alu instid0(VALU_DEP_2) | instskip(NEXT) | instid1(VALU_DEP_2)
	v_add_f64_e64 v[54:55], v[64:65], -v[62:63]
	v_add_f64_e32 v[48:49], v[48:49], v[52:53]
	s_delay_alu instid0(VALU_DEP_2) | instskip(NEXT) | instid1(VALU_DEP_1)
	v_add_f64_e64 v[50:51], v[50:51], -v[54:55]
	v_add_f64_e32 v[48:49], v[48:49], v[50:51]
	s_delay_alu instid0(VALU_DEP_1) | instskip(NEXT) | instid1(VALU_DEP_1)
	v_add_f64_e32 v[48:49], v[64:65], v[48:49]
	v_dual_cndmask_b32 v48, v48, v12 :: v_dual_cndmask_b32 v49, v49, v13
	v_cmp_neq_f64_e32 vcc_lo, 0, v[12:13]
	s_delay_alu instid0(VALU_DEP_2) | instskip(NEXT) | instid1(VALU_DEP_3)
	v_cndmask_b32_e32 v13, 0xfff00000, v49, vcc_lo
	v_cndmask_b32_e32 v12, 0, v48, vcc_lo
.LBB48_746:                             ;   in Loop: Header=BB48_434 Depth=1
	s_or_saveexec_b32 s36, s1
	v_and_b32_e32 v49, 0x7fffffff, v5
	v_mov_b32_e32 v48, v4
	s_xor_b32 exec_lo, exec_lo, s36
	s_cbranch_execz .LBB48_768
; %bb.747:                              ;   in Loop: Header=BB48_434 Depth=1
	v_cmp_neq_f64_e64 s1, |v[2:3]|, 1.0
	v_cmp_ngt_f64_e64 s2, 0x39000000, |v[4:5]|
                                        ; implicit-def: $vgpr12_vgpr13
	s_or_b32 s1, s1, s2
	s_delay_alu instid0(SALU_CYCLE_1) | instskip(NEXT) | instid1(SALU_CYCLE_1)
	s_and_saveexec_b32 s2, s1
	s_xor_b32 s37, exec_lo, s2
	s_cbranch_execz .LBB48_765
; %bb.748:                              ;   in Loop: Header=BB48_434 Depth=1
	v_ldexp_f64 v[12:13], |v[10:11]|, 0xffffffcc
	s_delay_alu instid0(VALU_DEP_1) | instskip(SKIP_1) | instid1(SALU_CYCLE_1)
	v_cmp_ge_f64_e64 s1, |v[4:5]|, v[12:13]
                                        ; implicit-def: $vgpr12_vgpr13
	s_and_saveexec_b32 s2, s1
	s_xor_b32 s38, exec_lo, s2
	s_cbranch_execz .LBB48_758
; %bb.749:                              ;   in Loop: Header=BB48_434 Depth=1
	v_mov_b64_e32 v[12:13], v[48:49]
	s_mov_b32 s1, exec_lo
	v_cmpx_neq_f64_e32 0, v[42:43]
	s_cbranch_execz .LBB48_751
; %bb.750:                              ;   in Loop: Header=BB48_434 Depth=1
	v_mul_f64_e32 v[12:13], v[4:5], v[4:5]
	v_add_f64_e32 v[50:51], v[42:43], v[46:47]
	s_delay_alu instid0(VALU_DEP_1) | instskip(NEXT) | instid1(VALU_DEP_1)
	v_div_scale_f64 v[52:53], null, v[50:51], v[50:51], v[12:13]
	v_rcp_f64_e32 v[54:55], v[52:53]
	v_nop
	s_delay_alu instid0(TRANS32_DEP_1) | instskip(NEXT) | instid1(VALU_DEP_1)
	v_fma_f64 v[60:61], -v[52:53], v[54:55], 1.0
	v_fmac_f64_e32 v[54:55], v[54:55], v[60:61]
	s_delay_alu instid0(VALU_DEP_1) | instskip(NEXT) | instid1(VALU_DEP_1)
	v_fma_f64 v[60:61], -v[52:53], v[54:55], 1.0
	v_fmac_f64_e32 v[54:55], v[54:55], v[60:61]
	v_div_scale_f64 v[60:61], vcc_lo, v[12:13], v[50:51], v[12:13]
	s_delay_alu instid0(VALU_DEP_1) | instskip(NEXT) | instid1(VALU_DEP_1)
	v_mul_f64_e32 v[62:63], v[60:61], v[54:55]
	v_fma_f64 v[52:53], -v[52:53], v[62:63], v[60:61]
	s_delay_alu instid0(VALU_DEP_1) | instskip(NEXT) | instid1(VALU_DEP_1)
	v_div_fmas_f64 v[52:53], v[52:53], v[54:55], v[62:63]
	v_div_fixup_f64 v[12:13], v[52:53], v[50:51], v[12:13]
.LBB48_751:                             ;   in Loop: Header=BB48_434 Depth=1
	s_or_b32 exec_lo, exec_lo, s1
	v_add_f64_e64 v[52:53], -|v[2:3]|, 1.0
	s_mov_b32 s1, exec_lo
                                        ; implicit-def: $vgpr50_vgpr51
	s_delay_alu instid0(VALU_DEP_1)
	v_cmpx_ngt_f64_e32 0, v[52:53]
	s_xor_b32 s1, exec_lo, s1
	s_cbranch_execz .LBB48_755
; %bb.752:                              ;   in Loop: Header=BB48_434 Depth=1
	v_mov_b64_e32 v[50:51], v[48:49]
	s_mov_b32 s2, exec_lo
	v_cmpx_neq_f64_e32 0, v[52:53]
	s_cbranch_execz .LBB48_754
; %bb.753:                              ;   in Loop: Header=BB48_434 Depth=1
	v_mul_f64_e32 v[50:51], v[4:5], v[4:5]
	v_add_f64_e32 v[52:53], v[52:53], v[44:45]
	s_delay_alu instid0(VALU_DEP_1) | instskip(NEXT) | instid1(VALU_DEP_1)
	v_div_scale_f64 v[54:55], null, v[52:53], v[52:53], v[50:51]
	v_rcp_f64_e32 v[60:61], v[54:55]
	v_nop
	s_delay_alu instid0(TRANS32_DEP_1) | instskip(NEXT) | instid1(VALU_DEP_1)
	v_fma_f64 v[62:63], -v[54:55], v[60:61], 1.0
	v_fmac_f64_e32 v[60:61], v[60:61], v[62:63]
	s_delay_alu instid0(VALU_DEP_1) | instskip(NEXT) | instid1(VALU_DEP_1)
	v_fma_f64 v[62:63], -v[54:55], v[60:61], 1.0
	v_fmac_f64_e32 v[60:61], v[60:61], v[62:63]
	v_div_scale_f64 v[62:63], vcc_lo, v[50:51], v[52:53], v[50:51]
	s_delay_alu instid0(VALU_DEP_1) | instskip(NEXT) | instid1(VALU_DEP_1)
	v_mul_f64_e32 v[64:65], v[62:63], v[60:61]
	v_fma_f64 v[54:55], -v[54:55], v[64:65], v[62:63]
	s_delay_alu instid0(VALU_DEP_1) | instskip(NEXT) | instid1(VALU_DEP_1)
	v_div_fmas_f64 v[54:55], v[54:55], v[60:61], v[64:65]
	v_div_fixup_f64 v[50:51], v[54:55], v[52:53], v[50:51]
.LBB48_754:                             ;   in Loop: Header=BB48_434 Depth=1
	s_or_b32 exec_lo, exec_lo, s2
                                        ; implicit-def: $vgpr52_vgpr53
.LBB48_755:                             ;   in Loop: Header=BB48_434 Depth=1
	s_and_not1_saveexec_b32 s1, s1
; %bb.756:                              ;   in Loop: Header=BB48_434 Depth=1
	v_add_f64_e64 v[50:51], v[44:45], -v[52:53]
; %bb.757:                              ;   in Loop: Header=BB48_434 Depth=1
	s_or_b32 exec_lo, exec_lo, s1
	s_delay_alu instid0(VALU_DEP_1) | instskip(SKIP_1) | instid1(VALU_DEP_2)
	v_mul_f64_e32 v[50:51], 0.5, v[50:51]
	v_add_f64_e32 v[52:53], 1.0, v[40:41]
	v_fmac_f64_e32 v[50:51], 0.5, v[12:13]
	s_delay_alu instid0(VALU_DEP_1) | instskip(NEXT) | instid1(VALU_DEP_1)
	v_mul_f64_e32 v[12:13], v[52:53], v[50:51]
	v_cmp_gt_f64_e32 vcc_lo, 0x10000000, v[12:13]
	v_cndmask_b32_e64 v52, 0, 0x100, vcc_lo
	s_delay_alu instid0(VALU_DEP_1) | instskip(NEXT) | instid1(VALU_DEP_1)
	v_ldexp_f64 v[12:13], v[12:13], v52
	v_rsq_f64_e32 v[52:53], v[12:13]
	v_nop
	s_delay_alu instid0(TRANS32_DEP_1) | instskip(SKIP_1) | instid1(VALU_DEP_1)
	v_mul_f64_e32 v[54:55], v[12:13], v[52:53]
	v_mul_f64_e32 v[52:53], 0.5, v[52:53]
	v_fma_f64 v[60:61], -v[52:53], v[54:55], 0.5
	s_delay_alu instid0(VALU_DEP_1) | instskip(SKIP_1) | instid1(VALU_DEP_2)
	v_fmac_f64_e32 v[54:55], v[54:55], v[60:61]
	v_fmac_f64_e32 v[52:53], v[52:53], v[60:61]
	v_fma_f64 v[60:61], -v[54:55], v[54:55], v[12:13]
	s_delay_alu instid0(VALU_DEP_1) | instskip(NEXT) | instid1(VALU_DEP_1)
	v_fmac_f64_e32 v[54:55], v[60:61], v[52:53]
	v_fma_f64 v[60:61], -v[54:55], v[54:55], v[12:13]
	s_delay_alu instid0(VALU_DEP_1) | instskip(SKIP_2) | instid1(VALU_DEP_2)
	v_fmac_f64_e32 v[54:55], v[60:61], v[52:53]
	v_cndmask_b32_e64 v52, 0, 0xffffff80, vcc_lo
	v_cmp_class_f64_e64 vcc_lo, v[12:13], 0x260
	v_ldexp_f64 v[52:53], v[54:55], v52
	s_delay_alu instid0(VALU_DEP_1) | instskip(NEXT) | instid1(VALU_DEP_1)
	v_dual_cndmask_b32 v13, v53, v13 :: v_dual_cndmask_b32 v12, v52, v12
	v_add_f64_e32 v[50:51], v[50:51], v[12:13]
	s_delay_alu instid0(VALU_DEP_1) | instskip(SKIP_2) | instid1(VALU_DEP_3)
	v_add_f64_e32 v[12:13], 1.0, v[50:51]
	v_cmp_neq_f64_e64 s1, 0x7ff00000, v[50:51]
	v_cmp_ngt_f64_e64 s2, -1.0, v[50:51]
	v_frexp_mant_f64_e32 v[52:53], v[12:13]
	v_frexp_exp_i32_f64_e32 v59, v[12:13]
	v_add_f64_e32 v[54:55], -1.0, v[12:13]
	s_delay_alu instid0(VALU_DEP_3) | instskip(NEXT) | instid1(VALU_DEP_2)
	v_cmp_gt_f64_e32 vcc_lo, s[6:7], v[52:53]
	v_add_f64_e64 v[52:53], v[54:55], -v[12:13]
	v_add_f64_e64 v[54:55], v[50:51], -v[54:55]
	v_subrev_co_ci_u32_e64 v59, null, 0, v59, vcc_lo
	s_delay_alu instid0(VALU_DEP_3) | instskip(SKIP_1) | instid1(VALU_DEP_3)
	v_add_f64_e32 v[52:53], 1.0, v[52:53]
	v_cmp_nge_f64_e32 vcc_lo, -1.0, v[50:51]
	v_sub_nc_u32_e32 v62, 0, v59
	s_delay_alu instid0(VALU_DEP_1) | instskip(NEXT) | instid1(VALU_DEP_4)
	v_ldexp_f64 v[12:13], v[12:13], v62
	v_add_f64_e32 v[52:53], v[54:55], v[52:53]
	s_and_b32 vcc_lo, vcc_lo, s1
	s_delay_alu instid0(VALU_DEP_2) | instskip(SKIP_1) | instid1(VALU_DEP_3)
	v_add_f64_e32 v[60:61], 1.0, v[12:13]
	v_add_f64_e32 v[66:67], -1.0, v[12:13]
	v_ldexp_f64 v[52:53], v[52:53], v62
	s_delay_alu instid0(VALU_DEP_3) | instskip(NEXT) | instid1(VALU_DEP_3)
	v_add_f64_e32 v[54:55], -1.0, v[60:61]
	v_add_f64_e32 v[68:69], 1.0, v[66:67]
	s_delay_alu instid0(VALU_DEP_2) | instskip(NEXT) | instid1(VALU_DEP_2)
	v_add_f64_e64 v[54:55], v[12:13], -v[54:55]
	v_add_f64_e64 v[12:13], v[12:13], -v[68:69]
	s_delay_alu instid0(VALU_DEP_2) | instskip(NEXT) | instid1(VALU_DEP_2)
	v_add_f64_e32 v[54:55], v[52:53], v[54:55]
	v_add_f64_e32 v[12:13], v[52:53], v[12:13]
	s_delay_alu instid0(VALU_DEP_2) | instskip(NEXT) | instid1(VALU_DEP_2)
	v_add_f64_e32 v[62:63], v[60:61], v[54:55]
	v_add_f64_e32 v[68:69], v[66:67], v[12:13]
	s_delay_alu instid0(VALU_DEP_2) | instskip(SKIP_1) | instid1(VALU_DEP_2)
	v_rcp_f64_e32 v[64:65], v[62:63]
	v_add_f64_e64 v[60:61], v[62:63], -v[60:61]
	v_add_f64_e64 v[66:67], v[68:69], -v[66:67]
	s_delay_alu instid0(VALU_DEP_2) | instskip(NEXT) | instid1(VALU_DEP_2)
	v_add_f64_e64 v[54:55], v[54:55], -v[60:61]
	v_add_f64_e64 v[12:13], v[12:13], -v[66:67]
	s_delay_alu instid0(TRANS32_DEP_1) | instskip(NEXT) | instid1(VALU_DEP_1)
	v_fma_f64 v[70:71], -v[62:63], v[64:65], 1.0
	v_fmac_f64_e32 v[64:65], v[70:71], v[64:65]
	s_delay_alu instid0(VALU_DEP_1) | instskip(NEXT) | instid1(VALU_DEP_1)
	v_fma_f64 v[52:53], -v[62:63], v[64:65], 1.0
	v_fmac_f64_e32 v[64:65], v[52:53], v[64:65]
	s_delay_alu instid0(VALU_DEP_1) | instskip(NEXT) | instid1(VALU_DEP_1)
	v_mul_f64_e32 v[52:53], v[68:69], v[64:65]
	v_mul_f64_e32 v[70:71], v[62:63], v[52:53]
	s_delay_alu instid0(VALU_DEP_1) | instskip(NEXT) | instid1(VALU_DEP_1)
	v_fma_f64 v[60:61], v[52:53], v[62:63], -v[70:71]
	v_fmac_f64_e32 v[60:61], v[52:53], v[54:55]
	s_delay_alu instid0(VALU_DEP_1) | instskip(NEXT) | instid1(VALU_DEP_1)
	v_add_f64_e32 v[72:73], v[70:71], v[60:61]
	v_add_f64_e64 v[74:75], v[68:69], -v[72:73]
	v_add_f64_e64 v[66:67], v[72:73], -v[70:71]
	s_delay_alu instid0(VALU_DEP_2) | instskip(NEXT) | instid1(VALU_DEP_2)
	v_add_f64_e64 v[68:69], v[68:69], -v[74:75]
	v_add_f64_e64 v[60:61], v[66:67], -v[60:61]
	s_delay_alu instid0(VALU_DEP_2) | instskip(NEXT) | instid1(VALU_DEP_1)
	v_add_f64_e64 v[68:69], v[68:69], -v[72:73]
	v_add_f64_e32 v[12:13], v[12:13], v[68:69]
	s_delay_alu instid0(VALU_DEP_1) | instskip(NEXT) | instid1(VALU_DEP_1)
	v_add_f64_e32 v[12:13], v[60:61], v[12:13]
	v_add_f64_e32 v[60:61], v[74:75], v[12:13]
	s_delay_alu instid0(VALU_DEP_1) | instskip(SKIP_1) | instid1(VALU_DEP_2)
	v_mul_f64_e32 v[66:67], v[64:65], v[60:61]
	v_add_f64_e64 v[72:73], v[74:75], -v[60:61]
	v_mul_f64_e32 v[68:69], v[62:63], v[66:67]
	s_delay_alu instid0(VALU_DEP_2) | instskip(NEXT) | instid1(VALU_DEP_2)
	v_add_f64_e32 v[12:13], v[12:13], v[72:73]
	v_fma_f64 v[62:63], v[66:67], v[62:63], -v[68:69]
	s_delay_alu instid0(VALU_DEP_1) | instskip(NEXT) | instid1(VALU_DEP_1)
	v_fmac_f64_e32 v[62:63], v[66:67], v[54:55]
	v_add_f64_e32 v[54:55], v[68:69], v[62:63]
	s_delay_alu instid0(VALU_DEP_1) | instskip(SKIP_1) | instid1(VALU_DEP_2)
	v_add_f64_e64 v[70:71], v[60:61], -v[54:55]
	v_add_f64_e64 v[68:69], v[54:55], -v[68:69]
	;; [unrolled: 1-line block ×3, first 2 shown]
	s_delay_alu instid0(VALU_DEP_1) | instskip(NEXT) | instid1(VALU_DEP_3)
	v_add_f64_e64 v[54:55], v[60:61], -v[54:55]
	v_add_f64_e64 v[60:61], v[68:69], -v[62:63]
	s_delay_alu instid0(VALU_DEP_2) | instskip(SKIP_1) | instid1(VALU_DEP_2)
	v_add_f64_e32 v[12:13], v[12:13], v[54:55]
	v_add_f64_e32 v[54:55], v[52:53], v[66:67]
	;; [unrolled: 1-line block ×3, first 2 shown]
	s_delay_alu instid0(VALU_DEP_2) | instskip(NEXT) | instid1(VALU_DEP_2)
	v_add_f64_e64 v[52:53], v[54:55], -v[52:53]
	v_add_f64_e32 v[12:13], v[70:71], v[12:13]
	s_delay_alu instid0(VALU_DEP_2) | instskip(NEXT) | instid1(VALU_DEP_2)
	v_add_f64_e64 v[52:53], v[66:67], -v[52:53]
	v_mul_f64_e32 v[12:13], v[64:65], v[12:13]
	s_delay_alu instid0(VALU_DEP_1) | instskip(NEXT) | instid1(VALU_DEP_1)
	v_add_f64_e32 v[12:13], v[52:53], v[12:13]
	v_add_f64_e32 v[52:53], v[54:55], v[12:13]
	s_delay_alu instid0(VALU_DEP_1) | instskip(NEXT) | instid1(VALU_DEP_1)
	v_mul_f64_e32 v[60:61], v[52:53], v[52:53]
	v_fmamk_f64 v[62:63], v[60:61], 0x3fc3ab76bf559e2b, v[28:29]
	v_mul_f64_e32 v[64:65], v[52:53], v[60:61]
	s_delay_alu instid0(VALU_DEP_2) | instskip(NEXT) | instid1(VALU_DEP_1)
	v_fmaak_f64 v[62:63], v[60:61], v[62:63], 0x3fc7474dd7f4df2e
	v_fmaak_f64 v[62:63], v[60:61], v[62:63], 0x3fcc71c016291751
	s_delay_alu instid0(VALU_DEP_1) | instskip(NEXT) | instid1(VALU_DEP_1)
	v_fmaak_f64 v[62:63], v[60:61], v[62:63], 0x3fd249249b27acf1
	v_fmaak_f64 v[62:63], v[60:61], v[62:63], 0x3fd99999998ef7b6
	s_delay_alu instid0(VALU_DEP_1) | instskip(SKIP_2) | instid1(VALU_DEP_3)
	v_fmaak_f64 v[60:61], v[60:61], v[62:63], 0x3fe5555555555780
	v_ldexp_f64 v[62:63], v[52:53], 1
	v_add_f64_e64 v[52:53], v[52:53], -v[54:55]
	v_mul_f64_e32 v[60:61], v[64:65], v[60:61]
	v_cvt_f64_i32_e32 v[64:65], v59
	s_delay_alu instid0(VALU_DEP_3) | instskip(NEXT) | instid1(VALU_DEP_3)
	v_add_f64_e64 v[12:13], v[12:13], -v[52:53]
	v_add_f64_e32 v[54:55], v[62:63], v[60:61]
	s_delay_alu instid0(VALU_DEP_3) | instskip(NEXT) | instid1(VALU_DEP_3)
	v_mul_f64_e32 v[66:67], 0x3fe62e42fefa39ef, v[64:65]
	v_ldexp_f64 v[12:13], v[12:13], 1
	s_delay_alu instid0(VALU_DEP_3) | instskip(NEXT) | instid1(VALU_DEP_3)
	v_add_f64_e64 v[52:53], v[54:55], -v[62:63]
	v_fma_f64 v[62:63], v[64:65], s[8:9], -v[66:67]
	s_delay_alu instid0(VALU_DEP_2) | instskip(NEXT) | instid1(VALU_DEP_2)
	v_add_f64_e64 v[52:53], v[60:61], -v[52:53]
	v_fmac_f64_e32 v[62:63], 0x3c7abc9e3b39803f, v[64:65]
	s_delay_alu instid0(VALU_DEP_2) | instskip(NEXT) | instid1(VALU_DEP_2)
	v_add_f64_e32 v[12:13], v[12:13], v[52:53]
	v_add_f64_e32 v[52:53], v[66:67], v[62:63]
	s_delay_alu instid0(VALU_DEP_2) | instskip(NEXT) | instid1(VALU_DEP_2)
	v_add_f64_e32 v[60:61], v[54:55], v[12:13]
	v_add_f64_e64 v[66:67], v[52:53], -v[66:67]
	s_delay_alu instid0(VALU_DEP_2) | instskip(SKIP_1) | instid1(VALU_DEP_3)
	v_add_f64_e32 v[64:65], v[52:53], v[60:61]
	v_add_f64_e64 v[54:55], v[60:61], -v[54:55]
	v_add_f64_e64 v[62:63], v[62:63], -v[66:67]
	s_delay_alu instid0(VALU_DEP_3) | instskip(NEXT) | instid1(VALU_DEP_3)
	v_add_f64_e64 v[68:69], v[64:65], -v[52:53]
	v_add_f64_e64 v[12:13], v[12:13], -v[54:55]
	s_delay_alu instid0(VALU_DEP_2) | instskip(SKIP_1) | instid1(VALU_DEP_3)
	v_add_f64_e64 v[70:71], v[64:65], -v[68:69]
	v_add_f64_e64 v[54:55], v[60:61], -v[68:69]
	v_add_f64_e32 v[60:61], v[62:63], v[12:13]
	s_delay_alu instid0(VALU_DEP_3) | instskip(NEXT) | instid1(VALU_DEP_1)
	v_add_f64_e64 v[52:53], v[52:53], -v[70:71]
	v_add_f64_e32 v[52:53], v[54:55], v[52:53]
	s_delay_alu instid0(VALU_DEP_3) | instskip(NEXT) | instid1(VALU_DEP_2)
	v_add_f64_e64 v[54:55], v[60:61], -v[62:63]
	v_add_f64_e32 v[52:53], v[60:61], v[52:53]
	s_delay_alu instid0(VALU_DEP_2) | instskip(SKIP_1) | instid1(VALU_DEP_3)
	v_add_f64_e64 v[60:61], v[60:61], -v[54:55]
	v_add_f64_e64 v[12:13], v[12:13], -v[54:55]
	v_add_f64_e32 v[66:67], v[64:65], v[52:53]
	s_delay_alu instid0(VALU_DEP_3) | instskip(NEXT) | instid1(VALU_DEP_2)
	v_add_f64_e64 v[60:61], v[62:63], -v[60:61]
	v_add_f64_e64 v[54:55], v[66:67], -v[64:65]
	s_delay_alu instid0(VALU_DEP_2) | instskip(NEXT) | instid1(VALU_DEP_2)
	v_add_f64_e32 v[12:13], v[12:13], v[60:61]
	v_add_f64_e64 v[52:53], v[52:53], -v[54:55]
	s_delay_alu instid0(VALU_DEP_1) | instskip(NEXT) | instid1(VALU_DEP_1)
	v_add_f64_e32 v[12:13], v[12:13], v[52:53]
	v_add_f64_e32 v[12:13], v[66:67], v[12:13]
	s_delay_alu instid0(VALU_DEP_1) | instskip(SKIP_1) | instid1(VALU_DEP_3)
	v_cndmask_b32_e32 v12, 0, v12, vcc_lo
	v_cmp_neq_f64_e32 vcc_lo, -1.0, v[50:51]
	v_cndmask_b32_e64 v13, 0x7ff00000, v13, s1
	s_delay_alu instid0(VALU_DEP_1) | instskip(NEXT) | instid1(VALU_DEP_1)
	v_cndmask_b32_e64 v13, 0x7ff80000, v13, s2
	v_cndmask_b32_e32 v13, 0xfff00000, v13, vcc_lo
.LBB48_758:                             ;   in Loop: Header=BB48_434 Depth=1
	s_and_not1_saveexec_b32 s38, s38
	s_cbranch_execz .LBB48_764
; %bb.759:                              ;   in Loop: Header=BB48_434 Depth=1
                                        ; implicit-def: $vgpr12_vgpr13
	s_mov_b32 s2, exec_lo
	v_cmpx_nlt_f64_e64 |v[2:3]|, 1.0
	s_xor_b32 s39, exec_lo, s2
	s_cbranch_execz .LBB48_761
; %bb.760:                              ;   in Loop: Header=BB48_434 Depth=1
	v_mul_f64_e32 v[12:13], v[10:11], v[42:43]
	s_delay_alu instid0(VALU_DEP_1) | instskip(SKIP_1) | instid1(VALU_DEP_1)
	v_cmp_gt_f64_e32 vcc_lo, 0x10000000, v[12:13]
	v_cndmask_b32_e64 v50, 0, 0x100, vcc_lo
	v_ldexp_f64 v[12:13], v[12:13], v50
	s_delay_alu instid0(VALU_DEP_1) | instskip(SKIP_1) | instid1(TRANS32_DEP_1)
	v_rsq_f64_e32 v[50:51], v[12:13]
	v_nop
	v_mul_f64_e32 v[52:53], v[12:13], v[50:51]
	v_mul_f64_e32 v[50:51], 0.5, v[50:51]
	s_delay_alu instid0(VALU_DEP_1) | instskip(NEXT) | instid1(VALU_DEP_1)
	v_fma_f64 v[54:55], -v[50:51], v[52:53], 0.5
	v_fmac_f64_e32 v[52:53], v[52:53], v[54:55]
	v_fmac_f64_e32 v[50:51], v[50:51], v[54:55]
	s_delay_alu instid0(VALU_DEP_2) | instskip(NEXT) | instid1(VALU_DEP_1)
	v_fma_f64 v[54:55], -v[52:53], v[52:53], v[12:13]
	v_fmac_f64_e32 v[52:53], v[54:55], v[50:51]
	s_delay_alu instid0(VALU_DEP_1) | instskip(NEXT) | instid1(VALU_DEP_1)
	v_fma_f64 v[54:55], -v[52:53], v[52:53], v[12:13]
	v_fmac_f64_e32 v[52:53], v[54:55], v[50:51]
	v_cndmask_b32_e64 v50, 0, 0xffffff80, vcc_lo
	v_cmp_class_f64_e64 vcc_lo, v[12:13], 0x260
	s_delay_alu instid0(VALU_DEP_2) | instskip(NEXT) | instid1(VALU_DEP_1)
	v_ldexp_f64 v[50:51], v[52:53], v50
	v_dual_cndmask_b32 v13, v51, v13 :: v_dual_cndmask_b32 v12, v50, v12
	s_delay_alu instid0(VALU_DEP_1) | instskip(NEXT) | instid1(VALU_DEP_1)
	v_add_f64_e32 v[50:51], v[10:11], v[12:13]
	v_add_f64_e32 v[12:13], 1.0, v[50:51]
	v_cmp_neq_f64_e64 s1, 0x7ff00000, v[50:51]
	v_cmp_ngt_f64_e64 s2, -1.0, v[50:51]
	s_delay_alu instid0(VALU_DEP_3) | instskip(SKIP_2) | instid1(VALU_DEP_3)
	v_frexp_mant_f64_e32 v[52:53], v[12:13]
	v_frexp_exp_i32_f64_e32 v59, v[12:13]
	v_add_f64_e32 v[54:55], -1.0, v[12:13]
	v_cmp_gt_f64_e32 vcc_lo, s[6:7], v[52:53]
	s_delay_alu instid0(VALU_DEP_2) | instskip(SKIP_2) | instid1(VALU_DEP_3)
	v_add_f64_e64 v[52:53], v[54:55], -v[12:13]
	v_add_f64_e64 v[54:55], v[50:51], -v[54:55]
	v_subrev_co_ci_u32_e64 v59, null, 0, v59, vcc_lo
	v_add_f64_e32 v[52:53], 1.0, v[52:53]
	v_cmp_nge_f64_e32 vcc_lo, -1.0, v[50:51]
	s_delay_alu instid0(VALU_DEP_3) | instskip(NEXT) | instid1(VALU_DEP_1)
	v_sub_nc_u32_e32 v62, 0, v59
	v_ldexp_f64 v[12:13], v[12:13], v62
	s_delay_alu instid0(VALU_DEP_4) | instskip(SKIP_1) | instid1(VALU_DEP_2)
	v_add_f64_e32 v[52:53], v[54:55], v[52:53]
	s_and_b32 vcc_lo, vcc_lo, s1
	v_add_f64_e32 v[60:61], 1.0, v[12:13]
	v_add_f64_e32 v[66:67], -1.0, v[12:13]
	s_delay_alu instid0(VALU_DEP_3) | instskip(NEXT) | instid1(VALU_DEP_3)
	v_ldexp_f64 v[52:53], v[52:53], v62
	v_add_f64_e32 v[54:55], -1.0, v[60:61]
	s_delay_alu instid0(VALU_DEP_3) | instskip(NEXT) | instid1(VALU_DEP_2)
	v_add_f64_e32 v[68:69], 1.0, v[66:67]
	v_add_f64_e64 v[54:55], v[12:13], -v[54:55]
	s_delay_alu instid0(VALU_DEP_2) | instskip(NEXT) | instid1(VALU_DEP_2)
	v_add_f64_e64 v[12:13], v[12:13], -v[68:69]
	v_add_f64_e32 v[54:55], v[52:53], v[54:55]
	s_delay_alu instid0(VALU_DEP_2) | instskip(NEXT) | instid1(VALU_DEP_2)
	v_add_f64_e32 v[12:13], v[52:53], v[12:13]
	v_add_f64_e32 v[62:63], v[60:61], v[54:55]
	s_delay_alu instid0(VALU_DEP_2) | instskip(NEXT) | instid1(VALU_DEP_2)
	v_add_f64_e32 v[68:69], v[66:67], v[12:13]
	v_rcp_f64_e32 v[64:65], v[62:63]
	v_add_f64_e64 v[60:61], v[62:63], -v[60:61]
	s_delay_alu instid0(VALU_DEP_2) | instskip(NEXT) | instid1(VALU_DEP_2)
	v_add_f64_e64 v[66:67], v[68:69], -v[66:67]
	v_add_f64_e64 v[54:55], v[54:55], -v[60:61]
	s_delay_alu instid0(VALU_DEP_2) | instskip(NEXT) | instid1(TRANS32_DEP_1)
	v_add_f64_e64 v[12:13], v[12:13], -v[66:67]
	v_fma_f64 v[70:71], -v[62:63], v[64:65], 1.0
	s_delay_alu instid0(VALU_DEP_1) | instskip(NEXT) | instid1(VALU_DEP_1)
	v_fmac_f64_e32 v[64:65], v[70:71], v[64:65]
	v_fma_f64 v[52:53], -v[62:63], v[64:65], 1.0
	s_delay_alu instid0(VALU_DEP_1) | instskip(NEXT) | instid1(VALU_DEP_1)
	v_fmac_f64_e32 v[64:65], v[52:53], v[64:65]
	v_mul_f64_e32 v[52:53], v[68:69], v[64:65]
	s_delay_alu instid0(VALU_DEP_1) | instskip(NEXT) | instid1(VALU_DEP_1)
	v_mul_f64_e32 v[70:71], v[62:63], v[52:53]
	v_fma_f64 v[60:61], v[52:53], v[62:63], -v[70:71]
	s_delay_alu instid0(VALU_DEP_1) | instskip(NEXT) | instid1(VALU_DEP_1)
	v_fmac_f64_e32 v[60:61], v[52:53], v[54:55]
	v_add_f64_e32 v[72:73], v[70:71], v[60:61]
	s_delay_alu instid0(VALU_DEP_1) | instskip(SKIP_1) | instid1(VALU_DEP_2)
	v_add_f64_e64 v[74:75], v[68:69], -v[72:73]
	v_add_f64_e64 v[66:67], v[72:73], -v[70:71]
	;; [unrolled: 1-line block ×3, first 2 shown]
	s_delay_alu instid0(VALU_DEP_2) | instskip(NEXT) | instid1(VALU_DEP_2)
	v_add_f64_e64 v[60:61], v[66:67], -v[60:61]
	v_add_f64_e64 v[68:69], v[68:69], -v[72:73]
	s_delay_alu instid0(VALU_DEP_1) | instskip(NEXT) | instid1(VALU_DEP_1)
	v_add_f64_e32 v[12:13], v[12:13], v[68:69]
	v_add_f64_e32 v[12:13], v[60:61], v[12:13]
	s_delay_alu instid0(VALU_DEP_1) | instskip(NEXT) | instid1(VALU_DEP_1)
	v_add_f64_e32 v[60:61], v[74:75], v[12:13]
	v_mul_f64_e32 v[66:67], v[64:65], v[60:61]
	v_add_f64_e64 v[72:73], v[74:75], -v[60:61]
	s_delay_alu instid0(VALU_DEP_2) | instskip(NEXT) | instid1(VALU_DEP_2)
	v_mul_f64_e32 v[68:69], v[62:63], v[66:67]
	v_add_f64_e32 v[12:13], v[12:13], v[72:73]
	s_delay_alu instid0(VALU_DEP_2) | instskip(NEXT) | instid1(VALU_DEP_1)
	v_fma_f64 v[62:63], v[66:67], v[62:63], -v[68:69]
	v_fmac_f64_e32 v[62:63], v[66:67], v[54:55]
	s_delay_alu instid0(VALU_DEP_1) | instskip(NEXT) | instid1(VALU_DEP_1)
	v_add_f64_e32 v[54:55], v[68:69], v[62:63]
	v_add_f64_e64 v[70:71], v[60:61], -v[54:55]
	v_add_f64_e64 v[68:69], v[54:55], -v[68:69]
	s_delay_alu instid0(VALU_DEP_2) | instskip(NEXT) | instid1(VALU_DEP_1)
	v_add_f64_e64 v[60:61], v[60:61], -v[70:71]
	v_add_f64_e64 v[54:55], v[60:61], -v[54:55]
	s_delay_alu instid0(VALU_DEP_3) | instskip(NEXT) | instid1(VALU_DEP_2)
	v_add_f64_e64 v[60:61], v[68:69], -v[62:63]
	v_add_f64_e32 v[12:13], v[12:13], v[54:55]
	v_add_f64_e32 v[54:55], v[52:53], v[66:67]
	s_delay_alu instid0(VALU_DEP_2) | instskip(NEXT) | instid1(VALU_DEP_2)
	v_add_f64_e32 v[12:13], v[60:61], v[12:13]
	v_add_f64_e64 v[52:53], v[54:55], -v[52:53]
	s_delay_alu instid0(VALU_DEP_2) | instskip(NEXT) | instid1(VALU_DEP_2)
	v_add_f64_e32 v[12:13], v[70:71], v[12:13]
	v_add_f64_e64 v[52:53], v[66:67], -v[52:53]
	s_delay_alu instid0(VALU_DEP_2) | instskip(NEXT) | instid1(VALU_DEP_1)
	v_mul_f64_e32 v[12:13], v[64:65], v[12:13]
	v_add_f64_e32 v[12:13], v[52:53], v[12:13]
	s_delay_alu instid0(VALU_DEP_1) | instskip(NEXT) | instid1(VALU_DEP_1)
	v_add_f64_e32 v[52:53], v[54:55], v[12:13]
	v_mul_f64_e32 v[60:61], v[52:53], v[52:53]
	s_delay_alu instid0(VALU_DEP_1) | instskip(SKIP_1) | instid1(VALU_DEP_2)
	v_fmamk_f64 v[62:63], v[60:61], 0x3fc3ab76bf559e2b, v[28:29]
	v_mul_f64_e32 v[64:65], v[52:53], v[60:61]
	v_fmaak_f64 v[62:63], v[60:61], v[62:63], 0x3fc7474dd7f4df2e
	s_delay_alu instid0(VALU_DEP_1) | instskip(NEXT) | instid1(VALU_DEP_1)
	v_fmaak_f64 v[62:63], v[60:61], v[62:63], 0x3fcc71c016291751
	v_fmaak_f64 v[62:63], v[60:61], v[62:63], 0x3fd249249b27acf1
	s_delay_alu instid0(VALU_DEP_1) | instskip(NEXT) | instid1(VALU_DEP_1)
	v_fmaak_f64 v[62:63], v[60:61], v[62:63], 0x3fd99999998ef7b6
	v_fmaak_f64 v[60:61], v[60:61], v[62:63], 0x3fe5555555555780
	v_ldexp_f64 v[62:63], v[52:53], 1
	v_add_f64_e64 v[52:53], v[52:53], -v[54:55]
	s_delay_alu instid0(VALU_DEP_3) | instskip(SKIP_1) | instid1(VALU_DEP_3)
	v_mul_f64_e32 v[60:61], v[64:65], v[60:61]
	v_cvt_f64_i32_e32 v[64:65], v59
	v_add_f64_e64 v[12:13], v[12:13], -v[52:53]
	s_delay_alu instid0(VALU_DEP_3) | instskip(NEXT) | instid1(VALU_DEP_3)
	v_add_f64_e32 v[54:55], v[62:63], v[60:61]
	v_mul_f64_e32 v[66:67], 0x3fe62e42fefa39ef, v[64:65]
	s_delay_alu instid0(VALU_DEP_3) | instskip(NEXT) | instid1(VALU_DEP_3)
	v_ldexp_f64 v[12:13], v[12:13], 1
	v_add_f64_e64 v[52:53], v[54:55], -v[62:63]
	s_delay_alu instid0(VALU_DEP_3) | instskip(NEXT) | instid1(VALU_DEP_2)
	v_fma_f64 v[62:63], v[64:65], s[8:9], -v[66:67]
	v_add_f64_e64 v[52:53], v[60:61], -v[52:53]
	s_delay_alu instid0(VALU_DEP_2) | instskip(NEXT) | instid1(VALU_DEP_2)
	v_fmac_f64_e32 v[62:63], 0x3c7abc9e3b39803f, v[64:65]
	v_add_f64_e32 v[12:13], v[12:13], v[52:53]
	s_delay_alu instid0(VALU_DEP_2) | instskip(NEXT) | instid1(VALU_DEP_2)
	v_add_f64_e32 v[52:53], v[66:67], v[62:63]
	v_add_f64_e32 v[60:61], v[54:55], v[12:13]
	s_delay_alu instid0(VALU_DEP_2) | instskip(NEXT) | instid1(VALU_DEP_2)
	v_add_f64_e64 v[66:67], v[52:53], -v[66:67]
	v_add_f64_e32 v[64:65], v[52:53], v[60:61]
	v_add_f64_e64 v[54:55], v[60:61], -v[54:55]
	s_delay_alu instid0(VALU_DEP_3) | instskip(NEXT) | instid1(VALU_DEP_3)
	v_add_f64_e64 v[62:63], v[62:63], -v[66:67]
	v_add_f64_e64 v[68:69], v[64:65], -v[52:53]
	s_delay_alu instid0(VALU_DEP_3) | instskip(NEXT) | instid1(VALU_DEP_2)
	v_add_f64_e64 v[12:13], v[12:13], -v[54:55]
	v_add_f64_e64 v[70:71], v[64:65], -v[68:69]
	;; [unrolled: 1-line block ×3, first 2 shown]
	s_delay_alu instid0(VALU_DEP_3) | instskip(NEXT) | instid1(VALU_DEP_3)
	v_add_f64_e32 v[60:61], v[62:63], v[12:13]
	v_add_f64_e64 v[52:53], v[52:53], -v[70:71]
	s_delay_alu instid0(VALU_DEP_1) | instskip(NEXT) | instid1(VALU_DEP_3)
	v_add_f64_e32 v[52:53], v[54:55], v[52:53]
	v_add_f64_e64 v[54:55], v[60:61], -v[62:63]
	s_delay_alu instid0(VALU_DEP_2) | instskip(NEXT) | instid1(VALU_DEP_2)
	v_add_f64_e32 v[52:53], v[60:61], v[52:53]
	v_add_f64_e64 v[60:61], v[60:61], -v[54:55]
	v_add_f64_e64 v[12:13], v[12:13], -v[54:55]
	s_delay_alu instid0(VALU_DEP_3) | instskip(NEXT) | instid1(VALU_DEP_3)
	v_add_f64_e32 v[66:67], v[64:65], v[52:53]
	v_add_f64_e64 v[60:61], v[62:63], -v[60:61]
	s_delay_alu instid0(VALU_DEP_2) | instskip(NEXT) | instid1(VALU_DEP_2)
	v_add_f64_e64 v[54:55], v[66:67], -v[64:65]
	v_add_f64_e32 v[12:13], v[12:13], v[60:61]
	s_delay_alu instid0(VALU_DEP_2) | instskip(NEXT) | instid1(VALU_DEP_1)
	v_add_f64_e64 v[52:53], v[52:53], -v[54:55]
	v_add_f64_e32 v[12:13], v[12:13], v[52:53]
	s_delay_alu instid0(VALU_DEP_1) | instskip(NEXT) | instid1(VALU_DEP_1)
	v_add_f64_e32 v[12:13], v[66:67], v[12:13]
	v_cndmask_b32_e32 v12, 0, v12, vcc_lo
	v_cmp_neq_f64_e32 vcc_lo, -1.0, v[50:51]
	s_delay_alu instid0(VALU_DEP_3) | instskip(NEXT) | instid1(VALU_DEP_1)
	v_cndmask_b32_e64 v13, 0x7ff00000, v13, s1
	v_cndmask_b32_e64 v13, 0x7ff80000, v13, s2
	s_delay_alu instid0(VALU_DEP_1)
	v_cndmask_b32_e32 v13, 0xfff00000, v13, vcc_lo
.LBB48_761:                             ;   in Loop: Header=BB48_434 Depth=1
	s_and_not1_saveexec_b32 s1, s39
	s_cbranch_execz .LBB48_763
; %bb.762:                              ;   in Loop: Header=BB48_434 Depth=1
	v_add_f64_e64 v[12:13], -|v[2:3]|, 1.0
	s_delay_alu instid0(VALU_DEP_1) | instskip(NEXT) | instid1(VALU_DEP_1)
	v_mul_f64_e32 v[12:13], v[12:13], v[42:43]
	v_cmp_gt_f64_e32 vcc_lo, 0x10000000, v[12:13]
	v_cndmask_b32_e64 v50, 0, 0x100, vcc_lo
	s_delay_alu instid0(VALU_DEP_1) | instskip(NEXT) | instid1(VALU_DEP_1)
	v_ldexp_f64 v[12:13], v[12:13], v50
	v_rsq_f64_e32 v[50:51], v[12:13]
	v_nop
	s_delay_alu instid0(TRANS32_DEP_1) | instskip(SKIP_1) | instid1(VALU_DEP_1)
	v_mul_f64_e32 v[52:53], v[12:13], v[50:51]
	v_mul_f64_e32 v[50:51], 0.5, v[50:51]
	v_fma_f64 v[54:55], -v[50:51], v[52:53], 0.5
	s_delay_alu instid0(VALU_DEP_1) | instskip(SKIP_1) | instid1(VALU_DEP_2)
	v_fmac_f64_e32 v[52:53], v[52:53], v[54:55]
	v_fmac_f64_e32 v[50:51], v[50:51], v[54:55]
	v_fma_f64 v[54:55], -v[52:53], v[52:53], v[12:13]
	s_delay_alu instid0(VALU_DEP_1) | instskip(NEXT) | instid1(VALU_DEP_1)
	v_fmac_f64_e32 v[52:53], v[54:55], v[50:51]
	v_fma_f64 v[54:55], -v[52:53], v[52:53], v[12:13]
	s_delay_alu instid0(VALU_DEP_1) | instskip(SKIP_2) | instid1(VALU_DEP_2)
	v_fmac_f64_e32 v[52:53], v[54:55], v[50:51]
	v_cndmask_b32_e64 v50, 0, 0xffffff80, vcc_lo
	v_cmp_class_f64_e64 vcc_lo, v[12:13], 0x260
	v_ldexp_f64 v[50:51], v[52:53], v50
	v_dual_mov_b32 v52, v4 :: v_dual_mov_b32 v53, v49
	s_delay_alu instid0(VALU_DEP_2) | instskip(NEXT) | instid1(VALU_DEP_1)
	v_dual_cndmask_b32 v12, v50, v12 :: v_dual_cndmask_b32 v13, v51, v13
	v_div_scale_f64 v[50:51], null, v[12:13], v[12:13], v[52:53]
	v_div_scale_f64 v[52:53], vcc_lo, v[52:53], v[12:13], v[52:53]
	s_delay_alu instid0(VALU_DEP_2) | instskip(SKIP_1) | instid1(TRANS32_DEP_1)
	v_rcp_f64_e32 v[54:55], v[50:51]
	v_nop
	v_fma_f64 v[60:61], -v[50:51], v[54:55], 1.0
	s_delay_alu instid0(VALU_DEP_1) | instskip(NEXT) | instid1(VALU_DEP_1)
	v_fmac_f64_e32 v[54:55], v[54:55], v[60:61]
	v_fma_f64 v[60:61], -v[50:51], v[54:55], 1.0
	s_delay_alu instid0(VALU_DEP_1) | instskip(NEXT) | instid1(VALU_DEP_1)
	v_fmac_f64_e32 v[54:55], v[54:55], v[60:61]
	v_mul_f64_e32 v[60:61], v[52:53], v[54:55]
	s_delay_alu instid0(VALU_DEP_1) | instskip(NEXT) | instid1(VALU_DEP_1)
	v_fma_f64 v[50:51], -v[50:51], v[60:61], v[52:53]
	v_div_fmas_f64 v[50:51], v[50:51], v[54:55], v[60:61]
	s_delay_alu instid0(VALU_DEP_1)
	v_div_fixup_f64 v[12:13], v[50:51], v[12:13], |v[4:5]|
.LBB48_763:                             ;   in Loop: Header=BB48_434 Depth=1
	s_or_b32 exec_lo, exec_lo, s1
.LBB48_764:                             ;   in Loop: Header=BB48_434 Depth=1
	s_delay_alu instid0(SALU_CYCLE_1)
	s_or_b32 exec_lo, exec_lo, s38
.LBB48_765:                             ;   in Loop: Header=BB48_434 Depth=1
	s_and_not1_saveexec_b32 s1, s37
	s_cbranch_execz .LBB48_767
; %bb.766:                              ;   in Loop: Header=BB48_434 Depth=1
	v_cmp_gt_f64_e64 s2, 0x10000000, |v[4:5]|
	s_delay_alu instid0(VALU_DEP_1) | instskip(NEXT) | instid1(VALU_DEP_1)
	v_cndmask_b32_e64 v12, 0, 0x100, s2
	v_ldexp_f64 v[12:13], |v[4:5]|, v12
	s_delay_alu instid0(VALU_DEP_1) | instskip(SKIP_1) | instid1(TRANS32_DEP_1)
	v_rsq_f64_e32 v[50:51], v[12:13]
	v_cmp_class_f64_e64 vcc_lo, v[12:13], 0x260
	v_mul_f64_e32 v[52:53], v[12:13], v[50:51]
	v_mul_f64_e32 v[50:51], 0.5, v[50:51]
	s_delay_alu instid0(VALU_DEP_1) | instskip(NEXT) | instid1(VALU_DEP_1)
	v_fma_f64 v[54:55], -v[50:51], v[52:53], 0.5
	v_fmac_f64_e32 v[52:53], v[52:53], v[54:55]
	v_fmac_f64_e32 v[50:51], v[50:51], v[54:55]
	s_delay_alu instid0(VALU_DEP_2) | instskip(NEXT) | instid1(VALU_DEP_1)
	v_fma_f64 v[54:55], -v[52:53], v[52:53], v[12:13]
	v_fmac_f64_e32 v[52:53], v[54:55], v[50:51]
	s_delay_alu instid0(VALU_DEP_1) | instskip(NEXT) | instid1(VALU_DEP_1)
	v_fma_f64 v[54:55], -v[52:53], v[52:53], v[12:13]
	v_fmac_f64_e32 v[52:53], v[54:55], v[50:51]
	v_cndmask_b32_e64 v50, 0, 0xffffff80, s2
	s_delay_alu instid0(VALU_DEP_1) | instskip(NEXT) | instid1(VALU_DEP_1)
	v_ldexp_f64 v[50:51], v[52:53], v50
	v_dual_cndmask_b32 v13, v51, v13 :: v_dual_cndmask_b32 v12, v50, v12
.LBB48_767:                             ;   in Loop: Header=BB48_434 Depth=1
	s_or_b32 exec_lo, exec_lo, s1
.LBB48_768:                             ;   in Loop: Header=BB48_434 Depth=1
	s_delay_alu instid0(SALU_CYCLE_1) | instskip(SKIP_2) | instid1(SALU_CYCLE_1)
	s_or_b32 exec_lo, exec_lo, s36
	v_cmp_ngt_f64_e64 s2, 0x20200000, |v[2:3]|
                                        ; implicit-def: $sgpr1
                                        ; implicit-def: $vgpr50_vgpr51
                                        ; implicit-def: $vgpr54_vgpr55
                                        ; implicit-def: $vgpr52_vgpr53
	s_and_saveexec_b32 s36, s2
	s_xor_b32 s2, exec_lo, s36
	s_cbranch_execz .LBB48_792
; %bb.769:                              ;   in Loop: Header=BB48_434 Depth=1
	v_and_b32_e32 v53, 0x7fffffff, v3
	v_mov_b32_e32 v52, v2
	s_mov_b32 s1, 0
	s_mov_b32 s36, exec_lo
	s_delay_alu instid0(VALU_DEP_1) | instskip(NEXT) | instid1(VALU_DEP_1)
	v_div_scale_f64 v[50:51], null, v[40:41], v[40:41], v[52:53]
	v_rcp_f64_e32 v[54:55], v[50:51]
	v_nop
	s_delay_alu instid0(TRANS32_DEP_1) | instskip(NEXT) | instid1(VALU_DEP_1)
	v_fma_f64 v[60:61], -v[50:51], v[54:55], 1.0
	v_fmac_f64_e32 v[54:55], v[54:55], v[60:61]
	s_delay_alu instid0(VALU_DEP_1) | instskip(NEXT) | instid1(VALU_DEP_1)
	v_fma_f64 v[60:61], -v[50:51], v[54:55], 1.0
	v_fmac_f64_e32 v[54:55], v[54:55], v[60:61]
	v_div_scale_f64 v[60:61], vcc_lo, v[52:53], v[40:41], v[52:53]
	s_delay_alu instid0(VALU_DEP_1) | instskip(NEXT) | instid1(VALU_DEP_1)
	v_mul_f64_e32 v[62:63], v[60:61], v[54:55]
	v_fma_f64 v[50:51], -v[50:51], v[62:63], v[60:61]
	s_delay_alu instid0(VALU_DEP_1) | instskip(NEXT) | instid1(VALU_DEP_1)
	v_div_fmas_f64 v[50:51], v[50:51], v[54:55], v[62:63]
                                        ; implicit-def: $vgpr54_vgpr55
	v_div_fixup_f64 v[50:51], v[50:51], v[40:41], |v[2:3]|
	s_delay_alu instid0(VALU_DEP_1)
	v_cmpx_lt_f64_e32 s[12:13], v[50:51]
	s_cbranch_execz .LBB48_791
; %bb.770:                              ;   in Loop: Header=BB48_434 Depth=1
	v_cmp_neq_f64_e64 s1, |v[2:3]|, 1.0
	v_cmp_ngt_f64_e64 s37, 0x3c400000, |v[4:5]|
                                        ; implicit-def: $vgpr54_vgpr55
	s_or_b32 s1, s1, s37
	s_delay_alu instid0(SALU_CYCLE_1) | instskip(NEXT) | instid1(SALU_CYCLE_1)
	s_and_saveexec_b32 s37, s1
	s_xor_b32 s1, exec_lo, s37
	s_cbranch_execz .LBB48_788
; %bb.771:                              ;   in Loop: Header=BB48_434 Depth=1
	v_ldexp_f64 v[54:55], |v[10:11]|, 0xffffffcc
	s_delay_alu instid0(VALU_DEP_1) | instskip(SKIP_1) | instid1(SALU_CYCLE_1)
	v_cmp_ge_f64_e64 s37, |v[4:5]|, v[54:55]
                                        ; implicit-def: $vgpr54_vgpr55
	s_and_saveexec_b32 s38, s37
	s_xor_b32 s37, exec_lo, s38
	s_cbranch_execz .LBB48_781
; %bb.772:                              ;   in Loop: Header=BB48_434 Depth=1
	v_mov_b64_e32 v[54:55], v[48:49]
	s_mov_b32 s38, exec_lo
	v_cmpx_neq_f64_e32 0, v[42:43]
	s_cbranch_execz .LBB48_774
; %bb.773:                              ;   in Loop: Header=BB48_434 Depth=1
	v_mul_f64_e32 v[54:55], v[4:5], v[4:5]
	v_add_f64_e32 v[42:43], v[42:43], v[46:47]
	s_delay_alu instid0(VALU_DEP_1) | instskip(NEXT) | instid1(VALU_DEP_1)
	v_div_scale_f64 v[46:47], null, v[42:43], v[42:43], v[54:55]
	v_rcp_f64_e32 v[60:61], v[46:47]
	v_nop
	s_delay_alu instid0(TRANS32_DEP_1) | instskip(NEXT) | instid1(VALU_DEP_1)
	v_fma_f64 v[62:63], -v[46:47], v[60:61], 1.0
	v_fmac_f64_e32 v[60:61], v[60:61], v[62:63]
	s_delay_alu instid0(VALU_DEP_1) | instskip(NEXT) | instid1(VALU_DEP_1)
	v_fma_f64 v[62:63], -v[46:47], v[60:61], 1.0
	v_fmac_f64_e32 v[60:61], v[60:61], v[62:63]
	v_div_scale_f64 v[62:63], vcc_lo, v[54:55], v[42:43], v[54:55]
	s_delay_alu instid0(VALU_DEP_1) | instskip(NEXT) | instid1(VALU_DEP_1)
	v_mul_f64_e32 v[64:65], v[62:63], v[60:61]
	v_fma_f64 v[46:47], -v[46:47], v[64:65], v[62:63]
	s_delay_alu instid0(VALU_DEP_1) | instskip(NEXT) | instid1(VALU_DEP_1)
	v_div_fmas_f64 v[46:47], v[46:47], v[60:61], v[64:65]
	v_div_fixup_f64 v[54:55], v[46:47], v[42:43], v[54:55]
.LBB48_774:                             ;   in Loop: Header=BB48_434 Depth=1
	s_or_b32 exec_lo, exec_lo, s38
	s_delay_alu instid0(SALU_CYCLE_1)
	s_mov_b32 s38, exec_lo
	v_cmpx_ngt_f64_e32 0, v[10:11]
	s_xor_b32 s38, exec_lo, s38
	s_cbranch_execz .LBB48_778
; %bb.775:                              ;   in Loop: Header=BB48_434 Depth=1
	s_mov_b32 s39, exec_lo
	v_cmpx_neq_f64_e32 0, v[10:11]
	s_cbranch_execz .LBB48_777
; %bb.776:                              ;   in Loop: Header=BB48_434 Depth=1
	v_mul_f64_e32 v[4:5], v[4:5], v[4:5]
	v_add_f64_e32 v[10:11], v[10:11], v[44:45]
	s_delay_alu instid0(VALU_DEP_1) | instskip(NEXT) | instid1(VALU_DEP_1)
	v_div_scale_f64 v[42:43], null, v[10:11], v[10:11], v[4:5]
	v_rcp_f64_e32 v[44:45], v[42:43]
	v_nop
	s_delay_alu instid0(TRANS32_DEP_1) | instskip(NEXT) | instid1(VALU_DEP_1)
	v_fma_f64 v[46:47], -v[42:43], v[44:45], 1.0
	v_fmac_f64_e32 v[44:45], v[44:45], v[46:47]
	s_delay_alu instid0(VALU_DEP_1) | instskip(NEXT) | instid1(VALU_DEP_1)
	v_fma_f64 v[46:47], -v[42:43], v[44:45], 1.0
	v_fmac_f64_e32 v[44:45], v[44:45], v[46:47]
	v_div_scale_f64 v[46:47], vcc_lo, v[4:5], v[10:11], v[4:5]
	s_delay_alu instid0(VALU_DEP_1) | instskip(NEXT) | instid1(VALU_DEP_1)
	v_mul_f64_e32 v[48:49], v[46:47], v[44:45]
	v_fma_f64 v[42:43], -v[42:43], v[48:49], v[46:47]
	s_delay_alu instid0(VALU_DEP_1) | instskip(NEXT) | instid1(VALU_DEP_1)
	v_div_fmas_f64 v[42:43], v[42:43], v[44:45], v[48:49]
	v_div_fixup_f64 v[48:49], v[42:43], v[10:11], v[4:5]
.LBB48_777:                             ;   in Loop: Header=BB48_434 Depth=1
	s_or_b32 exec_lo, exec_lo, s39
                                        ; implicit-def: $vgpr10_vgpr11
                                        ; implicit-def: $vgpr44_vgpr45
.LBB48_778:                             ;   in Loop: Header=BB48_434 Depth=1
	s_and_not1_saveexec_b32 s38, s38
; %bb.779:                              ;   in Loop: Header=BB48_434 Depth=1
	v_add_f64_e64 v[48:49], v[44:45], -v[10:11]
; %bb.780:                              ;   in Loop: Header=BB48_434 Depth=1
	s_or_b32 exec_lo, exec_lo, s38
	s_delay_alu instid0(VALU_DEP_1) | instskip(SKIP_1) | instid1(VALU_DEP_2)
	v_mul_f64_e32 v[4:5], 0.5, v[48:49]
	v_add_f64_e64 v[10:11], |v[2:3]|, v[40:41]
	v_fmac_f64_e32 v[4:5], 0.5, v[54:55]
	s_delay_alu instid0(VALU_DEP_1) | instskip(NEXT) | instid1(VALU_DEP_1)
	v_mul_f64_e32 v[4:5], v[10:11], v[4:5]
	v_cmp_gt_f64_e32 vcc_lo, 0x10000000, v[4:5]
	v_cndmask_b32_e64 v10, 0, 0x100, vcc_lo
	s_delay_alu instid0(VALU_DEP_1) | instskip(NEXT) | instid1(VALU_DEP_1)
	v_ldexp_f64 v[4:5], v[4:5], v10
	v_rsq_f64_e32 v[10:11], v[4:5]
	v_nop
	s_delay_alu instid0(TRANS32_DEP_1) | instskip(SKIP_1) | instid1(VALU_DEP_1)
	v_mul_f64_e32 v[40:41], v[4:5], v[10:11]
	v_mul_f64_e32 v[10:11], 0.5, v[10:11]
	v_fma_f64 v[42:43], -v[10:11], v[40:41], 0.5
	s_delay_alu instid0(VALU_DEP_1) | instskip(SKIP_1) | instid1(VALU_DEP_2)
	v_fmac_f64_e32 v[40:41], v[40:41], v[42:43]
	v_fmac_f64_e32 v[10:11], v[10:11], v[42:43]
	v_fma_f64 v[42:43], -v[40:41], v[40:41], v[4:5]
	s_delay_alu instid0(VALU_DEP_1) | instskip(NEXT) | instid1(VALU_DEP_1)
	v_fmac_f64_e32 v[40:41], v[42:43], v[10:11]
	v_fma_f64 v[42:43], -v[40:41], v[40:41], v[4:5]
	s_delay_alu instid0(VALU_DEP_1) | instskip(SKIP_2) | instid1(VALU_DEP_2)
	v_fmac_f64_e32 v[40:41], v[42:43], v[10:11]
	v_cndmask_b32_e64 v10, 0, 0xffffff80, vcc_lo
	v_cmp_class_f64_e64 vcc_lo, v[4:5], 0x260
                                        ; implicit-def: $vgpr42_vgpr43
	v_ldexp_f64 v[10:11], v[40:41], v10
	s_delay_alu instid0(VALU_DEP_1)
	v_dual_cndmask_b32 v55, v11, v5 :: v_dual_cndmask_b32 v54, v10, v4
                                        ; implicit-def: $vgpr10_vgpr11
.LBB48_781:                             ;   in Loop: Header=BB48_434 Depth=1
	s_and_not1_saveexec_b32 s37, s37
	s_cbranch_execz .LBB48_787
; %bb.782:                              ;   in Loop: Header=BB48_434 Depth=1
	v_cmp_ngt_f64_e64 s38, |v[2:3]|, 1.0
                                        ; implicit-def: $vgpr54_vgpr55
	s_and_saveexec_b32 s39, s38
	s_delay_alu instid0(SALU_CYCLE_1)
	s_xor_b32 s38, exec_lo, s39
	s_cbranch_execz .LBB48_784
; %bb.783:                              ;   in Loop: Header=BB48_434 Depth=1
	v_add_f64_e64 v[4:5], -|v[2:3]|, 1.0
	s_delay_alu instid0(VALU_DEP_1) | instskip(NEXT) | instid1(VALU_DEP_1)
	v_mul_f64_e32 v[4:5], v[4:5], v[42:43]
	v_cmp_gt_f64_e32 vcc_lo, 0x10000000, v[4:5]
	v_cndmask_b32_e64 v10, 0, 0x100, vcc_lo
	s_delay_alu instid0(VALU_DEP_1) | instskip(NEXT) | instid1(VALU_DEP_1)
	v_ldexp_f64 v[4:5], v[4:5], v10
	v_rsq_f64_e32 v[10:11], v[4:5]
	v_nop
	s_delay_alu instid0(TRANS32_DEP_1) | instskip(SKIP_1) | instid1(VALU_DEP_1)
	v_mul_f64_e32 v[40:41], v[4:5], v[10:11]
	v_mul_f64_e32 v[10:11], 0.5, v[10:11]
	v_fma_f64 v[42:43], -v[10:11], v[40:41], 0.5
	s_delay_alu instid0(VALU_DEP_1) | instskip(SKIP_1) | instid1(VALU_DEP_2)
	v_fmac_f64_e32 v[40:41], v[40:41], v[42:43]
	v_fmac_f64_e32 v[10:11], v[10:11], v[42:43]
	v_fma_f64 v[42:43], -v[40:41], v[40:41], v[4:5]
	s_delay_alu instid0(VALU_DEP_1) | instskip(NEXT) | instid1(VALU_DEP_1)
	v_fmac_f64_e32 v[40:41], v[42:43], v[10:11]
	v_fma_f64 v[42:43], -v[40:41], v[40:41], v[4:5]
	s_delay_alu instid0(VALU_DEP_1) | instskip(SKIP_2) | instid1(VALU_DEP_2)
	v_fmac_f64_e32 v[40:41], v[42:43], v[10:11]
	v_cndmask_b32_e64 v10, 0, 0xffffff80, vcc_lo
	v_cmp_class_f64_e64 vcc_lo, v[4:5], 0x260
                                        ; implicit-def: $vgpr42_vgpr43
	v_ldexp_f64 v[10:11], v[40:41], v10
	s_delay_alu instid0(VALU_DEP_1)
	v_dual_cndmask_b32 v55, v11, v5 :: v_dual_cndmask_b32 v54, v10, v4
                                        ; implicit-def: $vgpr10_vgpr11
.LBB48_784:                             ;   in Loop: Header=BB48_434 Depth=1
	s_and_not1_saveexec_b32 s38, s38
	s_cbranch_execz .LBB48_786
; %bb.785:                              ;   in Loop: Header=BB48_434 Depth=1
	v_mul_f64_e32 v[10:11], v[42:43], v[10:11]
	v_ldexp_f64 v[4:5], |v[4:5]|, 0x6a
	v_ldexp_f64 v[52:53], |v[2:3]|, 0x6a
	s_delay_alu instid0(VALU_DEP_3) | instskip(NEXT) | instid1(VALU_DEP_3)
	v_cmp_gt_f64_e32 vcc_lo, 0x10000000, v[10:11]
	v_mul_f64_e64 v[4:5], |v[2:3]|, v[4:5]
	v_cndmask_b32_e64 v40, 0, 0x100, vcc_lo
	s_delay_alu instid0(VALU_DEP_1) | instskip(NEXT) | instid1(VALU_DEP_1)
	v_ldexp_f64 v[10:11], v[10:11], v40
	v_rsq_f64_e32 v[40:41], v[10:11]
	v_nop
	s_delay_alu instid0(TRANS32_DEP_1) | instskip(SKIP_1) | instid1(VALU_DEP_1)
	v_mul_f64_e32 v[42:43], v[10:11], v[40:41]
	v_mul_f64_e32 v[40:41], 0.5, v[40:41]
	v_fma_f64 v[44:45], -v[40:41], v[42:43], 0.5
	s_delay_alu instid0(VALU_DEP_1) | instskip(SKIP_1) | instid1(VALU_DEP_2)
	v_fmac_f64_e32 v[42:43], v[42:43], v[44:45]
	v_fmac_f64_e32 v[40:41], v[40:41], v[44:45]
	v_fma_f64 v[44:45], -v[42:43], v[42:43], v[10:11]
	s_delay_alu instid0(VALU_DEP_1) | instskip(NEXT) | instid1(VALU_DEP_1)
	v_fmac_f64_e32 v[42:43], v[44:45], v[40:41]
	v_fma_f64 v[44:45], -v[42:43], v[42:43], v[10:11]
	s_delay_alu instid0(VALU_DEP_1) | instskip(SKIP_2) | instid1(VALU_DEP_2)
	v_fmac_f64_e32 v[42:43], v[44:45], v[40:41]
	v_cndmask_b32_e64 v40, 0, 0xffffff80, vcc_lo
	v_cmp_class_f64_e64 vcc_lo, v[10:11], 0x260
	v_ldexp_f64 v[40:41], v[42:43], v40
	s_delay_alu instid0(VALU_DEP_1) | instskip(NEXT) | instid1(VALU_DEP_1)
	v_dual_cndmask_b32 v11, v41, v11 :: v_dual_cndmask_b32 v10, v40, v10
	v_div_scale_f64 v[40:41], null, v[10:11], v[10:11], v[4:5]
	v_div_scale_f64 v[46:47], vcc_lo, v[4:5], v[10:11], v[4:5]
	s_delay_alu instid0(VALU_DEP_2) | instskip(SKIP_1) | instid1(TRANS32_DEP_1)
	v_rcp_f64_e32 v[42:43], v[40:41]
	v_nop
	v_fma_f64 v[44:45], -v[40:41], v[42:43], 1.0
	s_delay_alu instid0(VALU_DEP_1) | instskip(NEXT) | instid1(VALU_DEP_1)
	v_fmac_f64_e32 v[42:43], v[42:43], v[44:45]
	v_fma_f64 v[44:45], -v[40:41], v[42:43], 1.0
	s_delay_alu instid0(VALU_DEP_1) | instskip(NEXT) | instid1(VALU_DEP_1)
	v_fmac_f64_e32 v[42:43], v[42:43], v[44:45]
	v_mul_f64_e32 v[44:45], v[46:47], v[42:43]
	s_delay_alu instid0(VALU_DEP_1) | instskip(NEXT) | instid1(VALU_DEP_1)
	v_fma_f64 v[40:41], -v[40:41], v[44:45], v[46:47]
	v_div_fmas_f64 v[40:41], v[40:41], v[42:43], v[44:45]
	s_delay_alu instid0(VALU_DEP_1)
	v_div_fixup_f64 v[54:55], v[40:41], v[10:11], v[4:5]
.LBB48_786:                             ;   in Loop: Header=BB48_434 Depth=1
	s_or_b32 exec_lo, exec_lo, s38
.LBB48_787:                             ;   in Loop: Header=BB48_434 Depth=1
	s_delay_alu instid0(SALU_CYCLE_1)
	s_or_b32 exec_lo, exec_lo, s37
                                        ; implicit-def: $vgpr40_vgpr41
.LBB48_788:                             ;   in Loop: Header=BB48_434 Depth=1
	s_and_not1_saveexec_b32 s37, s1
	s_cbranch_execz .LBB48_790
; %bb.789:                              ;   in Loop: Header=BB48_434 Depth=1
	v_cmp_gt_f64_e64 s1, 0x10000000, |v[4:5]|
	v_add_f64_e32 v[10:11], 1.0, v[40:41]
	s_delay_alu instid0(VALU_DEP_2) | instskip(NEXT) | instid1(VALU_DEP_1)
	v_cndmask_b32_e64 v40, 0, 0x100, s1
	v_ldexp_f64 v[4:5], |v[4:5]|, v40
	s_delay_alu instid0(VALU_DEP_3) | instskip(NEXT) | instid1(VALU_DEP_1)
	v_mul_f64_e32 v[10:11], 0.5, v[10:11]
	v_cmp_gt_f64_e32 vcc_lo, 0x10000000, v[10:11]
	v_cndmask_b32_e64 v41, 0, 0x100, vcc_lo
	s_delay_alu instid0(VALU_DEP_1) | instskip(SKIP_1) | instid1(VALU_DEP_1)
	v_ldexp_f64 v[10:11], v[10:11], v41
	v_rsq_f64_e32 v[40:41], v[4:5]
	v_rsq_f64_e32 v[42:43], v[10:11]
	v_nop
	s_delay_alu instid0(TRANS32_DEP_1) | instskip(SKIP_1) | instid1(VALU_DEP_1)
	v_mul_f64_e32 v[46:47], v[10:11], v[42:43]
	v_mul_f64_e32 v[42:43], 0.5, v[42:43]
	v_fma_f64 v[52:53], -v[42:43], v[46:47], 0.5
	s_delay_alu instid0(VALU_DEP_1) | instskip(SKIP_1) | instid1(VALU_DEP_2)
	v_fmac_f64_e32 v[46:47], v[46:47], v[52:53]
	v_fmac_f64_e32 v[42:43], v[42:43], v[52:53]
	v_fma_f64 v[52:53], -v[46:47], v[46:47], v[10:11]
	s_delay_alu instid0(VALU_DEP_1) | instskip(NEXT) | instid1(VALU_DEP_1)
	v_fmac_f64_e32 v[46:47], v[52:53], v[42:43]
	v_fma_f64 v[52:53], -v[46:47], v[46:47], v[10:11]
	s_delay_alu instid0(VALU_DEP_1) | instskip(SKIP_3) | instid1(VALU_DEP_3)
	v_fmac_f64_e32 v[46:47], v[52:53], v[42:43]
	v_cndmask_b32_e64 v42, 0, 0xffffff80, vcc_lo
	v_cmp_class_f64_e64 vcc_lo, v[4:5], 0x260
	v_mov_b64_e32 v[52:53], 1.0
	v_ldexp_f64 v[42:43], v[46:47], v42
	s_delay_alu instid0(TRANS32_DEP_2) | instskip(SKIP_1) | instid1(VALU_DEP_1)
	v_mul_f64_e32 v[44:45], v[4:5], v[40:41]
	v_mul_f64_e32 v[40:41], 0.5, v[40:41]
	v_fma_f64 v[48:49], -v[40:41], v[44:45], 0.5
	s_delay_alu instid0(VALU_DEP_1) | instskip(SKIP_1) | instid1(VALU_DEP_2)
	v_fmac_f64_e32 v[44:45], v[44:45], v[48:49]
	v_fmac_f64_e32 v[40:41], v[40:41], v[48:49]
	v_fma_f64 v[48:49], -v[44:45], v[44:45], v[4:5]
	s_delay_alu instid0(VALU_DEP_1) | instskip(NEXT) | instid1(VALU_DEP_1)
	v_fmac_f64_e32 v[44:45], v[48:49], v[40:41]
	v_fma_f64 v[48:49], -v[44:45], v[44:45], v[4:5]
	s_delay_alu instid0(VALU_DEP_1) | instskip(SKIP_2) | instid1(VALU_DEP_2)
	v_fmac_f64_e32 v[44:45], v[48:49], v[40:41]
	v_cndmask_b32_e64 v40, 0, 0xffffff80, s1
	v_cmp_class_f64_e64 s1, v[10:11], 0x260
	v_ldexp_f64 v[40:41], v[44:45], v40
	s_delay_alu instid0(VALU_DEP_2) | instskip(NEXT) | instid1(VALU_DEP_2)
	v_dual_cndmask_b32 v11, v43, v11, s1 :: v_dual_cndmask_b32 v10, v42, v10, s1
	v_dual_cndmask_b32 v5, v41, v5 :: v_dual_cndmask_b32 v4, v40, v4
	s_delay_alu instid0(VALU_DEP_1)
	v_mul_f64_e32 v[54:55], v[4:5], v[10:11]
.LBB48_790:                             ;   in Loop: Header=BB48_434 Depth=1
	s_or_b32 exec_lo, exec_lo, s37
	s_delay_alu instid0(SALU_CYCLE_1)
	s_mov_b32 s1, exec_lo
.LBB48_791:                             ;   in Loop: Header=BB48_434 Depth=1
	s_or_b32 exec_lo, exec_lo, s36
                                        ; implicit-def: $vgpr40_vgpr41
.LBB48_792:                             ;   in Loop: Header=BB48_434 Depth=1
	s_and_not1_saveexec_b32 s2, s2
	s_cbranch_execz .LBB48_794
; %bb.793:                              ;   in Loop: Header=BB48_434 Depth=1
	v_ldexp_f64 v[54:55], v[40:41], 53
	v_ldexp_f64 v[52:53], |v[2:3]|, 53
	s_or_b32 s1, s1, exec_lo
                                        ; implicit-def: $vgpr50_vgpr51
.LBB48_794:                             ;   in Loop: Header=BB48_434 Depth=1
	s_or_b32 exec_lo, exec_lo, s2
	s_xor_b32 s1, s1, -1
	v_cmp_lt_i64_e32 vcc_lo, -1, v[2:3]
	s_and_saveexec_b32 s2, s1
	s_delay_alu instid0(SALU_CYCLE_1)
	s_xor_b32 s2, exec_lo, s2
	s_cbranch_execz .LBB48_804
; %bb.795:                              ;   in Loop: Header=BB48_434 Depth=1
	s_delay_alu instid0(VALU_DEP_4) | instskip(NEXT) | instid1(SALU_CYCLE_1)
	s_and_saveexec_b32 s1, vcc_lo
	s_xor_b32 s36, exec_lo, s1
	s_cbranch_execz .LBB48_799
; %bb.796:                              ;   in Loop: Header=BB48_434 Depth=1
	v_fma_f64 v[4:5], |v[50:51]|, -0.5, 0.5
	v_mul_f64_e32 v[2:3], v[50:51], v[50:51]
	v_cmp_ge_f64_e64 s1, |v[50:51]|, 0.5
	s_delay_alu instid0(VALU_DEP_1) | instskip(NEXT) | instid1(VALU_DEP_1)
	v_dual_cndmask_b32 v3, v3, v5, s1 :: v_dual_cndmask_b32 v2, v2, v4, s1
	v_fmamk_f64 v[10:11], v[2:3], 0x3fa059859fea6a70, v[32:33]
	s_delay_alu instid0(VALU_DEP_1) | instskip(NEXT) | instid1(VALU_DEP_1)
	v_fmaak_f64 v[10:11], v[2:3], v[10:11], 0x3f94052137024d6a
	v_fmaak_f64 v[10:11], v[2:3], v[10:11], 0x3f7ab3a098a70509
	s_delay_alu instid0(VALU_DEP_1) | instskip(NEXT) | instid1(VALU_DEP_1)
	v_fmaak_f64 v[10:11], v[2:3], v[10:11], 0x3f88ed60a300c8d2
	v_fmaak_f64 v[10:11], v[2:3], v[10:11], 0x3f8c6fa84b77012b
	;; [unrolled: 3-line block ×5, first 2 shown]
	s_delay_alu instid0(VALU_DEP_1) | instskip(NEXT) | instid1(VALU_DEP_1)
	v_mul_f64_e32 v[2:3], v[2:3], v[10:11]
	v_fma_f64 v[10:11], v[50:51], v[2:3], v[50:51]
	s_delay_alu instid0(VALU_DEP_1)
	v_fma_f64 v[10:11], s[16:17], s[14:15], -v[10:11]
	s_and_saveexec_b32 s37, s1
	s_cbranch_execz .LBB48_798
; %bb.797:                              ;   in Loop: Header=BB48_434 Depth=1
	v_rsq_f64_e32 v[10:11], v[4:5]
	v_cmp_eq_f64_e64 s1, 0, v[4:5]
	s_delay_alu instid0(TRANS32_DEP_1) | instskip(SKIP_1) | instid1(VALU_DEP_1)
	v_mul_f64_e32 v[40:41], v[4:5], v[10:11]
	v_mul_f64_e32 v[10:11], 0.5, v[10:11]
	v_fma_f64 v[42:43], -v[10:11], v[40:41], 0.5
	s_delay_alu instid0(VALU_DEP_1) | instskip(SKIP_1) | instid1(VALU_DEP_2)
	v_fmac_f64_e32 v[40:41], v[40:41], v[42:43]
	v_fmac_f64_e32 v[10:11], v[10:11], v[42:43]
	v_fma_f64 v[42:43], -v[40:41], v[40:41], v[4:5]
	s_delay_alu instid0(VALU_DEP_1) | instskip(NEXT) | instid1(VALU_DEP_1)
	v_fmac_f64_e32 v[40:41], v[42:43], v[10:11]
	v_dual_cndmask_b32 v11, v41, v5, s1 :: v_dual_cndmask_b32 v10, v40, v4, s1
	s_delay_alu instid0(VALU_DEP_1) | instskip(SKIP_1) | instid1(VALU_DEP_2)
	v_add_f64_e32 v[40:41], v[10:11], v[10:11]
	v_mul_f64_e32 v[42:43], v[10:11], v[10:11]
	v_rcp_f64_e32 v[44:45], v[40:41]
	s_delay_alu instid0(VALU_DEP_1) | instskip(SKIP_1) | instid1(VALU_DEP_2)
	v_add_f64_e64 v[46:47], v[4:5], -v[42:43]
	v_fma_f64 v[52:53], v[10:11], v[10:11], -v[42:43]
	v_add_f64_e64 v[4:5], v[4:5], -v[46:47]
	s_delay_alu instid0(TRANS32_DEP_1) | instskip(NEXT) | instid1(VALU_DEP_2)
	v_fma_f64 v[48:49], -v[40:41], v[44:45], 1.0
	v_add_f64_e64 v[4:5], v[4:5], -v[42:43]
	s_delay_alu instid0(VALU_DEP_2) | instskip(NEXT) | instid1(VALU_DEP_2)
	v_fmac_f64_e32 v[44:45], v[48:49], v[44:45]
	v_add_f64_e64 v[4:5], v[4:5], -v[52:53]
	s_delay_alu instid0(VALU_DEP_2) | instskip(NEXT) | instid1(VALU_DEP_2)
	v_fma_f64 v[42:43], -v[40:41], v[44:45], 1.0
	v_add_f64_e32 v[4:5], v[46:47], v[4:5]
	s_delay_alu instid0(VALU_DEP_2) | instskip(NEXT) | instid1(VALU_DEP_1)
	v_fmac_f64_e32 v[44:45], v[42:43], v[44:45]
	v_mul_f64_e32 v[42:43], v[4:5], v[44:45]
	s_delay_alu instid0(VALU_DEP_1) | instskip(NEXT) | instid1(VALU_DEP_1)
	v_fma_f64 v[4:5], -v[40:41], v[42:43], v[4:5]
	v_fmac_f64_e32 v[42:43], v[4:5], v[44:45]
	s_delay_alu instid0(VALU_DEP_1) | instskip(NEXT) | instid1(VALU_DEP_2)
	v_cndmask_b32_e64 v5, v43, 0, s1
	v_cndmask_b32_e64 v4, v42, 0, s1
	v_cmp_neq_f64_e64 s1, 1.0, v[50:51]
	s_delay_alu instid0(VALU_DEP_2) | instskip(NEXT) | instid1(VALU_DEP_1)
	v_add_f64_e32 v[40:41], v[10:11], v[4:5]
	v_add_f64_e64 v[10:11], v[40:41], -v[10:11]
	s_delay_alu instid0(VALU_DEP_1) | instskip(NEXT) | instid1(VALU_DEP_1)
	v_add_f64_e64 v[4:5], v[4:5], -v[10:11]
	v_fmac_f64_e32 v[4:5], v[40:41], v[2:3]
	s_delay_alu instid0(VALU_DEP_1) | instskip(NEXT) | instid1(VALU_DEP_1)
	v_add_f64_e32 v[2:3], v[40:41], v[4:5]
	v_add_f64_e32 v[2:3], v[2:3], v[2:3]
	s_delay_alu instid0(VALU_DEP_1)
	v_dual_cndmask_b32 v11, 0, v3, s1 :: v_dual_cndmask_b32 v10, 0, v2, s1
.LBB48_798:                             ;   in Loop: Header=BB48_434 Depth=1
	s_or_b32 exec_lo, exec_lo, s37
                                        ; implicit-def: $vgpr50_vgpr51
.LBB48_799:                             ;   in Loop: Header=BB48_434 Depth=1
	s_and_not1_saveexec_b32 s36, s36
	s_cbranch_execz .LBB48_803
; %bb.800:                              ;   in Loop: Header=BB48_434 Depth=1
	v_fma_f64 v[4:5], |v[50:51]|, -0.5, 0.5
	v_mul_f64_e32 v[2:3], v[50:51], v[50:51]
	v_cmp_ge_f64_e64 s1, |v[50:51]|, 0.5
	s_delay_alu instid0(VALU_DEP_1) | instskip(NEXT) | instid1(VALU_DEP_1)
	v_dual_cndmask_b32 v3, v3, v5, s1 :: v_dual_cndmask_b32 v2, v2, v4, s1
	v_fmamk_f64 v[10:11], v[2:3], 0x3fa059859fea6a70, v[32:33]
	s_delay_alu instid0(VALU_DEP_1) | instskip(NEXT) | instid1(VALU_DEP_1)
	v_fmaak_f64 v[10:11], v[2:3], v[10:11], 0x3f94052137024d6a
	v_fmaak_f64 v[10:11], v[2:3], v[10:11], 0x3f7ab3a098a70509
	s_delay_alu instid0(VALU_DEP_1) | instskip(NEXT) | instid1(VALU_DEP_1)
	v_fmaak_f64 v[10:11], v[2:3], v[10:11], 0x3f88ed60a300c8d2
	v_fmaak_f64 v[10:11], v[2:3], v[10:11], 0x3f8c6fa84b77012b
	;; [unrolled: 3-line block ×5, first 2 shown]
	s_delay_alu instid0(VALU_DEP_1) | instskip(NEXT) | instid1(VALU_DEP_1)
	v_mul_f64_e32 v[2:3], v[2:3], v[10:11]
	v_fma_f64 v[10:11], -v[50:51], v[2:3], -v[50:51]
	s_delay_alu instid0(VALU_DEP_1)
	v_fma_f64 v[10:11], s[16:17], s[14:15], -v[10:11]
	s_and_saveexec_b32 s37, s1
	s_cbranch_execz .LBB48_802
; %bb.801:                              ;   in Loop: Header=BB48_434 Depth=1
	v_rsq_f64_e32 v[10:11], v[4:5]
	v_cmp_eq_f64_e64 s1, 0, v[4:5]
	s_delay_alu instid0(TRANS32_DEP_1) | instskip(SKIP_1) | instid1(VALU_DEP_1)
	v_mul_f64_e32 v[40:41], v[4:5], v[10:11]
	v_mul_f64_e32 v[10:11], 0.5, v[10:11]
	v_fma_f64 v[42:43], -v[10:11], v[40:41], 0.5
	s_delay_alu instid0(VALU_DEP_1) | instskip(SKIP_1) | instid1(VALU_DEP_2)
	v_fmac_f64_e32 v[40:41], v[40:41], v[42:43]
	v_fmac_f64_e32 v[10:11], v[10:11], v[42:43]
	v_fma_f64 v[42:43], -v[40:41], v[40:41], v[4:5]
	s_delay_alu instid0(VALU_DEP_1) | instskip(NEXT) | instid1(VALU_DEP_1)
	v_fmac_f64_e32 v[40:41], v[42:43], v[10:11]
	v_dual_cndmask_b32 v11, v41, v5, s1 :: v_dual_cndmask_b32 v10, v40, v4, s1
	s_delay_alu instid0(VALU_DEP_1) | instskip(SKIP_1) | instid1(VALU_DEP_2)
	v_add_f64_e32 v[40:41], v[10:11], v[10:11]
	v_mul_f64_e32 v[42:43], v[10:11], v[10:11]
	v_rcp_f64_e32 v[44:45], v[40:41]
	s_delay_alu instid0(VALU_DEP_1) | instskip(SKIP_1) | instid1(VALU_DEP_2)
	v_add_f64_e64 v[46:47], v[4:5], -v[42:43]
	v_fma_f64 v[52:53], v[10:11], v[10:11], -v[42:43]
	v_add_f64_e64 v[4:5], v[4:5], -v[46:47]
	s_delay_alu instid0(TRANS32_DEP_1) | instskip(NEXT) | instid1(VALU_DEP_2)
	v_fma_f64 v[48:49], -v[40:41], v[44:45], 1.0
	v_add_f64_e64 v[4:5], v[4:5], -v[42:43]
	s_delay_alu instid0(VALU_DEP_2) | instskip(NEXT) | instid1(VALU_DEP_2)
	v_fmac_f64_e32 v[44:45], v[48:49], v[44:45]
	v_add_f64_e64 v[4:5], v[4:5], -v[52:53]
	s_delay_alu instid0(VALU_DEP_2) | instskip(NEXT) | instid1(VALU_DEP_2)
	v_fma_f64 v[42:43], -v[40:41], v[44:45], 1.0
	v_add_f64_e32 v[4:5], v[46:47], v[4:5]
	s_delay_alu instid0(VALU_DEP_2) | instskip(NEXT) | instid1(VALU_DEP_1)
	v_fmac_f64_e32 v[44:45], v[42:43], v[44:45]
	v_mul_f64_e32 v[42:43], v[4:5], v[44:45]
	s_delay_alu instid0(VALU_DEP_1) | instskip(NEXT) | instid1(VALU_DEP_1)
	v_fma_f64 v[4:5], -v[40:41], v[42:43], v[4:5]
	v_fmac_f64_e32 v[42:43], v[4:5], v[44:45]
	s_delay_alu instid0(VALU_DEP_1) | instskip(NEXT) | instid1(VALU_DEP_2)
	v_cndmask_b32_e64 v5, v43, 0, s1
	v_cndmask_b32_e64 v4, v42, 0, s1
	v_cmp_lt_f64_e64 s1, 0, v[50:51]
	s_delay_alu instid0(VALU_DEP_2) | instskip(NEXT) | instid1(VALU_DEP_1)
	v_add_f64_e32 v[40:41], v[10:11], v[4:5]
	v_add_f64_e64 v[10:11], v[40:41], -v[10:11]
	s_delay_alu instid0(VALU_DEP_1) | instskip(SKIP_1) | instid1(VALU_DEP_2)
	v_add_f64_e64 v[4:5], v[4:5], -v[10:11]
	v_fma_f64 v[10:11], v[40:41], v[2:3], v[40:41]
	v_fmac_f64_e32 v[4:5], v[40:41], v[2:3]
	s_delay_alu instid0(VALU_DEP_2) | instskip(NEXT) | instid1(VALU_DEP_2)
	v_mul_f64_e32 v[2:3], -2.0, v[10:11]
	v_add_f64_e32 v[4:5], v[40:41], v[4:5]
	s_delay_alu instid0(VALU_DEP_2) | instskip(NEXT) | instid1(VALU_DEP_2)
	v_fmac_f64_e64 v[2:3], s[18:19], s[14:15]
	v_add_f64_e32 v[4:5], v[4:5], v[4:5]
	s_delay_alu instid0(VALU_DEP_1) | instskip(SKIP_1) | instid1(VALU_DEP_1)
	v_dual_cndmask_b32 v2, v4, v2, s1 :: v_dual_cndmask_b32 v3, v5, v3, s1
	v_cmp_neq_f64_e64 s1, 1.0, v[50:51]
	v_cndmask_b32_e64 v11, 0x400921fb, v3, s1
	s_delay_alu instid0(VALU_DEP_3)
	v_cndmask_b32_e64 v10, 0x54442d18, v2, s1
.LBB48_802:                             ;   in Loop: Header=BB48_434 Depth=1
	s_or_b32 exec_lo, exec_lo, s37
.LBB48_803:                             ;   in Loop: Header=BB48_434 Depth=1
	s_delay_alu instid0(SALU_CYCLE_1)
	s_or_b32 exec_lo, exec_lo, s36
                                        ; implicit-def: $vgpr52_vgpr53
                                        ; implicit-def: $vgpr54_vgpr55
.LBB48_804:                             ;   in Loop: Header=BB48_434 Depth=1
	s_and_not1_saveexec_b32 s36, s2
	s_cbranch_execz .LBB48_810
; %bb.805:                              ;   in Loop: Header=BB48_434 Depth=1
	s_delay_alu instid0(VALU_DEP_4) | instskip(NEXT) | instid1(SALU_CYCLE_1)
	s_and_saveexec_b32 s1, vcc_lo
	s_xor_b32 s37, exec_lo, s1
	s_cbranch_execz .LBB48_807
; %bb.806:                              ;   in Loop: Header=BB48_434 Depth=1
	s_delay_alu instid0(VALU_DEP_2) | instskip(NEXT) | instid1(VALU_DEP_3)
	v_max_num_f64_e64 v[2:3], |v[54:55]|, |v[54:55]|
	v_max_num_f64_e32 v[4:5], v[52:53], v[52:53]
	v_cmp_eq_f64_e64 s1, 0, v[54:55]
	v_cmp_class_f64_e64 s38, v[54:55], 0x204
	v_cmp_eq_f64_e64 s2, 0x7ff00000, v[52:53]
	s_delay_alu instid0(VALU_DEP_4) | instskip(SKIP_1) | instid1(VALU_DEP_1)
	v_max_num_f64_e32 v[10:11], v[4:5], v[2:3]
	v_min_num_f64_e32 v[2:3], v[4:5], v[2:3]
	v_div_scale_f64 v[4:5], null, v[10:11], v[10:11], v[2:3]
	v_div_scale_f64 v[44:45], vcc_lo, v[2:3], v[10:11], v[2:3]
	s_delay_alu instid0(VALU_DEP_2) | instskip(SKIP_1) | instid1(TRANS32_DEP_1)
	v_rcp_f64_e32 v[40:41], v[4:5]
	v_nop
	v_fma_f64 v[42:43], -v[4:5], v[40:41], 1.0
	s_delay_alu instid0(VALU_DEP_1) | instskip(NEXT) | instid1(VALU_DEP_1)
	v_fmac_f64_e32 v[40:41], v[40:41], v[42:43]
	v_fma_f64 v[42:43], -v[4:5], v[40:41], 1.0
	s_delay_alu instid0(VALU_DEP_1) | instskip(NEXT) | instid1(VALU_DEP_1)
	v_fmac_f64_e32 v[40:41], v[40:41], v[42:43]
	v_mul_f64_e32 v[42:43], v[44:45], v[40:41]
	s_delay_alu instid0(VALU_DEP_1) | instskip(NEXT) | instid1(VALU_DEP_1)
	v_fma_f64 v[4:5], -v[4:5], v[42:43], v[44:45]
	v_div_fmas_f64 v[4:5], v[4:5], v[40:41], v[42:43]
	v_cmp_lt_f64_e64 vcc_lo, v[52:53], |v[54:55]|
	s_delay_alu instid0(VALU_DEP_2) | instskip(NEXT) | instid1(VALU_DEP_1)
	v_div_fixup_f64 v[2:3], v[4:5], v[10:11], v[2:3]
	v_mul_f64_e32 v[4:5], v[2:3], v[2:3]
	s_delay_alu instid0(VALU_DEP_1) | instskip(NEXT) | instid1(VALU_DEP_1)
	v_fmamk_f64 v[10:11], v[4:5], 0x3eeba404b5e68a13, v[36:37]
	v_fmaak_f64 v[10:11], v[4:5], v[10:11], 0x3f4b2bb069efb384
	s_delay_alu instid0(VALU_DEP_1) | instskip(NEXT) | instid1(VALU_DEP_1)
	v_fmaak_f64 v[10:11], v[4:5], v[10:11], 0xbf67952daf56de9b
	v_fmaak_f64 v[10:11], v[4:5], v[10:11], 0x3f7d6d43a595c56f
	s_delay_alu instid0(VALU_DEP_1) | instskip(NEXT) | instid1(VALU_DEP_1)
	v_fmaak_f64 v[10:11], v[4:5], v[10:11], 0xbf8c6ea4a57d9582
	;; [unrolled: 3-line block ×9, first 2 shown]
	v_dual_mul_f64 v[4:5], v[4:5], v[10:11] :: v_dual_ashrrev_i32 v10, 31, v53
	s_delay_alu instid0(VALU_DEP_1) | instskip(NEXT) | instid1(VALU_DEP_2)
	v_and_b32_e32 v40, 0x54442d18, v10
	v_fmac_f64_e32 v[2:3], v[2:3], v[4:5]
	s_delay_alu instid0(VALU_DEP_1) | instskip(NEXT) | instid1(VALU_DEP_1)
	v_add_f64_e64 v[4:5], -v[2:3], s[20:21]
	v_dual_cndmask_b32 v3, v3, v5 :: v_dual_cndmask_b32 v2, v2, v4
	v_cmp_gt_i32_e32 vcc_lo, 0, v53
                                        ; implicit-def: $vgpr52_vgpr53
	s_delay_alu instid0(VALU_DEP_2) | instskip(SKIP_1) | instid1(VALU_DEP_2)
	v_add_f64_e64 v[4:5], -v[2:3], s[22:23]
	v_cndmask_b32_e32 v11, 0x54442d18, v57, vcc_lo
	v_dual_cndmask_b32 v3, v3, v5 :: v_dual_cndmask_b32 v2, v2, v4
	v_and_b32_e32 v4, 0x400921fb, v10
	v_cndmask_b32_e32 v5, 0x3fe921fb, v58, vcc_lo
	s_and_b32 vcc_lo, s2, s38
	s_delay_alu instid0(VALU_DEP_2) | instskip(NEXT) | instid1(VALU_DEP_1)
	v_cndmask_b32_e64 v3, v3, v4, s1
	v_dual_cndmask_b32 v2, v2, v40, s1 :: v_dual_cndmask_b32 v3, v3, v5, vcc_lo
	s_delay_alu instid0(VALU_DEP_1) | instskip(SKIP_1) | instid1(VALU_DEP_2)
	v_cndmask_b32_e32 v2, v2, v11, vcc_lo
	v_cmp_o_f64_e32 vcc_lo, v[54:55], v[54:55]
	v_cndmask_b32_e32 v10, 0, v2, vcc_lo
	s_delay_alu instid0(VALU_DEP_4) | instskip(NEXT) | instid1(VALU_DEP_1)
	v_cndmask_b32_e32 v2, 0x7ff80000, v3, vcc_lo
	v_bfi_b32 v11, 0x7fffffff, v2, v55
                                        ; implicit-def: $vgpr54_vgpr55
.LBB48_807:                             ;   in Loop: Header=BB48_434 Depth=1
	s_and_not1_saveexec_b32 s37, s37
	s_cbranch_execz .LBB48_809
; %bb.808:                              ;   in Loop: Header=BB48_434 Depth=1
	s_delay_alu instid0(VALU_DEP_2) | instskip(NEXT) | instid1(VALU_DEP_3)
	v_max_num_f64_e64 v[2:3], |v[54:55]|, |v[54:55]|
	v_max_num_f64_e32 v[4:5], v[52:53], v[52:53]
	v_cmp_eq_f64_e64 s1, 0, v[54:55]
	v_cmp_class_f64_e64 s38, v[54:55], 0x204
	v_cmp_eq_f64_e64 s2, 0x7ff00000, v[52:53]
	s_delay_alu instid0(VALU_DEP_4) | instskip(SKIP_1) | instid1(VALU_DEP_1)
	v_max_num_f64_e32 v[10:11], v[4:5], v[2:3]
	v_min_num_f64_e32 v[2:3], v[4:5], v[2:3]
	v_div_scale_f64 v[4:5], null, v[10:11], v[10:11], v[2:3]
	v_div_scale_f64 v[44:45], vcc_lo, v[2:3], v[10:11], v[2:3]
	s_delay_alu instid0(VALU_DEP_2) | instskip(SKIP_1) | instid1(TRANS32_DEP_1)
	v_rcp_f64_e32 v[40:41], v[4:5]
	v_nop
	v_fma_f64 v[42:43], -v[4:5], v[40:41], 1.0
	s_delay_alu instid0(VALU_DEP_1) | instskip(NEXT) | instid1(VALU_DEP_1)
	v_fmac_f64_e32 v[40:41], v[40:41], v[42:43]
	v_fma_f64 v[42:43], -v[4:5], v[40:41], 1.0
	s_delay_alu instid0(VALU_DEP_1) | instskip(NEXT) | instid1(VALU_DEP_1)
	v_fmac_f64_e32 v[40:41], v[40:41], v[42:43]
	v_mul_f64_e32 v[42:43], v[44:45], v[40:41]
	s_delay_alu instid0(VALU_DEP_1) | instskip(NEXT) | instid1(VALU_DEP_1)
	v_fma_f64 v[4:5], -v[4:5], v[42:43], v[44:45]
	v_div_fmas_f64 v[4:5], v[4:5], v[40:41], v[42:43]
	v_cmp_lt_f64_e64 vcc_lo, v[52:53], |v[54:55]|
	s_delay_alu instid0(VALU_DEP_2) | instskip(NEXT) | instid1(VALU_DEP_1)
	v_div_fixup_f64 v[2:3], v[4:5], v[10:11], v[2:3]
	v_mul_f64_e32 v[4:5], v[2:3], v[2:3]
	s_delay_alu instid0(VALU_DEP_1) | instskip(NEXT) | instid1(VALU_DEP_1)
	v_fmamk_f64 v[10:11], v[4:5], 0x3eeba404b5e68a13, v[36:37]
	v_fmaak_f64 v[10:11], v[4:5], v[10:11], 0x3f4b2bb069efb384
	s_delay_alu instid0(VALU_DEP_1) | instskip(NEXT) | instid1(VALU_DEP_1)
	v_fmaak_f64 v[10:11], v[4:5], v[10:11], 0xbf67952daf56de9b
	v_fmaak_f64 v[10:11], v[4:5], v[10:11], 0x3f7d6d43a595c56f
	s_delay_alu instid0(VALU_DEP_1) | instskip(NEXT) | instid1(VALU_DEP_1)
	v_fmaak_f64 v[10:11], v[4:5], v[10:11], 0xbf8c6ea4a57d9582
	;; [unrolled: 3-line block ×9, first 2 shown]
	v_mul_f64_e32 v[4:5], v[4:5], v[10:11]
	v_xor_b32_e32 v10, 0x80000000, v53
	s_delay_alu instid0(VALU_DEP_1) | instskip(NEXT) | instid1(VALU_DEP_1)
	v_ashrrev_i32_e32 v11, 31, v10
	v_and_b32_e32 v40, 0x54442d18, v11
	s_delay_alu instid0(VALU_DEP_4) | instskip(NEXT) | instid1(VALU_DEP_1)
	v_fmac_f64_e32 v[2:3], v[2:3], v[4:5]
	v_add_f64_e64 v[4:5], -v[2:3], s[20:21]
	s_delay_alu instid0(VALU_DEP_1) | instskip(SKIP_1) | instid1(VALU_DEP_2)
	v_dual_cndmask_b32 v3, v3, v5 :: v_dual_cndmask_b32 v2, v2, v4
	v_cmp_gt_i32_e32 vcc_lo, 0, v10
	v_add_f64_e64 v[4:5], -v[2:3], s[22:23]
	v_cndmask_b32_e32 v10, 0x54442d18, v57, vcc_lo
	s_delay_alu instid0(VALU_DEP_2) | instskip(SKIP_3) | instid1(VALU_DEP_2)
	v_dual_cndmask_b32 v3, v3, v5 :: v_dual_cndmask_b32 v2, v2, v4
	v_and_b32_e32 v4, 0x400921fb, v11
	v_cndmask_b32_e32 v5, 0x3fe921fb, v58, vcc_lo
	s_and_b32 vcc_lo, s2, s38
	v_cndmask_b32_e64 v3, v3, v4, s1
	v_cndmask_b32_e64 v2, v2, v40, s1
	s_delay_alu instid0(VALU_DEP_1) | instskip(SKIP_1) | instid1(VALU_DEP_2)
	v_dual_cndmask_b32 v2, v2, v10 :: v_dual_cndmask_b32 v3, v3, v5
	v_cmp_o_f64_e32 vcc_lo, v[54:55], v[54:55]
	v_cndmask_b32_e32 v10, 0, v2, vcc_lo
	s_delay_alu instid0(VALU_DEP_3) | instskip(NEXT) | instid1(VALU_DEP_1)
	v_cndmask_b32_e32 v2, 0x7ff80000, v3, vcc_lo
	v_bfi_b32 v11, 0x7fffffff, v2, v55
.LBB48_809:                             ;   in Loop: Header=BB48_434 Depth=1
	s_or_b32 exec_lo, exec_lo, s37
.LBB48_810:                             ;   in Loop: Header=BB48_434 Depth=1
	s_delay_alu instid0(SALU_CYCLE_1) | instskip(SKIP_1) | instid1(VALU_DEP_1)
	s_or_b32 exec_lo, exec_lo, s36
	v_xor_b32_e32 v2, 0x80000000, v13
	v_cndmask_b32_e64 v13, v2, v13, s0
                                        ; implicit-def: $vgpr2_vgpr3
.LBB48_811:                             ;   in Loop: Header=BB48_434 Depth=1
	s_and_not1_saveexec_b32 s1, s35
	s_cbranch_execz .LBB48_813
; %bb.812:                              ;   in Loop: Header=BB48_434 Depth=1
	flat_load_b64 v[4:5], v[26:27] scope:SCOPE_SYS
	s_wait_loadcnt_dscnt 0x0
	v_add_f64_e64 v[2:3], v[4:5], -v[2:3]
	s_delay_alu instid0(VALU_DEP_1)
	v_add_f64_e32 v[10:11], 0x3ff921fb54442d18, v[2:3]
.LBB48_813:                             ;   in Loop: Header=BB48_434 Depth=1
	s_or_b32 exec_lo, exec_lo, s1
.LBB48_814:                             ;   in Loop: Header=BB48_434 Depth=1
	s_and_not1_saveexec_b32 s1, s34
	s_cbranch_execz .LBB48_816
; %bb.815:                              ;   in Loop: Header=BB48_434 Depth=1
	s_wait_dscnt 0x0
	v_mov_b64_e32 v[10:11], 0
.LBB48_816:                             ;   in Loop: Header=BB48_434 Depth=1
	s_or_b32 exec_lo, exec_lo, s1
                                        ; implicit-def: $vgpr2_vgpr3
                                        ; implicit-def: $vgpr42_vgpr43
                                        ; implicit-def: $vgpr44_vgpr45
                                        ; implicit-def: $vgpr40_vgpr41
.LBB48_817:                             ;   in Loop: Header=BB48_434 Depth=1
	s_and_not1_saveexec_b32 s33, s33
	s_cbranch_execz .LBB48_827
; %bb.818:                              ;   in Loop: Header=BB48_434 Depth=1
	v_cmp_lt_f64_e64 s1, |v[2:3]|, |v[4:5]|
	v_and_b32_e32 v48, 0x7fffffff, v3
	v_and_b32_e32 v49, 0x7fffffff, v5
                                        ; implicit-def: $sgpr34
                                        ; implicit-def: $vgpr12_vgpr13
                                        ; implicit-def: $vgpr10_vgpr11
	s_mov_b32 s2, exec_lo
	s_delay_alu instid0(VALU_DEP_1) | instskip(NEXT) | instid1(VALU_DEP_1)
	v_dual_cndmask_b32 v47, v48, v49, s1 :: v_dual_cndmask_b32 v46, v2, v4, s1
	v_cmpx_nlt_f64_e32 s[24:25], v[46:47]
	s_xor_b32 s35, exec_lo, s2
	s_cbranch_execz .LBB48_824
; %bb.819:                              ;   in Loop: Header=BB48_434 Depth=1
	v_dual_cndmask_b32 v49, v49, v48, s1 :: v_dual_cndmask_b32 v48, v4, v2, s1
	v_cmp_nlt_f64_e32 vcc_lo, 0x20200000, v[46:47]
                                        ; implicit-def: $sgpr34
                                        ; implicit-def: $vgpr12_vgpr13
                                        ; implicit-def: $vgpr10_vgpr11
	s_delay_alu instid0(VALU_DEP_2) | instskip(SKIP_1) | instid1(SALU_CYCLE_1)
	v_cmp_ngt_f64_e64 s2, 0x20000000, v[48:49]
	s_and_b32 s2, vcc_lo, s2
	s_and_saveexec_b32 s36, s2
	s_delay_alu instid0(SALU_CYCLE_1)
	s_xor_b32 s2, exec_lo, s36
	s_cbranch_execz .LBB48_821
; %bb.820:                              ;   in Loop: Header=BB48_434 Depth=1
	v_mul_f64_e32 v[12:13], v[48:49], v[48:49]
	v_min_num_f64_e32 v[42:43], v[42:43], v[44:45]
	v_cmp_class_f64_e64 s34, v[4:5], 0x204
	v_cmp_class_f64_e64 s36, v[2:3], 0x204
	s_delay_alu instid0(VALU_DEP_4) | instskip(SKIP_2) | instid1(VALU_DEP_1)
	v_fmac_f64_e32 v[12:13], v[46:47], v[46:47]
	s_and_b32 s34, s36, s34
	s_wait_dscnt 0x0
	v_frexp_mant_f64_e32 v[10:11], v[12:13]
	s_delay_alu instid0(VALU_DEP_1) | instskip(SKIP_1) | instid1(VALU_DEP_1)
	v_cmp_gt_f64_e32 vcc_lo, s[6:7], v[10:11]
	v_cndmask_b32_e64 v46, 0, 1, vcc_lo
	v_ldexp_f64 v[10:11], v[10:11], v46
	s_delay_alu instid0(VALU_DEP_1) | instskip(SKIP_1) | instid1(VALU_DEP_2)
	v_add_f64_e32 v[46:47], 1.0, v[10:11]
	v_add_f64_e32 v[52:53], -1.0, v[10:11]
	v_rcp_f64_e32 v[48:49], v[46:47]
	v_add_f64_e32 v[54:55], -1.0, v[46:47]
	s_delay_alu instid0(VALU_DEP_1) | instskip(NEXT) | instid1(TRANS32_DEP_1)
	v_add_f64_e64 v[10:11], v[10:11], -v[54:55]
	v_fma_f64 v[50:51], -v[46:47], v[48:49], 1.0
	s_delay_alu instid0(VALU_DEP_1) | instskip(NEXT) | instid1(VALU_DEP_1)
	v_fmac_f64_e32 v[48:49], v[50:51], v[48:49]
	v_fma_f64 v[50:51], -v[46:47], v[48:49], 1.0
	s_delay_alu instid0(VALU_DEP_1) | instskip(NEXT) | instid1(VALU_DEP_1)
	v_fmac_f64_e32 v[48:49], v[50:51], v[48:49]
	v_mul_f64_e32 v[50:51], v[52:53], v[48:49]
	s_delay_alu instid0(VALU_DEP_1) | instskip(NEXT) | instid1(VALU_DEP_1)
	v_mul_f64_e32 v[60:61], v[46:47], v[50:51]
	v_fma_f64 v[46:47], v[50:51], v[46:47], -v[60:61]
	s_delay_alu instid0(VALU_DEP_1) | instskip(NEXT) | instid1(VALU_DEP_1)
	v_fmac_f64_e32 v[46:47], v[50:51], v[10:11]
	v_add_f64_e32 v[10:11], v[60:61], v[46:47]
	s_delay_alu instid0(VALU_DEP_1) | instskip(SKIP_1) | instid1(VALU_DEP_2)
	v_add_f64_e64 v[54:55], v[52:53], -v[10:11]
	v_add_f64_e64 v[60:61], v[10:11], -v[60:61]
	;; [unrolled: 1-line block ×3, first 2 shown]
	s_delay_alu instid0(VALU_DEP_2) | instskip(NEXT) | instid1(VALU_DEP_2)
	v_add_f64_e64 v[46:47], v[60:61], -v[46:47]
	v_add_f64_e64 v[10:11], v[52:53], -v[10:11]
	s_delay_alu instid0(VALU_DEP_1) | instskip(NEXT) | instid1(VALU_DEP_1)
	v_add_f64_e32 v[10:11], v[46:47], v[10:11]
	v_add_f64_e32 v[10:11], v[54:55], v[10:11]
	s_delay_alu instid0(VALU_DEP_1) | instskip(NEXT) | instid1(VALU_DEP_1)
	v_mul_f64_e32 v[10:11], v[48:49], v[10:11]
	v_add_f64_e32 v[46:47], v[50:51], v[10:11]
	s_delay_alu instid0(VALU_DEP_1) | instskip(SKIP_1) | instid1(VALU_DEP_2)
	v_mul_f64_e32 v[48:49], v[46:47], v[46:47]
	v_ldexp_f64 v[44:45], v[46:47], 1
	v_fmamk_f64 v[52:53], v[48:49], 0x3fc3ab76bf559e2b, v[28:29]
	v_mul_f64_e32 v[54:55], v[46:47], v[48:49]
	v_add_f64_e64 v[46:47], v[46:47], -v[50:51]
	s_delay_alu instid0(VALU_DEP_3) | instskip(NEXT) | instid1(VALU_DEP_1)
	v_fmaak_f64 v[52:53], v[48:49], v[52:53], 0x3fc7474dd7f4df2e
	v_fmaak_f64 v[52:53], v[48:49], v[52:53], 0x3fcc71c016291751
	s_delay_alu instid0(VALU_DEP_1) | instskip(NEXT) | instid1(VALU_DEP_1)
	v_fmaak_f64 v[52:53], v[48:49], v[52:53], 0x3fd249249b27acf1
	v_fmaak_f64 v[52:53], v[48:49], v[52:53], 0x3fd99999998ef7b6
	v_add_f64_e64 v[10:11], v[10:11], -v[46:47]
	s_delay_alu instid0(VALU_DEP_2) | instskip(SKIP_1) | instid1(VALU_DEP_2)
	v_fmaak_f64 v[48:49], v[48:49], v[52:53], 0x3fe5555555555780
	v_frexp_exp_i32_f64_e32 v52, v[12:13]
	v_mul_f64_e32 v[48:49], v[54:55], v[48:49]
	s_delay_alu instid0(VALU_DEP_4) | instskip(NEXT) | instid1(VALU_DEP_3)
	v_ldexp_f64 v[10:11], v[10:11], 1
	v_subrev_co_ci_u32_e64 v54, null, 0, v52, vcc_lo
	v_div_scale_f64 v[52:53], null, v[40:41], v[40:41], v[42:43]
	v_div_scale_f64 v[66:67], vcc_lo, v[42:43], v[40:41], v[42:43]
	s_delay_alu instid0(VALU_DEP_3) | instskip(SKIP_1) | instid1(VALU_DEP_4)
	v_cvt_f64_i32_e32 v[54:55], v54
	v_add_f64_e32 v[50:51], v[44:45], v[48:49]
	v_rcp_f64_e32 v[60:61], v[52:53]
	s_delay_alu instid0(VALU_DEP_2) | instskip(NEXT) | instid1(VALU_DEP_2)
	v_mul_f64_e32 v[62:63], 0x3fe62e42fefa39ef, v[54:55]
	v_add_f64_e64 v[44:45], v[50:51], -v[44:45]
	s_delay_alu instid0(VALU_DEP_2) | instskip(NEXT) | instid1(VALU_DEP_2)
	v_fma_f64 v[46:47], v[54:55], s[8:9], -v[62:63]
	v_add_f64_e64 v[44:45], v[48:49], -v[44:45]
	s_delay_alu instid0(TRANS32_DEP_1) | instskip(NEXT) | instid1(VALU_DEP_3)
	v_fma_f64 v[48:49], -v[52:53], v[60:61], 1.0
	v_fmac_f64_e32 v[46:47], 0x3c7abc9e3b39803f, v[54:55]
	s_delay_alu instid0(VALU_DEP_3) | instskip(NEXT) | instid1(VALU_DEP_3)
	v_add_f64_e32 v[10:11], v[10:11], v[44:45]
	v_fmac_f64_e32 v[60:61], v[60:61], v[48:49]
	s_delay_alu instid0(VALU_DEP_3) | instskip(NEXT) | instid1(VALU_DEP_3)
	v_add_f64_e32 v[44:45], v[62:63], v[46:47]
	v_add_f64_e32 v[48:49], v[50:51], v[10:11]
	s_delay_alu instid0(VALU_DEP_3) | instskip(NEXT) | instid1(VALU_DEP_3)
	v_fma_f64 v[54:55], -v[52:53], v[60:61], 1.0
	v_add_f64_e64 v[62:63], v[44:45], -v[62:63]
	s_delay_alu instid0(VALU_DEP_3) | instskip(NEXT) | instid1(VALU_DEP_3)
	v_add_f64_e32 v[64:65], v[44:45], v[48:49]
	v_fmac_f64_e32 v[60:61], v[60:61], v[54:55]
	v_add_f64_e64 v[50:51], v[48:49], -v[50:51]
	s_delay_alu instid0(VALU_DEP_4) | instskip(NEXT) | instid1(VALU_DEP_4)
	v_add_f64_e64 v[46:47], v[46:47], -v[62:63]
	v_add_f64_e64 v[54:55], v[64:65], -v[44:45]
	s_delay_alu instid0(VALU_DEP_4) | instskip(NEXT) | instid1(VALU_DEP_4)
	v_mul_f64_e32 v[68:69], v[66:67], v[60:61]
	v_add_f64_e64 v[50:51], v[10:11], -v[50:51]
	s_delay_alu instid0(VALU_DEP_3) | instskip(NEXT) | instid1(VALU_DEP_3)
	v_add_f64_e64 v[70:71], v[64:65], -v[54:55]
	v_fma_f64 v[52:53], -v[52:53], v[68:69], v[66:67]
	v_add_f64_e64 v[10:11], v[48:49], -v[54:55]
	s_delay_alu instid0(VALU_DEP_3) | instskip(NEXT) | instid1(VALU_DEP_3)
	v_add_f64_e64 v[44:45], v[44:45], -v[70:71]
	v_div_fmas_f64 v[48:49], v[52:53], v[60:61], v[68:69]
	v_add_f64_e32 v[52:53], v[46:47], v[50:51]
	v_cmp_class_f64_e64 vcc_lo, v[12:13], 0x204
	s_delay_alu instid0(VALU_DEP_4) | instskip(NEXT) | instid1(VALU_DEP_4)
	v_add_f64_e32 v[44:45], v[10:11], v[44:45]
	v_div_fixup_f64 v[10:11], v[48:49], v[40:41], v[42:43]
	s_delay_alu instid0(VALU_DEP_4) | instskip(NEXT) | instid1(VALU_DEP_3)
	v_add_f64_e64 v[40:41], v[52:53], -v[46:47]
	v_add_f64_e32 v[42:43], v[52:53], v[44:45]
	s_delay_alu instid0(VALU_DEP_3) | instskip(NEXT) | instid1(VALU_DEP_3)
	v_mul_f64_e32 v[44:45], v[10:11], v[10:11]
	v_add_f64_e64 v[48:49], v[52:53], -v[40:41]
	v_add_f64_e64 v[40:41], v[50:51], -v[40:41]
	s_delay_alu instid0(VALU_DEP_4) | instskip(NEXT) | instid1(VALU_DEP_4)
	v_add_f64_e32 v[52:53], v[64:65], v[42:43]
	v_fmamk_f64 v[54:55], v[44:45], 0x3eeba404b5e68a13, v[36:37]
	s_delay_alu instid0(VALU_DEP_4) | instskip(NEXT) | instid1(VALU_DEP_2)
	v_add_f64_e64 v[46:47], v[46:47], -v[48:49]
	v_fmaak_f64 v[54:55], v[44:45], v[54:55], 0x3f4b2bb069efb384
	s_delay_alu instid0(VALU_DEP_1) | instskip(NEXT) | instid1(VALU_DEP_1)
	v_fmaak_f64 v[54:55], v[44:45], v[54:55], 0xbf67952daf56de9b
	v_fmaak_f64 v[54:55], v[44:45], v[54:55], 0x3f7d6d43a595c56f
	s_delay_alu instid0(VALU_DEP_1) | instskip(SKIP_2) | instid1(VALU_DEP_3)
	v_fmaak_f64 v[50:51], v[44:45], v[54:55], 0xbf8c6ea4a57d9582
	v_add_f64_e64 v[48:49], v[52:53], -v[64:65]
	v_add_f64_e32 v[40:41], v[40:41], v[46:47]
	v_fmaak_f64 v[50:51], v[44:45], v[50:51], 0x3f967e295f08b19f
	s_delay_alu instid0(VALU_DEP_1) | instskip(NEXT) | instid1(VALU_DEP_1)
	v_fmaak_f64 v[50:51], v[44:45], v[50:51], 0xbf9e9ae6fc27006a
	v_fmaak_f64 v[50:51], v[44:45], v[50:51], 0x3fa2c15b5711927a
	s_delay_alu instid0(VALU_DEP_1) | instskip(NEXT) | instid1(VALU_DEP_1)
	v_fmaak_f64 v[50:51], v[44:45], v[50:51], 0xbfa59976e82d3ff0
	v_fmaak_f64 v[46:47], v[44:45], v[50:51], 0x3fa82d5d6ef28734
	v_add_f64_e64 v[42:43], v[42:43], -v[48:49]
	s_delay_alu instid0(VALU_DEP_2) | instskip(NEXT) | instid1(VALU_DEP_1)
	v_fmaak_f64 v[46:47], v[44:45], v[46:47], 0xbfaae5ce6a214619
	v_fmaak_f64 v[46:47], v[44:45], v[46:47], 0x3fae1bb48427b883
	s_delay_alu instid0(VALU_DEP_1) | instskip(NEXT) | instid1(VALU_DEP_4)
	v_fmaak_f64 v[46:47], v[44:45], v[46:47], 0xbfb110e48b207f05
	v_add_f64_e32 v[40:41], v[40:41], v[42:43]
	s_delay_alu instid0(VALU_DEP_2) | instskip(NEXT) | instid1(VALU_DEP_1)
	v_fmaak_f64 v[42:43], v[44:45], v[46:47], 0x3fb3b13657b87036
	v_fmaak_f64 v[42:43], v[44:45], v[42:43], 0xbfb745d119378e4f
	s_delay_alu instid0(VALU_DEP_1) | instskip(NEXT) | instid1(VALU_DEP_1)
	v_fmaak_f64 v[42:43], v[44:45], v[42:43], 0x3fbc71c717e1913c
	v_fmaak_f64 v[42:43], v[44:45], v[42:43], 0xbfc2492492376b7d
	s_delay_alu instid0(VALU_DEP_1) | instskip(SKIP_1) | instid1(VALU_DEP_2)
	v_fmaak_f64 v[42:43], v[44:45], v[42:43], 0x3fc99999999952cc
	v_add_f64_e32 v[40:41], v[52:53], v[40:41]
	v_fmaak_f64 v[42:43], v[44:45], v[42:43], 0xbfd5555555555523
	s_delay_alu instid0(VALU_DEP_1) | instskip(NEXT) | instid1(VALU_DEP_3)
	v_mul_f64_e32 v[42:43], v[44:45], v[42:43]
                                        ; implicit-def: $vgpr44_vgpr45
	v_dual_cndmask_b32 v41, v41, v13 :: v_dual_cndmask_b32 v40, v40, v12
	v_cmp_neq_f64_e32 vcc_lo, 0, v[12:13]
	s_delay_alu instid0(VALU_DEP_2) | instskip(NEXT) | instid1(VALU_DEP_4)
	v_mul_f64_e32 v[40:41], 0.5, v[40:41]
	v_fmac_f64_e32 v[10:11], v[10:11], v[42:43]
                                        ; implicit-def: $vgpr42_vgpr43
	s_delay_alu instid0(VALU_DEP_2) | instskip(NEXT) | instid1(VALU_DEP_3)
	v_cndmask_b32_e32 v13, 0xfff00000, v41, vcc_lo
	v_cndmask_b32_e32 v12, 0, v40, vcc_lo
                                        ; implicit-def: $vgpr40_vgpr41
.LBB48_821:                             ;   in Loop: Header=BB48_434 Depth=1
	s_and_not1_saveexec_b32 s2, s2
	s_cbranch_execz .LBB48_823
; %bb.822:                              ;   in Loop: Header=BB48_434 Depth=1
	v_frexp_exp_i32_f64_e32 v50, v[40:41]
	v_cmp_class_f64_e64 s36, v[2:3], 0x204
	v_cmp_class_f64_e64 s37, v[4:5], 0x204
	v_min_num_f64_e32 v[42:43], v[42:43], v[44:45]
	s_and_not1_b32 s34, s34, exec_lo
	v_sub_nc_u32_e32 v12, 0, v50
	s_or_b32 s38, s36, s37
	s_and_b32 s36, s36, s37
	s_delay_alu instid0(SALU_CYCLE_1) | instskip(SKIP_4) | instid1(VALU_DEP_2)
	s_and_b32 s36, s36, exec_lo
	s_wait_dscnt 0x0
	v_ldexp_f64 v[10:11], |v[4:5]|, v12
	v_ldexp_f64 v[12:13], |v[2:3]|, v12
	s_or_b32 s34, s34, s36
	v_mul_f64_e32 v[10:11], v[10:11], v[10:11]
	s_delay_alu instid0(VALU_DEP_1) | instskip(NEXT) | instid1(VALU_DEP_1)
	v_fmac_f64_e32 v[10:11], v[12:13], v[12:13]
	v_rsq_f64_e32 v[12:13], v[10:11]
	v_cmp_eq_f64_e32 vcc_lo, 0, v[10:11]
	s_delay_alu instid0(TRANS32_DEP_1) | instskip(SKIP_1) | instid1(VALU_DEP_1)
	v_mul_f64_e32 v[46:47], v[10:11], v[12:13]
	v_mul_f64_e32 v[12:13], 0.5, v[12:13]
	v_fma_f64 v[48:49], -v[12:13], v[46:47], 0.5
	s_delay_alu instid0(VALU_DEP_1) | instskip(SKIP_1) | instid1(VALU_DEP_2)
	v_fmac_f64_e32 v[46:47], v[46:47], v[48:49]
	v_fmac_f64_e32 v[12:13], v[12:13], v[48:49]
	v_fma_f64 v[48:49], -v[46:47], v[46:47], v[10:11]
	s_delay_alu instid0(VALU_DEP_1) | instskip(NEXT) | instid1(VALU_DEP_1)
	v_fmac_f64_e32 v[46:47], v[48:49], v[12:13]
	v_dual_cndmask_b32 v11, v47, v11 :: v_dual_cndmask_b32 v10, v46, v10
	s_delay_alu instid0(VALU_DEP_1) | instskip(NEXT) | instid1(VALU_DEP_1)
	v_ldexp_f64 v[10:11], v[10:11], v50
	v_cndmask_b32_e64 v47, v11, 0x7ff00000, s38
	s_delay_alu instid0(VALU_DEP_2) | instskip(NEXT) | instid1(VALU_DEP_1)
	v_cndmask_b32_e64 v46, v10, 0, s38
	v_frexp_mant_f64_e32 v[10:11], v[46:47]
	v_frexp_exp_i32_f64_e32 v59, v[46:47]
	s_delay_alu instid0(VALU_DEP_2) | instskip(SKIP_1) | instid1(VALU_DEP_1)
	v_cmp_gt_f64_e32 vcc_lo, s[6:7], v[10:11]
	v_cndmask_b32_e64 v12, 0, 1, vcc_lo
	v_ldexp_f64 v[10:11], v[10:11], v12
	s_delay_alu instid0(VALU_DEP_1) | instskip(SKIP_1) | instid1(VALU_DEP_2)
	v_add_f64_e32 v[12:13], 1.0, v[10:11]
	v_add_f64_e32 v[52:53], -1.0, v[10:11]
	v_rcp_f64_e32 v[48:49], v[12:13]
	v_add_f64_e32 v[54:55], -1.0, v[12:13]
	s_delay_alu instid0(VALU_DEP_1) | instskip(NEXT) | instid1(TRANS32_DEP_1)
	v_add_f64_e64 v[10:11], v[10:11], -v[54:55]
	v_fma_f64 v[50:51], -v[12:13], v[48:49], 1.0
	s_delay_alu instid0(VALU_DEP_1) | instskip(NEXT) | instid1(VALU_DEP_1)
	v_fmac_f64_e32 v[48:49], v[50:51], v[48:49]
	v_fma_f64 v[50:51], -v[12:13], v[48:49], 1.0
	s_delay_alu instid0(VALU_DEP_1) | instskip(NEXT) | instid1(VALU_DEP_1)
	v_fmac_f64_e32 v[48:49], v[50:51], v[48:49]
	v_mul_f64_e32 v[50:51], v[52:53], v[48:49]
	s_delay_alu instid0(VALU_DEP_1) | instskip(NEXT) | instid1(VALU_DEP_1)
	v_mul_f64_e32 v[60:61], v[12:13], v[50:51]
	v_fma_f64 v[12:13], v[50:51], v[12:13], -v[60:61]
	s_delay_alu instid0(VALU_DEP_1) | instskip(NEXT) | instid1(VALU_DEP_1)
	v_fmac_f64_e32 v[12:13], v[50:51], v[10:11]
	v_add_f64_e32 v[10:11], v[60:61], v[12:13]
	s_delay_alu instid0(VALU_DEP_1) | instskip(SKIP_1) | instid1(VALU_DEP_2)
	v_add_f64_e64 v[54:55], v[52:53], -v[10:11]
	v_add_f64_e64 v[60:61], v[10:11], -v[60:61]
	;; [unrolled: 1-line block ×3, first 2 shown]
	s_delay_alu instid0(VALU_DEP_2) | instskip(NEXT) | instid1(VALU_DEP_2)
	v_add_f64_e64 v[12:13], v[60:61], -v[12:13]
	v_add_f64_e64 v[10:11], v[52:53], -v[10:11]
	s_delay_alu instid0(VALU_DEP_1) | instskip(NEXT) | instid1(VALU_DEP_1)
	v_add_f64_e32 v[10:11], v[12:13], v[10:11]
	v_add_f64_e32 v[10:11], v[54:55], v[10:11]
	s_delay_alu instid0(VALU_DEP_1) | instskip(NEXT) | instid1(VALU_DEP_1)
	v_mul_f64_e32 v[10:11], v[48:49], v[10:11]
	v_add_f64_e32 v[12:13], v[50:51], v[10:11]
	s_delay_alu instid0(VALU_DEP_1) | instskip(NEXT) | instid1(VALU_DEP_1)
	v_mul_f64_e32 v[48:49], v[12:13], v[12:13]
	v_fmamk_f64 v[52:53], v[48:49], 0x3fc3ab76bf559e2b, v[28:29]
	v_mul_f64_e32 v[54:55], v[12:13], v[48:49]
	s_delay_alu instid0(VALU_DEP_2) | instskip(NEXT) | instid1(VALU_DEP_1)
	v_fmaak_f64 v[52:53], v[48:49], v[52:53], 0x3fc7474dd7f4df2e
	v_fmaak_f64 v[44:45], v[48:49], v[52:53], 0x3fcc71c016291751
	v_div_scale_f64 v[52:53], null, v[40:41], v[40:41], v[42:43]
	s_delay_alu instid0(VALU_DEP_2) | instskip(NEXT) | instid1(VALU_DEP_1)
	v_fmaak_f64 v[44:45], v[48:49], v[44:45], 0x3fd249249b27acf1
	v_fmaak_f64 v[44:45], v[48:49], v[44:45], 0x3fd99999998ef7b6
	s_delay_alu instid0(VALU_DEP_1) | instskip(SKIP_2) | instid1(VALU_DEP_3)
	v_fmaak_f64 v[44:45], v[48:49], v[44:45], 0x3fe5555555555780
	v_ldexp_f64 v[48:49], v[12:13], 1
	v_add_f64_e64 v[12:13], v[12:13], -v[50:51]
	v_mul_f64_e32 v[44:45], v[54:55], v[44:45]
	v_subrev_co_ci_u32_e64 v54, null, 0, v59, vcc_lo
	v_rcp_f64_e32 v[60:61], v[52:53]
	s_delay_alu instid0(VALU_DEP_1) | instskip(NEXT) | instid1(VALU_DEP_4)
	v_cvt_f64_i32_e32 v[54:55], v54
	v_add_f64_e64 v[10:11], v[10:11], -v[12:13]
	s_delay_alu instid0(VALU_DEP_4) | instskip(NEXT) | instid1(VALU_DEP_3)
	v_add_f64_e32 v[50:51], v[48:49], v[44:45]
	v_mul_f64_e32 v[62:63], 0x3fe62e42fefa39ef, v[54:55]
	s_delay_alu instid0(VALU_DEP_3) | instskip(NEXT) | instid1(VALU_DEP_3)
	v_ldexp_f64 v[10:11], v[10:11], 1
	v_add_f64_e64 v[12:13], v[50:51], -v[48:49]
	s_delay_alu instid0(TRANS32_DEP_1) | instskip(NEXT) | instid1(VALU_DEP_4)
	v_fma_f64 v[48:49], -v[52:53], v[60:61], 1.0
	v_fma_f64 v[64:65], v[54:55], s[8:9], -v[62:63]
	s_delay_alu instid0(VALU_DEP_3) | instskip(NEXT) | instid1(VALU_DEP_3)
	v_add_f64_e64 v[12:13], v[44:45], -v[12:13]
	v_fmac_f64_e32 v[60:61], v[60:61], v[48:49]
	s_delay_alu instid0(VALU_DEP_3) | instskip(SKIP_1) | instid1(VALU_DEP_4)
	v_fmac_f64_e32 v[64:65], 0x3c7abc9e3b39803f, v[54:55]
	v_div_scale_f64 v[54:55], vcc_lo, v[42:43], v[40:41], v[42:43]
	v_add_f64_e32 v[10:11], v[10:11], v[12:13]
	s_delay_alu instid0(VALU_DEP_4) | instskip(NEXT) | instid1(VALU_DEP_4)
	v_fma_f64 v[12:13], -v[52:53], v[60:61], 1.0
	v_add_f64_e32 v[44:45], v[62:63], v[64:65]
	s_delay_alu instid0(VALU_DEP_3) | instskip(NEXT) | instid1(VALU_DEP_3)
	v_add_f64_e32 v[48:49], v[50:51], v[10:11]
	v_fmac_f64_e32 v[60:61], v[60:61], v[12:13]
	s_delay_alu instid0(VALU_DEP_2) | instskip(NEXT) | instid1(VALU_DEP_2)
	v_add_f64_e32 v[12:13], v[44:45], v[48:49]
	v_mul_f64_e32 v[66:67], v[54:55], v[60:61]
	v_add_f64_e64 v[50:51], v[48:49], -v[50:51]
	s_delay_alu instid0(VALU_DEP_3) | instskip(NEXT) | instid1(VALU_DEP_3)
	v_add_f64_e64 v[68:69], v[12:13], -v[44:45]
	v_fma_f64 v[52:53], -v[52:53], v[66:67], v[54:55]
	v_add_f64_e64 v[54:55], v[44:45], -v[62:63]
	s_delay_alu instid0(VALU_DEP_4) | instskip(NEXT) | instid1(VALU_DEP_4)
	v_add_f64_e64 v[50:51], v[10:11], -v[50:51]
	v_add_f64_e64 v[62:63], v[12:13], -v[68:69]
	s_delay_alu instid0(VALU_DEP_4) | instskip(NEXT) | instid1(VALU_DEP_4)
	v_div_fmas_f64 v[52:53], v[52:53], v[60:61], v[66:67]
	v_add_f64_e64 v[54:55], v[64:65], -v[54:55]
	v_add_f64_e64 v[48:49], v[48:49], -v[68:69]
	v_cmp_class_f64_e64 vcc_lo, v[46:47], 0x204
	v_add_f64_e64 v[44:45], v[44:45], -v[62:63]
	v_div_fixup_f64 v[10:11], v[52:53], v[40:41], v[42:43]
	v_add_f64_e32 v[40:41], v[54:55], v[50:51]
	s_delay_alu instid0(VALU_DEP_3) | instskip(NEXT) | instid1(VALU_DEP_3)
	v_add_f64_e32 v[42:43], v[48:49], v[44:45]
	v_mul_f64_e32 v[44:45], v[10:11], v[10:11]
	s_delay_alu instid0(VALU_DEP_3) | instskip(NEXT) | instid1(VALU_DEP_3)
	v_add_f64_e64 v[48:49], v[40:41], -v[54:55]
	v_add_f64_e32 v[42:43], v[40:41], v[42:43]
	s_delay_alu instid0(VALU_DEP_3) | instskip(NEXT) | instid1(VALU_DEP_3)
	v_fmamk_f64 v[52:53], v[44:45], 0x3eeba404b5e68a13, v[36:37]
	v_add_f64_e64 v[40:41], v[40:41], -v[48:49]
	v_add_f64_e64 v[48:49], v[50:51], -v[48:49]
	s_delay_alu instid0(VALU_DEP_3) | instskip(NEXT) | instid1(VALU_DEP_1)
	v_fmaak_f64 v[52:53], v[44:45], v[52:53], 0x3f4b2bb069efb384
	v_fmaak_f64 v[52:53], v[44:45], v[52:53], 0xbf67952daf56de9b
	s_delay_alu instid0(VALU_DEP_1) | instskip(NEXT) | instid1(VALU_DEP_1)
	v_fmaak_f64 v[52:53], v[44:45], v[52:53], 0x3f7d6d43a595c56f
	v_fmaak_f64 v[52:53], v[44:45], v[52:53], 0xbf8c6ea4a57d9582
	v_add_f64_e32 v[60:61], v[12:13], v[42:43]
	v_add_f64_e64 v[40:41], v[54:55], -v[40:41]
	s_delay_alu instid0(VALU_DEP_3) | instskip(NEXT) | instid1(VALU_DEP_1)
	v_fmaak_f64 v[52:53], v[44:45], v[52:53], 0x3f967e295f08b19f
	v_fmaak_f64 v[52:53], v[44:45], v[52:53], 0xbf9e9ae6fc27006a
	s_delay_alu instid0(VALU_DEP_1) | instskip(NEXT) | instid1(VALU_DEP_1)
	v_fmaak_f64 v[52:53], v[44:45], v[52:53], 0x3fa2c15b5711927a
	v_fmaak_f64 v[50:51], v[44:45], v[52:53], 0xbfa59976e82d3ff0
	s_delay_alu instid0(VALU_DEP_1) | instskip(SKIP_2) | instid1(VALU_DEP_3)
	v_fmaak_f64 v[50:51], v[44:45], v[50:51], 0x3fa82d5d6ef28734
	v_add_f64_e64 v[12:13], v[60:61], -v[12:13]
	v_add_f64_e32 v[40:41], v[48:49], v[40:41]
	v_fmaak_f64 v[50:51], v[44:45], v[50:51], 0xbfaae5ce6a214619
	s_delay_alu instid0(VALU_DEP_1) | instskip(NEXT) | instid1(VALU_DEP_1)
	v_fmaak_f64 v[50:51], v[44:45], v[50:51], 0x3fae1bb48427b883
	v_fmaak_f64 v[50:51], v[44:45], v[50:51], 0xbfb110e48b207f05
	v_add_f64_e64 v[12:13], v[42:43], -v[12:13]
	s_delay_alu instid0(VALU_DEP_2) | instskip(NEXT) | instid1(VALU_DEP_1)
	v_fmaak_f64 v[42:43], v[44:45], v[50:51], 0x3fb3b13657b87036
	v_fmaak_f64 v[42:43], v[44:45], v[42:43], 0xbfb745d119378e4f
	s_delay_alu instid0(VALU_DEP_1) | instskip(NEXT) | instid1(VALU_DEP_1)
	v_fmaak_f64 v[42:43], v[44:45], v[42:43], 0x3fbc71c717e1913c
	v_fmaak_f64 v[42:43], v[44:45], v[42:43], 0xbfc2492492376b7d
	v_add_f64_e32 v[12:13], v[40:41], v[12:13]
	s_delay_alu instid0(VALU_DEP_2) | instskip(NEXT) | instid1(VALU_DEP_1)
	v_fmaak_f64 v[40:41], v[44:45], v[42:43], 0x3fc99999999952cc
	v_fmaak_f64 v[40:41], v[44:45], v[40:41], 0xbfd5555555555523
	s_delay_alu instid0(VALU_DEP_1) | instskip(NEXT) | instid1(VALU_DEP_4)
	v_mul_f64_e32 v[40:41], v[44:45], v[40:41]
	v_add_f64_e32 v[12:13], v[60:61], v[12:13]
	s_delay_alu instid0(VALU_DEP_2) | instskip(NEXT) | instid1(VALU_DEP_2)
	v_fmac_f64_e32 v[10:11], v[10:11], v[40:41]
	v_dual_cndmask_b32 v12, v12, v46 :: v_dual_cndmask_b32 v13, v13, v47
	v_cmp_ngt_f64_e32 vcc_lo, 0, v[46:47]
	s_delay_alu instid0(VALU_DEP_2) | instskip(SKIP_1) | instid1(VALU_DEP_4)
	v_cndmask_b32_e32 v13, 0x7ff80000, v13, vcc_lo
	v_cmp_nge_f64_e32 vcc_lo, 0, v[46:47]
	v_cndmask_b32_e32 v12, 0, v12, vcc_lo
	v_cmp_neq_f64_e32 vcc_lo, 0, v[46:47]
	s_delay_alu instid0(VALU_DEP_4)
	v_cndmask_b32_e32 v13, 0xfff00000, v13, vcc_lo
.LBB48_823:                             ;   in Loop: Header=BB48_434 Depth=1
	s_or_b32 exec_lo, exec_lo, s2
                                        ; implicit-def: $vgpr42_vgpr43
                                        ; implicit-def: $vgpr44_vgpr45
                                        ; implicit-def: $vgpr40_vgpr41
.LBB48_824:                             ;   in Loop: Header=BB48_434 Depth=1
	s_and_not1_saveexec_b32 s35, s35
	s_cbranch_execz .LBB48_826
; %bb.825:                              ;   in Loop: Header=BB48_434 Depth=1
	s_wait_dscnt 0x0
	v_div_scale_f64 v[10:11], null, s[26:27], s[26:27], v[2:3]
	v_div_scale_f64 v[12:13], null, s[26:27], s[26:27], v[4:5]
	v_div_scale_f64 v[54:55], vcc_lo, v[2:3], s[26:27], v[2:3]
	v_min_num_f64_e32 v[42:43], v[42:43], v[44:45]
	s_and_not1_b32 s34, s34, exec_lo
	s_delay_alu instid0(VALU_DEP_4) | instskip(NEXT) | instid1(VALU_DEP_3)
	v_rcp_f64_e32 v[46:47], v[10:11]
	v_rcp_f64_e32 v[48:49], v[12:13]
	s_delay_alu instid0(TRANS32_DEP_2) | instskip(NEXT) | instid1(TRANS32_DEP_1)
	v_fma_f64 v[50:51], -v[10:11], v[46:47], 1.0
	v_fma_f64 v[52:53], -v[12:13], v[48:49], 1.0
	s_delay_alu instid0(VALU_DEP_2) | instskip(NEXT) | instid1(VALU_DEP_2)
	v_fmac_f64_e32 v[46:47], v[46:47], v[50:51]
	v_fmac_f64_e32 v[48:49], v[48:49], v[52:53]
	s_delay_alu instid0(VALU_DEP_2) | instskip(NEXT) | instid1(VALU_DEP_2)
	v_fma_f64 v[50:51], -v[10:11], v[46:47], 1.0
	v_fma_f64 v[52:53], -v[12:13], v[48:49], 1.0
	s_delay_alu instid0(VALU_DEP_2) | instskip(SKIP_1) | instid1(VALU_DEP_3)
	v_fmac_f64_e32 v[46:47], v[46:47], v[50:51]
	v_div_scale_f64 v[50:51], s2, v[4:5], s[26:27], v[4:5]
	v_fmac_f64_e32 v[48:49], v[48:49], v[52:53]
	s_delay_alu instid0(VALU_DEP_3) | instskip(NEXT) | instid1(VALU_DEP_2)
	v_mul_f64_e32 v[52:53], v[54:55], v[46:47]
	v_mul_f64_e32 v[60:61], v[50:51], v[48:49]
	s_delay_alu instid0(VALU_DEP_2) | instskip(NEXT) | instid1(VALU_DEP_2)
	v_fma_f64 v[10:11], -v[10:11], v[52:53], v[54:55]
	v_fma_f64 v[12:13], -v[12:13], v[60:61], v[50:51]
	s_delay_alu instid0(VALU_DEP_2) | instskip(SKIP_1) | instid1(VALU_DEP_2)
	v_div_fmas_f64 v[10:11], v[10:11], v[46:47], v[52:53]
	s_mov_b32 vcc_lo, s2
	v_div_fmas_f64 v[12:13], v[12:13], v[48:49], v[60:61]
	s_delay_alu instid0(VALU_DEP_2) | instskip(NEXT) | instid1(VALU_DEP_2)
	v_div_fixup_f64 v[10:11], v[10:11], s[26:27], v[2:3]
	v_div_fixup_f64 v[12:13], v[12:13], s[26:27], v[4:5]
	s_delay_alu instid0(VALU_DEP_2) | instskip(NEXT) | instid1(VALU_DEP_2)
	v_cmp_class_f64_e64 s2, v[10:11], 0x204
	v_max_num_f64_e64 v[46:47], |v[10:11]|, |v[12:13]|
	v_cmp_class_f64_e64 s36, v[12:13], 0x204
	s_delay_alu instid0(VALU_DEP_2) | instskip(SKIP_2) | instid1(VALU_DEP_2)
	v_frexp_exp_i32_f64_e32 v54, v[46:47]
	s_or_b32 s2, s2, s36
	v_cmp_class_f64_e64 s36, v[2:3], 0x204
	v_sub_nc_u32_e32 v48, 0, v54
	s_delay_alu instid0(VALU_DEP_1) | instskip(SKIP_1) | instid1(VALU_DEP_2)
	v_ldexp_f64 v[46:47], |v[12:13]|, v48
	v_ldexp_f64 v[48:49], |v[10:11]|, v48
	v_mul_f64_e32 v[46:47], v[46:47], v[46:47]
	s_delay_alu instid0(VALU_DEP_1) | instskip(NEXT) | instid1(VALU_DEP_1)
	v_fmac_f64_e32 v[46:47], v[48:49], v[48:49]
	v_rsq_f64_e32 v[48:49], v[46:47]
	v_cmp_eq_f64_e32 vcc_lo, 0, v[46:47]
	s_delay_alu instid0(TRANS32_DEP_1) | instskip(SKIP_1) | instid1(VALU_DEP_1)
	v_mul_f64_e32 v[50:51], v[46:47], v[48:49]
	v_mul_f64_e32 v[48:49], 0.5, v[48:49]
	v_fma_f64 v[52:53], -v[48:49], v[50:51], 0.5
	s_delay_alu instid0(VALU_DEP_1) | instskip(SKIP_1) | instid1(VALU_DEP_2)
	v_fmac_f64_e32 v[50:51], v[50:51], v[52:53]
	v_fmac_f64_e32 v[48:49], v[48:49], v[52:53]
	v_fma_f64 v[52:53], -v[50:51], v[50:51], v[46:47]
	s_delay_alu instid0(VALU_DEP_1) | instskip(NEXT) | instid1(VALU_DEP_1)
	v_fmac_f64_e32 v[50:51], v[52:53], v[48:49]
	v_dual_cndmask_b32 v47, v51, v47 :: v_dual_cndmask_b32 v46, v50, v46
	s_delay_alu instid0(VALU_DEP_1) | instskip(NEXT) | instid1(VALU_DEP_1)
	v_ldexp_f64 v[10:11], v[46:47], v54
	v_cndmask_b32_e64 v47, v11, 0x7ff00000, s2
	s_delay_alu instid0(VALU_DEP_2) | instskip(SKIP_1) | instid1(VALU_DEP_2)
	v_cndmask_b32_e64 v46, v10, 0, s2
	v_cmp_class_f64_e64 s2, v[4:5], 0x204
	v_frexp_mant_f64_e32 v[10:11], v[46:47]
	v_frexp_exp_i32_f64_e32 v59, v[46:47]
	s_and_b32 s2, s36, s2
	s_delay_alu instid0(SALU_CYCLE_1) | instskip(NEXT) | instid1(VALU_DEP_2)
	s_and_b32 s2, s2, exec_lo
	v_cmp_gt_f64_e32 vcc_lo, s[6:7], v[10:11]
	s_or_b32 s34, s34, s2
	v_cndmask_b32_e64 v12, 0, 1, vcc_lo
	s_delay_alu instid0(VALU_DEP_3) | instskip(SKIP_1) | instid1(VALU_DEP_3)
	v_subrev_co_ci_u32_e64 v44, null, 0, v59, vcc_lo
	v_div_scale_f64 v[66:67], vcc_lo, v[42:43], v[40:41], v[42:43]
	v_ldexp_f64 v[10:11], v[10:11], v12
	s_delay_alu instid0(VALU_DEP_3) | instskip(NEXT) | instid1(VALU_DEP_2)
	v_cvt_f64_i32_e32 v[44:45], v44
	v_add_f64_e32 v[12:13], 1.0, v[10:11]
	v_add_f64_e32 v[52:53], -1.0, v[10:11]
	s_delay_alu instid0(VALU_DEP_2) | instskip(SKIP_1) | instid1(VALU_DEP_1)
	v_rcp_f64_e32 v[48:49], v[12:13]
	v_add_f64_e32 v[54:55], -1.0, v[12:13]
	v_add_f64_e64 v[10:11], v[10:11], -v[54:55]
	s_delay_alu instid0(TRANS32_DEP_1) | instskip(NEXT) | instid1(VALU_DEP_1)
	v_fma_f64 v[50:51], -v[12:13], v[48:49], 1.0
	v_fmac_f64_e32 v[48:49], v[50:51], v[48:49]
	s_delay_alu instid0(VALU_DEP_1) | instskip(NEXT) | instid1(VALU_DEP_1)
	v_fma_f64 v[50:51], -v[12:13], v[48:49], 1.0
	v_fmac_f64_e32 v[48:49], v[50:51], v[48:49]
	s_delay_alu instid0(VALU_DEP_1) | instskip(NEXT) | instid1(VALU_DEP_1)
	v_mul_f64_e32 v[50:51], v[52:53], v[48:49]
	v_mul_f64_e32 v[60:61], v[12:13], v[50:51]
	s_delay_alu instid0(VALU_DEP_1) | instskip(NEXT) | instid1(VALU_DEP_1)
	v_fma_f64 v[12:13], v[50:51], v[12:13], -v[60:61]
	v_fmac_f64_e32 v[12:13], v[50:51], v[10:11]
	s_delay_alu instid0(VALU_DEP_1) | instskip(NEXT) | instid1(VALU_DEP_1)
	v_add_f64_e32 v[10:11], v[60:61], v[12:13]
	v_add_f64_e64 v[54:55], v[52:53], -v[10:11]
	v_add_f64_e64 v[60:61], v[10:11], -v[60:61]
	s_delay_alu instid0(VALU_DEP_2) | instskip(NEXT) | instid1(VALU_DEP_2)
	v_add_f64_e64 v[52:53], v[52:53], -v[54:55]
	v_add_f64_e64 v[12:13], v[60:61], -v[12:13]
	v_mul_f64_e32 v[60:61], 0x3fe62e42fefa39ef, v[44:45]
	s_delay_alu instid0(VALU_DEP_3) | instskip(NEXT) | instid1(VALU_DEP_2)
	v_add_f64_e64 v[10:11], v[52:53], -v[10:11]
	v_fma_f64 v[62:63], v[44:45], s[8:9], -v[60:61]
	s_delay_alu instid0(VALU_DEP_2) | instskip(NEXT) | instid1(VALU_DEP_2)
	v_add_f64_e32 v[10:11], v[12:13], v[10:11]
	v_fmac_f64_e32 v[62:63], 0x3c7abc9e3b39803f, v[44:45]
	s_delay_alu instid0(VALU_DEP_2) | instskip(NEXT) | instid1(VALU_DEP_1)
	v_add_f64_e32 v[10:11], v[54:55], v[10:11]
	v_mul_f64_e32 v[10:11], v[48:49], v[10:11]
	s_delay_alu instid0(VALU_DEP_1) | instskip(NEXT) | instid1(VALU_DEP_1)
	v_add_f64_e32 v[12:13], v[50:51], v[10:11]
	v_mul_f64_e32 v[48:49], v[12:13], v[12:13]
	s_delay_alu instid0(VALU_DEP_1) | instskip(SKIP_1) | instid1(VALU_DEP_2)
	v_fmamk_f64 v[52:53], v[48:49], 0x3fc3ab76bf559e2b, v[28:29]
	v_mul_f64_e32 v[54:55], v[12:13], v[48:49]
	v_fmaak_f64 v[52:53], v[48:49], v[52:53], 0x3fc7474dd7f4df2e
	s_delay_alu instid0(VALU_DEP_1) | instskip(NEXT) | instid1(VALU_DEP_1)
	v_fmaak_f64 v[52:53], v[48:49], v[52:53], 0x3fcc71c016291751
	v_fmaak_f64 v[52:53], v[48:49], v[52:53], 0x3fd249249b27acf1
	s_delay_alu instid0(VALU_DEP_1) | instskip(NEXT) | instid1(VALU_DEP_1)
	v_fmaak_f64 v[52:53], v[48:49], v[52:53], 0x3fd99999998ef7b6
	v_fmaak_f64 v[48:49], v[48:49], v[52:53], 0x3fe5555555555780
	v_ldexp_f64 v[52:53], v[12:13], 1
	v_add_f64_e64 v[12:13], v[12:13], -v[50:51]
	s_delay_alu instid0(VALU_DEP_3) | instskip(SKIP_1) | instid1(VALU_DEP_3)
	v_mul_f64_e32 v[48:49], v[54:55], v[48:49]
	v_div_scale_f64 v[54:55], null, v[40:41], v[40:41], v[42:43]
	v_add_f64_e64 v[10:11], v[10:11], -v[12:13]
	s_delay_alu instid0(VALU_DEP_3) | instskip(NEXT) | instid1(VALU_DEP_2)
	v_add_f64_e32 v[50:51], v[52:53], v[48:49]
	v_ldexp_f64 v[10:11], v[10:11], 1
	s_delay_alu instid0(VALU_DEP_2) | instskip(SKIP_1) | instid1(VALU_DEP_1)
	v_add_f64_e64 v[12:13], v[50:51], -v[52:53]
	v_rcp_f64_e32 v[52:53], v[54:55]
	v_add_f64_e64 v[12:13], v[48:49], -v[12:13]
	s_delay_alu instid0(TRANS32_DEP_1) | instskip(NEXT) | instid1(VALU_DEP_2)
	v_fma_f64 v[48:49], -v[54:55], v[52:53], 1.0
	v_add_f64_e32 v[10:11], v[10:11], v[12:13]
	v_add_f64_e32 v[12:13], v[60:61], v[62:63]
	s_delay_alu instid0(VALU_DEP_3) | instskip(NEXT) | instid1(VALU_DEP_3)
	v_fmac_f64_e32 v[52:53], v[52:53], v[48:49]
	v_add_f64_e32 v[44:45], v[50:51], v[10:11]
	s_delay_alu instid0(VALU_DEP_3) | instskip(NEXT) | instid1(VALU_DEP_3)
	v_add_f64_e64 v[60:61], v[12:13], -v[60:61]
	v_fma_f64 v[48:49], -v[54:55], v[52:53], 1.0
	s_delay_alu instid0(VALU_DEP_3) | instskip(SKIP_1) | instid1(VALU_DEP_4)
	v_add_f64_e32 v[64:65], v[12:13], v[44:45]
	v_add_f64_e64 v[50:51], v[44:45], -v[50:51]
	v_add_f64_e64 v[60:61], v[62:63], -v[60:61]
	s_delay_alu instid0(VALU_DEP_4) | instskip(NEXT) | instid1(VALU_DEP_4)
	v_fmac_f64_e32 v[52:53], v[52:53], v[48:49]
	v_add_f64_e64 v[48:49], v[64:65], -v[12:13]
	s_delay_alu instid0(VALU_DEP_4) | instskip(NEXT) | instid1(VALU_DEP_3)
	v_add_f64_e64 v[50:51], v[10:11], -v[50:51]
	v_mul_f64_e32 v[68:69], v[66:67], v[52:53]
	s_delay_alu instid0(VALU_DEP_3) | instskip(SKIP_1) | instid1(VALU_DEP_4)
	v_add_f64_e64 v[70:71], v[64:65], -v[48:49]
	v_add_f64_e64 v[10:11], v[44:45], -v[48:49]
	v_add_f64_e32 v[48:49], v[60:61], v[50:51]
	s_delay_alu instid0(VALU_DEP_4) | instskip(NEXT) | instid1(VALU_DEP_4)
	v_fma_f64 v[54:55], -v[54:55], v[68:69], v[66:67]
	v_add_f64_e64 v[12:13], v[12:13], -v[70:71]
	s_delay_alu instid0(VALU_DEP_2) | instskip(SKIP_1) | instid1(VALU_DEP_3)
	v_div_fmas_f64 v[44:45], v[54:55], v[52:53], v[68:69]
	v_cmp_class_f64_e64 vcc_lo, v[46:47], 0x204
	v_add_f64_e32 v[12:13], v[10:11], v[12:13]
	s_delay_alu instid0(VALU_DEP_3) | instskip(SKIP_1) | instid1(VALU_DEP_3)
	v_div_fixup_f64 v[10:11], v[44:45], v[40:41], v[42:43]
	v_add_f64_e64 v[40:41], v[48:49], -v[60:61]
	v_add_f64_e32 v[12:13], v[48:49], v[12:13]
	s_delay_alu instid0(VALU_DEP_3) | instskip(NEXT) | instid1(VALU_DEP_3)
	v_mul_f64_e32 v[42:43], v[10:11], v[10:11]
	v_add_f64_e64 v[44:45], v[48:49], -v[40:41]
	v_add_f64_e64 v[40:41], v[50:51], -v[40:41]
	s_delay_alu instid0(VALU_DEP_4) | instskip(NEXT) | instid1(VALU_DEP_4)
	v_add_f64_e32 v[48:49], v[64:65], v[12:13]
	v_fmamk_f64 v[52:53], v[42:43], 0x3eeba404b5e68a13, v[36:37]
	s_delay_alu instid0(VALU_DEP_4) | instskip(NEXT) | instid1(VALU_DEP_2)
	v_add_f64_e64 v[44:45], v[60:61], -v[44:45]
	v_fmaak_f64 v[52:53], v[42:43], v[52:53], 0x3f4b2bb069efb384
	s_delay_alu instid0(VALU_DEP_1) | instskip(NEXT) | instid1(VALU_DEP_1)
	v_fmaak_f64 v[52:53], v[42:43], v[52:53], 0xbf67952daf56de9b
	v_fmaak_f64 v[52:53], v[42:43], v[52:53], 0x3f7d6d43a595c56f
	v_add_f64_e64 v[50:51], v[48:49], -v[64:65]
	s_delay_alu instid0(VALU_DEP_2) | instskip(SKIP_1) | instid1(VALU_DEP_2)
	v_fmaak_f64 v[52:53], v[42:43], v[52:53], 0xbf8c6ea4a57d9582
	v_add_f64_e32 v[40:41], v[40:41], v[44:45]
	v_fmaak_f64 v[52:53], v[42:43], v[52:53], 0x3f967e295f08b19f
	s_delay_alu instid0(VALU_DEP_1) | instskip(NEXT) | instid1(VALU_DEP_1)
	v_fmaak_f64 v[52:53], v[42:43], v[52:53], 0xbf9e9ae6fc27006a
	v_fmaak_f64 v[52:53], v[42:43], v[52:53], 0x3fa2c15b5711927a
	s_delay_alu instid0(VALU_DEP_1) | instskip(SKIP_1) | instid1(VALU_DEP_2)
	v_fmaak_f64 v[44:45], v[42:43], v[52:53], 0xbfa59976e82d3ff0
	v_add_f64_e64 v[12:13], v[12:13], -v[50:51]
	v_fmaak_f64 v[44:45], v[42:43], v[44:45], 0x3fa82d5d6ef28734
	s_delay_alu instid0(VALU_DEP_1) | instskip(NEXT) | instid1(VALU_DEP_1)
	v_fmaak_f64 v[44:45], v[42:43], v[44:45], 0xbfaae5ce6a214619
	v_fmaak_f64 v[44:45], v[42:43], v[44:45], 0x3fae1bb48427b883
	s_delay_alu instid0(VALU_DEP_1) | instskip(SKIP_1) | instid1(VALU_DEP_2)
	v_fmaak_f64 v[44:45], v[42:43], v[44:45], 0xbfb110e48b207f05
	v_add_f64_e32 v[12:13], v[40:41], v[12:13]
	v_fmaak_f64 v[40:41], v[42:43], v[44:45], 0x3fb3b13657b87036
	s_delay_alu instid0(VALU_DEP_1) | instskip(NEXT) | instid1(VALU_DEP_1)
	v_fmaak_f64 v[40:41], v[42:43], v[40:41], 0xbfb745d119378e4f
	v_fmaak_f64 v[40:41], v[42:43], v[40:41], 0x3fbc71c717e1913c
	s_delay_alu instid0(VALU_DEP_1) | instskip(NEXT) | instid1(VALU_DEP_1)
	v_fmaak_f64 v[40:41], v[42:43], v[40:41], 0xbfc2492492376b7d
	v_fmaak_f64 v[40:41], v[42:43], v[40:41], 0x3fc99999999952cc
	v_add_f64_e32 v[12:13], v[48:49], v[12:13]
	s_delay_alu instid0(VALU_DEP_2) | instskip(NEXT) | instid1(VALU_DEP_1)
	v_fmaak_f64 v[40:41], v[42:43], v[40:41], 0xbfd5555555555523
	v_dual_mul_f64 v[40:41], v[42:43], v[40:41] :: v_dual_cndmask_b32 v13, v13, v47, vcc_lo
	s_delay_alu instid0(VALU_DEP_3) | instskip(SKIP_1) | instid1(VALU_DEP_2)
	v_cndmask_b32_e32 v12, v12, v46, vcc_lo
	v_cmp_ngt_f64_e32 vcc_lo, 0, v[46:47]
	v_add_f64_e32 v[12:13], 1.0, v[12:13]
	s_delay_alu instid0(VALU_DEP_4) | instskip(NEXT) | instid1(VALU_DEP_2)
	v_fmac_f64_e32 v[10:11], v[10:11], v[40:41]
	v_cndmask_b32_e32 v2, 0x7ff80000, v13, vcc_lo
	v_cmp_nge_f64_e32 vcc_lo, 0, v[46:47]
	s_delay_alu instid0(VALU_DEP_4) | instskip(SKIP_1) | instid1(VALU_DEP_4)
	v_cndmask_b32_e32 v12, 0, v12, vcc_lo
	v_cmp_neq_f64_e32 vcc_lo, 0, v[46:47]
	v_cndmask_b32_e32 v13, 0xfff00000, v2, vcc_lo
.LBB48_826:                             ;   in Loop: Header=BB48_434 Depth=1
	s_or_b32 exec_lo, exec_lo, s35
	s_wait_dscnt 0x0
	s_delay_alu instid0(VALU_DEP_3) | instskip(NEXT) | instid1(VALU_DEP_2)
	v_add_f64_e64 v[40:41], -v[10:11], s[20:21]
	v_add_f64_e32 v[12:13], 0x3fe62e42fefa39ef, v[12:13]
	v_cmp_gt_i32_e32 vcc_lo, 0, v3
	v_dual_cndmask_b32 v3, 0x54442d18, v57 :: v_dual_ashrrev_i32 v2, 31, v3
	s_delay_alu instid0(VALU_DEP_1) | instskip(SKIP_4) | instid1(VALU_DEP_3)
	v_and_b32_e32 v42, 0x54442d18, v2
	v_and_b32_e32 v2, 0x400921fb, v2
	v_dual_cndmask_b32 v11, v11, v41, s1 :: v_dual_cndmask_b32 v10, v10, v40, s1
	v_cmp_eq_f64_e64 s1, 0, v[4:5]
	v_cndmask_b32_e32 v4, 0x3fe921fb, v58, vcc_lo
	v_add_f64_e64 v[40:41], -v[10:11], s[22:23]
	s_delay_alu instid0(VALU_DEP_2) | instskip(NEXT) | instid1(VALU_DEP_2)
	v_bfi_b32 v4, 0x7fffffff, v4, v5
	v_dual_cndmask_b32 v10, v10, v40 :: v_dual_cndmask_b32 v11, v11, v41
	s_delay_alu instid0(VALU_DEP_1) | instskip(NEXT) | instid1(VALU_DEP_1)
	v_cndmask_b32_e64 v2, v11, v2, s1
	v_cndmask_b32_e64 v2, v2, v4, s34
	v_xor_b32_e32 v4, 0x80000000, v13
	s_delay_alu instid0(VALU_DEP_4) | instskip(NEXT) | instid1(VALU_DEP_3)
	v_cndmask_b32_e64 v5, v10, v42, s1
	v_and_b32_e32 v11, 0x7fffffff, v2
	s_delay_alu instid0(VALU_DEP_2)
	v_dual_cndmask_b32 v13, v4, v13, s0 :: v_dual_cndmask_b32 v10, v5, v3, s34
.LBB48_827:                             ;   in Loop: Header=BB48_434 Depth=1
	s_or_b32 exec_lo, exec_lo, s33
                                        ; implicit-def: $vgpr4_vgpr5
.LBB48_828:                             ;   in Loop: Header=BB48_434 Depth=1
	s_and_not1_saveexec_b32 s0, s31
	s_cbranch_execz .LBB48_433
; %bb.829:                              ;   in Loop: Header=BB48_434 Depth=1
	v_cmp_neq_f64_e64 s1, 0x7ff00000, |v[2:3]|
                                        ; implicit-def: $vgpr12_vgpr13
	s_and_saveexec_b32 s2, s1
	s_delay_alu instid0(SALU_CYCLE_1)
	s_xor_b32 s1, exec_lo, s2
	s_cbranch_execz .LBB48_839
; %bb.830:                              ;   in Loop: Header=BB48_434 Depth=1
	v_cmp_neq_f64_e64 s2, 0x7ff00000, |v[4:5]|
	s_wait_dscnt 0x0
	v_xor_b32_e32 v13, 0x80000000, v5
	v_mov_b32_e32 v12, v4
	s_and_saveexec_b32 s31, s2
	s_delay_alu instid0(SALU_CYCLE_1)
	s_xor_b32 s2, exec_lo, s31
	s_cbranch_execz .LBB48_836
; %bb.831:                              ;   in Loop: Header=BB48_434 Depth=1
	s_mov_b32 s31, exec_lo
                                        ; implicit-def: $vgpr12_vgpr13
	v_cmpx_neq_f64_e32 0, v[2:3]
	s_xor_b32 s31, exec_lo, s31
	s_cbranch_execz .LBB48_833
; %bb.832:                              ;   in Loop: Header=BB48_434 Depth=1
	v_add_f64_e32 v[4:5], 0, v[4:5]
	s_delay_alu instid0(VALU_DEP_1)
	v_add_f64_e32 v[12:13], v[2:3], v[4:5]
                                        ; implicit-def: $vgpr4_vgpr5
.LBB48_833:                             ;   in Loop: Header=BB48_434 Depth=1
	s_or_saveexec_b32 s31, s31
	s_delay_alu instid0(VALU_DEP_1)
	v_mov_b64_e32 v[10:11], v[12:13]
	s_xor_b32 exec_lo, exec_lo, s31
	s_cbranch_execz .LBB48_835
; %bb.834:                              ;   in Loop: Header=BB48_434 Depth=1
	flat_load_b64 v[2:3], v[26:27] scope:SCOPE_SYS
	s_wait_loadcnt 0x0
	v_add_f64_e32 v[12:13], v[4:5], v[4:5]
	s_wait_dscnt 0x0
	v_add_f64_e32 v[10:11], 0x3ff921fb54442d18, v[2:3]
.LBB48_835:                             ;   in Loop: Header=BB48_434 Depth=1
	s_wait_xcnt 0x0
	s_or_b32 exec_lo, exec_lo, s31
                                        ; implicit-def: $vgpr2_vgpr3
.LBB48_836:                             ;   in Loop: Header=BB48_434 Depth=1
	s_and_not1_saveexec_b32 s2, s2
; %bb.837:                              ;   in Loop: Header=BB48_434 Depth=1
	v_add_f64_e32 v[10:11], v[2:3], v[2:3]
; %bb.838:                              ;   in Loop: Header=BB48_434 Depth=1
	s_or_b32 exec_lo, exec_lo, s2
                                        ; implicit-def: $vgpr4_vgpr5
.LBB48_839:                             ;   in Loop: Header=BB48_434 Depth=1
	s_and_not1_saveexec_b32 s1, s1
	s_cbranch_execz .LBB48_432
; %bb.840:                              ;   in Loop: Header=BB48_434 Depth=1
	s_wait_dscnt 0x0
	v_add_f64_e32 v[10:11], v[4:5], v[4:5]
	v_mov_b64_e32 v[12:13], 0xfff0000000000000
	s_branch .LBB48_432
.LBB48_841:
	s_sendmsg sendmsg(MSG_DEALLOC_VGPRS)
	s_endpgm
	.section	.rodata,"a",@progbits
	.p2align	6, 0x0
	.amdhsa_kernel _ZN2at6native12_GLOBAL__N_125multi_tensor_apply_kernelINS1_18TensorListMetadataILi1EEENS1_14UnaryOpFunctorIN3c107complexIdEELi1ELi1ELi0EEEJNS0_4AcosIS8_EEEEEvT_T0_DpT1_
		.amdhsa_group_segment_fixed_size 0
		.amdhsa_private_segment_fixed_size 24
		.amdhsa_kernarg_size 3632
		.amdhsa_user_sgpr_count 2
		.amdhsa_user_sgpr_dispatch_ptr 0
		.amdhsa_user_sgpr_queue_ptr 0
		.amdhsa_user_sgpr_kernarg_segment_ptr 1
		.amdhsa_user_sgpr_dispatch_id 0
		.amdhsa_user_sgpr_kernarg_preload_length 0
		.amdhsa_user_sgpr_kernarg_preload_offset 0
		.amdhsa_user_sgpr_private_segment_size 0
		.amdhsa_wavefront_size32 1
		.amdhsa_uses_dynamic_stack 0
		.amdhsa_enable_private_segment 1
		.amdhsa_system_sgpr_workgroup_id_x 1
		.amdhsa_system_sgpr_workgroup_id_y 0
		.amdhsa_system_sgpr_workgroup_id_z 0
		.amdhsa_system_sgpr_workgroup_info 0
		.amdhsa_system_vgpr_workitem_id 0
		.amdhsa_next_free_vgpr 98
		.amdhsa_next_free_sgpr 52
		.amdhsa_named_barrier_count 0
		.amdhsa_reserve_vcc 1
		.amdhsa_float_round_mode_32 0
		.amdhsa_float_round_mode_16_64 0
		.amdhsa_float_denorm_mode_32 3
		.amdhsa_float_denorm_mode_16_64 3
		.amdhsa_fp16_overflow 0
		.amdhsa_memory_ordered 1
		.amdhsa_forward_progress 1
		.amdhsa_inst_pref_size 255
		.amdhsa_round_robin_scheduling 0
		.amdhsa_exception_fp_ieee_invalid_op 0
		.amdhsa_exception_fp_denorm_src 0
		.amdhsa_exception_fp_ieee_div_zero 0
		.amdhsa_exception_fp_ieee_overflow 0
		.amdhsa_exception_fp_ieee_underflow 0
		.amdhsa_exception_fp_ieee_inexact 0
		.amdhsa_exception_int_div_zero 0
	.end_amdhsa_kernel
	.section	.text._ZN2at6native12_GLOBAL__N_125multi_tensor_apply_kernelINS1_18TensorListMetadataILi1EEENS1_14UnaryOpFunctorIN3c107complexIdEELi1ELi1ELi0EEEJNS0_4AcosIS8_EEEEEvT_T0_DpT1_,"axG",@progbits,_ZN2at6native12_GLOBAL__N_125multi_tensor_apply_kernelINS1_18TensorListMetadataILi1EEENS1_14UnaryOpFunctorIN3c107complexIdEELi1ELi1ELi0EEEJNS0_4AcosIS8_EEEEEvT_T0_DpT1_,comdat
.Lfunc_end48:
	.size	_ZN2at6native12_GLOBAL__N_125multi_tensor_apply_kernelINS1_18TensorListMetadataILi1EEENS1_14UnaryOpFunctorIN3c107complexIdEELi1ELi1ELi0EEEJNS0_4AcosIS8_EEEEEvT_T0_DpT1_, .Lfunc_end48-_ZN2at6native12_GLOBAL__N_125multi_tensor_apply_kernelINS1_18TensorListMetadataILi1EEENS1_14UnaryOpFunctorIN3c107complexIdEELi1ELi1ELi0EEEJNS0_4AcosIS8_EEEEEvT_T0_DpT1_
                                        ; -- End function
	.set _ZN2at6native12_GLOBAL__N_125multi_tensor_apply_kernelINS1_18TensorListMetadataILi1EEENS1_14UnaryOpFunctorIN3c107complexIdEELi1ELi1ELi0EEEJNS0_4AcosIS8_EEEEEvT_T0_DpT1_.num_vgpr, 98
	.set _ZN2at6native12_GLOBAL__N_125multi_tensor_apply_kernelINS1_18TensorListMetadataILi1EEENS1_14UnaryOpFunctorIN3c107complexIdEELi1ELi1ELi0EEEJNS0_4AcosIS8_EEEEEvT_T0_DpT1_.num_agpr, 0
	.set _ZN2at6native12_GLOBAL__N_125multi_tensor_apply_kernelINS1_18TensorListMetadataILi1EEENS1_14UnaryOpFunctorIN3c107complexIdEELi1ELi1ELi0EEEJNS0_4AcosIS8_EEEEEvT_T0_DpT1_.numbered_sgpr, 52
	.set _ZN2at6native12_GLOBAL__N_125multi_tensor_apply_kernelINS1_18TensorListMetadataILi1EEENS1_14UnaryOpFunctorIN3c107complexIdEELi1ELi1ELi0EEEJNS0_4AcosIS8_EEEEEvT_T0_DpT1_.num_named_barrier, 0
	.set _ZN2at6native12_GLOBAL__N_125multi_tensor_apply_kernelINS1_18TensorListMetadataILi1EEENS1_14UnaryOpFunctorIN3c107complexIdEELi1ELi1ELi0EEEJNS0_4AcosIS8_EEEEEvT_T0_DpT1_.private_seg_size, 24
	.set _ZN2at6native12_GLOBAL__N_125multi_tensor_apply_kernelINS1_18TensorListMetadataILi1EEENS1_14UnaryOpFunctorIN3c107complexIdEELi1ELi1ELi0EEEJNS0_4AcosIS8_EEEEEvT_T0_DpT1_.uses_vcc, 1
	.set _ZN2at6native12_GLOBAL__N_125multi_tensor_apply_kernelINS1_18TensorListMetadataILi1EEENS1_14UnaryOpFunctorIN3c107complexIdEELi1ELi1ELi0EEEJNS0_4AcosIS8_EEEEEvT_T0_DpT1_.uses_flat_scratch, 0
	.set _ZN2at6native12_GLOBAL__N_125multi_tensor_apply_kernelINS1_18TensorListMetadataILi1EEENS1_14UnaryOpFunctorIN3c107complexIdEELi1ELi1ELi0EEEJNS0_4AcosIS8_EEEEEvT_T0_DpT1_.has_dyn_sized_stack, 0
	.set _ZN2at6native12_GLOBAL__N_125multi_tensor_apply_kernelINS1_18TensorListMetadataILi1EEENS1_14UnaryOpFunctorIN3c107complexIdEELi1ELi1ELi0EEEJNS0_4AcosIS8_EEEEEvT_T0_DpT1_.has_recursion, 0
	.set _ZN2at6native12_GLOBAL__N_125multi_tensor_apply_kernelINS1_18TensorListMetadataILi1EEENS1_14UnaryOpFunctorIN3c107complexIdEELi1ELi1ELi0EEEJNS0_4AcosIS8_EEEEEvT_T0_DpT1_.has_indirect_call, 0
	.section	.AMDGPU.csdata,"",@progbits
; Kernel info:
; codeLenInByte = 105016
; TotalNumSgprs: 54
; NumVgprs: 98
; ScratchSize: 24
; MemoryBound: 1
; FloatMode: 240
; IeeeMode: 1
; LDSByteSize: 0 bytes/workgroup (compile time only)
; SGPRBlocks: 0
; VGPRBlocks: 6
; NumSGPRsForWavesPerEU: 54
; NumVGPRsForWavesPerEU: 98
; NamedBarCnt: 0
; Occupancy: 9
; WaveLimiterHint : 0
; COMPUTE_PGM_RSRC2:SCRATCH_EN: 1
; COMPUTE_PGM_RSRC2:USER_SGPR: 2
; COMPUTE_PGM_RSRC2:TRAP_HANDLER: 0
; COMPUTE_PGM_RSRC2:TGID_X_EN: 1
; COMPUTE_PGM_RSRC2:TGID_Y_EN: 0
; COMPUTE_PGM_RSRC2:TGID_Z_EN: 0
; COMPUTE_PGM_RSRC2:TIDIG_COMP_CNT: 0
	.section	.text._ZN2at6native12_GLOBAL__N_125multi_tensor_apply_kernelINS1_18TensorListMetadataILi1EEENS1_14UnaryOpFunctorIN3c107complexIfEELi1ELi1ELi0EEEJNS0_4AcosIS8_EEEEEvT_T0_DpT1_,"axG",@progbits,_ZN2at6native12_GLOBAL__N_125multi_tensor_apply_kernelINS1_18TensorListMetadataILi1EEENS1_14UnaryOpFunctorIN3c107complexIfEELi1ELi1ELi0EEEJNS0_4AcosIS8_EEEEEvT_T0_DpT1_,comdat
	.globl	_ZN2at6native12_GLOBAL__N_125multi_tensor_apply_kernelINS1_18TensorListMetadataILi1EEENS1_14UnaryOpFunctorIN3c107complexIfEELi1ELi1ELi0EEEJNS0_4AcosIS8_EEEEEvT_T0_DpT1_ ; -- Begin function _ZN2at6native12_GLOBAL__N_125multi_tensor_apply_kernelINS1_18TensorListMetadataILi1EEENS1_14UnaryOpFunctorIN3c107complexIfEELi1ELi1ELi0EEEJNS0_4AcosIS8_EEEEEvT_T0_DpT1_
	.p2align	8
	.type	_ZN2at6native12_GLOBAL__N_125multi_tensor_apply_kernelINS1_18TensorListMetadataILi1EEENS1_14UnaryOpFunctorIN3c107complexIfEELi1ELi1ELi0EEEJNS0_4AcosIS8_EEEEEvT_T0_DpT1_,@function
_ZN2at6native12_GLOBAL__N_125multi_tensor_apply_kernelINS1_18TensorListMetadataILi1EEENS1_14UnaryOpFunctorIN3c107complexIfEELi1ELi1ELi0EEEJNS0_4AcosIS8_EEEEEvT_T0_DpT1_: ; @_ZN2at6native12_GLOBAL__N_125multi_tensor_apply_kernelINS1_18TensorListMetadataILi1EEENS1_14UnaryOpFunctorIN3c107complexIfEELi1ELi1ELi0EEEJNS0_4AcosIS8_EEEEEvT_T0_DpT1_
; %bb.0:
	s_bfe_u32 s2, ttmp6, 0x4000c
	s_and_b32 s3, ttmp6, 15
	s_add_co_i32 s2, s2, 1
	s_getreg_b32 s4, hwreg(HW_REG_IB_STS2, 6, 4)
	s_mul_i32 s2, ttmp9, s2
	s_delay_alu instid0(SALU_CYCLE_1)
	s_add_co_i32 s3, s3, s2
	s_cmp_eq_u32 s4, 0
	s_cselect_b32 s2, ttmp9, s3
	s_mov_b32 s3, 0
	s_load_u8 s12, s[0:1], s2 offset:0x6e0
	s_add_nc_u64 s[4:5], s[0:1], s[2:3]
	s_mul_u64 s[6:7], s[2:3], 3
	s_delay_alu instid0(SALU_CYCLE_1)
	s_add_nc_u64 s[4:5], s[4:5], s[6:7]
	s_load_b32 s6, s[4:5], 0x820
	s_wait_kmcnt 0x0
	s_clause 0x1
	s_load_b64 s[8:9], s[0:1], s12 offset:0x0 scale_offset
	s_load_b64 s[10:11], s[0:1], s12 offset:0x370 scale_offset
	s_ashr_i32 s7, s6, 31
	s_delay_alu instid0(SALU_CYCLE_1) | instskip(SKIP_3) | instid1(SALU_CYCLE_1)
	s_lshl_b64 s[4:5], s[6:7], 19
	s_wait_kmcnt 0x0
	s_and_b32 s2, s10, 3
	s_add_nc_u64 s[12:13], s[8:9], s[4:5]
	s_and_b64 s[4:5], s[12:13], 31
	s_delay_alu instid0(SALU_CYCLE_1)
	s_or_b64 s[2:3], s[4:5], s[2:3]
	s_lshl_b64 s[4:5], s[6:7], 16
	s_cmp_eq_u64 s[2:3], 0
	s_sub_nc_u64 s[14:15], s[10:11], s[4:5]
	s_cbranch_scc1 .LBB49_413
; %bb.1:
	v_cmp_lt_i64_e64 s2, s[14:15], 1
	s_and_b32 vcc_lo, exec_lo, s2
	s_cbranch_vccnz .LBB49_412
; %bb.2:
	s_load_b32 s2, s[0:1], 0xd3c
	v_mbcnt_lo_u32_b32 v1, -1, 0
	v_min_i64 v[2:3], 0x10000, s[14:15]
	v_min_u64 v[6:7], 0x10000, s[14:15]
	v_mov_b32_e32 v12, 8
	s_mov_b32 s3, 0
	v_dual_lshlrev_b32 v13, 20, v1 :: v_dual_lshlrev_b32 v8, 3, v0
	s_mov_b32 s5, s3
	s_mov_b32 s7, s3
	v_mov_b32_e32 v1, 0
	s_delay_alu instid0(VALU_DEP_2) | instskip(SKIP_1) | instid1(VALU_DEP_3)
	v_add_nc_u64_e32 v[4:5], src_flat_scratch_base_lo, v[12:13]
	v_dual_mov_b32 v12, 0 :: v_dual_mov_b32 v51, 0xd800000
	v_dual_mov_b32 v26, 1.0 :: v_dual_mov_b32 v25, v1
	v_mov_b32_e32 v50, 0x248d3132
	s_delay_alu instid0(VALU_DEP_3)
	v_add_nc_u64_e32 v[10:11], src_flat_scratch_base_lo, v[12:13]
	v_mov_b32_e32 v12, 4
	v_mov_b32_e32 v28, 0x3f317218
	s_wait_kmcnt 0x0
	s_and_b32 s2, s2, 0xffff
	v_mov_b32_e32 v52, 0x4016cbe4
	v_add_nc_u64_e32 v[14:15], s[2:3], v[0:1]
	v_mov_b32_e32 v9, v1
	s_lshl_b32 s4, s2, 1
	s_mul_i32 s6, s2, 3
	s_lshl_b32 s16, s2, 2
	s_lshl_b32 s18, s2, 5
	v_add_nc_u64_e32 v[12:13], src_flat_scratch_base_lo, v[12:13]
	v_lshlrev_b32_e32 v24, 3, v14
	v_mad_nc_u64_u32 v[16:17], s2, 24, v[8:9]
	s_lshl_b32 s2, s2, 4
	v_add_nc_u64_e32 v[18:19], s[6:7], v[0:1]
	v_add_nc_u64_e32 v[20:21], s[2:3], v[8:9]
	;; [unrolled: 1-line block ×3, first 2 shown]
	s_mov_b32 s17, s3
	s_mov_b32 s19, s3
	s_mov_b64 s[20:21], 0
	s_mov_b32 s11, 0x3e9b6dac
	s_mov_b32 s22, 0x4b800000
	;; [unrolled: 1-line block ×4, first 2 shown]
	s_mov_b64 s[24:25], s[12:13]
	s_branch .LBB49_4
.LBB49_3:                               ;   in Loop: Header=BB49_4 Depth=1
	s_wait_xcnt 0x0
	s_or_b32 exec_lo, exec_lo, s2
	s_add_nc_u64 s[20:21], s[20:21], s[16:17]
	s_add_nc_u64 s[24:25], s[24:25], s[18:19]
	v_cmp_ge_i64_e32 vcc_lo, s[20:21], v[2:3]
	s_cbranch_vccnz .LBB49_412
.LBB49_4:                               ; =>This Inner Loop Header: Depth=1
	v_add_nc_u64_e32 v[30:31], s[20:21], v[0:1]
	v_dual_mov_b32 v44, 0 :: v_dual_mov_b32 v45, 0
	s_delay_alu instid0(VALU_DEP_2)
	v_cmp_lt_u64_e64 s2, v[30:31], v[6:7]
	v_add_nc_u64_e32 v[30:31], s[24:25], v[8:9]
	s_and_saveexec_b32 s3, s2
	s_cbranch_execz .LBB49_6
; %bb.5:                                ;   in Loop: Header=BB49_4 Depth=1
	global_load_b64 v[44:45], v[30:31], off
.LBB49_6:                               ;   in Loop: Header=BB49_4 Depth=1
	s_wait_xcnt 0x0
	s_or_b32 exec_lo, exec_lo, s3
	v_add_nc_u64_e32 v[32:33], s[20:21], v[14:15]
	v_dual_mov_b32 v42, 0 :: v_dual_mov_b32 v46, 0
	v_mov_b32_e32 v47, 0
	s_delay_alu instid0(VALU_DEP_3)
	v_cmp_lt_u64_e64 s3, v[32:33], v[6:7]
	v_add_nc_u64_e32 v[32:33], s[24:25], v[24:25]
	s_and_saveexec_b32 s4, s3
	s_cbranch_execz .LBB49_8
; %bb.7:                                ;   in Loop: Header=BB49_4 Depth=1
	global_load_b64 v[46:47], v[32:33], off
.LBB49_8:                               ;   in Loop: Header=BB49_4 Depth=1
	s_wait_xcnt 0x0
	s_or_b32 exec_lo, exec_lo, s4
	v_add_nc_u64_e32 v[34:35], s[20:21], v[22:23]
	v_mov_b32_e32 v43, 0
	s_delay_alu instid0(VALU_DEP_2)
	v_cmp_lt_u64_e64 s4, v[34:35], v[6:7]
	v_add_nc_u64_e32 v[34:35], s[24:25], v[20:21]
	s_and_saveexec_b32 s5, s4
	s_cbranch_execz .LBB49_10
; %bb.9:                                ;   in Loop: Header=BB49_4 Depth=1
	global_load_b64 v[42:43], v[34:35], off
.LBB49_10:                              ;   in Loop: Header=BB49_4 Depth=1
	s_wait_xcnt 0x0
	s_or_b32 exec_lo, exec_lo, s5
	v_add_nc_u64_e32 v[36:37], s[20:21], v[18:19]
	v_dual_mov_b32 v38, 0 :: v_dual_mov_b32 v39, 0
	s_delay_alu instid0(VALU_DEP_2)
	v_cmp_lt_u64_e64 s5, v[36:37], v[6:7]
	v_add_nc_u64_e32 v[36:37], s[24:25], v[16:17]
	s_and_saveexec_b32 s6, s5
	s_cbranch_execz .LBB49_12
; %bb.11:                               ;   in Loop: Header=BB49_4 Depth=1
	global_load_b64 v[38:39], v[36:37], off
.LBB49_12:                              ;   in Loop: Header=BB49_4 Depth=1
	s_wait_xcnt 0x0
	s_or_b32 exec_lo, exec_lo, s6
	flat_store_b32 v[4:5], v50 scope:SCOPE_SYS
	s_wait_storecnt 0x0
                                        ; implicit-def: $vgpr41
	s_mov_b32 s6, exec_lo
	s_wait_loadcnt 0x0
	s_wait_xcnt 0x0
	v_cmpx_o_f32_e32 v44, v45
	s_xor_b32 s27, exec_lo, s6
	s_cbranch_execz .LBB49_96
; %bb.13:                               ;   in Loop: Header=BB49_4 Depth=1
	v_max_num_f32_e64 v48, |v44|, |v44|
	v_max_num_f32_e64 v27, |v45|, |v45|
	v_cmp_gt_i32_e64 s7, 0, v44
	v_cmp_lt_i32_e64 s8, -1, v44
	v_cmp_gt_i32_e64 s6, 0, v45
                                        ; implicit-def: $vgpr41
	s_mov_b32 s9, exec_lo
	s_wait_dscnt 0x1
	v_max_num_f32_e32 v29, v27, v48
	s_delay_alu instid0(VALU_DEP_1)
	v_cmpx_nlt_f32_e32 0x4b000000, v29
	s_xor_b32 s28, exec_lo, s9
	s_cbranch_execz .LBB49_85
; %bb.14:                               ;   in Loop: Header=BB49_4 Depth=1
	v_cmp_neq_f32_e32 vcc_lo, 1.0, v44
	v_cmp_neq_f32_e64 s9, 0, v45
	v_xor_b32_e32 v41, 0x80000000, v45
	s_or_b32 s9, s9, vcc_lo
	s_delay_alu instid0(SALU_CYCLE_1) | instskip(NEXT) | instid1(SALU_CYCLE_1)
	s_and_saveexec_b32 s10, s9
	s_xor_b32 s29, exec_lo, s10
	s_cbranch_execz .LBB49_82
; %bb.15:                               ;   in Loop: Header=BB49_4 Depth=1
	flat_store_b32 v[10:11], v51 scope:SCOPE_SYS
	s_wait_storecnt 0x0
	flat_load_b32 v29, v[10:11] scope:SCOPE_SYS
	s_wait_loadcnt 0x0
	v_cmp_ngt_f32_e64 s9, 0x395db3d7, |v44|
	v_cmp_ngt_f32_e64 s10, 0x395db3d7, |v45|
	v_xor_b32_e32 v41, 0x80000000, v45
	s_or_b32 s9, s10, s9
	s_wait_dscnt 0x0
	v_add_f32_e32 v29, 1.0, v29
	flat_store_b32 v[12:13], v29 scope:SCOPE_SYS
	s_wait_storecnt 0x0
	flat_load_b32 v29, v[12:13] scope:SCOPE_SYS
	s_wait_loadcnt 0x0
	s_wait_xcnt 0x0
	s_and_saveexec_b32 s10, s9
	s_delay_alu instid0(SALU_CYCLE_1)
	s_xor_b32 s30, exec_lo, s10
	s_cbranch_execz .LBB49_79
; %bb.16:                               ;   in Loop: Header=BB49_4 Depth=1
	v_add_f32_e64 v54, |v44|, 1.0
	v_add_f32_e64 v53, |v44|, -1.0
	s_mov_b32 s9, exec_lo
	s_wait_dscnt 0x0
	s_delay_alu instid0(VALU_DEP_2) | instskip(NEXT) | instid1(VALU_DEP_2)
	v_max_num_f32_e32 v29, v27, v54
	v_max_num_f32_e64 v27, v27, |v53|
	s_delay_alu instid0(VALU_DEP_2) | instskip(NEXT) | instid1(VALU_DEP_2)
	v_cvt_f64_f32_e32 v[40:41], v29
	v_cvt_f64_f32_e32 v[48:49], v27
	s_delay_alu instid0(VALU_DEP_2) | instskip(NEXT) | instid1(VALU_DEP_2)
	v_frexp_exp_i32_f64_e32 v40, v[40:41]
	v_frexp_exp_i32_f64_e32 v41, v[48:49]
	s_delay_alu instid0(VALU_DEP_2) | instskip(SKIP_1) | instid1(VALU_DEP_2)
	v_sub_nc_u32_e32 v48, 0, v40
	v_cmp_neq_f32_e32 vcc_lo, 0x7f800000, v29
	v_ldexp_f32 v55, v54, v48
	s_delay_alu instid0(VALU_DEP_4) | instskip(SKIP_1) | instid1(VALU_DEP_3)
	v_sub_nc_u32_e32 v49, 0, v41
	v_ldexp_f32 v48, |v45|, v48
	v_mul_f32_e32 v55, v55, v55
	s_delay_alu instid0(VALU_DEP_3) | instskip(SKIP_1) | instid1(VALU_DEP_2)
	v_ldexp_f32 v56, |v53|, v49
	v_ldexp_f32 v49, |v45|, v49
	v_mul_f32_e32 v56, v56, v56
	s_delay_alu instid0(VALU_DEP_1) | instskip(NEXT) | instid1(VALU_DEP_1)
	v_dual_fmac_f32 v55, v48, v48 :: v_dual_fmac_f32 v56, v49, v49
	v_sqrt_f32_e32 v48, v55
	s_delay_alu instid0(VALU_DEP_1) | instskip(NEXT) | instid1(TRANS32_DEP_2)
	v_sqrt_f32_e32 v49, v56
	v_ldexp_f32 v40, v48, v40
	s_delay_alu instid0(TRANS32_DEP_1) | instskip(NEXT) | instid1(VALU_DEP_2)
	v_ldexp_f32 v41, v49, v41
	v_cndmask_b32_e32 v56, 0x7f800000, v40, vcc_lo
	v_cmp_neq_f32_e32 vcc_lo, 0x7f800000, v27
	s_delay_alu instid0(VALU_DEP_3) | instskip(NEXT) | instid1(VALU_DEP_1)
	v_cndmask_b32_e32 v49, 0x7f800000, v41, vcc_lo
	v_add_f32_e32 v27, v56, v49
	s_delay_alu instid0(VALU_DEP_1) | instskip(NEXT) | instid1(VALU_DEP_1)
	v_mul_f32_e32 v27, 0.5, v27
	v_cmp_ngt_f32_e32 vcc_lo, 1.0, v27
	v_cndmask_b32_e32 v40, 1.0, v27, vcc_lo
                                        ; implicit-def: $vgpr27
	s_delay_alu instid0(VALU_DEP_1)
	v_cmpx_ngt_f32_e32 0x41200000, v40
	s_xor_b32 s10, exec_lo, s9
	s_cbranch_execz .LBB49_18
; %bb.17:                               ;   in Loop: Header=BB49_4 Depth=1
	v_fma_f32 v27, v40, v40, -1.0
	s_delay_alu instid0(VALU_DEP_1) | instskip(SKIP_1) | instid1(VALU_DEP_2)
	v_mul_f32_e32 v29, 0x4f800000, v27
	v_cmp_gt_f32_e32 vcc_lo, 0xf800000, v27
	v_cndmask_b32_e32 v27, v27, v29, vcc_lo
	s_delay_alu instid0(VALU_DEP_1) | instskip(SKIP_1) | instid1(TRANS32_DEP_1)
	v_sqrt_f32_e32 v29, v27
	v_nop
	v_dual_add_nc_u32 v41, -1, v29 :: v_dual_add_nc_u32 v48, 1, v29
	s_delay_alu instid0(VALU_DEP_1) | instskip(NEXT) | instid1(VALU_DEP_1)
	v_dual_fma_f32 v55, -v41, v29, v27 :: v_dual_fma_f32 v57, -v48, v29, v27
	v_cmp_ge_f32_e64 s9, 0, v55
	s_delay_alu instid0(VALU_DEP_1) | instskip(NEXT) | instid1(VALU_DEP_3)
	v_cndmask_b32_e64 v29, v29, v41, s9
	v_cmp_lt_f32_e64 s9, 0, v57
	s_delay_alu instid0(VALU_DEP_1) | instskip(NEXT) | instid1(VALU_DEP_1)
	v_cndmask_b32_e64 v29, v29, v48, s9
	v_mul_f32_e32 v41, 0x37800000, v29
	s_delay_alu instid0(VALU_DEP_1) | instskip(SKIP_1) | instid1(VALU_DEP_2)
	v_cndmask_b32_e32 v29, v29, v41, vcc_lo
	v_cmp_class_f32_e64 vcc_lo, v27, 0x260
	v_cndmask_b32_e32 v27, v29, v27, vcc_lo
	s_delay_alu instid0(VALU_DEP_1) | instskip(NEXT) | instid1(VALU_DEP_1)
	v_add_f32_e32 v27, v40, v27
	v_cmp_gt_f32_e32 vcc_lo, 0x800000, v27
	s_delay_alu instid0(VALU_DEP_4) | instskip(NEXT) | instid1(VALU_DEP_1)
	v_cndmask_b32_e64 v29, 0, 32, vcc_lo
	v_ldexp_f32 v27, v27, v29
	s_delay_alu instid0(VALU_DEP_1) | instskip(SKIP_1) | instid1(TRANS32_DEP_1)
	v_log_f32_e32 v27, v27
	v_nop
	v_mul_f32_e32 v29, 0x3f317217, v27
	v_cmp_gt_f32_e64 s9, 0x7f800000, |v27|
	s_delay_alu instid0(VALU_DEP_2) | instskip(NEXT) | instid1(VALU_DEP_1)
	v_fma_f32 v29, 0x3f317217, v27, -v29
	v_fmac_f32_e32 v29, 0x3377d1cf, v27
	s_delay_alu instid0(VALU_DEP_1) | instskip(NEXT) | instid1(VALU_DEP_1)
	v_fmac_f32_e32 v29, 0x3f317217, v27
	v_cndmask_b32_e64 v27, v27, v29, s9
	v_cndmask_b32_e64 v29, 0, 0x41b17218, vcc_lo
	s_delay_alu instid0(VALU_DEP_1)
	v_sub_f32_e32 v27, v27, v29
.LBB49_18:                              ;   in Loop: Header=BB49_4 Depth=1
	s_or_saveexec_b32 s10, s10
	v_and_b32_e32 v55, 0x7fffffff, v45
	s_xor_b32 exec_lo, exec_lo, s10
	s_cbranch_execz .LBB49_40
; %bb.19:                               ;   in Loop: Header=BB49_4 Depth=1
	v_cmp_neq_f32_e64 s9, |v44|, 1.0
	v_cmp_ngt_f32_e64 s31, 0x25000000, |v45|
                                        ; implicit-def: $vgpr27
	s_or_b32 s9, s31, s9
	s_delay_alu instid0(SALU_CYCLE_1) | instskip(NEXT) | instid1(SALU_CYCLE_1)
	s_and_saveexec_b32 s31, s9
	s_xor_b32 s31, exec_lo, s31
	s_cbranch_execz .LBB49_37
; %bb.20:                               ;   in Loop: Header=BB49_4 Depth=1
	v_mul_f32_e64 v27, 0x34000000, |v53|
	s_delay_alu instid0(VALU_DEP_1) | instskip(SKIP_1) | instid1(SALU_CYCLE_1)
	v_cmp_ge_f32_e64 s9, |v45|, v27
                                        ; implicit-def: $vgpr27
	s_and_saveexec_b32 s33, s9
	s_xor_b32 s33, exec_lo, s33
	s_cbranch_execz .LBB49_30
; %bb.21:                               ;   in Loop: Header=BB49_4 Depth=1
	v_mov_b32_e32 v27, v55
	s_mov_b32 s9, exec_lo
	v_cmpx_neq_f32_e32 0, v54
	s_cbranch_execz .LBB49_23
; %bb.22:                               ;   in Loop: Header=BB49_4 Depth=1
	v_dual_mul_f32 v27, v45, v45 :: v_dual_add_f32 v29, v54, v56
	s_delay_alu instid0(VALU_DEP_1) | instskip(NEXT) | instid1(VALU_DEP_1)
	v_div_scale_f32 v41, null, v29, v29, v27
	v_rcp_f32_e32 v48, v41
	v_nop
	s_delay_alu instid0(TRANS32_DEP_1) | instskip(NEXT) | instid1(VALU_DEP_1)
	v_fma_f32 v57, -v41, v48, 1.0
	v_fmac_f32_e32 v48, v57, v48
	v_div_scale_f32 v57, vcc_lo, v27, v29, v27
	s_delay_alu instid0(VALU_DEP_1) | instskip(NEXT) | instid1(VALU_DEP_1)
	v_mul_f32_e32 v58, v57, v48
	v_fma_f32 v59, -v41, v58, v57
	s_delay_alu instid0(VALU_DEP_1) | instskip(NEXT) | instid1(VALU_DEP_1)
	v_fmac_f32_e32 v58, v59, v48
	v_fma_f32 v41, -v41, v58, v57
	s_delay_alu instid0(VALU_DEP_1) | instskip(NEXT) | instid1(VALU_DEP_1)
	v_div_fmas_f32 v41, v41, v48, v58
	v_div_fixup_f32 v27, v41, v29, v27
.LBB49_23:                              ;   in Loop: Header=BB49_4 Depth=1
	s_or_b32 exec_lo, exec_lo, s9
	v_sub_f32_e64 v41, 1.0, |v44|
	s_mov_b32 s9, exec_lo
                                        ; implicit-def: $vgpr29
	s_delay_alu instid0(VALU_DEP_1)
	v_cmpx_ngt_f32_e32 0, v41
	s_xor_b32 s9, exec_lo, s9
	s_cbranch_execz .LBB49_27
; %bb.24:                               ;   in Loop: Header=BB49_4 Depth=1
	v_mov_b32_e32 v29, v55
	s_mov_b32 s34, exec_lo
	v_cmpx_neq_f32_e32 0, v41
	s_cbranch_execz .LBB49_26
; %bb.25:                               ;   in Loop: Header=BB49_4 Depth=1
	v_mul_f32_e32 v29, v45, v45
	v_add_f32_e32 v41, v41, v49
	s_delay_alu instid0(VALU_DEP_1) | instskip(NEXT) | instid1(VALU_DEP_1)
	v_div_scale_f32 v48, null, v41, v41, v29
	v_rcp_f32_e32 v57, v48
	v_nop
	s_delay_alu instid0(TRANS32_DEP_1) | instskip(NEXT) | instid1(VALU_DEP_1)
	v_fma_f32 v58, -v48, v57, 1.0
	v_fmac_f32_e32 v57, v58, v57
	v_div_scale_f32 v58, vcc_lo, v29, v41, v29
	s_delay_alu instid0(VALU_DEP_1) | instskip(NEXT) | instid1(VALU_DEP_1)
	v_mul_f32_e32 v59, v58, v57
	v_fma_f32 v60, -v48, v59, v58
	s_delay_alu instid0(VALU_DEP_1) | instskip(NEXT) | instid1(VALU_DEP_1)
	v_fmac_f32_e32 v59, v60, v57
	v_fma_f32 v48, -v48, v59, v58
	s_delay_alu instid0(VALU_DEP_1) | instskip(NEXT) | instid1(VALU_DEP_1)
	v_div_fmas_f32 v48, v48, v57, v59
	v_div_fixup_f32 v29, v48, v41, v29
.LBB49_26:                              ;   in Loop: Header=BB49_4 Depth=1
	s_or_b32 exec_lo, exec_lo, s34
                                        ; implicit-def: $vgpr41
.LBB49_27:                              ;   in Loop: Header=BB49_4 Depth=1
	s_and_not1_saveexec_b32 s9, s9
; %bb.28:                               ;   in Loop: Header=BB49_4 Depth=1
	v_sub_f32_e32 v29, v49, v41
; %bb.29:                               ;   in Loop: Header=BB49_4 Depth=1
	s_or_b32 exec_lo, exec_lo, s9
	s_delay_alu instid0(VALU_DEP_1) | instskip(NEXT) | instid1(VALU_DEP_1)
	v_dual_mul_f32 v41, 0.5, v27 :: v_dual_mul_f32 v27, 0.5, v29
	v_pk_add_f32 v[58:59], v[40:41], v[26:27]
	s_delay_alu instid0(VALU_DEP_1) | instskip(NEXT) | instid1(VALU_DEP_1)
	v_mul_f32_e32 v27, v58, v59
	v_mul_f32_e32 v29, 0x4f800000, v27
	v_cmp_gt_f32_e32 vcc_lo, 0xf800000, v27
	s_delay_alu instid0(VALU_DEP_2) | instskip(NEXT) | instid1(VALU_DEP_1)
	v_cndmask_b32_e32 v27, v27, v29, vcc_lo
	v_sqrt_f32_e32 v29, v27
	v_nop
	s_delay_alu instid0(TRANS32_DEP_1) | instskip(NEXT) | instid1(VALU_DEP_1)
	v_dual_add_nc_u32 v41, -1, v29 :: v_dual_add_nc_u32 v48, 1, v29
	v_dual_fma_f32 v57, -v41, v29, v27 :: v_dual_fma_f32 v58, -v48, v29, v27
	s_delay_alu instid0(VALU_DEP_1) | instskip(NEXT) | instid1(VALU_DEP_1)
	v_cmp_ge_f32_e64 s9, 0, v57
	v_cndmask_b32_e64 v29, v29, v41, s9
	s_delay_alu instid0(VALU_DEP_3) | instskip(NEXT) | instid1(VALU_DEP_1)
	v_cmp_lt_f32_e64 s9, 0, v58
	v_cndmask_b32_e64 v29, v29, v48, s9
	s_delay_alu instid0(VALU_DEP_1) | instskip(NEXT) | instid1(VALU_DEP_1)
	v_mul_f32_e32 v41, 0x37800000, v29
	v_cndmask_b32_e32 v29, v29, v41, vcc_lo
	v_cmp_class_f32_e64 vcc_lo, v27, 0x260
	s_delay_alu instid0(VALU_DEP_2) | instskip(NEXT) | instid1(VALU_DEP_1)
	v_cndmask_b32_e32 v27, v29, v27, vcc_lo
	v_add_f32_e32 v58, v59, v27
	s_delay_alu instid0(VALU_DEP_1) | instskip(NEXT) | instid1(VALU_DEP_1)
	v_add_f32_e32 v61, 1.0, v58
	v_cvt_f64_f32_e32 v[62:63], v61
	v_frexp_mant_f32_e32 v29, v61
	v_add_f32_e32 v59, -1.0, v61
	s_delay_alu instid0(VALU_DEP_2) | instskip(NEXT) | instid1(VALU_DEP_2)
	v_cmp_gt_f32_e32 vcc_lo, 0x3f2aaaab, v29
	v_mov_b32_e32 v60, v59
	v_frexp_exp_i32_f64_e32 v27, v[62:63]
	s_delay_alu instid0(VALU_DEP_2) | instskip(NEXT) | instid1(VALU_DEP_1)
	v_pk_add_f32 v[62:63], v[58:59], v[60:61] neg_lo:[0,1] neg_hi:[0,1]
	v_add_f32_e32 v48, 1.0, v63
	s_delay_alu instid0(VALU_DEP_1) | instskip(NEXT) | instid1(VALU_DEP_4)
	v_add_f32_e32 v48, v62, v48
	v_subrev_co_ci_u32_e64 v27, null, 0, v27, vcc_lo
	v_cmp_neq_f32_e32 vcc_lo, 0x7f800000, v58
	s_delay_alu instid0(VALU_DEP_2) | instskip(NEXT) | instid1(VALU_DEP_1)
	v_sub_nc_u32_e32 v29, 0, v27
	v_ldexp_f32 v41, v61, v29
	v_ldexp_f32 v29, v48, v29
	s_delay_alu instid0(VALU_DEP_2) | instskip(NEXT) | instid1(VALU_DEP_1)
	v_add_f32_e32 v57, 1.0, v41
	v_add_f32_e32 v59, -1.0, v57
	s_delay_alu instid0(VALU_DEP_1) | instskip(NEXT) | instid1(VALU_DEP_1)
	v_dual_add_f32 v65, -1.0, v41 :: v_dual_sub_f32 v48, v41, v59
	v_dual_add_f32 v59, 1.0, v65 :: v_dual_add_f32 v48, v29, v48
	s_delay_alu instid0(VALU_DEP_1) | instskip(NEXT) | instid1(VALU_DEP_2)
	v_sub_f32_e32 v41, v41, v59
	v_add_f32_e32 v59, v57, v48
	s_delay_alu instid0(VALU_DEP_1) | instskip(NEXT) | instid1(VALU_DEP_1)
	v_sub_f32_e32 v57, v59, v57
	v_sub_f32_e32 v48, v48, v57
	s_delay_alu instid0(VALU_DEP_4) | instskip(SKIP_1) | instid1(VALU_DEP_1)
	v_add_f32_e32 v29, v29, v41
	v_rcp_f32_e32 v41, v59
	v_add_f32_e32 v61, v65, v29
	s_delay_alu instid0(TRANS32_DEP_1) | instid1(VALU_DEP_1)
	v_mul_f32_e32 v66, v61, v41
	s_delay_alu instid0(VALU_DEP_1) | instskip(NEXT) | instid1(VALU_DEP_1)
	v_mul_f32_e32 v62, v59, v66
	v_dual_fma_f32 v64, v66, v59, -v62 :: v_dual_sub_f32 v57, v61, v65
	s_delay_alu instid0(VALU_DEP_1) | instskip(NEXT) | instid1(VALU_DEP_1)
	v_dual_fmac_f32 v64, v66, v48 :: v_dual_sub_f32 v29, v29, v57
	v_add_f32_e32 v60, v62, v64
	s_delay_alu instid0(VALU_DEP_1) | instskip(NEXT) | instid1(VALU_DEP_1)
	v_dual_sub_f32 v63, v61, v60 :: v_dual_mov_b32 v65, v60
	v_pk_add_f32 v[60:61], v[60:61], v[62:63] neg_lo:[0,1] neg_hi:[0,1]
	s_delay_alu instid0(VALU_DEP_1) | instskip(NEXT) | instid1(VALU_DEP_1)
	v_pk_add_f32 v[60:61], v[60:61], v[64:65] neg_lo:[0,1] neg_hi:[0,1]
	v_add_f32_e32 v29, v29, v61
	s_delay_alu instid0(VALU_DEP_1) | instskip(NEXT) | instid1(VALU_DEP_1)
	v_add_f32_e32 v29, v60, v29
	v_add_f32_e32 v61, v63, v29
	s_delay_alu instid0(VALU_DEP_1) | instskip(NEXT) | instid1(VALU_DEP_1)
	v_mul_f32_e32 v57, v41, v61
	v_mul_f32_e32 v64, v59, v57
	s_delay_alu instid0(VALU_DEP_1) | instskip(NEXT) | instid1(VALU_DEP_1)
	v_fma_f32 v62, v57, v59, -v64
	v_dual_fmac_f32 v62, v57, v48 :: v_dual_sub_f32 v48, v63, v61
	s_delay_alu instid0(VALU_DEP_1) | instskip(NEXT) | instid1(VALU_DEP_1)
	v_dual_add_f32 v60, v64, v62 :: v_dual_add_f32 v29, v29, v48
	v_dual_add_f32 v48, v66, v57 :: v_dual_sub_f32 v65, v61, v60
	v_mov_b32_e32 v63, v60
	s_delay_alu instid0(VALU_DEP_2) | instskip(NEXT) | instid1(VALU_DEP_3)
	v_sub_f32_e32 v59, v48, v66
	v_pk_add_f32 v[60:61], v[60:61], v[64:65] neg_lo:[0,1] neg_hi:[0,1]
	s_delay_alu instid0(VALU_DEP_2) | instskip(NEXT) | instid1(VALU_DEP_2)
	v_sub_f32_e32 v57, v57, v59
	v_pk_add_f32 v[60:61], v[60:61], v[62:63] neg_lo:[0,1] neg_hi:[0,1]
	s_delay_alu instid0(VALU_DEP_1) | instskip(NEXT) | instid1(VALU_DEP_1)
	v_add_f32_e32 v29, v29, v61
	v_add_f32_e32 v29, v60, v29
	v_cvt_f32_i32_e32 v60, v27
	s_delay_alu instid0(VALU_DEP_2) | instskip(NEXT) | instid1(VALU_DEP_1)
	v_add_f32_e32 v29, v65, v29
	v_mul_f32_e32 v29, v41, v29
	s_delay_alu instid0(VALU_DEP_1) | instskip(NEXT) | instid1(VALU_DEP_1)
	v_add_f32_e32 v41, v57, v29
	v_add_f32_e32 v57, v48, v41
	s_delay_alu instid0(VALU_DEP_1) | instskip(SKIP_1) | instid1(VALU_DEP_2)
	v_dual_mul_f32 v29, v57, v57 :: v_dual_sub_f32 v27, v57, v48
	v_ldexp_f32 v65, v57, 1
	v_fmaak_f32 v59, s11, v29, 0x3ecc95a3
	v_mul_f32_e32 v61, v57, v29
	s_delay_alu instid0(VALU_DEP_4) | instskip(NEXT) | instid1(VALU_DEP_3)
	v_sub_f32_e32 v27, v41, v27
	v_fmaak_f32 v29, v29, v59, 0x3f2aaada
	s_delay_alu instid0(VALU_DEP_2) | instskip(NEXT) | instid1(VALU_DEP_2)
	v_ldexp_f32 v27, v27, 1
	v_pk_mul_f32 v[62:63], v[60:61], v[28:29]
	s_delay_alu instid0(VALU_DEP_1) | instskip(SKIP_1) | instid1(VALU_DEP_2)
	v_fma_f32 v64, 0x3f317218, v60, -v62
	v_mov_b32_e32 v66, v62
	v_fmac_f32_e32 v64, 0xb102e308, v60
	s_delay_alu instid0(VALU_DEP_1) | instskip(NEXT) | instid1(VALU_DEP_1)
	v_pk_add_f32 v[60:61], v[62:63], v[64:65]
	v_dual_sub_f32 v29, v61, v65 :: v_dual_mov_b32 v65, v60
	s_delay_alu instid0(VALU_DEP_1) | instskip(SKIP_1) | instid1(VALU_DEP_2)
	v_dual_mov_b32 v74, v61 :: v_dual_sub_f32 v29, v63, v29
	v_pk_add_f32 v[62:63], v[60:61], v[62:63] neg_lo:[0,1] neg_hi:[0,1]
	v_add_f32_e32 v67, v27, v29
	s_delay_alu instid0(VALU_DEP_1) | instskip(NEXT) | instid1(VALU_DEP_1)
	v_pk_add_f32 v[68:69], v[60:61], v[66:67]
	v_mov_b32_e32 v63, v69
	s_delay_alu instid0(VALU_DEP_1) | instskip(SKIP_2) | instid1(VALU_DEP_3)
	v_pk_add_f32 v[70:71], v[64:65], v[62:63]
	v_mov_b32_e32 v70, v69
	v_pk_add_f32 v[62:63], v[64:65], v[62:63] neg_lo:[0,1] neg_hi:[0,1]
	v_dual_mov_b32 v48, v71 :: v_dual_mov_b32 v63, v71
	s_delay_alu instid0(VALU_DEP_1) | instskip(SKIP_1) | instid1(VALU_DEP_2)
	v_pk_add_f32 v[72:73], v[48:49], v[60:61] neg_lo:[0,1] neg_hi:[0,1]
	v_dual_mov_b32 v61, v60 :: v_dual_mov_b32 v60, v67
	v_dual_mov_b32 v75, v72 :: v_dual_mov_b32 v27, v72
	s_delay_alu instid0(VALU_DEP_1) | instskip(NEXT) | instid1(VALU_DEP_2)
	v_pk_add_f32 v[66:67], v[70:71], v[74:75] neg_lo:[0,1] neg_hi:[0,1]
	v_pk_add_f32 v[64:65], v[68:69], v[26:27] neg_lo:[0,1] neg_hi:[0,1]
	v_mov_b32_e32 v64, v62
	s_delay_alu instid0(VALU_DEP_3) | instskip(NEXT) | instid1(VALU_DEP_1)
	v_pk_add_f32 v[60:61], v[60:61], v[66:67] neg_lo:[0,1] neg_hi:[0,1]
	v_pk_add_f32 v[64:65], v[64:65], v[60:61]
	s_delay_alu instid0(VALU_DEP_1) | instskip(NEXT) | instid1(VALU_DEP_1)
	v_mov_b32_e32 v66, v65
	v_pk_add_f32 v[66:67], v[64:65], v[66:67]
	s_delay_alu instid0(VALU_DEP_1) | instskip(NEXT) | instid1(VALU_DEP_1)
	v_pk_add_f32 v[68:69], v[48:49], v[66:67]
	v_dual_mov_b32 v61, v66 :: v_dual_mov_b32 v65, v68
	s_delay_alu instid0(VALU_DEP_1) | instskip(NEXT) | instid1(VALU_DEP_1)
	v_pk_add_f32 v[70:71], v[64:65], v[62:63] neg_lo:[0,1] neg_hi:[0,1]
	v_sub_f32_e32 v27, v64, v70
	s_delay_alu instid0(VALU_DEP_2) | instskip(NEXT) | instid1(VALU_DEP_2)
	v_pk_add_f32 v[60:61], v[60:61], v[70:71] neg_lo:[0,1] neg_hi:[0,1]
	v_sub_f32_e32 v27, v62, v27
	s_delay_alu instid0(VALU_DEP_1) | instskip(NEXT) | instid1(VALU_DEP_1)
	v_add_f32_e32 v27, v60, v27
	v_add_f32_e32 v27, v27, v61
	s_delay_alu instid0(VALU_DEP_1) | instskip(NEXT) | instid1(VALU_DEP_1)
	v_add_f32_e32 v27, v68, v27
	v_cndmask_b32_e32 v27, 0x7f800000, v27, vcc_lo
	v_cmp_ngt_f32_e32 vcc_lo, -1.0, v58
	s_delay_alu instid0(VALU_DEP_2) | instskip(SKIP_1) | instid1(VALU_DEP_2)
	v_cndmask_b32_e32 v27, 0x7fc00000, v27, vcc_lo
	v_cmp_neq_f32_e32 vcc_lo, -1.0, v58
	v_cndmask_b32_e32 v27, 0xff800000, v27, vcc_lo
	v_cmp_gt_f32_e64 vcc_lo, 0x33800000, |v58|
	s_delay_alu instid0(VALU_DEP_2)
	v_cndmask_b32_e32 v27, v27, v58, vcc_lo
.LBB49_30:                              ;   in Loop: Header=BB49_4 Depth=1
	s_and_not1_saveexec_b32 s33, s33
	s_cbranch_execz .LBB49_36
; %bb.31:                               ;   in Loop: Header=BB49_4 Depth=1
	s_mov_b32 s34, exec_lo
                                        ; implicit-def: $vgpr27
	v_cmpx_nlt_f32_e64 |v44|, 1.0
	s_xor_b32 s34, exec_lo, s34
	s_cbranch_execz .LBB49_33
; %bb.32:                               ;   in Loop: Header=BB49_4 Depth=1
	v_mul_f32_e32 v27, v53, v54
	s_delay_alu instid0(VALU_DEP_1) | instskip(SKIP_1) | instid1(VALU_DEP_2)
	v_mul_f32_e32 v29, 0x4f800000, v27
	v_cmp_gt_f32_e32 vcc_lo, 0xf800000, v27
	v_cndmask_b32_e32 v27, v27, v29, vcc_lo
	s_delay_alu instid0(VALU_DEP_1) | instskip(SKIP_1) | instid1(TRANS32_DEP_1)
	v_sqrt_f32_e32 v29, v27
	v_nop
	v_dual_add_nc_u32 v41, -1, v29 :: v_dual_add_nc_u32 v48, 1, v29
	s_delay_alu instid0(VALU_DEP_1) | instskip(NEXT) | instid1(VALU_DEP_1)
	v_dual_fma_f32 v57, -v41, v29, v27 :: v_dual_fma_f32 v58, -v48, v29, v27
	v_cmp_ge_f32_e64 s9, 0, v57
	s_delay_alu instid0(VALU_DEP_1) | instskip(NEXT) | instid1(VALU_DEP_3)
	v_cndmask_b32_e64 v29, v29, v41, s9
	v_cmp_lt_f32_e64 s9, 0, v58
	s_delay_alu instid0(VALU_DEP_1) | instskip(NEXT) | instid1(VALU_DEP_1)
	v_cndmask_b32_e64 v29, v29, v48, s9
	v_mul_f32_e32 v41, 0x37800000, v29
	s_delay_alu instid0(VALU_DEP_1) | instskip(SKIP_1) | instid1(VALU_DEP_2)
	v_cndmask_b32_e32 v29, v29, v41, vcc_lo
	v_cmp_class_f32_e64 vcc_lo, v27, 0x260
	v_cndmask_b32_e32 v27, v29, v27, vcc_lo
	s_delay_alu instid0(VALU_DEP_1) | instskip(NEXT) | instid1(VALU_DEP_1)
	v_add_f32_e32 v58, v53, v27
	v_add_f32_e32 v61, 1.0, v58
	s_delay_alu instid0(VALU_DEP_1) | instskip(SKIP_2) | instid1(VALU_DEP_2)
	v_cvt_f64_f32_e32 v[62:63], v61
	v_frexp_mant_f32_e32 v29, v61
	v_add_f32_e32 v59, -1.0, v61
	v_cmp_gt_f32_e32 vcc_lo, 0x3f2aaaab, v29
	s_delay_alu instid0(VALU_DEP_2) | instskip(SKIP_1) | instid1(VALU_DEP_2)
	v_mov_b32_e32 v60, v59
	v_frexp_exp_i32_f64_e32 v27, v[62:63]
	v_pk_add_f32 v[62:63], v[58:59], v[60:61] neg_lo:[0,1] neg_hi:[0,1]
	s_delay_alu instid0(VALU_DEP_1) | instskip(NEXT) | instid1(VALU_DEP_1)
	v_add_f32_e32 v48, 1.0, v63
	v_add_f32_e32 v48, v62, v48
	s_delay_alu instid0(VALU_DEP_4) | instskip(SKIP_1) | instid1(VALU_DEP_2)
	v_subrev_co_ci_u32_e64 v27, null, 0, v27, vcc_lo
	v_cmp_neq_f32_e32 vcc_lo, 0x7f800000, v58
	v_sub_nc_u32_e32 v29, 0, v27
	s_delay_alu instid0(VALU_DEP_1) | instskip(SKIP_1) | instid1(VALU_DEP_2)
	v_ldexp_f32 v41, v61, v29
	v_ldexp_f32 v29, v48, v29
	v_add_f32_e32 v57, 1.0, v41
	s_delay_alu instid0(VALU_DEP_1) | instskip(NEXT) | instid1(VALU_DEP_1)
	v_add_f32_e32 v59, -1.0, v57
	v_dual_add_f32 v65, -1.0, v41 :: v_dual_sub_f32 v48, v41, v59
	s_delay_alu instid0(VALU_DEP_1) | instskip(NEXT) | instid1(VALU_DEP_1)
	v_dual_add_f32 v59, 1.0, v65 :: v_dual_add_f32 v48, v29, v48
	v_sub_f32_e32 v41, v41, v59
	s_delay_alu instid0(VALU_DEP_2) | instskip(NEXT) | instid1(VALU_DEP_1)
	v_add_f32_e32 v59, v57, v48
	v_sub_f32_e32 v57, v59, v57
	s_delay_alu instid0(VALU_DEP_1) | instskip(NEXT) | instid1(VALU_DEP_4)
	v_sub_f32_e32 v48, v48, v57
	v_add_f32_e32 v29, v29, v41
	v_rcp_f32_e32 v41, v59
	s_delay_alu instid0(VALU_DEP_1)
	v_add_f32_e32 v61, v65, v29
	s_delay_alu instid0(TRANS32_DEP_1) | instid1(VALU_DEP_1)
	v_mul_f32_e32 v66, v61, v41
	s_delay_alu instid0(VALU_DEP_1) | instskip(NEXT) | instid1(VALU_DEP_1)
	v_mul_f32_e32 v62, v59, v66
	v_dual_fma_f32 v64, v66, v59, -v62 :: v_dual_sub_f32 v57, v61, v65
	s_delay_alu instid0(VALU_DEP_1) | instskip(NEXT) | instid1(VALU_DEP_1)
	v_dual_fmac_f32 v64, v66, v48 :: v_dual_sub_f32 v29, v29, v57
	v_add_f32_e32 v60, v62, v64
	s_delay_alu instid0(VALU_DEP_1) | instskip(NEXT) | instid1(VALU_DEP_1)
	v_dual_sub_f32 v63, v61, v60 :: v_dual_mov_b32 v65, v60
	v_pk_add_f32 v[60:61], v[60:61], v[62:63] neg_lo:[0,1] neg_hi:[0,1]
	s_delay_alu instid0(VALU_DEP_1) | instskip(NEXT) | instid1(VALU_DEP_1)
	v_pk_add_f32 v[60:61], v[60:61], v[64:65] neg_lo:[0,1] neg_hi:[0,1]
	v_add_f32_e32 v29, v29, v61
	s_delay_alu instid0(VALU_DEP_1) | instskip(NEXT) | instid1(VALU_DEP_1)
	v_add_f32_e32 v29, v60, v29
	v_add_f32_e32 v61, v63, v29
	s_delay_alu instid0(VALU_DEP_1) | instskip(NEXT) | instid1(VALU_DEP_1)
	v_mul_f32_e32 v57, v41, v61
	v_mul_f32_e32 v64, v59, v57
	s_delay_alu instid0(VALU_DEP_1) | instskip(NEXT) | instid1(VALU_DEP_1)
	v_fma_f32 v62, v57, v59, -v64
	v_dual_fmac_f32 v62, v57, v48 :: v_dual_sub_f32 v48, v63, v61
	s_delay_alu instid0(VALU_DEP_1) | instskip(NEXT) | instid1(VALU_DEP_1)
	v_dual_add_f32 v60, v64, v62 :: v_dual_add_f32 v29, v29, v48
	v_dual_add_f32 v48, v66, v57 :: v_dual_sub_f32 v65, v61, v60
	v_mov_b32_e32 v63, v60
	s_delay_alu instid0(VALU_DEP_2) | instskip(NEXT) | instid1(VALU_DEP_3)
	v_sub_f32_e32 v59, v48, v66
	v_pk_add_f32 v[60:61], v[60:61], v[64:65] neg_lo:[0,1] neg_hi:[0,1]
	s_delay_alu instid0(VALU_DEP_2) | instskip(NEXT) | instid1(VALU_DEP_2)
	v_sub_f32_e32 v57, v57, v59
	v_pk_add_f32 v[60:61], v[60:61], v[62:63] neg_lo:[0,1] neg_hi:[0,1]
	s_delay_alu instid0(VALU_DEP_1) | instskip(NEXT) | instid1(VALU_DEP_1)
	v_add_f32_e32 v29, v29, v61
	v_add_f32_e32 v29, v60, v29
	v_cvt_f32_i32_e32 v60, v27
	s_delay_alu instid0(VALU_DEP_2) | instskip(NEXT) | instid1(VALU_DEP_1)
	v_add_f32_e32 v29, v65, v29
	v_mul_f32_e32 v29, v41, v29
	s_delay_alu instid0(VALU_DEP_1) | instskip(NEXT) | instid1(VALU_DEP_1)
	v_add_f32_e32 v41, v57, v29
	v_add_f32_e32 v57, v48, v41
	s_delay_alu instid0(VALU_DEP_1) | instskip(SKIP_1) | instid1(VALU_DEP_2)
	v_dual_mul_f32 v29, v57, v57 :: v_dual_sub_f32 v27, v57, v48
	v_ldexp_f32 v65, v57, 1
	v_fmaak_f32 v59, s11, v29, 0x3ecc95a3
	v_mul_f32_e32 v61, v57, v29
	s_delay_alu instid0(VALU_DEP_4) | instskip(NEXT) | instid1(VALU_DEP_3)
	v_sub_f32_e32 v27, v41, v27
	v_fmaak_f32 v29, v29, v59, 0x3f2aaada
	s_delay_alu instid0(VALU_DEP_2) | instskip(NEXT) | instid1(VALU_DEP_2)
	v_ldexp_f32 v27, v27, 1
	v_pk_mul_f32 v[62:63], v[60:61], v[28:29]
	s_delay_alu instid0(VALU_DEP_1) | instskip(SKIP_1) | instid1(VALU_DEP_2)
	v_fma_f32 v64, 0x3f317218, v60, -v62
	v_mov_b32_e32 v66, v62
	v_fmac_f32_e32 v64, 0xb102e308, v60
	s_delay_alu instid0(VALU_DEP_1) | instskip(NEXT) | instid1(VALU_DEP_1)
	v_pk_add_f32 v[60:61], v[62:63], v[64:65]
	v_dual_sub_f32 v29, v61, v65 :: v_dual_mov_b32 v65, v60
	s_delay_alu instid0(VALU_DEP_1) | instskip(SKIP_1) | instid1(VALU_DEP_2)
	v_dual_mov_b32 v74, v61 :: v_dual_sub_f32 v29, v63, v29
	v_pk_add_f32 v[62:63], v[60:61], v[62:63] neg_lo:[0,1] neg_hi:[0,1]
	v_add_f32_e32 v67, v27, v29
	s_delay_alu instid0(VALU_DEP_1) | instskip(NEXT) | instid1(VALU_DEP_1)
	v_pk_add_f32 v[68:69], v[60:61], v[66:67]
	v_mov_b32_e32 v63, v69
	s_delay_alu instid0(VALU_DEP_1) | instskip(SKIP_2) | instid1(VALU_DEP_3)
	v_pk_add_f32 v[70:71], v[64:65], v[62:63]
	v_mov_b32_e32 v70, v69
	v_pk_add_f32 v[62:63], v[64:65], v[62:63] neg_lo:[0,1] neg_hi:[0,1]
	v_dual_mov_b32 v48, v71 :: v_dual_mov_b32 v63, v71
	s_delay_alu instid0(VALU_DEP_1) | instskip(SKIP_1) | instid1(VALU_DEP_2)
	v_pk_add_f32 v[72:73], v[48:49], v[60:61] neg_lo:[0,1] neg_hi:[0,1]
	v_dual_mov_b32 v61, v60 :: v_dual_mov_b32 v60, v67
	v_dual_mov_b32 v75, v72 :: v_dual_mov_b32 v27, v72
	s_delay_alu instid0(VALU_DEP_1) | instskip(NEXT) | instid1(VALU_DEP_2)
	v_pk_add_f32 v[66:67], v[70:71], v[74:75] neg_lo:[0,1] neg_hi:[0,1]
	v_pk_add_f32 v[64:65], v[68:69], v[26:27] neg_lo:[0,1] neg_hi:[0,1]
	v_mov_b32_e32 v64, v62
	s_delay_alu instid0(VALU_DEP_3) | instskip(NEXT) | instid1(VALU_DEP_1)
	v_pk_add_f32 v[60:61], v[60:61], v[66:67] neg_lo:[0,1] neg_hi:[0,1]
	v_pk_add_f32 v[64:65], v[64:65], v[60:61]
	s_delay_alu instid0(VALU_DEP_1) | instskip(NEXT) | instid1(VALU_DEP_1)
	v_mov_b32_e32 v66, v65
	v_pk_add_f32 v[66:67], v[64:65], v[66:67]
	s_delay_alu instid0(VALU_DEP_1) | instskip(NEXT) | instid1(VALU_DEP_1)
	v_pk_add_f32 v[68:69], v[48:49], v[66:67]
	v_dual_mov_b32 v61, v66 :: v_dual_mov_b32 v65, v68
	s_delay_alu instid0(VALU_DEP_1) | instskip(NEXT) | instid1(VALU_DEP_1)
	v_pk_add_f32 v[70:71], v[64:65], v[62:63] neg_lo:[0,1] neg_hi:[0,1]
	v_sub_f32_e32 v27, v64, v70
	s_delay_alu instid0(VALU_DEP_2) | instskip(NEXT) | instid1(VALU_DEP_2)
	v_pk_add_f32 v[60:61], v[60:61], v[70:71] neg_lo:[0,1] neg_hi:[0,1]
	v_sub_f32_e32 v27, v62, v27
	s_delay_alu instid0(VALU_DEP_1) | instskip(NEXT) | instid1(VALU_DEP_1)
	v_add_f32_e32 v27, v60, v27
	v_add_f32_e32 v27, v27, v61
	s_delay_alu instid0(VALU_DEP_1) | instskip(NEXT) | instid1(VALU_DEP_1)
	v_add_f32_e32 v27, v68, v27
	v_cndmask_b32_e32 v27, 0x7f800000, v27, vcc_lo
	v_cmp_ngt_f32_e32 vcc_lo, -1.0, v58
	s_delay_alu instid0(VALU_DEP_2) | instskip(SKIP_1) | instid1(VALU_DEP_2)
	v_cndmask_b32_e32 v27, 0x7fc00000, v27, vcc_lo
	v_cmp_neq_f32_e32 vcc_lo, -1.0, v58
	v_cndmask_b32_e32 v27, 0xff800000, v27, vcc_lo
	v_cmp_gt_f32_e64 vcc_lo, 0x33800000, |v58|
	s_delay_alu instid0(VALU_DEP_2)
	v_cndmask_b32_e32 v27, v27, v58, vcc_lo
.LBB49_33:                              ;   in Loop: Header=BB49_4 Depth=1
	s_and_not1_saveexec_b32 s34, s34
	s_cbranch_execz .LBB49_35
; %bb.34:                               ;   in Loop: Header=BB49_4 Depth=1
	v_sub_f32_e64 v27, 1.0, |v44|
	s_delay_alu instid0(VALU_DEP_1) | instskip(NEXT) | instid1(VALU_DEP_1)
	v_mul_f32_e32 v27, v27, v54
	v_mul_f32_e32 v29, 0x4f800000, v27
	v_cmp_gt_f32_e32 vcc_lo, 0xf800000, v27
	s_delay_alu instid0(VALU_DEP_2) | instskip(NEXT) | instid1(VALU_DEP_1)
	v_cndmask_b32_e32 v27, v27, v29, vcc_lo
	v_sqrt_f32_e32 v29, v27
	v_nop
	s_delay_alu instid0(TRANS32_DEP_1) | instskip(NEXT) | instid1(VALU_DEP_1)
	v_dual_add_nc_u32 v41, -1, v29 :: v_dual_add_nc_u32 v48, 1, v29
	v_dual_fma_f32 v57, -v41, v29, v27 :: v_dual_fma_f32 v58, -v48, v29, v27
	s_delay_alu instid0(VALU_DEP_1) | instskip(NEXT) | instid1(VALU_DEP_1)
	v_cmp_ge_f32_e64 s9, 0, v57
	v_cndmask_b32_e64 v29, v29, v41, s9
	s_delay_alu instid0(VALU_DEP_3) | instskip(NEXT) | instid1(VALU_DEP_1)
	v_cmp_lt_f32_e64 s9, 0, v58
	v_cndmask_b32_e64 v29, v29, v48, s9
	s_delay_alu instid0(VALU_DEP_1) | instskip(NEXT) | instid1(VALU_DEP_1)
	v_mul_f32_e32 v41, 0x37800000, v29
	v_cndmask_b32_e32 v29, v29, v41, vcc_lo
	v_cmp_class_f32_e64 vcc_lo, v27, 0x260
	v_and_b32_e32 v41, 0x7fffffff, v45
	s_delay_alu instid0(VALU_DEP_3) | instskip(NEXT) | instid1(VALU_DEP_1)
	v_cndmask_b32_e32 v27, v29, v27, vcc_lo
	v_div_scale_f32 v29, null, v27, v27, v41
	v_div_scale_f32 v41, vcc_lo, v41, v27, v41
	s_delay_alu instid0(VALU_DEP_2) | instskip(SKIP_1) | instid1(TRANS32_DEP_1)
	v_rcp_f32_e32 v48, v29
	v_nop
	v_fma_f32 v57, -v29, v48, 1.0
	s_delay_alu instid0(VALU_DEP_1) | instskip(NEXT) | instid1(VALU_DEP_1)
	v_fmac_f32_e32 v48, v57, v48
	v_mul_f32_e32 v57, v41, v48
	s_delay_alu instid0(VALU_DEP_1) | instskip(NEXT) | instid1(VALU_DEP_1)
	v_fma_f32 v58, -v29, v57, v41
	v_fmac_f32_e32 v57, v58, v48
	s_delay_alu instid0(VALU_DEP_1) | instskip(NEXT) | instid1(VALU_DEP_1)
	v_fma_f32 v29, -v29, v57, v41
	v_div_fmas_f32 v29, v29, v48, v57
	s_delay_alu instid0(VALU_DEP_1)
	v_div_fixup_f32 v27, v29, v27, |v45|
.LBB49_35:                              ;   in Loop: Header=BB49_4 Depth=1
	s_or_b32 exec_lo, exec_lo, s34
.LBB49_36:                              ;   in Loop: Header=BB49_4 Depth=1
	s_delay_alu instid0(SALU_CYCLE_1)
	s_or_b32 exec_lo, exec_lo, s33
.LBB49_37:                              ;   in Loop: Header=BB49_4 Depth=1
	s_and_not1_saveexec_b32 s31, s31
	s_cbranch_execz .LBB49_39
; %bb.38:                               ;   in Loop: Header=BB49_4 Depth=1
	v_mul_f32_e64 v27, 0x4f800000, |v45|
	v_cmp_gt_f32_e64 vcc_lo, 0xf800000, |v45|
	s_delay_alu instid0(VALU_DEP_1) | instskip(NEXT) | instid1(VALU_DEP_1)
	v_cndmask_b32_e64 v27, |v45|, v27, vcc_lo
	v_sqrt_f32_e32 v29, v27
	v_nop
	s_delay_alu instid0(TRANS32_DEP_1) | instskip(NEXT) | instid1(VALU_DEP_1)
	v_dual_add_nc_u32 v41, -1, v29 :: v_dual_add_nc_u32 v48, 1, v29
	v_dual_fma_f32 v57, -v41, v29, v27 :: v_dual_fma_f32 v58, -v48, v29, v27
	s_delay_alu instid0(VALU_DEP_1) | instskip(NEXT) | instid1(VALU_DEP_1)
	v_cmp_ge_f32_e64 s9, 0, v57
	v_cndmask_b32_e64 v29, v29, v41, s9
	s_delay_alu instid0(VALU_DEP_3) | instskip(NEXT) | instid1(VALU_DEP_1)
	v_cmp_lt_f32_e64 s9, 0, v58
	v_cndmask_b32_e64 v29, v29, v48, s9
	s_delay_alu instid0(VALU_DEP_1) | instskip(NEXT) | instid1(VALU_DEP_1)
	v_mul_f32_e32 v41, 0x37800000, v29
	v_cndmask_b32_e32 v29, v29, v41, vcc_lo
	v_cmp_class_f32_e64 vcc_lo, v27, 0x260
	s_delay_alu instid0(VALU_DEP_2)
	v_cndmask_b32_e32 v27, v29, v27, vcc_lo
.LBB49_39:                              ;   in Loop: Header=BB49_4 Depth=1
	s_or_b32 exec_lo, exec_lo, s31
.LBB49_40:                              ;   in Loop: Header=BB49_4 Depth=1
	s_delay_alu instid0(SALU_CYCLE_1)
	s_or_b32 exec_lo, exec_lo, s10
	v_and_b32_e32 v48, 0x7fffffff, v44
	s_mov_b32 s31, exec_lo
                                        ; implicit-def: $sgpr9
                                        ; implicit-def: $vgpr29
	v_cmpx_ngt_f32_e64 0x21000000, |v44|
	s_xor_b32 s31, exec_lo, s31
	s_cbranch_execz .LBB49_64
; %bb.41:                               ;   in Loop: Header=BB49_4 Depth=1
	v_div_scale_f32 v29, null, v40, v40, v48
	s_mov_b32 s9, 0
	s_mov_b32 s33, exec_lo
	v_rcp_f32_e32 v41, v29
	v_nop
	s_delay_alu instid0(TRANS32_DEP_1) | instskip(NEXT) | instid1(VALU_DEP_1)
	v_fma_f32 v57, -v29, v41, 1.0
	v_fmac_f32_e32 v41, v57, v41
	v_div_scale_f32 v57, vcc_lo, v48, v40, v48
	s_delay_alu instid0(VALU_DEP_1) | instskip(NEXT) | instid1(VALU_DEP_1)
	v_mul_f32_e32 v58, v57, v41
	v_fma_f32 v59, -v29, v58, v57
	s_delay_alu instid0(VALU_DEP_1) | instskip(NEXT) | instid1(VALU_DEP_1)
	v_fmac_f32_e32 v58, v59, v41
	v_fma_f32 v29, -v29, v58, v57
	s_delay_alu instid0(VALU_DEP_1) | instskip(NEXT) | instid1(VALU_DEP_1)
	v_div_fmas_f32 v29, v29, v41, v58
	v_div_fixup_f32 v29, v29, v40, |v44|
	s_delay_alu instid0(VALU_DEP_1)
	v_cmpx_lt_f32_e32 0x3f244674, v29
	s_cbranch_execz .LBB49_63
; %bb.42:                               ;   in Loop: Header=BB49_4 Depth=1
	v_cmp_neq_f32_e64 s9, |v44|, 1.0
	v_cmp_ngt_f32_e64 s10, 0x30800000, |v45|
	s_or_b32 s9, s10, s9
	s_delay_alu instid0(SALU_CYCLE_1) | instskip(NEXT) | instid1(SALU_CYCLE_1)
	s_and_saveexec_b32 s10, s9
	s_xor_b32 s10, exec_lo, s10
	s_cbranch_execz .LBB49_60
; %bb.43:                               ;   in Loop: Header=BB49_4 Depth=1
	v_mul_f32_e64 v41, 0x34000000, |v53|
	s_mov_b32 s34, exec_lo
	s_delay_alu instid0(VALU_DEP_1)
	v_cmpx_ge_f32_e64 |v45|, v41
	s_xor_b32 s34, exec_lo, s34
	s_cbranch_execz .LBB49_53
; %bb.44:                               ;   in Loop: Header=BB49_4 Depth=1
	v_mov_b32_e32 v41, v55
	s_mov_b32 s9, exec_lo
	v_cmpx_neq_f32_e32 0, v54
	s_cbranch_execz .LBB49_46
; %bb.45:                               ;   in Loop: Header=BB49_4 Depth=1
	v_dual_mul_f32 v41, v45, v45 :: v_dual_add_f32 v54, v54, v56
	s_delay_alu instid0(VALU_DEP_1) | instskip(NEXT) | instid1(VALU_DEP_1)
	v_div_scale_f32 v56, null, v54, v54, v41
	v_rcp_f32_e32 v57, v56
	v_nop
	s_delay_alu instid0(TRANS32_DEP_1) | instskip(NEXT) | instid1(VALU_DEP_1)
	v_fma_f32 v58, -v56, v57, 1.0
	v_fmac_f32_e32 v57, v58, v57
	v_div_scale_f32 v58, vcc_lo, v41, v54, v41
	s_delay_alu instid0(VALU_DEP_1) | instskip(NEXT) | instid1(VALU_DEP_1)
	v_mul_f32_e32 v59, v58, v57
	v_fma_f32 v60, -v56, v59, v58
	s_delay_alu instid0(VALU_DEP_1) | instskip(NEXT) | instid1(VALU_DEP_1)
	v_fmac_f32_e32 v59, v60, v57
	v_fma_f32 v56, -v56, v59, v58
	s_delay_alu instid0(VALU_DEP_1) | instskip(NEXT) | instid1(VALU_DEP_1)
	v_div_fmas_f32 v56, v56, v57, v59
	v_div_fixup_f32 v41, v56, v54, v41
.LBB49_46:                              ;   in Loop: Header=BB49_4 Depth=1
	s_or_b32 exec_lo, exec_lo, s9
	s_delay_alu instid0(SALU_CYCLE_1)
	s_mov_b32 s9, exec_lo
	v_cmpx_ngt_f32_e32 0, v53
	s_xor_b32 s9, exec_lo, s9
	s_cbranch_execz .LBB49_50
; %bb.47:                               ;   in Loop: Header=BB49_4 Depth=1
	s_mov_b32 s35, exec_lo
	v_cmpx_neq_f32_e32 0, v53
	s_cbranch_execz .LBB49_49
; %bb.48:                               ;   in Loop: Header=BB49_4 Depth=1
	v_mul_f32_e32 v45, v45, v45
	v_add_f32_e32 v49, v53, v49
	s_delay_alu instid0(VALU_DEP_1) | instskip(NEXT) | instid1(VALU_DEP_1)
	v_div_scale_f32 v53, null, v49, v49, v45
	v_rcp_f32_e32 v54, v53
	v_nop
	s_delay_alu instid0(TRANS32_DEP_1) | instskip(NEXT) | instid1(VALU_DEP_1)
	v_fma_f32 v55, -v53, v54, 1.0
	v_fmac_f32_e32 v54, v55, v54
	v_div_scale_f32 v55, vcc_lo, v45, v49, v45
	s_delay_alu instid0(VALU_DEP_1) | instskip(NEXT) | instid1(VALU_DEP_1)
	v_mul_f32_e32 v56, v55, v54
	v_fma_f32 v57, -v53, v56, v55
	s_delay_alu instid0(VALU_DEP_1) | instskip(NEXT) | instid1(VALU_DEP_1)
	v_fmac_f32_e32 v56, v57, v54
	v_fma_f32 v53, -v53, v56, v55
	s_delay_alu instid0(VALU_DEP_1) | instskip(NEXT) | instid1(VALU_DEP_1)
	v_div_fmas_f32 v53, v53, v54, v56
	v_div_fixup_f32 v55, v53, v49, v45
.LBB49_49:                              ;   in Loop: Header=BB49_4 Depth=1
	s_or_b32 exec_lo, exec_lo, s35
                                        ; implicit-def: $vgpr49
                                        ; implicit-def: $vgpr53
.LBB49_50:                              ;   in Loop: Header=BB49_4 Depth=1
	s_and_not1_saveexec_b32 s9, s9
; %bb.51:                               ;   in Loop: Header=BB49_4 Depth=1
	v_sub_f32_e32 v55, v49, v53
; %bb.52:                               ;   in Loop: Header=BB49_4 Depth=1
	s_or_b32 exec_lo, exec_lo, s9
	s_delay_alu instid0(VALU_DEP_1) | instskip(SKIP_1) | instid1(VALU_DEP_1)
	v_dual_mul_f32 v45, 0.5, v41 :: v_dual_mul_f32 v41, 0.5, v55
	v_and_b32_e32 v44, 0x7fffffff, v44
                                        ; implicit-def: $vgpr54
	v_pk_add_f32 v[40:41], v[44:45], v[40:41]
	s_delay_alu instid0(VALU_DEP_1) | instskip(NEXT) | instid1(VALU_DEP_1)
	v_mul_f32_e32 v40, v40, v41
	v_mul_f32_e32 v41, 0x4f800000, v40
	v_cmp_gt_f32_e32 vcc_lo, 0xf800000, v40
	s_delay_alu instid0(VALU_DEP_2) | instskip(NEXT) | instid1(VALU_DEP_1)
	v_cndmask_b32_e32 v40, v40, v41, vcc_lo
	v_sqrt_f32_e32 v41, v40
	v_nop
	s_delay_alu instid0(TRANS32_DEP_1) | instskip(NEXT) | instid1(VALU_DEP_1)
	v_dual_add_nc_u32 v44, -1, v41 :: v_dual_add_nc_u32 v45, 1, v41
	v_dual_fma_f32 v49, -v44, v41, v40 :: v_dual_fma_f32 v53, -v45, v41, v40
	s_delay_alu instid0(VALU_DEP_1) | instskip(NEXT) | instid1(VALU_DEP_1)
	v_cmp_ge_f32_e64 s9, 0, v49
	v_cndmask_b32_e64 v41, v41, v44, s9
	s_delay_alu instid0(VALU_DEP_3) | instskip(NEXT) | instid1(VALU_DEP_1)
	v_cmp_lt_f32_e64 s9, 0, v53
                                        ; implicit-def: $vgpr53
	v_cndmask_b32_e64 v41, v41, v45, s9
	s_delay_alu instid0(VALU_DEP_1) | instskip(NEXT) | instid1(VALU_DEP_1)
	v_mul_f32_e32 v44, 0x37800000, v41
	v_cndmask_b32_e32 v41, v41, v44, vcc_lo
	v_cmp_class_f32_e64 vcc_lo, v40, 0x260
                                        ; implicit-def: $vgpr45
	s_delay_alu instid0(VALU_DEP_2)
	v_cndmask_b32_e32 v49, v41, v40, vcc_lo
.LBB49_53:                              ;   in Loop: Header=BB49_4 Depth=1
	s_and_not1_saveexec_b32 s34, s34
	s_cbranch_execz .LBB49_59
; %bb.54:                               ;   in Loop: Header=BB49_4 Depth=1
	s_mov_b32 s35, exec_lo
	v_cmpx_ngt_f32_e64 |v44|, 1.0
	s_xor_b32 s35, exec_lo, s35
	s_cbranch_execz .LBB49_56
; %bb.55:                               ;   in Loop: Header=BB49_4 Depth=1
	v_sub_f32_e64 v40, 1.0, |v44|
	s_delay_alu instid0(VALU_DEP_1) | instskip(NEXT) | instid1(VALU_DEP_1)
	v_mul_f32_e32 v40, v40, v54
                                        ; implicit-def: $vgpr54
	v_mul_f32_e32 v41, 0x4f800000, v40
	v_cmp_gt_f32_e32 vcc_lo, 0xf800000, v40
	s_delay_alu instid0(VALU_DEP_2) | instskip(NEXT) | instid1(VALU_DEP_1)
	v_cndmask_b32_e32 v40, v40, v41, vcc_lo
	v_sqrt_f32_e32 v41, v40
	v_nop
	s_delay_alu instid0(TRANS32_DEP_1) | instskip(NEXT) | instid1(VALU_DEP_1)
	v_dual_add_nc_u32 v44, -1, v41 :: v_dual_add_nc_u32 v45, 1, v41
	v_dual_fma_f32 v49, -v44, v41, v40 :: v_dual_fma_f32 v53, -v45, v41, v40
	s_delay_alu instid0(VALU_DEP_1) | instskip(NEXT) | instid1(VALU_DEP_1)
	v_cmp_ge_f32_e64 s9, 0, v49
	v_cndmask_b32_e64 v41, v41, v44, s9
	s_delay_alu instid0(VALU_DEP_3) | instskip(NEXT) | instid1(VALU_DEP_1)
	v_cmp_lt_f32_e64 s9, 0, v53
                                        ; implicit-def: $vgpr53
	v_cndmask_b32_e64 v41, v41, v45, s9
	s_delay_alu instid0(VALU_DEP_1) | instskip(NEXT) | instid1(VALU_DEP_1)
	v_mul_f32_e32 v44, 0x37800000, v41
	v_cndmask_b32_e32 v41, v41, v44, vcc_lo
	v_cmp_class_f32_e64 vcc_lo, v40, 0x260
                                        ; implicit-def: $vgpr45
	s_delay_alu instid0(VALU_DEP_2)
	v_cndmask_b32_e32 v49, v41, v40, vcc_lo
.LBB49_56:                              ;   in Loop: Header=BB49_4 Depth=1
	s_and_not1_saveexec_b32 s35, s35
	s_cbranch_execz .LBB49_58
; %bb.57:                               ;   in Loop: Header=BB49_4 Depth=1
	v_mul_f32_e32 v40, v54, v53
	v_mul_f32_e64 v45, 0x57800000, |v45|
	s_delay_alu instid0(VALU_DEP_2) | instskip(SKIP_1) | instid1(VALU_DEP_3)
	v_mul_f32_e32 v41, 0x4f800000, v40
	v_cmp_gt_f32_e32 vcc_lo, 0xf800000, v40
	v_mul_f32_e64 v45, |v44|, v45
	s_delay_alu instid0(VALU_DEP_3) | instskip(NEXT) | instid1(VALU_DEP_1)
	v_cndmask_b32_e32 v40, v40, v41, vcc_lo
	v_sqrt_f32_e32 v41, v40
	v_nop
	s_delay_alu instid0(TRANS32_DEP_1) | instskip(NEXT) | instid1(VALU_DEP_1)
	v_dual_add_nc_u32 v48, -1, v41 :: v_dual_add_nc_u32 v49, 1, v41
	v_dual_fma_f32 v53, -v48, v41, v40 :: v_dual_fma_f32 v54, -v49, v41, v40
	s_delay_alu instid0(VALU_DEP_1) | instskip(NEXT) | instid1(VALU_DEP_1)
	v_cmp_ge_f32_e64 s9, 0, v53
	v_cndmask_b32_e64 v41, v41, v48, s9
	s_delay_alu instid0(VALU_DEP_3) | instskip(NEXT) | instid1(VALU_DEP_1)
	v_cmp_lt_f32_e64 s9, 0, v54
	v_cndmask_b32_e64 v41, v41, v49, s9
	s_delay_alu instid0(VALU_DEP_1) | instskip(NEXT) | instid1(VALU_DEP_1)
	v_mul_f32_e32 v48, 0x37800000, v41
	v_cndmask_b32_e32 v41, v41, v48, vcc_lo
	v_cmp_class_f32_e64 vcc_lo, v40, 0x260
	s_delay_alu instid0(VALU_DEP_2) | instskip(NEXT) | instid1(VALU_DEP_1)
	v_cndmask_b32_e32 v40, v41, v40, vcc_lo
	v_div_scale_f32 v41, null, v40, v40, v45
	v_div_scale_f32 v53, vcc_lo, v45, v40, v45
	s_delay_alu instid0(VALU_DEP_2) | instskip(SKIP_1) | instid1(TRANS32_DEP_1)
	v_rcp_f32_e32 v48, v41
	v_nop
	v_fma_f32 v49, -v41, v48, 1.0
	s_delay_alu instid0(VALU_DEP_1) | instskip(NEXT) | instid1(VALU_DEP_1)
	v_fmac_f32_e32 v48, v49, v48
	v_mul_f32_e32 v49, v53, v48
	s_delay_alu instid0(VALU_DEP_1) | instskip(NEXT) | instid1(VALU_DEP_1)
	v_fma_f32 v54, -v41, v49, v53
	v_fmac_f32_e32 v49, v54, v48
	s_delay_alu instid0(VALU_DEP_1) | instskip(NEXT) | instid1(VALU_DEP_1)
	v_fma_f32 v41, -v41, v49, v53
	v_div_fmas_f32 v41, v41, v48, v49
	v_mul_f32_e64 v48, 0x57800000, |v44|
	s_delay_alu instid0(VALU_DEP_2)
	v_div_fixup_f32 v49, v41, v40, v45
.LBB49_58:                              ;   in Loop: Header=BB49_4 Depth=1
	s_or_b32 exec_lo, exec_lo, s35
.LBB49_59:                              ;   in Loop: Header=BB49_4 Depth=1
	s_delay_alu instid0(SALU_CYCLE_1)
	s_or_b32 exec_lo, exec_lo, s34
                                        ; implicit-def: $vgpr45
                                        ; implicit-def: $vgpr40
.LBB49_60:                              ;   in Loop: Header=BB49_4 Depth=1
	s_and_not1_saveexec_b32 s34, s10
	s_cbranch_execz .LBB49_62
; %bb.61:                               ;   in Loop: Header=BB49_4 Depth=1
	v_add_f32_e32 v40, 1.0, v40
	v_mul_f32_e64 v41, 0x4f800000, |v45|
	v_cmp_gt_f32_e64 vcc_lo, 0xf800000, |v45|
	s_delay_alu instid0(VALU_DEP_3) | instskip(NEXT) | instid1(VALU_DEP_2)
	v_mul_f32_e32 v40, 0.5, v40
	v_cndmask_b32_e64 v41, |v45|, v41, vcc_lo
	s_delay_alu instid0(VALU_DEP_2) | instskip(SKIP_1) | instid1(VALU_DEP_1)
	v_mul_f32_e32 v44, 0x4f800000, v40
	v_cmp_gt_f32_e64 s9, 0xf800000, v40
	v_cndmask_b32_e64 v40, v40, v44, s9
	s_delay_alu instid0(VALU_DEP_4) | instskip(SKIP_1) | instid1(TRANS32_DEP_1)
	v_sqrt_f32_e32 v44, v41
	v_nop
	v_add_nc_u32_e32 v48, -1, v44
	s_delay_alu instid0(VALU_DEP_3) | instskip(NEXT) | instid1(VALU_DEP_1)
	v_sqrt_f32_e32 v45, v40
	v_dual_add_nc_u32 v53, 1, v44 :: v_dual_fma_f32 v54, -v48, v44, v41
	s_delay_alu instid0(TRANS32_DEP_1) | instskip(NEXT) | instid1(VALU_DEP_2)
	v_dual_add_nc_u32 v49, -1, v45 :: v_dual_add_nc_u32 v55, 1, v45
	v_cmp_ge_f32_e64 s10, 0, v54
	s_delay_alu instid0(VALU_DEP_3) | instskip(NEXT) | instid1(VALU_DEP_2)
	v_fma_f32 v57, -v53, v44, v41
	v_dual_fma_f32 v56, -v49, v45, v40 :: v_dual_cndmask_b32 v44, v44, v48, s10
	s_delay_alu instid0(VALU_DEP_4) | instskip(NEXT) | instid1(VALU_DEP_2)
	v_fma_f32 v48, -v55, v45, v40
	v_cmp_ge_f32_e64 s10, 0, v56
	s_delay_alu instid0(VALU_DEP_1) | instskip(SKIP_1) | instid1(VALU_DEP_1)
	v_cndmask_b32_e64 v45, v45, v49, s10
	v_cmp_lt_f32_e64 s10, 0, v57
	v_cndmask_b32_e64 v44, v44, v53, s10
	v_cmp_lt_f32_e64 s10, 0, v48
	s_delay_alu instid0(VALU_DEP_2) | instskip(NEXT) | instid1(VALU_DEP_1)
	v_mul_f32_e32 v48, 0x37800000, v44
	v_dual_cndmask_b32 v44, v44, v48, vcc_lo :: v_dual_cndmask_b32 v45, v45, v55, s10
	v_cmp_class_f32_e64 vcc_lo, v41, 0x260
	s_delay_alu instid0(VALU_DEP_2) | instskip(NEXT) | instid1(VALU_DEP_1)
	v_dual_mov_b32 v48, 1.0 :: v_dual_mul_f32 v49, 0x37800000, v45
	v_cndmask_b32_e64 v45, v45, v49, s9
	s_delay_alu instid0(VALU_DEP_4) | instskip(SKIP_1) | instid1(VALU_DEP_3)
	v_cndmask_b32_e32 v41, v44, v41, vcc_lo
	v_cmp_class_f32_e64 vcc_lo, v40, 0x260
	v_cndmask_b32_e32 v40, v45, v40, vcc_lo
	s_delay_alu instid0(VALU_DEP_1)
	v_mul_f32_e32 v49, v41, v40
.LBB49_62:                              ;   in Loop: Header=BB49_4 Depth=1
	s_or_b32 exec_lo, exec_lo, s34
	s_delay_alu instid0(SALU_CYCLE_1)
	s_mov_b32 s9, exec_lo
.LBB49_63:                              ;   in Loop: Header=BB49_4 Depth=1
	s_or_b32 exec_lo, exec_lo, s33
                                        ; implicit-def: $vgpr40
.LBB49_64:                              ;   in Loop: Header=BB49_4 Depth=1
	s_and_not1_saveexec_b32 s10, s31
; %bb.65:                               ;   in Loop: Header=BB49_4 Depth=1
	v_mov_b32_e32 v49, v40
	s_or_b32 s9, s9, exec_lo
                                        ; implicit-def: $vgpr29
	s_delay_alu instid0(VALU_DEP_1)
	v_pk_mul_f32 v[48:49], v[48:49], s[22:23] op_sel_hi:[1,0]
; %bb.66:                               ;   in Loop: Header=BB49_4 Depth=1
	s_or_b32 exec_lo, exec_lo, s10
	s_xor_b32 s9, s9, -1
                                        ; implicit-def: $vgpr40
	s_delay_alu instid0(SALU_CYCLE_1) | instskip(NEXT) | instid1(SALU_CYCLE_1)
	s_and_saveexec_b32 s10, s9
	s_xor_b32 s10, exec_lo, s10
	s_cbranch_execz .LBB49_72
; %bb.67:                               ;   in Loop: Header=BB49_4 Depth=1
	v_fma_f32 v44, |v29|, -0.5, 0.5
	v_mul_f32_e32 v41, v29, v29
                                        ; implicit-def: $vgpr40
	s_and_saveexec_b32 s9, s8
	s_delay_alu instid0(SALU_CYCLE_1)
	s_xor_b32 s9, exec_lo, s9
	s_cbranch_execz .LBB49_69
; %bb.68:                               ;   in Loop: Header=BB49_4 Depth=1
	v_cmp_gt_f32_e64 vcc_lo, |v29|, 0.5
	v_cndmask_b32_e32 v40, v41, v44, vcc_lo
	s_delay_alu instid0(VALU_DEP_1) | instskip(SKIP_1) | instid1(VALU_DEP_1)
	v_sqrt_f32_e32 v44, v40
	v_fmaak_f32 v41, s23, v40, 0x3c5fc5da
	v_fmaak_f32 v41, v40, v41, 0x3d034c3c
	s_delay_alu instid0(VALU_DEP_1) | instskip(NEXT) | instid1(VALU_DEP_1)
	v_fmaak_f32 v41, v40, v41, 0x3d3641b1
	v_fmaak_f32 v41, v40, v41, 0x3d999bc8
	s_delay_alu instid0(VALU_DEP_1) | instskip(NEXT) | instid1(VALU_DEP_1)
	v_fmaak_f32 v41, v40, v41, 0x3e2aaaac
	v_mul_f32_e32 v40, v40, v41
                                        ; implicit-def: $vgpr41
	s_delay_alu instid0(VALU_DEP_1) | instskip(NEXT) | instid1(VALU_DEP_1)
	v_dual_fmac_f32 v44, v44, v40 :: v_dual_fmac_f32 v29, v29, v40
	v_dual_add_f32 v40, v44, v44 :: v_dual_sub_f32 v29, 0x3fc90fdb, v29
                                        ; implicit-def: $vgpr44
	s_delay_alu instid0(VALU_DEP_1)
	v_cndmask_b32_e32 v40, v29, v40, vcc_lo
                                        ; implicit-def: $vgpr29
.LBB49_69:                              ;   in Loop: Header=BB49_4 Depth=1
	s_and_not1_saveexec_b32 s31, s9
	s_cbranch_execz .LBB49_71
; %bb.70:                               ;   in Loop: Header=BB49_4 Depth=1
	v_cmp_gt_f32_e64 vcc_lo, |v29|, 0.5
	v_cmp_lt_f32_e64 s9, 0, v29
	v_cndmask_b32_e32 v40, v41, v44, vcc_lo
	s_delay_alu instid0(VALU_DEP_1) | instskip(SKIP_1) | instid1(VALU_DEP_1)
	v_sqrt_f32_e32 v44, v40
	v_fmaak_f32 v41, s23, v40, 0x3c5fc5da
	v_fmaak_f32 v41, v40, v41, 0x3d034c3c
	s_delay_alu instid0(VALU_DEP_1) | instskip(NEXT) | instid1(VALU_DEP_1)
	v_fmaak_f32 v41, v40, v41, 0x3d3641b1
	v_fmaak_f32 v41, v40, v41, 0x3d999bc8
	s_delay_alu instid0(VALU_DEP_1) | instskip(NEXT) | instid1(VALU_DEP_1)
	v_fmaak_f32 v41, v40, v41, 0x3e2aaaac
	v_mul_f32_e32 v40, v40, v41
	s_delay_alu instid0(VALU_DEP_1) | instskip(NEXT) | instid1(VALU_DEP_1)
	v_dual_fmac_f32 v44, v44, v40 :: v_dual_fma_f32 v40, -v29, v40, -v29
	v_add_f32_e32 v41, v44, v44
	s_delay_alu instid0(VALU_DEP_2) | instskip(NEXT) | instid1(VALU_DEP_2)
	v_sub_f32_e32 v40, 0x3fc90fdb, v40
	v_sub_f32_e32 v44, 0x40490fdb, v41
	s_delay_alu instid0(VALU_DEP_1) | instskip(NEXT) | instid1(VALU_DEP_1)
	v_cndmask_b32_e64 v29, v41, v44, s9
	v_cndmask_b32_e32 v40, v40, v29, vcc_lo
.LBB49_71:                              ;   in Loop: Header=BB49_4 Depth=1
	s_or_b32 exec_lo, exec_lo, s31
                                        ; implicit-def: $vgpr48
.LBB49_72:                              ;   in Loop: Header=BB49_4 Depth=1
	s_and_not1_saveexec_b32 s9, s10
	s_cbranch_execz .LBB49_78
; %bb.73:                               ;   in Loop: Header=BB49_4 Depth=1
	v_max_num_f32_e64 v29, |v49|, |v49|
	v_max_num_f32_e32 v40, v48, v48
	v_cmp_gt_f32_e64 vcc_lo, |v49|, v48
	v_cmp_class_f32_e64 s10, v49, 0x204
	s_delay_alu instid0(VALU_DEP_3) | instskip(NEXT) | instid1(VALU_DEP_1)
	v_dual_max_num_f32 v41, v40, v29 :: v_dual_min_num_f32 v29, v40, v29
	v_frexp_mant_f32_e32 v44, v41
	v_frexp_exp_i32_f32_e32 v40, v41
	s_delay_alu instid0(VALU_DEP_2)
	v_rcp_f32_e32 v41, v44
	v_nop
	v_frexp_exp_i32_f32_e32 v44, v29
	v_frexp_mant_f32_e32 v29, v29
	s_delay_alu instid0(TRANS32_DEP_1) | instid1(VALU_DEP_1)
	v_dual_mul_f32 v29, v29, v41 :: v_dual_sub_nc_u32 v40, v44, v40
	s_delay_alu instid0(VALU_DEP_1) | instskip(NEXT) | instid1(VALU_DEP_1)
	v_ldexp_f32 v29, v29, v40
	v_mul_f32_e32 v40, v29, v29
	s_delay_alu instid0(VALU_DEP_1) | instskip(NEXT) | instid1(VALU_DEP_1)
	v_fmaak_f32 v41, s26, v40, 0xbc7a590c
	v_fmaak_f32 v41, v40, v41, 0x3d29fb3f
	s_delay_alu instid0(VALU_DEP_1) | instskip(NEXT) | instid1(VALU_DEP_1)
	v_fmaak_f32 v41, v40, v41, 0xbd97d4d7
	v_fmaak_f32 v41, v40, v41, 0x3dd931b2
	;; [unrolled: 3-line block ×3, first 2 shown]
	s_delay_alu instid0(VALU_DEP_1) | instskip(NEXT) | instid1(VALU_DEP_1)
	v_fmaak_f32 v41, v40, v41, 0xbeaaaa62
	v_mul_f32_e32 v40, v40, v41
	s_delay_alu instid0(VALU_DEP_1) | instskip(NEXT) | instid1(VALU_DEP_1)
	v_fmac_f32_e32 v29, v29, v40
	v_sub_f32_e32 v40, 0x3fc90fdb, v29
	s_delay_alu instid0(VALU_DEP_1) | instskip(SKIP_1) | instid1(SALU_CYCLE_1)
	v_cndmask_b32_e32 v29, v29, v40, vcc_lo
                                        ; implicit-def: $vgpr40
	s_and_saveexec_b32 s31, s8
	s_xor_b32 s31, exec_lo, s31
	s_cbranch_execz .LBB49_75
; %bb.74:                               ;   in Loop: Header=BB49_4 Depth=1
	v_cmp_neq_f32_e64 s8, 0, v49
	v_cmp_eq_f32_e32 vcc_lo, 0x7f800000, v48
	s_delay_alu instid0(VALU_DEP_2) | instskip(SKIP_2) | instid1(VALU_DEP_2)
	v_cndmask_b32_e64 v29, 0, v29, s8
	s_and_b32 s8, vcc_lo, s10
	v_cmp_o_f32_e32 vcc_lo, v49, v49
	v_cndmask_b32_e64 v29, v29, 0x3f490fdb, s8
	s_delay_alu instid0(VALU_DEP_1) | instskip(NEXT) | instid1(VALU_DEP_1)
	v_cndmask_b32_e32 v29, 0x7fc00000, v29, vcc_lo
	v_bfi_b32 v40, 0x7fffffff, v29, v49
                                        ; implicit-def: $vgpr29
                                        ; implicit-def: $vgpr48
.LBB49_75:                              ;   in Loop: Header=BB49_4 Depth=1
	s_and_not1_saveexec_b32 s31, s31
	s_cbranch_execz .LBB49_77
; %bb.76:                               ;   in Loop: Header=BB49_4 Depth=1
	v_sub_f32_e32 v40, 0x40490fdb, v29
	v_cmp_lt_f32_e32 vcc_lo, 0, v48
	v_cmp_neq_f32_e64 s8, 0, v49
	s_delay_alu instid0(VALU_DEP_3) | instskip(SKIP_1) | instid1(VALU_DEP_2)
	v_cndmask_b32_e32 v29, v29, v40, vcc_lo
	v_cmp_eq_f32_e32 vcc_lo, 0x7f800000, v48
	v_cndmask_b32_e64 v29, 0x40490fdb, v29, s8
	s_and_b32 s8, vcc_lo, s10
	v_cmp_o_f32_e32 vcc_lo, v49, v49
	s_delay_alu instid0(VALU_DEP_2) | instskip(NEXT) | instid1(VALU_DEP_1)
	v_cndmask_b32_e64 v29, v29, 0x4016cbe4, s8
	v_cndmask_b32_e32 v29, 0x7fc00000, v29, vcc_lo
	s_delay_alu instid0(VALU_DEP_1)
	v_bfi_b32 v40, 0x7fffffff, v29, v49
.LBB49_77:                              ;   in Loop: Header=BB49_4 Depth=1
	s_or_b32 exec_lo, exec_lo, s31
.LBB49_78:                              ;   in Loop: Header=BB49_4 Depth=1
	s_delay_alu instid0(SALU_CYCLE_1)
	s_or_b32 exec_lo, exec_lo, s9
	v_cndmask_b32_e64 v41, -v27, v27, s6
                                        ; implicit-def: $vgpr44
.LBB49_79:                              ;   in Loop: Header=BB49_4 Depth=1
	s_and_not1_saveexec_b32 s8, s30
	s_cbranch_execz .LBB49_81
; %bb.80:                               ;   in Loop: Header=BB49_4 Depth=1
	flat_load_b32 v27, v[4:5] scope:SCOPE_SYS
	s_wait_loadcnt_dscnt 0x0
	v_sub_f32_e32 v27, v27, v44
	s_delay_alu instid0(VALU_DEP_1)
	v_add_f32_e32 v40, 0x3fc90fdb, v27
.LBB49_81:                              ;   in Loop: Header=BB49_4 Depth=1
	s_or_b32 exec_lo, exec_lo, s8
.LBB49_82:                              ;   in Loop: Header=BB49_4 Depth=1
	s_and_not1_saveexec_b32 s8, s29
; %bb.83:                               ;   in Loop: Header=BB49_4 Depth=1
	v_mov_b32_e32 v40, 0
; %bb.84:                               ;   in Loop: Header=BB49_4 Depth=1
	s_or_b32 exec_lo, exec_lo, s8
                                        ; implicit-def: $vgpr44
                                        ; implicit-def: $vgpr48
                                        ; implicit-def: $vgpr27
                                        ; implicit-def: $vgpr29
.LBB49_85:                              ;   in Loop: Header=BB49_4 Depth=1
	s_and_not1_saveexec_b32 s10, s28
	s_cbranch_execz .LBB49_95
; %bb.86:                               ;   in Loop: Header=BB49_4 Depth=1
	v_cmp_lt_f32_e64 s8, |v44|, |v45|
                                        ; implicit-def: $vgpr41
                                        ; implicit-def: $vgpr40
	s_mov_b32 s9, exec_lo
	v_cndmask_b32_e64 v49, |v44|, |v45|, s8
	s_delay_alu instid0(VALU_DEP_1)
	v_cmpx_nlt_f32_e32 0x7effffff, v49
	s_xor_b32 s28, exec_lo, s9
	s_cbranch_execz .LBB49_92
; %bb.87:                               ;   in Loop: Header=BB49_4 Depth=1
	v_cndmask_b32_e64 v53, |v45|, |v44|, s8
	v_cmp_nlt_f32_e32 vcc_lo, 0x5e000000, v49
                                        ; implicit-def: $vgpr41
                                        ; implicit-def: $vgpr40
	s_delay_alu instid0(VALU_DEP_2) | instskip(SKIP_1) | instid1(SALU_CYCLE_1)
	v_cmp_ngt_f32_e64 s9, 0x20000000, v53
	s_and_b32 s9, vcc_lo, s9
	s_and_saveexec_b32 s29, s9
	s_delay_alu instid0(SALU_CYCLE_1)
	s_xor_b32 s29, exec_lo, s29
	s_cbranch_execz .LBB49_89
; %bb.88:                               ;   in Loop: Header=BB49_4 Depth=1
	s_wait_dscnt 0x0
	v_frexp_mant_f32_e32 v40, v29
	v_dual_min_num_f32 v27, v48, v27 :: v_dual_mul_f32 v48, v53, v53
	v_frexp_exp_i32_f32_e32 v29, v29
	s_delay_alu instid0(VALU_DEP_3) | instskip(NEXT) | instid1(VALU_DEP_2)
	v_rcp_f32_e32 v40, v40
	v_frexp_exp_i32_f32_e32 v41, v27
	v_frexp_mant_f32_e32 v27, v27
	s_delay_alu instid0(TRANS32_DEP_1) | instid1(VALU_DEP_1)
	v_dual_sub_nc_u32 v29, v41, v29 :: v_dual_mul_f32 v27, v27, v40
	s_delay_alu instid0(VALU_DEP_1) | instskip(NEXT) | instid1(VALU_DEP_1)
	v_ldexp_f32 v40, v27, v29
	v_dual_fmac_f32 v48, v49, v49 :: v_dual_mul_f32 v29, v40, v40
	s_delay_alu instid0(VALU_DEP_1) | instskip(NEXT) | instid1(VALU_DEP_2)
	v_cmp_gt_f32_e32 vcc_lo, 0x800000, v48
	v_fmaak_f32 v41, s26, v29, 0xbc7a590c
	v_cndmask_b32_e64 v27, 0, 32, vcc_lo
	s_delay_alu instid0(VALU_DEP_2) | instskip(NEXT) | instid1(VALU_DEP_2)
	v_fmaak_f32 v41, v29, v41, 0x3d29fb3f
	v_ldexp_f32 v27, v48, v27
	s_delay_alu instid0(VALU_DEP_2) | instskip(NEXT) | instid1(VALU_DEP_2)
	v_fmaak_f32 v41, v29, v41, 0xbd97d4d7
	v_log_f32_e32 v27, v27
	s_delay_alu instid0(VALU_DEP_1) | instskip(NEXT) | instid1(TRANS32_DEP_1)
	v_fmaak_f32 v41, v29, v41, 0x3dd931b2
	v_cmp_gt_f32_e64 s9, 0x7f800000, |v27|
	s_delay_alu instid0(VALU_DEP_2) | instskip(NEXT) | instid1(VALU_DEP_1)
	v_fmaak_f32 v41, v29, v41, 0xbe1160e6
	v_fmaak_f32 v41, v29, v41, 0x3e4cb8bf
	s_delay_alu instid0(VALU_DEP_1) | instskip(NEXT) | instid1(VALU_DEP_1)
	v_fmaak_f32 v41, v29, v41, 0xbeaaaa62
	v_dual_mul_f32 v48, 0x3f317217, v27 :: v_dual_mul_f32 v29, v29, v41
	s_delay_alu instid0(VALU_DEP_1) | instskip(NEXT) | instid1(VALU_DEP_2)
	v_fma_f32 v48, 0x3f317217, v27, -v48
	v_fmac_f32_e32 v40, v40, v29
	s_delay_alu instid0(VALU_DEP_2) | instskip(NEXT) | instid1(VALU_DEP_1)
	v_fmac_f32_e32 v48, 0x3377d1cf, v27
                                        ; implicit-def: $vgpr29
	v_fmac_f32_e32 v48, 0x3f317217, v27
	s_delay_alu instid0(VALU_DEP_1) | instskip(SKIP_1) | instid1(VALU_DEP_1)
	v_cndmask_b32_e64 v27, v27, v48, s9
	v_cndmask_b32_e64 v48, 0, 0x41b17218, vcc_lo
	v_sub_f32_e32 v27, v27, v48
                                        ; implicit-def: $vgpr48
	s_delay_alu instid0(VALU_DEP_1)
	v_mul_f32_e32 v41, 0.5, v27
                                        ; implicit-def: $vgpr27
.LBB49_89:                              ;   in Loop: Header=BB49_4 Depth=1
	s_and_not1_saveexec_b32 s9, s29
	s_cbranch_execz .LBB49_91
; %bb.90:                               ;   in Loop: Header=BB49_4 Depth=1
	s_wait_dscnt 0x0
	v_cvt_f64_f32_e32 v[40:41], v29
	v_frexp_mant_f32_e32 v53, v29
	v_cmp_neq_f32_e32 vcc_lo, 0x7f800000, v29
	s_delay_alu instid0(VALU_DEP_3) | instskip(NEXT) | instid1(VALU_DEP_1)
	v_frexp_exp_i32_f64_e32 v40, v[40:41]
	v_sub_nc_u32_e32 v41, 0, v40
	s_delay_alu instid0(VALU_DEP_1) | instskip(NEXT) | instid1(VALU_DEP_1)
	v_ldexp_f32 v49, |v45|, v41
	v_mul_f32_e32 v49, v49, v49
	v_ldexp_f32 v41, |v44|, v41
	v_min_num_f32_e32 v27, v48, v27
	v_rcp_f32_e32 v48, v53
	s_delay_alu instid0(VALU_DEP_2) | instskip(SKIP_1) | instid1(VALU_DEP_3)
	v_fmac_f32_e32 v49, v41, v41
	v_frexp_exp_i32_f32_e32 v41, v29
	v_frexp_exp_i32_f32_e32 v53, v27
	v_frexp_mant_f32_e32 v27, v27
	s_delay_alu instid0(VALU_DEP_4)
	v_sqrt_f32_e32 v49, v49
	s_delay_alu instid0(TRANS32_DEP_2) | instid1(VALU_DEP_1)
	v_dual_sub_nc_u32 v41, v53, v41 :: v_dual_mul_f32 v27, v27, v48
	s_delay_alu instid0(TRANS32_DEP_1) | instskip(NEXT) | instid1(VALU_DEP_2)
	v_ldexp_f32 v48, v49, v40
	v_ldexp_f32 v40, v27, v41
	s_delay_alu instid0(VALU_DEP_2) | instskip(NEXT) | instid1(VALU_DEP_1)
	v_cndmask_b32_e32 v27, 0x7f800000, v48, vcc_lo
	v_cmp_gt_f32_e32 vcc_lo, 0x800000, v27
	v_cndmask_b32_e64 v41, 0, 32, vcc_lo
	v_cndmask_b32_e64 v49, 0, 0x41b17218, vcc_lo
	s_delay_alu instid0(VALU_DEP_2) | instskip(NEXT) | instid1(VALU_DEP_1)
	v_ldexp_f32 v27, v27, v41
	v_log_f32_e32 v27, v27
	v_mul_f32_e32 v29, v40, v40
	s_delay_alu instid0(VALU_DEP_1) | instskip(NEXT) | instid1(TRANS32_DEP_1)
	v_fmaak_f32 v48, s26, v29, 0xbc7a590c
	v_cmp_gt_f32_e64 vcc_lo, 0x7f800000, |v27|
	s_delay_alu instid0(VALU_DEP_2) | instskip(SKIP_1) | instid1(VALU_DEP_2)
	v_fmaak_f32 v41, v29, v48, 0x3d29fb3f
	v_mul_f32_e32 v48, 0x3f317217, v27
	v_fmaak_f32 v41, v29, v41, 0xbd97d4d7
	s_delay_alu instid0(VALU_DEP_2) | instskip(NEXT) | instid1(VALU_DEP_2)
	v_fma_f32 v48, 0x3f317217, v27, -v48
	v_fmaak_f32 v41, v29, v41, 0x3dd931b2
	s_delay_alu instid0(VALU_DEP_1) | instskip(NEXT) | instid1(VALU_DEP_1)
	v_fmaak_f32 v41, v29, v41, 0xbe1160e6
	v_fmaak_f32 v41, v29, v41, 0x3e4cb8bf
	s_delay_alu instid0(VALU_DEP_1) | instskip(NEXT) | instid1(VALU_DEP_1)
	v_fmaak_f32 v41, v29, v41, 0xbeaaaa62
	v_dual_fmac_f32 v48, 0x3377d1cf, v27 :: v_dual_mul_f32 v29, v29, v41
	s_delay_alu instid0(VALU_DEP_1) | instskip(NEXT) | instid1(VALU_DEP_1)
	v_fmac_f32_e32 v48, 0x3f317217, v27
	v_dual_fmac_f32 v40, v40, v29 :: v_dual_cndmask_b32 v27, v27, v48
	s_delay_alu instid0(VALU_DEP_1)
	v_sub_f32_e32 v41, v27, v49
.LBB49_91:                              ;   in Loop: Header=BB49_4 Depth=1
	s_or_b32 exec_lo, exec_lo, s9
                                        ; implicit-def: $vgpr48
                                        ; implicit-def: $vgpr27
                                        ; implicit-def: $vgpr29
.LBB49_92:                              ;   in Loop: Header=BB49_4 Depth=1
	s_and_not1_saveexec_b32 s28, s28
	s_cbranch_execz .LBB49_94
; %bb.93:                               ;   in Loop: Header=BB49_4 Depth=1
	v_div_scale_f32 v40, null, 0x402df854, 0x402df854, v44
	v_div_scale_f32 v41, null, 0x402df854, 0x402df854, v45
	v_div_scale_f32 v56, vcc_lo, v44, 0x402df854, v44
	s_delay_alu instid0(VALU_DEP_3) | instskip(NEXT) | instid1(VALU_DEP_2)
	v_rcp_f32_e32 v49, v40
	v_rcp_f32_e32 v53, v41
	v_min_num_f32_e32 v27, v48, v27
	s_delay_alu instid0(TRANS32_DEP_2) | instskip(NEXT) | instid1(TRANS32_DEP_1)
	v_fma_f32 v54, -v40, v49, 1.0
	v_fma_f32 v55, -v41, v53, 1.0
	s_delay_alu instid0(VALU_DEP_2) | instskip(NEXT) | instid1(VALU_DEP_2)
	v_fmac_f32_e32 v49, v54, v49
	v_fmac_f32_e32 v53, v55, v53
	v_div_scale_f32 v54, s9, v45, 0x402df854, v45
	s_delay_alu instid0(VALU_DEP_3) | instskip(NEXT) | instid1(VALU_DEP_1)
	v_mul_f32_e32 v55, v56, v49
	v_fma_f32 v58, -v40, v55, v56
	s_delay_alu instid0(VALU_DEP_1) | instskip(NEXT) | instid1(VALU_DEP_1)
	v_fmac_f32_e32 v55, v58, v49
	v_dual_fma_f32 v40, -v40, v55, v56 :: v_dual_mul_f32 v57, v54, v53
	s_delay_alu instid0(VALU_DEP_1) | instskip(NEXT) | instid1(VALU_DEP_2)
	v_div_fmas_f32 v40, v40, v49, v55
	v_fma_f32 v59, -v41, v57, v54
	s_mov_b32 vcc_lo, s9
	s_delay_alu instid0(VALU_DEP_2) | instskip(NEXT) | instid1(VALU_DEP_2)
	v_div_fixup_f32 v49, v40, 0x402df854, v44
	v_fmac_f32_e32 v57, v59, v53
	s_delay_alu instid0(VALU_DEP_1) | instskip(NEXT) | instid1(VALU_DEP_1)
	v_fma_f32 v41, -v41, v57, v54
	v_div_fmas_f32 v41, v41, v53, v57
	s_delay_alu instid0(VALU_DEP_1) | instskip(NEXT) | instid1(VALU_DEP_1)
	v_div_fixup_f32 v53, v41, 0x402df854, v45
	v_max_num_f32_e64 v54, |v49|, |v53|
	s_delay_alu instid0(VALU_DEP_1) | instskip(SKIP_1) | instid1(VALU_DEP_2)
	v_cvt_f64_f32_e32 v[40:41], v54
	v_cmp_neq_f32_e32 vcc_lo, 0x7f800000, v54
	v_frexp_exp_i32_f64_e32 v40, v[40:41]
	s_delay_alu instid0(VALU_DEP_1) | instskip(NEXT) | instid1(VALU_DEP_1)
	v_sub_nc_u32_e32 v41, 0, v40
	v_ldexp_f32 v53, |v53|, v41
	v_ldexp_f32 v41, |v49|, v41
	s_delay_alu instid0(VALU_DEP_2) | instskip(NEXT) | instid1(VALU_DEP_1)
	v_mul_f32_e32 v49, v53, v53
	v_fmac_f32_e32 v49, v41, v41
	s_wait_dscnt 0x0
	v_frexp_mant_f32_e32 v41, v29
	v_frexp_exp_i32_f32_e32 v29, v29
	s_delay_alu instid0(VALU_DEP_3) | instskip(NEXT) | instid1(VALU_DEP_2)
	v_sqrt_f32_e32 v48, v49
	v_rcp_f32_e32 v41, v41
	v_frexp_exp_i32_f32_e32 v49, v27
	v_frexp_mant_f32_e32 v27, v27
	s_delay_alu instid0(VALU_DEP_2) | instskip(NEXT) | instid1(TRANS32_DEP_2)
	v_sub_nc_u32_e32 v29, v49, v29
	v_ldexp_f32 v40, v48, v40
	s_delay_alu instid0(TRANS32_DEP_1) | instid1(VALU_DEP_3)
	v_mul_f32_e32 v27, v27, v41
	s_delay_alu instid0(VALU_DEP_2) | instskip(NEXT) | instid1(VALU_DEP_2)
	v_cndmask_b32_e32 v41, 0x7f800000, v40, vcc_lo
	v_ldexp_f32 v40, v27, v29
	s_delay_alu instid0(VALU_DEP_2) | instskip(NEXT) | instid1(VALU_DEP_2)
	v_cmp_gt_f32_e32 vcc_lo, 0x800000, v41
	v_mul_f32_e32 v29, v40, v40
	v_cndmask_b32_e64 v27, 0, 32, vcc_lo
	v_cndmask_b32_e64 v49, 0, 0x41b17218, vcc_lo
	s_delay_alu instid0(VALU_DEP_2) | instskip(NEXT) | instid1(VALU_DEP_4)
	v_ldexp_f32 v27, v41, v27
	v_fmaak_f32 v41, s26, v29, 0xbc7a590c
	s_delay_alu instid0(VALU_DEP_2) | instskip(NEXT) | instid1(VALU_DEP_1)
	v_log_f32_e32 v27, v27
	v_fmaak_f32 v41, v29, v41, 0x3d29fb3f
	s_delay_alu instid0(VALU_DEP_1) | instskip(NEXT) | instid1(TRANS32_DEP_1)
	v_fmaak_f32 v41, v29, v41, 0xbd97d4d7
	v_mul_f32_e32 v48, 0x3f317217, v27
	v_cmp_gt_f32_e64 vcc_lo, 0x7f800000, |v27|
	s_delay_alu instid0(VALU_DEP_3) | instskip(NEXT) | instid1(VALU_DEP_3)
	v_fmaak_f32 v41, v29, v41, 0x3dd931b2
	v_fma_f32 v48, 0x3f317217, v27, -v48
	s_delay_alu instid0(VALU_DEP_2) | instskip(NEXT) | instid1(VALU_DEP_2)
	v_fmaak_f32 v41, v29, v41, 0xbe1160e6
	v_fmac_f32_e32 v48, 0x3377d1cf, v27
	s_delay_alu instid0(VALU_DEP_2) | instskip(NEXT) | instid1(VALU_DEP_1)
	v_fmaak_f32 v41, v29, v41, 0x3e4cb8bf
	v_fmaak_f32 v41, v29, v41, 0xbeaaaa62
	s_delay_alu instid0(VALU_DEP_1) | instskip(NEXT) | instid1(VALU_DEP_1)
	v_dual_fmac_f32 v48, 0x3f317217, v27 :: v_dual_mul_f32 v29, v29, v41
	v_dual_cndmask_b32 v27, v27, v48 :: v_dual_fmac_f32 v40, v40, v29
	s_delay_alu instid0(VALU_DEP_1) | instskip(NEXT) | instid1(VALU_DEP_1)
	v_sub_f32_e32 v27, v27, v49
	v_add_f32_e32 v41, 1.0, v27
.LBB49_94:                              ;   in Loop: Header=BB49_4 Depth=1
	s_or_b32 exec_lo, exec_lo, s28
	s_delay_alu instid0(VALU_DEP_3) | instskip(NEXT) | instid1(VALU_DEP_2)
	v_sub_f32_e32 v27, 0x3fc90fdb, v40
	v_add_f32_e32 v41, 0x3f317218, v41
	v_cmp_gt_f32_e32 vcc_lo, 0, v44
	s_delay_alu instid0(VALU_DEP_2)
	v_dual_cndmask_b32 v27, v40, v27, s8 :: v_dual_cndmask_b32 v41, -v41, v41, s6
	v_cndmask_b32_e64 v40, 0, 0x40490fdb, s7
	v_cmp_class_f32_e64 s7, v44, 0x204
	v_cmp_class_f32_e64 s8, v45, 0x204
	s_wait_dscnt 0x0
	v_sub_f32_e32 v29, 0x40490fdb, v27
	s_delay_alu instid0(VALU_DEP_1) | instskip(SKIP_2) | instid1(VALU_DEP_3)
	v_cndmask_b32_e32 v27, v27, v29, vcc_lo
	v_cndmask_b32_e32 v29, 0x3f490fdb, v52, vcc_lo
	v_cmp_eq_f32_e32 vcc_lo, 0, v45
	v_cndmask_b32_e64 v27, |v27|, v40, vcc_lo
	s_and_b32 vcc_lo, s8, s7
	s_delay_alu instid0(VALU_DEP_1)
	v_cndmask_b32_e32 v40, v27, v29, vcc_lo
.LBB49_95:                              ;   in Loop: Header=BB49_4 Depth=1
	s_or_b32 exec_lo, exec_lo, s10
                                        ; implicit-def: $vgpr45
.LBB49_96:                              ;   in Loop: Header=BB49_4 Depth=1
	s_and_not1_saveexec_b32 s6, s27
	s_cbranch_execz .LBB49_110
; %bb.97:                               ;   in Loop: Header=BB49_4 Depth=1
	v_cmp_neq_f32_e64 s7, 0x7f800000, |v44|
                                        ; implicit-def: $vgpr41
	s_and_saveexec_b32 s8, s7
	s_delay_alu instid0(SALU_CYCLE_1)
	s_xor_b32 s7, exec_lo, s8
	s_cbranch_execz .LBB49_107
; %bb.98:                               ;   in Loop: Header=BB49_4 Depth=1
	v_cmp_neq_f32_e64 s8, 0x7f800000, |v45|
	v_xor_b32_e32 v41, 0x80000000, v45
	s_and_saveexec_b32 s9, s8
	s_delay_alu instid0(SALU_CYCLE_1)
	s_xor_b32 s8, exec_lo, s9
	s_cbranch_execz .LBB49_104
; %bb.99:                               ;   in Loop: Header=BB49_4 Depth=1
	s_mov_b32 s9, exec_lo
                                        ; implicit-def: $vgpr41
	v_cmpx_neq_f32_e32 0, v44
	s_xor_b32 s9, exec_lo, s9
; %bb.100:                              ;   in Loop: Header=BB49_4 Depth=1
	v_add_f32_e32 v27, 0, v45
                                        ; implicit-def: $vgpr45
	s_delay_alu instid0(VALU_DEP_1)
	v_add_f32_e32 v41, v27, v44
; %bb.101:                              ;   in Loop: Header=BB49_4 Depth=1
	s_or_saveexec_b32 s9, s9
	s_delay_alu instid0(VALU_DEP_1)
	v_mov_b32_e32 v40, v41
	s_xor_b32 exec_lo, exec_lo, s9
	s_cbranch_execz .LBB49_103
; %bb.102:                              ;   in Loop: Header=BB49_4 Depth=1
	flat_load_b32 v27, v[4:5] scope:SCOPE_SYS
	s_wait_loadcnt_dscnt 0x0
	v_dual_add_f32 v41, v45, v45 :: v_dual_add_f32 v40, 0x3fc90fdb, v27
.LBB49_103:                             ;   in Loop: Header=BB49_4 Depth=1
	s_or_b32 exec_lo, exec_lo, s9
                                        ; implicit-def: $vgpr44
.LBB49_104:                             ;   in Loop: Header=BB49_4 Depth=1
	s_and_not1_saveexec_b32 s8, s8
; %bb.105:                              ;   in Loop: Header=BB49_4 Depth=1
	v_add_f32_e32 v40, v44, v44
; %bb.106:                              ;   in Loop: Header=BB49_4 Depth=1
	s_or_b32 exec_lo, exec_lo, s8
                                        ; implicit-def: $vgpr45
.LBB49_107:                             ;   in Loop: Header=BB49_4 Depth=1
	s_and_not1_saveexec_b32 s7, s7
; %bb.108:                              ;   in Loop: Header=BB49_4 Depth=1
	v_dual_add_f32 v40, v45, v45 :: v_dual_mov_b32 v41, 0xff800000
; %bb.109:                              ;   in Loop: Header=BB49_4 Depth=1
	s_or_b32 exec_lo, exec_lo, s7
.LBB49_110:                             ;   in Loop: Header=BB49_4 Depth=1
	s_delay_alu instid0(SALU_CYCLE_1)
	s_or_b32 exec_lo, exec_lo, s6
	flat_store_b32 v[4:5], v50 scope:SCOPE_SYS
	s_wait_storecnt 0x0
                                        ; implicit-def: $vgpr45
	s_mov_b32 s6, exec_lo
	s_wait_xcnt 0x0
	v_cmpx_o_f32_e32 v46, v47
	s_xor_b32 s27, exec_lo, s6
	s_cbranch_execz .LBB49_194
; %bb.111:                              ;   in Loop: Header=BB49_4 Depth=1
	v_max_num_f32_e64 v48, |v46|, |v46|
	v_max_num_f32_e64 v27, |v47|, |v47|
	v_cmp_gt_i32_e64 s7, 0, v46
	v_cmp_lt_i32_e64 s8, -1, v46
	v_cmp_gt_i32_e64 s6, 0, v47
                                        ; implicit-def: $vgpr45
	s_mov_b32 s9, exec_lo
	s_wait_dscnt 0x1
	v_max_num_f32_e32 v29, v27, v48
	s_delay_alu instid0(VALU_DEP_1)
	v_cmpx_nlt_f32_e32 0x4b000000, v29
	s_xor_b32 s28, exec_lo, s9
	s_cbranch_execz .LBB49_183
; %bb.112:                              ;   in Loop: Header=BB49_4 Depth=1
	v_cmp_neq_f32_e32 vcc_lo, 1.0, v46
	v_cmp_neq_f32_e64 s9, 0, v47
	v_xor_b32_e32 v45, 0x80000000, v47
	s_or_b32 s9, s9, vcc_lo
	s_delay_alu instid0(SALU_CYCLE_1) | instskip(NEXT) | instid1(SALU_CYCLE_1)
	s_and_saveexec_b32 s10, s9
	s_xor_b32 s29, exec_lo, s10
	s_cbranch_execz .LBB49_180
; %bb.113:                              ;   in Loop: Header=BB49_4 Depth=1
	flat_store_b32 v[10:11], v51 scope:SCOPE_SYS
	s_wait_storecnt 0x0
	flat_load_b32 v29, v[10:11] scope:SCOPE_SYS
	s_wait_loadcnt 0x0
	v_cmp_ngt_f32_e64 s9, 0x395db3d7, |v46|
	v_cmp_ngt_f32_e64 s10, 0x395db3d7, |v47|
	v_xor_b32_e32 v45, 0x80000000, v47
	s_or_b32 s9, s10, s9
	s_wait_dscnt 0x0
	v_add_f32_e32 v29, 1.0, v29
	flat_store_b32 v[12:13], v29 scope:SCOPE_SYS
	s_wait_storecnt 0x0
	flat_load_b32 v29, v[12:13] scope:SCOPE_SYS
	s_wait_loadcnt 0x0
	s_wait_xcnt 0x0
	s_and_saveexec_b32 s10, s9
	s_delay_alu instid0(SALU_CYCLE_1)
	s_xor_b32 s30, exec_lo, s10
	s_cbranch_execz .LBB49_177
; %bb.114:                              ;   in Loop: Header=BB49_4 Depth=1
	v_add_f32_e64 v54, |v46|, 1.0
	v_add_f32_e64 v53, |v46|, -1.0
	s_mov_b32 s9, exec_lo
	s_wait_dscnt 0x0
	s_delay_alu instid0(VALU_DEP_2) | instskip(NEXT) | instid1(VALU_DEP_2)
	v_max_num_f32_e32 v29, v27, v54
	v_max_num_f32_e64 v27, v27, |v53|
	s_delay_alu instid0(VALU_DEP_2) | instskip(NEXT) | instid1(VALU_DEP_2)
	v_cvt_f64_f32_e32 v[44:45], v29
	v_cvt_f64_f32_e32 v[48:49], v27
	s_delay_alu instid0(VALU_DEP_2) | instskip(NEXT) | instid1(VALU_DEP_2)
	v_frexp_exp_i32_f64_e32 v44, v[44:45]
	v_frexp_exp_i32_f64_e32 v45, v[48:49]
	s_delay_alu instid0(VALU_DEP_2) | instskip(SKIP_1) | instid1(VALU_DEP_2)
	v_sub_nc_u32_e32 v48, 0, v44
	v_cmp_neq_f32_e32 vcc_lo, 0x7f800000, v29
	v_ldexp_f32 v55, v54, v48
	s_delay_alu instid0(VALU_DEP_4) | instskip(SKIP_1) | instid1(VALU_DEP_3)
	v_sub_nc_u32_e32 v49, 0, v45
	v_ldexp_f32 v48, |v47|, v48
	v_mul_f32_e32 v55, v55, v55
	s_delay_alu instid0(VALU_DEP_3) | instskip(SKIP_1) | instid1(VALU_DEP_2)
	v_ldexp_f32 v56, |v53|, v49
	v_ldexp_f32 v49, |v47|, v49
	v_mul_f32_e32 v56, v56, v56
	s_delay_alu instid0(VALU_DEP_1) | instskip(NEXT) | instid1(VALU_DEP_1)
	v_dual_fmac_f32 v55, v48, v48 :: v_dual_fmac_f32 v56, v49, v49
	v_sqrt_f32_e32 v48, v55
	s_delay_alu instid0(VALU_DEP_1) | instskip(NEXT) | instid1(TRANS32_DEP_2)
	v_sqrt_f32_e32 v49, v56
	v_ldexp_f32 v44, v48, v44
	s_delay_alu instid0(TRANS32_DEP_1) | instskip(NEXT) | instid1(VALU_DEP_2)
	v_ldexp_f32 v45, v49, v45
	v_cndmask_b32_e32 v56, 0x7f800000, v44, vcc_lo
	v_cmp_neq_f32_e32 vcc_lo, 0x7f800000, v27
	s_delay_alu instid0(VALU_DEP_3) | instskip(NEXT) | instid1(VALU_DEP_1)
	v_cndmask_b32_e32 v49, 0x7f800000, v45, vcc_lo
	v_add_f32_e32 v27, v56, v49
	s_delay_alu instid0(VALU_DEP_1) | instskip(NEXT) | instid1(VALU_DEP_1)
	v_mul_f32_e32 v27, 0.5, v27
	v_cmp_ngt_f32_e32 vcc_lo, 1.0, v27
	v_cndmask_b32_e32 v44, 1.0, v27, vcc_lo
                                        ; implicit-def: $vgpr27
	s_delay_alu instid0(VALU_DEP_1)
	v_cmpx_ngt_f32_e32 0x41200000, v44
	s_xor_b32 s10, exec_lo, s9
	s_cbranch_execz .LBB49_116
; %bb.115:                              ;   in Loop: Header=BB49_4 Depth=1
	v_fma_f32 v27, v44, v44, -1.0
	s_delay_alu instid0(VALU_DEP_1) | instskip(SKIP_1) | instid1(VALU_DEP_2)
	v_mul_f32_e32 v29, 0x4f800000, v27
	v_cmp_gt_f32_e32 vcc_lo, 0xf800000, v27
	v_cndmask_b32_e32 v27, v27, v29, vcc_lo
	s_delay_alu instid0(VALU_DEP_1) | instskip(SKIP_1) | instid1(TRANS32_DEP_1)
	v_sqrt_f32_e32 v29, v27
	v_nop
	v_dual_add_nc_u32 v45, -1, v29 :: v_dual_add_nc_u32 v48, 1, v29
	s_delay_alu instid0(VALU_DEP_1) | instskip(NEXT) | instid1(VALU_DEP_1)
	v_dual_fma_f32 v55, -v45, v29, v27 :: v_dual_fma_f32 v57, -v48, v29, v27
	v_cmp_ge_f32_e64 s9, 0, v55
	s_delay_alu instid0(VALU_DEP_1) | instskip(NEXT) | instid1(VALU_DEP_3)
	v_cndmask_b32_e64 v29, v29, v45, s9
	v_cmp_lt_f32_e64 s9, 0, v57
	s_delay_alu instid0(VALU_DEP_1) | instskip(NEXT) | instid1(VALU_DEP_1)
	v_cndmask_b32_e64 v29, v29, v48, s9
	v_mul_f32_e32 v45, 0x37800000, v29
	s_delay_alu instid0(VALU_DEP_1) | instskip(SKIP_1) | instid1(VALU_DEP_2)
	v_cndmask_b32_e32 v29, v29, v45, vcc_lo
	v_cmp_class_f32_e64 vcc_lo, v27, 0x260
	v_cndmask_b32_e32 v27, v29, v27, vcc_lo
	s_delay_alu instid0(VALU_DEP_1) | instskip(NEXT) | instid1(VALU_DEP_1)
	v_add_f32_e32 v27, v44, v27
	v_cmp_gt_f32_e32 vcc_lo, 0x800000, v27
	s_delay_alu instid0(VALU_DEP_4) | instskip(NEXT) | instid1(VALU_DEP_1)
	v_cndmask_b32_e64 v29, 0, 32, vcc_lo
	v_ldexp_f32 v27, v27, v29
	s_delay_alu instid0(VALU_DEP_1) | instskip(SKIP_1) | instid1(TRANS32_DEP_1)
	v_log_f32_e32 v27, v27
	v_nop
	v_mul_f32_e32 v29, 0x3f317217, v27
	v_cmp_gt_f32_e64 s9, 0x7f800000, |v27|
	s_delay_alu instid0(VALU_DEP_2) | instskip(NEXT) | instid1(VALU_DEP_1)
	v_fma_f32 v29, 0x3f317217, v27, -v29
	v_fmac_f32_e32 v29, 0x3377d1cf, v27
	s_delay_alu instid0(VALU_DEP_1) | instskip(NEXT) | instid1(VALU_DEP_1)
	v_fmac_f32_e32 v29, 0x3f317217, v27
	v_cndmask_b32_e64 v27, v27, v29, s9
	v_cndmask_b32_e64 v29, 0, 0x41b17218, vcc_lo
	s_delay_alu instid0(VALU_DEP_1)
	v_sub_f32_e32 v27, v27, v29
.LBB49_116:                             ;   in Loop: Header=BB49_4 Depth=1
	s_or_saveexec_b32 s10, s10
	v_and_b32_e32 v55, 0x7fffffff, v47
	s_xor_b32 exec_lo, exec_lo, s10
	s_cbranch_execz .LBB49_138
; %bb.117:                              ;   in Loop: Header=BB49_4 Depth=1
	v_cmp_neq_f32_e64 s9, |v46|, 1.0
	v_cmp_ngt_f32_e64 s31, 0x25000000, |v47|
                                        ; implicit-def: $vgpr27
	s_or_b32 s9, s31, s9
	s_delay_alu instid0(SALU_CYCLE_1) | instskip(NEXT) | instid1(SALU_CYCLE_1)
	s_and_saveexec_b32 s31, s9
	s_xor_b32 s31, exec_lo, s31
	s_cbranch_execz .LBB49_135
; %bb.118:                              ;   in Loop: Header=BB49_4 Depth=1
	v_mul_f32_e64 v27, 0x34000000, |v53|
	s_delay_alu instid0(VALU_DEP_1) | instskip(SKIP_1) | instid1(SALU_CYCLE_1)
	v_cmp_ge_f32_e64 s9, |v47|, v27
                                        ; implicit-def: $vgpr27
	s_and_saveexec_b32 s33, s9
	s_xor_b32 s33, exec_lo, s33
	s_cbranch_execz .LBB49_128
; %bb.119:                              ;   in Loop: Header=BB49_4 Depth=1
	v_mov_b32_e32 v27, v55
	s_mov_b32 s9, exec_lo
	v_cmpx_neq_f32_e32 0, v54
	s_cbranch_execz .LBB49_121
; %bb.120:                              ;   in Loop: Header=BB49_4 Depth=1
	v_dual_mul_f32 v27, v47, v47 :: v_dual_add_f32 v29, v54, v56
	s_delay_alu instid0(VALU_DEP_1) | instskip(NEXT) | instid1(VALU_DEP_1)
	v_div_scale_f32 v45, null, v29, v29, v27
	v_rcp_f32_e32 v48, v45
	v_nop
	s_delay_alu instid0(TRANS32_DEP_1) | instskip(NEXT) | instid1(VALU_DEP_1)
	v_fma_f32 v57, -v45, v48, 1.0
	v_fmac_f32_e32 v48, v57, v48
	v_div_scale_f32 v57, vcc_lo, v27, v29, v27
	s_delay_alu instid0(VALU_DEP_1) | instskip(NEXT) | instid1(VALU_DEP_1)
	v_mul_f32_e32 v58, v57, v48
	v_fma_f32 v59, -v45, v58, v57
	s_delay_alu instid0(VALU_DEP_1) | instskip(NEXT) | instid1(VALU_DEP_1)
	v_fmac_f32_e32 v58, v59, v48
	v_fma_f32 v45, -v45, v58, v57
	s_delay_alu instid0(VALU_DEP_1) | instskip(NEXT) | instid1(VALU_DEP_1)
	v_div_fmas_f32 v45, v45, v48, v58
	v_div_fixup_f32 v27, v45, v29, v27
.LBB49_121:                             ;   in Loop: Header=BB49_4 Depth=1
	s_or_b32 exec_lo, exec_lo, s9
	v_sub_f32_e64 v45, 1.0, |v46|
	s_mov_b32 s9, exec_lo
                                        ; implicit-def: $vgpr29
	s_delay_alu instid0(VALU_DEP_1)
	v_cmpx_ngt_f32_e32 0, v45
	s_xor_b32 s9, exec_lo, s9
	s_cbranch_execz .LBB49_125
; %bb.122:                              ;   in Loop: Header=BB49_4 Depth=1
	v_mov_b32_e32 v29, v55
	s_mov_b32 s34, exec_lo
	v_cmpx_neq_f32_e32 0, v45
	s_cbranch_execz .LBB49_124
; %bb.123:                              ;   in Loop: Header=BB49_4 Depth=1
	v_dual_mul_f32 v29, v47, v47 :: v_dual_add_f32 v45, v45, v49
	s_delay_alu instid0(VALU_DEP_1) | instskip(NEXT) | instid1(VALU_DEP_1)
	v_div_scale_f32 v48, null, v45, v45, v29
	v_rcp_f32_e32 v57, v48
	v_nop
	s_delay_alu instid0(TRANS32_DEP_1) | instskip(NEXT) | instid1(VALU_DEP_1)
	v_fma_f32 v58, -v48, v57, 1.0
	v_fmac_f32_e32 v57, v58, v57
	v_div_scale_f32 v58, vcc_lo, v29, v45, v29
	s_delay_alu instid0(VALU_DEP_1) | instskip(NEXT) | instid1(VALU_DEP_1)
	v_mul_f32_e32 v59, v58, v57
	v_fma_f32 v60, -v48, v59, v58
	s_delay_alu instid0(VALU_DEP_1) | instskip(NEXT) | instid1(VALU_DEP_1)
	v_fmac_f32_e32 v59, v60, v57
	v_fma_f32 v48, -v48, v59, v58
	s_delay_alu instid0(VALU_DEP_1) | instskip(NEXT) | instid1(VALU_DEP_1)
	v_div_fmas_f32 v48, v48, v57, v59
	v_div_fixup_f32 v29, v48, v45, v29
.LBB49_124:                             ;   in Loop: Header=BB49_4 Depth=1
	s_or_b32 exec_lo, exec_lo, s34
                                        ; implicit-def: $vgpr45
.LBB49_125:                             ;   in Loop: Header=BB49_4 Depth=1
	s_and_not1_saveexec_b32 s9, s9
; %bb.126:                              ;   in Loop: Header=BB49_4 Depth=1
	v_sub_f32_e32 v29, v49, v45
; %bb.127:                              ;   in Loop: Header=BB49_4 Depth=1
	s_or_b32 exec_lo, exec_lo, s9
	s_delay_alu instid0(VALU_DEP_1) | instskip(NEXT) | instid1(VALU_DEP_1)
	v_dual_mul_f32 v45, 0.5, v27 :: v_dual_mul_f32 v27, 0.5, v29
	v_pk_add_f32 v[58:59], v[44:45], v[26:27]
	s_delay_alu instid0(VALU_DEP_1) | instskip(NEXT) | instid1(VALU_DEP_1)
	v_mul_f32_e32 v27, v58, v59
	v_mul_f32_e32 v29, 0x4f800000, v27
	v_cmp_gt_f32_e32 vcc_lo, 0xf800000, v27
	s_delay_alu instid0(VALU_DEP_2) | instskip(NEXT) | instid1(VALU_DEP_1)
	v_cndmask_b32_e32 v27, v27, v29, vcc_lo
	v_sqrt_f32_e32 v29, v27
	v_nop
	s_delay_alu instid0(TRANS32_DEP_1) | instskip(NEXT) | instid1(VALU_DEP_1)
	v_dual_add_nc_u32 v45, -1, v29 :: v_dual_add_nc_u32 v48, 1, v29
	v_dual_fma_f32 v57, -v45, v29, v27 :: v_dual_fma_f32 v58, -v48, v29, v27
	s_delay_alu instid0(VALU_DEP_1) | instskip(NEXT) | instid1(VALU_DEP_1)
	v_cmp_ge_f32_e64 s9, 0, v57
	v_cndmask_b32_e64 v29, v29, v45, s9
	s_delay_alu instid0(VALU_DEP_3) | instskip(NEXT) | instid1(VALU_DEP_1)
	v_cmp_lt_f32_e64 s9, 0, v58
	v_cndmask_b32_e64 v29, v29, v48, s9
	s_delay_alu instid0(VALU_DEP_1) | instskip(NEXT) | instid1(VALU_DEP_1)
	v_mul_f32_e32 v45, 0x37800000, v29
	v_cndmask_b32_e32 v29, v29, v45, vcc_lo
	v_cmp_class_f32_e64 vcc_lo, v27, 0x260
	s_delay_alu instid0(VALU_DEP_2) | instskip(NEXT) | instid1(VALU_DEP_1)
	v_cndmask_b32_e32 v27, v29, v27, vcc_lo
	v_add_f32_e32 v58, v59, v27
	s_delay_alu instid0(VALU_DEP_1) | instskip(NEXT) | instid1(VALU_DEP_1)
	v_add_f32_e32 v61, 1.0, v58
	v_cvt_f64_f32_e32 v[62:63], v61
	v_frexp_mant_f32_e32 v29, v61
	v_add_f32_e32 v59, -1.0, v61
	s_delay_alu instid0(VALU_DEP_2) | instskip(NEXT) | instid1(VALU_DEP_2)
	v_cmp_gt_f32_e32 vcc_lo, 0x3f2aaaab, v29
	v_mov_b32_e32 v60, v59
	v_frexp_exp_i32_f64_e32 v27, v[62:63]
	s_delay_alu instid0(VALU_DEP_2) | instskip(NEXT) | instid1(VALU_DEP_1)
	v_pk_add_f32 v[62:63], v[58:59], v[60:61] neg_lo:[0,1] neg_hi:[0,1]
	v_add_f32_e32 v48, 1.0, v63
	s_delay_alu instid0(VALU_DEP_1) | instskip(NEXT) | instid1(VALU_DEP_4)
	v_add_f32_e32 v48, v62, v48
	v_subrev_co_ci_u32_e64 v27, null, 0, v27, vcc_lo
	v_cmp_neq_f32_e32 vcc_lo, 0x7f800000, v58
	s_delay_alu instid0(VALU_DEP_2) | instskip(NEXT) | instid1(VALU_DEP_1)
	v_sub_nc_u32_e32 v29, 0, v27
	v_ldexp_f32 v45, v61, v29
	v_ldexp_f32 v29, v48, v29
	s_delay_alu instid0(VALU_DEP_2) | instskip(NEXT) | instid1(VALU_DEP_1)
	v_add_f32_e32 v57, 1.0, v45
	v_add_f32_e32 v59, -1.0, v57
	s_delay_alu instid0(VALU_DEP_1) | instskip(NEXT) | instid1(VALU_DEP_1)
	v_dual_add_f32 v65, -1.0, v45 :: v_dual_sub_f32 v48, v45, v59
	v_dual_add_f32 v59, 1.0, v65 :: v_dual_add_f32 v48, v29, v48
	s_delay_alu instid0(VALU_DEP_1) | instskip(NEXT) | instid1(VALU_DEP_2)
	v_sub_f32_e32 v45, v45, v59
	v_add_f32_e32 v59, v57, v48
	s_delay_alu instid0(VALU_DEP_1) | instskip(NEXT) | instid1(VALU_DEP_1)
	v_sub_f32_e32 v57, v59, v57
	v_sub_f32_e32 v48, v48, v57
	s_delay_alu instid0(VALU_DEP_4) | instskip(SKIP_1) | instid1(VALU_DEP_1)
	v_add_f32_e32 v29, v29, v45
	v_rcp_f32_e32 v45, v59
	v_add_f32_e32 v61, v65, v29
	s_delay_alu instid0(TRANS32_DEP_1) | instid1(VALU_DEP_1)
	v_mul_f32_e32 v66, v61, v45
	s_delay_alu instid0(VALU_DEP_1) | instskip(NEXT) | instid1(VALU_DEP_1)
	v_mul_f32_e32 v62, v59, v66
	v_dual_fma_f32 v64, v66, v59, -v62 :: v_dual_sub_f32 v57, v61, v65
	s_delay_alu instid0(VALU_DEP_1) | instskip(NEXT) | instid1(VALU_DEP_1)
	v_dual_fmac_f32 v64, v66, v48 :: v_dual_sub_f32 v29, v29, v57
	v_add_f32_e32 v60, v62, v64
	s_delay_alu instid0(VALU_DEP_1) | instskip(NEXT) | instid1(VALU_DEP_1)
	v_dual_sub_f32 v63, v61, v60 :: v_dual_mov_b32 v65, v60
	v_pk_add_f32 v[60:61], v[60:61], v[62:63] neg_lo:[0,1] neg_hi:[0,1]
	s_delay_alu instid0(VALU_DEP_1) | instskip(NEXT) | instid1(VALU_DEP_1)
	v_pk_add_f32 v[60:61], v[60:61], v[64:65] neg_lo:[0,1] neg_hi:[0,1]
	v_add_f32_e32 v29, v29, v61
	s_delay_alu instid0(VALU_DEP_1) | instskip(NEXT) | instid1(VALU_DEP_1)
	v_add_f32_e32 v29, v60, v29
	v_add_f32_e32 v61, v63, v29
	s_delay_alu instid0(VALU_DEP_1) | instskip(NEXT) | instid1(VALU_DEP_1)
	v_mul_f32_e32 v57, v45, v61
	v_mul_f32_e32 v64, v59, v57
	s_delay_alu instid0(VALU_DEP_1) | instskip(NEXT) | instid1(VALU_DEP_1)
	v_fma_f32 v62, v57, v59, -v64
	v_dual_fmac_f32 v62, v57, v48 :: v_dual_sub_f32 v48, v63, v61
	s_delay_alu instid0(VALU_DEP_1) | instskip(NEXT) | instid1(VALU_DEP_1)
	v_dual_add_f32 v60, v64, v62 :: v_dual_add_f32 v29, v29, v48
	v_dual_add_f32 v48, v66, v57 :: v_dual_sub_f32 v65, v61, v60
	v_mov_b32_e32 v63, v60
	s_delay_alu instid0(VALU_DEP_2) | instskip(NEXT) | instid1(VALU_DEP_3)
	v_sub_f32_e32 v59, v48, v66
	v_pk_add_f32 v[60:61], v[60:61], v[64:65] neg_lo:[0,1] neg_hi:[0,1]
	s_delay_alu instid0(VALU_DEP_2) | instskip(NEXT) | instid1(VALU_DEP_2)
	v_sub_f32_e32 v57, v57, v59
	v_pk_add_f32 v[60:61], v[60:61], v[62:63] neg_lo:[0,1] neg_hi:[0,1]
	s_delay_alu instid0(VALU_DEP_1) | instskip(NEXT) | instid1(VALU_DEP_1)
	v_add_f32_e32 v29, v29, v61
	v_add_f32_e32 v29, v60, v29
	v_cvt_f32_i32_e32 v60, v27
	s_delay_alu instid0(VALU_DEP_2) | instskip(NEXT) | instid1(VALU_DEP_1)
	v_add_f32_e32 v29, v65, v29
	v_mul_f32_e32 v29, v45, v29
	s_delay_alu instid0(VALU_DEP_1) | instskip(NEXT) | instid1(VALU_DEP_1)
	v_add_f32_e32 v45, v57, v29
	v_add_f32_e32 v57, v48, v45
	s_delay_alu instid0(VALU_DEP_1) | instskip(SKIP_1) | instid1(VALU_DEP_2)
	v_dual_mul_f32 v29, v57, v57 :: v_dual_sub_f32 v27, v57, v48
	v_ldexp_f32 v65, v57, 1
	v_fmaak_f32 v59, s11, v29, 0x3ecc95a3
	v_mul_f32_e32 v61, v57, v29
	s_delay_alu instid0(VALU_DEP_4) | instskip(NEXT) | instid1(VALU_DEP_3)
	v_sub_f32_e32 v27, v45, v27
	v_fmaak_f32 v29, v29, v59, 0x3f2aaada
	s_delay_alu instid0(VALU_DEP_2) | instskip(NEXT) | instid1(VALU_DEP_2)
	v_ldexp_f32 v27, v27, 1
	v_pk_mul_f32 v[62:63], v[60:61], v[28:29]
	s_delay_alu instid0(VALU_DEP_1) | instskip(SKIP_1) | instid1(VALU_DEP_2)
	v_fma_f32 v64, 0x3f317218, v60, -v62
	v_mov_b32_e32 v66, v62
	v_fmac_f32_e32 v64, 0xb102e308, v60
	s_delay_alu instid0(VALU_DEP_1) | instskip(NEXT) | instid1(VALU_DEP_1)
	v_pk_add_f32 v[60:61], v[62:63], v[64:65]
	v_dual_sub_f32 v29, v61, v65 :: v_dual_mov_b32 v65, v60
	s_delay_alu instid0(VALU_DEP_1) | instskip(SKIP_1) | instid1(VALU_DEP_2)
	v_dual_mov_b32 v74, v61 :: v_dual_sub_f32 v29, v63, v29
	v_pk_add_f32 v[62:63], v[60:61], v[62:63] neg_lo:[0,1] neg_hi:[0,1]
	v_add_f32_e32 v67, v27, v29
	s_delay_alu instid0(VALU_DEP_1) | instskip(NEXT) | instid1(VALU_DEP_1)
	v_pk_add_f32 v[68:69], v[60:61], v[66:67]
	v_mov_b32_e32 v63, v69
	s_delay_alu instid0(VALU_DEP_1) | instskip(SKIP_2) | instid1(VALU_DEP_3)
	v_pk_add_f32 v[70:71], v[64:65], v[62:63]
	v_mov_b32_e32 v70, v69
	v_pk_add_f32 v[62:63], v[64:65], v[62:63] neg_lo:[0,1] neg_hi:[0,1]
	v_dual_mov_b32 v48, v71 :: v_dual_mov_b32 v63, v71
	s_delay_alu instid0(VALU_DEP_1) | instskip(SKIP_1) | instid1(VALU_DEP_2)
	v_pk_add_f32 v[72:73], v[48:49], v[60:61] neg_lo:[0,1] neg_hi:[0,1]
	v_dual_mov_b32 v61, v60 :: v_dual_mov_b32 v60, v67
	v_dual_mov_b32 v75, v72 :: v_dual_mov_b32 v27, v72
	s_delay_alu instid0(VALU_DEP_1) | instskip(NEXT) | instid1(VALU_DEP_2)
	v_pk_add_f32 v[66:67], v[70:71], v[74:75] neg_lo:[0,1] neg_hi:[0,1]
	v_pk_add_f32 v[64:65], v[68:69], v[26:27] neg_lo:[0,1] neg_hi:[0,1]
	v_mov_b32_e32 v64, v62
	s_delay_alu instid0(VALU_DEP_3) | instskip(NEXT) | instid1(VALU_DEP_1)
	v_pk_add_f32 v[60:61], v[60:61], v[66:67] neg_lo:[0,1] neg_hi:[0,1]
	v_pk_add_f32 v[64:65], v[64:65], v[60:61]
	s_delay_alu instid0(VALU_DEP_1) | instskip(NEXT) | instid1(VALU_DEP_1)
	v_mov_b32_e32 v66, v65
	v_pk_add_f32 v[66:67], v[64:65], v[66:67]
	s_delay_alu instid0(VALU_DEP_1) | instskip(NEXT) | instid1(VALU_DEP_1)
	v_pk_add_f32 v[68:69], v[48:49], v[66:67]
	v_dual_mov_b32 v61, v66 :: v_dual_mov_b32 v65, v68
	s_delay_alu instid0(VALU_DEP_1) | instskip(NEXT) | instid1(VALU_DEP_1)
	v_pk_add_f32 v[70:71], v[64:65], v[62:63] neg_lo:[0,1] neg_hi:[0,1]
	v_sub_f32_e32 v27, v64, v70
	s_delay_alu instid0(VALU_DEP_2) | instskip(NEXT) | instid1(VALU_DEP_2)
	v_pk_add_f32 v[60:61], v[60:61], v[70:71] neg_lo:[0,1] neg_hi:[0,1]
	v_sub_f32_e32 v27, v62, v27
	s_delay_alu instid0(VALU_DEP_1) | instskip(NEXT) | instid1(VALU_DEP_1)
	v_add_f32_e32 v27, v60, v27
	v_add_f32_e32 v27, v27, v61
	s_delay_alu instid0(VALU_DEP_1) | instskip(NEXT) | instid1(VALU_DEP_1)
	v_add_f32_e32 v27, v68, v27
	v_cndmask_b32_e32 v27, 0x7f800000, v27, vcc_lo
	v_cmp_ngt_f32_e32 vcc_lo, -1.0, v58
	s_delay_alu instid0(VALU_DEP_2) | instskip(SKIP_1) | instid1(VALU_DEP_2)
	v_cndmask_b32_e32 v27, 0x7fc00000, v27, vcc_lo
	v_cmp_neq_f32_e32 vcc_lo, -1.0, v58
	v_cndmask_b32_e32 v27, 0xff800000, v27, vcc_lo
	v_cmp_gt_f32_e64 vcc_lo, 0x33800000, |v58|
	s_delay_alu instid0(VALU_DEP_2)
	v_cndmask_b32_e32 v27, v27, v58, vcc_lo
.LBB49_128:                             ;   in Loop: Header=BB49_4 Depth=1
	s_and_not1_saveexec_b32 s33, s33
	s_cbranch_execz .LBB49_134
; %bb.129:                              ;   in Loop: Header=BB49_4 Depth=1
	s_mov_b32 s34, exec_lo
                                        ; implicit-def: $vgpr27
	v_cmpx_nlt_f32_e64 |v46|, 1.0
	s_xor_b32 s34, exec_lo, s34
	s_cbranch_execz .LBB49_131
; %bb.130:                              ;   in Loop: Header=BB49_4 Depth=1
	v_mul_f32_e32 v27, v53, v54
	s_delay_alu instid0(VALU_DEP_1) | instskip(SKIP_1) | instid1(VALU_DEP_2)
	v_mul_f32_e32 v29, 0x4f800000, v27
	v_cmp_gt_f32_e32 vcc_lo, 0xf800000, v27
	v_cndmask_b32_e32 v27, v27, v29, vcc_lo
	s_delay_alu instid0(VALU_DEP_1) | instskip(SKIP_1) | instid1(TRANS32_DEP_1)
	v_sqrt_f32_e32 v29, v27
	v_nop
	v_dual_add_nc_u32 v45, -1, v29 :: v_dual_add_nc_u32 v48, 1, v29
	s_delay_alu instid0(VALU_DEP_1) | instskip(NEXT) | instid1(VALU_DEP_1)
	v_dual_fma_f32 v57, -v45, v29, v27 :: v_dual_fma_f32 v58, -v48, v29, v27
	v_cmp_ge_f32_e64 s9, 0, v57
	s_delay_alu instid0(VALU_DEP_1) | instskip(NEXT) | instid1(VALU_DEP_3)
	v_cndmask_b32_e64 v29, v29, v45, s9
	v_cmp_lt_f32_e64 s9, 0, v58
	s_delay_alu instid0(VALU_DEP_1) | instskip(NEXT) | instid1(VALU_DEP_1)
	v_cndmask_b32_e64 v29, v29, v48, s9
	v_mul_f32_e32 v45, 0x37800000, v29
	s_delay_alu instid0(VALU_DEP_1) | instskip(SKIP_1) | instid1(VALU_DEP_2)
	v_cndmask_b32_e32 v29, v29, v45, vcc_lo
	v_cmp_class_f32_e64 vcc_lo, v27, 0x260
	v_cndmask_b32_e32 v27, v29, v27, vcc_lo
	s_delay_alu instid0(VALU_DEP_1) | instskip(NEXT) | instid1(VALU_DEP_1)
	v_add_f32_e32 v58, v53, v27
	v_add_f32_e32 v61, 1.0, v58
	s_delay_alu instid0(VALU_DEP_1) | instskip(SKIP_2) | instid1(VALU_DEP_2)
	v_cvt_f64_f32_e32 v[62:63], v61
	v_frexp_mant_f32_e32 v29, v61
	v_add_f32_e32 v59, -1.0, v61
	v_cmp_gt_f32_e32 vcc_lo, 0x3f2aaaab, v29
	s_delay_alu instid0(VALU_DEP_2) | instskip(SKIP_1) | instid1(VALU_DEP_2)
	v_mov_b32_e32 v60, v59
	v_frexp_exp_i32_f64_e32 v27, v[62:63]
	v_pk_add_f32 v[62:63], v[58:59], v[60:61] neg_lo:[0,1] neg_hi:[0,1]
	s_delay_alu instid0(VALU_DEP_1) | instskip(NEXT) | instid1(VALU_DEP_1)
	v_add_f32_e32 v48, 1.0, v63
	v_add_f32_e32 v48, v62, v48
	s_delay_alu instid0(VALU_DEP_4) | instskip(SKIP_1) | instid1(VALU_DEP_2)
	v_subrev_co_ci_u32_e64 v27, null, 0, v27, vcc_lo
	v_cmp_neq_f32_e32 vcc_lo, 0x7f800000, v58
	v_sub_nc_u32_e32 v29, 0, v27
	s_delay_alu instid0(VALU_DEP_1) | instskip(SKIP_1) | instid1(VALU_DEP_2)
	v_ldexp_f32 v45, v61, v29
	v_ldexp_f32 v29, v48, v29
	v_add_f32_e32 v57, 1.0, v45
	s_delay_alu instid0(VALU_DEP_1) | instskip(NEXT) | instid1(VALU_DEP_1)
	v_add_f32_e32 v59, -1.0, v57
	v_dual_add_f32 v65, -1.0, v45 :: v_dual_sub_f32 v48, v45, v59
	s_delay_alu instid0(VALU_DEP_1) | instskip(NEXT) | instid1(VALU_DEP_1)
	v_dual_add_f32 v59, 1.0, v65 :: v_dual_add_f32 v48, v29, v48
	v_sub_f32_e32 v45, v45, v59
	s_delay_alu instid0(VALU_DEP_2) | instskip(NEXT) | instid1(VALU_DEP_1)
	v_add_f32_e32 v59, v57, v48
	v_sub_f32_e32 v57, v59, v57
	s_delay_alu instid0(VALU_DEP_1) | instskip(NEXT) | instid1(VALU_DEP_4)
	v_sub_f32_e32 v48, v48, v57
	v_add_f32_e32 v29, v29, v45
	v_rcp_f32_e32 v45, v59
	s_delay_alu instid0(VALU_DEP_1)
	v_add_f32_e32 v61, v65, v29
	s_delay_alu instid0(TRANS32_DEP_1) | instid1(VALU_DEP_1)
	v_mul_f32_e32 v66, v61, v45
	s_delay_alu instid0(VALU_DEP_1) | instskip(NEXT) | instid1(VALU_DEP_1)
	v_mul_f32_e32 v62, v59, v66
	v_dual_fma_f32 v64, v66, v59, -v62 :: v_dual_sub_f32 v57, v61, v65
	s_delay_alu instid0(VALU_DEP_1) | instskip(NEXT) | instid1(VALU_DEP_1)
	v_dual_fmac_f32 v64, v66, v48 :: v_dual_sub_f32 v29, v29, v57
	v_add_f32_e32 v60, v62, v64
	s_delay_alu instid0(VALU_DEP_1) | instskip(NEXT) | instid1(VALU_DEP_1)
	v_dual_sub_f32 v63, v61, v60 :: v_dual_mov_b32 v65, v60
	v_pk_add_f32 v[60:61], v[60:61], v[62:63] neg_lo:[0,1] neg_hi:[0,1]
	s_delay_alu instid0(VALU_DEP_1) | instskip(NEXT) | instid1(VALU_DEP_1)
	v_pk_add_f32 v[60:61], v[60:61], v[64:65] neg_lo:[0,1] neg_hi:[0,1]
	v_add_f32_e32 v29, v29, v61
	s_delay_alu instid0(VALU_DEP_1) | instskip(NEXT) | instid1(VALU_DEP_1)
	v_add_f32_e32 v29, v60, v29
	v_add_f32_e32 v61, v63, v29
	s_delay_alu instid0(VALU_DEP_1) | instskip(NEXT) | instid1(VALU_DEP_1)
	v_mul_f32_e32 v57, v45, v61
	v_mul_f32_e32 v64, v59, v57
	s_delay_alu instid0(VALU_DEP_1) | instskip(NEXT) | instid1(VALU_DEP_1)
	v_fma_f32 v62, v57, v59, -v64
	v_dual_fmac_f32 v62, v57, v48 :: v_dual_sub_f32 v48, v63, v61
	s_delay_alu instid0(VALU_DEP_1) | instskip(NEXT) | instid1(VALU_DEP_1)
	v_dual_add_f32 v60, v64, v62 :: v_dual_add_f32 v29, v29, v48
	v_dual_add_f32 v48, v66, v57 :: v_dual_sub_f32 v65, v61, v60
	v_mov_b32_e32 v63, v60
	s_delay_alu instid0(VALU_DEP_2) | instskip(NEXT) | instid1(VALU_DEP_3)
	v_sub_f32_e32 v59, v48, v66
	v_pk_add_f32 v[60:61], v[60:61], v[64:65] neg_lo:[0,1] neg_hi:[0,1]
	s_delay_alu instid0(VALU_DEP_2) | instskip(NEXT) | instid1(VALU_DEP_2)
	v_sub_f32_e32 v57, v57, v59
	v_pk_add_f32 v[60:61], v[60:61], v[62:63] neg_lo:[0,1] neg_hi:[0,1]
	s_delay_alu instid0(VALU_DEP_1) | instskip(NEXT) | instid1(VALU_DEP_1)
	v_add_f32_e32 v29, v29, v61
	v_add_f32_e32 v29, v60, v29
	v_cvt_f32_i32_e32 v60, v27
	s_delay_alu instid0(VALU_DEP_2) | instskip(NEXT) | instid1(VALU_DEP_1)
	v_add_f32_e32 v29, v65, v29
	v_mul_f32_e32 v29, v45, v29
	s_delay_alu instid0(VALU_DEP_1) | instskip(NEXT) | instid1(VALU_DEP_1)
	v_add_f32_e32 v45, v57, v29
	v_add_f32_e32 v57, v48, v45
	s_delay_alu instid0(VALU_DEP_1) | instskip(SKIP_1) | instid1(VALU_DEP_2)
	v_dual_mul_f32 v29, v57, v57 :: v_dual_sub_f32 v27, v57, v48
	v_ldexp_f32 v65, v57, 1
	v_fmaak_f32 v59, s11, v29, 0x3ecc95a3
	v_mul_f32_e32 v61, v57, v29
	s_delay_alu instid0(VALU_DEP_4) | instskip(NEXT) | instid1(VALU_DEP_3)
	v_sub_f32_e32 v27, v45, v27
	v_fmaak_f32 v29, v29, v59, 0x3f2aaada
	s_delay_alu instid0(VALU_DEP_2) | instskip(NEXT) | instid1(VALU_DEP_2)
	v_ldexp_f32 v27, v27, 1
	v_pk_mul_f32 v[62:63], v[60:61], v[28:29]
	s_delay_alu instid0(VALU_DEP_1) | instskip(SKIP_1) | instid1(VALU_DEP_2)
	v_fma_f32 v64, 0x3f317218, v60, -v62
	v_mov_b32_e32 v66, v62
	v_fmac_f32_e32 v64, 0xb102e308, v60
	s_delay_alu instid0(VALU_DEP_1) | instskip(NEXT) | instid1(VALU_DEP_1)
	v_pk_add_f32 v[60:61], v[62:63], v[64:65]
	v_dual_sub_f32 v29, v61, v65 :: v_dual_mov_b32 v65, v60
	s_delay_alu instid0(VALU_DEP_1) | instskip(SKIP_1) | instid1(VALU_DEP_2)
	v_dual_mov_b32 v74, v61 :: v_dual_sub_f32 v29, v63, v29
	v_pk_add_f32 v[62:63], v[60:61], v[62:63] neg_lo:[0,1] neg_hi:[0,1]
	v_add_f32_e32 v67, v27, v29
	s_delay_alu instid0(VALU_DEP_1) | instskip(NEXT) | instid1(VALU_DEP_1)
	v_pk_add_f32 v[68:69], v[60:61], v[66:67]
	v_mov_b32_e32 v63, v69
	s_delay_alu instid0(VALU_DEP_1) | instskip(SKIP_2) | instid1(VALU_DEP_3)
	v_pk_add_f32 v[70:71], v[64:65], v[62:63]
	v_mov_b32_e32 v70, v69
	v_pk_add_f32 v[62:63], v[64:65], v[62:63] neg_lo:[0,1] neg_hi:[0,1]
	v_dual_mov_b32 v48, v71 :: v_dual_mov_b32 v63, v71
	s_delay_alu instid0(VALU_DEP_1) | instskip(SKIP_1) | instid1(VALU_DEP_2)
	v_pk_add_f32 v[72:73], v[48:49], v[60:61] neg_lo:[0,1] neg_hi:[0,1]
	v_dual_mov_b32 v61, v60 :: v_dual_mov_b32 v60, v67
	v_dual_mov_b32 v75, v72 :: v_dual_mov_b32 v27, v72
	s_delay_alu instid0(VALU_DEP_1) | instskip(NEXT) | instid1(VALU_DEP_2)
	v_pk_add_f32 v[66:67], v[70:71], v[74:75] neg_lo:[0,1] neg_hi:[0,1]
	v_pk_add_f32 v[64:65], v[68:69], v[26:27] neg_lo:[0,1] neg_hi:[0,1]
	v_mov_b32_e32 v64, v62
	s_delay_alu instid0(VALU_DEP_3) | instskip(NEXT) | instid1(VALU_DEP_1)
	v_pk_add_f32 v[60:61], v[60:61], v[66:67] neg_lo:[0,1] neg_hi:[0,1]
	v_pk_add_f32 v[64:65], v[64:65], v[60:61]
	s_delay_alu instid0(VALU_DEP_1) | instskip(NEXT) | instid1(VALU_DEP_1)
	v_mov_b32_e32 v66, v65
	v_pk_add_f32 v[66:67], v[64:65], v[66:67]
	s_delay_alu instid0(VALU_DEP_1) | instskip(NEXT) | instid1(VALU_DEP_1)
	v_pk_add_f32 v[68:69], v[48:49], v[66:67]
	v_dual_mov_b32 v61, v66 :: v_dual_mov_b32 v65, v68
	s_delay_alu instid0(VALU_DEP_1) | instskip(NEXT) | instid1(VALU_DEP_1)
	v_pk_add_f32 v[70:71], v[64:65], v[62:63] neg_lo:[0,1] neg_hi:[0,1]
	v_sub_f32_e32 v27, v64, v70
	s_delay_alu instid0(VALU_DEP_2) | instskip(NEXT) | instid1(VALU_DEP_2)
	v_pk_add_f32 v[60:61], v[60:61], v[70:71] neg_lo:[0,1] neg_hi:[0,1]
	v_sub_f32_e32 v27, v62, v27
	s_delay_alu instid0(VALU_DEP_1) | instskip(NEXT) | instid1(VALU_DEP_1)
	v_add_f32_e32 v27, v60, v27
	v_add_f32_e32 v27, v27, v61
	s_delay_alu instid0(VALU_DEP_1) | instskip(NEXT) | instid1(VALU_DEP_1)
	v_add_f32_e32 v27, v68, v27
	v_cndmask_b32_e32 v27, 0x7f800000, v27, vcc_lo
	v_cmp_ngt_f32_e32 vcc_lo, -1.0, v58
	s_delay_alu instid0(VALU_DEP_2) | instskip(SKIP_1) | instid1(VALU_DEP_2)
	v_cndmask_b32_e32 v27, 0x7fc00000, v27, vcc_lo
	v_cmp_neq_f32_e32 vcc_lo, -1.0, v58
	v_cndmask_b32_e32 v27, 0xff800000, v27, vcc_lo
	v_cmp_gt_f32_e64 vcc_lo, 0x33800000, |v58|
	s_delay_alu instid0(VALU_DEP_2)
	v_cndmask_b32_e32 v27, v27, v58, vcc_lo
.LBB49_131:                             ;   in Loop: Header=BB49_4 Depth=1
	s_and_not1_saveexec_b32 s34, s34
	s_cbranch_execz .LBB49_133
; %bb.132:                              ;   in Loop: Header=BB49_4 Depth=1
	v_sub_f32_e64 v27, 1.0, |v46|
	s_delay_alu instid0(VALU_DEP_1) | instskip(NEXT) | instid1(VALU_DEP_1)
	v_mul_f32_e32 v27, v27, v54
	v_mul_f32_e32 v29, 0x4f800000, v27
	v_cmp_gt_f32_e32 vcc_lo, 0xf800000, v27
	s_delay_alu instid0(VALU_DEP_2) | instskip(NEXT) | instid1(VALU_DEP_1)
	v_cndmask_b32_e32 v27, v27, v29, vcc_lo
	v_sqrt_f32_e32 v29, v27
	v_nop
	s_delay_alu instid0(TRANS32_DEP_1) | instskip(NEXT) | instid1(VALU_DEP_1)
	v_dual_add_nc_u32 v45, -1, v29 :: v_dual_add_nc_u32 v48, 1, v29
	v_dual_fma_f32 v57, -v45, v29, v27 :: v_dual_fma_f32 v58, -v48, v29, v27
	s_delay_alu instid0(VALU_DEP_1) | instskip(NEXT) | instid1(VALU_DEP_1)
	v_cmp_ge_f32_e64 s9, 0, v57
	v_cndmask_b32_e64 v29, v29, v45, s9
	s_delay_alu instid0(VALU_DEP_3) | instskip(NEXT) | instid1(VALU_DEP_1)
	v_cmp_lt_f32_e64 s9, 0, v58
	v_cndmask_b32_e64 v29, v29, v48, s9
	s_delay_alu instid0(VALU_DEP_1) | instskip(NEXT) | instid1(VALU_DEP_1)
	v_mul_f32_e32 v45, 0x37800000, v29
	v_cndmask_b32_e32 v29, v29, v45, vcc_lo
	v_cmp_class_f32_e64 vcc_lo, v27, 0x260
	v_and_b32_e32 v45, 0x7fffffff, v47
	s_delay_alu instid0(VALU_DEP_3) | instskip(NEXT) | instid1(VALU_DEP_1)
	v_cndmask_b32_e32 v27, v29, v27, vcc_lo
	v_div_scale_f32 v29, null, v27, v27, v45
	v_div_scale_f32 v45, vcc_lo, v45, v27, v45
	s_delay_alu instid0(VALU_DEP_2) | instskip(SKIP_1) | instid1(TRANS32_DEP_1)
	v_rcp_f32_e32 v48, v29
	v_nop
	v_fma_f32 v57, -v29, v48, 1.0
	s_delay_alu instid0(VALU_DEP_1) | instskip(NEXT) | instid1(VALU_DEP_1)
	v_fmac_f32_e32 v48, v57, v48
	v_mul_f32_e32 v57, v45, v48
	s_delay_alu instid0(VALU_DEP_1) | instskip(NEXT) | instid1(VALU_DEP_1)
	v_fma_f32 v58, -v29, v57, v45
	v_fmac_f32_e32 v57, v58, v48
	s_delay_alu instid0(VALU_DEP_1) | instskip(NEXT) | instid1(VALU_DEP_1)
	v_fma_f32 v29, -v29, v57, v45
	v_div_fmas_f32 v29, v29, v48, v57
	s_delay_alu instid0(VALU_DEP_1)
	v_div_fixup_f32 v27, v29, v27, |v47|
.LBB49_133:                             ;   in Loop: Header=BB49_4 Depth=1
	s_or_b32 exec_lo, exec_lo, s34
.LBB49_134:                             ;   in Loop: Header=BB49_4 Depth=1
	s_delay_alu instid0(SALU_CYCLE_1)
	s_or_b32 exec_lo, exec_lo, s33
.LBB49_135:                             ;   in Loop: Header=BB49_4 Depth=1
	s_and_not1_saveexec_b32 s31, s31
	s_cbranch_execz .LBB49_137
; %bb.136:                              ;   in Loop: Header=BB49_4 Depth=1
	v_mul_f32_e64 v27, 0x4f800000, |v47|
	v_cmp_gt_f32_e64 vcc_lo, 0xf800000, |v47|
	s_delay_alu instid0(VALU_DEP_1) | instskip(NEXT) | instid1(VALU_DEP_1)
	v_cndmask_b32_e64 v27, |v47|, v27, vcc_lo
	v_sqrt_f32_e32 v29, v27
	v_nop
	s_delay_alu instid0(TRANS32_DEP_1) | instskip(NEXT) | instid1(VALU_DEP_1)
	v_dual_add_nc_u32 v45, -1, v29 :: v_dual_add_nc_u32 v48, 1, v29
	v_dual_fma_f32 v57, -v45, v29, v27 :: v_dual_fma_f32 v58, -v48, v29, v27
	s_delay_alu instid0(VALU_DEP_1) | instskip(NEXT) | instid1(VALU_DEP_1)
	v_cmp_ge_f32_e64 s9, 0, v57
	v_cndmask_b32_e64 v29, v29, v45, s9
	s_delay_alu instid0(VALU_DEP_3) | instskip(NEXT) | instid1(VALU_DEP_1)
	v_cmp_lt_f32_e64 s9, 0, v58
	v_cndmask_b32_e64 v29, v29, v48, s9
	s_delay_alu instid0(VALU_DEP_1) | instskip(NEXT) | instid1(VALU_DEP_1)
	v_mul_f32_e32 v45, 0x37800000, v29
	v_cndmask_b32_e32 v29, v29, v45, vcc_lo
	v_cmp_class_f32_e64 vcc_lo, v27, 0x260
	s_delay_alu instid0(VALU_DEP_2)
	v_cndmask_b32_e32 v27, v29, v27, vcc_lo
.LBB49_137:                             ;   in Loop: Header=BB49_4 Depth=1
	s_or_b32 exec_lo, exec_lo, s31
.LBB49_138:                             ;   in Loop: Header=BB49_4 Depth=1
	s_delay_alu instid0(SALU_CYCLE_1)
	s_or_b32 exec_lo, exec_lo, s10
	v_and_b32_e32 v48, 0x7fffffff, v46
	s_mov_b32 s31, exec_lo
                                        ; implicit-def: $sgpr9
                                        ; implicit-def: $vgpr29
	v_cmpx_ngt_f32_e64 0x21000000, |v46|
	s_xor_b32 s31, exec_lo, s31
	s_cbranch_execz .LBB49_162
; %bb.139:                              ;   in Loop: Header=BB49_4 Depth=1
	v_div_scale_f32 v29, null, v44, v44, v48
	s_mov_b32 s9, 0
	s_mov_b32 s33, exec_lo
	v_rcp_f32_e32 v45, v29
	v_nop
	s_delay_alu instid0(TRANS32_DEP_1) | instskip(NEXT) | instid1(VALU_DEP_1)
	v_fma_f32 v57, -v29, v45, 1.0
	v_fmac_f32_e32 v45, v57, v45
	v_div_scale_f32 v57, vcc_lo, v48, v44, v48
	s_delay_alu instid0(VALU_DEP_1) | instskip(NEXT) | instid1(VALU_DEP_1)
	v_mul_f32_e32 v58, v57, v45
	v_fma_f32 v59, -v29, v58, v57
	s_delay_alu instid0(VALU_DEP_1) | instskip(NEXT) | instid1(VALU_DEP_1)
	v_fmac_f32_e32 v58, v59, v45
	v_fma_f32 v29, -v29, v58, v57
	s_delay_alu instid0(VALU_DEP_1) | instskip(NEXT) | instid1(VALU_DEP_1)
	v_div_fmas_f32 v29, v29, v45, v58
	v_div_fixup_f32 v29, v29, v44, |v46|
	s_delay_alu instid0(VALU_DEP_1)
	v_cmpx_lt_f32_e32 0x3f244674, v29
	s_cbranch_execz .LBB49_161
; %bb.140:                              ;   in Loop: Header=BB49_4 Depth=1
	v_cmp_neq_f32_e64 s9, |v46|, 1.0
	v_cmp_ngt_f32_e64 s10, 0x30800000, |v47|
	s_or_b32 s9, s10, s9
	s_delay_alu instid0(SALU_CYCLE_1) | instskip(NEXT) | instid1(SALU_CYCLE_1)
	s_and_saveexec_b32 s10, s9
	s_xor_b32 s10, exec_lo, s10
	s_cbranch_execz .LBB49_158
; %bb.141:                              ;   in Loop: Header=BB49_4 Depth=1
	v_mul_f32_e64 v45, 0x34000000, |v53|
	s_mov_b32 s34, exec_lo
	s_delay_alu instid0(VALU_DEP_1)
	v_cmpx_ge_f32_e64 |v47|, v45
	s_xor_b32 s34, exec_lo, s34
	s_cbranch_execz .LBB49_151
; %bb.142:                              ;   in Loop: Header=BB49_4 Depth=1
	v_mov_b32_e32 v45, v55
	s_mov_b32 s9, exec_lo
	v_cmpx_neq_f32_e32 0, v54
	s_cbranch_execz .LBB49_144
; %bb.143:                              ;   in Loop: Header=BB49_4 Depth=1
	v_dual_mul_f32 v45, v47, v47 :: v_dual_add_f32 v54, v54, v56
	s_delay_alu instid0(VALU_DEP_1) | instskip(NEXT) | instid1(VALU_DEP_1)
	v_div_scale_f32 v56, null, v54, v54, v45
	v_rcp_f32_e32 v57, v56
	v_nop
	s_delay_alu instid0(TRANS32_DEP_1) | instskip(NEXT) | instid1(VALU_DEP_1)
	v_fma_f32 v58, -v56, v57, 1.0
	v_fmac_f32_e32 v57, v58, v57
	v_div_scale_f32 v58, vcc_lo, v45, v54, v45
	s_delay_alu instid0(VALU_DEP_1) | instskip(NEXT) | instid1(VALU_DEP_1)
	v_mul_f32_e32 v59, v58, v57
	v_fma_f32 v60, -v56, v59, v58
	s_delay_alu instid0(VALU_DEP_1) | instskip(NEXT) | instid1(VALU_DEP_1)
	v_fmac_f32_e32 v59, v60, v57
	v_fma_f32 v56, -v56, v59, v58
	s_delay_alu instid0(VALU_DEP_1) | instskip(NEXT) | instid1(VALU_DEP_1)
	v_div_fmas_f32 v56, v56, v57, v59
	v_div_fixup_f32 v45, v56, v54, v45
.LBB49_144:                             ;   in Loop: Header=BB49_4 Depth=1
	s_or_b32 exec_lo, exec_lo, s9
	s_delay_alu instid0(SALU_CYCLE_1)
	s_mov_b32 s9, exec_lo
	v_cmpx_ngt_f32_e32 0, v53
	s_xor_b32 s9, exec_lo, s9
	s_cbranch_execz .LBB49_148
; %bb.145:                              ;   in Loop: Header=BB49_4 Depth=1
	s_mov_b32 s35, exec_lo
	v_cmpx_neq_f32_e32 0, v53
	s_cbranch_execz .LBB49_147
; %bb.146:                              ;   in Loop: Header=BB49_4 Depth=1
	v_dual_mul_f32 v47, v47, v47 :: v_dual_add_f32 v49, v53, v49
	s_delay_alu instid0(VALU_DEP_1) | instskip(NEXT) | instid1(VALU_DEP_1)
	v_div_scale_f32 v53, null, v49, v49, v47
	v_rcp_f32_e32 v54, v53
	v_nop
	s_delay_alu instid0(TRANS32_DEP_1) | instskip(NEXT) | instid1(VALU_DEP_1)
	v_fma_f32 v55, -v53, v54, 1.0
	v_fmac_f32_e32 v54, v55, v54
	v_div_scale_f32 v55, vcc_lo, v47, v49, v47
	s_delay_alu instid0(VALU_DEP_1) | instskip(NEXT) | instid1(VALU_DEP_1)
	v_mul_f32_e32 v56, v55, v54
	v_fma_f32 v57, -v53, v56, v55
	s_delay_alu instid0(VALU_DEP_1) | instskip(NEXT) | instid1(VALU_DEP_1)
	v_fmac_f32_e32 v56, v57, v54
	v_fma_f32 v53, -v53, v56, v55
	s_delay_alu instid0(VALU_DEP_1) | instskip(NEXT) | instid1(VALU_DEP_1)
	v_div_fmas_f32 v53, v53, v54, v56
	v_div_fixup_f32 v55, v53, v49, v47
.LBB49_147:                             ;   in Loop: Header=BB49_4 Depth=1
	s_or_b32 exec_lo, exec_lo, s35
                                        ; implicit-def: $vgpr49
                                        ; implicit-def: $vgpr53
.LBB49_148:                             ;   in Loop: Header=BB49_4 Depth=1
	s_and_not1_saveexec_b32 s9, s9
; %bb.149:                              ;   in Loop: Header=BB49_4 Depth=1
	v_sub_f32_e32 v55, v49, v53
; %bb.150:                              ;   in Loop: Header=BB49_4 Depth=1
	s_or_b32 exec_lo, exec_lo, s9
	s_delay_alu instid0(VALU_DEP_1) | instskip(SKIP_1) | instid1(VALU_DEP_1)
	v_dual_mul_f32 v47, 0.5, v45 :: v_dual_mul_f32 v45, 0.5, v55
	v_and_b32_e32 v46, 0x7fffffff, v46
                                        ; implicit-def: $vgpr54
	v_pk_add_f32 v[44:45], v[46:47], v[44:45]
	s_delay_alu instid0(VALU_DEP_1) | instskip(NEXT) | instid1(VALU_DEP_1)
	v_mul_f32_e32 v44, v44, v45
	v_mul_f32_e32 v45, 0x4f800000, v44
	v_cmp_gt_f32_e32 vcc_lo, 0xf800000, v44
	s_delay_alu instid0(VALU_DEP_2) | instskip(NEXT) | instid1(VALU_DEP_1)
	v_cndmask_b32_e32 v44, v44, v45, vcc_lo
	v_sqrt_f32_e32 v45, v44
	v_nop
	s_delay_alu instid0(TRANS32_DEP_1) | instskip(NEXT) | instid1(VALU_DEP_1)
	v_dual_add_nc_u32 v46, -1, v45 :: v_dual_add_nc_u32 v47, 1, v45
	v_dual_fma_f32 v49, -v46, v45, v44 :: v_dual_fma_f32 v53, -v47, v45, v44
	s_delay_alu instid0(VALU_DEP_1) | instskip(NEXT) | instid1(VALU_DEP_1)
	v_cmp_ge_f32_e64 s9, 0, v49
	v_cndmask_b32_e64 v45, v45, v46, s9
	s_delay_alu instid0(VALU_DEP_3) | instskip(NEXT) | instid1(VALU_DEP_1)
	v_cmp_lt_f32_e64 s9, 0, v53
                                        ; implicit-def: $vgpr53
	v_cndmask_b32_e64 v45, v45, v47, s9
	s_delay_alu instid0(VALU_DEP_1) | instskip(NEXT) | instid1(VALU_DEP_1)
	v_mul_f32_e32 v46, 0x37800000, v45
	v_cndmask_b32_e32 v45, v45, v46, vcc_lo
	v_cmp_class_f32_e64 vcc_lo, v44, 0x260
                                        ; implicit-def: $vgpr47
	s_delay_alu instid0(VALU_DEP_2)
	v_cndmask_b32_e32 v49, v45, v44, vcc_lo
.LBB49_151:                             ;   in Loop: Header=BB49_4 Depth=1
	s_and_not1_saveexec_b32 s34, s34
	s_cbranch_execz .LBB49_157
; %bb.152:                              ;   in Loop: Header=BB49_4 Depth=1
	s_mov_b32 s35, exec_lo
	v_cmpx_ngt_f32_e64 |v46|, 1.0
	s_xor_b32 s35, exec_lo, s35
	s_cbranch_execz .LBB49_154
; %bb.153:                              ;   in Loop: Header=BB49_4 Depth=1
	v_sub_f32_e64 v44, 1.0, |v46|
	s_delay_alu instid0(VALU_DEP_1) | instskip(NEXT) | instid1(VALU_DEP_1)
	v_mul_f32_e32 v44, v44, v54
                                        ; implicit-def: $vgpr54
	v_mul_f32_e32 v45, 0x4f800000, v44
	v_cmp_gt_f32_e32 vcc_lo, 0xf800000, v44
	s_delay_alu instid0(VALU_DEP_2) | instskip(NEXT) | instid1(VALU_DEP_1)
	v_cndmask_b32_e32 v44, v44, v45, vcc_lo
	v_sqrt_f32_e32 v45, v44
	v_nop
	s_delay_alu instid0(TRANS32_DEP_1) | instskip(NEXT) | instid1(VALU_DEP_1)
	v_dual_add_nc_u32 v46, -1, v45 :: v_dual_add_nc_u32 v47, 1, v45
	v_dual_fma_f32 v49, -v46, v45, v44 :: v_dual_fma_f32 v53, -v47, v45, v44
	s_delay_alu instid0(VALU_DEP_1) | instskip(NEXT) | instid1(VALU_DEP_1)
	v_cmp_ge_f32_e64 s9, 0, v49
	v_cndmask_b32_e64 v45, v45, v46, s9
	s_delay_alu instid0(VALU_DEP_3) | instskip(NEXT) | instid1(VALU_DEP_1)
	v_cmp_lt_f32_e64 s9, 0, v53
                                        ; implicit-def: $vgpr53
	v_cndmask_b32_e64 v45, v45, v47, s9
	s_delay_alu instid0(VALU_DEP_1) | instskip(NEXT) | instid1(VALU_DEP_1)
	v_mul_f32_e32 v46, 0x37800000, v45
	v_cndmask_b32_e32 v45, v45, v46, vcc_lo
	v_cmp_class_f32_e64 vcc_lo, v44, 0x260
                                        ; implicit-def: $vgpr47
	s_delay_alu instid0(VALU_DEP_2)
	v_cndmask_b32_e32 v49, v45, v44, vcc_lo
.LBB49_154:                             ;   in Loop: Header=BB49_4 Depth=1
	s_and_not1_saveexec_b32 s35, s35
	s_cbranch_execz .LBB49_156
; %bb.155:                              ;   in Loop: Header=BB49_4 Depth=1
	v_mul_f32_e32 v44, v54, v53
	v_mul_f32_e64 v47, 0x57800000, |v47|
	s_delay_alu instid0(VALU_DEP_2) | instskip(SKIP_1) | instid1(VALU_DEP_3)
	v_mul_f32_e32 v45, 0x4f800000, v44
	v_cmp_gt_f32_e32 vcc_lo, 0xf800000, v44
	v_mul_f32_e64 v47, |v46|, v47
	s_delay_alu instid0(VALU_DEP_3) | instskip(NEXT) | instid1(VALU_DEP_1)
	v_cndmask_b32_e32 v44, v44, v45, vcc_lo
	v_sqrt_f32_e32 v45, v44
	v_nop
	s_delay_alu instid0(TRANS32_DEP_1) | instskip(NEXT) | instid1(VALU_DEP_1)
	v_dual_add_nc_u32 v48, -1, v45 :: v_dual_add_nc_u32 v49, 1, v45
	v_dual_fma_f32 v53, -v48, v45, v44 :: v_dual_fma_f32 v54, -v49, v45, v44
	s_delay_alu instid0(VALU_DEP_1) | instskip(NEXT) | instid1(VALU_DEP_1)
	v_cmp_ge_f32_e64 s9, 0, v53
	v_cndmask_b32_e64 v45, v45, v48, s9
	s_delay_alu instid0(VALU_DEP_3) | instskip(NEXT) | instid1(VALU_DEP_1)
	v_cmp_lt_f32_e64 s9, 0, v54
	v_cndmask_b32_e64 v45, v45, v49, s9
	s_delay_alu instid0(VALU_DEP_1) | instskip(NEXT) | instid1(VALU_DEP_1)
	v_mul_f32_e32 v48, 0x37800000, v45
	v_cndmask_b32_e32 v45, v45, v48, vcc_lo
	v_cmp_class_f32_e64 vcc_lo, v44, 0x260
	s_delay_alu instid0(VALU_DEP_2) | instskip(NEXT) | instid1(VALU_DEP_1)
	v_cndmask_b32_e32 v44, v45, v44, vcc_lo
	v_div_scale_f32 v45, null, v44, v44, v47
	v_div_scale_f32 v53, vcc_lo, v47, v44, v47
	s_delay_alu instid0(VALU_DEP_2) | instskip(SKIP_1) | instid1(TRANS32_DEP_1)
	v_rcp_f32_e32 v48, v45
	v_nop
	v_fma_f32 v49, -v45, v48, 1.0
	s_delay_alu instid0(VALU_DEP_1) | instskip(NEXT) | instid1(VALU_DEP_1)
	v_fmac_f32_e32 v48, v49, v48
	v_mul_f32_e32 v49, v53, v48
	s_delay_alu instid0(VALU_DEP_1) | instskip(NEXT) | instid1(VALU_DEP_1)
	v_fma_f32 v54, -v45, v49, v53
	v_fmac_f32_e32 v49, v54, v48
	s_delay_alu instid0(VALU_DEP_1) | instskip(NEXT) | instid1(VALU_DEP_1)
	v_fma_f32 v45, -v45, v49, v53
	v_div_fmas_f32 v45, v45, v48, v49
	v_mul_f32_e64 v48, 0x57800000, |v46|
	s_delay_alu instid0(VALU_DEP_2)
	v_div_fixup_f32 v49, v45, v44, v47
.LBB49_156:                             ;   in Loop: Header=BB49_4 Depth=1
	s_or_b32 exec_lo, exec_lo, s35
.LBB49_157:                             ;   in Loop: Header=BB49_4 Depth=1
	s_delay_alu instid0(SALU_CYCLE_1)
	s_or_b32 exec_lo, exec_lo, s34
                                        ; implicit-def: $vgpr47
                                        ; implicit-def: $vgpr44
.LBB49_158:                             ;   in Loop: Header=BB49_4 Depth=1
	s_and_not1_saveexec_b32 s34, s10
	s_cbranch_execz .LBB49_160
; %bb.159:                              ;   in Loop: Header=BB49_4 Depth=1
	v_add_f32_e32 v44, 1.0, v44
	v_mul_f32_e64 v45, 0x4f800000, |v47|
	v_cmp_gt_f32_e64 vcc_lo, 0xf800000, |v47|
	s_delay_alu instid0(VALU_DEP_3) | instskip(NEXT) | instid1(VALU_DEP_2)
	v_mul_f32_e32 v44, 0.5, v44
	v_cndmask_b32_e64 v45, |v47|, v45, vcc_lo
	s_delay_alu instid0(VALU_DEP_2) | instskip(SKIP_1) | instid1(VALU_DEP_1)
	v_mul_f32_e32 v46, 0x4f800000, v44
	v_cmp_gt_f32_e64 s9, 0xf800000, v44
	v_cndmask_b32_e64 v44, v44, v46, s9
	s_delay_alu instid0(VALU_DEP_4) | instskip(SKIP_1) | instid1(TRANS32_DEP_1)
	v_sqrt_f32_e32 v46, v45
	v_nop
	v_add_nc_u32_e32 v53, 1, v46
	s_delay_alu instid0(VALU_DEP_3) | instskip(SKIP_1) | instid1(TRANS32_DEP_1)
	v_sqrt_f32_e32 v47, v44
	v_nop
	v_dual_add_nc_u32 v48, -1, v46 :: v_dual_add_nc_u32 v49, -1, v47
	s_delay_alu instid0(VALU_DEP_1) | instskip(NEXT) | instid1(VALU_DEP_2)
	v_dual_fma_f32 v54, -v48, v46, v45 :: v_dual_add_nc_u32 v55, 1, v47
	v_fma_f32 v56, -v49, v47, v44
	s_delay_alu instid0(VALU_DEP_2) | instskip(NEXT) | instid1(VALU_DEP_1)
	v_cmp_ge_f32_e64 s10, 0, v54
	v_dual_fma_f32 v57, -v53, v46, v45 :: v_dual_cndmask_b32 v46, v46, v48, s10
	s_delay_alu instid0(VALU_DEP_3) | instskip(SKIP_1) | instid1(VALU_DEP_2)
	v_cmp_ge_f32_e64 s10, 0, v56
	v_fma_f32 v48, -v55, v47, v44
	v_cndmask_b32_e64 v47, v47, v49, s10
	s_delay_alu instid0(VALU_DEP_4) | instskip(NEXT) | instid1(VALU_DEP_1)
	v_cmp_lt_f32_e64 s10, 0, v57
	v_cndmask_b32_e64 v46, v46, v53, s10
	s_delay_alu instid0(VALU_DEP_4) | instskip(NEXT) | instid1(VALU_DEP_2)
	v_cmp_lt_f32_e64 s10, 0, v48
	v_mul_f32_e32 v48, 0x37800000, v46
	s_delay_alu instid0(VALU_DEP_1) | instskip(SKIP_1) | instid1(VALU_DEP_4)
	v_cndmask_b32_e32 v46, v46, v48, vcc_lo
	v_cmp_class_f32_e64 vcc_lo, v45, 0x260
	v_dual_cndmask_b32 v47, v47, v55, s10 :: v_dual_mov_b32 v48, 1.0
	s_delay_alu instid0(VALU_DEP_3) | instskip(NEXT) | instid1(VALU_DEP_2)
	v_cndmask_b32_e32 v45, v46, v45, vcc_lo
	v_mul_f32_e32 v49, 0x37800000, v47
	v_cmp_class_f32_e64 vcc_lo, v44, 0x260
	s_delay_alu instid0(VALU_DEP_2) | instskip(NEXT) | instid1(VALU_DEP_1)
	v_cndmask_b32_e64 v47, v47, v49, s9
	v_cndmask_b32_e32 v44, v47, v44, vcc_lo
	s_delay_alu instid0(VALU_DEP_1)
	v_mul_f32_e32 v49, v45, v44
.LBB49_160:                             ;   in Loop: Header=BB49_4 Depth=1
	s_or_b32 exec_lo, exec_lo, s34
	s_delay_alu instid0(SALU_CYCLE_1)
	s_mov_b32 s9, exec_lo
.LBB49_161:                             ;   in Loop: Header=BB49_4 Depth=1
	s_or_b32 exec_lo, exec_lo, s33
                                        ; implicit-def: $vgpr44
.LBB49_162:                             ;   in Loop: Header=BB49_4 Depth=1
	s_and_not1_saveexec_b32 s10, s31
; %bb.163:                              ;   in Loop: Header=BB49_4 Depth=1
	v_mov_b32_e32 v49, v44
	s_or_b32 s9, s9, exec_lo
                                        ; implicit-def: $vgpr29
	s_delay_alu instid0(VALU_DEP_1)
	v_pk_mul_f32 v[48:49], v[48:49], s[22:23] op_sel_hi:[1,0]
; %bb.164:                              ;   in Loop: Header=BB49_4 Depth=1
	s_or_b32 exec_lo, exec_lo, s10
	s_xor_b32 s9, s9, -1
                                        ; implicit-def: $vgpr44
	s_delay_alu instid0(SALU_CYCLE_1) | instskip(NEXT) | instid1(SALU_CYCLE_1)
	s_and_saveexec_b32 s10, s9
	s_xor_b32 s10, exec_lo, s10
	s_cbranch_execz .LBB49_170
; %bb.165:                              ;   in Loop: Header=BB49_4 Depth=1
	v_fma_f32 v46, |v29|, -0.5, 0.5
	v_mul_f32_e32 v45, v29, v29
                                        ; implicit-def: $vgpr44
	s_and_saveexec_b32 s9, s8
	s_delay_alu instid0(SALU_CYCLE_1)
	s_xor_b32 s9, exec_lo, s9
	s_cbranch_execz .LBB49_167
; %bb.166:                              ;   in Loop: Header=BB49_4 Depth=1
	v_cmp_gt_f32_e64 vcc_lo, |v29|, 0.5
	v_cndmask_b32_e32 v44, v45, v46, vcc_lo
	s_delay_alu instid0(VALU_DEP_1) | instskip(SKIP_1) | instid1(VALU_DEP_1)
	v_sqrt_f32_e32 v46, v44
	v_fmaak_f32 v45, s23, v44, 0x3c5fc5da
	v_fmaak_f32 v45, v44, v45, 0x3d034c3c
	s_delay_alu instid0(VALU_DEP_1) | instskip(NEXT) | instid1(VALU_DEP_1)
	v_fmaak_f32 v45, v44, v45, 0x3d3641b1
	v_fmaak_f32 v45, v44, v45, 0x3d999bc8
	s_delay_alu instid0(VALU_DEP_1) | instskip(NEXT) | instid1(VALU_DEP_1)
	v_fmaak_f32 v45, v44, v45, 0x3e2aaaac
	v_mul_f32_e32 v44, v44, v45
                                        ; implicit-def: $vgpr45
	s_delay_alu instid0(VALU_DEP_1) | instskip(NEXT) | instid1(VALU_DEP_1)
	v_dual_fmac_f32 v46, v46, v44 :: v_dual_fmac_f32 v29, v29, v44
	v_dual_add_f32 v44, v46, v46 :: v_dual_sub_f32 v29, 0x3fc90fdb, v29
                                        ; implicit-def: $vgpr46
	s_delay_alu instid0(VALU_DEP_1)
	v_cndmask_b32_e32 v44, v29, v44, vcc_lo
                                        ; implicit-def: $vgpr29
.LBB49_167:                             ;   in Loop: Header=BB49_4 Depth=1
	s_and_not1_saveexec_b32 s31, s9
	s_cbranch_execz .LBB49_169
; %bb.168:                              ;   in Loop: Header=BB49_4 Depth=1
	v_cmp_gt_f32_e64 vcc_lo, |v29|, 0.5
	v_cmp_lt_f32_e64 s9, 0, v29
	v_cndmask_b32_e32 v44, v45, v46, vcc_lo
	s_delay_alu instid0(VALU_DEP_1) | instskip(SKIP_1) | instid1(VALU_DEP_1)
	v_sqrt_f32_e32 v46, v44
	v_fmaak_f32 v45, s23, v44, 0x3c5fc5da
	v_fmaak_f32 v45, v44, v45, 0x3d034c3c
	s_delay_alu instid0(VALU_DEP_1) | instskip(NEXT) | instid1(VALU_DEP_1)
	v_fmaak_f32 v45, v44, v45, 0x3d3641b1
	v_fmaak_f32 v45, v44, v45, 0x3d999bc8
	s_delay_alu instid0(VALU_DEP_1) | instskip(NEXT) | instid1(VALU_DEP_1)
	v_fmaak_f32 v45, v44, v45, 0x3e2aaaac
	v_mul_f32_e32 v44, v44, v45
	s_delay_alu instid0(VALU_DEP_1) | instskip(NEXT) | instid1(VALU_DEP_1)
	v_dual_fmac_f32 v46, v46, v44 :: v_dual_fma_f32 v44, -v29, v44, -v29
	v_dual_add_f32 v45, v46, v46 :: v_dual_sub_f32 v44, 0x3fc90fdb, v44
	s_delay_alu instid0(VALU_DEP_1) | instskip(NEXT) | instid1(VALU_DEP_1)
	v_sub_f32_e32 v46, 0x40490fdb, v45
	v_cndmask_b32_e64 v29, v45, v46, s9
	s_delay_alu instid0(VALU_DEP_1)
	v_cndmask_b32_e32 v44, v44, v29, vcc_lo
.LBB49_169:                             ;   in Loop: Header=BB49_4 Depth=1
	s_or_b32 exec_lo, exec_lo, s31
                                        ; implicit-def: $vgpr48
.LBB49_170:                             ;   in Loop: Header=BB49_4 Depth=1
	s_and_not1_saveexec_b32 s9, s10
	s_cbranch_execz .LBB49_176
; %bb.171:                              ;   in Loop: Header=BB49_4 Depth=1
	v_max_num_f32_e64 v29, |v49|, |v49|
	v_max_num_f32_e32 v44, v48, v48
	v_cmp_gt_f32_e64 vcc_lo, |v49|, v48
	v_cmp_class_f32_e64 s10, v49, 0x204
	s_delay_alu instid0(VALU_DEP_3) | instskip(NEXT) | instid1(VALU_DEP_1)
	v_dual_max_num_f32 v45, v44, v29 :: v_dual_min_num_f32 v29, v44, v29
	v_frexp_mant_f32_e32 v46, v45
	v_frexp_exp_i32_f32_e32 v44, v45
	s_delay_alu instid0(VALU_DEP_2)
	v_rcp_f32_e32 v45, v46
	v_nop
	v_frexp_exp_i32_f32_e32 v46, v29
	v_frexp_mant_f32_e32 v29, v29
	s_delay_alu instid0(TRANS32_DEP_1) | instid1(VALU_DEP_1)
	v_dual_mul_f32 v29, v29, v45 :: v_dual_sub_nc_u32 v44, v46, v44
	s_delay_alu instid0(VALU_DEP_1) | instskip(NEXT) | instid1(VALU_DEP_1)
	v_ldexp_f32 v29, v29, v44
	v_mul_f32_e32 v44, v29, v29
	s_delay_alu instid0(VALU_DEP_1) | instskip(NEXT) | instid1(VALU_DEP_1)
	v_fmaak_f32 v45, s26, v44, 0xbc7a590c
	v_fmaak_f32 v45, v44, v45, 0x3d29fb3f
	s_delay_alu instid0(VALU_DEP_1) | instskip(NEXT) | instid1(VALU_DEP_1)
	v_fmaak_f32 v45, v44, v45, 0xbd97d4d7
	v_fmaak_f32 v45, v44, v45, 0x3dd931b2
	;; [unrolled: 3-line block ×3, first 2 shown]
	s_delay_alu instid0(VALU_DEP_1) | instskip(NEXT) | instid1(VALU_DEP_1)
	v_fmaak_f32 v45, v44, v45, 0xbeaaaa62
	v_mul_f32_e32 v44, v44, v45
	s_delay_alu instid0(VALU_DEP_1) | instskip(NEXT) | instid1(VALU_DEP_1)
	v_fmac_f32_e32 v29, v29, v44
	v_sub_f32_e32 v44, 0x3fc90fdb, v29
	s_delay_alu instid0(VALU_DEP_1) | instskip(SKIP_1) | instid1(SALU_CYCLE_1)
	v_cndmask_b32_e32 v29, v29, v44, vcc_lo
                                        ; implicit-def: $vgpr44
	s_and_saveexec_b32 s31, s8
	s_xor_b32 s31, exec_lo, s31
	s_cbranch_execz .LBB49_173
; %bb.172:                              ;   in Loop: Header=BB49_4 Depth=1
	v_cmp_neq_f32_e64 s8, 0, v49
	v_cmp_eq_f32_e32 vcc_lo, 0x7f800000, v48
	s_delay_alu instid0(VALU_DEP_2) | instskip(SKIP_2) | instid1(VALU_DEP_2)
	v_cndmask_b32_e64 v29, 0, v29, s8
	s_and_b32 s8, vcc_lo, s10
	v_cmp_o_f32_e32 vcc_lo, v49, v49
	v_cndmask_b32_e64 v29, v29, 0x3f490fdb, s8
	s_delay_alu instid0(VALU_DEP_1) | instskip(NEXT) | instid1(VALU_DEP_1)
	v_cndmask_b32_e32 v29, 0x7fc00000, v29, vcc_lo
	v_bfi_b32 v44, 0x7fffffff, v29, v49
                                        ; implicit-def: $vgpr29
                                        ; implicit-def: $vgpr48
.LBB49_173:                             ;   in Loop: Header=BB49_4 Depth=1
	s_and_not1_saveexec_b32 s31, s31
	s_cbranch_execz .LBB49_175
; %bb.174:                              ;   in Loop: Header=BB49_4 Depth=1
	v_sub_f32_e32 v44, 0x40490fdb, v29
	v_cmp_lt_f32_e32 vcc_lo, 0, v48
	v_cmp_neq_f32_e64 s8, 0, v49
	s_delay_alu instid0(VALU_DEP_3) | instskip(SKIP_1) | instid1(VALU_DEP_2)
	v_cndmask_b32_e32 v29, v29, v44, vcc_lo
	v_cmp_eq_f32_e32 vcc_lo, 0x7f800000, v48
	v_cndmask_b32_e64 v29, 0x40490fdb, v29, s8
	s_and_b32 s8, vcc_lo, s10
	v_cmp_o_f32_e32 vcc_lo, v49, v49
	s_delay_alu instid0(VALU_DEP_2) | instskip(NEXT) | instid1(VALU_DEP_1)
	v_cndmask_b32_e64 v29, v29, 0x4016cbe4, s8
	v_cndmask_b32_e32 v29, 0x7fc00000, v29, vcc_lo
	s_delay_alu instid0(VALU_DEP_1)
	v_bfi_b32 v44, 0x7fffffff, v29, v49
.LBB49_175:                             ;   in Loop: Header=BB49_4 Depth=1
	s_or_b32 exec_lo, exec_lo, s31
.LBB49_176:                             ;   in Loop: Header=BB49_4 Depth=1
	s_delay_alu instid0(SALU_CYCLE_1)
	s_or_b32 exec_lo, exec_lo, s9
	v_cndmask_b32_e64 v45, -v27, v27, s6
                                        ; implicit-def: $vgpr46
.LBB49_177:                             ;   in Loop: Header=BB49_4 Depth=1
	s_and_not1_saveexec_b32 s8, s30
	s_cbranch_execz .LBB49_179
; %bb.178:                              ;   in Loop: Header=BB49_4 Depth=1
	flat_load_b32 v27, v[4:5] scope:SCOPE_SYS
	s_wait_loadcnt_dscnt 0x0
	v_sub_f32_e32 v27, v27, v46
	s_delay_alu instid0(VALU_DEP_1)
	v_add_f32_e32 v44, 0x3fc90fdb, v27
.LBB49_179:                             ;   in Loop: Header=BB49_4 Depth=1
	s_or_b32 exec_lo, exec_lo, s8
.LBB49_180:                             ;   in Loop: Header=BB49_4 Depth=1
	s_and_not1_saveexec_b32 s8, s29
; %bb.181:                              ;   in Loop: Header=BB49_4 Depth=1
	v_mov_b32_e32 v44, 0
; %bb.182:                              ;   in Loop: Header=BB49_4 Depth=1
	s_or_b32 exec_lo, exec_lo, s8
                                        ; implicit-def: $vgpr46
                                        ; implicit-def: $vgpr48
                                        ; implicit-def: $vgpr27
                                        ; implicit-def: $vgpr29
.LBB49_183:                             ;   in Loop: Header=BB49_4 Depth=1
	s_and_not1_saveexec_b32 s10, s28
	s_cbranch_execz .LBB49_193
; %bb.184:                              ;   in Loop: Header=BB49_4 Depth=1
	v_cmp_lt_f32_e64 s8, |v46|, |v47|
                                        ; implicit-def: $vgpr45
                                        ; implicit-def: $vgpr44
	s_mov_b32 s9, exec_lo
	v_cndmask_b32_e64 v49, |v46|, |v47|, s8
	s_delay_alu instid0(VALU_DEP_1)
	v_cmpx_nlt_f32_e32 0x7effffff, v49
	s_xor_b32 s28, exec_lo, s9
	s_cbranch_execz .LBB49_190
; %bb.185:                              ;   in Loop: Header=BB49_4 Depth=1
	v_cndmask_b32_e64 v53, |v47|, |v46|, s8
	v_cmp_nlt_f32_e32 vcc_lo, 0x5e000000, v49
                                        ; implicit-def: $vgpr45
                                        ; implicit-def: $vgpr44
	s_delay_alu instid0(VALU_DEP_2) | instskip(SKIP_1) | instid1(SALU_CYCLE_1)
	v_cmp_ngt_f32_e64 s9, 0x20000000, v53
	s_and_b32 s9, vcc_lo, s9
	s_and_saveexec_b32 s29, s9
	s_delay_alu instid0(SALU_CYCLE_1)
	s_xor_b32 s29, exec_lo, s29
	s_cbranch_execz .LBB49_187
; %bb.186:                              ;   in Loop: Header=BB49_4 Depth=1
	s_wait_dscnt 0x0
	v_frexp_mant_f32_e32 v44, v29
	v_dual_min_num_f32 v27, v48, v27 :: v_dual_mul_f32 v48, v53, v53
	v_frexp_exp_i32_f32_e32 v29, v29
	s_delay_alu instid0(VALU_DEP_3) | instskip(NEXT) | instid1(VALU_DEP_2)
	v_rcp_f32_e32 v44, v44
	v_frexp_exp_i32_f32_e32 v45, v27
	v_frexp_mant_f32_e32 v27, v27
	s_delay_alu instid0(TRANS32_DEP_1) | instid1(VALU_DEP_1)
	v_dual_sub_nc_u32 v29, v45, v29 :: v_dual_mul_f32 v27, v27, v44
	s_delay_alu instid0(VALU_DEP_1) | instskip(NEXT) | instid1(VALU_DEP_1)
	v_ldexp_f32 v44, v27, v29
	v_dual_fmac_f32 v48, v49, v49 :: v_dual_mul_f32 v29, v44, v44
	s_delay_alu instid0(VALU_DEP_1) | instskip(NEXT) | instid1(VALU_DEP_2)
	v_cmp_gt_f32_e32 vcc_lo, 0x800000, v48
	v_fmaak_f32 v45, s26, v29, 0xbc7a590c
	v_cndmask_b32_e64 v27, 0, 32, vcc_lo
	s_delay_alu instid0(VALU_DEP_2) | instskip(NEXT) | instid1(VALU_DEP_2)
	v_fmaak_f32 v45, v29, v45, 0x3d29fb3f
	v_ldexp_f32 v27, v48, v27
	s_delay_alu instid0(VALU_DEP_2) | instskip(NEXT) | instid1(VALU_DEP_2)
	v_fmaak_f32 v45, v29, v45, 0xbd97d4d7
	v_log_f32_e32 v27, v27
	s_delay_alu instid0(VALU_DEP_1) | instskip(NEXT) | instid1(TRANS32_DEP_1)
	v_fmaak_f32 v45, v29, v45, 0x3dd931b2
	v_cmp_gt_f32_e64 s9, 0x7f800000, |v27|
	s_delay_alu instid0(VALU_DEP_2) | instskip(NEXT) | instid1(VALU_DEP_1)
	v_fmaak_f32 v45, v29, v45, 0xbe1160e6
	v_fmaak_f32 v45, v29, v45, 0x3e4cb8bf
	s_delay_alu instid0(VALU_DEP_1) | instskip(NEXT) | instid1(VALU_DEP_1)
	v_fmaak_f32 v45, v29, v45, 0xbeaaaa62
	v_dual_mul_f32 v48, 0x3f317217, v27 :: v_dual_mul_f32 v29, v29, v45
	s_delay_alu instid0(VALU_DEP_1) | instskip(NEXT) | instid1(VALU_DEP_2)
	v_fma_f32 v48, 0x3f317217, v27, -v48
	v_fmac_f32_e32 v44, v44, v29
	s_delay_alu instid0(VALU_DEP_2) | instskip(NEXT) | instid1(VALU_DEP_1)
	v_fmac_f32_e32 v48, 0x3377d1cf, v27
                                        ; implicit-def: $vgpr29
	v_fmac_f32_e32 v48, 0x3f317217, v27
	s_delay_alu instid0(VALU_DEP_1) | instskip(SKIP_1) | instid1(VALU_DEP_1)
	v_cndmask_b32_e64 v27, v27, v48, s9
	v_cndmask_b32_e64 v48, 0, 0x41b17218, vcc_lo
	v_sub_f32_e32 v27, v27, v48
                                        ; implicit-def: $vgpr48
	s_delay_alu instid0(VALU_DEP_1)
	v_mul_f32_e32 v45, 0.5, v27
                                        ; implicit-def: $vgpr27
.LBB49_187:                             ;   in Loop: Header=BB49_4 Depth=1
	s_and_not1_saveexec_b32 s9, s29
	s_cbranch_execz .LBB49_189
; %bb.188:                              ;   in Loop: Header=BB49_4 Depth=1
	s_wait_dscnt 0x0
	v_cvt_f64_f32_e32 v[44:45], v29
	v_frexp_mant_f32_e32 v53, v29
	v_cmp_neq_f32_e32 vcc_lo, 0x7f800000, v29
	s_delay_alu instid0(VALU_DEP_3) | instskip(NEXT) | instid1(VALU_DEP_1)
	v_frexp_exp_i32_f64_e32 v44, v[44:45]
	v_sub_nc_u32_e32 v45, 0, v44
	s_delay_alu instid0(VALU_DEP_1) | instskip(NEXT) | instid1(VALU_DEP_1)
	v_ldexp_f32 v49, |v47|, v45
	v_mul_f32_e32 v49, v49, v49
	v_ldexp_f32 v45, |v46|, v45
	v_min_num_f32_e32 v27, v48, v27
	v_rcp_f32_e32 v48, v53
	s_delay_alu instid0(VALU_DEP_2) | instskip(SKIP_1) | instid1(VALU_DEP_3)
	v_fmac_f32_e32 v49, v45, v45
	v_frexp_exp_i32_f32_e32 v45, v29
	v_frexp_exp_i32_f32_e32 v53, v27
	v_frexp_mant_f32_e32 v27, v27
	s_delay_alu instid0(VALU_DEP_4)
	v_sqrt_f32_e32 v49, v49
	s_delay_alu instid0(TRANS32_DEP_2) | instid1(VALU_DEP_1)
	v_dual_sub_nc_u32 v45, v53, v45 :: v_dual_mul_f32 v27, v27, v48
	s_delay_alu instid0(TRANS32_DEP_1) | instskip(NEXT) | instid1(VALU_DEP_2)
	v_ldexp_f32 v48, v49, v44
	v_ldexp_f32 v44, v27, v45
	s_delay_alu instid0(VALU_DEP_2) | instskip(NEXT) | instid1(VALU_DEP_1)
	v_cndmask_b32_e32 v27, 0x7f800000, v48, vcc_lo
	v_cmp_gt_f32_e32 vcc_lo, 0x800000, v27
	v_cndmask_b32_e64 v45, 0, 32, vcc_lo
	v_cndmask_b32_e64 v49, 0, 0x41b17218, vcc_lo
	s_delay_alu instid0(VALU_DEP_2) | instskip(NEXT) | instid1(VALU_DEP_1)
	v_ldexp_f32 v27, v27, v45
	v_log_f32_e32 v27, v27
	v_mul_f32_e32 v29, v44, v44
	s_delay_alu instid0(VALU_DEP_1) | instskip(NEXT) | instid1(TRANS32_DEP_1)
	v_fmaak_f32 v48, s26, v29, 0xbc7a590c
	v_cmp_gt_f32_e64 vcc_lo, 0x7f800000, |v27|
	s_delay_alu instid0(VALU_DEP_2) | instskip(SKIP_1) | instid1(VALU_DEP_2)
	v_fmaak_f32 v45, v29, v48, 0x3d29fb3f
	v_mul_f32_e32 v48, 0x3f317217, v27
	v_fmaak_f32 v45, v29, v45, 0xbd97d4d7
	s_delay_alu instid0(VALU_DEP_2) | instskip(NEXT) | instid1(VALU_DEP_2)
	v_fma_f32 v48, 0x3f317217, v27, -v48
	v_fmaak_f32 v45, v29, v45, 0x3dd931b2
	s_delay_alu instid0(VALU_DEP_1) | instskip(NEXT) | instid1(VALU_DEP_1)
	v_fmaak_f32 v45, v29, v45, 0xbe1160e6
	v_fmaak_f32 v45, v29, v45, 0x3e4cb8bf
	s_delay_alu instid0(VALU_DEP_1) | instskip(NEXT) | instid1(VALU_DEP_1)
	v_fmaak_f32 v45, v29, v45, 0xbeaaaa62
	v_dual_fmac_f32 v48, 0x3377d1cf, v27 :: v_dual_mul_f32 v29, v29, v45
	s_delay_alu instid0(VALU_DEP_1) | instskip(NEXT) | instid1(VALU_DEP_1)
	v_fmac_f32_e32 v48, 0x3f317217, v27
	v_dual_fmac_f32 v44, v44, v29 :: v_dual_cndmask_b32 v27, v27, v48
	s_delay_alu instid0(VALU_DEP_1)
	v_sub_f32_e32 v45, v27, v49
.LBB49_189:                             ;   in Loop: Header=BB49_4 Depth=1
	s_or_b32 exec_lo, exec_lo, s9
                                        ; implicit-def: $vgpr48
                                        ; implicit-def: $vgpr27
                                        ; implicit-def: $vgpr29
.LBB49_190:                             ;   in Loop: Header=BB49_4 Depth=1
	s_and_not1_saveexec_b32 s28, s28
	s_cbranch_execz .LBB49_192
; %bb.191:                              ;   in Loop: Header=BB49_4 Depth=1
	v_div_scale_f32 v44, null, 0x402df854, 0x402df854, v46
	v_div_scale_f32 v45, null, 0x402df854, 0x402df854, v47
	v_div_scale_f32 v56, vcc_lo, v46, 0x402df854, v46
	s_delay_alu instid0(VALU_DEP_3) | instskip(NEXT) | instid1(VALU_DEP_2)
	v_rcp_f32_e32 v49, v44
	v_rcp_f32_e32 v53, v45
	v_min_num_f32_e32 v27, v48, v27
	s_delay_alu instid0(TRANS32_DEP_2) | instskip(NEXT) | instid1(TRANS32_DEP_1)
	v_fma_f32 v54, -v44, v49, 1.0
	v_fma_f32 v55, -v45, v53, 1.0
	s_delay_alu instid0(VALU_DEP_2) | instskip(NEXT) | instid1(VALU_DEP_2)
	v_fmac_f32_e32 v49, v54, v49
	v_fmac_f32_e32 v53, v55, v53
	v_div_scale_f32 v54, s9, v47, 0x402df854, v47
	s_delay_alu instid0(VALU_DEP_3) | instskip(NEXT) | instid1(VALU_DEP_1)
	v_mul_f32_e32 v55, v56, v49
	v_fma_f32 v58, -v44, v55, v56
	s_delay_alu instid0(VALU_DEP_1) | instskip(NEXT) | instid1(VALU_DEP_1)
	v_fmac_f32_e32 v55, v58, v49
	v_dual_fma_f32 v44, -v44, v55, v56 :: v_dual_mul_f32 v57, v54, v53
	s_delay_alu instid0(VALU_DEP_1) | instskip(NEXT) | instid1(VALU_DEP_2)
	v_div_fmas_f32 v44, v44, v49, v55
	v_fma_f32 v59, -v45, v57, v54
	s_mov_b32 vcc_lo, s9
	s_delay_alu instid0(VALU_DEP_2) | instskip(NEXT) | instid1(VALU_DEP_2)
	v_div_fixup_f32 v49, v44, 0x402df854, v46
	v_fmac_f32_e32 v57, v59, v53
	s_delay_alu instid0(VALU_DEP_1) | instskip(NEXT) | instid1(VALU_DEP_1)
	v_fma_f32 v45, -v45, v57, v54
	v_div_fmas_f32 v45, v45, v53, v57
	s_delay_alu instid0(VALU_DEP_1) | instskip(NEXT) | instid1(VALU_DEP_1)
	v_div_fixup_f32 v53, v45, 0x402df854, v47
	v_max_num_f32_e64 v54, |v49|, |v53|
	s_delay_alu instid0(VALU_DEP_1) | instskip(SKIP_1) | instid1(VALU_DEP_2)
	v_cvt_f64_f32_e32 v[44:45], v54
	v_cmp_neq_f32_e32 vcc_lo, 0x7f800000, v54
	v_frexp_exp_i32_f64_e32 v44, v[44:45]
	s_delay_alu instid0(VALU_DEP_1) | instskip(NEXT) | instid1(VALU_DEP_1)
	v_sub_nc_u32_e32 v45, 0, v44
	v_ldexp_f32 v53, |v53|, v45
	v_ldexp_f32 v45, |v49|, v45
	s_delay_alu instid0(VALU_DEP_2) | instskip(NEXT) | instid1(VALU_DEP_1)
	v_mul_f32_e32 v49, v53, v53
	v_fmac_f32_e32 v49, v45, v45
	s_wait_dscnt 0x0
	v_frexp_mant_f32_e32 v45, v29
	v_frexp_exp_i32_f32_e32 v29, v29
	s_delay_alu instid0(VALU_DEP_3) | instskip(NEXT) | instid1(VALU_DEP_2)
	v_sqrt_f32_e32 v48, v49
	v_rcp_f32_e32 v45, v45
	v_frexp_exp_i32_f32_e32 v49, v27
	v_frexp_mant_f32_e32 v27, v27
	s_delay_alu instid0(VALU_DEP_2) | instskip(NEXT) | instid1(TRANS32_DEP_2)
	v_sub_nc_u32_e32 v29, v49, v29
	v_ldexp_f32 v44, v48, v44
	s_delay_alu instid0(TRANS32_DEP_1) | instid1(VALU_DEP_3)
	v_mul_f32_e32 v27, v27, v45
	s_delay_alu instid0(VALU_DEP_2) | instskip(NEXT) | instid1(VALU_DEP_2)
	v_cndmask_b32_e32 v45, 0x7f800000, v44, vcc_lo
	v_ldexp_f32 v44, v27, v29
	s_delay_alu instid0(VALU_DEP_2) | instskip(NEXT) | instid1(VALU_DEP_2)
	v_cmp_gt_f32_e32 vcc_lo, 0x800000, v45
	v_mul_f32_e32 v29, v44, v44
	v_cndmask_b32_e64 v27, 0, 32, vcc_lo
	v_cndmask_b32_e64 v49, 0, 0x41b17218, vcc_lo
	s_delay_alu instid0(VALU_DEP_2) | instskip(NEXT) | instid1(VALU_DEP_4)
	v_ldexp_f32 v27, v45, v27
	v_fmaak_f32 v45, s26, v29, 0xbc7a590c
	s_delay_alu instid0(VALU_DEP_2) | instskip(NEXT) | instid1(VALU_DEP_1)
	v_log_f32_e32 v27, v27
	v_fmaak_f32 v45, v29, v45, 0x3d29fb3f
	s_delay_alu instid0(VALU_DEP_1) | instskip(NEXT) | instid1(TRANS32_DEP_1)
	v_fmaak_f32 v45, v29, v45, 0xbd97d4d7
	v_mul_f32_e32 v48, 0x3f317217, v27
	v_cmp_gt_f32_e64 vcc_lo, 0x7f800000, |v27|
	s_delay_alu instid0(VALU_DEP_3) | instskip(NEXT) | instid1(VALU_DEP_3)
	v_fmaak_f32 v45, v29, v45, 0x3dd931b2
	v_fma_f32 v48, 0x3f317217, v27, -v48
	s_delay_alu instid0(VALU_DEP_2) | instskip(NEXT) | instid1(VALU_DEP_2)
	v_fmaak_f32 v45, v29, v45, 0xbe1160e6
	v_fmac_f32_e32 v48, 0x3377d1cf, v27
	s_delay_alu instid0(VALU_DEP_2) | instskip(NEXT) | instid1(VALU_DEP_1)
	v_fmaak_f32 v45, v29, v45, 0x3e4cb8bf
	v_fmaak_f32 v45, v29, v45, 0xbeaaaa62
	s_delay_alu instid0(VALU_DEP_1) | instskip(NEXT) | instid1(VALU_DEP_1)
	v_dual_fmac_f32 v48, 0x3f317217, v27 :: v_dual_mul_f32 v29, v29, v45
	v_dual_cndmask_b32 v27, v27, v48 :: v_dual_fmac_f32 v44, v44, v29
	s_delay_alu instid0(VALU_DEP_1) | instskip(NEXT) | instid1(VALU_DEP_1)
	v_sub_f32_e32 v27, v27, v49
	v_add_f32_e32 v45, 1.0, v27
.LBB49_192:                             ;   in Loop: Header=BB49_4 Depth=1
	s_or_b32 exec_lo, exec_lo, s28
	s_delay_alu instid0(VALU_DEP_3) | instskip(NEXT) | instid1(VALU_DEP_2)
	v_sub_f32_e32 v27, 0x3fc90fdb, v44
	v_add_f32_e32 v45, 0x3f317218, v45
	v_cmp_gt_f32_e32 vcc_lo, 0, v46
	s_delay_alu instid0(VALU_DEP_2)
	v_dual_cndmask_b32 v27, v44, v27, s8 :: v_dual_cndmask_b32 v45, -v45, v45, s6
	v_cndmask_b32_e64 v44, 0, 0x40490fdb, s7
	v_cmp_class_f32_e64 s7, v46, 0x204
	v_cmp_class_f32_e64 s8, v47, 0x204
	s_wait_dscnt 0x0
	v_sub_f32_e32 v29, 0x40490fdb, v27
	s_delay_alu instid0(VALU_DEP_1) | instskip(SKIP_2) | instid1(VALU_DEP_3)
	v_cndmask_b32_e32 v27, v27, v29, vcc_lo
	v_cndmask_b32_e32 v29, 0x3f490fdb, v52, vcc_lo
	v_cmp_eq_f32_e32 vcc_lo, 0, v47
	v_cndmask_b32_e64 v27, |v27|, v44, vcc_lo
	s_and_b32 vcc_lo, s8, s7
	s_delay_alu instid0(VALU_DEP_1)
	v_cndmask_b32_e32 v44, v27, v29, vcc_lo
.LBB49_193:                             ;   in Loop: Header=BB49_4 Depth=1
	s_or_b32 exec_lo, exec_lo, s10
                                        ; implicit-def: $vgpr47
.LBB49_194:                             ;   in Loop: Header=BB49_4 Depth=1
	s_and_not1_saveexec_b32 s6, s27
	s_cbranch_execz .LBB49_208
; %bb.195:                              ;   in Loop: Header=BB49_4 Depth=1
	v_cmp_neq_f32_e64 s7, 0x7f800000, |v46|
                                        ; implicit-def: $vgpr45
	s_and_saveexec_b32 s8, s7
	s_delay_alu instid0(SALU_CYCLE_1)
	s_xor_b32 s7, exec_lo, s8
	s_cbranch_execz .LBB49_205
; %bb.196:                              ;   in Loop: Header=BB49_4 Depth=1
	v_cmp_neq_f32_e64 s8, 0x7f800000, |v47|
	v_xor_b32_e32 v45, 0x80000000, v47
	s_and_saveexec_b32 s9, s8
	s_delay_alu instid0(SALU_CYCLE_1)
	s_xor_b32 s8, exec_lo, s9
	s_cbranch_execz .LBB49_202
; %bb.197:                              ;   in Loop: Header=BB49_4 Depth=1
	s_mov_b32 s9, exec_lo
                                        ; implicit-def: $vgpr45
	v_cmpx_neq_f32_e32 0, v46
	s_xor_b32 s9, exec_lo, s9
; %bb.198:                              ;   in Loop: Header=BB49_4 Depth=1
	v_add_f32_e32 v27, 0, v47
                                        ; implicit-def: $vgpr47
	s_delay_alu instid0(VALU_DEP_1)
	v_add_f32_e32 v45, v27, v46
; %bb.199:                              ;   in Loop: Header=BB49_4 Depth=1
	s_or_saveexec_b32 s9, s9
	s_delay_alu instid0(VALU_DEP_1)
	v_mov_b32_e32 v44, v45
	s_xor_b32 exec_lo, exec_lo, s9
	s_cbranch_execz .LBB49_201
; %bb.200:                              ;   in Loop: Header=BB49_4 Depth=1
	flat_load_b32 v27, v[4:5] scope:SCOPE_SYS
	s_wait_loadcnt 0x0
	v_add_f32_e32 v45, v47, v47
	s_wait_dscnt 0x0
	v_add_f32_e32 v44, 0x3fc90fdb, v27
.LBB49_201:                             ;   in Loop: Header=BB49_4 Depth=1
	s_wait_xcnt 0x0
	s_or_b32 exec_lo, exec_lo, s9
                                        ; implicit-def: $vgpr46
.LBB49_202:                             ;   in Loop: Header=BB49_4 Depth=1
	s_and_not1_saveexec_b32 s8, s8
; %bb.203:                              ;   in Loop: Header=BB49_4 Depth=1
	v_add_f32_e32 v44, v46, v46
; %bb.204:                              ;   in Loop: Header=BB49_4 Depth=1
	s_or_b32 exec_lo, exec_lo, s8
                                        ; implicit-def: $vgpr47
.LBB49_205:                             ;   in Loop: Header=BB49_4 Depth=1
	s_and_not1_saveexec_b32 s7, s7
; %bb.206:                              ;   in Loop: Header=BB49_4 Depth=1
	v_dual_add_f32 v44, v47, v47 :: v_dual_mov_b32 v45, 0xff800000
; %bb.207:                              ;   in Loop: Header=BB49_4 Depth=1
	s_or_b32 exec_lo, exec_lo, s7
.LBB49_208:                             ;   in Loop: Header=BB49_4 Depth=1
	s_delay_alu instid0(SALU_CYCLE_1)
	s_or_b32 exec_lo, exec_lo, s6
	flat_store_b32 v[4:5], v50 scope:SCOPE_SYS
	s_wait_storecnt 0x0
                                        ; implicit-def: $vgpr47
	s_mov_b32 s6, exec_lo
	s_wait_xcnt 0x0
	v_cmpx_o_f32_e32 v42, v43
	s_xor_b32 s27, exec_lo, s6
	s_cbranch_execz .LBB49_292
; %bb.209:                              ;   in Loop: Header=BB49_4 Depth=1
	v_max_num_f32_e64 v48, |v42|, |v42|
	v_max_num_f32_e64 v27, |v43|, |v43|
	v_cmp_gt_i32_e64 s7, 0, v42
	v_cmp_lt_i32_e64 s8, -1, v42
	v_cmp_gt_i32_e64 s6, 0, v43
                                        ; implicit-def: $vgpr47
	s_mov_b32 s9, exec_lo
	s_wait_dscnt 0x1
	v_max_num_f32_e32 v29, v27, v48
	s_delay_alu instid0(VALU_DEP_1)
	v_cmpx_nlt_f32_e32 0x4b000000, v29
	s_xor_b32 s28, exec_lo, s9
	s_cbranch_execz .LBB49_281
; %bb.210:                              ;   in Loop: Header=BB49_4 Depth=1
	v_cmp_neq_f32_e32 vcc_lo, 1.0, v42
	v_cmp_neq_f32_e64 s9, 0, v43
	v_xor_b32_e32 v47, 0x80000000, v43
	s_or_b32 s9, s9, vcc_lo
	s_delay_alu instid0(SALU_CYCLE_1) | instskip(NEXT) | instid1(SALU_CYCLE_1)
	s_and_saveexec_b32 s10, s9
	s_xor_b32 s29, exec_lo, s10
	s_cbranch_execz .LBB49_278
; %bb.211:                              ;   in Loop: Header=BB49_4 Depth=1
	flat_store_b32 v[10:11], v51 scope:SCOPE_SYS
	s_wait_storecnt 0x0
	flat_load_b32 v29, v[10:11] scope:SCOPE_SYS
	s_wait_loadcnt 0x0
	v_cmp_ngt_f32_e64 s9, 0x395db3d7, |v42|
	v_cmp_ngt_f32_e64 s10, 0x395db3d7, |v43|
	v_xor_b32_e32 v47, 0x80000000, v43
	s_or_b32 s9, s10, s9
	s_wait_dscnt 0x0
	v_add_f32_e32 v29, 1.0, v29
	flat_store_b32 v[12:13], v29 scope:SCOPE_SYS
	s_wait_storecnt 0x0
	flat_load_b32 v29, v[12:13] scope:SCOPE_SYS
	s_wait_loadcnt 0x0
	s_wait_xcnt 0x0
	s_and_saveexec_b32 s10, s9
	s_delay_alu instid0(SALU_CYCLE_1)
	s_xor_b32 s30, exec_lo, s10
	s_cbranch_execz .LBB49_275
; %bb.212:                              ;   in Loop: Header=BB49_4 Depth=1
	v_add_f32_e64 v54, |v42|, 1.0
	v_add_f32_e64 v53, |v42|, -1.0
	s_mov_b32 s9, exec_lo
	s_wait_dscnt 0x0
	s_delay_alu instid0(VALU_DEP_2) | instskip(NEXT) | instid1(VALU_DEP_2)
	v_max_num_f32_e32 v29, v27, v54
	v_max_num_f32_e64 v27, v27, |v53|
	s_delay_alu instid0(VALU_DEP_2) | instskip(NEXT) | instid1(VALU_DEP_2)
	v_cvt_f64_f32_e32 v[46:47], v29
	v_cvt_f64_f32_e32 v[48:49], v27
	s_delay_alu instid0(VALU_DEP_2) | instskip(NEXT) | instid1(VALU_DEP_2)
	v_frexp_exp_i32_f64_e32 v46, v[46:47]
	v_frexp_exp_i32_f64_e32 v47, v[48:49]
	s_delay_alu instid0(VALU_DEP_1) | instskip(SKIP_1) | instid1(VALU_DEP_2)
	v_dual_sub_nc_u32 v48, 0, v46 :: v_dual_sub_nc_u32 v49, 0, v47
	v_cmp_neq_f32_e32 vcc_lo, 0x7f800000, v29
	v_ldexp_f32 v55, v54, v48
	s_delay_alu instid0(VALU_DEP_3) | instskip(SKIP_1) | instid1(VALU_DEP_3)
	v_ldexp_f32 v56, |v53|, v49
	v_ldexp_f32 v49, |v43|, v49
	v_mul_f32_e32 v55, v55, v55
	v_ldexp_f32 v48, |v43|, v48
	s_delay_alu instid0(VALU_DEP_4) | instskip(NEXT) | instid1(VALU_DEP_1)
	v_mul_f32_e32 v56, v56, v56
	v_dual_fmac_f32 v55, v48, v48 :: v_dual_fmac_f32 v56, v49, v49
	s_delay_alu instid0(VALU_DEP_1) | instskip(NEXT) | instid1(VALU_DEP_1)
	v_sqrt_f32_e32 v48, v55
	v_sqrt_f32_e32 v49, v56
	s_delay_alu instid0(TRANS32_DEP_2) | instskip(NEXT) | instid1(TRANS32_DEP_1)
	v_ldexp_f32 v46, v48, v46
	v_ldexp_f32 v47, v49, v47
	s_delay_alu instid0(VALU_DEP_2) | instskip(SKIP_1) | instid1(VALU_DEP_3)
	v_cndmask_b32_e32 v56, 0x7f800000, v46, vcc_lo
	v_cmp_neq_f32_e32 vcc_lo, 0x7f800000, v27
	v_cndmask_b32_e32 v49, 0x7f800000, v47, vcc_lo
	s_delay_alu instid0(VALU_DEP_1) | instskip(NEXT) | instid1(VALU_DEP_1)
	v_add_f32_e32 v27, v56, v49
	v_mul_f32_e32 v27, 0.5, v27
	s_delay_alu instid0(VALU_DEP_1) | instskip(SKIP_1) | instid1(VALU_DEP_1)
	v_cmp_ngt_f32_e32 vcc_lo, 1.0, v27
	v_cndmask_b32_e32 v46, 1.0, v27, vcc_lo
                                        ; implicit-def: $vgpr27
	v_cmpx_ngt_f32_e32 0x41200000, v46
	s_xor_b32 s10, exec_lo, s9
	s_cbranch_execz .LBB49_214
; %bb.213:                              ;   in Loop: Header=BB49_4 Depth=1
	v_fma_f32 v27, v46, v46, -1.0
	s_delay_alu instid0(VALU_DEP_1) | instskip(SKIP_1) | instid1(VALU_DEP_2)
	v_mul_f32_e32 v29, 0x4f800000, v27
	v_cmp_gt_f32_e32 vcc_lo, 0xf800000, v27
	v_cndmask_b32_e32 v27, v27, v29, vcc_lo
	s_delay_alu instid0(VALU_DEP_1) | instskip(SKIP_1) | instid1(TRANS32_DEP_1)
	v_sqrt_f32_e32 v29, v27
	v_nop
	v_dual_add_nc_u32 v47, -1, v29 :: v_dual_add_nc_u32 v48, 1, v29
	s_delay_alu instid0(VALU_DEP_1) | instskip(NEXT) | instid1(VALU_DEP_1)
	v_fma_f32 v55, -v47, v29, v27
	v_cmp_ge_f32_e64 s9, 0, v55
	s_delay_alu instid0(VALU_DEP_1) | instskip(NEXT) | instid1(VALU_DEP_1)
	v_dual_fma_f32 v57, -v48, v29, v27 :: v_dual_cndmask_b32 v29, v29, v47, s9
	v_cmp_lt_f32_e64 s9, 0, v57
	s_delay_alu instid0(VALU_DEP_1) | instskip(NEXT) | instid1(VALU_DEP_1)
	v_cndmask_b32_e64 v29, v29, v48, s9
	v_mul_f32_e32 v47, 0x37800000, v29
	s_delay_alu instid0(VALU_DEP_1) | instskip(SKIP_1) | instid1(VALU_DEP_2)
	v_cndmask_b32_e32 v29, v29, v47, vcc_lo
	v_cmp_class_f32_e64 vcc_lo, v27, 0x260
	v_cndmask_b32_e32 v27, v29, v27, vcc_lo
	s_delay_alu instid0(VALU_DEP_1) | instskip(NEXT) | instid1(VALU_DEP_1)
	v_add_f32_e32 v27, v46, v27
	v_cmp_gt_f32_e32 vcc_lo, 0x800000, v27
	s_delay_alu instid0(VALU_DEP_4) | instskip(NEXT) | instid1(VALU_DEP_1)
	v_cndmask_b32_e64 v29, 0, 32, vcc_lo
	v_ldexp_f32 v27, v27, v29
	s_delay_alu instid0(VALU_DEP_1) | instskip(SKIP_1) | instid1(TRANS32_DEP_1)
	v_log_f32_e32 v27, v27
	v_nop
	v_mul_f32_e32 v29, 0x3f317217, v27
	v_cmp_gt_f32_e64 s9, 0x7f800000, |v27|
	s_delay_alu instid0(VALU_DEP_2) | instskip(NEXT) | instid1(VALU_DEP_1)
	v_fma_f32 v29, 0x3f317217, v27, -v29
	v_fmac_f32_e32 v29, 0x3377d1cf, v27
	s_delay_alu instid0(VALU_DEP_1) | instskip(NEXT) | instid1(VALU_DEP_1)
	v_fmac_f32_e32 v29, 0x3f317217, v27
	v_cndmask_b32_e64 v27, v27, v29, s9
	v_cndmask_b32_e64 v29, 0, 0x41b17218, vcc_lo
	s_delay_alu instid0(VALU_DEP_1)
	v_sub_f32_e32 v27, v27, v29
.LBB49_214:                             ;   in Loop: Header=BB49_4 Depth=1
	s_or_saveexec_b32 s10, s10
	v_and_b32_e32 v55, 0x7fffffff, v43
	s_xor_b32 exec_lo, exec_lo, s10
	s_cbranch_execz .LBB49_236
; %bb.215:                              ;   in Loop: Header=BB49_4 Depth=1
	v_cmp_neq_f32_e64 s9, |v42|, 1.0
	v_cmp_ngt_f32_e64 s31, 0x25000000, |v43|
                                        ; implicit-def: $vgpr27
	s_or_b32 s9, s31, s9
	s_delay_alu instid0(SALU_CYCLE_1) | instskip(NEXT) | instid1(SALU_CYCLE_1)
	s_and_saveexec_b32 s31, s9
	s_xor_b32 s31, exec_lo, s31
	s_cbranch_execz .LBB49_233
; %bb.216:                              ;   in Loop: Header=BB49_4 Depth=1
	v_mul_f32_e64 v27, 0x34000000, |v53|
	s_delay_alu instid0(VALU_DEP_1) | instskip(SKIP_1) | instid1(SALU_CYCLE_1)
	v_cmp_ge_f32_e64 s9, |v43|, v27
                                        ; implicit-def: $vgpr27
	s_and_saveexec_b32 s33, s9
	s_xor_b32 s33, exec_lo, s33
	s_cbranch_execz .LBB49_226
; %bb.217:                              ;   in Loop: Header=BB49_4 Depth=1
	v_mov_b32_e32 v27, v55
	s_mov_b32 s9, exec_lo
	v_cmpx_neq_f32_e32 0, v54
	s_cbranch_execz .LBB49_219
; %bb.218:                              ;   in Loop: Header=BB49_4 Depth=1
	v_dual_mul_f32 v27, v43, v43 :: v_dual_add_f32 v29, v54, v56
	s_delay_alu instid0(VALU_DEP_1) | instskip(NEXT) | instid1(VALU_DEP_1)
	v_div_scale_f32 v47, null, v29, v29, v27
	v_rcp_f32_e32 v48, v47
	v_nop
	s_delay_alu instid0(TRANS32_DEP_1) | instskip(NEXT) | instid1(VALU_DEP_1)
	v_fma_f32 v57, -v47, v48, 1.0
	v_fmac_f32_e32 v48, v57, v48
	v_div_scale_f32 v57, vcc_lo, v27, v29, v27
	s_delay_alu instid0(VALU_DEP_1) | instskip(NEXT) | instid1(VALU_DEP_1)
	v_mul_f32_e32 v58, v57, v48
	v_fma_f32 v59, -v47, v58, v57
	s_delay_alu instid0(VALU_DEP_1) | instskip(NEXT) | instid1(VALU_DEP_1)
	v_fmac_f32_e32 v58, v59, v48
	v_fma_f32 v47, -v47, v58, v57
	s_delay_alu instid0(VALU_DEP_1) | instskip(NEXT) | instid1(VALU_DEP_1)
	v_div_fmas_f32 v47, v47, v48, v58
	v_div_fixup_f32 v27, v47, v29, v27
.LBB49_219:                             ;   in Loop: Header=BB49_4 Depth=1
	s_or_b32 exec_lo, exec_lo, s9
	v_sub_f32_e64 v47, 1.0, |v42|
	s_mov_b32 s9, exec_lo
                                        ; implicit-def: $vgpr29
	s_delay_alu instid0(VALU_DEP_1)
	v_cmpx_ngt_f32_e32 0, v47
	s_xor_b32 s9, exec_lo, s9
	s_cbranch_execz .LBB49_223
; %bb.220:                              ;   in Loop: Header=BB49_4 Depth=1
	v_mov_b32_e32 v29, v55
	s_mov_b32 s34, exec_lo
	v_cmpx_neq_f32_e32 0, v47
	s_cbranch_execz .LBB49_222
; %bb.221:                              ;   in Loop: Header=BB49_4 Depth=1
	v_mul_f32_e32 v29, v43, v43
	v_add_f32_e32 v47, v47, v49
	s_delay_alu instid0(VALU_DEP_1) | instskip(NEXT) | instid1(VALU_DEP_1)
	v_div_scale_f32 v48, null, v47, v47, v29
	v_rcp_f32_e32 v57, v48
	v_nop
	s_delay_alu instid0(TRANS32_DEP_1) | instskip(NEXT) | instid1(VALU_DEP_1)
	v_fma_f32 v58, -v48, v57, 1.0
	v_fmac_f32_e32 v57, v58, v57
	v_div_scale_f32 v58, vcc_lo, v29, v47, v29
	s_delay_alu instid0(VALU_DEP_1) | instskip(NEXT) | instid1(VALU_DEP_1)
	v_mul_f32_e32 v59, v58, v57
	v_fma_f32 v60, -v48, v59, v58
	s_delay_alu instid0(VALU_DEP_1) | instskip(NEXT) | instid1(VALU_DEP_1)
	v_fmac_f32_e32 v59, v60, v57
	v_fma_f32 v48, -v48, v59, v58
	s_delay_alu instid0(VALU_DEP_1) | instskip(NEXT) | instid1(VALU_DEP_1)
	v_div_fmas_f32 v48, v48, v57, v59
	v_div_fixup_f32 v29, v48, v47, v29
.LBB49_222:                             ;   in Loop: Header=BB49_4 Depth=1
	s_or_b32 exec_lo, exec_lo, s34
                                        ; implicit-def: $vgpr47
.LBB49_223:                             ;   in Loop: Header=BB49_4 Depth=1
	s_and_not1_saveexec_b32 s9, s9
; %bb.224:                              ;   in Loop: Header=BB49_4 Depth=1
	v_sub_f32_e32 v29, v49, v47
; %bb.225:                              ;   in Loop: Header=BB49_4 Depth=1
	s_or_b32 exec_lo, exec_lo, s9
	s_delay_alu instid0(VALU_DEP_1) | instskip(NEXT) | instid1(VALU_DEP_1)
	v_dual_mul_f32 v47, 0.5, v27 :: v_dual_mul_f32 v27, 0.5, v29
	v_pk_add_f32 v[58:59], v[46:47], v[26:27]
	s_delay_alu instid0(VALU_DEP_1) | instskip(NEXT) | instid1(VALU_DEP_1)
	v_mul_f32_e32 v27, v58, v59
	v_mul_f32_e32 v29, 0x4f800000, v27
	v_cmp_gt_f32_e32 vcc_lo, 0xf800000, v27
	s_delay_alu instid0(VALU_DEP_2) | instskip(NEXT) | instid1(VALU_DEP_1)
	v_cndmask_b32_e32 v27, v27, v29, vcc_lo
	v_sqrt_f32_e32 v29, v27
	v_nop
	s_delay_alu instid0(TRANS32_DEP_1) | instskip(NEXT) | instid1(VALU_DEP_1)
	v_dual_add_nc_u32 v47, -1, v29 :: v_dual_add_nc_u32 v48, 1, v29
	v_dual_fma_f32 v57, -v47, v29, v27 :: v_dual_fma_f32 v58, -v48, v29, v27
	s_delay_alu instid0(VALU_DEP_1) | instskip(NEXT) | instid1(VALU_DEP_1)
	v_cmp_ge_f32_e64 s9, 0, v57
	v_cndmask_b32_e64 v29, v29, v47, s9
	s_delay_alu instid0(VALU_DEP_3) | instskip(NEXT) | instid1(VALU_DEP_1)
	v_cmp_lt_f32_e64 s9, 0, v58
	v_cndmask_b32_e64 v29, v29, v48, s9
	s_delay_alu instid0(VALU_DEP_1) | instskip(NEXT) | instid1(VALU_DEP_1)
	v_mul_f32_e32 v47, 0x37800000, v29
	v_cndmask_b32_e32 v29, v29, v47, vcc_lo
	v_cmp_class_f32_e64 vcc_lo, v27, 0x260
	s_delay_alu instid0(VALU_DEP_2) | instskip(NEXT) | instid1(VALU_DEP_1)
	v_cndmask_b32_e32 v27, v29, v27, vcc_lo
	v_add_f32_e32 v58, v59, v27
	s_delay_alu instid0(VALU_DEP_1) | instskip(NEXT) | instid1(VALU_DEP_1)
	v_add_f32_e32 v61, 1.0, v58
	v_cvt_f64_f32_e32 v[62:63], v61
	v_frexp_mant_f32_e32 v29, v61
	v_add_f32_e32 v59, -1.0, v61
	s_delay_alu instid0(VALU_DEP_2) | instskip(NEXT) | instid1(VALU_DEP_2)
	v_cmp_gt_f32_e32 vcc_lo, 0x3f2aaaab, v29
	v_mov_b32_e32 v60, v59
	v_frexp_exp_i32_f64_e32 v27, v[62:63]
	s_delay_alu instid0(VALU_DEP_2) | instskip(NEXT) | instid1(VALU_DEP_2)
	v_pk_add_f32 v[62:63], v[58:59], v[60:61] neg_lo:[0,1] neg_hi:[0,1]
	v_subrev_co_ci_u32_e64 v27, null, 0, v27, vcc_lo
	v_cmp_neq_f32_e32 vcc_lo, 0x7f800000, v58
	s_delay_alu instid0(VALU_DEP_2) | instskip(NEXT) | instid1(VALU_DEP_1)
	v_sub_nc_u32_e32 v29, 0, v27
	v_ldexp_f32 v47, v61, v29
	s_delay_alu instid0(VALU_DEP_1) | instskip(NEXT) | instid1(VALU_DEP_1)
	v_dual_add_f32 v57, 1.0, v47 :: v_dual_add_f32 v65, -1.0, v47
	v_dual_add_f32 v48, 1.0, v63 :: v_dual_add_f32 v59, -1.0, v57
	s_delay_alu instid0(VALU_DEP_1) | instskip(NEXT) | instid1(VALU_DEP_1)
	v_add_f32_e32 v48, v62, v48
	v_ldexp_f32 v29, v48, v29
	s_delay_alu instid0(VALU_DEP_3) | instskip(NEXT) | instid1(VALU_DEP_1)
	v_sub_f32_e32 v48, v47, v59
	v_dual_add_f32 v48, v29, v48 :: v_dual_add_f32 v59, 1.0, v65
	s_delay_alu instid0(VALU_DEP_1) | instskip(NEXT) | instid1(VALU_DEP_1)
	v_dual_sub_f32 v47, v47, v59 :: v_dual_add_f32 v59, v57, v48
	v_dual_add_f32 v29, v29, v47 :: v_dual_sub_f32 v57, v59, v57
	s_delay_alu instid0(VALU_DEP_1) | instskip(SKIP_1) | instid1(VALU_DEP_2)
	v_sub_f32_e32 v48, v48, v57
	v_rcp_f32_e32 v47, v59
	v_add_f32_e32 v61, v65, v29
	s_delay_alu instid0(TRANS32_DEP_1) | instid1(VALU_DEP_1)
	v_mul_f32_e32 v66, v61, v47
	s_delay_alu instid0(VALU_DEP_1) | instskip(NEXT) | instid1(VALU_DEP_1)
	v_dual_mul_f32 v62, v59, v66 :: v_dual_sub_f32 v57, v61, v65
	v_dual_fma_f32 v64, v66, v59, -v62 :: v_dual_sub_f32 v29, v29, v57
	s_delay_alu instid0(VALU_DEP_1) | instskip(NEXT) | instid1(VALU_DEP_1)
	v_fmac_f32_e32 v64, v66, v48
	v_add_f32_e32 v60, v62, v64
	s_delay_alu instid0(VALU_DEP_1) | instskip(NEXT) | instid1(VALU_DEP_1)
	v_dual_sub_f32 v63, v61, v60 :: v_dual_mov_b32 v65, v60
	v_pk_add_f32 v[60:61], v[60:61], v[62:63] neg_lo:[0,1] neg_hi:[0,1]
	s_delay_alu instid0(VALU_DEP_1) | instskip(NEXT) | instid1(VALU_DEP_1)
	v_pk_add_f32 v[60:61], v[60:61], v[64:65] neg_lo:[0,1] neg_hi:[0,1]
	v_add_f32_e32 v29, v29, v61
	s_delay_alu instid0(VALU_DEP_1) | instskip(NEXT) | instid1(VALU_DEP_1)
	v_add_f32_e32 v29, v60, v29
	v_add_f32_e32 v61, v63, v29
	s_delay_alu instid0(VALU_DEP_1) | instskip(NEXT) | instid1(VALU_DEP_1)
	v_mul_f32_e32 v57, v47, v61
	v_mul_f32_e32 v64, v59, v57
	s_delay_alu instid0(VALU_DEP_1) | instskip(NEXT) | instid1(VALU_DEP_1)
	v_fma_f32 v62, v57, v59, -v64
	v_dual_fmac_f32 v62, v57, v48 :: v_dual_sub_f32 v48, v63, v61
	s_delay_alu instid0(VALU_DEP_1) | instskip(NEXT) | instid1(VALU_DEP_1)
	v_dual_add_f32 v60, v64, v62 :: v_dual_add_f32 v29, v29, v48
	v_dual_add_f32 v48, v66, v57 :: v_dual_sub_f32 v65, v61, v60
	v_mov_b32_e32 v63, v60
	s_delay_alu instid0(VALU_DEP_2) | instskip(NEXT) | instid1(VALU_DEP_3)
	v_sub_f32_e32 v59, v48, v66
	v_pk_add_f32 v[60:61], v[60:61], v[64:65] neg_lo:[0,1] neg_hi:[0,1]
	s_delay_alu instid0(VALU_DEP_2) | instskip(NEXT) | instid1(VALU_DEP_2)
	v_sub_f32_e32 v57, v57, v59
	v_pk_add_f32 v[60:61], v[60:61], v[62:63] neg_lo:[0,1] neg_hi:[0,1]
	s_delay_alu instid0(VALU_DEP_1) | instskip(NEXT) | instid1(VALU_DEP_1)
	v_add_f32_e32 v29, v29, v61
	v_add_f32_e32 v29, v60, v29
	v_cvt_f32_i32_e32 v60, v27
	s_delay_alu instid0(VALU_DEP_2) | instskip(NEXT) | instid1(VALU_DEP_1)
	v_add_f32_e32 v29, v65, v29
	v_mul_f32_e32 v29, v47, v29
	s_delay_alu instid0(VALU_DEP_1) | instskip(NEXT) | instid1(VALU_DEP_1)
	v_add_f32_e32 v47, v57, v29
	v_add_f32_e32 v57, v48, v47
	s_delay_alu instid0(VALU_DEP_1) | instskip(SKIP_1) | instid1(VALU_DEP_2)
	v_dual_sub_f32 v27, v57, v48 :: v_dual_mul_f32 v29, v57, v57
	v_ldexp_f32 v65, v57, 1
	v_dual_mul_f32 v61, v57, v29 :: v_dual_sub_f32 v27, v47, v27
	v_fmaak_f32 v59, s11, v29, 0x3ecc95a3
	s_delay_alu instid0(VALU_DEP_2) | instskip(NEXT) | instid1(VALU_DEP_2)
	v_ldexp_f32 v27, v27, 1
	v_fmaak_f32 v29, v29, v59, 0x3f2aaada
	s_delay_alu instid0(VALU_DEP_1) | instskip(NEXT) | instid1(VALU_DEP_1)
	v_pk_mul_f32 v[62:63], v[60:61], v[28:29]
	v_fma_f32 v64, 0x3f317218, v60, -v62
	v_mov_b32_e32 v66, v62
	s_delay_alu instid0(VALU_DEP_2) | instskip(NEXT) | instid1(VALU_DEP_1)
	v_fmac_f32_e32 v64, 0xb102e308, v60
	v_pk_add_f32 v[60:61], v[62:63], v[64:65]
	s_delay_alu instid0(VALU_DEP_1) | instskip(NEXT) | instid1(VALU_DEP_1)
	v_dual_sub_f32 v29, v61, v65 :: v_dual_mov_b32 v65, v60
	v_dual_mov_b32 v74, v61 :: v_dual_sub_f32 v29, v63, v29
	v_pk_add_f32 v[62:63], v[60:61], v[62:63] neg_lo:[0,1] neg_hi:[0,1]
	s_delay_alu instid0(VALU_DEP_2) | instskip(NEXT) | instid1(VALU_DEP_1)
	v_add_f32_e32 v67, v27, v29
	v_pk_add_f32 v[68:69], v[60:61], v[66:67]
	s_delay_alu instid0(VALU_DEP_1) | instskip(NEXT) | instid1(VALU_DEP_1)
	v_mov_b32_e32 v63, v69
	v_pk_add_f32 v[70:71], v[64:65], v[62:63]
	v_pk_add_f32 v[62:63], v[64:65], v[62:63] neg_lo:[0,1] neg_hi:[0,1]
	s_delay_alu instid0(VALU_DEP_2) | instskip(NEXT) | instid1(VALU_DEP_1)
	v_dual_mov_b32 v48, v71 :: v_dual_mov_b32 v63, v71
	v_pk_add_f32 v[72:73], v[48:49], v[60:61] neg_lo:[0,1] neg_hi:[0,1]
	v_dual_mov_b32 v70, v69 :: v_dual_mov_b32 v61, v60
	s_delay_alu instid0(VALU_DEP_2) | instskip(SKIP_1) | instid1(VALU_DEP_2)
	v_dual_mov_b32 v60, v67 :: v_dual_mov_b32 v75, v72
	v_mov_b32_e32 v27, v72
	v_pk_add_f32 v[66:67], v[70:71], v[74:75] neg_lo:[0,1] neg_hi:[0,1]
	s_delay_alu instid0(VALU_DEP_2) | instskip(SKIP_1) | instid1(VALU_DEP_3)
	v_pk_add_f32 v[64:65], v[68:69], v[26:27] neg_lo:[0,1] neg_hi:[0,1]
	v_mov_b32_e32 v64, v62
	v_pk_add_f32 v[60:61], v[60:61], v[66:67] neg_lo:[0,1] neg_hi:[0,1]
	s_delay_alu instid0(VALU_DEP_1) | instskip(NEXT) | instid1(VALU_DEP_1)
	v_pk_add_f32 v[64:65], v[64:65], v[60:61]
	v_mov_b32_e32 v66, v65
	s_delay_alu instid0(VALU_DEP_1) | instskip(NEXT) | instid1(VALU_DEP_1)
	v_pk_add_f32 v[66:67], v[64:65], v[66:67]
	v_pk_add_f32 v[68:69], v[48:49], v[66:67]
	s_delay_alu instid0(VALU_DEP_1) | instskip(NEXT) | instid1(VALU_DEP_1)
	v_dual_mov_b32 v61, v66 :: v_dual_mov_b32 v65, v68
	v_pk_add_f32 v[70:71], v[64:65], v[62:63] neg_lo:[0,1] neg_hi:[0,1]
	s_delay_alu instid0(VALU_DEP_1) | instskip(NEXT) | instid1(VALU_DEP_2)
	v_sub_f32_e32 v27, v64, v70
	v_pk_add_f32 v[60:61], v[60:61], v[70:71] neg_lo:[0,1] neg_hi:[0,1]
	s_delay_alu instid0(VALU_DEP_2) | instskip(NEXT) | instid1(VALU_DEP_1)
	v_sub_f32_e32 v27, v62, v27
	v_add_f32_e32 v27, v60, v27
	s_delay_alu instid0(VALU_DEP_1) | instskip(NEXT) | instid1(VALU_DEP_1)
	v_add_f32_e32 v27, v27, v61
	v_add_f32_e32 v27, v68, v27
	s_delay_alu instid0(VALU_DEP_1) | instskip(SKIP_1) | instid1(VALU_DEP_2)
	v_cndmask_b32_e32 v27, 0x7f800000, v27, vcc_lo
	v_cmp_ngt_f32_e32 vcc_lo, -1.0, v58
	v_cndmask_b32_e32 v27, 0x7fc00000, v27, vcc_lo
	v_cmp_neq_f32_e32 vcc_lo, -1.0, v58
	s_delay_alu instid0(VALU_DEP_2) | instskip(SKIP_1) | instid1(VALU_DEP_2)
	v_cndmask_b32_e32 v27, 0xff800000, v27, vcc_lo
	v_cmp_gt_f32_e64 vcc_lo, 0x33800000, |v58|
	v_cndmask_b32_e32 v27, v27, v58, vcc_lo
.LBB49_226:                             ;   in Loop: Header=BB49_4 Depth=1
	s_and_not1_saveexec_b32 s33, s33
	s_cbranch_execz .LBB49_232
; %bb.227:                              ;   in Loop: Header=BB49_4 Depth=1
	s_mov_b32 s34, exec_lo
                                        ; implicit-def: $vgpr27
	v_cmpx_nlt_f32_e64 |v42|, 1.0
	s_xor_b32 s34, exec_lo, s34
	s_cbranch_execz .LBB49_229
; %bb.228:                              ;   in Loop: Header=BB49_4 Depth=1
	v_mul_f32_e32 v27, v53, v54
	s_delay_alu instid0(VALU_DEP_1) | instskip(SKIP_1) | instid1(VALU_DEP_2)
	v_mul_f32_e32 v29, 0x4f800000, v27
	v_cmp_gt_f32_e32 vcc_lo, 0xf800000, v27
	v_cndmask_b32_e32 v27, v27, v29, vcc_lo
	s_delay_alu instid0(VALU_DEP_1) | instskip(SKIP_1) | instid1(TRANS32_DEP_1)
	v_sqrt_f32_e32 v29, v27
	v_nop
	v_dual_add_nc_u32 v47, -1, v29 :: v_dual_add_nc_u32 v48, 1, v29
	s_delay_alu instid0(VALU_DEP_1) | instskip(NEXT) | instid1(VALU_DEP_1)
	v_dual_fma_f32 v57, -v47, v29, v27 :: v_dual_fma_f32 v58, -v48, v29, v27
	v_cmp_ge_f32_e64 s9, 0, v57
	s_delay_alu instid0(VALU_DEP_1) | instskip(NEXT) | instid1(VALU_DEP_3)
	v_cndmask_b32_e64 v29, v29, v47, s9
	v_cmp_lt_f32_e64 s9, 0, v58
	s_delay_alu instid0(VALU_DEP_1) | instskip(NEXT) | instid1(VALU_DEP_1)
	v_cndmask_b32_e64 v29, v29, v48, s9
	v_mul_f32_e32 v47, 0x37800000, v29
	s_delay_alu instid0(VALU_DEP_1) | instskip(SKIP_1) | instid1(VALU_DEP_2)
	v_cndmask_b32_e32 v29, v29, v47, vcc_lo
	v_cmp_class_f32_e64 vcc_lo, v27, 0x260
	v_cndmask_b32_e32 v27, v29, v27, vcc_lo
	s_delay_alu instid0(VALU_DEP_1) | instskip(NEXT) | instid1(VALU_DEP_1)
	v_add_f32_e32 v58, v53, v27
	v_add_f32_e32 v61, 1.0, v58
	s_delay_alu instid0(VALU_DEP_1) | instskip(SKIP_2) | instid1(VALU_DEP_2)
	v_cvt_f64_f32_e32 v[62:63], v61
	v_frexp_mant_f32_e32 v29, v61
	v_add_f32_e32 v59, -1.0, v61
	v_cmp_gt_f32_e32 vcc_lo, 0x3f2aaaab, v29
	s_delay_alu instid0(VALU_DEP_2) | instskip(SKIP_1) | instid1(VALU_DEP_2)
	v_mov_b32_e32 v60, v59
	v_frexp_exp_i32_f64_e32 v27, v[62:63]
	v_pk_add_f32 v[62:63], v[58:59], v[60:61] neg_lo:[0,1] neg_hi:[0,1]
	s_delay_alu instid0(VALU_DEP_2) | instskip(SKIP_1) | instid1(VALU_DEP_2)
	v_subrev_co_ci_u32_e64 v27, null, 0, v27, vcc_lo
	v_cmp_neq_f32_e32 vcc_lo, 0x7f800000, v58
	v_sub_nc_u32_e32 v29, 0, v27
	s_delay_alu instid0(VALU_DEP_1) | instskip(NEXT) | instid1(VALU_DEP_1)
	v_ldexp_f32 v47, v61, v29
	v_dual_add_f32 v57, 1.0, v47 :: v_dual_add_f32 v65, -1.0, v47
	s_delay_alu instid0(VALU_DEP_1) | instskip(NEXT) | instid1(VALU_DEP_1)
	v_dual_add_f32 v48, 1.0, v63 :: v_dual_add_f32 v59, -1.0, v57
	v_add_f32_e32 v48, v62, v48
	s_delay_alu instid0(VALU_DEP_1) | instskip(NEXT) | instid1(VALU_DEP_3)
	v_ldexp_f32 v29, v48, v29
	v_sub_f32_e32 v48, v47, v59
	s_delay_alu instid0(VALU_DEP_1) | instskip(NEXT) | instid1(VALU_DEP_1)
	v_dual_add_f32 v48, v29, v48 :: v_dual_add_f32 v59, 1.0, v65
	v_dual_sub_f32 v47, v47, v59 :: v_dual_add_f32 v59, v57, v48
	s_delay_alu instid0(VALU_DEP_1) | instskip(NEXT) | instid1(VALU_DEP_1)
	v_dual_add_f32 v29, v29, v47 :: v_dual_sub_f32 v57, v59, v57
	v_sub_f32_e32 v48, v48, v57
	v_rcp_f32_e32 v47, v59
	s_delay_alu instid0(VALU_DEP_2)
	v_add_f32_e32 v61, v65, v29
	s_delay_alu instid0(TRANS32_DEP_1) | instid1(VALU_DEP_1)
	v_mul_f32_e32 v66, v61, v47
	s_delay_alu instid0(VALU_DEP_1) | instskip(NEXT) | instid1(VALU_DEP_1)
	v_dual_mul_f32 v62, v59, v66 :: v_dual_sub_f32 v57, v61, v65
	v_dual_fma_f32 v64, v66, v59, -v62 :: v_dual_sub_f32 v29, v29, v57
	s_delay_alu instid0(VALU_DEP_1) | instskip(NEXT) | instid1(VALU_DEP_1)
	v_fmac_f32_e32 v64, v66, v48
	v_add_f32_e32 v60, v62, v64
	s_delay_alu instid0(VALU_DEP_1) | instskip(NEXT) | instid1(VALU_DEP_1)
	v_dual_sub_f32 v63, v61, v60 :: v_dual_mov_b32 v65, v60
	v_pk_add_f32 v[60:61], v[60:61], v[62:63] neg_lo:[0,1] neg_hi:[0,1]
	s_delay_alu instid0(VALU_DEP_1) | instskip(NEXT) | instid1(VALU_DEP_1)
	v_pk_add_f32 v[60:61], v[60:61], v[64:65] neg_lo:[0,1] neg_hi:[0,1]
	v_add_f32_e32 v29, v29, v61
	s_delay_alu instid0(VALU_DEP_1) | instskip(NEXT) | instid1(VALU_DEP_1)
	v_add_f32_e32 v29, v60, v29
	v_add_f32_e32 v61, v63, v29
	s_delay_alu instid0(VALU_DEP_1) | instskip(NEXT) | instid1(VALU_DEP_1)
	v_mul_f32_e32 v57, v47, v61
	v_mul_f32_e32 v64, v59, v57
	s_delay_alu instid0(VALU_DEP_1) | instskip(NEXT) | instid1(VALU_DEP_1)
	v_fma_f32 v62, v57, v59, -v64
	v_dual_fmac_f32 v62, v57, v48 :: v_dual_sub_f32 v48, v63, v61
	s_delay_alu instid0(VALU_DEP_1) | instskip(NEXT) | instid1(VALU_DEP_1)
	v_dual_add_f32 v60, v64, v62 :: v_dual_add_f32 v29, v29, v48
	v_dual_add_f32 v48, v66, v57 :: v_dual_sub_f32 v65, v61, v60
	v_mov_b32_e32 v63, v60
	s_delay_alu instid0(VALU_DEP_2) | instskip(NEXT) | instid1(VALU_DEP_3)
	v_sub_f32_e32 v59, v48, v66
	v_pk_add_f32 v[60:61], v[60:61], v[64:65] neg_lo:[0,1] neg_hi:[0,1]
	s_delay_alu instid0(VALU_DEP_2) | instskip(NEXT) | instid1(VALU_DEP_2)
	v_sub_f32_e32 v57, v57, v59
	v_pk_add_f32 v[60:61], v[60:61], v[62:63] neg_lo:[0,1] neg_hi:[0,1]
	s_delay_alu instid0(VALU_DEP_1) | instskip(NEXT) | instid1(VALU_DEP_1)
	v_add_f32_e32 v29, v29, v61
	v_add_f32_e32 v29, v60, v29
	v_cvt_f32_i32_e32 v60, v27
	s_delay_alu instid0(VALU_DEP_2) | instskip(NEXT) | instid1(VALU_DEP_1)
	v_add_f32_e32 v29, v65, v29
	v_mul_f32_e32 v29, v47, v29
	s_delay_alu instid0(VALU_DEP_1) | instskip(NEXT) | instid1(VALU_DEP_1)
	v_add_f32_e32 v47, v57, v29
	v_add_f32_e32 v57, v48, v47
	s_delay_alu instid0(VALU_DEP_1) | instskip(SKIP_1) | instid1(VALU_DEP_2)
	v_dual_sub_f32 v27, v57, v48 :: v_dual_mul_f32 v29, v57, v57
	v_ldexp_f32 v65, v57, 1
	v_dual_mul_f32 v61, v57, v29 :: v_dual_sub_f32 v27, v47, v27
	v_fmaak_f32 v59, s11, v29, 0x3ecc95a3
	s_delay_alu instid0(VALU_DEP_2) | instskip(NEXT) | instid1(VALU_DEP_2)
	v_ldexp_f32 v27, v27, 1
	v_fmaak_f32 v29, v29, v59, 0x3f2aaada
	s_delay_alu instid0(VALU_DEP_1) | instskip(NEXT) | instid1(VALU_DEP_1)
	v_pk_mul_f32 v[62:63], v[60:61], v[28:29]
	v_fma_f32 v64, 0x3f317218, v60, -v62
	v_mov_b32_e32 v66, v62
	s_delay_alu instid0(VALU_DEP_2) | instskip(NEXT) | instid1(VALU_DEP_1)
	v_fmac_f32_e32 v64, 0xb102e308, v60
	v_pk_add_f32 v[60:61], v[62:63], v[64:65]
	s_delay_alu instid0(VALU_DEP_1) | instskip(NEXT) | instid1(VALU_DEP_1)
	v_dual_sub_f32 v29, v61, v65 :: v_dual_mov_b32 v65, v60
	v_dual_mov_b32 v74, v61 :: v_dual_sub_f32 v29, v63, v29
	v_pk_add_f32 v[62:63], v[60:61], v[62:63] neg_lo:[0,1] neg_hi:[0,1]
	s_delay_alu instid0(VALU_DEP_2) | instskip(NEXT) | instid1(VALU_DEP_1)
	v_add_f32_e32 v67, v27, v29
	v_pk_add_f32 v[68:69], v[60:61], v[66:67]
	s_delay_alu instid0(VALU_DEP_1) | instskip(NEXT) | instid1(VALU_DEP_1)
	v_mov_b32_e32 v63, v69
	v_pk_add_f32 v[70:71], v[64:65], v[62:63]
	v_pk_add_f32 v[62:63], v[64:65], v[62:63] neg_lo:[0,1] neg_hi:[0,1]
	s_delay_alu instid0(VALU_DEP_2) | instskip(NEXT) | instid1(VALU_DEP_1)
	v_dual_mov_b32 v48, v71 :: v_dual_mov_b32 v63, v71
	v_pk_add_f32 v[72:73], v[48:49], v[60:61] neg_lo:[0,1] neg_hi:[0,1]
	v_dual_mov_b32 v70, v69 :: v_dual_mov_b32 v61, v60
	s_delay_alu instid0(VALU_DEP_2) | instskip(SKIP_1) | instid1(VALU_DEP_2)
	v_dual_mov_b32 v60, v67 :: v_dual_mov_b32 v75, v72
	v_mov_b32_e32 v27, v72
	v_pk_add_f32 v[66:67], v[70:71], v[74:75] neg_lo:[0,1] neg_hi:[0,1]
	s_delay_alu instid0(VALU_DEP_2) | instskip(SKIP_1) | instid1(VALU_DEP_3)
	v_pk_add_f32 v[64:65], v[68:69], v[26:27] neg_lo:[0,1] neg_hi:[0,1]
	v_mov_b32_e32 v64, v62
	v_pk_add_f32 v[60:61], v[60:61], v[66:67] neg_lo:[0,1] neg_hi:[0,1]
	s_delay_alu instid0(VALU_DEP_1) | instskip(NEXT) | instid1(VALU_DEP_1)
	v_pk_add_f32 v[64:65], v[64:65], v[60:61]
	v_mov_b32_e32 v66, v65
	s_delay_alu instid0(VALU_DEP_1) | instskip(NEXT) | instid1(VALU_DEP_1)
	v_pk_add_f32 v[66:67], v[64:65], v[66:67]
	v_pk_add_f32 v[68:69], v[48:49], v[66:67]
	s_delay_alu instid0(VALU_DEP_1) | instskip(NEXT) | instid1(VALU_DEP_1)
	v_dual_mov_b32 v61, v66 :: v_dual_mov_b32 v65, v68
	v_pk_add_f32 v[70:71], v[64:65], v[62:63] neg_lo:[0,1] neg_hi:[0,1]
	s_delay_alu instid0(VALU_DEP_1) | instskip(NEXT) | instid1(VALU_DEP_2)
	v_sub_f32_e32 v27, v64, v70
	v_pk_add_f32 v[60:61], v[60:61], v[70:71] neg_lo:[0,1] neg_hi:[0,1]
	s_delay_alu instid0(VALU_DEP_2) | instskip(NEXT) | instid1(VALU_DEP_1)
	v_sub_f32_e32 v27, v62, v27
	v_add_f32_e32 v27, v60, v27
	s_delay_alu instid0(VALU_DEP_1) | instskip(NEXT) | instid1(VALU_DEP_1)
	v_add_f32_e32 v27, v27, v61
	v_add_f32_e32 v27, v68, v27
	s_delay_alu instid0(VALU_DEP_1) | instskip(SKIP_1) | instid1(VALU_DEP_2)
	v_cndmask_b32_e32 v27, 0x7f800000, v27, vcc_lo
	v_cmp_ngt_f32_e32 vcc_lo, -1.0, v58
	v_cndmask_b32_e32 v27, 0x7fc00000, v27, vcc_lo
	v_cmp_neq_f32_e32 vcc_lo, -1.0, v58
	s_delay_alu instid0(VALU_DEP_2) | instskip(SKIP_1) | instid1(VALU_DEP_2)
	v_cndmask_b32_e32 v27, 0xff800000, v27, vcc_lo
	v_cmp_gt_f32_e64 vcc_lo, 0x33800000, |v58|
	v_cndmask_b32_e32 v27, v27, v58, vcc_lo
.LBB49_229:                             ;   in Loop: Header=BB49_4 Depth=1
	s_and_not1_saveexec_b32 s34, s34
	s_cbranch_execz .LBB49_231
; %bb.230:                              ;   in Loop: Header=BB49_4 Depth=1
	v_sub_f32_e64 v27, 1.0, |v42|
	s_delay_alu instid0(VALU_DEP_1) | instskip(NEXT) | instid1(VALU_DEP_1)
	v_mul_f32_e32 v27, v27, v54
	v_mul_f32_e32 v29, 0x4f800000, v27
	v_cmp_gt_f32_e32 vcc_lo, 0xf800000, v27
	s_delay_alu instid0(VALU_DEP_2) | instskip(NEXT) | instid1(VALU_DEP_1)
	v_cndmask_b32_e32 v27, v27, v29, vcc_lo
	v_sqrt_f32_e32 v29, v27
	v_nop
	s_delay_alu instid0(TRANS32_DEP_1) | instskip(NEXT) | instid1(VALU_DEP_1)
	v_dual_add_nc_u32 v47, -1, v29 :: v_dual_add_nc_u32 v48, 1, v29
	v_dual_fma_f32 v57, -v47, v29, v27 :: v_dual_fma_f32 v58, -v48, v29, v27
	s_delay_alu instid0(VALU_DEP_1) | instskip(NEXT) | instid1(VALU_DEP_1)
	v_cmp_ge_f32_e64 s9, 0, v57
	v_cndmask_b32_e64 v29, v29, v47, s9
	s_delay_alu instid0(VALU_DEP_3) | instskip(NEXT) | instid1(VALU_DEP_1)
	v_cmp_lt_f32_e64 s9, 0, v58
	v_cndmask_b32_e64 v29, v29, v48, s9
	s_delay_alu instid0(VALU_DEP_1) | instskip(NEXT) | instid1(VALU_DEP_1)
	v_mul_f32_e32 v47, 0x37800000, v29
	v_cndmask_b32_e32 v29, v29, v47, vcc_lo
	v_cmp_class_f32_e64 vcc_lo, v27, 0x260
	v_and_b32_e32 v47, 0x7fffffff, v43
	s_delay_alu instid0(VALU_DEP_3) | instskip(NEXT) | instid1(VALU_DEP_1)
	v_cndmask_b32_e32 v27, v29, v27, vcc_lo
	v_div_scale_f32 v29, null, v27, v27, v47
	v_div_scale_f32 v47, vcc_lo, v47, v27, v47
	s_delay_alu instid0(VALU_DEP_2) | instskip(SKIP_1) | instid1(TRANS32_DEP_1)
	v_rcp_f32_e32 v48, v29
	v_nop
	v_fma_f32 v57, -v29, v48, 1.0
	s_delay_alu instid0(VALU_DEP_1) | instskip(NEXT) | instid1(VALU_DEP_1)
	v_fmac_f32_e32 v48, v57, v48
	v_mul_f32_e32 v57, v47, v48
	s_delay_alu instid0(VALU_DEP_1) | instskip(NEXT) | instid1(VALU_DEP_1)
	v_fma_f32 v58, -v29, v57, v47
	v_fmac_f32_e32 v57, v58, v48
	s_delay_alu instid0(VALU_DEP_1) | instskip(NEXT) | instid1(VALU_DEP_1)
	v_fma_f32 v29, -v29, v57, v47
	v_div_fmas_f32 v29, v29, v48, v57
	s_delay_alu instid0(VALU_DEP_1)
	v_div_fixup_f32 v27, v29, v27, |v43|
.LBB49_231:                             ;   in Loop: Header=BB49_4 Depth=1
	s_or_b32 exec_lo, exec_lo, s34
.LBB49_232:                             ;   in Loop: Header=BB49_4 Depth=1
	s_delay_alu instid0(SALU_CYCLE_1)
	s_or_b32 exec_lo, exec_lo, s33
.LBB49_233:                             ;   in Loop: Header=BB49_4 Depth=1
	s_and_not1_saveexec_b32 s31, s31
	s_cbranch_execz .LBB49_235
; %bb.234:                              ;   in Loop: Header=BB49_4 Depth=1
	v_mul_f32_e64 v27, 0x4f800000, |v43|
	v_cmp_gt_f32_e64 vcc_lo, 0xf800000, |v43|
	s_delay_alu instid0(VALU_DEP_1) | instskip(NEXT) | instid1(VALU_DEP_1)
	v_cndmask_b32_e64 v27, |v43|, v27, vcc_lo
	v_sqrt_f32_e32 v29, v27
	v_nop
	s_delay_alu instid0(TRANS32_DEP_1) | instskip(NEXT) | instid1(VALU_DEP_1)
	v_dual_add_nc_u32 v47, -1, v29 :: v_dual_add_nc_u32 v48, 1, v29
	v_dual_fma_f32 v57, -v47, v29, v27 :: v_dual_fma_f32 v58, -v48, v29, v27
	s_delay_alu instid0(VALU_DEP_1) | instskip(NEXT) | instid1(VALU_DEP_1)
	v_cmp_ge_f32_e64 s9, 0, v57
	v_cndmask_b32_e64 v29, v29, v47, s9
	s_delay_alu instid0(VALU_DEP_3) | instskip(NEXT) | instid1(VALU_DEP_1)
	v_cmp_lt_f32_e64 s9, 0, v58
	v_cndmask_b32_e64 v29, v29, v48, s9
	s_delay_alu instid0(VALU_DEP_1) | instskip(NEXT) | instid1(VALU_DEP_1)
	v_mul_f32_e32 v47, 0x37800000, v29
	v_cndmask_b32_e32 v29, v29, v47, vcc_lo
	v_cmp_class_f32_e64 vcc_lo, v27, 0x260
	s_delay_alu instid0(VALU_DEP_2)
	v_cndmask_b32_e32 v27, v29, v27, vcc_lo
.LBB49_235:                             ;   in Loop: Header=BB49_4 Depth=1
	s_or_b32 exec_lo, exec_lo, s31
.LBB49_236:                             ;   in Loop: Header=BB49_4 Depth=1
	s_delay_alu instid0(SALU_CYCLE_1)
	s_or_b32 exec_lo, exec_lo, s10
	v_and_b32_e32 v48, 0x7fffffff, v42
	s_mov_b32 s31, exec_lo
                                        ; implicit-def: $sgpr9
                                        ; implicit-def: $vgpr29
	v_cmpx_ngt_f32_e64 0x21000000, |v42|
	s_xor_b32 s31, exec_lo, s31
	s_cbranch_execz .LBB49_260
; %bb.237:                              ;   in Loop: Header=BB49_4 Depth=1
	v_div_scale_f32 v29, null, v46, v46, v48
	s_mov_b32 s9, 0
	s_mov_b32 s33, exec_lo
	v_rcp_f32_e32 v47, v29
	v_nop
	s_delay_alu instid0(TRANS32_DEP_1) | instskip(NEXT) | instid1(VALU_DEP_1)
	v_fma_f32 v57, -v29, v47, 1.0
	v_fmac_f32_e32 v47, v57, v47
	v_div_scale_f32 v57, vcc_lo, v48, v46, v48
	s_delay_alu instid0(VALU_DEP_1) | instskip(NEXT) | instid1(VALU_DEP_1)
	v_mul_f32_e32 v58, v57, v47
	v_fma_f32 v59, -v29, v58, v57
	s_delay_alu instid0(VALU_DEP_1) | instskip(NEXT) | instid1(VALU_DEP_1)
	v_fmac_f32_e32 v58, v59, v47
	v_fma_f32 v29, -v29, v58, v57
	s_delay_alu instid0(VALU_DEP_1) | instskip(NEXT) | instid1(VALU_DEP_1)
	v_div_fmas_f32 v29, v29, v47, v58
	v_div_fixup_f32 v29, v29, v46, |v42|
	s_delay_alu instid0(VALU_DEP_1)
	v_cmpx_lt_f32_e32 0x3f244674, v29
	s_cbranch_execz .LBB49_259
; %bb.238:                              ;   in Loop: Header=BB49_4 Depth=1
	v_cmp_neq_f32_e64 s9, |v42|, 1.0
	v_cmp_ngt_f32_e64 s10, 0x30800000, |v43|
	s_or_b32 s9, s10, s9
	s_delay_alu instid0(SALU_CYCLE_1) | instskip(NEXT) | instid1(SALU_CYCLE_1)
	s_and_saveexec_b32 s10, s9
	s_xor_b32 s10, exec_lo, s10
	s_cbranch_execz .LBB49_256
; %bb.239:                              ;   in Loop: Header=BB49_4 Depth=1
	v_mul_f32_e64 v47, 0x34000000, |v53|
	s_mov_b32 s34, exec_lo
	s_delay_alu instid0(VALU_DEP_1)
	v_cmpx_ge_f32_e64 |v43|, v47
	s_xor_b32 s34, exec_lo, s34
	s_cbranch_execz .LBB49_249
; %bb.240:                              ;   in Loop: Header=BB49_4 Depth=1
	v_mov_b32_e32 v47, v55
	s_mov_b32 s9, exec_lo
	v_cmpx_neq_f32_e32 0, v54
	s_cbranch_execz .LBB49_242
; %bb.241:                              ;   in Loop: Header=BB49_4 Depth=1
	v_dual_mul_f32 v47, v43, v43 :: v_dual_add_f32 v54, v54, v56
	s_delay_alu instid0(VALU_DEP_1) | instskip(NEXT) | instid1(VALU_DEP_1)
	v_div_scale_f32 v56, null, v54, v54, v47
	v_rcp_f32_e32 v57, v56
	v_nop
	s_delay_alu instid0(TRANS32_DEP_1) | instskip(NEXT) | instid1(VALU_DEP_1)
	v_fma_f32 v58, -v56, v57, 1.0
	v_fmac_f32_e32 v57, v58, v57
	v_div_scale_f32 v58, vcc_lo, v47, v54, v47
	s_delay_alu instid0(VALU_DEP_1) | instskip(NEXT) | instid1(VALU_DEP_1)
	v_mul_f32_e32 v59, v58, v57
	v_fma_f32 v60, -v56, v59, v58
	s_delay_alu instid0(VALU_DEP_1) | instskip(NEXT) | instid1(VALU_DEP_1)
	v_fmac_f32_e32 v59, v60, v57
	v_fma_f32 v56, -v56, v59, v58
	s_delay_alu instid0(VALU_DEP_1) | instskip(NEXT) | instid1(VALU_DEP_1)
	v_div_fmas_f32 v56, v56, v57, v59
	v_div_fixup_f32 v47, v56, v54, v47
.LBB49_242:                             ;   in Loop: Header=BB49_4 Depth=1
	s_or_b32 exec_lo, exec_lo, s9
	s_delay_alu instid0(SALU_CYCLE_1)
	s_mov_b32 s9, exec_lo
	v_cmpx_ngt_f32_e32 0, v53
	s_xor_b32 s9, exec_lo, s9
	s_cbranch_execz .LBB49_246
; %bb.243:                              ;   in Loop: Header=BB49_4 Depth=1
	s_mov_b32 s35, exec_lo
	v_cmpx_neq_f32_e32 0, v53
	s_cbranch_execz .LBB49_245
; %bb.244:                              ;   in Loop: Header=BB49_4 Depth=1
	v_dual_mul_f32 v43, v43, v43 :: v_dual_add_f32 v49, v53, v49
	s_delay_alu instid0(VALU_DEP_1) | instskip(NEXT) | instid1(VALU_DEP_1)
	v_div_scale_f32 v53, null, v49, v49, v43
	v_rcp_f32_e32 v54, v53
	v_nop
	s_delay_alu instid0(TRANS32_DEP_1) | instskip(NEXT) | instid1(VALU_DEP_1)
	v_fma_f32 v55, -v53, v54, 1.0
	v_fmac_f32_e32 v54, v55, v54
	v_div_scale_f32 v55, vcc_lo, v43, v49, v43
	s_delay_alu instid0(VALU_DEP_1) | instskip(NEXT) | instid1(VALU_DEP_1)
	v_mul_f32_e32 v56, v55, v54
	v_fma_f32 v57, -v53, v56, v55
	s_delay_alu instid0(VALU_DEP_1) | instskip(NEXT) | instid1(VALU_DEP_1)
	v_fmac_f32_e32 v56, v57, v54
	v_fma_f32 v53, -v53, v56, v55
	s_delay_alu instid0(VALU_DEP_1) | instskip(NEXT) | instid1(VALU_DEP_1)
	v_div_fmas_f32 v53, v53, v54, v56
	v_div_fixup_f32 v55, v53, v49, v43
.LBB49_245:                             ;   in Loop: Header=BB49_4 Depth=1
	s_or_b32 exec_lo, exec_lo, s35
                                        ; implicit-def: $vgpr49
                                        ; implicit-def: $vgpr53
.LBB49_246:                             ;   in Loop: Header=BB49_4 Depth=1
	s_and_not1_saveexec_b32 s9, s9
; %bb.247:                              ;   in Loop: Header=BB49_4 Depth=1
	v_sub_f32_e32 v55, v49, v53
; %bb.248:                              ;   in Loop: Header=BB49_4 Depth=1
	s_or_b32 exec_lo, exec_lo, s9
	v_mul_f32_e32 v43, 0.5, v47
	s_delay_alu instid0(VALU_DEP_2) | instskip(SKIP_1) | instid1(VALU_DEP_1)
	v_mul_f32_e32 v47, 0.5, v55
	v_and_b32_e32 v42, 0x7fffffff, v42
                                        ; implicit-def: $vgpr54
	v_pk_add_f32 v[42:43], v[42:43], v[46:47]
	s_delay_alu instid0(VALU_DEP_1) | instskip(NEXT) | instid1(VALU_DEP_1)
	v_mul_f32_e32 v42, v42, v43
	v_mul_f32_e32 v43, 0x4f800000, v42
	v_cmp_gt_f32_e32 vcc_lo, 0xf800000, v42
	s_delay_alu instid0(VALU_DEP_2) | instskip(NEXT) | instid1(VALU_DEP_1)
	v_cndmask_b32_e32 v42, v42, v43, vcc_lo
	v_sqrt_f32_e32 v43, v42
	v_nop
	s_delay_alu instid0(TRANS32_DEP_1) | instskip(NEXT) | instid1(VALU_DEP_1)
	v_dual_add_nc_u32 v46, -1, v43 :: v_dual_add_nc_u32 v47, 1, v43
	v_dual_fma_f32 v49, -v46, v43, v42 :: v_dual_fma_f32 v53, -v47, v43, v42
	s_delay_alu instid0(VALU_DEP_1) | instskip(NEXT) | instid1(VALU_DEP_1)
	v_cmp_ge_f32_e64 s9, 0, v49
	v_cndmask_b32_e64 v43, v43, v46, s9
	s_delay_alu instid0(VALU_DEP_3) | instskip(NEXT) | instid1(VALU_DEP_1)
	v_cmp_lt_f32_e64 s9, 0, v53
                                        ; implicit-def: $vgpr53
	v_cndmask_b32_e64 v43, v43, v47, s9
	s_delay_alu instid0(VALU_DEP_1) | instskip(NEXT) | instid1(VALU_DEP_1)
	v_mul_f32_e32 v46, 0x37800000, v43
	v_cndmask_b32_e32 v43, v43, v46, vcc_lo
	v_cmp_class_f32_e64 vcc_lo, v42, 0x260
	s_delay_alu instid0(VALU_DEP_2)
	v_cndmask_b32_e32 v49, v43, v42, vcc_lo
                                        ; implicit-def: $vgpr43
.LBB49_249:                             ;   in Loop: Header=BB49_4 Depth=1
	s_and_not1_saveexec_b32 s34, s34
	s_cbranch_execz .LBB49_255
; %bb.250:                              ;   in Loop: Header=BB49_4 Depth=1
	s_mov_b32 s35, exec_lo
	v_cmpx_ngt_f32_e64 |v42|, 1.0
	s_xor_b32 s35, exec_lo, s35
	s_cbranch_execz .LBB49_252
; %bb.251:                              ;   in Loop: Header=BB49_4 Depth=1
	v_sub_f32_e64 v42, 1.0, |v42|
	s_delay_alu instid0(VALU_DEP_1) | instskip(NEXT) | instid1(VALU_DEP_1)
	v_mul_f32_e32 v42, v42, v54
                                        ; implicit-def: $vgpr54
	v_mul_f32_e32 v43, 0x4f800000, v42
	v_cmp_gt_f32_e32 vcc_lo, 0xf800000, v42
	s_delay_alu instid0(VALU_DEP_2) | instskip(NEXT) | instid1(VALU_DEP_1)
	v_cndmask_b32_e32 v42, v42, v43, vcc_lo
	v_sqrt_f32_e32 v43, v42
	v_nop
	s_delay_alu instid0(TRANS32_DEP_1) | instskip(NEXT) | instid1(VALU_DEP_1)
	v_dual_add_nc_u32 v46, -1, v43 :: v_dual_add_nc_u32 v47, 1, v43
	v_dual_fma_f32 v49, -v46, v43, v42 :: v_dual_fma_f32 v53, -v47, v43, v42
	s_delay_alu instid0(VALU_DEP_1) | instskip(NEXT) | instid1(VALU_DEP_1)
	v_cmp_ge_f32_e64 s9, 0, v49
	v_cndmask_b32_e64 v43, v43, v46, s9
	s_delay_alu instid0(VALU_DEP_3) | instskip(NEXT) | instid1(VALU_DEP_1)
	v_cmp_lt_f32_e64 s9, 0, v53
                                        ; implicit-def: $vgpr53
	v_cndmask_b32_e64 v43, v43, v47, s9
	s_delay_alu instid0(VALU_DEP_1) | instskip(NEXT) | instid1(VALU_DEP_1)
	v_mul_f32_e32 v46, 0x37800000, v43
	v_cndmask_b32_e32 v43, v43, v46, vcc_lo
	v_cmp_class_f32_e64 vcc_lo, v42, 0x260
	s_delay_alu instid0(VALU_DEP_2)
	v_cndmask_b32_e32 v49, v43, v42, vcc_lo
                                        ; implicit-def: $vgpr43
.LBB49_252:                             ;   in Loop: Header=BB49_4 Depth=1
	s_and_not1_saveexec_b32 s35, s35
	s_cbranch_execz .LBB49_254
; %bb.253:                              ;   in Loop: Header=BB49_4 Depth=1
	v_mul_f32_e32 v46, v54, v53
	v_mul_f32_e64 v43, 0x57800000, |v43|
	s_delay_alu instid0(VALU_DEP_2) | instskip(SKIP_1) | instid1(VALU_DEP_3)
	v_mul_f32_e32 v47, 0x4f800000, v46
	v_cmp_gt_f32_e32 vcc_lo, 0xf800000, v46
	v_mul_f32_e64 v43, |v42|, v43
	s_delay_alu instid0(VALU_DEP_3) | instskip(NEXT) | instid1(VALU_DEP_1)
	v_cndmask_b32_e32 v46, v46, v47, vcc_lo
	v_sqrt_f32_e32 v47, v46
	v_nop
	s_delay_alu instid0(TRANS32_DEP_1) | instskip(NEXT) | instid1(VALU_DEP_1)
	v_dual_add_nc_u32 v48, -1, v47 :: v_dual_add_nc_u32 v49, 1, v47
	v_dual_fma_f32 v53, -v48, v47, v46 :: v_dual_fma_f32 v54, -v49, v47, v46
	s_delay_alu instid0(VALU_DEP_1) | instskip(NEXT) | instid1(VALU_DEP_1)
	v_cmp_ge_f32_e64 s9, 0, v53
	v_cndmask_b32_e64 v47, v47, v48, s9
	s_delay_alu instid0(VALU_DEP_3) | instskip(NEXT) | instid1(VALU_DEP_1)
	v_cmp_lt_f32_e64 s9, 0, v54
	v_cndmask_b32_e64 v47, v47, v49, s9
	s_delay_alu instid0(VALU_DEP_1) | instskip(NEXT) | instid1(VALU_DEP_1)
	v_mul_f32_e32 v48, 0x37800000, v47
	v_cndmask_b32_e32 v47, v47, v48, vcc_lo
	v_cmp_class_f32_e64 vcc_lo, v46, 0x260
	s_delay_alu instid0(VALU_DEP_2) | instskip(NEXT) | instid1(VALU_DEP_1)
	v_cndmask_b32_e32 v46, v47, v46, vcc_lo
	v_div_scale_f32 v47, null, v46, v46, v43
	v_div_scale_f32 v53, vcc_lo, v43, v46, v43
	s_delay_alu instid0(VALU_DEP_2) | instskip(SKIP_1) | instid1(TRANS32_DEP_1)
	v_rcp_f32_e32 v48, v47
	v_nop
	v_fma_f32 v49, -v47, v48, 1.0
	s_delay_alu instid0(VALU_DEP_1) | instskip(NEXT) | instid1(VALU_DEP_1)
	v_fmac_f32_e32 v48, v49, v48
	v_mul_f32_e32 v49, v53, v48
	s_delay_alu instid0(VALU_DEP_1) | instskip(NEXT) | instid1(VALU_DEP_1)
	v_fma_f32 v54, -v47, v49, v53
	v_fmac_f32_e32 v49, v54, v48
	s_delay_alu instid0(VALU_DEP_1) | instskip(NEXT) | instid1(VALU_DEP_1)
	v_fma_f32 v47, -v47, v49, v53
	v_div_fmas_f32 v47, v47, v48, v49
	v_mul_f32_e64 v48, 0x57800000, |v42|
	s_delay_alu instid0(VALU_DEP_2)
	v_div_fixup_f32 v49, v47, v46, v43
.LBB49_254:                             ;   in Loop: Header=BB49_4 Depth=1
	s_or_b32 exec_lo, exec_lo, s35
.LBB49_255:                             ;   in Loop: Header=BB49_4 Depth=1
	s_delay_alu instid0(SALU_CYCLE_1)
	s_or_b32 exec_lo, exec_lo, s34
                                        ; implicit-def: $vgpr43
                                        ; implicit-def: $vgpr46
.LBB49_256:                             ;   in Loop: Header=BB49_4 Depth=1
	s_and_not1_saveexec_b32 s34, s10
	s_cbranch_execz .LBB49_258
; %bb.257:                              ;   in Loop: Header=BB49_4 Depth=1
	v_add_f32_e32 v42, 1.0, v46
	v_mul_f32_e64 v46, 0x4f800000, |v43|
	v_cmp_gt_f32_e64 vcc_lo, 0xf800000, |v43|
	s_delay_alu instid0(VALU_DEP_1) | instskip(NEXT) | instid1(VALU_DEP_1)
	v_cndmask_b32_e64 v43, |v43|, v46, vcc_lo
	v_sqrt_f32_e32 v46, v43
	v_nop
	s_delay_alu instid0(TRANS32_DEP_1) | instskip(SKIP_2) | instid1(VALU_DEP_2)
	v_add_nc_u32_e32 v48, -1, v46
	v_mul_f32_e32 v42, 0.5, v42
	v_add_nc_u32_e32 v53, 1, v46
	v_mul_f32_e32 v47, 0x4f800000, v42
	v_cmp_gt_f32_e64 s9, 0xf800000, v42
	s_delay_alu instid0(VALU_DEP_1) | instskip(NEXT) | instid1(VALU_DEP_1)
	v_cndmask_b32_e64 v42, v42, v47, s9
	v_sqrt_f32_e32 v47, v42
	v_nop
	s_delay_alu instid0(TRANS32_DEP_1) | instskip(SKIP_1) | instid1(VALU_DEP_2)
	v_dual_fma_f32 v54, -v48, v46, v43 :: v_dual_add_nc_u32 v55, 1, v47
	v_add_nc_u32_e32 v49, -1, v47
	v_cmp_ge_f32_e64 s10, 0, v54
	v_fma_f32 v57, -v53, v46, v43
	s_delay_alu instid0(VALU_DEP_2) | instskip(SKIP_1) | instid1(VALU_DEP_2)
	v_dual_fma_f32 v56, -v49, v47, v42 :: v_dual_cndmask_b32 v46, v46, v48, s10
	v_fma_f32 v48, -v55, v47, v42
	v_cmp_ge_f32_e64 s10, 0, v56
	s_delay_alu instid0(VALU_DEP_1) | instskip(SKIP_1) | instid1(VALU_DEP_1)
	v_cndmask_b32_e64 v47, v47, v49, s10
	v_cmp_lt_f32_e64 s10, 0, v57
	v_cndmask_b32_e64 v46, v46, v53, s10
	v_cmp_lt_f32_e64 s10, 0, v48
	s_delay_alu instid0(VALU_DEP_2) | instskip(NEXT) | instid1(VALU_DEP_1)
	v_mul_f32_e32 v48, 0x37800000, v46
	v_cndmask_b32_e32 v46, v46, v48, vcc_lo
	v_cmp_class_f32_e64 vcc_lo, v43, 0x260
	s_delay_alu instid0(VALU_DEP_2) | instskip(SKIP_2) | instid1(VALU_DEP_2)
	v_dual_mov_b32 v48, 1.0 :: v_dual_cndmask_b32 v43, v46, v43
	v_cndmask_b32_e64 v47, v47, v55, s10
	v_cmp_class_f32_e64 vcc_lo, v42, 0x260
	v_mul_f32_e32 v49, 0x37800000, v47
	s_delay_alu instid0(VALU_DEP_1) | instskip(NEXT) | instid1(VALU_DEP_1)
	v_cndmask_b32_e64 v47, v47, v49, s9
	v_cndmask_b32_e32 v42, v47, v42, vcc_lo
	s_delay_alu instid0(VALU_DEP_1)
	v_mul_f32_e32 v49, v43, v42
.LBB49_258:                             ;   in Loop: Header=BB49_4 Depth=1
	s_or_b32 exec_lo, exec_lo, s34
	s_delay_alu instid0(SALU_CYCLE_1)
	s_mov_b32 s9, exec_lo
.LBB49_259:                             ;   in Loop: Header=BB49_4 Depth=1
	s_or_b32 exec_lo, exec_lo, s33
                                        ; implicit-def: $vgpr46
.LBB49_260:                             ;   in Loop: Header=BB49_4 Depth=1
	s_and_not1_saveexec_b32 s10, s31
; %bb.261:                              ;   in Loop: Header=BB49_4 Depth=1
	v_mov_b32_e32 v49, v46
	s_or_b32 s9, s9, exec_lo
                                        ; implicit-def: $vgpr29
	s_delay_alu instid0(VALU_DEP_1)
	v_pk_mul_f32 v[48:49], v[48:49], s[22:23] op_sel_hi:[1,0]
; %bb.262:                              ;   in Loop: Header=BB49_4 Depth=1
	s_or_b32 exec_lo, exec_lo, s10
	s_xor_b32 s9, s9, -1
                                        ; implicit-def: $vgpr46
	s_delay_alu instid0(SALU_CYCLE_1) | instskip(NEXT) | instid1(SALU_CYCLE_1)
	s_and_saveexec_b32 s10, s9
	s_xor_b32 s10, exec_lo, s10
	s_cbranch_execz .LBB49_268
; %bb.263:                              ;   in Loop: Header=BB49_4 Depth=1
	v_fma_f32 v43, |v29|, -0.5, 0.5
	v_mul_f32_e32 v42, v29, v29
                                        ; implicit-def: $vgpr46
	s_and_saveexec_b32 s9, s8
	s_delay_alu instid0(SALU_CYCLE_1)
	s_xor_b32 s9, exec_lo, s9
	s_cbranch_execz .LBB49_265
; %bb.264:                              ;   in Loop: Header=BB49_4 Depth=1
	v_cmp_gt_f32_e64 vcc_lo, |v29|, 0.5
	v_cndmask_b32_e32 v42, v42, v43, vcc_lo
	s_delay_alu instid0(VALU_DEP_1) | instskip(SKIP_1) | instid1(VALU_DEP_1)
	v_sqrt_f32_e32 v46, v42
	v_fmaak_f32 v43, s23, v42, 0x3c5fc5da
	v_fmaak_f32 v43, v42, v43, 0x3d034c3c
	s_delay_alu instid0(VALU_DEP_1) | instskip(NEXT) | instid1(VALU_DEP_1)
	v_fmaak_f32 v43, v42, v43, 0x3d3641b1
	v_fmaak_f32 v43, v42, v43, 0x3d999bc8
	s_delay_alu instid0(VALU_DEP_1) | instskip(NEXT) | instid1(VALU_DEP_1)
	v_fmaak_f32 v43, v42, v43, 0x3e2aaaac
	v_mul_f32_e32 v42, v42, v43
                                        ; implicit-def: $vgpr43
	s_delay_alu instid0(VALU_DEP_1) | instskip(NEXT) | instid1(VALU_DEP_1)
	v_dual_fmac_f32 v46, v46, v42 :: v_dual_fmac_f32 v29, v29, v42
	v_dual_add_f32 v42, v46, v46 :: v_dual_sub_f32 v29, 0x3fc90fdb, v29
	s_delay_alu instid0(VALU_DEP_1)
	v_cndmask_b32_e32 v46, v29, v42, vcc_lo
                                        ; implicit-def: $vgpr29
                                        ; implicit-def: $vgpr42
.LBB49_265:                             ;   in Loop: Header=BB49_4 Depth=1
	s_and_not1_saveexec_b32 s31, s9
	s_cbranch_execz .LBB49_267
; %bb.266:                              ;   in Loop: Header=BB49_4 Depth=1
	v_cmp_gt_f32_e64 vcc_lo, |v29|, 0.5
	v_cmp_lt_f32_e64 s9, 0, v29
	v_cndmask_b32_e32 v42, v42, v43, vcc_lo
	s_delay_alu instid0(VALU_DEP_1) | instskip(SKIP_1) | instid1(VALU_DEP_1)
	v_sqrt_f32_e32 v46, v42
	v_fmaak_f32 v43, s23, v42, 0x3c5fc5da
	v_fmaak_f32 v43, v42, v43, 0x3d034c3c
	s_delay_alu instid0(VALU_DEP_1) | instskip(NEXT) | instid1(VALU_DEP_1)
	v_fmaak_f32 v43, v42, v43, 0x3d3641b1
	v_fmaak_f32 v43, v42, v43, 0x3d999bc8
	s_delay_alu instid0(VALU_DEP_1) | instskip(NEXT) | instid1(VALU_DEP_1)
	v_fmaak_f32 v43, v42, v43, 0x3e2aaaac
	v_mul_f32_e32 v42, v42, v43
	s_delay_alu instid0(VALU_DEP_1) | instskip(NEXT) | instid1(VALU_DEP_1)
	v_dual_fmac_f32 v46, v46, v42 :: v_dual_fma_f32 v42, -v29, v42, -v29
	v_add_f32_e32 v43, v46, v46
	s_delay_alu instid0(VALU_DEP_2) | instskip(NEXT) | instid1(VALU_DEP_2)
	v_sub_f32_e32 v42, 0x3fc90fdb, v42
	v_sub_f32_e32 v46, 0x40490fdb, v43
	s_delay_alu instid0(VALU_DEP_1) | instskip(NEXT) | instid1(VALU_DEP_1)
	v_cndmask_b32_e64 v29, v43, v46, s9
	v_cndmask_b32_e32 v46, v42, v29, vcc_lo
.LBB49_267:                             ;   in Loop: Header=BB49_4 Depth=1
	s_or_b32 exec_lo, exec_lo, s31
                                        ; implicit-def: $vgpr48
.LBB49_268:                             ;   in Loop: Header=BB49_4 Depth=1
	s_and_not1_saveexec_b32 s9, s10
	s_cbranch_execz .LBB49_274
; %bb.269:                              ;   in Loop: Header=BB49_4 Depth=1
	v_max_num_f32_e64 v29, |v49|, |v49|
	v_max_num_f32_e32 v42, v48, v48
	v_cmp_gt_f32_e64 vcc_lo, |v49|, v48
	v_cmp_class_f32_e64 s10, v49, 0x204
	s_delay_alu instid0(VALU_DEP_3) | instskip(NEXT) | instid1(VALU_DEP_1)
	v_dual_max_num_f32 v43, v42, v29 :: v_dual_min_num_f32 v29, v42, v29
	v_frexp_mant_f32_e32 v46, v43
	v_frexp_exp_i32_f32_e32 v42, v43
	s_delay_alu instid0(VALU_DEP_2)
	v_rcp_f32_e32 v43, v46
	v_nop
	v_frexp_exp_i32_f32_e32 v46, v29
	v_frexp_mant_f32_e32 v29, v29
	s_delay_alu instid0(TRANS32_DEP_1) | instid1(VALU_DEP_1)
	v_dual_mul_f32 v29, v29, v43 :: v_dual_sub_nc_u32 v42, v46, v42
                                        ; implicit-def: $vgpr46
	s_delay_alu instid0(VALU_DEP_1) | instskip(NEXT) | instid1(VALU_DEP_1)
	v_ldexp_f32 v29, v29, v42
	v_mul_f32_e32 v42, v29, v29
	s_delay_alu instid0(VALU_DEP_1) | instskip(NEXT) | instid1(VALU_DEP_1)
	v_fmaak_f32 v43, s26, v42, 0xbc7a590c
	v_fmaak_f32 v43, v42, v43, 0x3d29fb3f
	s_delay_alu instid0(VALU_DEP_1) | instskip(NEXT) | instid1(VALU_DEP_1)
	v_fmaak_f32 v43, v42, v43, 0xbd97d4d7
	v_fmaak_f32 v43, v42, v43, 0x3dd931b2
	s_delay_alu instid0(VALU_DEP_1) | instskip(NEXT) | instid1(VALU_DEP_1)
	v_fmaak_f32 v43, v42, v43, 0xbe1160e6
	v_fmaak_f32 v43, v42, v43, 0x3e4cb8bf
	s_delay_alu instid0(VALU_DEP_1) | instskip(NEXT) | instid1(VALU_DEP_1)
	v_fmaak_f32 v43, v42, v43, 0xbeaaaa62
	v_mul_f32_e32 v42, v42, v43
	s_delay_alu instid0(VALU_DEP_1) | instskip(NEXT) | instid1(VALU_DEP_1)
	v_fmac_f32_e32 v29, v29, v42
	v_sub_f32_e32 v42, 0x3fc90fdb, v29
	s_delay_alu instid0(VALU_DEP_1) | instskip(SKIP_1) | instid1(SALU_CYCLE_1)
	v_cndmask_b32_e32 v29, v29, v42, vcc_lo
	s_and_saveexec_b32 s31, s8
	s_xor_b32 s31, exec_lo, s31
	s_cbranch_execz .LBB49_271
; %bb.270:                              ;   in Loop: Header=BB49_4 Depth=1
	v_cmp_neq_f32_e64 s8, 0, v49
	v_cmp_eq_f32_e32 vcc_lo, 0x7f800000, v48
	s_delay_alu instid0(VALU_DEP_2) | instskip(SKIP_2) | instid1(VALU_DEP_2)
	v_cndmask_b32_e64 v29, 0, v29, s8
	s_and_b32 s8, vcc_lo, s10
	v_cmp_o_f32_e32 vcc_lo, v49, v49
	v_cndmask_b32_e64 v29, v29, 0x3f490fdb, s8
	s_delay_alu instid0(VALU_DEP_1) | instskip(NEXT) | instid1(VALU_DEP_1)
	v_cndmask_b32_e32 v29, 0x7fc00000, v29, vcc_lo
	v_bfi_b32 v46, 0x7fffffff, v29, v49
                                        ; implicit-def: $vgpr29
                                        ; implicit-def: $vgpr48
.LBB49_271:                             ;   in Loop: Header=BB49_4 Depth=1
	s_and_not1_saveexec_b32 s31, s31
	s_cbranch_execz .LBB49_273
; %bb.272:                              ;   in Loop: Header=BB49_4 Depth=1
	v_sub_f32_e32 v42, 0x40490fdb, v29
	v_cmp_lt_f32_e32 vcc_lo, 0, v48
	v_cmp_neq_f32_e64 s8, 0, v49
	s_delay_alu instid0(VALU_DEP_3) | instskip(SKIP_1) | instid1(VALU_DEP_2)
	v_cndmask_b32_e32 v29, v29, v42, vcc_lo
	v_cmp_eq_f32_e32 vcc_lo, 0x7f800000, v48
	v_cndmask_b32_e64 v29, 0x40490fdb, v29, s8
	s_and_b32 s8, vcc_lo, s10
	v_cmp_o_f32_e32 vcc_lo, v49, v49
	s_delay_alu instid0(VALU_DEP_2) | instskip(NEXT) | instid1(VALU_DEP_1)
	v_cndmask_b32_e64 v29, v29, 0x4016cbe4, s8
	v_cndmask_b32_e32 v29, 0x7fc00000, v29, vcc_lo
	s_delay_alu instid0(VALU_DEP_1)
	v_bfi_b32 v46, 0x7fffffff, v29, v49
.LBB49_273:                             ;   in Loop: Header=BB49_4 Depth=1
	s_or_b32 exec_lo, exec_lo, s31
.LBB49_274:                             ;   in Loop: Header=BB49_4 Depth=1
	s_delay_alu instid0(SALU_CYCLE_1)
	s_or_b32 exec_lo, exec_lo, s9
	v_cndmask_b32_e64 v47, -v27, v27, s6
                                        ; implicit-def: $vgpr42
.LBB49_275:                             ;   in Loop: Header=BB49_4 Depth=1
	s_and_not1_saveexec_b32 s8, s30
	s_cbranch_execz .LBB49_277
; %bb.276:                              ;   in Loop: Header=BB49_4 Depth=1
	flat_load_b32 v27, v[4:5] scope:SCOPE_SYS
	s_wait_loadcnt_dscnt 0x0
	v_sub_f32_e32 v27, v27, v42
	s_delay_alu instid0(VALU_DEP_1)
	v_add_f32_e32 v46, 0x3fc90fdb, v27
.LBB49_277:                             ;   in Loop: Header=BB49_4 Depth=1
	s_or_b32 exec_lo, exec_lo, s8
.LBB49_278:                             ;   in Loop: Header=BB49_4 Depth=1
	s_and_not1_saveexec_b32 s8, s29
; %bb.279:                              ;   in Loop: Header=BB49_4 Depth=1
	v_mov_b32_e32 v46, 0
; %bb.280:                              ;   in Loop: Header=BB49_4 Depth=1
	s_or_b32 exec_lo, exec_lo, s8
                                        ; implicit-def: $vgpr42
                                        ; implicit-def: $vgpr48
                                        ; implicit-def: $vgpr27
                                        ; implicit-def: $vgpr29
.LBB49_281:                             ;   in Loop: Header=BB49_4 Depth=1
	s_and_not1_saveexec_b32 s10, s28
	s_cbranch_execz .LBB49_291
; %bb.282:                              ;   in Loop: Header=BB49_4 Depth=1
	v_cmp_lt_f32_e64 s8, |v42|, |v43|
                                        ; implicit-def: $vgpr47
                                        ; implicit-def: $vgpr46
	s_mov_b32 s9, exec_lo
	v_cndmask_b32_e64 v49, |v42|, |v43|, s8
	s_delay_alu instid0(VALU_DEP_1)
	v_cmpx_nlt_f32_e32 0x7effffff, v49
	s_xor_b32 s28, exec_lo, s9
	s_cbranch_execz .LBB49_288
; %bb.283:                              ;   in Loop: Header=BB49_4 Depth=1
	v_cndmask_b32_e64 v53, |v43|, |v42|, s8
	v_cmp_nlt_f32_e32 vcc_lo, 0x5e000000, v49
                                        ; implicit-def: $vgpr47
                                        ; implicit-def: $vgpr46
	s_delay_alu instid0(VALU_DEP_2) | instskip(SKIP_1) | instid1(SALU_CYCLE_1)
	v_cmp_ngt_f32_e64 s9, 0x20000000, v53
	s_and_b32 s9, vcc_lo, s9
	s_and_saveexec_b32 s29, s9
	s_delay_alu instid0(SALU_CYCLE_1)
	s_xor_b32 s29, exec_lo, s29
	s_cbranch_execz .LBB49_285
; %bb.284:                              ;   in Loop: Header=BB49_4 Depth=1
	s_wait_dscnt 0x0
	v_frexp_mant_f32_e32 v46, v29
	v_dual_min_num_f32 v27, v48, v27 :: v_dual_mul_f32 v48, v53, v53
	v_frexp_exp_i32_f32_e32 v29, v29
	s_delay_alu instid0(VALU_DEP_3) | instskip(NEXT) | instid1(VALU_DEP_2)
	v_rcp_f32_e32 v46, v46
	v_frexp_exp_i32_f32_e32 v47, v27
	v_frexp_mant_f32_e32 v27, v27
	v_fmac_f32_e32 v48, v49, v49
	s_delay_alu instid0(VALU_DEP_3)
	v_sub_nc_u32_e32 v29, v47, v29
	s_delay_alu instid0(TRANS32_DEP_1) | instid1(VALU_DEP_3)
	v_mul_f32_e32 v27, v27, v46
	s_delay_alu instid0(VALU_DEP_3) | instskip(NEXT) | instid1(VALU_DEP_2)
	v_cmp_gt_f32_e32 vcc_lo, 0x800000, v48
	v_ldexp_f32 v46, v27, v29
	v_cndmask_b32_e64 v27, 0, 32, vcc_lo
	s_delay_alu instid0(VALU_DEP_1) | instskip(NEXT) | instid1(VALU_DEP_1)
	v_ldexp_f32 v27, v48, v27
	v_log_f32_e32 v27, v27
	v_nop
	s_delay_alu instid0(TRANS32_DEP_1) | instskip(SKIP_1) | instid1(VALU_DEP_2)
	v_mul_f32_e32 v48, 0x3f317217, v27
	v_cmp_gt_f32_e64 s9, 0x7f800000, |v27|
	v_fma_f32 v48, 0x3f317217, v27, -v48
	s_delay_alu instid0(VALU_DEP_1) | instskip(NEXT) | instid1(VALU_DEP_1)
	v_dual_mul_f32 v29, v46, v46 :: v_dual_fmac_f32 v48, 0x3377d1cf, v27
	v_fmaak_f32 v47, s26, v29, 0xbc7a590c
	s_delay_alu instid0(VALU_DEP_2) | instskip(NEXT) | instid1(VALU_DEP_2)
	v_fmac_f32_e32 v48, 0x3f317217, v27
	v_fmaak_f32 v47, v29, v47, 0x3d29fb3f
	s_delay_alu instid0(VALU_DEP_1) | instskip(NEXT) | instid1(VALU_DEP_1)
	v_fmaak_f32 v47, v29, v47, 0xbd97d4d7
	v_fmaak_f32 v47, v29, v47, 0x3dd931b2
	s_delay_alu instid0(VALU_DEP_1) | instskip(NEXT) | instid1(VALU_DEP_1)
	v_fmaak_f32 v47, v29, v47, 0xbe1160e6
	v_fmaak_f32 v47, v29, v47, 0x3e4cb8bf
	s_delay_alu instid0(VALU_DEP_1) | instskip(SKIP_2) | instid1(VALU_DEP_1)
	v_fmaak_f32 v47, v29, v47, 0xbeaaaa62
	v_cndmask_b32_e64 v27, v27, v48, s9
	v_cndmask_b32_e64 v48, 0, 0x41b17218, vcc_lo
	v_dual_mul_f32 v29, v29, v47 :: v_dual_sub_f32 v27, v27, v48
                                        ; implicit-def: $vgpr48
	s_delay_alu instid0(VALU_DEP_1) | instskip(NEXT) | instid1(VALU_DEP_2)
	v_fmac_f32_e32 v46, v46, v29
                                        ; implicit-def: $vgpr29
	v_mul_f32_e32 v47, 0.5, v27
                                        ; implicit-def: $vgpr27
.LBB49_285:                             ;   in Loop: Header=BB49_4 Depth=1
	s_and_not1_saveexec_b32 s9, s29
	s_cbranch_execz .LBB49_287
; %bb.286:                              ;   in Loop: Header=BB49_4 Depth=1
	s_wait_dscnt 0x0
	v_cvt_f64_f32_e32 v[46:47], v29
	v_frexp_mant_f32_e32 v53, v29
	v_min_num_f32_e32 v27, v48, v27
	v_cmp_neq_f32_e32 vcc_lo, 0x7f800000, v29
	s_delay_alu instid0(VALU_DEP_3) | instskip(SKIP_1) | instid1(VALU_DEP_3)
	v_rcp_f32_e32 v48, v53
	v_nop
	v_frexp_exp_i32_f32_e32 v53, v27
	v_frexp_mant_f32_e32 v27, v27
	s_delay_alu instid0(TRANS32_DEP_1) | instid1(VALU_DEP_1)
	v_mul_f32_e32 v27, v27, v48
	v_frexp_exp_i32_f64_e32 v46, v[46:47]
	s_delay_alu instid0(VALU_DEP_1) | instskip(NEXT) | instid1(VALU_DEP_1)
	v_sub_nc_u32_e32 v47, 0, v46
	v_ldexp_f32 v49, |v43|, v47
	s_delay_alu instid0(VALU_DEP_1) | instskip(SKIP_1) | instid1(VALU_DEP_1)
	v_mul_f32_e32 v49, v49, v49
	v_ldexp_f32 v47, |v42|, v47
	v_fmac_f32_e32 v49, v47, v47
	v_frexp_exp_i32_f32_e32 v47, v29
	s_delay_alu instid0(VALU_DEP_1) | instskip(NEXT) | instid1(VALU_DEP_3)
	v_sub_nc_u32_e32 v47, v53, v47
	v_sqrt_f32_e32 v49, v49
	v_nop
	s_delay_alu instid0(TRANS32_DEP_1) | instskip(NEXT) | instid1(VALU_DEP_3)
	v_ldexp_f32 v48, v49, v46
	v_ldexp_f32 v46, v27, v47
	s_delay_alu instid0(VALU_DEP_2) | instskip(NEXT) | instid1(VALU_DEP_2)
	v_cndmask_b32_e32 v27, 0x7f800000, v48, vcc_lo
	v_mul_f32_e32 v29, v46, v46
	s_delay_alu instid0(VALU_DEP_2) | instskip(NEXT) | instid1(VALU_DEP_2)
	v_cmp_gt_f32_e32 vcc_lo, 0x800000, v27
	v_fmaak_f32 v48, s26, v29, 0xbc7a590c
	v_cndmask_b32_e64 v47, 0, 32, vcc_lo
	v_cndmask_b32_e64 v49, 0, 0x41b17218, vcc_lo
	s_delay_alu instid0(VALU_DEP_2) | instskip(NEXT) | instid1(VALU_DEP_4)
	v_ldexp_f32 v27, v27, v47
	v_fmaak_f32 v47, v29, v48, 0x3d29fb3f
	s_delay_alu instid0(VALU_DEP_2) | instskip(NEXT) | instid1(VALU_DEP_1)
	v_log_f32_e32 v27, v27
	v_fmaak_f32 v47, v29, v47, 0xbd97d4d7
	s_delay_alu instid0(VALU_DEP_1) | instskip(NEXT) | instid1(TRANS32_DEP_1)
	v_fmaak_f32 v47, v29, v47, 0x3dd931b2
	v_mul_f32_e32 v48, 0x3f317217, v27
	v_cmp_gt_f32_e64 vcc_lo, 0x7f800000, |v27|
	s_delay_alu instid0(VALU_DEP_3) | instskip(NEXT) | instid1(VALU_DEP_3)
	v_fmaak_f32 v47, v29, v47, 0xbe1160e6
	v_fma_f32 v48, 0x3f317217, v27, -v48
	s_delay_alu instid0(VALU_DEP_2) | instskip(NEXT) | instid1(VALU_DEP_2)
	v_fmaak_f32 v47, v29, v47, 0x3e4cb8bf
	v_fmac_f32_e32 v48, 0x3377d1cf, v27
	s_delay_alu instid0(VALU_DEP_2) | instskip(NEXT) | instid1(VALU_DEP_2)
	v_fmaak_f32 v47, v29, v47, 0xbeaaaa62
	v_fmac_f32_e32 v48, 0x3f317217, v27
	s_delay_alu instid0(VALU_DEP_1) | instskip(NEXT) | instid1(VALU_DEP_1)
	v_dual_mul_f32 v29, v29, v47 :: v_dual_cndmask_b32 v27, v27, v48, vcc_lo
	v_fmac_f32_e32 v46, v46, v29
	s_delay_alu instid0(VALU_DEP_2)
	v_sub_f32_e32 v47, v27, v49
.LBB49_287:                             ;   in Loop: Header=BB49_4 Depth=1
	s_or_b32 exec_lo, exec_lo, s9
                                        ; implicit-def: $vgpr48
                                        ; implicit-def: $vgpr27
                                        ; implicit-def: $vgpr29
.LBB49_288:                             ;   in Loop: Header=BB49_4 Depth=1
	s_and_not1_saveexec_b32 s28, s28
	s_cbranch_execz .LBB49_290
; %bb.289:                              ;   in Loop: Header=BB49_4 Depth=1
	v_div_scale_f32 v46, null, 0x402df854, 0x402df854, v42
	v_div_scale_f32 v47, null, 0x402df854, 0x402df854, v43
	v_div_scale_f32 v56, vcc_lo, v42, 0x402df854, v42
	s_delay_alu instid0(VALU_DEP_3) | instskip(NEXT) | instid1(VALU_DEP_2)
	v_rcp_f32_e32 v49, v46
	v_rcp_f32_e32 v53, v47
	v_min_num_f32_e32 v27, v48, v27
	s_delay_alu instid0(TRANS32_DEP_2) | instskip(NEXT) | instid1(TRANS32_DEP_1)
	v_fma_f32 v54, -v46, v49, 1.0
	v_fma_f32 v55, -v47, v53, 1.0
	s_delay_alu instid0(VALU_DEP_2) | instskip(SKIP_1) | instid1(VALU_DEP_3)
	v_fmac_f32_e32 v49, v54, v49
	v_div_scale_f32 v54, s9, v43, 0x402df854, v43
	v_fmac_f32_e32 v53, v55, v53
	s_delay_alu instid0(VALU_DEP_3) | instskip(NEXT) | instid1(VALU_DEP_1)
	v_mul_f32_e32 v55, v56, v49
	v_fma_f32 v58, -v46, v55, v56
	s_delay_alu instid0(VALU_DEP_3) | instskip(NEXT) | instid1(VALU_DEP_2)
	v_mul_f32_e32 v57, v54, v53
	v_fmac_f32_e32 v55, v58, v49
	s_delay_alu instid0(VALU_DEP_1) | instskip(NEXT) | instid1(VALU_DEP_1)
	v_dual_fma_f32 v59, -v47, v57, v54 :: v_dual_fma_f32 v46, -v46, v55, v56
	v_fmac_f32_e32 v57, v59, v53
	s_delay_alu instid0(VALU_DEP_2) | instskip(NEXT) | instid1(VALU_DEP_2)
	v_div_fmas_f32 v46, v46, v49, v55
	v_fma_f32 v47, -v47, v57, v54
	s_mov_b32 vcc_lo, s9
	s_delay_alu instid0(VALU_DEP_2) | instskip(NEXT) | instid1(VALU_DEP_2)
	v_div_fixup_f32 v49, v46, 0x402df854, v42
	v_div_fmas_f32 v47, v47, v53, v57
	s_delay_alu instid0(VALU_DEP_1) | instskip(NEXT) | instid1(VALU_DEP_1)
	v_div_fixup_f32 v53, v47, 0x402df854, v43
	v_max_num_f32_e64 v54, |v49|, |v53|
	s_delay_alu instid0(VALU_DEP_1) | instskip(SKIP_1) | instid1(VALU_DEP_2)
	v_cvt_f64_f32_e32 v[46:47], v54
	v_cmp_neq_f32_e32 vcc_lo, 0x7f800000, v54
	v_frexp_exp_i32_f64_e32 v46, v[46:47]
	s_delay_alu instid0(VALU_DEP_1) | instskip(NEXT) | instid1(VALU_DEP_1)
	v_sub_nc_u32_e32 v47, 0, v46
	v_ldexp_f32 v53, |v53|, v47
	v_ldexp_f32 v47, |v49|, v47
	s_delay_alu instid0(VALU_DEP_2) | instskip(NEXT) | instid1(VALU_DEP_1)
	v_mul_f32_e32 v49, v53, v53
	v_fmac_f32_e32 v49, v47, v47
	s_wait_dscnt 0x0
	v_frexp_mant_f32_e32 v47, v29
	v_frexp_exp_i32_f32_e32 v29, v29
	s_delay_alu instid0(VALU_DEP_3) | instskip(NEXT) | instid1(VALU_DEP_2)
	v_sqrt_f32_e32 v48, v49
	v_rcp_f32_e32 v47, v47
	v_frexp_exp_i32_f32_e32 v49, v27
	v_frexp_mant_f32_e32 v27, v27
	s_delay_alu instid0(TRANS32_DEP_1) | instid1(VALU_DEP_1)
	v_dual_sub_nc_u32 v29, v49, v29 :: v_dual_mul_f32 v27, v27, v47
	s_delay_alu instid0(TRANS32_DEP_2) | instskip(NEXT) | instid1(VALU_DEP_1)
	v_ldexp_f32 v46, v48, v46
	v_cndmask_b32_e32 v47, 0x7f800000, v46, vcc_lo
	s_delay_alu instid0(VALU_DEP_3) | instskip(NEXT) | instid1(VALU_DEP_2)
	v_ldexp_f32 v46, v27, v29
	v_cmp_gt_f32_e32 vcc_lo, 0x800000, v47
	s_delay_alu instid0(VALU_DEP_2) | instskip(SKIP_2) | instid1(VALU_DEP_2)
	v_mul_f32_e32 v29, v46, v46
	v_cndmask_b32_e64 v27, 0, 32, vcc_lo
	v_cndmask_b32_e64 v49, 0, 0x41b17218, vcc_lo
	v_ldexp_f32 v27, v47, v27
	s_delay_alu instid0(VALU_DEP_4) | instskip(NEXT) | instid1(VALU_DEP_2)
	v_fmaak_f32 v47, s26, v29, 0xbc7a590c
	v_log_f32_e32 v27, v27
	s_delay_alu instid0(VALU_DEP_1) | instskip(NEXT) | instid1(VALU_DEP_1)
	v_fmaak_f32 v47, v29, v47, 0x3d29fb3f
	v_fmaak_f32 v47, v29, v47, 0xbd97d4d7
	s_delay_alu instid0(TRANS32_DEP_1) | instskip(SKIP_1) | instid1(VALU_DEP_3)
	v_mul_f32_e32 v48, 0x3f317217, v27
	v_cmp_gt_f32_e64 vcc_lo, 0x7f800000, |v27|
	v_fmaak_f32 v47, v29, v47, 0x3dd931b2
	s_delay_alu instid0(VALU_DEP_3) | instskip(NEXT) | instid1(VALU_DEP_2)
	v_fma_f32 v48, 0x3f317217, v27, -v48
	v_fmaak_f32 v47, v29, v47, 0xbe1160e6
	s_delay_alu instid0(VALU_DEP_2) | instskip(NEXT) | instid1(VALU_DEP_2)
	v_fmac_f32_e32 v48, 0x3377d1cf, v27
	v_fmaak_f32 v47, v29, v47, 0x3e4cb8bf
	s_delay_alu instid0(VALU_DEP_2) | instskip(NEXT) | instid1(VALU_DEP_2)
	v_fmac_f32_e32 v48, 0x3f317217, v27
	v_fmaak_f32 v47, v29, v47, 0xbeaaaa62
	s_delay_alu instid0(VALU_DEP_1) | instskip(NEXT) | instid1(VALU_DEP_1)
	v_dual_cndmask_b32 v27, v27, v48, vcc_lo :: v_dual_mul_f32 v29, v29, v47
	v_sub_f32_e32 v27, v27, v49
	s_delay_alu instid0(VALU_DEP_1)
	v_dual_fmac_f32 v46, v46, v29 :: v_dual_add_f32 v47, 1.0, v27
.LBB49_290:                             ;   in Loop: Header=BB49_4 Depth=1
	s_or_b32 exec_lo, exec_lo, s28
	s_delay_alu instid0(VALU_DEP_1) | instskip(SKIP_1) | instid1(VALU_DEP_2)
	v_sub_f32_e32 v27, 0x3fc90fdb, v46
	v_cmp_gt_f32_e32 vcc_lo, 0, v42
	v_cndmask_b32_e64 v27, v46, v27, s8
	v_cndmask_b32_e64 v46, 0, 0x40490fdb, s7
	v_cmp_class_f32_e64 s7, v42, 0x204
	v_cmp_class_f32_e64 s8, v43, 0x204
	v_add_f32_e32 v42, 0x3f317218, v47
	s_wait_dscnt 0x0
	v_sub_f32_e32 v29, 0x40490fdb, v27
	s_delay_alu instid0(VALU_DEP_1) | instskip(SKIP_2) | instid1(VALU_DEP_3)
	v_dual_cndmask_b32 v47, -v42, v42, s6 :: v_dual_cndmask_b32 v27, v27, v29, vcc_lo
	v_cndmask_b32_e32 v29, 0x3f490fdb, v52, vcc_lo
	v_cmp_eq_f32_e32 vcc_lo, 0, v43
	v_cndmask_b32_e64 v27, |v27|, v46, vcc_lo
	s_and_b32 vcc_lo, s8, s7
	s_delay_alu instid0(VALU_DEP_1)
	v_cndmask_b32_e32 v46, v27, v29, vcc_lo
.LBB49_291:                             ;   in Loop: Header=BB49_4 Depth=1
	s_or_b32 exec_lo, exec_lo, s10
                                        ; implicit-def: $vgpr43
.LBB49_292:                             ;   in Loop: Header=BB49_4 Depth=1
	s_and_not1_saveexec_b32 s6, s27
	s_cbranch_execz .LBB49_306
; %bb.293:                              ;   in Loop: Header=BB49_4 Depth=1
	v_cmp_neq_f32_e64 s7, 0x7f800000, |v42|
                                        ; implicit-def: $vgpr47
	s_and_saveexec_b32 s8, s7
	s_delay_alu instid0(SALU_CYCLE_1)
	s_xor_b32 s7, exec_lo, s8
	s_cbranch_execz .LBB49_303
; %bb.294:                              ;   in Loop: Header=BB49_4 Depth=1
	v_cmp_neq_f32_e64 s8, 0x7f800000, |v43|
	v_xor_b32_e32 v47, 0x80000000, v43
	s_and_saveexec_b32 s9, s8
	s_delay_alu instid0(SALU_CYCLE_1)
	s_xor_b32 s8, exec_lo, s9
	s_cbranch_execz .LBB49_300
; %bb.295:                              ;   in Loop: Header=BB49_4 Depth=1
	s_mov_b32 s9, exec_lo
                                        ; implicit-def: $vgpr47
	v_cmpx_neq_f32_e32 0, v42
	s_xor_b32 s9, exec_lo, s9
; %bb.296:                              ;   in Loop: Header=BB49_4 Depth=1
	v_add_f32_e32 v27, 0, v43
                                        ; implicit-def: $vgpr43
	s_delay_alu instid0(VALU_DEP_1)
	v_add_f32_e32 v47, v27, v42
; %bb.297:                              ;   in Loop: Header=BB49_4 Depth=1
	s_or_saveexec_b32 s9, s9
	s_delay_alu instid0(VALU_DEP_1)
	v_mov_b32_e32 v46, v47
	s_xor_b32 exec_lo, exec_lo, s9
	s_cbranch_execz .LBB49_299
; %bb.298:                              ;   in Loop: Header=BB49_4 Depth=1
	flat_load_b32 v27, v[4:5] scope:SCOPE_SYS
	s_wait_loadcnt 0x0
	v_add_f32_e32 v47, v43, v43
	s_wait_dscnt 0x0
	v_add_f32_e32 v46, 0x3fc90fdb, v27
.LBB49_299:                             ;   in Loop: Header=BB49_4 Depth=1
	s_wait_xcnt 0x0
	s_or_b32 exec_lo, exec_lo, s9
                                        ; implicit-def: $vgpr42
.LBB49_300:                             ;   in Loop: Header=BB49_4 Depth=1
	s_and_not1_saveexec_b32 s8, s8
; %bb.301:                              ;   in Loop: Header=BB49_4 Depth=1
	v_add_f32_e32 v46, v42, v42
; %bb.302:                              ;   in Loop: Header=BB49_4 Depth=1
	s_or_b32 exec_lo, exec_lo, s8
                                        ; implicit-def: $vgpr43
.LBB49_303:                             ;   in Loop: Header=BB49_4 Depth=1
	s_and_not1_saveexec_b32 s7, s7
; %bb.304:                              ;   in Loop: Header=BB49_4 Depth=1
	v_dual_add_f32 v46, v43, v43 :: v_dual_mov_b32 v47, 0xff800000
; %bb.305:                              ;   in Loop: Header=BB49_4 Depth=1
	s_or_b32 exec_lo, exec_lo, s7
.LBB49_306:                             ;   in Loop: Header=BB49_4 Depth=1
	s_delay_alu instid0(SALU_CYCLE_1)
	s_or_b32 exec_lo, exec_lo, s6
	flat_store_b32 v[4:5], v50 scope:SCOPE_SYS
	s_wait_storecnt 0x0
                                        ; implicit-def: $vgpr43
	s_mov_b32 s6, exec_lo
	s_wait_xcnt 0x0
	v_cmpx_o_f32_e32 v38, v39
	s_xor_b32 s27, exec_lo, s6
	s_cbranch_execnz .LBB49_312
; %bb.307:                              ;   in Loop: Header=BB49_4 Depth=1
	s_and_not1_saveexec_b32 s6, s27
	s_cbranch_execnz .LBB49_395
.LBB49_308:                             ;   in Loop: Header=BB49_4 Depth=1
	s_or_b32 exec_lo, exec_lo, s6
	s_and_saveexec_b32 s6, s2
	s_delay_alu instid0(SALU_CYCLE_1)
	s_xor_b32 s2, exec_lo, s6
	s_cbranch_execnz .LBB49_408
.LBB49_309:                             ;   in Loop: Header=BB49_4 Depth=1
	s_or_b32 exec_lo, exec_lo, s2
	s_and_saveexec_b32 s2, s3
	s_cbranch_execnz .LBB49_409
.LBB49_310:                             ;   in Loop: Header=BB49_4 Depth=1
	s_or_b32 exec_lo, exec_lo, s2
	s_and_saveexec_b32 s2, s4
	s_cbranch_execnz .LBB49_410
.LBB49_311:                             ;   in Loop: Header=BB49_4 Depth=1
	s_or_b32 exec_lo, exec_lo, s2
	s_and_saveexec_b32 s2, s5
	s_cbranch_execz .LBB49_3
	s_branch .LBB49_411
.LBB49_312:                             ;   in Loop: Header=BB49_4 Depth=1
	v_max_num_f32_e64 v48, |v38|, |v38|
	v_max_num_f32_e64 v27, |v39|, |v39|
	v_cmp_gt_i32_e64 s7, 0, v38
	v_cmp_lt_i32_e64 s8, -1, v38
	v_cmp_gt_i32_e64 s6, 0, v39
                                        ; implicit-def: $vgpr43
	s_mov_b32 s9, exec_lo
	s_wait_dscnt 0x1
	v_max_num_f32_e32 v29, v27, v48
	s_delay_alu instid0(VALU_DEP_1)
	v_cmpx_nlt_f32_e32 0x4b000000, v29
	s_xor_b32 s28, exec_lo, s9
	s_cbranch_execz .LBB49_384
; %bb.313:                              ;   in Loop: Header=BB49_4 Depth=1
	v_cmp_neq_f32_e32 vcc_lo, 1.0, v38
	v_cmp_neq_f32_e64 s9, 0, v39
	v_xor_b32_e32 v43, 0x80000000, v39
	s_or_b32 s9, s9, vcc_lo
	s_delay_alu instid0(SALU_CYCLE_1) | instskip(NEXT) | instid1(SALU_CYCLE_1)
	s_and_saveexec_b32 s10, s9
	s_xor_b32 s29, exec_lo, s10
	s_cbranch_execz .LBB49_381
; %bb.314:                              ;   in Loop: Header=BB49_4 Depth=1
	flat_store_b32 v[10:11], v51 scope:SCOPE_SYS
	s_wait_storecnt 0x0
	flat_load_b32 v29, v[10:11] scope:SCOPE_SYS
	s_wait_loadcnt 0x0
	v_cmp_ngt_f32_e64 s9, 0x395db3d7, |v38|
	v_cmp_ngt_f32_e64 s10, 0x395db3d7, |v39|
	v_xor_b32_e32 v43, 0x80000000, v39
	s_or_b32 s9, s10, s9
	s_wait_dscnt 0x0
	v_add_f32_e32 v29, 1.0, v29
	flat_store_b32 v[12:13], v29 scope:SCOPE_SYS
	s_wait_storecnt 0x0
	flat_load_b32 v29, v[12:13] scope:SCOPE_SYS
	s_wait_loadcnt 0x0
	s_wait_xcnt 0x0
	s_and_saveexec_b32 s10, s9
	s_delay_alu instid0(SALU_CYCLE_1)
	s_xor_b32 s30, exec_lo, s10
	s_cbranch_execz .LBB49_378
; %bb.315:                              ;   in Loop: Header=BB49_4 Depth=1
	v_add_f32_e64 v54, |v38|, 1.0
	v_add_f32_e64 v53, |v38|, -1.0
	s_mov_b32 s9, exec_lo
	s_wait_dscnt 0x0
	s_delay_alu instid0(VALU_DEP_2) | instskip(NEXT) | instid1(VALU_DEP_2)
	v_max_num_f32_e32 v29, v27, v54
	v_max_num_f32_e64 v27, v27, |v53|
	s_delay_alu instid0(VALU_DEP_2) | instskip(NEXT) | instid1(VALU_DEP_2)
	v_cvt_f64_f32_e32 v[42:43], v29
	v_cvt_f64_f32_e32 v[48:49], v27
	s_delay_alu instid0(VALU_DEP_2) | instskip(NEXT) | instid1(VALU_DEP_2)
	v_frexp_exp_i32_f64_e32 v42, v[42:43]
	v_frexp_exp_i32_f64_e32 v43, v[48:49]
	s_delay_alu instid0(VALU_DEP_1) | instskip(SKIP_1) | instid1(VALU_DEP_2)
	v_dual_sub_nc_u32 v48, 0, v42 :: v_dual_sub_nc_u32 v49, 0, v43
	v_cmp_neq_f32_e32 vcc_lo, 0x7f800000, v29
	v_ldexp_f32 v55, v54, v48
	s_delay_alu instid0(VALU_DEP_3) | instskip(SKIP_1) | instid1(VALU_DEP_3)
	v_ldexp_f32 v56, |v53|, v49
	v_ldexp_f32 v49, |v39|, v49
	v_mul_f32_e32 v55, v55, v55
	v_ldexp_f32 v48, |v39|, v48
	s_delay_alu instid0(VALU_DEP_4) | instskip(NEXT) | instid1(VALU_DEP_1)
	v_mul_f32_e32 v56, v56, v56
	v_dual_fmac_f32 v55, v48, v48 :: v_dual_fmac_f32 v56, v49, v49
	s_delay_alu instid0(VALU_DEP_1) | instskip(NEXT) | instid1(VALU_DEP_1)
	v_sqrt_f32_e32 v48, v55
	v_sqrt_f32_e32 v49, v56
	s_delay_alu instid0(TRANS32_DEP_2) | instskip(NEXT) | instid1(TRANS32_DEP_1)
	v_ldexp_f32 v42, v48, v42
	v_ldexp_f32 v43, v49, v43
	s_delay_alu instid0(VALU_DEP_2) | instskip(SKIP_1) | instid1(VALU_DEP_3)
	v_cndmask_b32_e32 v56, 0x7f800000, v42, vcc_lo
	v_cmp_neq_f32_e32 vcc_lo, 0x7f800000, v27
	v_cndmask_b32_e32 v49, 0x7f800000, v43, vcc_lo
	s_delay_alu instid0(VALU_DEP_1) | instskip(NEXT) | instid1(VALU_DEP_1)
	v_add_f32_e32 v27, v56, v49
	v_mul_f32_e32 v27, 0.5, v27
	s_delay_alu instid0(VALU_DEP_1) | instskip(SKIP_1) | instid1(VALU_DEP_1)
	v_cmp_ngt_f32_e32 vcc_lo, 1.0, v27
	v_cndmask_b32_e32 v42, 1.0, v27, vcc_lo
                                        ; implicit-def: $vgpr27
	v_cmpx_ngt_f32_e32 0x41200000, v42
	s_xor_b32 s10, exec_lo, s9
	s_cbranch_execz .LBB49_317
; %bb.316:                              ;   in Loop: Header=BB49_4 Depth=1
	v_fma_f32 v27, v42, v42, -1.0
	s_delay_alu instid0(VALU_DEP_1) | instskip(SKIP_1) | instid1(VALU_DEP_2)
	v_mul_f32_e32 v29, 0x4f800000, v27
	v_cmp_gt_f32_e32 vcc_lo, 0xf800000, v27
	v_cndmask_b32_e32 v27, v27, v29, vcc_lo
	s_delay_alu instid0(VALU_DEP_1) | instskip(SKIP_1) | instid1(TRANS32_DEP_1)
	v_sqrt_f32_e32 v29, v27
	v_nop
	v_dual_add_nc_u32 v43, -1, v29 :: v_dual_add_nc_u32 v48, 1, v29
	s_delay_alu instid0(VALU_DEP_1) | instskip(NEXT) | instid1(VALU_DEP_1)
	v_fma_f32 v55, -v43, v29, v27
	v_cmp_ge_f32_e64 s9, 0, v55
	s_delay_alu instid0(VALU_DEP_1) | instskip(NEXT) | instid1(VALU_DEP_1)
	v_dual_fma_f32 v57, -v48, v29, v27 :: v_dual_cndmask_b32 v29, v29, v43, s9
	v_cmp_lt_f32_e64 s9, 0, v57
	s_delay_alu instid0(VALU_DEP_1) | instskip(NEXT) | instid1(VALU_DEP_1)
	v_cndmask_b32_e64 v29, v29, v48, s9
	v_mul_f32_e32 v43, 0x37800000, v29
	s_delay_alu instid0(VALU_DEP_1) | instskip(SKIP_1) | instid1(VALU_DEP_2)
	v_cndmask_b32_e32 v29, v29, v43, vcc_lo
	v_cmp_class_f32_e64 vcc_lo, v27, 0x260
	v_cndmask_b32_e32 v27, v29, v27, vcc_lo
	s_delay_alu instid0(VALU_DEP_1) | instskip(NEXT) | instid1(VALU_DEP_1)
	v_add_f32_e32 v27, v42, v27
	v_cmp_gt_f32_e32 vcc_lo, 0x800000, v27
	s_delay_alu instid0(VALU_DEP_4) | instskip(NEXT) | instid1(VALU_DEP_1)
	v_cndmask_b32_e64 v29, 0, 32, vcc_lo
	v_ldexp_f32 v27, v27, v29
	s_delay_alu instid0(VALU_DEP_1) | instskip(SKIP_1) | instid1(TRANS32_DEP_1)
	v_log_f32_e32 v27, v27
	v_nop
	v_mul_f32_e32 v29, 0x3f317217, v27
	v_cmp_gt_f32_e64 s9, 0x7f800000, |v27|
	s_delay_alu instid0(VALU_DEP_2) | instskip(NEXT) | instid1(VALU_DEP_1)
	v_fma_f32 v29, 0x3f317217, v27, -v29
	v_fmac_f32_e32 v29, 0x3377d1cf, v27
	s_delay_alu instid0(VALU_DEP_1) | instskip(NEXT) | instid1(VALU_DEP_1)
	v_fmac_f32_e32 v29, 0x3f317217, v27
	v_cndmask_b32_e64 v27, v27, v29, s9
	v_cndmask_b32_e64 v29, 0, 0x41b17218, vcc_lo
	s_delay_alu instid0(VALU_DEP_1)
	v_sub_f32_e32 v27, v27, v29
.LBB49_317:                             ;   in Loop: Header=BB49_4 Depth=1
	s_or_saveexec_b32 s10, s10
	v_and_b32_e32 v55, 0x7fffffff, v39
	s_xor_b32 exec_lo, exec_lo, s10
	s_cbranch_execz .LBB49_339
; %bb.318:                              ;   in Loop: Header=BB49_4 Depth=1
	v_cmp_neq_f32_e64 s9, |v38|, 1.0
	v_cmp_ngt_f32_e64 s31, 0x25000000, |v39|
                                        ; implicit-def: $vgpr27
	s_or_b32 s9, s31, s9
	s_delay_alu instid0(SALU_CYCLE_1) | instskip(NEXT) | instid1(SALU_CYCLE_1)
	s_and_saveexec_b32 s31, s9
	s_xor_b32 s31, exec_lo, s31
	s_cbranch_execz .LBB49_336
; %bb.319:                              ;   in Loop: Header=BB49_4 Depth=1
	v_mul_f32_e64 v27, 0x34000000, |v53|
	s_delay_alu instid0(VALU_DEP_1) | instskip(SKIP_1) | instid1(SALU_CYCLE_1)
	v_cmp_ge_f32_e64 s9, |v39|, v27
                                        ; implicit-def: $vgpr27
	s_and_saveexec_b32 s33, s9
	s_xor_b32 s33, exec_lo, s33
	s_cbranch_execz .LBB49_329
; %bb.320:                              ;   in Loop: Header=BB49_4 Depth=1
	v_mov_b32_e32 v27, v55
	s_mov_b32 s9, exec_lo
	v_cmpx_neq_f32_e32 0, v54
	s_cbranch_execz .LBB49_322
; %bb.321:                              ;   in Loop: Header=BB49_4 Depth=1
	v_dual_mul_f32 v27, v39, v39 :: v_dual_add_f32 v29, v54, v56
	s_delay_alu instid0(VALU_DEP_1) | instskip(NEXT) | instid1(VALU_DEP_1)
	v_div_scale_f32 v43, null, v29, v29, v27
	v_rcp_f32_e32 v48, v43
	v_nop
	s_delay_alu instid0(TRANS32_DEP_1) | instskip(NEXT) | instid1(VALU_DEP_1)
	v_fma_f32 v57, -v43, v48, 1.0
	v_fmac_f32_e32 v48, v57, v48
	v_div_scale_f32 v57, vcc_lo, v27, v29, v27
	s_delay_alu instid0(VALU_DEP_1) | instskip(NEXT) | instid1(VALU_DEP_1)
	v_mul_f32_e32 v58, v57, v48
	v_fma_f32 v59, -v43, v58, v57
	s_delay_alu instid0(VALU_DEP_1) | instskip(NEXT) | instid1(VALU_DEP_1)
	v_fmac_f32_e32 v58, v59, v48
	v_fma_f32 v43, -v43, v58, v57
	s_delay_alu instid0(VALU_DEP_1) | instskip(NEXT) | instid1(VALU_DEP_1)
	v_div_fmas_f32 v43, v43, v48, v58
	v_div_fixup_f32 v27, v43, v29, v27
.LBB49_322:                             ;   in Loop: Header=BB49_4 Depth=1
	s_or_b32 exec_lo, exec_lo, s9
	v_sub_f32_e64 v43, 1.0, |v38|
	s_mov_b32 s9, exec_lo
                                        ; implicit-def: $vgpr29
	s_delay_alu instid0(VALU_DEP_1)
	v_cmpx_ngt_f32_e32 0, v43
	s_xor_b32 s9, exec_lo, s9
	s_cbranch_execz .LBB49_326
; %bb.323:                              ;   in Loop: Header=BB49_4 Depth=1
	v_mov_b32_e32 v29, v55
	s_mov_b32 s34, exec_lo
	v_cmpx_neq_f32_e32 0, v43
	s_cbranch_execz .LBB49_325
; %bb.324:                              ;   in Loop: Header=BB49_4 Depth=1
	v_mul_f32_e32 v29, v39, v39
	v_add_f32_e32 v43, v43, v49
	s_delay_alu instid0(VALU_DEP_1) | instskip(NEXT) | instid1(VALU_DEP_1)
	v_div_scale_f32 v48, null, v43, v43, v29
	v_rcp_f32_e32 v57, v48
	v_nop
	s_delay_alu instid0(TRANS32_DEP_1) | instskip(NEXT) | instid1(VALU_DEP_1)
	v_fma_f32 v58, -v48, v57, 1.0
	v_fmac_f32_e32 v57, v58, v57
	v_div_scale_f32 v58, vcc_lo, v29, v43, v29
	s_delay_alu instid0(VALU_DEP_1) | instskip(NEXT) | instid1(VALU_DEP_1)
	v_mul_f32_e32 v59, v58, v57
	v_fma_f32 v60, -v48, v59, v58
	s_delay_alu instid0(VALU_DEP_1) | instskip(NEXT) | instid1(VALU_DEP_1)
	v_fmac_f32_e32 v59, v60, v57
	v_fma_f32 v48, -v48, v59, v58
	s_delay_alu instid0(VALU_DEP_1) | instskip(NEXT) | instid1(VALU_DEP_1)
	v_div_fmas_f32 v48, v48, v57, v59
	v_div_fixup_f32 v29, v48, v43, v29
.LBB49_325:                             ;   in Loop: Header=BB49_4 Depth=1
	s_or_b32 exec_lo, exec_lo, s34
                                        ; implicit-def: $vgpr43
.LBB49_326:                             ;   in Loop: Header=BB49_4 Depth=1
	s_and_not1_saveexec_b32 s9, s9
; %bb.327:                              ;   in Loop: Header=BB49_4 Depth=1
	v_sub_f32_e32 v29, v49, v43
; %bb.328:                              ;   in Loop: Header=BB49_4 Depth=1
	s_or_b32 exec_lo, exec_lo, s9
	s_delay_alu instid0(VALU_DEP_1) | instskip(NEXT) | instid1(VALU_DEP_1)
	v_dual_mul_f32 v43, 0.5, v27 :: v_dual_mul_f32 v27, 0.5, v29
	v_pk_add_f32 v[58:59], v[42:43], v[26:27]
	s_delay_alu instid0(VALU_DEP_1) | instskip(NEXT) | instid1(VALU_DEP_1)
	v_mul_f32_e32 v27, v58, v59
	v_mul_f32_e32 v29, 0x4f800000, v27
	v_cmp_gt_f32_e32 vcc_lo, 0xf800000, v27
	s_delay_alu instid0(VALU_DEP_2) | instskip(NEXT) | instid1(VALU_DEP_1)
	v_cndmask_b32_e32 v27, v27, v29, vcc_lo
	v_sqrt_f32_e32 v29, v27
	v_nop
	s_delay_alu instid0(TRANS32_DEP_1) | instskip(NEXT) | instid1(VALU_DEP_1)
	v_dual_add_nc_u32 v43, -1, v29 :: v_dual_add_nc_u32 v48, 1, v29
	v_dual_fma_f32 v57, -v43, v29, v27 :: v_dual_fma_f32 v58, -v48, v29, v27
	s_delay_alu instid0(VALU_DEP_1) | instskip(NEXT) | instid1(VALU_DEP_1)
	v_cmp_ge_f32_e64 s9, 0, v57
	v_cndmask_b32_e64 v29, v29, v43, s9
	s_delay_alu instid0(VALU_DEP_3) | instskip(NEXT) | instid1(VALU_DEP_1)
	v_cmp_lt_f32_e64 s9, 0, v58
	v_cndmask_b32_e64 v29, v29, v48, s9
	s_delay_alu instid0(VALU_DEP_1) | instskip(NEXT) | instid1(VALU_DEP_1)
	v_mul_f32_e32 v43, 0x37800000, v29
	v_cndmask_b32_e32 v29, v29, v43, vcc_lo
	v_cmp_class_f32_e64 vcc_lo, v27, 0x260
	s_delay_alu instid0(VALU_DEP_2) | instskip(NEXT) | instid1(VALU_DEP_1)
	v_cndmask_b32_e32 v27, v29, v27, vcc_lo
	v_add_f32_e32 v58, v59, v27
	s_delay_alu instid0(VALU_DEP_1) | instskip(NEXT) | instid1(VALU_DEP_1)
	v_add_f32_e32 v61, 1.0, v58
	v_cvt_f64_f32_e32 v[62:63], v61
	v_frexp_mant_f32_e32 v29, v61
	v_add_f32_e32 v59, -1.0, v61
	s_delay_alu instid0(VALU_DEP_2) | instskip(NEXT) | instid1(VALU_DEP_2)
	v_cmp_gt_f32_e32 vcc_lo, 0x3f2aaaab, v29
	v_mov_b32_e32 v60, v59
	v_frexp_exp_i32_f64_e32 v27, v[62:63]
	s_delay_alu instid0(VALU_DEP_2) | instskip(NEXT) | instid1(VALU_DEP_2)
	v_pk_add_f32 v[62:63], v[58:59], v[60:61] neg_lo:[0,1] neg_hi:[0,1]
	v_subrev_co_ci_u32_e64 v27, null, 0, v27, vcc_lo
	v_cmp_neq_f32_e32 vcc_lo, 0x7f800000, v58
	s_delay_alu instid0(VALU_DEP_2) | instskip(NEXT) | instid1(VALU_DEP_1)
	v_sub_nc_u32_e32 v29, 0, v27
	v_ldexp_f32 v43, v61, v29
	s_delay_alu instid0(VALU_DEP_1) | instskip(NEXT) | instid1(VALU_DEP_1)
	v_dual_add_f32 v57, 1.0, v43 :: v_dual_add_f32 v65, -1.0, v43
	v_dual_add_f32 v48, 1.0, v63 :: v_dual_add_f32 v59, -1.0, v57
	s_delay_alu instid0(VALU_DEP_1) | instskip(NEXT) | instid1(VALU_DEP_1)
	v_add_f32_e32 v48, v62, v48
	v_ldexp_f32 v29, v48, v29
	s_delay_alu instid0(VALU_DEP_3) | instskip(NEXT) | instid1(VALU_DEP_1)
	v_sub_f32_e32 v48, v43, v59
	v_dual_add_f32 v48, v29, v48 :: v_dual_add_f32 v59, 1.0, v65
	s_delay_alu instid0(VALU_DEP_1) | instskip(NEXT) | instid1(VALU_DEP_1)
	v_dual_sub_f32 v43, v43, v59 :: v_dual_add_f32 v59, v57, v48
	v_dual_add_f32 v29, v29, v43 :: v_dual_sub_f32 v57, v59, v57
	s_delay_alu instid0(VALU_DEP_1) | instskip(SKIP_1) | instid1(VALU_DEP_2)
	v_sub_f32_e32 v48, v48, v57
	v_rcp_f32_e32 v43, v59
	v_add_f32_e32 v61, v65, v29
	s_delay_alu instid0(TRANS32_DEP_1) | instid1(VALU_DEP_1)
	v_mul_f32_e32 v66, v61, v43
	s_delay_alu instid0(VALU_DEP_1) | instskip(NEXT) | instid1(VALU_DEP_1)
	v_dual_mul_f32 v62, v59, v66 :: v_dual_sub_f32 v57, v61, v65
	v_dual_fma_f32 v64, v66, v59, -v62 :: v_dual_sub_f32 v29, v29, v57
	s_delay_alu instid0(VALU_DEP_1) | instskip(NEXT) | instid1(VALU_DEP_1)
	v_fmac_f32_e32 v64, v66, v48
	v_add_f32_e32 v60, v62, v64
	s_delay_alu instid0(VALU_DEP_1) | instskip(NEXT) | instid1(VALU_DEP_1)
	v_dual_sub_f32 v63, v61, v60 :: v_dual_mov_b32 v65, v60
	v_pk_add_f32 v[60:61], v[60:61], v[62:63] neg_lo:[0,1] neg_hi:[0,1]
	s_delay_alu instid0(VALU_DEP_1) | instskip(NEXT) | instid1(VALU_DEP_1)
	v_pk_add_f32 v[60:61], v[60:61], v[64:65] neg_lo:[0,1] neg_hi:[0,1]
	v_add_f32_e32 v29, v29, v61
	s_delay_alu instid0(VALU_DEP_1) | instskip(NEXT) | instid1(VALU_DEP_1)
	v_add_f32_e32 v29, v60, v29
	v_add_f32_e32 v61, v63, v29
	s_delay_alu instid0(VALU_DEP_1) | instskip(NEXT) | instid1(VALU_DEP_1)
	v_mul_f32_e32 v57, v43, v61
	v_mul_f32_e32 v64, v59, v57
	s_delay_alu instid0(VALU_DEP_1) | instskip(NEXT) | instid1(VALU_DEP_1)
	v_fma_f32 v62, v57, v59, -v64
	v_dual_fmac_f32 v62, v57, v48 :: v_dual_sub_f32 v48, v63, v61
	s_delay_alu instid0(VALU_DEP_1) | instskip(NEXT) | instid1(VALU_DEP_1)
	v_dual_add_f32 v60, v64, v62 :: v_dual_add_f32 v29, v29, v48
	v_dual_add_f32 v48, v66, v57 :: v_dual_sub_f32 v65, v61, v60
	v_mov_b32_e32 v63, v60
	s_delay_alu instid0(VALU_DEP_2) | instskip(NEXT) | instid1(VALU_DEP_3)
	v_sub_f32_e32 v59, v48, v66
	v_pk_add_f32 v[60:61], v[60:61], v[64:65] neg_lo:[0,1] neg_hi:[0,1]
	s_delay_alu instid0(VALU_DEP_2) | instskip(NEXT) | instid1(VALU_DEP_2)
	v_sub_f32_e32 v57, v57, v59
	v_pk_add_f32 v[60:61], v[60:61], v[62:63] neg_lo:[0,1] neg_hi:[0,1]
	s_delay_alu instid0(VALU_DEP_1) | instskip(NEXT) | instid1(VALU_DEP_1)
	v_add_f32_e32 v29, v29, v61
	v_add_f32_e32 v29, v60, v29
	v_cvt_f32_i32_e32 v60, v27
	s_delay_alu instid0(VALU_DEP_2) | instskip(NEXT) | instid1(VALU_DEP_1)
	v_add_f32_e32 v29, v65, v29
	v_mul_f32_e32 v29, v43, v29
	s_delay_alu instid0(VALU_DEP_1) | instskip(NEXT) | instid1(VALU_DEP_1)
	v_add_f32_e32 v43, v57, v29
	v_add_f32_e32 v57, v48, v43
	s_delay_alu instid0(VALU_DEP_1) | instskip(SKIP_1) | instid1(VALU_DEP_2)
	v_dual_sub_f32 v27, v57, v48 :: v_dual_mul_f32 v29, v57, v57
	v_ldexp_f32 v65, v57, 1
	v_dual_mul_f32 v61, v57, v29 :: v_dual_sub_f32 v27, v43, v27
	v_fmaak_f32 v59, s11, v29, 0x3ecc95a3
	s_delay_alu instid0(VALU_DEP_2) | instskip(NEXT) | instid1(VALU_DEP_2)
	v_ldexp_f32 v27, v27, 1
	v_fmaak_f32 v29, v29, v59, 0x3f2aaada
	s_delay_alu instid0(VALU_DEP_1) | instskip(NEXT) | instid1(VALU_DEP_1)
	v_pk_mul_f32 v[62:63], v[60:61], v[28:29]
	v_fma_f32 v64, 0x3f317218, v60, -v62
	v_mov_b32_e32 v66, v62
	s_delay_alu instid0(VALU_DEP_2) | instskip(NEXT) | instid1(VALU_DEP_1)
	v_fmac_f32_e32 v64, 0xb102e308, v60
	v_pk_add_f32 v[60:61], v[62:63], v[64:65]
	s_delay_alu instid0(VALU_DEP_1) | instskip(NEXT) | instid1(VALU_DEP_1)
	v_dual_sub_f32 v29, v61, v65 :: v_dual_mov_b32 v65, v60
	v_dual_mov_b32 v74, v61 :: v_dual_sub_f32 v29, v63, v29
	v_pk_add_f32 v[62:63], v[60:61], v[62:63] neg_lo:[0,1] neg_hi:[0,1]
	s_delay_alu instid0(VALU_DEP_2) | instskip(NEXT) | instid1(VALU_DEP_1)
	v_add_f32_e32 v67, v27, v29
	v_pk_add_f32 v[68:69], v[60:61], v[66:67]
	s_delay_alu instid0(VALU_DEP_1) | instskip(NEXT) | instid1(VALU_DEP_1)
	v_mov_b32_e32 v63, v69
	v_pk_add_f32 v[70:71], v[64:65], v[62:63]
	v_pk_add_f32 v[62:63], v[64:65], v[62:63] neg_lo:[0,1] neg_hi:[0,1]
	s_delay_alu instid0(VALU_DEP_2) | instskip(NEXT) | instid1(VALU_DEP_1)
	v_dual_mov_b32 v48, v71 :: v_dual_mov_b32 v63, v71
	v_pk_add_f32 v[72:73], v[48:49], v[60:61] neg_lo:[0,1] neg_hi:[0,1]
	v_dual_mov_b32 v70, v69 :: v_dual_mov_b32 v61, v60
	s_delay_alu instid0(VALU_DEP_2) | instskip(SKIP_1) | instid1(VALU_DEP_2)
	v_dual_mov_b32 v60, v67 :: v_dual_mov_b32 v75, v72
	v_mov_b32_e32 v27, v72
	v_pk_add_f32 v[66:67], v[70:71], v[74:75] neg_lo:[0,1] neg_hi:[0,1]
	s_delay_alu instid0(VALU_DEP_2) | instskip(SKIP_1) | instid1(VALU_DEP_3)
	v_pk_add_f32 v[64:65], v[68:69], v[26:27] neg_lo:[0,1] neg_hi:[0,1]
	v_mov_b32_e32 v64, v62
	v_pk_add_f32 v[60:61], v[60:61], v[66:67] neg_lo:[0,1] neg_hi:[0,1]
	s_delay_alu instid0(VALU_DEP_1) | instskip(NEXT) | instid1(VALU_DEP_1)
	v_pk_add_f32 v[64:65], v[64:65], v[60:61]
	v_mov_b32_e32 v66, v65
	s_delay_alu instid0(VALU_DEP_1) | instskip(NEXT) | instid1(VALU_DEP_1)
	v_pk_add_f32 v[66:67], v[64:65], v[66:67]
	v_pk_add_f32 v[68:69], v[48:49], v[66:67]
	s_delay_alu instid0(VALU_DEP_1) | instskip(NEXT) | instid1(VALU_DEP_1)
	v_dual_mov_b32 v61, v66 :: v_dual_mov_b32 v65, v68
	v_pk_add_f32 v[70:71], v[64:65], v[62:63] neg_lo:[0,1] neg_hi:[0,1]
	s_delay_alu instid0(VALU_DEP_1) | instskip(NEXT) | instid1(VALU_DEP_2)
	v_sub_f32_e32 v27, v64, v70
	v_pk_add_f32 v[60:61], v[60:61], v[70:71] neg_lo:[0,1] neg_hi:[0,1]
	s_delay_alu instid0(VALU_DEP_2) | instskip(NEXT) | instid1(VALU_DEP_1)
	v_sub_f32_e32 v27, v62, v27
	v_add_f32_e32 v27, v60, v27
	s_delay_alu instid0(VALU_DEP_1) | instskip(NEXT) | instid1(VALU_DEP_1)
	v_add_f32_e32 v27, v27, v61
	v_add_f32_e32 v27, v68, v27
	s_delay_alu instid0(VALU_DEP_1) | instskip(SKIP_1) | instid1(VALU_DEP_2)
	v_cndmask_b32_e32 v27, 0x7f800000, v27, vcc_lo
	v_cmp_ngt_f32_e32 vcc_lo, -1.0, v58
	v_cndmask_b32_e32 v27, 0x7fc00000, v27, vcc_lo
	v_cmp_neq_f32_e32 vcc_lo, -1.0, v58
	s_delay_alu instid0(VALU_DEP_2) | instskip(SKIP_1) | instid1(VALU_DEP_2)
	v_cndmask_b32_e32 v27, 0xff800000, v27, vcc_lo
	v_cmp_gt_f32_e64 vcc_lo, 0x33800000, |v58|
	v_cndmask_b32_e32 v27, v27, v58, vcc_lo
.LBB49_329:                             ;   in Loop: Header=BB49_4 Depth=1
	s_and_not1_saveexec_b32 s33, s33
	s_cbranch_execz .LBB49_335
; %bb.330:                              ;   in Loop: Header=BB49_4 Depth=1
	s_mov_b32 s34, exec_lo
                                        ; implicit-def: $vgpr27
	v_cmpx_nlt_f32_e64 |v38|, 1.0
	s_xor_b32 s34, exec_lo, s34
	s_cbranch_execz .LBB49_332
; %bb.331:                              ;   in Loop: Header=BB49_4 Depth=1
	v_mul_f32_e32 v27, v53, v54
	s_delay_alu instid0(VALU_DEP_1) | instskip(SKIP_1) | instid1(VALU_DEP_2)
	v_mul_f32_e32 v29, 0x4f800000, v27
	v_cmp_gt_f32_e32 vcc_lo, 0xf800000, v27
	v_cndmask_b32_e32 v27, v27, v29, vcc_lo
	s_delay_alu instid0(VALU_DEP_1) | instskip(SKIP_1) | instid1(TRANS32_DEP_1)
	v_sqrt_f32_e32 v29, v27
	v_nop
	v_dual_add_nc_u32 v43, -1, v29 :: v_dual_add_nc_u32 v48, 1, v29
	s_delay_alu instid0(VALU_DEP_1) | instskip(NEXT) | instid1(VALU_DEP_1)
	v_dual_fma_f32 v57, -v43, v29, v27 :: v_dual_fma_f32 v58, -v48, v29, v27
	v_cmp_ge_f32_e64 s9, 0, v57
	s_delay_alu instid0(VALU_DEP_1) | instskip(NEXT) | instid1(VALU_DEP_3)
	v_cndmask_b32_e64 v29, v29, v43, s9
	v_cmp_lt_f32_e64 s9, 0, v58
	s_delay_alu instid0(VALU_DEP_1) | instskip(NEXT) | instid1(VALU_DEP_1)
	v_cndmask_b32_e64 v29, v29, v48, s9
	v_mul_f32_e32 v43, 0x37800000, v29
	s_delay_alu instid0(VALU_DEP_1) | instskip(SKIP_1) | instid1(VALU_DEP_2)
	v_cndmask_b32_e32 v29, v29, v43, vcc_lo
	v_cmp_class_f32_e64 vcc_lo, v27, 0x260
	v_cndmask_b32_e32 v27, v29, v27, vcc_lo
	s_delay_alu instid0(VALU_DEP_1) | instskip(NEXT) | instid1(VALU_DEP_1)
	v_add_f32_e32 v58, v53, v27
	v_add_f32_e32 v61, 1.0, v58
	s_delay_alu instid0(VALU_DEP_1) | instskip(SKIP_2) | instid1(VALU_DEP_2)
	v_cvt_f64_f32_e32 v[62:63], v61
	v_frexp_mant_f32_e32 v29, v61
	v_add_f32_e32 v59, -1.0, v61
	v_cmp_gt_f32_e32 vcc_lo, 0x3f2aaaab, v29
	s_delay_alu instid0(VALU_DEP_2) | instskip(SKIP_1) | instid1(VALU_DEP_2)
	v_mov_b32_e32 v60, v59
	v_frexp_exp_i32_f64_e32 v27, v[62:63]
	v_pk_add_f32 v[62:63], v[58:59], v[60:61] neg_lo:[0,1] neg_hi:[0,1]
	s_delay_alu instid0(VALU_DEP_2) | instskip(SKIP_1) | instid1(VALU_DEP_2)
	v_subrev_co_ci_u32_e64 v27, null, 0, v27, vcc_lo
	v_cmp_neq_f32_e32 vcc_lo, 0x7f800000, v58
	v_sub_nc_u32_e32 v29, 0, v27
	s_delay_alu instid0(VALU_DEP_1) | instskip(NEXT) | instid1(VALU_DEP_1)
	v_ldexp_f32 v43, v61, v29
	v_dual_add_f32 v57, 1.0, v43 :: v_dual_add_f32 v65, -1.0, v43
	s_delay_alu instid0(VALU_DEP_1) | instskip(NEXT) | instid1(VALU_DEP_1)
	v_dual_add_f32 v48, 1.0, v63 :: v_dual_add_f32 v59, -1.0, v57
	v_add_f32_e32 v48, v62, v48
	s_delay_alu instid0(VALU_DEP_1) | instskip(NEXT) | instid1(VALU_DEP_3)
	v_ldexp_f32 v29, v48, v29
	v_sub_f32_e32 v48, v43, v59
	s_delay_alu instid0(VALU_DEP_1) | instskip(NEXT) | instid1(VALU_DEP_1)
	v_dual_add_f32 v48, v29, v48 :: v_dual_add_f32 v59, 1.0, v65
	v_dual_sub_f32 v43, v43, v59 :: v_dual_add_f32 v59, v57, v48
	s_delay_alu instid0(VALU_DEP_1) | instskip(NEXT) | instid1(VALU_DEP_1)
	v_dual_add_f32 v29, v29, v43 :: v_dual_sub_f32 v57, v59, v57
	v_sub_f32_e32 v48, v48, v57
	v_rcp_f32_e32 v43, v59
	s_delay_alu instid0(VALU_DEP_2)
	v_add_f32_e32 v61, v65, v29
	s_delay_alu instid0(TRANS32_DEP_1) | instid1(VALU_DEP_1)
	v_mul_f32_e32 v66, v61, v43
	s_delay_alu instid0(VALU_DEP_1) | instskip(NEXT) | instid1(VALU_DEP_1)
	v_dual_mul_f32 v62, v59, v66 :: v_dual_sub_f32 v57, v61, v65
	v_dual_fma_f32 v64, v66, v59, -v62 :: v_dual_sub_f32 v29, v29, v57
	s_delay_alu instid0(VALU_DEP_1) | instskip(NEXT) | instid1(VALU_DEP_1)
	v_fmac_f32_e32 v64, v66, v48
	v_add_f32_e32 v60, v62, v64
	s_delay_alu instid0(VALU_DEP_1) | instskip(NEXT) | instid1(VALU_DEP_1)
	v_dual_sub_f32 v63, v61, v60 :: v_dual_mov_b32 v65, v60
	v_pk_add_f32 v[60:61], v[60:61], v[62:63] neg_lo:[0,1] neg_hi:[0,1]
	s_delay_alu instid0(VALU_DEP_1) | instskip(NEXT) | instid1(VALU_DEP_1)
	v_pk_add_f32 v[60:61], v[60:61], v[64:65] neg_lo:[0,1] neg_hi:[0,1]
	v_add_f32_e32 v29, v29, v61
	s_delay_alu instid0(VALU_DEP_1) | instskip(NEXT) | instid1(VALU_DEP_1)
	v_add_f32_e32 v29, v60, v29
	v_add_f32_e32 v61, v63, v29
	s_delay_alu instid0(VALU_DEP_1) | instskip(NEXT) | instid1(VALU_DEP_1)
	v_mul_f32_e32 v57, v43, v61
	v_mul_f32_e32 v64, v59, v57
	s_delay_alu instid0(VALU_DEP_1) | instskip(NEXT) | instid1(VALU_DEP_1)
	v_fma_f32 v62, v57, v59, -v64
	v_dual_fmac_f32 v62, v57, v48 :: v_dual_sub_f32 v48, v63, v61
	s_delay_alu instid0(VALU_DEP_1) | instskip(NEXT) | instid1(VALU_DEP_1)
	v_dual_add_f32 v60, v64, v62 :: v_dual_add_f32 v29, v29, v48
	v_dual_add_f32 v48, v66, v57 :: v_dual_sub_f32 v65, v61, v60
	v_mov_b32_e32 v63, v60
	s_delay_alu instid0(VALU_DEP_2) | instskip(NEXT) | instid1(VALU_DEP_3)
	v_sub_f32_e32 v59, v48, v66
	v_pk_add_f32 v[60:61], v[60:61], v[64:65] neg_lo:[0,1] neg_hi:[0,1]
	s_delay_alu instid0(VALU_DEP_2) | instskip(NEXT) | instid1(VALU_DEP_2)
	v_sub_f32_e32 v57, v57, v59
	v_pk_add_f32 v[60:61], v[60:61], v[62:63] neg_lo:[0,1] neg_hi:[0,1]
	s_delay_alu instid0(VALU_DEP_1) | instskip(NEXT) | instid1(VALU_DEP_1)
	v_add_f32_e32 v29, v29, v61
	v_add_f32_e32 v29, v60, v29
	v_cvt_f32_i32_e32 v60, v27
	s_delay_alu instid0(VALU_DEP_2) | instskip(NEXT) | instid1(VALU_DEP_1)
	v_add_f32_e32 v29, v65, v29
	v_mul_f32_e32 v29, v43, v29
	s_delay_alu instid0(VALU_DEP_1) | instskip(NEXT) | instid1(VALU_DEP_1)
	v_add_f32_e32 v43, v57, v29
	v_add_f32_e32 v57, v48, v43
	s_delay_alu instid0(VALU_DEP_1) | instskip(SKIP_1) | instid1(VALU_DEP_2)
	v_dual_sub_f32 v27, v57, v48 :: v_dual_mul_f32 v29, v57, v57
	v_ldexp_f32 v65, v57, 1
	v_dual_mul_f32 v61, v57, v29 :: v_dual_sub_f32 v27, v43, v27
	v_fmaak_f32 v59, s11, v29, 0x3ecc95a3
	s_delay_alu instid0(VALU_DEP_2) | instskip(NEXT) | instid1(VALU_DEP_2)
	v_ldexp_f32 v27, v27, 1
	v_fmaak_f32 v29, v29, v59, 0x3f2aaada
	s_delay_alu instid0(VALU_DEP_1) | instskip(NEXT) | instid1(VALU_DEP_1)
	v_pk_mul_f32 v[62:63], v[60:61], v[28:29]
	v_fma_f32 v64, 0x3f317218, v60, -v62
	v_mov_b32_e32 v66, v62
	s_delay_alu instid0(VALU_DEP_2) | instskip(NEXT) | instid1(VALU_DEP_1)
	v_fmac_f32_e32 v64, 0xb102e308, v60
	v_pk_add_f32 v[60:61], v[62:63], v[64:65]
	s_delay_alu instid0(VALU_DEP_1) | instskip(NEXT) | instid1(VALU_DEP_1)
	v_dual_sub_f32 v29, v61, v65 :: v_dual_mov_b32 v65, v60
	v_dual_mov_b32 v74, v61 :: v_dual_sub_f32 v29, v63, v29
	v_pk_add_f32 v[62:63], v[60:61], v[62:63] neg_lo:[0,1] neg_hi:[0,1]
	s_delay_alu instid0(VALU_DEP_2) | instskip(NEXT) | instid1(VALU_DEP_1)
	v_add_f32_e32 v67, v27, v29
	v_pk_add_f32 v[68:69], v[60:61], v[66:67]
	s_delay_alu instid0(VALU_DEP_1) | instskip(NEXT) | instid1(VALU_DEP_1)
	v_mov_b32_e32 v63, v69
	v_pk_add_f32 v[70:71], v[64:65], v[62:63]
	v_pk_add_f32 v[62:63], v[64:65], v[62:63] neg_lo:[0,1] neg_hi:[0,1]
	s_delay_alu instid0(VALU_DEP_2) | instskip(NEXT) | instid1(VALU_DEP_1)
	v_dual_mov_b32 v48, v71 :: v_dual_mov_b32 v63, v71
	v_pk_add_f32 v[72:73], v[48:49], v[60:61] neg_lo:[0,1] neg_hi:[0,1]
	v_dual_mov_b32 v70, v69 :: v_dual_mov_b32 v61, v60
	s_delay_alu instid0(VALU_DEP_2) | instskip(SKIP_1) | instid1(VALU_DEP_2)
	v_dual_mov_b32 v60, v67 :: v_dual_mov_b32 v75, v72
	v_mov_b32_e32 v27, v72
	v_pk_add_f32 v[66:67], v[70:71], v[74:75] neg_lo:[0,1] neg_hi:[0,1]
	s_delay_alu instid0(VALU_DEP_2) | instskip(SKIP_1) | instid1(VALU_DEP_3)
	v_pk_add_f32 v[64:65], v[68:69], v[26:27] neg_lo:[0,1] neg_hi:[0,1]
	v_mov_b32_e32 v64, v62
	v_pk_add_f32 v[60:61], v[60:61], v[66:67] neg_lo:[0,1] neg_hi:[0,1]
	s_delay_alu instid0(VALU_DEP_1) | instskip(NEXT) | instid1(VALU_DEP_1)
	v_pk_add_f32 v[64:65], v[64:65], v[60:61]
	v_mov_b32_e32 v66, v65
	s_delay_alu instid0(VALU_DEP_1) | instskip(NEXT) | instid1(VALU_DEP_1)
	v_pk_add_f32 v[66:67], v[64:65], v[66:67]
	v_pk_add_f32 v[68:69], v[48:49], v[66:67]
	s_delay_alu instid0(VALU_DEP_1) | instskip(NEXT) | instid1(VALU_DEP_1)
	v_dual_mov_b32 v61, v66 :: v_dual_mov_b32 v65, v68
	v_pk_add_f32 v[70:71], v[64:65], v[62:63] neg_lo:[0,1] neg_hi:[0,1]
	s_delay_alu instid0(VALU_DEP_1) | instskip(NEXT) | instid1(VALU_DEP_2)
	v_sub_f32_e32 v27, v64, v70
	v_pk_add_f32 v[60:61], v[60:61], v[70:71] neg_lo:[0,1] neg_hi:[0,1]
	s_delay_alu instid0(VALU_DEP_2) | instskip(NEXT) | instid1(VALU_DEP_1)
	v_sub_f32_e32 v27, v62, v27
	v_add_f32_e32 v27, v60, v27
	s_delay_alu instid0(VALU_DEP_1) | instskip(NEXT) | instid1(VALU_DEP_1)
	v_add_f32_e32 v27, v27, v61
	v_add_f32_e32 v27, v68, v27
	s_delay_alu instid0(VALU_DEP_1) | instskip(SKIP_1) | instid1(VALU_DEP_2)
	v_cndmask_b32_e32 v27, 0x7f800000, v27, vcc_lo
	v_cmp_ngt_f32_e32 vcc_lo, -1.0, v58
	v_cndmask_b32_e32 v27, 0x7fc00000, v27, vcc_lo
	v_cmp_neq_f32_e32 vcc_lo, -1.0, v58
	s_delay_alu instid0(VALU_DEP_2) | instskip(SKIP_1) | instid1(VALU_DEP_2)
	v_cndmask_b32_e32 v27, 0xff800000, v27, vcc_lo
	v_cmp_gt_f32_e64 vcc_lo, 0x33800000, |v58|
	v_cndmask_b32_e32 v27, v27, v58, vcc_lo
.LBB49_332:                             ;   in Loop: Header=BB49_4 Depth=1
	s_and_not1_saveexec_b32 s34, s34
	s_cbranch_execz .LBB49_334
; %bb.333:                              ;   in Loop: Header=BB49_4 Depth=1
	v_sub_f32_e64 v27, 1.0, |v38|
	s_delay_alu instid0(VALU_DEP_1) | instskip(NEXT) | instid1(VALU_DEP_1)
	v_mul_f32_e32 v27, v27, v54
	v_mul_f32_e32 v29, 0x4f800000, v27
	v_cmp_gt_f32_e32 vcc_lo, 0xf800000, v27
	s_delay_alu instid0(VALU_DEP_2) | instskip(NEXT) | instid1(VALU_DEP_1)
	v_cndmask_b32_e32 v27, v27, v29, vcc_lo
	v_sqrt_f32_e32 v29, v27
	v_nop
	s_delay_alu instid0(TRANS32_DEP_1) | instskip(NEXT) | instid1(VALU_DEP_1)
	v_dual_add_nc_u32 v43, -1, v29 :: v_dual_add_nc_u32 v48, 1, v29
	v_dual_fma_f32 v57, -v43, v29, v27 :: v_dual_fma_f32 v58, -v48, v29, v27
	s_delay_alu instid0(VALU_DEP_1) | instskip(NEXT) | instid1(VALU_DEP_1)
	v_cmp_ge_f32_e64 s9, 0, v57
	v_cndmask_b32_e64 v29, v29, v43, s9
	s_delay_alu instid0(VALU_DEP_3) | instskip(NEXT) | instid1(VALU_DEP_1)
	v_cmp_lt_f32_e64 s9, 0, v58
	v_cndmask_b32_e64 v29, v29, v48, s9
	s_delay_alu instid0(VALU_DEP_1) | instskip(NEXT) | instid1(VALU_DEP_1)
	v_mul_f32_e32 v43, 0x37800000, v29
	v_cndmask_b32_e32 v29, v29, v43, vcc_lo
	v_cmp_class_f32_e64 vcc_lo, v27, 0x260
	v_and_b32_e32 v43, 0x7fffffff, v39
	s_delay_alu instid0(VALU_DEP_3) | instskip(NEXT) | instid1(VALU_DEP_1)
	v_cndmask_b32_e32 v27, v29, v27, vcc_lo
	v_div_scale_f32 v29, null, v27, v27, v43
	v_div_scale_f32 v43, vcc_lo, v43, v27, v43
	s_delay_alu instid0(VALU_DEP_2) | instskip(SKIP_1) | instid1(TRANS32_DEP_1)
	v_rcp_f32_e32 v48, v29
	v_nop
	v_fma_f32 v57, -v29, v48, 1.0
	s_delay_alu instid0(VALU_DEP_1) | instskip(NEXT) | instid1(VALU_DEP_1)
	v_fmac_f32_e32 v48, v57, v48
	v_mul_f32_e32 v57, v43, v48
	s_delay_alu instid0(VALU_DEP_1) | instskip(NEXT) | instid1(VALU_DEP_1)
	v_fma_f32 v58, -v29, v57, v43
	v_fmac_f32_e32 v57, v58, v48
	s_delay_alu instid0(VALU_DEP_1) | instskip(NEXT) | instid1(VALU_DEP_1)
	v_fma_f32 v29, -v29, v57, v43
	v_div_fmas_f32 v29, v29, v48, v57
	s_delay_alu instid0(VALU_DEP_1)
	v_div_fixup_f32 v27, v29, v27, |v39|
.LBB49_334:                             ;   in Loop: Header=BB49_4 Depth=1
	s_or_b32 exec_lo, exec_lo, s34
.LBB49_335:                             ;   in Loop: Header=BB49_4 Depth=1
	s_delay_alu instid0(SALU_CYCLE_1)
	s_or_b32 exec_lo, exec_lo, s33
.LBB49_336:                             ;   in Loop: Header=BB49_4 Depth=1
	s_and_not1_saveexec_b32 s31, s31
	s_cbranch_execz .LBB49_338
; %bb.337:                              ;   in Loop: Header=BB49_4 Depth=1
	v_mul_f32_e64 v27, 0x4f800000, |v39|
	v_cmp_gt_f32_e64 vcc_lo, 0xf800000, |v39|
	s_delay_alu instid0(VALU_DEP_1) | instskip(NEXT) | instid1(VALU_DEP_1)
	v_cndmask_b32_e64 v27, |v39|, v27, vcc_lo
	v_sqrt_f32_e32 v29, v27
	v_nop
	s_delay_alu instid0(TRANS32_DEP_1) | instskip(NEXT) | instid1(VALU_DEP_1)
	v_dual_add_nc_u32 v43, -1, v29 :: v_dual_add_nc_u32 v48, 1, v29
	v_dual_fma_f32 v57, -v43, v29, v27 :: v_dual_fma_f32 v58, -v48, v29, v27
	s_delay_alu instid0(VALU_DEP_1) | instskip(NEXT) | instid1(VALU_DEP_1)
	v_cmp_ge_f32_e64 s9, 0, v57
	v_cndmask_b32_e64 v29, v29, v43, s9
	s_delay_alu instid0(VALU_DEP_3) | instskip(NEXT) | instid1(VALU_DEP_1)
	v_cmp_lt_f32_e64 s9, 0, v58
	v_cndmask_b32_e64 v29, v29, v48, s9
	s_delay_alu instid0(VALU_DEP_1) | instskip(NEXT) | instid1(VALU_DEP_1)
	v_mul_f32_e32 v43, 0x37800000, v29
	v_cndmask_b32_e32 v29, v29, v43, vcc_lo
	v_cmp_class_f32_e64 vcc_lo, v27, 0x260
	s_delay_alu instid0(VALU_DEP_2)
	v_cndmask_b32_e32 v27, v29, v27, vcc_lo
.LBB49_338:                             ;   in Loop: Header=BB49_4 Depth=1
	s_or_b32 exec_lo, exec_lo, s31
.LBB49_339:                             ;   in Loop: Header=BB49_4 Depth=1
	s_delay_alu instid0(SALU_CYCLE_1)
	s_or_b32 exec_lo, exec_lo, s10
	v_and_b32_e32 v48, 0x7fffffff, v38
	s_mov_b32 s31, exec_lo
                                        ; implicit-def: $sgpr9
                                        ; implicit-def: $vgpr29
	v_cmpx_ngt_f32_e64 0x21000000, |v38|
	s_xor_b32 s31, exec_lo, s31
	s_cbranch_execz .LBB49_363
; %bb.340:                              ;   in Loop: Header=BB49_4 Depth=1
	v_div_scale_f32 v29, null, v42, v42, v48
	s_mov_b32 s9, 0
	s_mov_b32 s33, exec_lo
	v_rcp_f32_e32 v43, v29
	v_nop
	s_delay_alu instid0(TRANS32_DEP_1) | instskip(NEXT) | instid1(VALU_DEP_1)
	v_fma_f32 v57, -v29, v43, 1.0
	v_fmac_f32_e32 v43, v57, v43
	v_div_scale_f32 v57, vcc_lo, v48, v42, v48
	s_delay_alu instid0(VALU_DEP_1) | instskip(NEXT) | instid1(VALU_DEP_1)
	v_mul_f32_e32 v58, v57, v43
	v_fma_f32 v59, -v29, v58, v57
	s_delay_alu instid0(VALU_DEP_1) | instskip(NEXT) | instid1(VALU_DEP_1)
	v_fmac_f32_e32 v58, v59, v43
	v_fma_f32 v29, -v29, v58, v57
	s_delay_alu instid0(VALU_DEP_1) | instskip(NEXT) | instid1(VALU_DEP_1)
	v_div_fmas_f32 v29, v29, v43, v58
	v_div_fixup_f32 v29, v29, v42, |v38|
	s_delay_alu instid0(VALU_DEP_1)
	v_cmpx_lt_f32_e32 0x3f244674, v29
	s_cbranch_execz .LBB49_362
; %bb.341:                              ;   in Loop: Header=BB49_4 Depth=1
	v_cmp_neq_f32_e64 s9, |v38|, 1.0
	v_cmp_ngt_f32_e64 s10, 0x30800000, |v39|
	s_or_b32 s9, s10, s9
	s_delay_alu instid0(SALU_CYCLE_1) | instskip(NEXT) | instid1(SALU_CYCLE_1)
	s_and_saveexec_b32 s10, s9
	s_xor_b32 s10, exec_lo, s10
	s_cbranch_execz .LBB49_359
; %bb.342:                              ;   in Loop: Header=BB49_4 Depth=1
	v_mul_f32_e64 v43, 0x34000000, |v53|
	s_mov_b32 s34, exec_lo
	s_delay_alu instid0(VALU_DEP_1)
	v_cmpx_ge_f32_e64 |v39|, v43
	s_xor_b32 s34, exec_lo, s34
	s_cbranch_execz .LBB49_352
; %bb.343:                              ;   in Loop: Header=BB49_4 Depth=1
	v_mov_b32_e32 v43, v55
	s_mov_b32 s9, exec_lo
	v_cmpx_neq_f32_e32 0, v54
	s_cbranch_execz .LBB49_345
; %bb.344:                              ;   in Loop: Header=BB49_4 Depth=1
	v_dual_mul_f32 v43, v39, v39 :: v_dual_add_f32 v54, v54, v56
	s_delay_alu instid0(VALU_DEP_1) | instskip(NEXT) | instid1(VALU_DEP_1)
	v_div_scale_f32 v56, null, v54, v54, v43
	v_rcp_f32_e32 v57, v56
	v_nop
	s_delay_alu instid0(TRANS32_DEP_1) | instskip(NEXT) | instid1(VALU_DEP_1)
	v_fma_f32 v58, -v56, v57, 1.0
	v_fmac_f32_e32 v57, v58, v57
	v_div_scale_f32 v58, vcc_lo, v43, v54, v43
	s_delay_alu instid0(VALU_DEP_1) | instskip(NEXT) | instid1(VALU_DEP_1)
	v_mul_f32_e32 v59, v58, v57
	v_fma_f32 v60, -v56, v59, v58
	s_delay_alu instid0(VALU_DEP_1) | instskip(NEXT) | instid1(VALU_DEP_1)
	v_fmac_f32_e32 v59, v60, v57
	v_fma_f32 v56, -v56, v59, v58
	s_delay_alu instid0(VALU_DEP_1) | instskip(NEXT) | instid1(VALU_DEP_1)
	v_div_fmas_f32 v56, v56, v57, v59
	v_div_fixup_f32 v43, v56, v54, v43
.LBB49_345:                             ;   in Loop: Header=BB49_4 Depth=1
	s_or_b32 exec_lo, exec_lo, s9
	s_delay_alu instid0(SALU_CYCLE_1)
	s_mov_b32 s9, exec_lo
	v_cmpx_ngt_f32_e32 0, v53
	s_xor_b32 s9, exec_lo, s9
	s_cbranch_execz .LBB49_349
; %bb.346:                              ;   in Loop: Header=BB49_4 Depth=1
	s_mov_b32 s35, exec_lo
	v_cmpx_neq_f32_e32 0, v53
	s_cbranch_execz .LBB49_348
; %bb.347:                              ;   in Loop: Header=BB49_4 Depth=1
	v_dual_mul_f32 v39, v39, v39 :: v_dual_add_f32 v49, v53, v49
	s_delay_alu instid0(VALU_DEP_1) | instskip(NEXT) | instid1(VALU_DEP_1)
	v_div_scale_f32 v53, null, v49, v49, v39
	v_rcp_f32_e32 v54, v53
	v_nop
	s_delay_alu instid0(TRANS32_DEP_1) | instskip(NEXT) | instid1(VALU_DEP_1)
	v_fma_f32 v55, -v53, v54, 1.0
	v_fmac_f32_e32 v54, v55, v54
	v_div_scale_f32 v55, vcc_lo, v39, v49, v39
	s_delay_alu instid0(VALU_DEP_1) | instskip(NEXT) | instid1(VALU_DEP_1)
	v_mul_f32_e32 v56, v55, v54
	v_fma_f32 v57, -v53, v56, v55
	s_delay_alu instid0(VALU_DEP_1) | instskip(NEXT) | instid1(VALU_DEP_1)
	v_fmac_f32_e32 v56, v57, v54
	v_fma_f32 v53, -v53, v56, v55
	s_delay_alu instid0(VALU_DEP_1) | instskip(NEXT) | instid1(VALU_DEP_1)
	v_div_fmas_f32 v53, v53, v54, v56
	v_div_fixup_f32 v55, v53, v49, v39
.LBB49_348:                             ;   in Loop: Header=BB49_4 Depth=1
	s_or_b32 exec_lo, exec_lo, s35
                                        ; implicit-def: $vgpr49
                                        ; implicit-def: $vgpr53
.LBB49_349:                             ;   in Loop: Header=BB49_4 Depth=1
	s_and_not1_saveexec_b32 s9, s9
; %bb.350:                              ;   in Loop: Header=BB49_4 Depth=1
	v_sub_f32_e32 v55, v49, v53
; %bb.351:                              ;   in Loop: Header=BB49_4 Depth=1
	s_or_b32 exec_lo, exec_lo, s9
	v_mul_f32_e32 v39, 0.5, v43
	s_delay_alu instid0(VALU_DEP_2) | instskip(SKIP_1) | instid1(VALU_DEP_1)
	v_mul_f32_e32 v43, 0.5, v55
	v_and_b32_e32 v38, 0x7fffffff, v38
                                        ; implicit-def: $vgpr54
	v_pk_add_f32 v[38:39], v[38:39], v[42:43]
	s_delay_alu instid0(VALU_DEP_1) | instskip(NEXT) | instid1(VALU_DEP_1)
	v_mul_f32_e32 v38, v38, v39
	v_mul_f32_e32 v39, 0x4f800000, v38
	v_cmp_gt_f32_e32 vcc_lo, 0xf800000, v38
	s_delay_alu instid0(VALU_DEP_2) | instskip(NEXT) | instid1(VALU_DEP_1)
	v_cndmask_b32_e32 v38, v38, v39, vcc_lo
	v_sqrt_f32_e32 v39, v38
	v_nop
	s_delay_alu instid0(TRANS32_DEP_1) | instskip(NEXT) | instid1(VALU_DEP_1)
	v_dual_add_nc_u32 v42, -1, v39 :: v_dual_add_nc_u32 v43, 1, v39
	v_dual_fma_f32 v49, -v42, v39, v38 :: v_dual_fma_f32 v53, -v43, v39, v38
	s_delay_alu instid0(VALU_DEP_1) | instskip(NEXT) | instid1(VALU_DEP_1)
	v_cmp_ge_f32_e64 s9, 0, v49
	v_cndmask_b32_e64 v39, v39, v42, s9
	s_delay_alu instid0(VALU_DEP_3) | instskip(NEXT) | instid1(VALU_DEP_1)
	v_cmp_lt_f32_e64 s9, 0, v53
                                        ; implicit-def: $vgpr53
	v_cndmask_b32_e64 v39, v39, v43, s9
	s_delay_alu instid0(VALU_DEP_1) | instskip(NEXT) | instid1(VALU_DEP_1)
	v_mul_f32_e32 v42, 0x37800000, v39
	v_cndmask_b32_e32 v39, v39, v42, vcc_lo
	v_cmp_class_f32_e64 vcc_lo, v38, 0x260
	s_delay_alu instid0(VALU_DEP_2)
	v_cndmask_b32_e32 v49, v39, v38, vcc_lo
                                        ; implicit-def: $vgpr39
.LBB49_352:                             ;   in Loop: Header=BB49_4 Depth=1
	s_and_not1_saveexec_b32 s34, s34
	s_cbranch_execz .LBB49_358
; %bb.353:                              ;   in Loop: Header=BB49_4 Depth=1
	s_mov_b32 s35, exec_lo
	v_cmpx_ngt_f32_e64 |v38|, 1.0
	s_xor_b32 s35, exec_lo, s35
	s_cbranch_execz .LBB49_355
; %bb.354:                              ;   in Loop: Header=BB49_4 Depth=1
	v_sub_f32_e64 v38, 1.0, |v38|
	s_delay_alu instid0(VALU_DEP_1) | instskip(NEXT) | instid1(VALU_DEP_1)
	v_mul_f32_e32 v38, v38, v54
                                        ; implicit-def: $vgpr54
	v_mul_f32_e32 v39, 0x4f800000, v38
	v_cmp_gt_f32_e32 vcc_lo, 0xf800000, v38
	s_delay_alu instid0(VALU_DEP_2) | instskip(NEXT) | instid1(VALU_DEP_1)
	v_cndmask_b32_e32 v38, v38, v39, vcc_lo
	v_sqrt_f32_e32 v39, v38
	v_nop
	s_delay_alu instid0(TRANS32_DEP_1) | instskip(NEXT) | instid1(VALU_DEP_1)
	v_dual_add_nc_u32 v42, -1, v39 :: v_dual_add_nc_u32 v43, 1, v39
	v_dual_fma_f32 v49, -v42, v39, v38 :: v_dual_fma_f32 v53, -v43, v39, v38
	s_delay_alu instid0(VALU_DEP_1) | instskip(NEXT) | instid1(VALU_DEP_1)
	v_cmp_ge_f32_e64 s9, 0, v49
	v_cndmask_b32_e64 v39, v39, v42, s9
	s_delay_alu instid0(VALU_DEP_3) | instskip(NEXT) | instid1(VALU_DEP_1)
	v_cmp_lt_f32_e64 s9, 0, v53
                                        ; implicit-def: $vgpr53
	v_cndmask_b32_e64 v39, v39, v43, s9
	s_delay_alu instid0(VALU_DEP_1) | instskip(NEXT) | instid1(VALU_DEP_1)
	v_mul_f32_e32 v42, 0x37800000, v39
	v_cndmask_b32_e32 v39, v39, v42, vcc_lo
	v_cmp_class_f32_e64 vcc_lo, v38, 0x260
	s_delay_alu instid0(VALU_DEP_2)
	v_cndmask_b32_e32 v49, v39, v38, vcc_lo
                                        ; implicit-def: $vgpr39
.LBB49_355:                             ;   in Loop: Header=BB49_4 Depth=1
	s_and_not1_saveexec_b32 s35, s35
	s_cbranch_execz .LBB49_357
; %bb.356:                              ;   in Loop: Header=BB49_4 Depth=1
	v_mul_f32_e32 v42, v54, v53
	v_mul_f32_e64 v39, 0x57800000, |v39|
	s_delay_alu instid0(VALU_DEP_2) | instskip(SKIP_1) | instid1(VALU_DEP_3)
	v_mul_f32_e32 v43, 0x4f800000, v42
	v_cmp_gt_f32_e32 vcc_lo, 0xf800000, v42
	v_mul_f32_e64 v39, |v38|, v39
	s_delay_alu instid0(VALU_DEP_3) | instskip(NEXT) | instid1(VALU_DEP_1)
	v_cndmask_b32_e32 v42, v42, v43, vcc_lo
	v_sqrt_f32_e32 v43, v42
	v_nop
	s_delay_alu instid0(TRANS32_DEP_1) | instskip(NEXT) | instid1(VALU_DEP_1)
	v_dual_add_nc_u32 v48, -1, v43 :: v_dual_add_nc_u32 v49, 1, v43
	v_dual_fma_f32 v53, -v48, v43, v42 :: v_dual_fma_f32 v54, -v49, v43, v42
	s_delay_alu instid0(VALU_DEP_1) | instskip(NEXT) | instid1(VALU_DEP_1)
	v_cmp_ge_f32_e64 s9, 0, v53
	v_cndmask_b32_e64 v43, v43, v48, s9
	s_delay_alu instid0(VALU_DEP_3) | instskip(NEXT) | instid1(VALU_DEP_1)
	v_cmp_lt_f32_e64 s9, 0, v54
	v_cndmask_b32_e64 v43, v43, v49, s9
	s_delay_alu instid0(VALU_DEP_1) | instskip(NEXT) | instid1(VALU_DEP_1)
	v_mul_f32_e32 v48, 0x37800000, v43
	v_cndmask_b32_e32 v43, v43, v48, vcc_lo
	v_cmp_class_f32_e64 vcc_lo, v42, 0x260
	s_delay_alu instid0(VALU_DEP_2) | instskip(NEXT) | instid1(VALU_DEP_1)
	v_cndmask_b32_e32 v42, v43, v42, vcc_lo
	v_div_scale_f32 v43, null, v42, v42, v39
	v_div_scale_f32 v53, vcc_lo, v39, v42, v39
	s_delay_alu instid0(VALU_DEP_2) | instskip(SKIP_1) | instid1(TRANS32_DEP_1)
	v_rcp_f32_e32 v48, v43
	v_nop
	v_fma_f32 v49, -v43, v48, 1.0
	s_delay_alu instid0(VALU_DEP_1) | instskip(NEXT) | instid1(VALU_DEP_1)
	v_fmac_f32_e32 v48, v49, v48
	v_mul_f32_e32 v49, v53, v48
	s_delay_alu instid0(VALU_DEP_1) | instskip(NEXT) | instid1(VALU_DEP_1)
	v_fma_f32 v54, -v43, v49, v53
	v_fmac_f32_e32 v49, v54, v48
	s_delay_alu instid0(VALU_DEP_1) | instskip(NEXT) | instid1(VALU_DEP_1)
	v_fma_f32 v43, -v43, v49, v53
	v_div_fmas_f32 v43, v43, v48, v49
	v_mul_f32_e64 v48, 0x57800000, |v38|
	s_delay_alu instid0(VALU_DEP_2)
	v_div_fixup_f32 v49, v43, v42, v39
.LBB49_357:                             ;   in Loop: Header=BB49_4 Depth=1
	s_or_b32 exec_lo, exec_lo, s35
.LBB49_358:                             ;   in Loop: Header=BB49_4 Depth=1
	s_delay_alu instid0(SALU_CYCLE_1)
	s_or_b32 exec_lo, exec_lo, s34
                                        ; implicit-def: $vgpr39
                                        ; implicit-def: $vgpr42
.LBB49_359:                             ;   in Loop: Header=BB49_4 Depth=1
	s_and_not1_saveexec_b32 s34, s10
	s_cbranch_execz .LBB49_361
; %bb.360:                              ;   in Loop: Header=BB49_4 Depth=1
	v_add_f32_e32 v38, 1.0, v42
	v_mul_f32_e64 v42, 0x4f800000, |v39|
	v_cmp_gt_f32_e64 vcc_lo, 0xf800000, |v39|
	s_delay_alu instid0(VALU_DEP_1) | instskip(NEXT) | instid1(VALU_DEP_1)
	v_cndmask_b32_e64 v39, |v39|, v42, vcc_lo
	v_sqrt_f32_e32 v42, v39
	v_nop
	s_delay_alu instid0(TRANS32_DEP_1) | instskip(SKIP_2) | instid1(VALU_DEP_2)
	v_add_nc_u32_e32 v48, -1, v42
	v_mul_f32_e32 v38, 0.5, v38
	v_add_nc_u32_e32 v53, 1, v42
	v_mul_f32_e32 v43, 0x4f800000, v38
	v_cmp_gt_f32_e64 s9, 0xf800000, v38
	s_delay_alu instid0(VALU_DEP_1) | instskip(NEXT) | instid1(VALU_DEP_1)
	v_cndmask_b32_e64 v38, v38, v43, s9
	v_sqrt_f32_e32 v43, v38
	v_nop
	s_delay_alu instid0(TRANS32_DEP_1) | instskip(SKIP_1) | instid1(VALU_DEP_2)
	v_dual_fma_f32 v54, -v48, v42, v39 :: v_dual_add_nc_u32 v55, 1, v43
	v_add_nc_u32_e32 v49, -1, v43
	v_cmp_ge_f32_e64 s10, 0, v54
	v_fma_f32 v57, -v53, v42, v39
	s_delay_alu instid0(VALU_DEP_2) | instskip(SKIP_1) | instid1(VALU_DEP_2)
	v_dual_fma_f32 v56, -v49, v43, v38 :: v_dual_cndmask_b32 v42, v42, v48, s10
	v_fma_f32 v48, -v55, v43, v38
	v_cmp_ge_f32_e64 s10, 0, v56
	s_delay_alu instid0(VALU_DEP_1) | instskip(SKIP_1) | instid1(VALU_DEP_1)
	v_cndmask_b32_e64 v43, v43, v49, s10
	v_cmp_lt_f32_e64 s10, 0, v57
	v_cndmask_b32_e64 v42, v42, v53, s10
	v_cmp_lt_f32_e64 s10, 0, v48
	s_delay_alu instid0(VALU_DEP_2) | instskip(NEXT) | instid1(VALU_DEP_1)
	v_mul_f32_e32 v48, 0x37800000, v42
	v_cndmask_b32_e32 v42, v42, v48, vcc_lo
	v_cmp_class_f32_e64 vcc_lo, v39, 0x260
	s_delay_alu instid0(VALU_DEP_2) | instskip(SKIP_2) | instid1(VALU_DEP_2)
	v_dual_mov_b32 v48, 1.0 :: v_dual_cndmask_b32 v39, v42, v39
	v_cndmask_b32_e64 v43, v43, v55, s10
	v_cmp_class_f32_e64 vcc_lo, v38, 0x260
	v_mul_f32_e32 v49, 0x37800000, v43
	s_delay_alu instid0(VALU_DEP_1) | instskip(NEXT) | instid1(VALU_DEP_1)
	v_cndmask_b32_e64 v43, v43, v49, s9
	v_cndmask_b32_e32 v38, v43, v38, vcc_lo
	s_delay_alu instid0(VALU_DEP_1)
	v_mul_f32_e32 v49, v39, v38
.LBB49_361:                             ;   in Loop: Header=BB49_4 Depth=1
	s_or_b32 exec_lo, exec_lo, s34
	s_delay_alu instid0(SALU_CYCLE_1)
	s_mov_b32 s9, exec_lo
.LBB49_362:                             ;   in Loop: Header=BB49_4 Depth=1
	s_or_b32 exec_lo, exec_lo, s33
                                        ; implicit-def: $vgpr42
.LBB49_363:                             ;   in Loop: Header=BB49_4 Depth=1
	s_and_not1_saveexec_b32 s10, s31
; %bb.364:                              ;   in Loop: Header=BB49_4 Depth=1
	v_mov_b32_e32 v49, v42
	s_or_b32 s9, s9, exec_lo
                                        ; implicit-def: $vgpr29
	s_delay_alu instid0(VALU_DEP_1)
	v_pk_mul_f32 v[48:49], v[48:49], s[22:23] op_sel_hi:[1,0]
; %bb.365:                              ;   in Loop: Header=BB49_4 Depth=1
	s_or_b32 exec_lo, exec_lo, s10
	s_xor_b32 s9, s9, -1
                                        ; implicit-def: $vgpr42
	s_delay_alu instid0(SALU_CYCLE_1) | instskip(NEXT) | instid1(SALU_CYCLE_1)
	s_and_saveexec_b32 s10, s9
	s_xor_b32 s10, exec_lo, s10
	s_cbranch_execz .LBB49_371
; %bb.366:                              ;   in Loop: Header=BB49_4 Depth=1
	v_fma_f32 v39, |v29|, -0.5, 0.5
	v_mul_f32_e32 v38, v29, v29
                                        ; implicit-def: $vgpr42
	s_and_saveexec_b32 s9, s8
	s_delay_alu instid0(SALU_CYCLE_1)
	s_xor_b32 s9, exec_lo, s9
	s_cbranch_execz .LBB49_368
; %bb.367:                              ;   in Loop: Header=BB49_4 Depth=1
	v_cmp_gt_f32_e64 vcc_lo, |v29|, 0.5
	v_cndmask_b32_e32 v38, v38, v39, vcc_lo
	s_delay_alu instid0(VALU_DEP_1) | instskip(SKIP_1) | instid1(VALU_DEP_1)
	v_sqrt_f32_e32 v42, v38
	v_fmaak_f32 v39, s23, v38, 0x3c5fc5da
	v_fmaak_f32 v39, v38, v39, 0x3d034c3c
	s_delay_alu instid0(VALU_DEP_1) | instskip(NEXT) | instid1(VALU_DEP_1)
	v_fmaak_f32 v39, v38, v39, 0x3d3641b1
	v_fmaak_f32 v39, v38, v39, 0x3d999bc8
	s_delay_alu instid0(VALU_DEP_1) | instskip(NEXT) | instid1(VALU_DEP_1)
	v_fmaak_f32 v39, v38, v39, 0x3e2aaaac
	v_mul_f32_e32 v38, v38, v39
                                        ; implicit-def: $vgpr39
	s_delay_alu instid0(VALU_DEP_1) | instskip(NEXT) | instid1(VALU_DEP_1)
	v_dual_fmac_f32 v42, v42, v38 :: v_dual_fmac_f32 v29, v29, v38
	v_dual_add_f32 v38, v42, v42 :: v_dual_sub_f32 v29, 0x3fc90fdb, v29
	s_delay_alu instid0(VALU_DEP_1)
	v_cndmask_b32_e32 v42, v29, v38, vcc_lo
                                        ; implicit-def: $vgpr29
                                        ; implicit-def: $vgpr38
.LBB49_368:                             ;   in Loop: Header=BB49_4 Depth=1
	s_and_not1_saveexec_b32 s31, s9
	s_cbranch_execz .LBB49_370
; %bb.369:                              ;   in Loop: Header=BB49_4 Depth=1
	v_cmp_gt_f32_e64 vcc_lo, |v29|, 0.5
	v_cmp_lt_f32_e64 s9, 0, v29
	v_cndmask_b32_e32 v38, v38, v39, vcc_lo
	s_delay_alu instid0(VALU_DEP_1) | instskip(SKIP_1) | instid1(VALU_DEP_1)
	v_sqrt_f32_e32 v42, v38
	v_fmaak_f32 v39, s23, v38, 0x3c5fc5da
	v_fmaak_f32 v39, v38, v39, 0x3d034c3c
	s_delay_alu instid0(VALU_DEP_1) | instskip(NEXT) | instid1(VALU_DEP_1)
	v_fmaak_f32 v39, v38, v39, 0x3d3641b1
	v_fmaak_f32 v39, v38, v39, 0x3d999bc8
	s_delay_alu instid0(VALU_DEP_1) | instskip(NEXT) | instid1(VALU_DEP_1)
	v_fmaak_f32 v39, v38, v39, 0x3e2aaaac
	v_mul_f32_e32 v38, v38, v39
	s_delay_alu instid0(VALU_DEP_1) | instskip(NEXT) | instid1(VALU_DEP_1)
	v_dual_fmac_f32 v42, v42, v38 :: v_dual_fma_f32 v38, -v29, v38, -v29
	v_add_f32_e32 v39, v42, v42
	s_delay_alu instid0(VALU_DEP_2) | instskip(NEXT) | instid1(VALU_DEP_2)
	v_sub_f32_e32 v38, 0x3fc90fdb, v38
	v_sub_f32_e32 v42, 0x40490fdb, v39
	s_delay_alu instid0(VALU_DEP_1) | instskip(NEXT) | instid1(VALU_DEP_1)
	v_cndmask_b32_e64 v29, v39, v42, s9
	v_cndmask_b32_e32 v42, v38, v29, vcc_lo
.LBB49_370:                             ;   in Loop: Header=BB49_4 Depth=1
	s_or_b32 exec_lo, exec_lo, s31
                                        ; implicit-def: $vgpr48
.LBB49_371:                             ;   in Loop: Header=BB49_4 Depth=1
	s_and_not1_saveexec_b32 s9, s10
	s_cbranch_execz .LBB49_377
; %bb.372:                              ;   in Loop: Header=BB49_4 Depth=1
	v_max_num_f32_e64 v29, |v49|, |v49|
	v_max_num_f32_e32 v38, v48, v48
	v_cmp_gt_f32_e64 vcc_lo, |v49|, v48
	v_cmp_class_f32_e64 s10, v49, 0x204
	s_delay_alu instid0(VALU_DEP_3) | instskip(NEXT) | instid1(VALU_DEP_1)
	v_dual_max_num_f32 v39, v38, v29 :: v_dual_min_num_f32 v29, v38, v29
	v_frexp_mant_f32_e32 v42, v39
	v_frexp_exp_i32_f32_e32 v38, v39
	s_delay_alu instid0(VALU_DEP_2)
	v_rcp_f32_e32 v39, v42
	v_nop
	v_frexp_exp_i32_f32_e32 v42, v29
	v_frexp_mant_f32_e32 v29, v29
	s_delay_alu instid0(TRANS32_DEP_1) | instid1(VALU_DEP_1)
	v_dual_mul_f32 v29, v29, v39 :: v_dual_sub_nc_u32 v38, v42, v38
                                        ; implicit-def: $vgpr42
	s_delay_alu instid0(VALU_DEP_1) | instskip(NEXT) | instid1(VALU_DEP_1)
	v_ldexp_f32 v29, v29, v38
	v_mul_f32_e32 v38, v29, v29
	s_delay_alu instid0(VALU_DEP_1) | instskip(NEXT) | instid1(VALU_DEP_1)
	v_fmaak_f32 v39, s26, v38, 0xbc7a590c
	v_fmaak_f32 v39, v38, v39, 0x3d29fb3f
	s_delay_alu instid0(VALU_DEP_1) | instskip(NEXT) | instid1(VALU_DEP_1)
	v_fmaak_f32 v39, v38, v39, 0xbd97d4d7
	v_fmaak_f32 v39, v38, v39, 0x3dd931b2
	;; [unrolled: 3-line block ×3, first 2 shown]
	s_delay_alu instid0(VALU_DEP_1) | instskip(NEXT) | instid1(VALU_DEP_1)
	v_fmaak_f32 v39, v38, v39, 0xbeaaaa62
	v_mul_f32_e32 v38, v38, v39
	s_delay_alu instid0(VALU_DEP_1) | instskip(NEXT) | instid1(VALU_DEP_1)
	v_fmac_f32_e32 v29, v29, v38
	v_sub_f32_e32 v38, 0x3fc90fdb, v29
	s_delay_alu instid0(VALU_DEP_1) | instskip(SKIP_1) | instid1(SALU_CYCLE_1)
	v_cndmask_b32_e32 v29, v29, v38, vcc_lo
	s_and_saveexec_b32 s31, s8
	s_xor_b32 s31, exec_lo, s31
	s_cbranch_execz .LBB49_374
; %bb.373:                              ;   in Loop: Header=BB49_4 Depth=1
	v_cmp_neq_f32_e64 s8, 0, v49
	v_cmp_eq_f32_e32 vcc_lo, 0x7f800000, v48
	s_delay_alu instid0(VALU_DEP_2) | instskip(SKIP_2) | instid1(VALU_DEP_2)
	v_cndmask_b32_e64 v29, 0, v29, s8
	s_and_b32 s8, vcc_lo, s10
	v_cmp_o_f32_e32 vcc_lo, v49, v49
	v_cndmask_b32_e64 v29, v29, 0x3f490fdb, s8
	s_delay_alu instid0(VALU_DEP_1) | instskip(NEXT) | instid1(VALU_DEP_1)
	v_cndmask_b32_e32 v29, 0x7fc00000, v29, vcc_lo
	v_bfi_b32 v42, 0x7fffffff, v29, v49
                                        ; implicit-def: $vgpr29
                                        ; implicit-def: $vgpr48
.LBB49_374:                             ;   in Loop: Header=BB49_4 Depth=1
	s_and_not1_saveexec_b32 s31, s31
	s_cbranch_execz .LBB49_376
; %bb.375:                              ;   in Loop: Header=BB49_4 Depth=1
	v_sub_f32_e32 v38, 0x40490fdb, v29
	v_cmp_lt_f32_e32 vcc_lo, 0, v48
	v_cmp_neq_f32_e64 s8, 0, v49
	s_delay_alu instid0(VALU_DEP_3) | instskip(SKIP_1) | instid1(VALU_DEP_2)
	v_cndmask_b32_e32 v29, v29, v38, vcc_lo
	v_cmp_eq_f32_e32 vcc_lo, 0x7f800000, v48
	v_cndmask_b32_e64 v29, 0x40490fdb, v29, s8
	s_and_b32 s8, vcc_lo, s10
	v_cmp_o_f32_e32 vcc_lo, v49, v49
	s_delay_alu instid0(VALU_DEP_2) | instskip(NEXT) | instid1(VALU_DEP_1)
	v_cndmask_b32_e64 v29, v29, 0x4016cbe4, s8
	v_cndmask_b32_e32 v29, 0x7fc00000, v29, vcc_lo
	s_delay_alu instid0(VALU_DEP_1)
	v_bfi_b32 v42, 0x7fffffff, v29, v49
.LBB49_376:                             ;   in Loop: Header=BB49_4 Depth=1
	s_or_b32 exec_lo, exec_lo, s31
.LBB49_377:                             ;   in Loop: Header=BB49_4 Depth=1
	s_delay_alu instid0(SALU_CYCLE_1)
	s_or_b32 exec_lo, exec_lo, s9
	v_cndmask_b32_e64 v43, -v27, v27, s6
                                        ; implicit-def: $vgpr38
.LBB49_378:                             ;   in Loop: Header=BB49_4 Depth=1
	s_and_not1_saveexec_b32 s8, s30
	s_cbranch_execz .LBB49_380
; %bb.379:                              ;   in Loop: Header=BB49_4 Depth=1
	flat_load_b32 v27, v[4:5] scope:SCOPE_SYS
	s_wait_loadcnt_dscnt 0x0
	v_sub_f32_e32 v27, v27, v38
	s_delay_alu instid0(VALU_DEP_1)
	v_add_f32_e32 v42, 0x3fc90fdb, v27
.LBB49_380:                             ;   in Loop: Header=BB49_4 Depth=1
	s_or_b32 exec_lo, exec_lo, s8
.LBB49_381:                             ;   in Loop: Header=BB49_4 Depth=1
	s_and_not1_saveexec_b32 s8, s29
; %bb.382:                              ;   in Loop: Header=BB49_4 Depth=1
	v_mov_b32_e32 v42, 0
; %bb.383:                              ;   in Loop: Header=BB49_4 Depth=1
	s_or_b32 exec_lo, exec_lo, s8
                                        ; implicit-def: $vgpr38
                                        ; implicit-def: $vgpr48
                                        ; implicit-def: $vgpr27
                                        ; implicit-def: $vgpr29
.LBB49_384:                             ;   in Loop: Header=BB49_4 Depth=1
	s_and_not1_saveexec_b32 s10, s28
	s_cbranch_execz .LBB49_394
; %bb.385:                              ;   in Loop: Header=BB49_4 Depth=1
	v_cmp_lt_f32_e64 s8, |v38|, |v39|
                                        ; implicit-def: $vgpr43
                                        ; implicit-def: $vgpr42
	s_mov_b32 s9, exec_lo
	v_cndmask_b32_e64 v49, |v38|, |v39|, s8
	s_delay_alu instid0(VALU_DEP_1)
	v_cmpx_nlt_f32_e32 0x7effffff, v49
	s_xor_b32 s28, exec_lo, s9
	s_cbranch_execz .LBB49_391
; %bb.386:                              ;   in Loop: Header=BB49_4 Depth=1
	v_cndmask_b32_e64 v53, |v39|, |v38|, s8
	v_cmp_nlt_f32_e32 vcc_lo, 0x5e000000, v49
                                        ; implicit-def: $vgpr43
                                        ; implicit-def: $vgpr42
	s_delay_alu instid0(VALU_DEP_2) | instskip(SKIP_1) | instid1(SALU_CYCLE_1)
	v_cmp_ngt_f32_e64 s9, 0x20000000, v53
	s_and_b32 s9, vcc_lo, s9
	s_and_saveexec_b32 s29, s9
	s_delay_alu instid0(SALU_CYCLE_1)
	s_xor_b32 s29, exec_lo, s29
	s_cbranch_execz .LBB49_388
; %bb.387:                              ;   in Loop: Header=BB49_4 Depth=1
	s_wait_dscnt 0x0
	v_frexp_mant_f32_e32 v42, v29
	v_dual_min_num_f32 v27, v48, v27 :: v_dual_mul_f32 v48, v53, v53
	v_frexp_exp_i32_f32_e32 v29, v29
	s_delay_alu instid0(VALU_DEP_3) | instskip(NEXT) | instid1(VALU_DEP_2)
	v_rcp_f32_e32 v42, v42
	v_frexp_exp_i32_f32_e32 v43, v27
	v_frexp_mant_f32_e32 v27, v27
	v_fmac_f32_e32 v48, v49, v49
	s_delay_alu instid0(VALU_DEP_3)
	v_sub_nc_u32_e32 v29, v43, v29
	s_delay_alu instid0(TRANS32_DEP_1) | instid1(VALU_DEP_3)
	v_mul_f32_e32 v27, v27, v42
	s_delay_alu instid0(VALU_DEP_3) | instskip(NEXT) | instid1(VALU_DEP_2)
	v_cmp_gt_f32_e32 vcc_lo, 0x800000, v48
	v_ldexp_f32 v42, v27, v29
	v_cndmask_b32_e64 v27, 0, 32, vcc_lo
	s_delay_alu instid0(VALU_DEP_1) | instskip(NEXT) | instid1(VALU_DEP_1)
	v_ldexp_f32 v27, v48, v27
	v_log_f32_e32 v27, v27
	v_nop
	s_delay_alu instid0(TRANS32_DEP_1) | instskip(SKIP_1) | instid1(VALU_DEP_2)
	v_mul_f32_e32 v48, 0x3f317217, v27
	v_cmp_gt_f32_e64 s9, 0x7f800000, |v27|
	v_fma_f32 v48, 0x3f317217, v27, -v48
	s_delay_alu instid0(VALU_DEP_1) | instskip(NEXT) | instid1(VALU_DEP_1)
	v_dual_mul_f32 v29, v42, v42 :: v_dual_fmac_f32 v48, 0x3377d1cf, v27
	v_fmaak_f32 v43, s26, v29, 0xbc7a590c
	s_delay_alu instid0(VALU_DEP_2) | instskip(NEXT) | instid1(VALU_DEP_2)
	v_fmac_f32_e32 v48, 0x3f317217, v27
	v_fmaak_f32 v43, v29, v43, 0x3d29fb3f
	s_delay_alu instid0(VALU_DEP_1) | instskip(NEXT) | instid1(VALU_DEP_1)
	v_fmaak_f32 v43, v29, v43, 0xbd97d4d7
	v_fmaak_f32 v43, v29, v43, 0x3dd931b2
	s_delay_alu instid0(VALU_DEP_1) | instskip(NEXT) | instid1(VALU_DEP_1)
	v_fmaak_f32 v43, v29, v43, 0xbe1160e6
	v_fmaak_f32 v43, v29, v43, 0x3e4cb8bf
	s_delay_alu instid0(VALU_DEP_1) | instskip(SKIP_2) | instid1(VALU_DEP_1)
	v_fmaak_f32 v43, v29, v43, 0xbeaaaa62
	v_cndmask_b32_e64 v27, v27, v48, s9
	v_cndmask_b32_e64 v48, 0, 0x41b17218, vcc_lo
	v_dual_mul_f32 v29, v29, v43 :: v_dual_sub_f32 v27, v27, v48
                                        ; implicit-def: $vgpr48
	s_delay_alu instid0(VALU_DEP_1) | instskip(NEXT) | instid1(VALU_DEP_2)
	v_fmac_f32_e32 v42, v42, v29
                                        ; implicit-def: $vgpr29
	v_mul_f32_e32 v43, 0.5, v27
                                        ; implicit-def: $vgpr27
.LBB49_388:                             ;   in Loop: Header=BB49_4 Depth=1
	s_and_not1_saveexec_b32 s9, s29
	s_cbranch_execz .LBB49_390
; %bb.389:                              ;   in Loop: Header=BB49_4 Depth=1
	s_wait_dscnt 0x0
	v_cvt_f64_f32_e32 v[42:43], v29
	v_frexp_mant_f32_e32 v53, v29
	v_min_num_f32_e32 v27, v48, v27
	v_cmp_neq_f32_e32 vcc_lo, 0x7f800000, v29
	s_delay_alu instid0(VALU_DEP_3) | instskip(SKIP_1) | instid1(VALU_DEP_3)
	v_rcp_f32_e32 v48, v53
	v_nop
	v_frexp_exp_i32_f32_e32 v53, v27
	v_frexp_mant_f32_e32 v27, v27
	s_delay_alu instid0(TRANS32_DEP_1) | instid1(VALU_DEP_1)
	v_mul_f32_e32 v27, v27, v48
	v_frexp_exp_i32_f64_e32 v42, v[42:43]
	s_delay_alu instid0(VALU_DEP_1) | instskip(NEXT) | instid1(VALU_DEP_1)
	v_sub_nc_u32_e32 v43, 0, v42
	v_ldexp_f32 v49, |v39|, v43
	s_delay_alu instid0(VALU_DEP_1) | instskip(SKIP_1) | instid1(VALU_DEP_1)
	v_mul_f32_e32 v49, v49, v49
	v_ldexp_f32 v43, |v38|, v43
	v_fmac_f32_e32 v49, v43, v43
	v_frexp_exp_i32_f32_e32 v43, v29
	s_delay_alu instid0(VALU_DEP_1) | instskip(NEXT) | instid1(VALU_DEP_3)
	v_sub_nc_u32_e32 v43, v53, v43
	v_sqrt_f32_e32 v49, v49
	v_nop
	s_delay_alu instid0(TRANS32_DEP_1) | instskip(NEXT) | instid1(VALU_DEP_3)
	v_ldexp_f32 v48, v49, v42
	v_ldexp_f32 v42, v27, v43
	s_delay_alu instid0(VALU_DEP_2) | instskip(NEXT) | instid1(VALU_DEP_2)
	v_cndmask_b32_e32 v27, 0x7f800000, v48, vcc_lo
	v_mul_f32_e32 v29, v42, v42
	s_delay_alu instid0(VALU_DEP_2) | instskip(NEXT) | instid1(VALU_DEP_2)
	v_cmp_gt_f32_e32 vcc_lo, 0x800000, v27
	v_fmaak_f32 v48, s26, v29, 0xbc7a590c
	v_cndmask_b32_e64 v43, 0, 32, vcc_lo
	v_cndmask_b32_e64 v49, 0, 0x41b17218, vcc_lo
	s_delay_alu instid0(VALU_DEP_2) | instskip(NEXT) | instid1(VALU_DEP_4)
	v_ldexp_f32 v27, v27, v43
	v_fmaak_f32 v43, v29, v48, 0x3d29fb3f
	s_delay_alu instid0(VALU_DEP_2) | instskip(NEXT) | instid1(VALU_DEP_1)
	v_log_f32_e32 v27, v27
	v_fmaak_f32 v43, v29, v43, 0xbd97d4d7
	s_delay_alu instid0(VALU_DEP_1) | instskip(NEXT) | instid1(TRANS32_DEP_1)
	v_fmaak_f32 v43, v29, v43, 0x3dd931b2
	v_mul_f32_e32 v48, 0x3f317217, v27
	v_cmp_gt_f32_e64 vcc_lo, 0x7f800000, |v27|
	s_delay_alu instid0(VALU_DEP_3) | instskip(NEXT) | instid1(VALU_DEP_3)
	v_fmaak_f32 v43, v29, v43, 0xbe1160e6
	v_fma_f32 v48, 0x3f317217, v27, -v48
	s_delay_alu instid0(VALU_DEP_2) | instskip(NEXT) | instid1(VALU_DEP_2)
	v_fmaak_f32 v43, v29, v43, 0x3e4cb8bf
	v_fmac_f32_e32 v48, 0x3377d1cf, v27
	s_delay_alu instid0(VALU_DEP_2) | instskip(NEXT) | instid1(VALU_DEP_2)
	v_fmaak_f32 v43, v29, v43, 0xbeaaaa62
	v_fmac_f32_e32 v48, 0x3f317217, v27
	s_delay_alu instid0(VALU_DEP_1) | instskip(NEXT) | instid1(VALU_DEP_1)
	v_dual_mul_f32 v29, v29, v43 :: v_dual_cndmask_b32 v27, v27, v48, vcc_lo
	v_fmac_f32_e32 v42, v42, v29
	s_delay_alu instid0(VALU_DEP_2)
	v_sub_f32_e32 v43, v27, v49
.LBB49_390:                             ;   in Loop: Header=BB49_4 Depth=1
	s_or_b32 exec_lo, exec_lo, s9
                                        ; implicit-def: $vgpr48
                                        ; implicit-def: $vgpr27
                                        ; implicit-def: $vgpr29
.LBB49_391:                             ;   in Loop: Header=BB49_4 Depth=1
	s_and_not1_saveexec_b32 s28, s28
	s_cbranch_execz .LBB49_393
; %bb.392:                              ;   in Loop: Header=BB49_4 Depth=1
	v_div_scale_f32 v42, null, 0x402df854, 0x402df854, v38
	v_div_scale_f32 v43, null, 0x402df854, 0x402df854, v39
	v_div_scale_f32 v56, vcc_lo, v38, 0x402df854, v38
	s_delay_alu instid0(VALU_DEP_3) | instskip(NEXT) | instid1(VALU_DEP_2)
	v_rcp_f32_e32 v49, v42
	v_rcp_f32_e32 v53, v43
	v_min_num_f32_e32 v27, v48, v27
	s_delay_alu instid0(TRANS32_DEP_2) | instskip(NEXT) | instid1(TRANS32_DEP_1)
	v_fma_f32 v54, -v42, v49, 1.0
	v_fma_f32 v55, -v43, v53, 1.0
	s_delay_alu instid0(VALU_DEP_2) | instskip(SKIP_1) | instid1(VALU_DEP_3)
	v_fmac_f32_e32 v49, v54, v49
	v_div_scale_f32 v54, s9, v39, 0x402df854, v39
	v_fmac_f32_e32 v53, v55, v53
	s_delay_alu instid0(VALU_DEP_3) | instskip(NEXT) | instid1(VALU_DEP_1)
	v_mul_f32_e32 v55, v56, v49
	v_fma_f32 v58, -v42, v55, v56
	s_delay_alu instid0(VALU_DEP_3) | instskip(NEXT) | instid1(VALU_DEP_2)
	v_mul_f32_e32 v57, v54, v53
	v_fmac_f32_e32 v55, v58, v49
	s_delay_alu instid0(VALU_DEP_1) | instskip(NEXT) | instid1(VALU_DEP_1)
	v_dual_fma_f32 v59, -v43, v57, v54 :: v_dual_fma_f32 v42, -v42, v55, v56
	v_fmac_f32_e32 v57, v59, v53
	s_delay_alu instid0(VALU_DEP_2) | instskip(NEXT) | instid1(VALU_DEP_2)
	v_div_fmas_f32 v42, v42, v49, v55
	v_fma_f32 v43, -v43, v57, v54
	s_mov_b32 vcc_lo, s9
	s_delay_alu instid0(VALU_DEP_2) | instskip(NEXT) | instid1(VALU_DEP_2)
	v_div_fixup_f32 v49, v42, 0x402df854, v38
	v_div_fmas_f32 v43, v43, v53, v57
	s_delay_alu instid0(VALU_DEP_1) | instskip(NEXT) | instid1(VALU_DEP_1)
	v_div_fixup_f32 v53, v43, 0x402df854, v39
	v_max_num_f32_e64 v54, |v49|, |v53|
	s_delay_alu instid0(VALU_DEP_1) | instskip(SKIP_1) | instid1(VALU_DEP_2)
	v_cvt_f64_f32_e32 v[42:43], v54
	v_cmp_neq_f32_e32 vcc_lo, 0x7f800000, v54
	v_frexp_exp_i32_f64_e32 v42, v[42:43]
	s_delay_alu instid0(VALU_DEP_1) | instskip(NEXT) | instid1(VALU_DEP_1)
	v_sub_nc_u32_e32 v43, 0, v42
	v_ldexp_f32 v53, |v53|, v43
	v_ldexp_f32 v43, |v49|, v43
	s_delay_alu instid0(VALU_DEP_2) | instskip(NEXT) | instid1(VALU_DEP_1)
	v_mul_f32_e32 v49, v53, v53
	v_fmac_f32_e32 v49, v43, v43
	s_wait_dscnt 0x0
	v_frexp_mant_f32_e32 v43, v29
	v_frexp_exp_i32_f32_e32 v29, v29
	s_delay_alu instid0(VALU_DEP_3) | instskip(NEXT) | instid1(VALU_DEP_2)
	v_sqrt_f32_e32 v48, v49
	v_rcp_f32_e32 v43, v43
	v_frexp_exp_i32_f32_e32 v49, v27
	v_frexp_mant_f32_e32 v27, v27
	s_delay_alu instid0(TRANS32_DEP_1) | instid1(VALU_DEP_1)
	v_dual_sub_nc_u32 v29, v49, v29 :: v_dual_mul_f32 v27, v27, v43
	s_delay_alu instid0(TRANS32_DEP_2) | instskip(NEXT) | instid1(VALU_DEP_1)
	v_ldexp_f32 v42, v48, v42
	v_cndmask_b32_e32 v43, 0x7f800000, v42, vcc_lo
	s_delay_alu instid0(VALU_DEP_3) | instskip(NEXT) | instid1(VALU_DEP_2)
	v_ldexp_f32 v42, v27, v29
	v_cmp_gt_f32_e32 vcc_lo, 0x800000, v43
	s_delay_alu instid0(VALU_DEP_2) | instskip(SKIP_2) | instid1(VALU_DEP_2)
	v_mul_f32_e32 v29, v42, v42
	v_cndmask_b32_e64 v27, 0, 32, vcc_lo
	v_cndmask_b32_e64 v49, 0, 0x41b17218, vcc_lo
	v_ldexp_f32 v27, v43, v27
	s_delay_alu instid0(VALU_DEP_4) | instskip(NEXT) | instid1(VALU_DEP_2)
	v_fmaak_f32 v43, s26, v29, 0xbc7a590c
	v_log_f32_e32 v27, v27
	s_delay_alu instid0(VALU_DEP_1) | instskip(NEXT) | instid1(VALU_DEP_1)
	v_fmaak_f32 v43, v29, v43, 0x3d29fb3f
	v_fmaak_f32 v43, v29, v43, 0xbd97d4d7
	s_delay_alu instid0(TRANS32_DEP_1) | instskip(SKIP_1) | instid1(VALU_DEP_3)
	v_mul_f32_e32 v48, 0x3f317217, v27
	v_cmp_gt_f32_e64 vcc_lo, 0x7f800000, |v27|
	v_fmaak_f32 v43, v29, v43, 0x3dd931b2
	s_delay_alu instid0(VALU_DEP_3) | instskip(NEXT) | instid1(VALU_DEP_2)
	v_fma_f32 v48, 0x3f317217, v27, -v48
	v_fmaak_f32 v43, v29, v43, 0xbe1160e6
	s_delay_alu instid0(VALU_DEP_2) | instskip(NEXT) | instid1(VALU_DEP_2)
	v_fmac_f32_e32 v48, 0x3377d1cf, v27
	v_fmaak_f32 v43, v29, v43, 0x3e4cb8bf
	s_delay_alu instid0(VALU_DEP_2) | instskip(NEXT) | instid1(VALU_DEP_2)
	v_fmac_f32_e32 v48, 0x3f317217, v27
	v_fmaak_f32 v43, v29, v43, 0xbeaaaa62
	s_delay_alu instid0(VALU_DEP_1) | instskip(NEXT) | instid1(VALU_DEP_1)
	v_dual_cndmask_b32 v27, v27, v48, vcc_lo :: v_dual_mul_f32 v29, v29, v43
	v_sub_f32_e32 v27, v27, v49
	s_delay_alu instid0(VALU_DEP_1)
	v_dual_fmac_f32 v42, v42, v29 :: v_dual_add_f32 v43, 1.0, v27
.LBB49_393:                             ;   in Loop: Header=BB49_4 Depth=1
	s_or_b32 exec_lo, exec_lo, s28
	s_delay_alu instid0(VALU_DEP_1) | instskip(SKIP_1) | instid1(VALU_DEP_2)
	v_sub_f32_e32 v27, 0x3fc90fdb, v42
	v_cmp_gt_f32_e32 vcc_lo, 0, v38
	v_cndmask_b32_e64 v27, v42, v27, s8
	v_cndmask_b32_e64 v42, 0, 0x40490fdb, s7
	v_cmp_class_f32_e64 s7, v38, 0x204
	v_cmp_class_f32_e64 s8, v39, 0x204
	v_add_f32_e32 v38, 0x3f317218, v43
	s_wait_dscnt 0x0
	v_sub_f32_e32 v29, 0x40490fdb, v27
	s_delay_alu instid0(VALU_DEP_1) | instskip(SKIP_2) | instid1(VALU_DEP_3)
	v_dual_cndmask_b32 v43, -v38, v38, s6 :: v_dual_cndmask_b32 v27, v27, v29, vcc_lo
	v_cndmask_b32_e32 v29, 0x3f490fdb, v52, vcc_lo
	v_cmp_eq_f32_e32 vcc_lo, 0, v39
	v_cndmask_b32_e64 v27, |v27|, v42, vcc_lo
	s_and_b32 vcc_lo, s8, s7
	s_delay_alu instid0(VALU_DEP_1)
	v_cndmask_b32_e32 v42, v27, v29, vcc_lo
.LBB49_394:                             ;   in Loop: Header=BB49_4 Depth=1
	s_or_b32 exec_lo, exec_lo, s10
                                        ; implicit-def: $vgpr39
	s_and_not1_saveexec_b32 s6, s27
	s_cbranch_execz .LBB49_308
.LBB49_395:                             ;   in Loop: Header=BB49_4 Depth=1
	v_cmp_neq_f32_e64 s7, 0x7f800000, |v38|
                                        ; implicit-def: $vgpr43
	s_and_saveexec_b32 s8, s7
	s_delay_alu instid0(SALU_CYCLE_1)
	s_xor_b32 s7, exec_lo, s8
	s_cbranch_execz .LBB49_405
; %bb.396:                              ;   in Loop: Header=BB49_4 Depth=1
	v_cmp_neq_f32_e64 s8, 0x7f800000, |v39|
	v_xor_b32_e32 v43, 0x80000000, v39
	s_and_saveexec_b32 s9, s8
	s_delay_alu instid0(SALU_CYCLE_1)
	s_xor_b32 s8, exec_lo, s9
	s_cbranch_execz .LBB49_402
; %bb.397:                              ;   in Loop: Header=BB49_4 Depth=1
	s_mov_b32 s9, exec_lo
                                        ; implicit-def: $vgpr43
	v_cmpx_neq_f32_e32 0, v38
	s_xor_b32 s9, exec_lo, s9
; %bb.398:                              ;   in Loop: Header=BB49_4 Depth=1
	v_add_f32_e32 v27, 0, v39
                                        ; implicit-def: $vgpr39
	s_delay_alu instid0(VALU_DEP_1)
	v_add_f32_e32 v43, v27, v38
; %bb.399:                              ;   in Loop: Header=BB49_4 Depth=1
	s_or_saveexec_b32 s9, s9
	s_delay_alu instid0(VALU_DEP_1)
	v_mov_b32_e32 v42, v43
	s_xor_b32 exec_lo, exec_lo, s9
	s_cbranch_execz .LBB49_401
; %bb.400:                              ;   in Loop: Header=BB49_4 Depth=1
	flat_load_b32 v27, v[4:5] scope:SCOPE_SYS
	s_wait_loadcnt 0x0
	v_add_f32_e32 v43, v39, v39
	s_wait_dscnt 0x0
	v_add_f32_e32 v42, 0x3fc90fdb, v27
.LBB49_401:                             ;   in Loop: Header=BB49_4 Depth=1
	s_wait_xcnt 0x0
	s_or_b32 exec_lo, exec_lo, s9
                                        ; implicit-def: $vgpr38
.LBB49_402:                             ;   in Loop: Header=BB49_4 Depth=1
	s_and_not1_saveexec_b32 s8, s8
; %bb.403:                              ;   in Loop: Header=BB49_4 Depth=1
	v_add_f32_e32 v42, v38, v38
; %bb.404:                              ;   in Loop: Header=BB49_4 Depth=1
	s_or_b32 exec_lo, exec_lo, s8
                                        ; implicit-def: $vgpr39
.LBB49_405:                             ;   in Loop: Header=BB49_4 Depth=1
	s_and_not1_saveexec_b32 s7, s7
; %bb.406:                              ;   in Loop: Header=BB49_4 Depth=1
	v_dual_add_f32 v42, v39, v39 :: v_dual_mov_b32 v43, 0xff800000
; %bb.407:                              ;   in Loop: Header=BB49_4 Depth=1
	s_or_b32 exec_lo, exec_lo, s7
	s_delay_alu instid0(SALU_CYCLE_1) | instskip(SKIP_1) | instid1(SALU_CYCLE_1)
	s_or_b32 exec_lo, exec_lo, s6
	s_and_saveexec_b32 s6, s2
	s_xor_b32 s2, exec_lo, s6
	s_cbranch_execz .LBB49_309
.LBB49_408:                             ;   in Loop: Header=BB49_4 Depth=1
	global_store_b64 v[30:31], v[40:41], off
	s_wait_xcnt 0x0
	s_or_b32 exec_lo, exec_lo, s2
	s_and_saveexec_b32 s2, s3
	s_cbranch_execz .LBB49_310
.LBB49_409:                             ;   in Loop: Header=BB49_4 Depth=1
	global_store_b64 v[32:33], v[44:45], off
	s_wait_xcnt 0x0
	s_or_b32 exec_lo, exec_lo, s2
	s_and_saveexec_b32 s2, s4
	s_cbranch_execz .LBB49_311
.LBB49_410:                             ;   in Loop: Header=BB49_4 Depth=1
	global_store_b64 v[34:35], v[46:47], off
	s_wait_xcnt 0x0
	s_or_b32 exec_lo, exec_lo, s2
	s_and_saveexec_b32 s2, s5
	s_cbranch_execz .LBB49_3
.LBB49_411:                             ;   in Loop: Header=BB49_4 Depth=1
	global_store_b64 v[36:37], v[42:43], off
	s_branch .LBB49_3
.LBB49_412:
	s_cbranch_execz .LBB49_414
	s_branch .LBB49_809
.LBB49_413:
.LBB49_414:
	v_min_i64 v[14:15], 0x10000, s[14:15]
	v_dual_mov_b32 v3, 0 :: v_dual_lshlrev_b32 v2, 2, v0
	s_mov_b32 s2, exec_lo
	s_delay_alu instid0(VALU_DEP_1)
	v_cmpx_lt_i64_e64 v[2:3], v[14:15]
	s_cbranch_execz .LBB49_809
; %bb.415:
	v_mbcnt_lo_u32_b32 v1, -1, 0
	v_mov_b32_e32 v4, 8
	v_mov_b32_e32 v30, 0x248d3132
	v_mov_b32_e32 v20, 1.0
	s_delay_alu instid0(VALU_DEP_4)
	v_dual_mov_b32 v24, 0x3f317218 :: v_dual_lshlrev_b32 v5, 20, v1
	v_mov_b32_e32 v32, 0x4016cbe4
	s_add_nc_u64 s[6:7], s[0:1], 0xd30
	s_mov_b32 s5, 0
	s_mov_b32 s9, 0x3e9b6dac
	v_add_nc_u64_e32 v[16:17], src_flat_scratch_base_lo, v[4:5]
	v_dual_mov_b32 v4, 0 :: v_dual_mov_b32 v1, v3
	s_mov_b32 s8, 0x4b800000
	s_mov_b32 s10, 0x3d1c21a7
	v_mov_b32_e32 v31, 0xd800000
	s_delay_alu instid0(VALU_DEP_2) | instskip(SKIP_3) | instid1(VALU_DEP_1)
	v_add_nc_u64_e32 v[18:19], src_flat_scratch_base_lo, v[4:5]
	v_mov_b32_e32 v4, 4
	s_mov_b32 s11, 0x3b2d2a58
	s_mov_b32 s14, 0
	v_add_nc_u64_e32 v[22:23], src_flat_scratch_base_lo, v[4:5]
	s_branch .LBB49_418
.LBB49_416:                             ;   in Loop: Header=BB49_418 Depth=1
	s_or_b32 exec_lo, exec_lo, s1
.LBB49_417:                             ;   in Loop: Header=BB49_418 Depth=1
	s_delay_alu instid0(SALU_CYCLE_1)
	s_or_b32 exec_lo, exec_lo, s0
	s_wait_dscnt 0x2
	s_clause 0x1
	global_store_b128 v[26:27], v[6:9], off
	global_store_b128 v[26:27], v[10:13], off offset:16
	s_load_b32 s0, s[6:7], 0xc
	s_wait_kmcnt 0x0
	s_and_b32 s4, s0, 0xffff
	s_delay_alu instid0(SALU_CYCLE_1) | instskip(SKIP_1) | instid1(VALU_DEP_1)
	v_add_nc_u64_e32 v[0:1], s[4:5], v[0:1]
	s_wait_dscnt 0x0
	v_lshlrev_b64_e32 v[2:3], 2, v[0:1]
	s_delay_alu instid0(VALU_DEP_1) | instskip(SKIP_1) | instid1(SALU_CYCLE_1)
	v_cmp_ge_i64_e32 vcc_lo, v[2:3], v[14:15]
	s_or_b32 s14, vcc_lo, s14
	s_and_not1_b32 exec_lo, exec_lo, s14
	s_cbranch_execz .LBB49_809
.LBB49_418:                             ; =>This Inner Loop Header: Depth=1
	v_lshlrev_b64_e32 v[2:3], 5, v[0:1]
                                        ; implicit-def: $vgpr7
	s_mov_b32 s0, exec_lo
	s_delay_alu instid0(VALU_DEP_1)
	v_add_nc_u64_e32 v[26:27], s[12:13], v[2:3]
	s_clause 0x1
	global_load_b128 v[10:13], v[26:27], off
	global_load_b128 v[2:5], v[26:27], off offset:16
	flat_store_b32 v[16:17], v30 scope:SCOPE_SYS
	s_wait_storecnt 0x0
	s_wait_loadcnt 0x1
	s_wait_xcnt 0x0
	v_cmpx_o_f32_e32 v10, v11
	s_xor_b32 s15, exec_lo, s0
	s_cbranch_execz .LBB49_502
; %bb.419:                              ;   in Loop: Header=BB49_418 Depth=1
	v_max_num_f32_e64 v8, |v11|, |v11|
	v_max_num_f32_e64 v21, |v10|, |v10|
	v_cmp_gt_i32_e64 s1, 0, v10
	v_cmp_lt_i32_e64 s2, -1, v10
	v_cmp_gt_i32_e64 s0, 0, v11
                                        ; implicit-def: $vgpr7
	s_mov_b32 s3, exec_lo
	v_max_num_f32_e32 v9, v21, v8
	s_delay_alu instid0(VALU_DEP_1)
	v_cmpx_nlt_f32_e32 0x4b000000, v9
	s_xor_b32 s16, exec_lo, s3
	s_cbranch_execz .LBB49_491
; %bb.420:                              ;   in Loop: Header=BB49_418 Depth=1
	v_cmp_neq_f32_e32 vcc_lo, 1.0, v10
	v_cmp_neq_f32_e64 s3, 0, v11
	v_xor_b32_e32 v7, 0x80000000, v11
	s_or_b32 s3, vcc_lo, s3
	s_delay_alu instid0(SALU_CYCLE_1) | instskip(NEXT) | instid1(SALU_CYCLE_1)
	s_and_saveexec_b32 s4, s3
	s_xor_b32 s17, exec_lo, s4
	s_cbranch_execz .LBB49_488
; %bb.421:                              ;   in Loop: Header=BB49_418 Depth=1
	flat_store_b32 v[18:19], v31 scope:SCOPE_SYS
	s_wait_storecnt 0x0
	flat_load_b32 v6, v[18:19] scope:SCOPE_SYS
	s_wait_loadcnt 0x0
	v_cmp_ngt_f32_e64 s3, 0x395db3d7, |v10|
	v_cmp_ngt_f32_e64 s4, 0x395db3d7, |v11|
	s_or_b32 s3, s3, s4
	s_wait_dscnt 0x0
	v_add_f32_e32 v6, 1.0, v6
	flat_store_b32 v[22:23], v6 scope:SCOPE_SYS
	s_wait_storecnt 0x0
	flat_load_b32 v6, v[22:23] scope:SCOPE_SYS
	s_wait_loadcnt_dscnt 0x0
	v_xor_b32_e32 v7, 0x80000000, v11
	s_and_saveexec_b32 s4, s3
	s_delay_alu instid0(SALU_CYCLE_1)
	s_xor_b32 s18, exec_lo, s4
	s_cbranch_execz .LBB49_485
; %bb.422:                              ;   in Loop: Header=BB49_418 Depth=1
	v_add_f32_e64 v29, |v10|, 1.0
	v_add_f32_e64 v28, |v10|, -1.0
	s_mov_b32 s3, exec_lo
	s_delay_alu instid0(VALU_DEP_2) | instskip(NEXT) | instid1(VALU_DEP_2)
	v_max_num_f32_e32 v21, v8, v29
	v_max_num_f32_e64 v25, v8, |v28|
	s_delay_alu instid0(VALU_DEP_2) | instskip(NEXT) | instid1(VALU_DEP_2)
	v_cvt_f64_f32_e32 v[6:7], v21
	v_cvt_f64_f32_e32 v[8:9], v25
	s_delay_alu instid0(VALU_DEP_2) | instskip(NEXT) | instid1(VALU_DEP_2)
	v_frexp_exp_i32_f64_e32 v6, v[6:7]
	v_frexp_exp_i32_f64_e32 v7, v[8:9]
	s_delay_alu instid0(VALU_DEP_2) | instskip(SKIP_1) | instid1(VALU_DEP_2)
	v_sub_nc_u32_e32 v8, 0, v6
	v_cmp_neq_f32_e32 vcc_lo, 0x7f800000, v21
                                        ; implicit-def: $vgpr21
	v_ldexp_f32 v33, v29, v8
	s_delay_alu instid0(VALU_DEP_4) | instskip(SKIP_1) | instid1(VALU_DEP_3)
	v_sub_nc_u32_e32 v9, 0, v7
	v_ldexp_f32 v8, |v11|, v8
	v_mul_f32_e32 v33, v33, v33
	s_delay_alu instid0(VALU_DEP_3) | instskip(SKIP_1) | instid1(VALU_DEP_2)
	v_ldexp_f32 v34, |v28|, v9
	v_ldexp_f32 v9, |v11|, v9
	v_dual_fmac_f32 v33, v8, v8 :: v_dual_mul_f32 v34, v34, v34
	s_delay_alu instid0(VALU_DEP_1) | instskip(SKIP_1) | instid1(TRANS32_DEP_1)
	v_sqrt_f32_e32 v8, v33
	v_nop
	v_ldexp_f32 v6, v8, v6
	s_delay_alu instid0(VALU_DEP_1) | instskip(NEXT) | instid1(VALU_DEP_1)
	v_dual_fmac_f32 v34, v9, v9 :: v_dual_cndmask_b32 v35, 0x7f800000, v6
	v_sqrt_f32_e32 v9, v34
	v_cmp_neq_f32_e32 vcc_lo, 0x7f800000, v25
	s_delay_alu instid0(TRANS32_DEP_1) | instskip(NEXT) | instid1(VALU_DEP_1)
	v_ldexp_f32 v7, v9, v7
	v_cndmask_b32_e32 v33, 0x7f800000, v7, vcc_lo
	s_delay_alu instid0(VALU_DEP_1) | instskip(NEXT) | instid1(VALU_DEP_1)
	v_add_f32_e32 v6, v35, v33
	v_mul_f32_e32 v6, 0.5, v6
	s_delay_alu instid0(VALU_DEP_1) | instskip(SKIP_1) | instid1(VALU_DEP_1)
	v_cmp_ngt_f32_e32 vcc_lo, 1.0, v6
	v_cndmask_b32_e32 v6, 1.0, v6, vcc_lo
	v_cmpx_ngt_f32_e32 0x41200000, v6
	s_xor_b32 s4, exec_lo, s3
	s_cbranch_execz .LBB49_424
; %bb.423:                              ;   in Loop: Header=BB49_418 Depth=1
	v_fma_f32 v7, v6, v6, -1.0
	s_delay_alu instid0(VALU_DEP_1) | instskip(SKIP_1) | instid1(VALU_DEP_2)
	v_mul_f32_e32 v8, 0x4f800000, v7
	v_cmp_gt_f32_e32 vcc_lo, 0xf800000, v7
	v_cndmask_b32_e32 v7, v7, v8, vcc_lo
	s_delay_alu instid0(VALU_DEP_1) | instskip(SKIP_1) | instid1(TRANS32_DEP_1)
	v_sqrt_f32_e32 v8, v7
	v_nop
	v_dual_add_nc_u32 v9, -1, v8 :: v_dual_add_nc_u32 v21, 1, v8
	s_delay_alu instid0(VALU_DEP_1) | instskip(NEXT) | instid1(VALU_DEP_1)
	v_fma_f32 v25, -v9, v8, v7
	v_cmp_ge_f32_e64 s3, 0, v25
	s_delay_alu instid0(VALU_DEP_1) | instskip(NEXT) | instid1(VALU_DEP_1)
	v_dual_fma_f32 v34, -v21, v8, v7 :: v_dual_cndmask_b32 v8, v8, v9, s3
	v_cmp_lt_f32_e64 s3, 0, v34
	s_delay_alu instid0(VALU_DEP_1) | instskip(NEXT) | instid1(VALU_DEP_1)
	v_cndmask_b32_e64 v8, v8, v21, s3
	v_mul_f32_e32 v9, 0x37800000, v8
	s_delay_alu instid0(VALU_DEP_1) | instskip(SKIP_1) | instid1(VALU_DEP_2)
	v_cndmask_b32_e32 v8, v8, v9, vcc_lo
	v_cmp_class_f32_e64 vcc_lo, v7, 0x260
	v_cndmask_b32_e32 v7, v8, v7, vcc_lo
	s_delay_alu instid0(VALU_DEP_1) | instskip(NEXT) | instid1(VALU_DEP_1)
	v_add_f32_e32 v7, v6, v7
	v_cmp_gt_f32_e32 vcc_lo, 0x800000, v7
	s_delay_alu instid0(VALU_DEP_4) | instskip(NEXT) | instid1(VALU_DEP_1)
	v_cndmask_b32_e64 v8, 0, 32, vcc_lo
	v_ldexp_f32 v7, v7, v8
	s_delay_alu instid0(VALU_DEP_1) | instskip(SKIP_1) | instid1(TRANS32_DEP_1)
	v_log_f32_e32 v7, v7
	v_nop
	v_mul_f32_e32 v8, 0x3f317217, v7
	v_cmp_gt_f32_e64 s3, 0x7f800000, |v7|
	s_delay_alu instid0(VALU_DEP_2) | instskip(NEXT) | instid1(VALU_DEP_1)
	v_fma_f32 v8, 0x3f317217, v7, -v8
	v_fmac_f32_e32 v8, 0x3377d1cf, v7
	s_delay_alu instid0(VALU_DEP_1) | instskip(NEXT) | instid1(VALU_DEP_1)
	v_fmac_f32_e32 v8, 0x3f317217, v7
	v_cndmask_b32_e64 v7, v7, v8, s3
	v_cndmask_b32_e64 v8, 0, 0x41b17218, vcc_lo
	s_delay_alu instid0(VALU_DEP_1)
	v_sub_f32_e32 v21, v7, v8
.LBB49_424:                             ;   in Loop: Header=BB49_418 Depth=1
	s_or_saveexec_b32 s4, s4
	v_and_b32_e32 v34, 0x7fffffff, v11
	s_xor_b32 exec_lo, exec_lo, s4
	s_cbranch_execz .LBB49_446
; %bb.425:                              ;   in Loop: Header=BB49_418 Depth=1
	v_cmp_neq_f32_e64 s3, |v10|, 1.0
	v_cmp_ngt_f32_e64 s19, 0x25000000, |v11|
                                        ; implicit-def: $vgpr21
	s_or_b32 s3, s3, s19
	s_delay_alu instid0(SALU_CYCLE_1) | instskip(NEXT) | instid1(SALU_CYCLE_1)
	s_and_saveexec_b32 s19, s3
	s_xor_b32 s19, exec_lo, s19
	s_cbranch_execz .LBB49_443
; %bb.426:                              ;   in Loop: Header=BB49_418 Depth=1
	v_mul_f32_e64 v7, 0x34000000, |v28|
	s_mov_b32 s20, exec_lo
                                        ; implicit-def: $vgpr21
	s_delay_alu instid0(VALU_DEP_1)
	v_cmpx_ge_f32_e64 |v11|, v7
	s_xor_b32 s20, exec_lo, s20
	s_cbranch_execz .LBB49_436
; %bb.427:                              ;   in Loop: Header=BB49_418 Depth=1
	v_mov_b32_e32 v7, v34
	s_mov_b32 s3, exec_lo
	v_cmpx_neq_f32_e32 0, v29
	s_cbranch_execz .LBB49_429
; %bb.428:                              ;   in Loop: Header=BB49_418 Depth=1
	v_mul_f32_e32 v7, v11, v11
	v_add_f32_e32 v8, v29, v35
	s_delay_alu instid0(VALU_DEP_1) | instskip(NEXT) | instid1(VALU_DEP_1)
	v_div_scale_f32 v9, null, v8, v8, v7
	v_rcp_f32_e32 v21, v9
	v_nop
	s_delay_alu instid0(TRANS32_DEP_1) | instskip(NEXT) | instid1(VALU_DEP_1)
	v_fma_f32 v25, -v9, v21, 1.0
	v_fmac_f32_e32 v21, v25, v21
	v_div_scale_f32 v25, vcc_lo, v7, v8, v7
	s_delay_alu instid0(VALU_DEP_1) | instskip(NEXT) | instid1(VALU_DEP_1)
	v_mul_f32_e32 v36, v25, v21
	v_fma_f32 v37, -v9, v36, v25
	s_delay_alu instid0(VALU_DEP_1) | instskip(NEXT) | instid1(VALU_DEP_1)
	v_fmac_f32_e32 v36, v37, v21
	v_fma_f32 v9, -v9, v36, v25
	s_delay_alu instid0(VALU_DEP_1) | instskip(NEXT) | instid1(VALU_DEP_1)
	v_div_fmas_f32 v9, v9, v21, v36
	v_div_fixup_f32 v7, v9, v8, v7
.LBB49_429:                             ;   in Loop: Header=BB49_418 Depth=1
	s_or_b32 exec_lo, exec_lo, s3
	v_sub_f32_e64 v9, 1.0, |v10|
	s_mov_b32 s3, exec_lo
                                        ; implicit-def: $vgpr8
	s_delay_alu instid0(VALU_DEP_1)
	v_cmpx_ngt_f32_e32 0, v9
	s_xor_b32 s3, exec_lo, s3
	s_cbranch_execz .LBB49_433
; %bb.430:                              ;   in Loop: Header=BB49_418 Depth=1
	v_mov_b32_e32 v8, v34
	s_mov_b32 s21, exec_lo
	v_cmpx_neq_f32_e32 0, v9
	s_cbranch_execz .LBB49_432
; %bb.431:                              ;   in Loop: Header=BB49_418 Depth=1
	v_dual_mul_f32 v8, v11, v11 :: v_dual_add_f32 v9, v9, v33
	s_delay_alu instid0(VALU_DEP_1) | instskip(NEXT) | instid1(VALU_DEP_1)
	v_div_scale_f32 v21, null, v9, v9, v8
	v_rcp_f32_e32 v25, v21
	v_nop
	s_delay_alu instid0(TRANS32_DEP_1) | instskip(NEXT) | instid1(VALU_DEP_1)
	v_fma_f32 v36, -v21, v25, 1.0
	v_fmac_f32_e32 v25, v36, v25
	v_div_scale_f32 v36, vcc_lo, v8, v9, v8
	s_delay_alu instid0(VALU_DEP_1) | instskip(NEXT) | instid1(VALU_DEP_1)
	v_mul_f32_e32 v37, v36, v25
	v_fma_f32 v38, -v21, v37, v36
	s_delay_alu instid0(VALU_DEP_1) | instskip(NEXT) | instid1(VALU_DEP_1)
	v_fmac_f32_e32 v37, v38, v25
	v_fma_f32 v21, -v21, v37, v36
	s_delay_alu instid0(VALU_DEP_1) | instskip(NEXT) | instid1(VALU_DEP_1)
	v_div_fmas_f32 v21, v21, v25, v37
	v_div_fixup_f32 v8, v21, v9, v8
.LBB49_432:                             ;   in Loop: Header=BB49_418 Depth=1
	s_or_b32 exec_lo, exec_lo, s21
                                        ; implicit-def: $vgpr9
.LBB49_433:                             ;   in Loop: Header=BB49_418 Depth=1
	s_and_not1_saveexec_b32 s3, s3
; %bb.434:                              ;   in Loop: Header=BB49_418 Depth=1
	v_sub_f32_e32 v8, v33, v9
; %bb.435:                              ;   in Loop: Header=BB49_418 Depth=1
	s_or_b32 exec_lo, exec_lo, s3
	s_delay_alu instid0(VALU_DEP_1) | instskip(NEXT) | instid1(VALU_DEP_1)
	v_dual_mul_f32 v7, 0.5, v7 :: v_dual_mul_f32 v21, 0.5, v8
	v_pk_add_f32 v[8:9], v[6:7], v[20:21]
	s_delay_alu instid0(VALU_DEP_1) | instskip(NEXT) | instid1(VALU_DEP_1)
	v_mul_f32_e32 v7, v8, v9
	v_mul_f32_e32 v8, 0x4f800000, v7
	v_cmp_gt_f32_e32 vcc_lo, 0xf800000, v7
	s_delay_alu instid0(VALU_DEP_2) | instskip(NEXT) | instid1(VALU_DEP_1)
	v_cndmask_b32_e32 v7, v7, v8, vcc_lo
	v_sqrt_f32_e32 v8, v7
	v_nop
	s_delay_alu instid0(TRANS32_DEP_1) | instskip(NEXT) | instid1(VALU_DEP_1)
	v_dual_add_nc_u32 v21, -1, v8 :: v_dual_add_nc_u32 v25, 1, v8
	v_fma_f32 v36, -v21, v8, v7
	s_delay_alu instid0(VALU_DEP_2) | instskip(NEXT) | instid1(VALU_DEP_2)
	v_fma_f32 v37, -v25, v8, v7
	v_cmp_ge_f32_e64 s3, 0, v36
	s_delay_alu instid0(VALU_DEP_1) | instskip(NEXT) | instid1(VALU_DEP_3)
	v_cndmask_b32_e64 v8, v8, v21, s3
	v_cmp_lt_f32_e64 s3, 0, v37
	s_delay_alu instid0(VALU_DEP_1) | instskip(NEXT) | instid1(VALU_DEP_1)
	v_cndmask_b32_e64 v8, v8, v25, s3
	v_mul_f32_e32 v21, 0x37800000, v8
	s_delay_alu instid0(VALU_DEP_1) | instskip(SKIP_1) | instid1(VALU_DEP_2)
	v_cndmask_b32_e32 v8, v8, v21, vcc_lo
	v_cmp_class_f32_e64 vcc_lo, v7, 0x260
	v_cndmask_b32_e32 v7, v8, v7, vcc_lo
	s_delay_alu instid0(VALU_DEP_1) | instskip(NEXT) | instid1(VALU_DEP_1)
	v_add_f32_e32 v8, v9, v7
	v_add_f32_e32 v37, 1.0, v8
	s_delay_alu instid0(VALU_DEP_1) | instskip(SKIP_2) | instid1(VALU_DEP_2)
	v_cvt_f64_f32_e32 v[38:39], v37
	v_frexp_mant_f32_e32 v21, v37
	v_add_f32_e32 v9, -1.0, v37
	v_cmp_gt_f32_e32 vcc_lo, 0x3f2aaaab, v21
	s_delay_alu instid0(VALU_DEP_2) | instskip(SKIP_1) | instid1(VALU_DEP_2)
	v_mov_b32_e32 v36, v9
	v_frexp_exp_i32_f64_e32 v7, v[38:39]
	v_pk_add_f32 v[38:39], v[8:9], v[36:37] neg_lo:[0,1] neg_hi:[0,1]
	s_delay_alu instid0(VALU_DEP_2) | instskip(SKIP_1) | instid1(VALU_DEP_2)
	v_subrev_co_ci_u32_e64 v7, null, 0, v7, vcc_lo
	v_cmp_neq_f32_e32 vcc_lo, 0x7f800000, v8
	v_sub_nc_u32_e32 v21, 0, v7
	s_delay_alu instid0(VALU_DEP_1) | instskip(NEXT) | instid1(VALU_DEP_1)
	v_ldexp_f32 v9, v37, v21
	v_dual_add_f32 v36, 1.0, v9 :: v_dual_add_f32 v25, 1.0, v39
	s_delay_alu instid0(VALU_DEP_1) | instskip(NEXT) | instid1(VALU_DEP_1)
	v_dual_add_f32 v37, -1.0, v36 :: v_dual_add_f32 v25, v38, v25
	v_ldexp_f32 v21, v25, v21
	v_add_f32_e32 v41, -1.0, v9
	s_delay_alu instid0(VALU_DEP_3) | instskip(NEXT) | instid1(VALU_DEP_2)
	v_sub_f32_e32 v25, v9, v37
	v_add_f32_e32 v37, 1.0, v41
	s_delay_alu instid0(VALU_DEP_1) | instskip(NEXT) | instid1(VALU_DEP_3)
	v_sub_f32_e32 v9, v9, v37
	v_add_f32_e32 v25, v21, v25
	s_delay_alu instid0(VALU_DEP_2) | instskip(NEXT) | instid1(VALU_DEP_2)
	v_add_f32_e32 v9, v21, v9
	v_add_f32_e32 v42, v36, v25
	s_delay_alu instid0(VALU_DEP_2) | instskip(NEXT) | instid1(VALU_DEP_2)
	v_add_f32_e32 v37, v41, v9
	v_rcp_f32_e32 v21, v42
	v_nop
	s_delay_alu instid0(TRANS32_DEP_1) | instskip(NEXT) | instid1(VALU_DEP_1)
	v_dual_sub_f32 v36, v42, v36 :: v_dual_mul_f32 v43, v37, v21
	v_dual_mul_f32 v38, v42, v43 :: v_dual_sub_f32 v25, v25, v36
	s_delay_alu instid0(VALU_DEP_1) | instskip(NEXT) | instid1(VALU_DEP_1)
	v_fma_f32 v40, v43, v42, -v38
	v_fmac_f32_e32 v40, v43, v25
	s_delay_alu instid0(VALU_DEP_1) | instskip(NEXT) | instid1(VALU_DEP_1)
	v_dual_add_f32 v36, v38, v40 :: v_dual_sub_f32 v44, v37, v41
	v_dual_sub_f32 v39, v37, v36 :: v_dual_mov_b32 v41, v36
	s_delay_alu instid0(VALU_DEP_2) | instskip(NEXT) | instid1(VALU_DEP_2)
	v_sub_f32_e32 v9, v9, v44
	v_pk_add_f32 v[36:37], v[36:37], v[38:39] neg_lo:[0,1] neg_hi:[0,1]
	s_delay_alu instid0(VALU_DEP_1) | instskip(NEXT) | instid1(VALU_DEP_1)
	v_pk_add_f32 v[36:37], v[36:37], v[40:41] neg_lo:[0,1] neg_hi:[0,1]
	v_add_f32_e32 v9, v9, v37
	s_delay_alu instid0(VALU_DEP_1) | instskip(NEXT) | instid1(VALU_DEP_1)
	v_add_f32_e32 v9, v36, v9
	v_add_f32_e32 v37, v39, v9
	s_delay_alu instid0(VALU_DEP_1) | instskip(NEXT) | instid1(VALU_DEP_1)
	v_mul_f32_e32 v44, v21, v37
	v_mul_f32_e32 v40, v42, v44
	s_delay_alu instid0(VALU_DEP_1) | instskip(NEXT) | instid1(VALU_DEP_1)
	v_fma_f32 v38, v44, v42, -v40
	v_fmac_f32_e32 v38, v44, v25
	v_sub_f32_e32 v25, v39, v37
	s_delay_alu instid0(VALU_DEP_2) | instskip(NEXT) | instid1(VALU_DEP_1)
	v_dual_add_f32 v42, v43, v44 :: v_dual_add_f32 v36, v40, v38
	v_dual_mov_b32 v39, v36 :: v_dual_sub_f32 v41, v37, v36
	s_delay_alu instid0(VALU_DEP_2) | instskip(NEXT) | instid1(VALU_DEP_2)
	v_dual_add_f32 v9, v9, v25 :: v_dual_sub_f32 v25, v42, v43
	v_pk_add_f32 v[36:37], v[36:37], v[40:41] neg_lo:[0,1] neg_hi:[0,1]
	s_delay_alu instid0(VALU_DEP_2) | instskip(NEXT) | instid1(VALU_DEP_2)
	v_sub_f32_e32 v25, v44, v25
	v_pk_add_f32 v[36:37], v[36:37], v[38:39] neg_lo:[0,1] neg_hi:[0,1]
	s_delay_alu instid0(VALU_DEP_1) | instskip(NEXT) | instid1(VALU_DEP_1)
	v_add_f32_e32 v9, v9, v37
	v_add_f32_e32 v9, v36, v9
	v_cvt_f32_i32_e32 v36, v7
	s_delay_alu instid0(VALU_DEP_2) | instskip(NEXT) | instid1(VALU_DEP_1)
	v_add_f32_e32 v9, v41, v9
	v_mul_f32_e32 v9, v21, v9
	s_delay_alu instid0(VALU_DEP_1) | instskip(NEXT) | instid1(VALU_DEP_1)
	v_add_f32_e32 v9, v25, v9
	v_add_f32_e32 v21, v42, v9
	s_delay_alu instid0(VALU_DEP_1) | instskip(NEXT) | instid1(VALU_DEP_1)
	v_sub_f32_e32 v7, v21, v42
	v_sub_f32_e32 v7, v9, v7
	v_mul_f32_e32 v25, v21, v21
	v_ldexp_f32 v41, v21, 1
	s_delay_alu instid0(VALU_DEP_3) | instskip(NEXT) | instid1(VALU_DEP_3)
	v_ldexp_f32 v7, v7, 1
	v_dual_fmaak_f32 v38, s9, v25, 0x3ecc95a3 :: v_dual_mul_f32 v37, v21, v25
	s_delay_alu instid0(VALU_DEP_1) | instskip(NEXT) | instid1(VALU_DEP_1)
	v_fmaak_f32 v25, v25, v38, 0x3f2aaada
	v_pk_mul_f32 v[38:39], v[36:37], v[24:25]
	s_delay_alu instid0(VALU_DEP_1) | instskip(SKIP_1) | instid1(VALU_DEP_2)
	v_fma_f32 v40, 0x3f317218, v36, -v38
	v_mov_b32_e32 v42, v38
	v_fmac_f32_e32 v40, 0xb102e308, v36
	s_delay_alu instid0(VALU_DEP_1) | instskip(NEXT) | instid1(VALU_DEP_1)
	v_pk_add_f32 v[36:37], v[38:39], v[40:41]
	v_dual_sub_f32 v9, v37, v41 :: v_dual_mov_b32 v50, v37
	s_delay_alu instid0(VALU_DEP_1) | instskip(SKIP_1) | instid1(VALU_DEP_2)
	v_dual_mov_b32 v41, v36 :: v_dual_sub_f32 v9, v39, v9
	v_pk_add_f32 v[38:39], v[36:37], v[38:39] neg_lo:[0,1] neg_hi:[0,1]
	v_add_f32_e32 v43, v7, v9
	s_delay_alu instid0(VALU_DEP_1) | instskip(NEXT) | instid1(VALU_DEP_1)
	v_pk_add_f32 v[44:45], v[36:37], v[42:43]
	v_mov_b32_e32 v39, v45
	s_delay_alu instid0(VALU_DEP_1) | instskip(SKIP_2) | instid1(VALU_DEP_3)
	v_pk_add_f32 v[46:47], v[40:41], v[38:39]
	v_mov_b32_e32 v46, v45
	v_pk_add_f32 v[38:39], v[40:41], v[38:39] neg_lo:[0,1] neg_hi:[0,1]
	v_dual_mov_b32 v42, v47 :: v_dual_mov_b32 v39, v47
	s_delay_alu instid0(VALU_DEP_1) | instskip(SKIP_1) | instid1(VALU_DEP_2)
	v_pk_add_f32 v[48:49], v[42:43], v[36:37] neg_lo:[0,1] neg_hi:[0,1]
	v_dual_mov_b32 v37, v36 :: v_dual_mov_b32 v36, v43
	v_dual_mov_b32 v51, v48 :: v_dual_mov_b32 v7, v48
	s_delay_alu instid0(VALU_DEP_1) | instskip(NEXT) | instid1(VALU_DEP_2)
	v_pk_add_f32 v[48:49], v[46:47], v[50:51] neg_lo:[0,1] neg_hi:[0,1]
	v_pk_add_f32 v[40:41], v[44:45], v[6:7] neg_lo:[0,1] neg_hi:[0,1]
	v_mov_b32_e32 v40, v38
	s_delay_alu instid0(VALU_DEP_3) | instskip(NEXT) | instid1(VALU_DEP_1)
	v_pk_add_f32 v[36:37], v[36:37], v[48:49] neg_lo:[0,1] neg_hi:[0,1]
	v_pk_add_f32 v[40:41], v[40:41], v[36:37]
	s_delay_alu instid0(VALU_DEP_1) | instskip(NEXT) | instid1(VALU_DEP_1)
	v_mov_b32_e32 v44, v41
	v_pk_add_f32 v[44:45], v[40:41], v[44:45]
	s_delay_alu instid0(VALU_DEP_1) | instskip(NEXT) | instid1(VALU_DEP_1)
	v_pk_add_f32 v[42:43], v[42:43], v[44:45]
	v_dual_mov_b32 v37, v44 :: v_dual_mov_b32 v41, v42
	s_delay_alu instid0(VALU_DEP_1) | instskip(NEXT) | instid1(VALU_DEP_1)
	v_pk_add_f32 v[46:47], v[40:41], v[38:39] neg_lo:[0,1] neg_hi:[0,1]
	v_sub_f32_e32 v7, v40, v46
	s_delay_alu instid0(VALU_DEP_2) | instskip(NEXT) | instid1(VALU_DEP_2)
	v_pk_add_f32 v[36:37], v[36:37], v[46:47] neg_lo:[0,1] neg_hi:[0,1]
	v_sub_f32_e32 v7, v38, v7
	s_delay_alu instid0(VALU_DEP_1) | instskip(NEXT) | instid1(VALU_DEP_1)
	v_add_f32_e32 v7, v36, v7
	v_add_f32_e32 v7, v7, v37
	s_delay_alu instid0(VALU_DEP_1) | instskip(NEXT) | instid1(VALU_DEP_1)
	v_add_f32_e32 v7, v42, v7
	v_cndmask_b32_e32 v7, 0x7f800000, v7, vcc_lo
	v_cmp_ngt_f32_e32 vcc_lo, -1.0, v8
	s_delay_alu instid0(VALU_DEP_2) | instskip(SKIP_1) | instid1(VALU_DEP_2)
	v_cndmask_b32_e32 v7, 0x7fc00000, v7, vcc_lo
	v_cmp_neq_f32_e32 vcc_lo, -1.0, v8
	v_cndmask_b32_e32 v7, 0xff800000, v7, vcc_lo
	v_cmp_gt_f32_e64 vcc_lo, 0x33800000, |v8|
	s_delay_alu instid0(VALU_DEP_2)
	v_cndmask_b32_e32 v21, v7, v8, vcc_lo
.LBB49_436:                             ;   in Loop: Header=BB49_418 Depth=1
	s_and_not1_saveexec_b32 s20, s20
	s_cbranch_execz .LBB49_442
; %bb.437:                              ;   in Loop: Header=BB49_418 Depth=1
	s_mov_b32 s21, exec_lo
                                        ; implicit-def: $vgpr21
	v_cmpx_nlt_f32_e64 |v10|, 1.0
	s_xor_b32 s21, exec_lo, s21
	s_cbranch_execz .LBB49_439
; %bb.438:                              ;   in Loop: Header=BB49_418 Depth=1
	v_mul_f32_e32 v7, v28, v29
	s_delay_alu instid0(VALU_DEP_1) | instskip(SKIP_1) | instid1(VALU_DEP_2)
	v_mul_f32_e32 v8, 0x4f800000, v7
	v_cmp_gt_f32_e32 vcc_lo, 0xf800000, v7
	v_cndmask_b32_e32 v7, v7, v8, vcc_lo
	s_delay_alu instid0(VALU_DEP_1) | instskip(SKIP_1) | instid1(TRANS32_DEP_1)
	v_sqrt_f32_e32 v8, v7
	v_nop
	v_dual_add_nc_u32 v9, -1, v8 :: v_dual_add_nc_u32 v21, 1, v8
	s_delay_alu instid0(VALU_DEP_1) | instskip(NEXT) | instid1(VALU_DEP_2)
	v_fma_f32 v25, -v9, v8, v7
	v_fma_f32 v36, -v21, v8, v7
	s_delay_alu instid0(VALU_DEP_2) | instskip(NEXT) | instid1(VALU_DEP_1)
	v_cmp_ge_f32_e64 s3, 0, v25
	v_cndmask_b32_e64 v8, v8, v9, s3
	s_delay_alu instid0(VALU_DEP_3) | instskip(NEXT) | instid1(VALU_DEP_1)
	v_cmp_lt_f32_e64 s3, 0, v36
	v_cndmask_b32_e64 v8, v8, v21, s3
	s_delay_alu instid0(VALU_DEP_1) | instskip(NEXT) | instid1(VALU_DEP_1)
	v_mul_f32_e32 v9, 0x37800000, v8
	v_cndmask_b32_e32 v8, v8, v9, vcc_lo
	v_cmp_class_f32_e64 vcc_lo, v7, 0x260
	s_delay_alu instid0(VALU_DEP_2) | instskip(NEXT) | instid1(VALU_DEP_1)
	v_cndmask_b32_e32 v7, v8, v7, vcc_lo
	v_add_f32_e32 v8, v28, v7
	s_delay_alu instid0(VALU_DEP_1) | instskip(NEXT) | instid1(VALU_DEP_1)
	v_add_f32_e32 v37, 1.0, v8
	v_cvt_f64_f32_e32 v[38:39], v37
	v_frexp_mant_f32_e32 v21, v37
	v_add_f32_e32 v9, -1.0, v37
	s_delay_alu instid0(VALU_DEP_2) | instskip(NEXT) | instid1(VALU_DEP_2)
	v_cmp_gt_f32_e32 vcc_lo, 0x3f2aaaab, v21
	v_mov_b32_e32 v36, v9
	v_frexp_exp_i32_f64_e32 v7, v[38:39]
	s_delay_alu instid0(VALU_DEP_2) | instskip(NEXT) | instid1(VALU_DEP_2)
	v_pk_add_f32 v[38:39], v[8:9], v[36:37] neg_lo:[0,1] neg_hi:[0,1]
	v_subrev_co_ci_u32_e64 v7, null, 0, v7, vcc_lo
	v_cmp_neq_f32_e32 vcc_lo, 0x7f800000, v8
	s_delay_alu instid0(VALU_DEP_2) | instskip(NEXT) | instid1(VALU_DEP_1)
	v_sub_nc_u32_e32 v21, 0, v7
	v_ldexp_f32 v9, v37, v21
	s_delay_alu instid0(VALU_DEP_1) | instskip(NEXT) | instid1(VALU_DEP_1)
	v_dual_add_f32 v36, 1.0, v9 :: v_dual_add_f32 v25, 1.0, v39
	v_dual_add_f32 v37, -1.0, v36 :: v_dual_add_f32 v25, v38, v25
	s_delay_alu instid0(VALU_DEP_1) | instskip(SKIP_1) | instid1(VALU_DEP_3)
	v_ldexp_f32 v21, v25, v21
	v_add_f32_e32 v41, -1.0, v9
	v_sub_f32_e32 v25, v9, v37
	s_delay_alu instid0(VALU_DEP_2) | instskip(NEXT) | instid1(VALU_DEP_1)
	v_add_f32_e32 v37, 1.0, v41
	v_sub_f32_e32 v9, v9, v37
	s_delay_alu instid0(VALU_DEP_3) | instskip(NEXT) | instid1(VALU_DEP_2)
	v_add_f32_e32 v25, v21, v25
	v_add_f32_e32 v9, v21, v9
	s_delay_alu instid0(VALU_DEP_2) | instskip(NEXT) | instid1(VALU_DEP_2)
	v_add_f32_e32 v42, v36, v25
	v_add_f32_e32 v37, v41, v9
	s_delay_alu instid0(VALU_DEP_2) | instskip(SKIP_1) | instid1(TRANS32_DEP_1)
	v_rcp_f32_e32 v21, v42
	v_nop
	v_dual_sub_f32 v36, v42, v36 :: v_dual_mul_f32 v43, v37, v21
	s_delay_alu instid0(VALU_DEP_1) | instskip(NEXT) | instid1(VALU_DEP_1)
	v_dual_mul_f32 v38, v42, v43 :: v_dual_sub_f32 v25, v25, v36
	v_fma_f32 v40, v43, v42, -v38
	s_delay_alu instid0(VALU_DEP_1) | instskip(NEXT) | instid1(VALU_DEP_1)
	v_fmac_f32_e32 v40, v43, v25
	v_dual_add_f32 v36, v38, v40 :: v_dual_sub_f32 v44, v37, v41
	s_delay_alu instid0(VALU_DEP_1) | instskip(NEXT) | instid1(VALU_DEP_2)
	v_dual_sub_f32 v39, v37, v36 :: v_dual_mov_b32 v41, v36
	v_sub_f32_e32 v9, v9, v44
	s_delay_alu instid0(VALU_DEP_2) | instskip(NEXT) | instid1(VALU_DEP_1)
	v_pk_add_f32 v[36:37], v[36:37], v[38:39] neg_lo:[0,1] neg_hi:[0,1]
	v_pk_add_f32 v[36:37], v[36:37], v[40:41] neg_lo:[0,1] neg_hi:[0,1]
	s_delay_alu instid0(VALU_DEP_1) | instskip(NEXT) | instid1(VALU_DEP_1)
	v_add_f32_e32 v9, v9, v37
	v_add_f32_e32 v9, v36, v9
	s_delay_alu instid0(VALU_DEP_1) | instskip(NEXT) | instid1(VALU_DEP_1)
	v_add_f32_e32 v37, v39, v9
	v_mul_f32_e32 v44, v21, v37
	s_delay_alu instid0(VALU_DEP_1) | instskip(NEXT) | instid1(VALU_DEP_1)
	v_mul_f32_e32 v40, v42, v44
	v_fma_f32 v38, v44, v42, -v40
	s_delay_alu instid0(VALU_DEP_1) | instskip(SKIP_1) | instid1(VALU_DEP_2)
	v_fmac_f32_e32 v38, v44, v25
	v_sub_f32_e32 v25, v39, v37
	v_dual_add_f32 v42, v43, v44 :: v_dual_add_f32 v36, v40, v38
	s_delay_alu instid0(VALU_DEP_1) | instskip(NEXT) | instid1(VALU_DEP_2)
	v_dual_mov_b32 v39, v36 :: v_dual_sub_f32 v41, v37, v36
	v_dual_add_f32 v9, v9, v25 :: v_dual_sub_f32 v25, v42, v43
	s_delay_alu instid0(VALU_DEP_2) | instskip(NEXT) | instid1(VALU_DEP_2)
	v_pk_add_f32 v[36:37], v[36:37], v[40:41] neg_lo:[0,1] neg_hi:[0,1]
	v_sub_f32_e32 v25, v44, v25
	s_delay_alu instid0(VALU_DEP_2) | instskip(NEXT) | instid1(VALU_DEP_1)
	v_pk_add_f32 v[36:37], v[36:37], v[38:39] neg_lo:[0,1] neg_hi:[0,1]
	v_add_f32_e32 v9, v9, v37
	s_delay_alu instid0(VALU_DEP_1) | instskip(SKIP_1) | instid1(VALU_DEP_2)
	v_add_f32_e32 v9, v36, v9
	v_cvt_f32_i32_e32 v36, v7
	v_add_f32_e32 v9, v41, v9
	s_delay_alu instid0(VALU_DEP_1) | instskip(NEXT) | instid1(VALU_DEP_1)
	v_mul_f32_e32 v9, v21, v9
	v_add_f32_e32 v9, v25, v9
	s_delay_alu instid0(VALU_DEP_1) | instskip(NEXT) | instid1(VALU_DEP_1)
	v_add_f32_e32 v21, v42, v9
	v_sub_f32_e32 v7, v21, v42
	s_delay_alu instid0(VALU_DEP_1) | instskip(SKIP_2) | instid1(VALU_DEP_3)
	v_sub_f32_e32 v7, v9, v7
	v_mul_f32_e32 v25, v21, v21
	v_ldexp_f32 v41, v21, 1
	v_ldexp_f32 v7, v7, 1
	s_delay_alu instid0(VALU_DEP_3) | instskip(NEXT) | instid1(VALU_DEP_1)
	v_dual_fmaak_f32 v38, s9, v25, 0x3ecc95a3 :: v_dual_mul_f32 v37, v21, v25
	v_fmaak_f32 v25, v25, v38, 0x3f2aaada
	s_delay_alu instid0(VALU_DEP_1) | instskip(NEXT) | instid1(VALU_DEP_1)
	v_pk_mul_f32 v[38:39], v[36:37], v[24:25]
	v_fma_f32 v40, 0x3f317218, v36, -v38
	v_mov_b32_e32 v42, v38
	s_delay_alu instid0(VALU_DEP_2) | instskip(NEXT) | instid1(VALU_DEP_1)
	v_fmac_f32_e32 v40, 0xb102e308, v36
	v_pk_add_f32 v[36:37], v[38:39], v[40:41]
	s_delay_alu instid0(VALU_DEP_1) | instskip(NEXT) | instid1(VALU_DEP_1)
	v_dual_sub_f32 v9, v37, v41 :: v_dual_mov_b32 v50, v37
	v_dual_mov_b32 v41, v36 :: v_dual_sub_f32 v9, v39, v9
	v_pk_add_f32 v[38:39], v[36:37], v[38:39] neg_lo:[0,1] neg_hi:[0,1]
	s_delay_alu instid0(VALU_DEP_2) | instskip(NEXT) | instid1(VALU_DEP_1)
	v_add_f32_e32 v43, v7, v9
	v_pk_add_f32 v[44:45], v[36:37], v[42:43]
	s_delay_alu instid0(VALU_DEP_1) | instskip(NEXT) | instid1(VALU_DEP_1)
	v_mov_b32_e32 v39, v45
	v_pk_add_f32 v[46:47], v[40:41], v[38:39]
	v_mov_b32_e32 v46, v45
	v_pk_add_f32 v[38:39], v[40:41], v[38:39] neg_lo:[0,1] neg_hi:[0,1]
	s_delay_alu instid0(VALU_DEP_3) | instskip(NEXT) | instid1(VALU_DEP_1)
	v_dual_mov_b32 v42, v47 :: v_dual_mov_b32 v39, v47
	v_pk_add_f32 v[48:49], v[42:43], v[36:37] neg_lo:[0,1] neg_hi:[0,1]
	v_dual_mov_b32 v37, v36 :: v_dual_mov_b32 v36, v43
	s_delay_alu instid0(VALU_DEP_2) | instskip(NEXT) | instid1(VALU_DEP_1)
	v_dual_mov_b32 v51, v48 :: v_dual_mov_b32 v7, v48
	v_pk_add_f32 v[48:49], v[46:47], v[50:51] neg_lo:[0,1] neg_hi:[0,1]
	s_delay_alu instid0(VALU_DEP_2) | instskip(SKIP_1) | instid1(VALU_DEP_3)
	v_pk_add_f32 v[40:41], v[44:45], v[6:7] neg_lo:[0,1] neg_hi:[0,1]
	v_mov_b32_e32 v40, v38
	v_pk_add_f32 v[36:37], v[36:37], v[48:49] neg_lo:[0,1] neg_hi:[0,1]
	s_delay_alu instid0(VALU_DEP_1) | instskip(NEXT) | instid1(VALU_DEP_1)
	v_pk_add_f32 v[40:41], v[40:41], v[36:37]
	v_mov_b32_e32 v44, v41
	s_delay_alu instid0(VALU_DEP_1) | instskip(NEXT) | instid1(VALU_DEP_1)
	v_pk_add_f32 v[44:45], v[40:41], v[44:45]
	v_pk_add_f32 v[42:43], v[42:43], v[44:45]
	s_delay_alu instid0(VALU_DEP_1) | instskip(NEXT) | instid1(VALU_DEP_1)
	v_dual_mov_b32 v37, v44 :: v_dual_mov_b32 v41, v42
	v_pk_add_f32 v[46:47], v[40:41], v[38:39] neg_lo:[0,1] neg_hi:[0,1]
	s_delay_alu instid0(VALU_DEP_1) | instskip(NEXT) | instid1(VALU_DEP_2)
	v_sub_f32_e32 v7, v40, v46
	v_pk_add_f32 v[36:37], v[36:37], v[46:47] neg_lo:[0,1] neg_hi:[0,1]
	s_delay_alu instid0(VALU_DEP_2) | instskip(NEXT) | instid1(VALU_DEP_1)
	v_sub_f32_e32 v7, v38, v7
	v_add_f32_e32 v7, v36, v7
	s_delay_alu instid0(VALU_DEP_1) | instskip(NEXT) | instid1(VALU_DEP_1)
	v_add_f32_e32 v7, v7, v37
	v_add_f32_e32 v7, v42, v7
	s_delay_alu instid0(VALU_DEP_1) | instskip(SKIP_1) | instid1(VALU_DEP_2)
	v_cndmask_b32_e32 v7, 0x7f800000, v7, vcc_lo
	v_cmp_ngt_f32_e32 vcc_lo, -1.0, v8
	v_cndmask_b32_e32 v7, 0x7fc00000, v7, vcc_lo
	v_cmp_neq_f32_e32 vcc_lo, -1.0, v8
	s_delay_alu instid0(VALU_DEP_2) | instskip(SKIP_1) | instid1(VALU_DEP_2)
	v_cndmask_b32_e32 v7, 0xff800000, v7, vcc_lo
	v_cmp_gt_f32_e64 vcc_lo, 0x33800000, |v8|
	v_cndmask_b32_e32 v21, v7, v8, vcc_lo
.LBB49_439:                             ;   in Loop: Header=BB49_418 Depth=1
	s_and_not1_saveexec_b32 s21, s21
	s_cbranch_execz .LBB49_441
; %bb.440:                              ;   in Loop: Header=BB49_418 Depth=1
	v_sub_f32_e64 v7, 1.0, |v10|
	s_delay_alu instid0(VALU_DEP_1) | instskip(NEXT) | instid1(VALU_DEP_1)
	v_mul_f32_e32 v7, v7, v29
	v_mul_f32_e32 v8, 0x4f800000, v7
	v_cmp_gt_f32_e32 vcc_lo, 0xf800000, v7
	s_delay_alu instid0(VALU_DEP_2) | instskip(NEXT) | instid1(VALU_DEP_1)
	v_cndmask_b32_e32 v7, v7, v8, vcc_lo
	v_sqrt_f32_e32 v8, v7
	v_nop
	s_delay_alu instid0(TRANS32_DEP_1) | instskip(NEXT) | instid1(VALU_DEP_1)
	v_dual_add_nc_u32 v9, -1, v8 :: v_dual_add_nc_u32 v21, 1, v8
	v_fma_f32 v25, -v9, v8, v7
	s_delay_alu instid0(VALU_DEP_2) | instskip(NEXT) | instid1(VALU_DEP_2)
	v_fma_f32 v36, -v21, v8, v7
	v_cmp_ge_f32_e64 s3, 0, v25
	s_delay_alu instid0(VALU_DEP_1) | instskip(NEXT) | instid1(VALU_DEP_3)
	v_cndmask_b32_e64 v8, v8, v9, s3
	v_cmp_lt_f32_e64 s3, 0, v36
	s_delay_alu instid0(VALU_DEP_1) | instskip(NEXT) | instid1(VALU_DEP_1)
	v_cndmask_b32_e64 v8, v8, v21, s3
	v_mul_f32_e32 v9, 0x37800000, v8
	s_delay_alu instid0(VALU_DEP_1) | instskip(SKIP_2) | instid1(VALU_DEP_3)
	v_cndmask_b32_e32 v8, v8, v9, vcc_lo
	v_cmp_class_f32_e64 vcc_lo, v7, 0x260
	v_and_b32_e32 v9, 0x7fffffff, v11
	v_cndmask_b32_e32 v7, v8, v7, vcc_lo
	s_delay_alu instid0(VALU_DEP_1) | instskip(SKIP_1) | instid1(VALU_DEP_2)
	v_div_scale_f32 v8, null, v7, v7, v9
	v_div_scale_f32 v9, vcc_lo, v9, v7, v9
	v_rcp_f32_e32 v21, v8
	v_nop
	s_delay_alu instid0(TRANS32_DEP_1) | instskip(NEXT) | instid1(VALU_DEP_1)
	v_fma_f32 v25, -v8, v21, 1.0
	v_fmac_f32_e32 v21, v25, v21
	s_delay_alu instid0(VALU_DEP_1) | instskip(NEXT) | instid1(VALU_DEP_1)
	v_mul_f32_e32 v25, v9, v21
	v_fma_f32 v36, -v8, v25, v9
	s_delay_alu instid0(VALU_DEP_1) | instskip(NEXT) | instid1(VALU_DEP_1)
	v_fmac_f32_e32 v25, v36, v21
	v_fma_f32 v8, -v8, v25, v9
	s_delay_alu instid0(VALU_DEP_1) | instskip(NEXT) | instid1(VALU_DEP_1)
	v_div_fmas_f32 v8, v8, v21, v25
	v_div_fixup_f32 v21, v8, v7, |v11|
.LBB49_441:                             ;   in Loop: Header=BB49_418 Depth=1
	s_or_b32 exec_lo, exec_lo, s21
.LBB49_442:                             ;   in Loop: Header=BB49_418 Depth=1
	s_delay_alu instid0(SALU_CYCLE_1)
	s_or_b32 exec_lo, exec_lo, s20
.LBB49_443:                             ;   in Loop: Header=BB49_418 Depth=1
	s_and_not1_saveexec_b32 s19, s19
	s_cbranch_execz .LBB49_445
; %bb.444:                              ;   in Loop: Header=BB49_418 Depth=1
	v_mul_f32_e64 v7, 0x4f800000, |v11|
	v_cmp_gt_f32_e64 vcc_lo, 0xf800000, |v11|
	s_delay_alu instid0(VALU_DEP_1) | instskip(NEXT) | instid1(VALU_DEP_1)
	v_cndmask_b32_e64 v7, |v11|, v7, vcc_lo
	v_sqrt_f32_e32 v8, v7
	v_nop
	s_delay_alu instid0(TRANS32_DEP_1) | instskip(NEXT) | instid1(VALU_DEP_1)
	v_dual_add_nc_u32 v9, -1, v8 :: v_dual_add_nc_u32 v21, 1, v8
	v_fma_f32 v25, -v9, v8, v7
	s_delay_alu instid0(VALU_DEP_2) | instskip(NEXT) | instid1(VALU_DEP_2)
	v_fma_f32 v36, -v21, v8, v7
	v_cmp_ge_f32_e64 s3, 0, v25
	s_delay_alu instid0(VALU_DEP_1) | instskip(NEXT) | instid1(VALU_DEP_3)
	v_cndmask_b32_e64 v8, v8, v9, s3
	v_cmp_lt_f32_e64 s3, 0, v36
	s_delay_alu instid0(VALU_DEP_1) | instskip(NEXT) | instid1(VALU_DEP_1)
	v_cndmask_b32_e64 v8, v8, v21, s3
	v_mul_f32_e32 v9, 0x37800000, v8
	s_delay_alu instid0(VALU_DEP_1) | instskip(SKIP_1) | instid1(VALU_DEP_2)
	v_cndmask_b32_e32 v8, v8, v9, vcc_lo
	v_cmp_class_f32_e64 vcc_lo, v7, 0x260
	v_cndmask_b32_e32 v21, v8, v7, vcc_lo
.LBB49_445:                             ;   in Loop: Header=BB49_418 Depth=1
	s_or_b32 exec_lo, exec_lo, s19
.LBB49_446:                             ;   in Loop: Header=BB49_418 Depth=1
	s_delay_alu instid0(SALU_CYCLE_1) | instskip(NEXT) | instid1(SALU_CYCLE_1)
	s_or_b32 exec_lo, exec_lo, s4
	s_mov_b32 s19, exec_lo
                                        ; implicit-def: $sgpr3
                                        ; implicit-def: $vgpr9
                                        ; implicit-def: $vgpr25
	v_cmpx_ngt_f32_e64 0x21000000, |v10|
	s_xor_b32 s19, exec_lo, s19
	s_cbranch_execz .LBB49_470
; %bb.447:                              ;   in Loop: Header=BB49_418 Depth=1
	v_and_b32_e32 v8, 0x7fffffff, v10
	s_mov_b32 s3, 0
	s_mov_b32 s20, exec_lo
	s_delay_alu instid0(VALU_DEP_1) | instskip(NEXT) | instid1(VALU_DEP_1)
	v_div_scale_f32 v7, null, v6, v6, v8
	v_rcp_f32_e32 v9, v7
	v_nop
	s_delay_alu instid0(TRANS32_DEP_1) | instskip(NEXT) | instid1(VALU_DEP_1)
	v_fma_f32 v25, -v7, v9, 1.0
	v_fmac_f32_e32 v9, v25, v9
	v_div_scale_f32 v25, vcc_lo, v8, v6, v8
	s_delay_alu instid0(VALU_DEP_1) | instskip(NEXT) | instid1(VALU_DEP_1)
	v_mul_f32_e32 v36, v25, v9
	v_fma_f32 v37, -v7, v36, v25
	s_delay_alu instid0(VALU_DEP_1) | instskip(NEXT) | instid1(VALU_DEP_1)
	v_fmac_f32_e32 v36, v37, v9
	v_fma_f32 v7, -v7, v36, v25
	s_delay_alu instid0(VALU_DEP_1) | instskip(NEXT) | instid1(VALU_DEP_1)
	v_div_fmas_f32 v7, v7, v9, v36
	v_div_fixup_f32 v25, v7, v6, |v10|
	s_delay_alu instid0(VALU_DEP_1)
	v_cmpx_lt_f32_e32 0x3f244674, v25
	s_cbranch_execz .LBB49_469
; %bb.448:                              ;   in Loop: Header=BB49_418 Depth=1
	v_cmp_neq_f32_e64 s3, |v10|, 1.0
	v_cmp_ngt_f32_e64 s4, 0x30800000, |v11|
	s_or_b32 s3, s3, s4
	s_delay_alu instid0(SALU_CYCLE_1) | instskip(NEXT) | instid1(SALU_CYCLE_1)
	s_and_saveexec_b32 s4, s3
	s_xor_b32 s4, exec_lo, s4
	s_cbranch_execz .LBB49_466
; %bb.449:                              ;   in Loop: Header=BB49_418 Depth=1
	v_mul_f32_e64 v7, 0x34000000, |v28|
	s_mov_b32 s21, exec_lo
	s_delay_alu instid0(VALU_DEP_1)
	v_cmpx_ge_f32_e64 |v11|, v7
	s_xor_b32 s21, exec_lo, s21
	s_cbranch_execz .LBB49_459
; %bb.450:                              ;   in Loop: Header=BB49_418 Depth=1
	v_mov_b32_e32 v7, v34
	s_mov_b32 s3, exec_lo
	v_cmpx_neq_f32_e32 0, v29
	s_cbranch_execz .LBB49_452
; %bb.451:                              ;   in Loop: Header=BB49_418 Depth=1
	v_mul_f32_e32 v7, v11, v11
	v_add_f32_e32 v9, v29, v35
	s_delay_alu instid0(VALU_DEP_1) | instskip(NEXT) | instid1(VALU_DEP_1)
	v_div_scale_f32 v29, null, v9, v9, v7
	v_rcp_f32_e32 v35, v29
	v_nop
	s_delay_alu instid0(TRANS32_DEP_1) | instskip(NEXT) | instid1(VALU_DEP_1)
	v_fma_f32 v36, -v29, v35, 1.0
	v_fmac_f32_e32 v35, v36, v35
	v_div_scale_f32 v36, vcc_lo, v7, v9, v7
	s_delay_alu instid0(VALU_DEP_1) | instskip(NEXT) | instid1(VALU_DEP_1)
	v_mul_f32_e32 v37, v36, v35
	v_fma_f32 v38, -v29, v37, v36
	s_delay_alu instid0(VALU_DEP_1) | instskip(NEXT) | instid1(VALU_DEP_1)
	v_fmac_f32_e32 v37, v38, v35
	v_fma_f32 v29, -v29, v37, v36
	s_delay_alu instid0(VALU_DEP_1) | instskip(NEXT) | instid1(VALU_DEP_1)
	v_div_fmas_f32 v29, v29, v35, v37
	v_div_fixup_f32 v7, v29, v9, v7
.LBB49_452:                             ;   in Loop: Header=BB49_418 Depth=1
	s_or_b32 exec_lo, exec_lo, s3
	s_delay_alu instid0(SALU_CYCLE_1)
	s_mov_b32 s3, exec_lo
	v_cmpx_ngt_f32_e32 0, v28
	s_xor_b32 s3, exec_lo, s3
	s_cbranch_execz .LBB49_456
; %bb.453:                              ;   in Loop: Header=BB49_418 Depth=1
	s_mov_b32 s22, exec_lo
	v_cmpx_neq_f32_e32 0, v28
	s_cbranch_execz .LBB49_455
; %bb.454:                              ;   in Loop: Header=BB49_418 Depth=1
	v_dual_mul_f32 v9, v11, v11 :: v_dual_add_f32 v28, v28, v33
	s_delay_alu instid0(VALU_DEP_1) | instskip(NEXT) | instid1(VALU_DEP_1)
	v_div_scale_f32 v29, null, v28, v28, v9
	v_rcp_f32_e32 v33, v29
	v_nop
	s_delay_alu instid0(TRANS32_DEP_1) | instskip(NEXT) | instid1(VALU_DEP_1)
	v_fma_f32 v34, -v29, v33, 1.0
	v_fmac_f32_e32 v33, v34, v33
	v_div_scale_f32 v34, vcc_lo, v9, v28, v9
	s_delay_alu instid0(VALU_DEP_1) | instskip(NEXT) | instid1(VALU_DEP_1)
	v_mul_f32_e32 v35, v34, v33
	v_fma_f32 v36, -v29, v35, v34
	s_delay_alu instid0(VALU_DEP_1) | instskip(NEXT) | instid1(VALU_DEP_1)
	v_fmac_f32_e32 v35, v36, v33
	v_fma_f32 v29, -v29, v35, v34
	s_delay_alu instid0(VALU_DEP_1) | instskip(NEXT) | instid1(VALU_DEP_1)
	v_div_fmas_f32 v29, v29, v33, v35
	v_div_fixup_f32 v34, v29, v28, v9
.LBB49_455:                             ;   in Loop: Header=BB49_418 Depth=1
	s_or_b32 exec_lo, exec_lo, s22
                                        ; implicit-def: $vgpr33
                                        ; implicit-def: $vgpr28
.LBB49_456:                             ;   in Loop: Header=BB49_418 Depth=1
	s_and_not1_saveexec_b32 s3, s3
; %bb.457:                              ;   in Loop: Header=BB49_418 Depth=1
	v_sub_f32_e32 v34, v33, v28
; %bb.458:                              ;   in Loop: Header=BB49_418 Depth=1
	s_or_b32 exec_lo, exec_lo, s3
	s_delay_alu instid0(VALU_DEP_1) | instskip(SKIP_1) | instid1(VALU_DEP_1)
	v_dual_mul_f32 v29, 0.5, v7 :: v_dual_mul_f32 v7, 0.5, v34
	v_and_b32_e32 v28, 0x7fffffff, v10
	v_pk_add_f32 v[6:7], v[28:29], v[6:7]
	s_delay_alu instid0(VALU_DEP_1) | instskip(NEXT) | instid1(VALU_DEP_1)
	v_mul_f32_e32 v6, v6, v7
	v_mul_f32_e32 v7, 0x4f800000, v6
	v_cmp_gt_f32_e32 vcc_lo, 0xf800000, v6
	s_delay_alu instid0(VALU_DEP_2) | instskip(NEXT) | instid1(VALU_DEP_1)
	v_cndmask_b32_e32 v6, v6, v7, vcc_lo
	v_sqrt_f32_e32 v7, v6
	v_nop
	s_delay_alu instid0(TRANS32_DEP_1) | instskip(NEXT) | instid1(VALU_DEP_1)
	v_dual_add_nc_u32 v9, -1, v7 :: v_dual_add_nc_u32 v28, 1, v7
	v_dual_fma_f32 v29, -v9, v7, v6 :: v_dual_fma_f32 v33, -v28, v7, v6
	s_delay_alu instid0(VALU_DEP_1) | instskip(NEXT) | instid1(VALU_DEP_1)
	v_cmp_ge_f32_e64 s3, 0, v29
                                        ; implicit-def: $vgpr29
	v_cndmask_b32_e64 v7, v7, v9, s3
	s_delay_alu instid0(VALU_DEP_3) | instskip(NEXT) | instid1(VALU_DEP_1)
	v_cmp_lt_f32_e64 s3, 0, v33
	v_cndmask_b32_e64 v7, v7, v28, s3
                                        ; implicit-def: $vgpr28
	s_delay_alu instid0(VALU_DEP_1) | instskip(NEXT) | instid1(VALU_DEP_1)
	v_mul_f32_e32 v9, 0x37800000, v7
	v_cndmask_b32_e32 v7, v7, v9, vcc_lo
	v_cmp_class_f32_e64 vcc_lo, v6, 0x260
	s_delay_alu instid0(VALU_DEP_2)
	v_cndmask_b32_e32 v9, v7, v6, vcc_lo
.LBB49_459:                             ;   in Loop: Header=BB49_418 Depth=1
	s_and_not1_saveexec_b32 s21, s21
	s_cbranch_execz .LBB49_465
; %bb.460:                              ;   in Loop: Header=BB49_418 Depth=1
	s_mov_b32 s22, exec_lo
	v_cmpx_ngt_f32_e64 |v10|, 1.0
	s_xor_b32 s22, exec_lo, s22
	s_cbranch_execz .LBB49_462
; %bb.461:                              ;   in Loop: Header=BB49_418 Depth=1
	v_sub_f32_e64 v6, 1.0, |v10|
	s_delay_alu instid0(VALU_DEP_1) | instskip(NEXT) | instid1(VALU_DEP_1)
	v_mul_f32_e32 v6, v6, v29
	v_mul_f32_e32 v7, 0x4f800000, v6
	v_cmp_gt_f32_e32 vcc_lo, 0xf800000, v6
	s_delay_alu instid0(VALU_DEP_2) | instskip(NEXT) | instid1(VALU_DEP_1)
	v_cndmask_b32_e32 v6, v6, v7, vcc_lo
	v_sqrt_f32_e32 v7, v6
	v_nop
	s_delay_alu instid0(TRANS32_DEP_1) | instskip(NEXT) | instid1(VALU_DEP_1)
	v_dual_add_nc_u32 v9, -1, v7 :: v_dual_add_nc_u32 v28, 1, v7
	v_dual_fma_f32 v29, -v9, v7, v6 :: v_dual_fma_f32 v33, -v28, v7, v6
	s_delay_alu instid0(VALU_DEP_1) | instskip(NEXT) | instid1(VALU_DEP_1)
	v_cmp_ge_f32_e64 s3, 0, v29
                                        ; implicit-def: $vgpr29
	v_cndmask_b32_e64 v7, v7, v9, s3
	s_delay_alu instid0(VALU_DEP_3) | instskip(NEXT) | instid1(VALU_DEP_1)
	v_cmp_lt_f32_e64 s3, 0, v33
	v_cndmask_b32_e64 v7, v7, v28, s3
                                        ; implicit-def: $vgpr28
	s_delay_alu instid0(VALU_DEP_1) | instskip(NEXT) | instid1(VALU_DEP_1)
	v_mul_f32_e32 v9, 0x37800000, v7
	v_cndmask_b32_e32 v7, v7, v9, vcc_lo
	v_cmp_class_f32_e64 vcc_lo, v6, 0x260
	s_delay_alu instid0(VALU_DEP_2)
	v_cndmask_b32_e32 v9, v7, v6, vcc_lo
.LBB49_462:                             ;   in Loop: Header=BB49_418 Depth=1
	s_and_not1_saveexec_b32 s22, s22
	s_cbranch_execz .LBB49_464
; %bb.463:                              ;   in Loop: Header=BB49_418 Depth=1
	v_mul_f32_e32 v6, v29, v28
	s_delay_alu instid0(VALU_DEP_1) | instskip(SKIP_1) | instid1(VALU_DEP_2)
	v_mul_f32_e32 v7, 0x4f800000, v6
	v_cmp_gt_f32_e32 vcc_lo, 0xf800000, v6
	v_cndmask_b32_e32 v6, v6, v7, vcc_lo
	s_delay_alu instid0(VALU_DEP_1) | instskip(SKIP_1) | instid1(TRANS32_DEP_1)
	v_sqrt_f32_e32 v7, v6
	v_nop
	v_dual_add_nc_u32 v8, -1, v7 :: v_dual_add_nc_u32 v9, 1, v7
	s_delay_alu instid0(VALU_DEP_1) | instskip(NEXT) | instid1(VALU_DEP_1)
	v_dual_fma_f32 v28, -v8, v7, v6 :: v_dual_fma_f32 v29, -v9, v7, v6
	v_cmp_ge_f32_e64 s3, 0, v28
	s_delay_alu instid0(VALU_DEP_1) | instskip(NEXT) | instid1(VALU_DEP_3)
	v_cndmask_b32_e64 v7, v7, v8, s3
	v_cmp_lt_f32_e64 s3, 0, v29
	s_delay_alu instid0(VALU_DEP_1) | instskip(SKIP_1) | instid1(VALU_DEP_2)
	v_cndmask_b32_e64 v7, v7, v9, s3
	v_mul_f32_e64 v9, 0x57800000, |v11|
	v_mul_f32_e32 v8, 0x37800000, v7
	s_delay_alu instid0(VALU_DEP_1) | instskip(SKIP_1) | instid1(VALU_DEP_4)
	v_cndmask_b32_e32 v7, v7, v8, vcc_lo
	v_cmp_class_f32_e64 vcc_lo, v6, 0x260
	v_mul_f32_e64 v8, |v10|, v9
	s_delay_alu instid0(VALU_DEP_3) | instskip(NEXT) | instid1(VALU_DEP_1)
	v_cndmask_b32_e32 v6, v7, v6, vcc_lo
	v_div_scale_f32 v7, null, v6, v6, v8
	v_div_scale_f32 v29, vcc_lo, v8, v6, v8
	s_delay_alu instid0(VALU_DEP_2) | instskip(SKIP_1) | instid1(TRANS32_DEP_1)
	v_rcp_f32_e32 v9, v7
	v_nop
	v_fma_f32 v28, -v7, v9, 1.0
	s_delay_alu instid0(VALU_DEP_1) | instskip(NEXT) | instid1(VALU_DEP_1)
	v_fmac_f32_e32 v9, v28, v9
	v_mul_f32_e32 v28, v29, v9
	s_delay_alu instid0(VALU_DEP_1) | instskip(NEXT) | instid1(VALU_DEP_1)
	v_fma_f32 v33, -v7, v28, v29
	v_fmac_f32_e32 v28, v33, v9
	s_delay_alu instid0(VALU_DEP_1) | instskip(NEXT) | instid1(VALU_DEP_1)
	v_fma_f32 v7, -v7, v28, v29
	v_div_fmas_f32 v7, v7, v9, v28
	s_delay_alu instid0(VALU_DEP_1)
	v_div_fixup_f32 v9, v7, v6, v8
	v_mul_f32_e64 v8, 0x57800000, |v10|
.LBB49_464:                             ;   in Loop: Header=BB49_418 Depth=1
	s_or_b32 exec_lo, exec_lo, s22
.LBB49_465:                             ;   in Loop: Header=BB49_418 Depth=1
	s_delay_alu instid0(SALU_CYCLE_1)
	s_or_b32 exec_lo, exec_lo, s21
                                        ; implicit-def: $vgpr6
.LBB49_466:                             ;   in Loop: Header=BB49_418 Depth=1
	s_and_not1_saveexec_b32 s21, s4
	s_cbranch_execz .LBB49_468
; %bb.467:                              ;   in Loop: Header=BB49_418 Depth=1
	v_add_f32_e32 v6, 1.0, v6
	v_mul_f32_e64 v7, 0x4f800000, |v11|
	v_cmp_gt_f32_e64 vcc_lo, 0xf800000, |v11|
	s_delay_alu instid0(VALU_DEP_3) | instskip(NEXT) | instid1(VALU_DEP_2)
	v_mul_f32_e32 v6, 0.5, v6
	v_cndmask_b32_e64 v7, |v11|, v7, vcc_lo
	s_delay_alu instid0(VALU_DEP_2) | instskip(SKIP_1) | instid1(VALU_DEP_1)
	v_mul_f32_e32 v8, 0x4f800000, v6
	v_cmp_gt_f32_e64 s3, 0xf800000, v6
	v_cndmask_b32_e64 v6, v6, v8, s3
	s_delay_alu instid0(VALU_DEP_4) | instskip(SKIP_1) | instid1(TRANS32_DEP_1)
	v_sqrt_f32_e32 v8, v7
	v_nop
	v_add_nc_u32_e32 v33, 1, v8
	s_delay_alu instid0(VALU_DEP_3) | instskip(SKIP_1) | instid1(TRANS32_DEP_1)
	v_sqrt_f32_e32 v9, v6
	v_nop
	v_dual_add_nc_u32 v28, -1, v8 :: v_dual_add_nc_u32 v29, -1, v9
	s_delay_alu instid0(VALU_DEP_1) | instskip(SKIP_1) | instid1(VALU_DEP_3)
	v_dual_fma_f32 v34, -v28, v8, v7 :: v_dual_add_nc_u32 v35, 1, v9
	v_fma_f32 v37, -v33, v8, v7
	v_fma_f32 v36, -v29, v9, v6
	s_delay_alu instid0(VALU_DEP_3) | instskip(NEXT) | instid1(VALU_DEP_1)
	v_cmp_ge_f32_e64 s4, 0, v34
	v_cndmask_b32_e64 v8, v8, v28, s4
	s_delay_alu instid0(VALU_DEP_3) | instskip(SKIP_1) | instid1(VALU_DEP_2)
	v_cmp_ge_f32_e64 s4, 0, v36
	v_fma_f32 v28, -v35, v9, v6
	v_cndmask_b32_e64 v9, v9, v29, s4
	v_cmp_lt_f32_e64 s4, 0, v37
	s_delay_alu instid0(VALU_DEP_1) | instskip(NEXT) | instid1(VALU_DEP_4)
	v_cndmask_b32_e64 v8, v8, v33, s4
	v_cmp_lt_f32_e64 s4, 0, v28
	s_delay_alu instid0(VALU_DEP_1) | instskip(NEXT) | instid1(VALU_DEP_1)
	v_cndmask_b32_e64 v9, v9, v35, s4
	v_dual_mul_f32 v28, 0x37800000, v8 :: v_dual_mul_f32 v29, 0x37800000, v9
	s_delay_alu instid0(VALU_DEP_1) | instskip(SKIP_1) | instid1(VALU_DEP_1)
	v_cndmask_b32_e32 v8, v8, v28, vcc_lo
	v_cmp_class_f32_e64 vcc_lo, v7, 0x260
	v_dual_cndmask_b32 v9, v9, v29, s3 :: v_dual_cndmask_b32 v7, v8, v7, vcc_lo
	v_cmp_class_f32_e64 vcc_lo, v6, 0x260
	s_delay_alu instid0(VALU_DEP_1) | instskip(NEXT) | instid1(VALU_DEP_1)
	v_dual_cndmask_b32 v6, v9, v6, vcc_lo :: v_dual_mov_b32 v8, 1.0
	v_mul_f32_e32 v9, v7, v6
.LBB49_468:                             ;   in Loop: Header=BB49_418 Depth=1
	s_or_b32 exec_lo, exec_lo, s21
	s_delay_alu instid0(SALU_CYCLE_1)
	s_mov_b32 s3, exec_lo
.LBB49_469:                             ;   in Loop: Header=BB49_418 Depth=1
	s_or_b32 exec_lo, exec_lo, s20
                                        ; implicit-def: $vgpr6
.LBB49_470:                             ;   in Loop: Header=BB49_418 Depth=1
	s_and_not1_saveexec_b32 s4, s19
; %bb.471:                              ;   in Loop: Header=BB49_418 Depth=1
	v_and_b32_e32 v8, 0x7fffffff, v10
	v_mov_b32_e32 v9, v6
	s_or_b32 s3, s3, exec_lo
                                        ; implicit-def: $vgpr25
	s_delay_alu instid0(VALU_DEP_1)
	v_pk_mul_f32 v[8:9], v[8:9], s[8:9] op_sel_hi:[1,0]
; %bb.472:                              ;   in Loop: Header=BB49_418 Depth=1
	s_or_b32 exec_lo, exec_lo, s4
	s_xor_b32 s3, s3, -1
                                        ; implicit-def: $vgpr6
	s_delay_alu instid0(SALU_CYCLE_1) | instskip(NEXT) | instid1(SALU_CYCLE_1)
	s_and_saveexec_b32 s4, s3
	s_xor_b32 s4, exec_lo, s4
	s_cbranch_execz .LBB49_478
; %bb.473:                              ;   in Loop: Header=BB49_418 Depth=1
                                        ; implicit-def: $vgpr6
	s_and_saveexec_b32 s3, s2
	s_delay_alu instid0(SALU_CYCLE_1)
	s_xor_b32 s3, exec_lo, s3
	s_cbranch_execz .LBB49_475
; %bb.474:                              ;   in Loop: Header=BB49_418 Depth=1
	v_fma_f32 v6, |v25|, -0.5, 0.5
	v_mul_f32_e32 v7, v25, v25
	v_cmp_gt_f32_e64 vcc_lo, |v25|, 0.5
	s_delay_alu instid0(VALU_DEP_2) | instskip(NEXT) | instid1(VALU_DEP_1)
	v_cndmask_b32_e32 v6, v7, v6, vcc_lo
	v_fmaak_f32 v7, s10, v6, 0x3c5fc5da
	v_sqrt_f32_e32 v8, v6
	s_delay_alu instid0(VALU_DEP_1) | instskip(NEXT) | instid1(VALU_DEP_1)
	v_fmaak_f32 v7, v6, v7, 0x3d034c3c
	v_fmaak_f32 v7, v6, v7, 0x3d3641b1
	s_delay_alu instid0(VALU_DEP_1) | instskip(NEXT) | instid1(VALU_DEP_1)
	v_fmaak_f32 v7, v6, v7, 0x3d999bc8
	v_fmaak_f32 v7, v6, v7, 0x3e2aaaac
	s_delay_alu instid0(VALU_DEP_1)
	v_mul_f32_e32 v6, v6, v7
	s_delay_alu instid0(TRANS32_DEP_1) | instid1(VALU_DEP_1)
	v_dual_fmac_f32 v8, v8, v6 :: v_dual_fmac_f32 v25, v25, v6
	s_delay_alu instid0(VALU_DEP_1) | instskip(NEXT) | instid1(VALU_DEP_1)
	v_dual_add_f32 v6, v8, v8 :: v_dual_sub_f32 v7, 0x3fc90fdb, v25
                                        ; implicit-def: $vgpr25
	v_cndmask_b32_e32 v6, v7, v6, vcc_lo
.LBB49_475:                             ;   in Loop: Header=BB49_418 Depth=1
	s_and_not1_saveexec_b32 s19, s3
	s_cbranch_execz .LBB49_477
; %bb.476:                              ;   in Loop: Header=BB49_418 Depth=1
	v_fma_f32 v6, |v25|, -0.5, 0.5
	v_mul_f32_e32 v7, v25, v25
	v_cmp_gt_f32_e64 vcc_lo, |v25|, 0.5
	v_cmp_lt_f32_e64 s3, 0, v25
	s_delay_alu instid0(VALU_DEP_3) | instskip(NEXT) | instid1(VALU_DEP_1)
	v_cndmask_b32_e32 v6, v7, v6, vcc_lo
	v_fmaak_f32 v7, s10, v6, 0x3c5fc5da
	v_sqrt_f32_e32 v8, v6
	s_delay_alu instid0(VALU_DEP_1) | instskip(NEXT) | instid1(VALU_DEP_1)
	v_fmaak_f32 v7, v6, v7, 0x3d034c3c
	v_fmaak_f32 v7, v6, v7, 0x3d3641b1
	s_delay_alu instid0(VALU_DEP_1) | instskip(NEXT) | instid1(VALU_DEP_1)
	v_fmaak_f32 v7, v6, v7, 0x3d999bc8
	v_fmaak_f32 v7, v6, v7, 0x3e2aaaac
	s_delay_alu instid0(VALU_DEP_1)
	v_mul_f32_e32 v6, v6, v7
	s_delay_alu instid0(TRANS32_DEP_1) | instid1(VALU_DEP_1)
	v_fmac_f32_e32 v8, v8, v6
	s_delay_alu instid0(VALU_DEP_1) | instskip(NEXT) | instid1(VALU_DEP_1)
	v_add_f32_e32 v7, v8, v8
	v_sub_f32_e32 v8, 0x40490fdb, v7
	s_delay_alu instid0(VALU_DEP_1) | instskip(NEXT) | instid1(VALU_DEP_1)
	v_dual_cndmask_b32 v7, v7, v8, s3 :: v_dual_fma_f32 v6, -v25, v6, -v25
	v_sub_f32_e32 v6, 0x3fc90fdb, v6
	s_delay_alu instid0(VALU_DEP_1)
	v_cndmask_b32_e32 v6, v6, v7, vcc_lo
.LBB49_477:                             ;   in Loop: Header=BB49_418 Depth=1
	s_or_b32 exec_lo, exec_lo, s19
                                        ; implicit-def: $vgpr8
.LBB49_478:                             ;   in Loop: Header=BB49_418 Depth=1
	s_and_not1_saveexec_b32 s3, s4
	s_cbranch_execz .LBB49_484
; %bb.479:                              ;   in Loop: Header=BB49_418 Depth=1
	v_max_num_f32_e64 v6, |v9|, |v9|
	v_max_num_f32_e32 v7, v8, v8
	v_cmp_gt_f32_e64 vcc_lo, |v9|, v8
	s_delay_alu instid0(VALU_DEP_2) | instskip(NEXT) | instid1(VALU_DEP_1)
	v_dual_max_num_f32 v25, v7, v6 :: v_dual_min_num_f32 v6, v7, v6
	v_frexp_mant_f32_e32 v28, v25
	v_frexp_exp_i32_f32_e32 v25, v25
	s_delay_alu instid0(VALU_DEP_2)
	v_rcp_f32_e32 v7, v28
	v_nop
	v_frexp_mant_f32_e32 v28, v6
	v_frexp_exp_i32_f32_e32 v6, v6
	s_delay_alu instid0(TRANS32_DEP_1) | instid1(VALU_DEP_1)
	v_dual_mul_f32 v7, v28, v7 :: v_dual_sub_nc_u32 v6, v6, v25
	s_delay_alu instid0(VALU_DEP_1) | instskip(NEXT) | instid1(VALU_DEP_1)
	v_ldexp_f32 v6, v7, v6
	v_mul_f32_e32 v7, v6, v6
	s_delay_alu instid0(VALU_DEP_1) | instskip(NEXT) | instid1(VALU_DEP_1)
	v_fmaak_f32 v25, s11, v7, 0xbc7a590c
	v_fmaak_f32 v25, v7, v25, 0x3d29fb3f
	s_delay_alu instid0(VALU_DEP_1) | instskip(NEXT) | instid1(VALU_DEP_1)
	v_fmaak_f32 v25, v7, v25, 0xbd97d4d7
	v_fmaak_f32 v25, v7, v25, 0x3dd931b2
	;; [unrolled: 3-line block ×3, first 2 shown]
	s_delay_alu instid0(VALU_DEP_1) | instskip(NEXT) | instid1(VALU_DEP_1)
	v_fmaak_f32 v25, v7, v25, 0xbeaaaa62
	v_mul_f32_e32 v7, v7, v25
	s_delay_alu instid0(VALU_DEP_1) | instskip(NEXT) | instid1(VALU_DEP_1)
	v_fmac_f32_e32 v6, v6, v7
	v_sub_f32_e32 v7, 0x3fc90fdb, v6
	s_delay_alu instid0(VALU_DEP_1) | instskip(SKIP_1) | instid1(SALU_CYCLE_1)
	v_cndmask_b32_e32 v7, v6, v7, vcc_lo
                                        ; implicit-def: $vgpr6
	s_and_saveexec_b32 s4, s2
	s_xor_b32 s4, exec_lo, s4
	s_cbranch_execz .LBB49_481
; %bb.480:                              ;   in Loop: Header=BB49_418 Depth=1
	v_cmp_neq_f32_e64 s2, 0, v9
	v_cmp_eq_f32_e32 vcc_lo, 0x7f800000, v8
	v_cmp_class_f32_e64 s19, v9, 0x204
	s_delay_alu instid0(VALU_DEP_3) | instskip(SKIP_2) | instid1(VALU_DEP_2)
	v_cndmask_b32_e64 v6, 0, v7, s2
                                        ; implicit-def: $vgpr7
	s_and_b32 s2, vcc_lo, s19
	v_cmp_o_f32_e32 vcc_lo, v9, v9
	v_cndmask_b32_e64 v6, v6, 0x3f490fdb, s2
	s_delay_alu instid0(VALU_DEP_1) | instskip(NEXT) | instid1(VALU_DEP_1)
	v_cndmask_b32_e32 v6, 0x7fc00000, v6, vcc_lo
	v_bfi_b32 v6, 0x7fffffff, v6, v9
                                        ; implicit-def: $vgpr8
.LBB49_481:                             ;   in Loop: Header=BB49_418 Depth=1
	s_and_not1_saveexec_b32 s4, s4
	s_cbranch_execz .LBB49_483
; %bb.482:                              ;   in Loop: Header=BB49_418 Depth=1
	v_sub_f32_e32 v6, 0x40490fdb, v7
	v_cmp_lt_f32_e32 vcc_lo, 0, v8
	v_cmp_neq_f32_e64 s2, 0, v9
	v_cmp_class_f32_e64 s19, v9, 0x204
	s_delay_alu instid0(VALU_DEP_4) | instskip(SKIP_1) | instid1(VALU_DEP_2)
	v_cndmask_b32_e32 v6, v7, v6, vcc_lo
	v_cmp_eq_f32_e32 vcc_lo, 0x7f800000, v8
	v_cndmask_b32_e64 v6, 0x40490fdb, v6, s2
	s_and_b32 s2, vcc_lo, s19
	v_cmp_o_f32_e32 vcc_lo, v9, v9
	s_delay_alu instid0(VALU_DEP_2) | instskip(NEXT) | instid1(VALU_DEP_1)
	v_cndmask_b32_e64 v6, v6, 0x4016cbe4, s2
	v_cndmask_b32_e32 v6, 0x7fc00000, v6, vcc_lo
	s_delay_alu instid0(VALU_DEP_1)
	v_bfi_b32 v6, 0x7fffffff, v6, v9
.LBB49_483:                             ;   in Loop: Header=BB49_418 Depth=1
	s_or_b32 exec_lo, exec_lo, s4
.LBB49_484:                             ;   in Loop: Header=BB49_418 Depth=1
	s_delay_alu instid0(SALU_CYCLE_1)
	s_or_b32 exec_lo, exec_lo, s3
	v_cndmask_b32_e64 v7, -v21, v21, s0
.LBB49_485:                             ;   in Loop: Header=BB49_418 Depth=1
	s_and_not1_saveexec_b32 s2, s18
	s_cbranch_execz .LBB49_487
; %bb.486:                              ;   in Loop: Header=BB49_418 Depth=1
	flat_load_b32 v6, v[16:17] scope:SCOPE_SYS
	s_wait_loadcnt_dscnt 0x0
	v_sub_f32_e32 v6, v6, v10
	s_delay_alu instid0(VALU_DEP_1)
	v_add_f32_e32 v6, 0x3fc90fdb, v6
.LBB49_487:                             ;   in Loop: Header=BB49_418 Depth=1
	s_or_b32 exec_lo, exec_lo, s2
.LBB49_488:                             ;   in Loop: Header=BB49_418 Depth=1
	s_and_not1_saveexec_b32 s2, s17
; %bb.489:                              ;   in Loop: Header=BB49_418 Depth=1
	v_mov_b32_e32 v6, 0
; %bb.490:                              ;   in Loop: Header=BB49_418 Depth=1
	s_or_b32 exec_lo, exec_lo, s2
                                        ; implicit-def: $vgpr21
                                        ; implicit-def: $vgpr8
                                        ; implicit-def: $vgpr9
.LBB49_491:                             ;   in Loop: Header=BB49_418 Depth=1
	s_and_not1_saveexec_b32 s4, s16
	s_cbranch_execz .LBB49_501
; %bb.492:                              ;   in Loop: Header=BB49_418 Depth=1
	v_cmp_lt_f32_e64 s2, |v10|, |v11|
                                        ; implicit-def: $vgpr7
                                        ; implicit-def: $vgpr6
	s_mov_b32 s3, exec_lo
	v_cndmask_b32_e64 v25, |v10|, |v11|, s2
	s_delay_alu instid0(VALU_DEP_1)
	v_cmpx_nlt_f32_e32 0x7effffff, v25
	s_xor_b32 s16, exec_lo, s3
	s_cbranch_execz .LBB49_498
; %bb.493:                              ;   in Loop: Header=BB49_418 Depth=1
	v_cndmask_b32_e64 v28, |v11|, |v10|, s2
	v_cmp_nlt_f32_e32 vcc_lo, 0x5e000000, v25
                                        ; implicit-def: $vgpr7
                                        ; implicit-def: $vgpr6
	s_delay_alu instid0(VALU_DEP_2) | instskip(SKIP_1) | instid1(SALU_CYCLE_1)
	v_cmp_ngt_f32_e64 s3, 0x20000000, v28
	s_and_b32 s3, vcc_lo, s3
	s_and_saveexec_b32 s17, s3
	s_delay_alu instid0(SALU_CYCLE_1)
	s_xor_b32 s17, exec_lo, s17
	s_cbranch_execz .LBB49_495
; %bb.494:                              ;   in Loop: Header=BB49_418 Depth=1
	v_frexp_mant_f32_e32 v6, v9
	v_min_num_f32_e32 v7, v21, v8
	v_frexp_exp_i32_f32_e32 v8, v9
	s_delay_alu instid0(VALU_DEP_3) | instskip(NEXT) | instid1(VALU_DEP_2)
	v_rcp_f32_e32 v6, v6
	v_frexp_exp_i32_f32_e32 v9, v7
	v_frexp_mant_f32_e32 v7, v7
	s_delay_alu instid0(TRANS32_DEP_1) | instid1(VALU_DEP_1)
	v_dual_mul_f32 v21, v28, v28 :: v_dual_mul_f32 v6, v7, v6
	s_delay_alu instid0(VALU_DEP_1) | instskip(NEXT) | instid1(VALU_DEP_1)
	v_fmac_f32_e32 v21, v25, v25
	v_cmp_gt_f32_e32 vcc_lo, 0x800000, v21
	v_cndmask_b32_e64 v7, 0, 32, vcc_lo
	s_delay_alu instid0(VALU_DEP_1) | instskip(NEXT) | instid1(VALU_DEP_1)
	v_ldexp_f32 v7, v21, v7
	v_log_f32_e32 v7, v7
	v_nop
	s_delay_alu instid0(TRANS32_DEP_1) | instskip(NEXT) | instid1(VALU_DEP_1)
	v_dual_mul_f32 v21, 0x3f317217, v7 :: v_dual_sub_nc_u32 v8, v9, v8
	v_ldexp_f32 v6, v6, v8
	v_cmp_gt_f32_e64 s3, 0x7f800000, |v7|
	s_delay_alu instid0(VALU_DEP_3) | instskip(NEXT) | instid1(VALU_DEP_3)
	v_fma_f32 v21, 0x3f317217, v7, -v21
	v_mul_f32_e32 v8, v6, v6
	s_delay_alu instid0(VALU_DEP_1) | instskip(NEXT) | instid1(VALU_DEP_1)
	v_fmaak_f32 v9, s11, v8, 0xbc7a590c
	v_fmaak_f32 v9, v8, v9, 0x3d29fb3f
	s_delay_alu instid0(VALU_DEP_1) | instskip(NEXT) | instid1(VALU_DEP_1)
	v_fmaak_f32 v9, v8, v9, 0xbd97d4d7
	v_fmaak_f32 v9, v8, v9, 0x3dd931b2
	s_delay_alu instid0(VALU_DEP_1) | instskip(NEXT) | instid1(VALU_DEP_1)
	v_fmaak_f32 v9, v8, v9, 0xbe1160e6
	v_fmaak_f32 v9, v8, v9, 0x3e4cb8bf
	s_delay_alu instid0(VALU_DEP_1) | instskip(NEXT) | instid1(VALU_DEP_1)
	v_fmaak_f32 v9, v8, v9, 0xbeaaaa62
	v_dual_fmac_f32 v21, 0x3377d1cf, v7 :: v_dual_mul_f32 v8, v8, v9
	s_delay_alu instid0(VALU_DEP_1) | instskip(NEXT) | instid1(VALU_DEP_1)
	v_fmac_f32_e32 v21, 0x3f317217, v7
                                        ; implicit-def: $vgpr9
	v_dual_fmac_f32 v6, v6, v8 :: v_dual_cndmask_b32 v7, v7, v21, s3
	v_cndmask_b32_e64 v21, 0, 0x41b17218, vcc_lo
                                        ; implicit-def: $vgpr8
	s_delay_alu instid0(VALU_DEP_1) | instskip(NEXT) | instid1(VALU_DEP_1)
	v_sub_f32_e32 v7, v7, v21
                                        ; implicit-def: $vgpr21
	v_mul_f32_e32 v7, 0.5, v7
.LBB49_495:                             ;   in Loop: Header=BB49_418 Depth=1
	s_and_not1_saveexec_b32 s3, s17
	s_cbranch_execz .LBB49_497
; %bb.496:                              ;   in Loop: Header=BB49_418 Depth=1
	v_cvt_f64_f32_e32 v[6:7], v9
	v_frexp_mant_f32_e32 v28, v9
	v_cmp_neq_f32_e32 vcc_lo, 0x7f800000, v9
	s_delay_alu instid0(VALU_DEP_3) | instskip(NEXT) | instid1(VALU_DEP_1)
	v_frexp_exp_i32_f64_e32 v6, v[6:7]
	v_sub_nc_u32_e32 v7, 0, v6
	s_delay_alu instid0(VALU_DEP_1) | instskip(NEXT) | instid1(VALU_DEP_1)
	v_ldexp_f32 v25, |v11|, v7
	v_mul_f32_e32 v25, v25, v25
	v_ldexp_f32 v7, |v10|, v7
	v_min_num_f32_e32 v8, v21, v8
	v_rcp_f32_e32 v21, v28
	s_delay_alu instid0(VALU_DEP_2) | instskip(SKIP_1) | instid1(VALU_DEP_3)
	v_fmac_f32_e32 v25, v7, v7
	v_frexp_exp_i32_f32_e32 v7, v9
	v_frexp_exp_i32_f32_e32 v28, v8
	v_frexp_mant_f32_e32 v8, v8
	s_delay_alu instid0(VALU_DEP_4) | instskip(NEXT) | instid1(VALU_DEP_2)
	v_sqrt_f32_e32 v25, v25
	v_sub_nc_u32_e32 v7, v28, v7
	s_delay_alu instid0(VALU_DEP_2) | instskip(NEXT) | instid1(TRANS32_DEP_1)
	v_mul_f32_e32 v8, v8, v21
	v_ldexp_f32 v21, v25, v6
	s_delay_alu instid0(VALU_DEP_2) | instskip(NEXT) | instid1(VALU_DEP_1)
	v_ldexp_f32 v6, v8, v7
	v_dual_cndmask_b32 v7, 0x7f800000, v21 :: v_dual_mul_f32 v8, v6, v6
	s_delay_alu instid0(VALU_DEP_1) | instskip(NEXT) | instid1(VALU_DEP_2)
	v_cmp_gt_f32_e32 vcc_lo, 0x800000, v7
	v_fmaak_f32 v21, s11, v8, 0xbc7a590c
	v_cndmask_b32_e64 v9, 0, 32, vcc_lo
	v_cndmask_b32_e64 v25, 0, 0x41b17218, vcc_lo
	s_delay_alu instid0(VALU_DEP_2) | instskip(NEXT) | instid1(VALU_DEP_4)
	v_ldexp_f32 v7, v7, v9
	v_fmaak_f32 v9, v8, v21, 0x3d29fb3f
	s_delay_alu instid0(VALU_DEP_2) | instskip(NEXT) | instid1(VALU_DEP_1)
	v_log_f32_e32 v7, v7
	v_fmaak_f32 v9, v8, v9, 0xbd97d4d7
	s_delay_alu instid0(VALU_DEP_1) | instskip(NEXT) | instid1(TRANS32_DEP_1)
	v_fmaak_f32 v9, v8, v9, 0x3dd931b2
	v_mul_f32_e32 v21, 0x3f317217, v7
	v_cmp_gt_f32_e64 vcc_lo, 0x7f800000, |v7|
	s_delay_alu instid0(VALU_DEP_3) | instskip(NEXT) | instid1(VALU_DEP_3)
	v_fmaak_f32 v9, v8, v9, 0xbe1160e6
	v_fma_f32 v21, 0x3f317217, v7, -v21
	s_delay_alu instid0(VALU_DEP_2) | instskip(NEXT) | instid1(VALU_DEP_2)
	v_fmaak_f32 v9, v8, v9, 0x3e4cb8bf
	v_fmac_f32_e32 v21, 0x3377d1cf, v7
	s_delay_alu instid0(VALU_DEP_2) | instskip(NEXT) | instid1(VALU_DEP_1)
	v_fmaak_f32 v9, v8, v9, 0xbeaaaa62
	v_dual_fmac_f32 v21, 0x3f317217, v7 :: v_dual_mul_f32 v8, v8, v9
	s_delay_alu instid0(VALU_DEP_1) | instskip(NEXT) | instid1(VALU_DEP_1)
	v_dual_cndmask_b32 v7, v7, v21 :: v_dual_fmac_f32 v6, v6, v8
	v_sub_f32_e32 v7, v7, v25
.LBB49_497:                             ;   in Loop: Header=BB49_418 Depth=1
	s_or_b32 exec_lo, exec_lo, s3
                                        ; implicit-def: $vgpr21
                                        ; implicit-def: $vgpr8
                                        ; implicit-def: $vgpr9
.LBB49_498:                             ;   in Loop: Header=BB49_418 Depth=1
	s_and_not1_saveexec_b32 s16, s16
	s_cbranch_execz .LBB49_500
; %bb.499:                              ;   in Loop: Header=BB49_418 Depth=1
	v_div_scale_f32 v6, null, 0x402df854, 0x402df854, v10
	v_div_scale_f32 v7, null, 0x402df854, 0x402df854, v11
	v_div_scale_f32 v34, vcc_lo, v10, 0x402df854, v10
	s_delay_alu instid0(VALU_DEP_3) | instskip(NEXT) | instid1(VALU_DEP_2)
	v_rcp_f32_e32 v25, v6
	v_rcp_f32_e32 v28, v7
	v_min_num_f32_e32 v8, v21, v8
	s_wait_dscnt 0x1
	s_delay_alu instid0(TRANS32_DEP_2) | instskip(NEXT) | instid1(TRANS32_DEP_1)
	v_fma_f32 v29, -v6, v25, 1.0
	v_fma_f32 v33, -v7, v28, 1.0
	s_delay_alu instid0(VALU_DEP_1) | instskip(NEXT) | instid1(VALU_DEP_3)
	v_fmac_f32_e32 v28, v33, v28
	v_fmac_f32_e32 v25, v29, v25
	v_div_scale_f32 v29, s3, v11, 0x402df854, v11
	s_delay_alu instid0(VALU_DEP_1) | instskip(NEXT) | instid1(VALU_DEP_1)
	v_dual_mul_f32 v35, v29, v28 :: v_dual_mul_f32 v33, v34, v25
	v_dual_fma_f32 v37, -v7, v35, v29 :: v_dual_fma_f32 v36, -v6, v33, v34
	s_delay_alu instid0(VALU_DEP_1) | instskip(NEXT) | instid1(VALU_DEP_1)
	v_dual_fmac_f32 v35, v37, v28 :: v_dual_fmac_f32 v33, v36, v25
	v_dual_fma_f32 v7, -v7, v35, v29 :: v_dual_fma_f32 v6, -v6, v33, v34
	s_delay_alu instid0(VALU_DEP_1) | instskip(SKIP_1) | instid1(VALU_DEP_2)
	v_div_fmas_f32 v6, v6, v25, v33
	s_mov_b32 vcc_lo, s3
	v_div_fmas_f32 v7, v7, v28, v35
	s_delay_alu instid0(VALU_DEP_2) | instskip(NEXT) | instid1(VALU_DEP_2)
	v_div_fixup_f32 v25, v6, 0x402df854, v10
	v_div_fixup_f32 v28, v7, 0x402df854, v11
	s_delay_alu instid0(VALU_DEP_1) | instskip(NEXT) | instid1(VALU_DEP_1)
	v_max_num_f32_e64 v29, |v25|, |v28|
	v_cvt_f64_f32_e32 v[6:7], v29
	v_cmp_neq_f32_e32 vcc_lo, 0x7f800000, v29
	s_delay_alu instid0(VALU_DEP_2) | instskip(NEXT) | instid1(VALU_DEP_1)
	v_frexp_exp_i32_f64_e32 v6, v[6:7]
	v_sub_nc_u32_e32 v7, 0, v6
	s_delay_alu instid0(VALU_DEP_1) | instskip(SKIP_1) | instid1(VALU_DEP_2)
	v_ldexp_f32 v28, |v28|, v7
	v_ldexp_f32 v7, |v25|, v7
	v_mul_f32_e32 v25, v28, v28
	s_delay_alu instid0(VALU_DEP_1) | instskip(SKIP_2) | instid1(VALU_DEP_3)
	v_fmac_f32_e32 v25, v7, v7
	v_frexp_mant_f32_e32 v7, v9
	v_frexp_exp_i32_f32_e32 v9, v9
	v_sqrt_f32_e32 v21, v25
	s_delay_alu instid0(VALU_DEP_2) | instskip(SKIP_2) | instid1(TRANS32_DEP_2)
	v_rcp_f32_e32 v7, v7
	v_frexp_exp_i32_f32_e32 v25, v8
	v_frexp_mant_f32_e32 v8, v8
	v_ldexp_f32 v6, v21, v6
	s_delay_alu instid0(TRANS32_DEP_1) | instid1(VALU_DEP_2)
	v_dual_sub_nc_u32 v9, v25, v9 :: v_dual_mul_f32 v7, v8, v7
	s_delay_alu instid0(VALU_DEP_2) | instskip(NEXT) | instid1(VALU_DEP_2)
	v_cndmask_b32_e32 v8, 0x7f800000, v6, vcc_lo
	v_ldexp_f32 v6, v7, v9
	s_delay_alu instid0(VALU_DEP_1) | instskip(NEXT) | instid1(VALU_DEP_3)
	v_mul_f32_e32 v9, v6, v6
	v_cmp_gt_f32_e32 vcc_lo, 0x800000, v8
	v_cndmask_b32_e64 v7, 0, 32, vcc_lo
	v_cndmask_b32_e64 v25, 0, 0x41b17218, vcc_lo
	s_delay_alu instid0(VALU_DEP_2) | instskip(NEXT) | instid1(VALU_DEP_1)
	v_ldexp_f32 v7, v8, v7
	v_log_f32_e32 v7, v7
	v_nop
	s_delay_alu instid0(TRANS32_DEP_1) | instskip(SKIP_1) | instid1(VALU_DEP_2)
	v_mul_f32_e32 v21, 0x3f317217, v7
	v_cmp_gt_f32_e64 vcc_lo, 0x7f800000, |v7|
	v_fma_f32 v21, 0x3f317217, v7, -v21
	s_delay_alu instid0(VALU_DEP_1) | instskip(NEXT) | instid1(VALU_DEP_1)
	v_fmac_f32_e32 v21, 0x3377d1cf, v7
	v_fmac_f32_e32 v21, 0x3f317217, v7
	s_delay_alu instid0(VALU_DEP_1) | instskip(NEXT) | instid1(VALU_DEP_1)
	v_cndmask_b32_e32 v7, v7, v21, vcc_lo
	v_sub_f32_e32 v7, v7, v25
	s_delay_alu instid0(VALU_DEP_1) | instskip(NEXT) | instid1(VALU_DEP_1)
	v_dual_fmaak_f32 v8, s11, v9, 0xbc7a590c :: v_dual_add_f32 v7, 1.0, v7
	v_fmaak_f32 v8, v9, v8, 0x3d29fb3f
	s_delay_alu instid0(VALU_DEP_1) | instskip(NEXT) | instid1(VALU_DEP_1)
	v_fmaak_f32 v8, v9, v8, 0xbd97d4d7
	v_fmaak_f32 v8, v9, v8, 0x3dd931b2
	s_delay_alu instid0(VALU_DEP_1) | instskip(NEXT) | instid1(VALU_DEP_1)
	v_fmaak_f32 v8, v9, v8, 0xbe1160e6
	;; [unrolled: 3-line block ×3, first 2 shown]
	v_mul_f32_e32 v8, v9, v8
	s_delay_alu instid0(VALU_DEP_1)
	v_fmac_f32_e32 v6, v6, v8
.LBB49_500:                             ;   in Loop: Header=BB49_418 Depth=1
	s_or_b32 exec_lo, exec_lo, s16
	s_delay_alu instid0(VALU_DEP_1) | instskip(SKIP_4) | instid1(VALU_DEP_4)
	v_sub_f32_e32 v8, 0x3fc90fdb, v6
	v_add_f32_e32 v7, 0x3f317218, v7
	v_cmp_gt_f32_e32 vcc_lo, 0, v10
	v_cndmask_b32_e64 v9, 0, 0x40490fdb, s1
	v_cmp_class_f32_e64 s1, v10, 0x204
	v_dual_cndmask_b32 v6, v6, v8, s2 :: v_dual_cndmask_b32 v7, -v7, v7, s0
	v_cmp_class_f32_e64 s2, v11, 0x204
	s_delay_alu instid0(VALU_DEP_2) | instskip(NEXT) | instid1(VALU_DEP_1)
	v_sub_f32_e32 v8, 0x40490fdb, v6
	v_cndmask_b32_e32 v6, v6, v8, vcc_lo
	v_cndmask_b32_e32 v8, 0x3f490fdb, v32, vcc_lo
	v_cmp_eq_f32_e32 vcc_lo, 0, v11
	s_delay_alu instid0(VALU_DEP_3) | instskip(SKIP_1) | instid1(VALU_DEP_1)
	v_cndmask_b32_e64 v6, |v6|, v9, vcc_lo
	s_and_b32 vcc_lo, s1, s2
	v_cndmask_b32_e32 v6, v6, v8, vcc_lo
.LBB49_501:                             ;   in Loop: Header=BB49_418 Depth=1
	s_or_b32 exec_lo, exec_lo, s4
.LBB49_502:                             ;   in Loop: Header=BB49_418 Depth=1
	s_and_not1_saveexec_b32 s0, s15
	s_cbranch_execz .LBB49_516
; %bb.503:                              ;   in Loop: Header=BB49_418 Depth=1
	v_cmp_neq_f32_e64 s1, 0x7f800000, |v10|
                                        ; implicit-def: $vgpr7
	s_and_saveexec_b32 s2, s1
	s_delay_alu instid0(SALU_CYCLE_1)
	s_xor_b32 s1, exec_lo, s2
	s_cbranch_execz .LBB49_513
; %bb.504:                              ;   in Loop: Header=BB49_418 Depth=1
	v_cmp_neq_f32_e64 s2, 0x7f800000, |v11|
	v_xor_b32_e32 v7, 0x80000000, v11
	s_and_saveexec_b32 s3, s2
	s_delay_alu instid0(SALU_CYCLE_1)
	s_xor_b32 s2, exec_lo, s3
	s_cbranch_execz .LBB49_510
; %bb.505:                              ;   in Loop: Header=BB49_418 Depth=1
	s_mov_b32 s3, exec_lo
                                        ; implicit-def: $vgpr7
	v_cmpx_neq_f32_e32 0, v10
	s_xor_b32 s3, exec_lo, s3
; %bb.506:                              ;   in Loop: Header=BB49_418 Depth=1
	v_add_f32_e32 v6, 0, v11
	s_delay_alu instid0(VALU_DEP_1)
	v_add_f32_e32 v7, v10, v6
; %bb.507:                              ;   in Loop: Header=BB49_418 Depth=1
	s_or_saveexec_b32 s3, s3
	s_delay_alu instid0(VALU_DEP_1)
	v_mov_b32_e32 v6, v7
	s_xor_b32 exec_lo, exec_lo, s3
	s_cbranch_execz .LBB49_509
; %bb.508:                              ;   in Loop: Header=BB49_418 Depth=1
	flat_load_b32 v6, v[16:17] scope:SCOPE_SYS
	s_wait_loadcnt_dscnt 0x0
	v_dual_add_f32 v7, v11, v11 :: v_dual_add_f32 v6, 0x3fc90fdb, v6
.LBB49_509:                             ;   in Loop: Header=BB49_418 Depth=1
	s_or_b32 exec_lo, exec_lo, s3
.LBB49_510:                             ;   in Loop: Header=BB49_418 Depth=1
	s_and_not1_saveexec_b32 s2, s2
; %bb.511:                              ;   in Loop: Header=BB49_418 Depth=1
	v_add_f32_e32 v6, v10, v10
; %bb.512:                              ;   in Loop: Header=BB49_418 Depth=1
	s_or_b32 exec_lo, exec_lo, s2
.LBB49_513:                             ;   in Loop: Header=BB49_418 Depth=1
	s_and_not1_saveexec_b32 s1, s1
; %bb.514:                              ;   in Loop: Header=BB49_418 Depth=1
	v_dual_add_f32 v6, v11, v11 :: v_dual_mov_b32 v7, 0xff800000
; %bb.515:                              ;   in Loop: Header=BB49_418 Depth=1
	s_or_b32 exec_lo, exec_lo, s1
.LBB49_516:                             ;   in Loop: Header=BB49_418 Depth=1
	s_delay_alu instid0(SALU_CYCLE_1)
	s_or_b32 exec_lo, exec_lo, s0
	flat_store_b32 v[16:17], v30 scope:SCOPE_SYS
	s_wait_storecnt 0x0
	s_mov_b32 s0, exec_lo
	s_wait_xcnt 0x0
	v_cmpx_o_f32_e32 v12, v13
	s_xor_b32 s15, exec_lo, s0
	s_cbranch_execz .LBB49_600
; %bb.517:                              ;   in Loop: Header=BB49_418 Depth=1
	v_max_num_f32_e64 v21, |v13|, |v13|
	v_max_num_f32_e64 v11, |v12|, |v12|
	v_cmp_gt_i32_e64 s1, 0, v12
	v_cmp_lt_i32_e64 s2, -1, v12
	v_cmp_gt_i32_e64 s0, 0, v13
	s_mov_b32 s3, exec_lo
	v_max_num_f32_e32 v10, v11, v21
	s_delay_alu instid0(VALU_DEP_1)
	v_cmpx_nlt_f32_e32 0x4b000000, v10
	s_xor_b32 s16, exec_lo, s3
	s_cbranch_execz .LBB49_589
; %bb.518:                              ;   in Loop: Header=BB49_418 Depth=1
	v_cmp_neq_f32_e32 vcc_lo, 1.0, v12
	v_cmp_neq_f32_e64 s3, 0, v13
	v_xor_b32_e32 v9, 0x80000000, v13
	s_or_b32 s3, vcc_lo, s3
	s_delay_alu instid0(SALU_CYCLE_1) | instskip(NEXT) | instid1(SALU_CYCLE_1)
	s_and_saveexec_b32 s4, s3
	s_xor_b32 s17, exec_lo, s4
	s_cbranch_execz .LBB49_586
; %bb.519:                              ;   in Loop: Header=BB49_418 Depth=1
	flat_store_b32 v[18:19], v31 scope:SCOPE_SYS
	s_wait_storecnt 0x0
	flat_load_b32 v8, v[18:19] scope:SCOPE_SYS
	s_wait_loadcnt 0x0
	v_cmp_ngt_f32_e64 s3, 0x395db3d7, |v12|
	v_cmp_ngt_f32_e64 s4, 0x395db3d7, |v13|
	v_xor_b32_e32 v9, 0x80000000, v13
	s_or_b32 s3, s3, s4
	s_wait_dscnt 0x0
	v_add_f32_e32 v8, 1.0, v8
	flat_store_b32 v[22:23], v8 scope:SCOPE_SYS
	s_wait_storecnt 0x0
	flat_load_b32 v8, v[22:23] scope:SCOPE_SYS
	s_wait_loadcnt 0x0
	s_wait_xcnt 0x0
	s_and_saveexec_b32 s4, s3
	s_delay_alu instid0(SALU_CYCLE_1)
	s_xor_b32 s18, exec_lo, s4
	s_cbranch_execz .LBB49_583
; %bb.520:                              ;   in Loop: Header=BB49_418 Depth=1
	v_add_f32_e64 v11, |v12|, 1.0
	v_add_f32_e64 v10, |v12|, -1.0
	s_mov_b32 s3, exec_lo
	s_delay_alu instid0(VALU_DEP_2) | instskip(NEXT) | instid1(VALU_DEP_2)
	v_max_num_f32_e32 v25, v21, v11
	v_max_num_f32_e64 v21, v21, |v10|
	s_wait_dscnt 0x0
	s_delay_alu instid0(VALU_DEP_2) | instskip(NEXT) | instid1(VALU_DEP_2)
	v_cvt_f64_f32_e32 v[8:9], v25
	v_cvt_f64_f32_e32 v[28:29], v21
	s_delay_alu instid0(VALU_DEP_2) | instskip(NEXT) | instid1(VALU_DEP_2)
	v_frexp_exp_i32_f64_e32 v8, v[8:9]
	v_frexp_exp_i32_f64_e32 v9, v[28:29]
	s_delay_alu instid0(VALU_DEP_1) | instskip(SKIP_1) | instid1(VALU_DEP_2)
	v_dual_sub_nc_u32 v28, 0, v8 :: v_dual_sub_nc_u32 v29, 0, v9
	v_cmp_neq_f32_e32 vcc_lo, 0x7f800000, v25
	v_ldexp_f32 v33, v11, v28
	s_delay_alu instid0(VALU_DEP_3) | instskip(SKIP_1) | instid1(VALU_DEP_2)
	v_ldexp_f32 v34, |v10|, v29
	v_ldexp_f32 v28, |v13|, v28
	v_dual_mul_f32 v33, v33, v33 :: v_dual_mul_f32 v34, v34, v34
	v_ldexp_f32 v29, |v13|, v29
	s_delay_alu instid0(VALU_DEP_1) | instskip(NEXT) | instid1(VALU_DEP_1)
	v_dual_fmac_f32 v33, v28, v28 :: v_dual_fmac_f32 v34, v29, v29
	v_sqrt_f32_e32 v28, v33
	s_delay_alu instid0(VALU_DEP_1) | instskip(NEXT) | instid1(TRANS32_DEP_2)
	v_sqrt_f32_e32 v29, v34
	v_ldexp_f32 v8, v28, v8
	s_delay_alu instid0(TRANS32_DEP_1) | instskip(NEXT) | instid1(VALU_DEP_2)
	v_ldexp_f32 v9, v29, v9
	v_cndmask_b32_e32 v35, 0x7f800000, v8, vcc_lo
	v_cmp_neq_f32_e32 vcc_lo, 0x7f800000, v21
                                        ; implicit-def: $vgpr21
	s_delay_alu instid0(VALU_DEP_3) | instskip(NEXT) | instid1(VALU_DEP_1)
	v_cndmask_b32_e32 v33, 0x7f800000, v9, vcc_lo
	v_add_f32_e32 v8, v35, v33
	s_delay_alu instid0(VALU_DEP_1) | instskip(NEXT) | instid1(VALU_DEP_1)
	v_mul_f32_e32 v8, 0.5, v8
	v_cmp_ngt_f32_e32 vcc_lo, 1.0, v8
	v_cndmask_b32_e32 v8, 1.0, v8, vcc_lo
	s_delay_alu instid0(VALU_DEP_1)
	v_cmpx_ngt_f32_e32 0x41200000, v8
	s_xor_b32 s4, exec_lo, s3
	s_cbranch_execz .LBB49_522
; %bb.521:                              ;   in Loop: Header=BB49_418 Depth=1
	v_fma_f32 v9, v8, v8, -1.0
	s_delay_alu instid0(VALU_DEP_1) | instskip(SKIP_1) | instid1(VALU_DEP_2)
	v_mul_f32_e32 v21, 0x4f800000, v9
	v_cmp_gt_f32_e32 vcc_lo, 0xf800000, v9
	v_cndmask_b32_e32 v9, v9, v21, vcc_lo
	s_delay_alu instid0(VALU_DEP_1) | instskip(SKIP_1) | instid1(TRANS32_DEP_1)
	v_sqrt_f32_e32 v21, v9
	v_nop
	v_dual_add_nc_u32 v25, -1, v21 :: v_dual_add_nc_u32 v28, 1, v21
	s_delay_alu instid0(VALU_DEP_1) | instskip(NEXT) | instid1(VALU_DEP_1)
	v_dual_fma_f32 v29, -v25, v21, v9 :: v_dual_fma_f32 v34, -v28, v21, v9
	v_cmp_ge_f32_e64 s3, 0, v29
	s_delay_alu instid0(VALU_DEP_1) | instskip(NEXT) | instid1(VALU_DEP_3)
	v_cndmask_b32_e64 v21, v21, v25, s3
	v_cmp_lt_f32_e64 s3, 0, v34
	s_delay_alu instid0(VALU_DEP_1) | instskip(NEXT) | instid1(VALU_DEP_1)
	v_cndmask_b32_e64 v21, v21, v28, s3
	v_mul_f32_e32 v25, 0x37800000, v21
	s_delay_alu instid0(VALU_DEP_1) | instskip(SKIP_1) | instid1(VALU_DEP_2)
	v_cndmask_b32_e32 v21, v21, v25, vcc_lo
	v_cmp_class_f32_e64 vcc_lo, v9, 0x260
	v_cndmask_b32_e32 v9, v21, v9, vcc_lo
	s_delay_alu instid0(VALU_DEP_1) | instskip(NEXT) | instid1(VALU_DEP_1)
	v_add_f32_e32 v9, v8, v9
	v_cmp_gt_f32_e32 vcc_lo, 0x800000, v9
	s_delay_alu instid0(VALU_DEP_4) | instskip(NEXT) | instid1(VALU_DEP_1)
	v_cndmask_b32_e64 v21, 0, 32, vcc_lo
	v_ldexp_f32 v9, v9, v21
	s_delay_alu instid0(VALU_DEP_1) | instskip(SKIP_1) | instid1(TRANS32_DEP_1)
	v_log_f32_e32 v9, v9
	v_nop
	v_mul_f32_e32 v21, 0x3f317217, v9
	v_cmp_gt_f32_e64 s3, 0x7f800000, |v9|
	s_delay_alu instid0(VALU_DEP_2) | instskip(NEXT) | instid1(VALU_DEP_1)
	v_fma_f32 v21, 0x3f317217, v9, -v21
	v_fmac_f32_e32 v21, 0x3377d1cf, v9
	s_delay_alu instid0(VALU_DEP_1) | instskip(NEXT) | instid1(VALU_DEP_1)
	v_fmac_f32_e32 v21, 0x3f317217, v9
	v_cndmask_b32_e64 v9, v9, v21, s3
	v_cndmask_b32_e64 v21, 0, 0x41b17218, vcc_lo
	s_delay_alu instid0(VALU_DEP_1)
	v_sub_f32_e32 v21, v9, v21
.LBB49_522:                             ;   in Loop: Header=BB49_418 Depth=1
	s_or_saveexec_b32 s4, s4
	v_and_b32_e32 v34, 0x7fffffff, v13
	s_xor_b32 exec_lo, exec_lo, s4
	s_cbranch_execz .LBB49_544
; %bb.523:                              ;   in Loop: Header=BB49_418 Depth=1
	v_cmp_neq_f32_e64 s3, |v12|, 1.0
	v_cmp_ngt_f32_e64 s19, 0x25000000, |v13|
                                        ; implicit-def: $vgpr21
	s_or_b32 s3, s3, s19
	s_delay_alu instid0(SALU_CYCLE_1) | instskip(NEXT) | instid1(SALU_CYCLE_1)
	s_and_saveexec_b32 s19, s3
	s_xor_b32 s19, exec_lo, s19
	s_cbranch_execz .LBB49_541
; %bb.524:                              ;   in Loop: Header=BB49_418 Depth=1
	v_mul_f32_e64 v9, 0x34000000, |v10|
	s_mov_b32 s20, exec_lo
                                        ; implicit-def: $vgpr21
	s_delay_alu instid0(VALU_DEP_1)
	v_cmpx_ge_f32_e64 |v13|, v9
	s_xor_b32 s20, exec_lo, s20
	s_cbranch_execz .LBB49_534
; %bb.525:                              ;   in Loop: Header=BB49_418 Depth=1
	v_mov_b32_e32 v9, v34
	s_mov_b32 s3, exec_lo
	v_cmpx_neq_f32_e32 0, v11
	s_cbranch_execz .LBB49_527
; %bb.526:                              ;   in Loop: Header=BB49_418 Depth=1
	v_dual_mul_f32 v9, v13, v13 :: v_dual_add_f32 v21, v11, v35
	s_delay_alu instid0(VALU_DEP_1) | instskip(NEXT) | instid1(VALU_DEP_1)
	v_div_scale_f32 v25, null, v21, v21, v9
	v_rcp_f32_e32 v28, v25
	v_nop
	s_delay_alu instid0(TRANS32_DEP_1) | instskip(NEXT) | instid1(VALU_DEP_1)
	v_fma_f32 v29, -v25, v28, 1.0
	v_fmac_f32_e32 v28, v29, v28
	v_div_scale_f32 v29, vcc_lo, v9, v21, v9
	s_delay_alu instid0(VALU_DEP_1) | instskip(NEXT) | instid1(VALU_DEP_1)
	v_mul_f32_e32 v36, v29, v28
	v_fma_f32 v37, -v25, v36, v29
	s_delay_alu instid0(VALU_DEP_1) | instskip(NEXT) | instid1(VALU_DEP_1)
	v_fmac_f32_e32 v36, v37, v28
	v_fma_f32 v25, -v25, v36, v29
	s_delay_alu instid0(VALU_DEP_1) | instskip(NEXT) | instid1(VALU_DEP_1)
	v_div_fmas_f32 v25, v25, v28, v36
	v_div_fixup_f32 v9, v25, v21, v9
.LBB49_527:                             ;   in Loop: Header=BB49_418 Depth=1
	s_or_b32 exec_lo, exec_lo, s3
	v_sub_f32_e64 v25, 1.0, |v12|
	s_mov_b32 s3, exec_lo
                                        ; implicit-def: $vgpr21
	s_delay_alu instid0(VALU_DEP_1)
	v_cmpx_ngt_f32_e32 0, v25
	s_xor_b32 s3, exec_lo, s3
	s_cbranch_execz .LBB49_531
; %bb.528:                              ;   in Loop: Header=BB49_418 Depth=1
	v_mov_b32_e32 v21, v34
	s_mov_b32 s21, exec_lo
	v_cmpx_neq_f32_e32 0, v25
	s_cbranch_execz .LBB49_530
; %bb.529:                              ;   in Loop: Header=BB49_418 Depth=1
	v_mul_f32_e32 v21, v13, v13
	v_add_f32_e32 v25, v25, v33
	s_delay_alu instid0(VALU_DEP_1) | instskip(NEXT) | instid1(VALU_DEP_1)
	v_div_scale_f32 v28, null, v25, v25, v21
	v_rcp_f32_e32 v29, v28
	v_nop
	s_delay_alu instid0(TRANS32_DEP_1) | instskip(NEXT) | instid1(VALU_DEP_1)
	v_fma_f32 v36, -v28, v29, 1.0
	v_fmac_f32_e32 v29, v36, v29
	v_div_scale_f32 v36, vcc_lo, v21, v25, v21
	s_delay_alu instid0(VALU_DEP_1) | instskip(NEXT) | instid1(VALU_DEP_1)
	v_mul_f32_e32 v37, v36, v29
	v_fma_f32 v38, -v28, v37, v36
	s_delay_alu instid0(VALU_DEP_1) | instskip(NEXT) | instid1(VALU_DEP_1)
	v_fmac_f32_e32 v37, v38, v29
	v_fma_f32 v28, -v28, v37, v36
	s_delay_alu instid0(VALU_DEP_1) | instskip(NEXT) | instid1(VALU_DEP_1)
	v_div_fmas_f32 v28, v28, v29, v37
	v_div_fixup_f32 v21, v28, v25, v21
.LBB49_530:                             ;   in Loop: Header=BB49_418 Depth=1
	s_or_b32 exec_lo, exec_lo, s21
                                        ; implicit-def: $vgpr25
.LBB49_531:                             ;   in Loop: Header=BB49_418 Depth=1
	s_and_not1_saveexec_b32 s3, s3
; %bb.532:                              ;   in Loop: Header=BB49_418 Depth=1
	v_sub_f32_e32 v21, v33, v25
; %bb.533:                              ;   in Loop: Header=BB49_418 Depth=1
	s_or_b32 exec_lo, exec_lo, s3
	v_mul_f32_e32 v9, 0.5, v9
	s_delay_alu instid0(VALU_DEP_2) | instskip(NEXT) | instid1(VALU_DEP_1)
	v_mul_f32_e32 v21, 0.5, v21
	v_pk_add_f32 v[28:29], v[8:9], v[20:21]
	s_delay_alu instid0(VALU_DEP_1) | instskip(NEXT) | instid1(VALU_DEP_1)
	v_mul_f32_e32 v9, v28, v29
	v_mul_f32_e32 v21, 0x4f800000, v9
	v_cmp_gt_f32_e32 vcc_lo, 0xf800000, v9
	s_delay_alu instid0(VALU_DEP_2) | instskip(NEXT) | instid1(VALU_DEP_1)
	v_cndmask_b32_e32 v9, v9, v21, vcc_lo
	v_sqrt_f32_e32 v21, v9
	v_nop
	s_delay_alu instid0(TRANS32_DEP_1) | instskip(NEXT) | instid1(VALU_DEP_1)
	v_dual_add_nc_u32 v25, -1, v21 :: v_dual_add_nc_u32 v28, 1, v21
	v_dual_fma_f32 v36, -v25, v21, v9 :: v_dual_fma_f32 v37, -v28, v21, v9
	s_delay_alu instid0(VALU_DEP_1) | instskip(NEXT) | instid1(VALU_DEP_1)
	v_cmp_ge_f32_e64 s3, 0, v36
	v_cndmask_b32_e64 v21, v21, v25, s3
	s_delay_alu instid0(VALU_DEP_3) | instskip(NEXT) | instid1(VALU_DEP_1)
	v_cmp_lt_f32_e64 s3, 0, v37
	v_cndmask_b32_e64 v21, v21, v28, s3
	s_delay_alu instid0(VALU_DEP_1) | instskip(NEXT) | instid1(VALU_DEP_1)
	v_mul_f32_e32 v25, 0x37800000, v21
	v_cndmask_b32_e32 v21, v21, v25, vcc_lo
	v_cmp_class_f32_e64 vcc_lo, v9, 0x260
	s_delay_alu instid0(VALU_DEP_2) | instskip(NEXT) | instid1(VALU_DEP_1)
	v_cndmask_b32_e32 v9, v21, v9, vcc_lo
	v_add_f32_e32 v28, v29, v9
	s_delay_alu instid0(VALU_DEP_1) | instskip(NEXT) | instid1(VALU_DEP_1)
	v_add_f32_e32 v37, 1.0, v28
	v_cvt_f64_f32_e32 v[38:39], v37
	v_frexp_mant_f32_e32 v21, v37
	s_delay_alu instid0(VALU_DEP_1) | instskip(NEXT) | instid1(VALU_DEP_3)
	v_cmp_gt_f32_e32 vcc_lo, 0x3f2aaaab, v21
	v_frexp_exp_i32_f64_e32 v9, v[38:39]
	s_delay_alu instid0(VALU_DEP_1) | instskip(SKIP_1) | instid1(VALU_DEP_2)
	v_subrev_co_ci_u32_e64 v9, null, 0, v9, vcc_lo
	v_cmp_neq_f32_e32 vcc_lo, 0x7f800000, v28
	v_sub_nc_u32_e32 v21, 0, v9
	s_delay_alu instid0(VALU_DEP_1) | instskip(SKIP_1) | instid1(VALU_DEP_1)
	v_ldexp_f32 v25, v37, v21
	v_add_f32_e32 v29, -1.0, v37
	v_mov_b32_e32 v36, v29
	s_delay_alu instid0(VALU_DEP_1) | instskip(NEXT) | instid1(VALU_DEP_1)
	v_pk_add_f32 v[38:39], v[28:29], v[36:37] neg_lo:[0,1] neg_hi:[0,1]
	v_dual_add_f32 v36, 1.0, v25 :: v_dual_add_f32 v29, 1.0, v39
	s_delay_alu instid0(VALU_DEP_1) | instskip(NEXT) | instid1(VALU_DEP_1)
	v_dual_add_f32 v37, -1.0, v36 :: v_dual_add_f32 v29, v38, v29
	v_ldexp_f32 v21, v29, v21
	v_add_f32_e32 v41, -1.0, v25
	s_delay_alu instid0(VALU_DEP_3) | instskip(NEXT) | instid1(VALU_DEP_2)
	v_sub_f32_e32 v29, v25, v37
	v_add_f32_e32 v37, 1.0, v41
	s_delay_alu instid0(VALU_DEP_2) | instskip(NEXT) | instid1(VALU_DEP_2)
	v_add_f32_e32 v29, v21, v29
	v_sub_f32_e32 v25, v25, v37
	s_delay_alu instid0(VALU_DEP_1) | instskip(NEXT) | instid1(VALU_DEP_1)
	v_add_f32_e32 v21, v21, v25
	v_add_f32_e32 v37, v41, v21
	s_delay_alu instid0(VALU_DEP_1) | instskip(NEXT) | instid1(VALU_DEP_1)
	v_sub_f32_e32 v44, v37, v41
	v_dual_sub_f32 v21, v21, v44 :: v_dual_add_f32 v42, v36, v29
	s_delay_alu instid0(VALU_DEP_1) | instskip(SKIP_1) | instid1(VALU_DEP_1)
	v_rcp_f32_e32 v25, v42
	v_sub_f32_e32 v36, v42, v36
	v_sub_f32_e32 v29, v29, v36
	s_delay_alu instid0(TRANS32_DEP_1) | instskip(NEXT) | instid1(VALU_DEP_1)
	v_mul_f32_e32 v43, v37, v25
	v_mul_f32_e32 v38, v42, v43
	s_delay_alu instid0(VALU_DEP_1) | instskip(NEXT) | instid1(VALU_DEP_1)
	v_fma_f32 v40, v43, v42, -v38
	v_fmac_f32_e32 v40, v43, v29
	s_delay_alu instid0(VALU_DEP_1) | instskip(NEXT) | instid1(VALU_DEP_1)
	v_add_f32_e32 v36, v38, v40
	v_dual_sub_f32 v39, v37, v36 :: v_dual_mov_b32 v41, v36
	s_delay_alu instid0(VALU_DEP_1) | instskip(NEXT) | instid1(VALU_DEP_1)
	v_pk_add_f32 v[36:37], v[36:37], v[38:39] neg_lo:[0,1] neg_hi:[0,1]
	v_pk_add_f32 v[36:37], v[36:37], v[40:41] neg_lo:[0,1] neg_hi:[0,1]
	s_delay_alu instid0(VALU_DEP_1) | instskip(NEXT) | instid1(VALU_DEP_1)
	v_add_f32_e32 v21, v21, v37
	v_add_f32_e32 v21, v36, v21
	s_delay_alu instid0(VALU_DEP_1) | instskip(NEXT) | instid1(VALU_DEP_1)
	v_add_f32_e32 v37, v39, v21
	v_mul_f32_e32 v44, v25, v37
	s_delay_alu instid0(VALU_DEP_1) | instskip(NEXT) | instid1(VALU_DEP_1)
	v_mul_f32_e32 v40, v42, v44
	v_fma_f32 v38, v44, v42, -v40
	s_delay_alu instid0(VALU_DEP_1) | instskip(NEXT) | instid1(VALU_DEP_1)
	v_fmac_f32_e32 v38, v44, v29
	v_dual_sub_f32 v29, v39, v37 :: v_dual_add_f32 v36, v40, v38
	s_delay_alu instid0(VALU_DEP_1) | instskip(NEXT) | instid1(VALU_DEP_2)
	v_dual_add_f32 v21, v21, v29 :: v_dual_add_f32 v29, v43, v44
	v_dual_sub_f32 v41, v37, v36 :: v_dual_mov_b32 v39, v36
	s_delay_alu instid0(VALU_DEP_1) | instskip(NEXT) | instid1(VALU_DEP_1)
	v_pk_add_f32 v[36:37], v[36:37], v[40:41] neg_lo:[0,1] neg_hi:[0,1]
	v_pk_add_f32 v[36:37], v[36:37], v[38:39] neg_lo:[0,1] neg_hi:[0,1]
	s_delay_alu instid0(VALU_DEP_1) | instskip(NEXT) | instid1(VALU_DEP_1)
	v_add_f32_e32 v21, v21, v37
	v_dual_add_f32 v21, v36, v21 :: v_dual_sub_f32 v36, v29, v43
	s_delay_alu instid0(VALU_DEP_1) | instskip(NEXT) | instid1(VALU_DEP_1)
	v_dual_add_f32 v21, v41, v21 :: v_dual_sub_f32 v36, v44, v36
	v_mul_f32_e32 v21, v25, v21
	s_delay_alu instid0(VALU_DEP_1) | instskip(SKIP_1) | instid1(VALU_DEP_2)
	v_add_f32_e32 v21, v36, v21
	v_cvt_f32_i32_e32 v36, v9
	v_add_f32_e32 v42, v29, v21
	s_delay_alu instid0(VALU_DEP_1) | instskip(SKIP_1) | instid1(VALU_DEP_2)
	v_mul_f32_e32 v25, v42, v42
	v_ldexp_f32 v41, v42, 1
	v_dual_fmaak_f32 v38, s9, v25, 0x3ecc95a3 :: v_dual_mul_f32 v37, v42, v25
	s_delay_alu instid0(VALU_DEP_1) | instskip(NEXT) | instid1(VALU_DEP_1)
	v_fmaak_f32 v25, v25, v38, 0x3f2aaada
	v_pk_mul_f32 v[38:39], v[36:37], v[24:25]
	s_delay_alu instid0(VALU_DEP_1) | instskip(NEXT) | instid1(VALU_DEP_1)
	v_fma_f32 v40, 0x3f317218, v36, -v38
	v_fmac_f32_e32 v40, 0xb102e308, v36
	s_delay_alu instid0(VALU_DEP_1) | instskip(SKIP_1) | instid1(VALU_DEP_2)
	v_pk_add_f32 v[36:37], v[38:39], v[40:41]
	v_sub_f32_e32 v9, v42, v29
	v_dual_mov_b32 v42, v38 :: v_dual_mov_b32 v50, v37
	s_delay_alu instid0(VALU_DEP_2) | instskip(NEXT) | instid1(VALU_DEP_4)
	v_sub_f32_e32 v9, v21, v9
	v_dual_sub_f32 v21, v37, v41 :: v_dual_mov_b32 v41, v36
	s_delay_alu instid0(VALU_DEP_2) | instskip(NEXT) | instid1(VALU_DEP_2)
	v_ldexp_f32 v9, v9, 1
	v_sub_f32_e32 v21, v39, v21
	v_pk_add_f32 v[38:39], v[36:37], v[38:39] neg_lo:[0,1] neg_hi:[0,1]
	s_delay_alu instid0(VALU_DEP_2) | instskip(NEXT) | instid1(VALU_DEP_1)
	v_add_f32_e32 v43, v9, v21
	v_pk_add_f32 v[44:45], v[36:37], v[42:43]
	s_delay_alu instid0(VALU_DEP_1) | instskip(NEXT) | instid1(VALU_DEP_1)
	v_mov_b32_e32 v39, v45
	v_pk_add_f32 v[46:47], v[40:41], v[38:39]
	v_mov_b32_e32 v46, v45
	v_pk_add_f32 v[38:39], v[40:41], v[38:39] neg_lo:[0,1] neg_hi:[0,1]
	s_delay_alu instid0(VALU_DEP_3) | instskip(NEXT) | instid1(VALU_DEP_1)
	v_dual_mov_b32 v42, v47 :: v_dual_mov_b32 v39, v47
	v_pk_add_f32 v[48:49], v[42:43], v[36:37] neg_lo:[0,1] neg_hi:[0,1]
	s_delay_alu instid0(VALU_DEP_1) | instskip(SKIP_1) | instid1(VALU_DEP_2)
	v_dual_mov_b32 v51, v48 :: v_dual_mov_b32 v9, v48
	v_dual_mov_b32 v37, v36 :: v_dual_mov_b32 v36, v43
	v_pk_add_f32 v[48:49], v[46:47], v[50:51] neg_lo:[0,1] neg_hi:[0,1]
	s_delay_alu instid0(VALU_DEP_3) | instskip(SKIP_1) | instid1(VALU_DEP_3)
	v_pk_add_f32 v[40:41], v[44:45], v[8:9] neg_lo:[0,1] neg_hi:[0,1]
	v_mov_b32_e32 v40, v38
	v_pk_add_f32 v[36:37], v[36:37], v[48:49] neg_lo:[0,1] neg_hi:[0,1]
	s_delay_alu instid0(VALU_DEP_1) | instskip(NEXT) | instid1(VALU_DEP_1)
	v_pk_add_f32 v[40:41], v[40:41], v[36:37]
	v_mov_b32_e32 v44, v41
	s_delay_alu instid0(VALU_DEP_1) | instskip(NEXT) | instid1(VALU_DEP_1)
	v_pk_add_f32 v[44:45], v[40:41], v[44:45]
	v_pk_add_f32 v[42:43], v[42:43], v[44:45]
	s_delay_alu instid0(VALU_DEP_1) | instskip(NEXT) | instid1(VALU_DEP_1)
	v_dual_mov_b32 v37, v44 :: v_dual_mov_b32 v41, v42
	v_pk_add_f32 v[46:47], v[40:41], v[38:39] neg_lo:[0,1] neg_hi:[0,1]
	s_delay_alu instid0(VALU_DEP_1) | instskip(NEXT) | instid1(VALU_DEP_2)
	v_sub_f32_e32 v9, v40, v46
	v_pk_add_f32 v[36:37], v[36:37], v[46:47] neg_lo:[0,1] neg_hi:[0,1]
	s_delay_alu instid0(VALU_DEP_2) | instskip(NEXT) | instid1(VALU_DEP_1)
	v_sub_f32_e32 v9, v38, v9
	v_add_f32_e32 v9, v36, v9
	s_delay_alu instid0(VALU_DEP_1) | instskip(NEXT) | instid1(VALU_DEP_1)
	v_add_f32_e32 v9, v9, v37
	v_add_f32_e32 v9, v42, v9
	s_delay_alu instid0(VALU_DEP_1) | instskip(SKIP_1) | instid1(VALU_DEP_2)
	v_cndmask_b32_e32 v9, 0x7f800000, v9, vcc_lo
	v_cmp_ngt_f32_e32 vcc_lo, -1.0, v28
	v_cndmask_b32_e32 v9, 0x7fc00000, v9, vcc_lo
	v_cmp_neq_f32_e32 vcc_lo, -1.0, v28
	s_delay_alu instid0(VALU_DEP_2) | instskip(SKIP_1) | instid1(VALU_DEP_2)
	v_cndmask_b32_e32 v9, 0xff800000, v9, vcc_lo
	v_cmp_gt_f32_e64 vcc_lo, 0x33800000, |v28|
	v_cndmask_b32_e32 v21, v9, v28, vcc_lo
.LBB49_534:                             ;   in Loop: Header=BB49_418 Depth=1
	s_and_not1_saveexec_b32 s20, s20
	s_cbranch_execz .LBB49_540
; %bb.535:                              ;   in Loop: Header=BB49_418 Depth=1
	s_mov_b32 s21, exec_lo
                                        ; implicit-def: $vgpr21
	v_cmpx_nlt_f32_e64 |v12|, 1.0
	s_xor_b32 s21, exec_lo, s21
	s_cbranch_execz .LBB49_537
; %bb.536:                              ;   in Loop: Header=BB49_418 Depth=1
	v_mul_f32_e32 v9, v10, v11
	s_delay_alu instid0(VALU_DEP_1) | instskip(SKIP_1) | instid1(VALU_DEP_2)
	v_mul_f32_e32 v21, 0x4f800000, v9
	v_cmp_gt_f32_e32 vcc_lo, 0xf800000, v9
	v_cndmask_b32_e32 v9, v9, v21, vcc_lo
	s_delay_alu instid0(VALU_DEP_1) | instskip(SKIP_1) | instid1(TRANS32_DEP_1)
	v_sqrt_f32_e32 v21, v9
	v_nop
	v_dual_add_nc_u32 v25, -1, v21 :: v_dual_add_nc_u32 v28, 1, v21
	s_delay_alu instid0(VALU_DEP_1) | instskip(NEXT) | instid1(VALU_DEP_1)
	v_dual_fma_f32 v29, -v25, v21, v9 :: v_dual_fma_f32 v36, -v28, v21, v9
	v_cmp_ge_f32_e64 s3, 0, v29
	s_delay_alu instid0(VALU_DEP_1) | instskip(NEXT) | instid1(VALU_DEP_3)
	v_cndmask_b32_e64 v21, v21, v25, s3
	v_cmp_lt_f32_e64 s3, 0, v36
	s_delay_alu instid0(VALU_DEP_1) | instskip(NEXT) | instid1(VALU_DEP_1)
	v_cndmask_b32_e64 v21, v21, v28, s3
	v_mul_f32_e32 v25, 0x37800000, v21
	s_delay_alu instid0(VALU_DEP_1) | instskip(SKIP_1) | instid1(VALU_DEP_2)
	v_cndmask_b32_e32 v21, v21, v25, vcc_lo
	v_cmp_class_f32_e64 vcc_lo, v9, 0x260
	v_cndmask_b32_e32 v9, v21, v9, vcc_lo
	s_delay_alu instid0(VALU_DEP_1) | instskip(NEXT) | instid1(VALU_DEP_1)
	v_add_f32_e32 v28, v10, v9
	v_add_f32_e32 v37, 1.0, v28
	s_delay_alu instid0(VALU_DEP_1) | instskip(SKIP_2) | instid1(VALU_DEP_2)
	v_cvt_f64_f32_e32 v[38:39], v37
	v_frexp_mant_f32_e32 v21, v37
	v_add_f32_e32 v29, -1.0, v37
	v_cmp_gt_f32_e32 vcc_lo, 0x3f2aaaab, v21
	s_delay_alu instid0(VALU_DEP_2) | instskip(SKIP_1) | instid1(VALU_DEP_2)
	v_mov_b32_e32 v36, v29
	v_frexp_exp_i32_f64_e32 v9, v[38:39]
	v_pk_add_f32 v[38:39], v[28:29], v[36:37] neg_lo:[0,1] neg_hi:[0,1]
	s_delay_alu instid0(VALU_DEP_1) | instskip(NEXT) | instid1(VALU_DEP_1)
	v_add_f32_e32 v29, 1.0, v39
	v_add_f32_e32 v29, v38, v29
	s_delay_alu instid0(VALU_DEP_4) | instskip(SKIP_1) | instid1(VALU_DEP_2)
	v_subrev_co_ci_u32_e64 v9, null, 0, v9, vcc_lo
	v_cmp_neq_f32_e32 vcc_lo, 0x7f800000, v28
	v_sub_nc_u32_e32 v21, 0, v9
	s_delay_alu instid0(VALU_DEP_1) | instskip(SKIP_1) | instid1(VALU_DEP_2)
	v_ldexp_f32 v25, v37, v21
	v_ldexp_f32 v21, v29, v21
	v_dual_add_f32 v36, 1.0, v25 :: v_dual_add_f32 v41, -1.0, v25
	s_delay_alu instid0(VALU_DEP_1) | instskip(NEXT) | instid1(VALU_DEP_1)
	v_add_f32_e32 v37, -1.0, v36
	v_sub_f32_e32 v29, v25, v37
	s_delay_alu instid0(VALU_DEP_3) | instskip(NEXT) | instid1(VALU_DEP_1)
	v_add_f32_e32 v37, 1.0, v41
	v_sub_f32_e32 v25, v25, v37
	s_delay_alu instid0(VALU_DEP_3) | instskip(NEXT) | instid1(VALU_DEP_2)
	v_add_f32_e32 v29, v21, v29
	v_add_f32_e32 v21, v21, v25
	s_delay_alu instid0(VALU_DEP_2) | instskip(NEXT) | instid1(VALU_DEP_1)
	v_add_f32_e32 v42, v36, v29
	v_dual_add_f32 v37, v41, v21 :: v_dual_sub_f32 v36, v42, v36
	s_delay_alu instid0(VALU_DEP_1) | instskip(NEXT) | instid1(VALU_DEP_2)
	v_sub_f32_e32 v44, v37, v41
	v_sub_f32_e32 v29, v29, v36
	v_rcp_f32_e32 v25, v42
	v_nop
	s_delay_alu instid0(TRANS32_DEP_1) | instskip(NEXT) | instid1(VALU_DEP_1)
	v_mul_f32_e32 v43, v37, v25
	v_mul_f32_e32 v38, v42, v43
	s_delay_alu instid0(VALU_DEP_1) | instskip(NEXT) | instid1(VALU_DEP_1)
	v_fma_f32 v40, v43, v42, -v38
	v_fmac_f32_e32 v40, v43, v29
	s_delay_alu instid0(VALU_DEP_1) | instskip(NEXT) | instid1(VALU_DEP_1)
	v_add_f32_e32 v36, v38, v40
	v_dual_sub_f32 v39, v37, v36 :: v_dual_mov_b32 v41, v36
	v_sub_f32_e32 v21, v21, v44
	s_delay_alu instid0(VALU_DEP_2) | instskip(NEXT) | instid1(VALU_DEP_1)
	v_pk_add_f32 v[36:37], v[36:37], v[38:39] neg_lo:[0,1] neg_hi:[0,1]
	v_pk_add_f32 v[36:37], v[36:37], v[40:41] neg_lo:[0,1] neg_hi:[0,1]
	s_delay_alu instid0(VALU_DEP_1) | instskip(NEXT) | instid1(VALU_DEP_1)
	v_add_f32_e32 v21, v21, v37
	v_add_f32_e32 v21, v36, v21
	s_delay_alu instid0(VALU_DEP_1) | instskip(NEXT) | instid1(VALU_DEP_1)
	v_add_f32_e32 v37, v39, v21
	v_mul_f32_e32 v44, v25, v37
	s_delay_alu instid0(VALU_DEP_1) | instskip(NEXT) | instid1(VALU_DEP_1)
	v_mul_f32_e32 v40, v42, v44
	v_fma_f32 v38, v44, v42, -v40
	s_delay_alu instid0(VALU_DEP_1) | instskip(NEXT) | instid1(VALU_DEP_1)
	v_fmac_f32_e32 v38, v44, v29
	v_dual_sub_f32 v29, v39, v37 :: v_dual_add_f32 v36, v40, v38
	s_delay_alu instid0(VALU_DEP_1) | instskip(NEXT) | instid1(VALU_DEP_2)
	v_dual_add_f32 v21, v21, v29 :: v_dual_add_f32 v29, v43, v44
	v_dual_sub_f32 v41, v37, v36 :: v_dual_mov_b32 v39, v36
	s_delay_alu instid0(VALU_DEP_1) | instskip(NEXT) | instid1(VALU_DEP_1)
	v_pk_add_f32 v[36:37], v[36:37], v[40:41] neg_lo:[0,1] neg_hi:[0,1]
	v_pk_add_f32 v[36:37], v[36:37], v[38:39] neg_lo:[0,1] neg_hi:[0,1]
	s_delay_alu instid0(VALU_DEP_1) | instskip(NEXT) | instid1(VALU_DEP_1)
	v_add_f32_e32 v21, v21, v37
	v_dual_add_f32 v21, v36, v21 :: v_dual_sub_f32 v36, v29, v43
	s_delay_alu instid0(VALU_DEP_1) | instskip(NEXT) | instid1(VALU_DEP_1)
	v_dual_add_f32 v21, v41, v21 :: v_dual_sub_f32 v36, v44, v36
	v_mul_f32_e32 v21, v25, v21
	s_delay_alu instid0(VALU_DEP_1) | instskip(SKIP_1) | instid1(VALU_DEP_2)
	v_add_f32_e32 v21, v36, v21
	v_cvt_f32_i32_e32 v36, v9
	v_add_f32_e32 v42, v29, v21
	s_delay_alu instid0(VALU_DEP_1) | instskip(SKIP_1) | instid1(VALU_DEP_2)
	v_mul_f32_e32 v25, v42, v42
	v_ldexp_f32 v41, v42, 1
	v_dual_fmaak_f32 v38, s9, v25, 0x3ecc95a3 :: v_dual_mul_f32 v37, v42, v25
	s_delay_alu instid0(VALU_DEP_1) | instskip(NEXT) | instid1(VALU_DEP_1)
	v_fmaak_f32 v25, v25, v38, 0x3f2aaada
	v_pk_mul_f32 v[38:39], v[36:37], v[24:25]
	s_delay_alu instid0(VALU_DEP_1) | instskip(NEXT) | instid1(VALU_DEP_1)
	v_fma_f32 v40, 0x3f317218, v36, -v38
	v_fmac_f32_e32 v40, 0xb102e308, v36
	s_delay_alu instid0(VALU_DEP_1) | instskip(SKIP_1) | instid1(VALU_DEP_2)
	v_pk_add_f32 v[36:37], v[38:39], v[40:41]
	v_sub_f32_e32 v9, v42, v29
	v_dual_mov_b32 v42, v38 :: v_dual_mov_b32 v50, v37
	s_delay_alu instid0(VALU_DEP_2) | instskip(NEXT) | instid1(VALU_DEP_4)
	v_sub_f32_e32 v9, v21, v9
	v_dual_sub_f32 v21, v37, v41 :: v_dual_mov_b32 v41, v36
	s_delay_alu instid0(VALU_DEP_2) | instskip(NEXT) | instid1(VALU_DEP_2)
	v_ldexp_f32 v9, v9, 1
	v_sub_f32_e32 v21, v39, v21
	v_pk_add_f32 v[38:39], v[36:37], v[38:39] neg_lo:[0,1] neg_hi:[0,1]
	s_delay_alu instid0(VALU_DEP_2) | instskip(NEXT) | instid1(VALU_DEP_1)
	v_add_f32_e32 v43, v9, v21
	v_pk_add_f32 v[44:45], v[36:37], v[42:43]
	s_delay_alu instid0(VALU_DEP_1) | instskip(NEXT) | instid1(VALU_DEP_1)
	v_mov_b32_e32 v39, v45
	v_pk_add_f32 v[46:47], v[40:41], v[38:39]
	v_mov_b32_e32 v46, v45
	v_pk_add_f32 v[38:39], v[40:41], v[38:39] neg_lo:[0,1] neg_hi:[0,1]
	s_delay_alu instid0(VALU_DEP_3) | instskip(NEXT) | instid1(VALU_DEP_1)
	v_dual_mov_b32 v42, v47 :: v_dual_mov_b32 v39, v47
	v_pk_add_f32 v[48:49], v[42:43], v[36:37] neg_lo:[0,1] neg_hi:[0,1]
	s_delay_alu instid0(VALU_DEP_1) | instskip(SKIP_1) | instid1(VALU_DEP_2)
	v_dual_mov_b32 v51, v48 :: v_dual_mov_b32 v9, v48
	v_dual_mov_b32 v37, v36 :: v_dual_mov_b32 v36, v43
	v_pk_add_f32 v[48:49], v[46:47], v[50:51] neg_lo:[0,1] neg_hi:[0,1]
	s_delay_alu instid0(VALU_DEP_3) | instskip(SKIP_1) | instid1(VALU_DEP_3)
	v_pk_add_f32 v[40:41], v[44:45], v[8:9] neg_lo:[0,1] neg_hi:[0,1]
	v_mov_b32_e32 v40, v38
	v_pk_add_f32 v[36:37], v[36:37], v[48:49] neg_lo:[0,1] neg_hi:[0,1]
	s_delay_alu instid0(VALU_DEP_1) | instskip(NEXT) | instid1(VALU_DEP_1)
	v_pk_add_f32 v[40:41], v[40:41], v[36:37]
	v_mov_b32_e32 v44, v41
	s_delay_alu instid0(VALU_DEP_1) | instskip(NEXT) | instid1(VALU_DEP_1)
	v_pk_add_f32 v[44:45], v[40:41], v[44:45]
	v_pk_add_f32 v[42:43], v[42:43], v[44:45]
	s_delay_alu instid0(VALU_DEP_1) | instskip(NEXT) | instid1(VALU_DEP_1)
	v_dual_mov_b32 v37, v44 :: v_dual_mov_b32 v41, v42
	v_pk_add_f32 v[46:47], v[40:41], v[38:39] neg_lo:[0,1] neg_hi:[0,1]
	s_delay_alu instid0(VALU_DEP_1) | instskip(NEXT) | instid1(VALU_DEP_2)
	v_sub_f32_e32 v9, v40, v46
	v_pk_add_f32 v[36:37], v[36:37], v[46:47] neg_lo:[0,1] neg_hi:[0,1]
	s_delay_alu instid0(VALU_DEP_2) | instskip(NEXT) | instid1(VALU_DEP_1)
	v_sub_f32_e32 v9, v38, v9
	v_add_f32_e32 v9, v36, v9
	s_delay_alu instid0(VALU_DEP_1) | instskip(NEXT) | instid1(VALU_DEP_1)
	v_add_f32_e32 v9, v9, v37
	v_add_f32_e32 v9, v42, v9
	s_delay_alu instid0(VALU_DEP_1) | instskip(SKIP_1) | instid1(VALU_DEP_2)
	v_cndmask_b32_e32 v9, 0x7f800000, v9, vcc_lo
	v_cmp_ngt_f32_e32 vcc_lo, -1.0, v28
	v_cndmask_b32_e32 v9, 0x7fc00000, v9, vcc_lo
	v_cmp_neq_f32_e32 vcc_lo, -1.0, v28
	s_delay_alu instid0(VALU_DEP_2) | instskip(SKIP_1) | instid1(VALU_DEP_2)
	v_cndmask_b32_e32 v9, 0xff800000, v9, vcc_lo
	v_cmp_gt_f32_e64 vcc_lo, 0x33800000, |v28|
	v_cndmask_b32_e32 v21, v9, v28, vcc_lo
.LBB49_537:                             ;   in Loop: Header=BB49_418 Depth=1
	s_and_not1_saveexec_b32 s21, s21
	s_cbranch_execz .LBB49_539
; %bb.538:                              ;   in Loop: Header=BB49_418 Depth=1
	v_sub_f32_e64 v9, 1.0, |v12|
	s_delay_alu instid0(VALU_DEP_1) | instskip(NEXT) | instid1(VALU_DEP_1)
	v_mul_f32_e32 v9, v9, v11
	v_mul_f32_e32 v21, 0x4f800000, v9
	v_cmp_gt_f32_e32 vcc_lo, 0xf800000, v9
	s_delay_alu instid0(VALU_DEP_2) | instskip(NEXT) | instid1(VALU_DEP_1)
	v_cndmask_b32_e32 v9, v9, v21, vcc_lo
	v_sqrt_f32_e32 v21, v9
	v_nop
	s_delay_alu instid0(TRANS32_DEP_1) | instskip(NEXT) | instid1(VALU_DEP_1)
	v_dual_add_nc_u32 v25, -1, v21 :: v_dual_add_nc_u32 v28, 1, v21
	v_dual_fma_f32 v29, -v25, v21, v9 :: v_dual_fma_f32 v36, -v28, v21, v9
	s_delay_alu instid0(VALU_DEP_1) | instskip(NEXT) | instid1(VALU_DEP_1)
	v_cmp_ge_f32_e64 s3, 0, v29
	v_cndmask_b32_e64 v21, v21, v25, s3
	s_delay_alu instid0(VALU_DEP_3) | instskip(NEXT) | instid1(VALU_DEP_1)
	v_cmp_lt_f32_e64 s3, 0, v36
	v_cndmask_b32_e64 v21, v21, v28, s3
	s_delay_alu instid0(VALU_DEP_1) | instskip(NEXT) | instid1(VALU_DEP_1)
	v_mul_f32_e32 v25, 0x37800000, v21
	v_cndmask_b32_e32 v21, v21, v25, vcc_lo
	v_cmp_class_f32_e64 vcc_lo, v9, 0x260
	v_and_b32_e32 v25, 0x7fffffff, v13
	s_delay_alu instid0(VALU_DEP_3) | instskip(NEXT) | instid1(VALU_DEP_1)
	v_cndmask_b32_e32 v9, v21, v9, vcc_lo
	v_div_scale_f32 v21, null, v9, v9, v25
	v_div_scale_f32 v25, vcc_lo, v25, v9, v25
	s_delay_alu instid0(VALU_DEP_2) | instskip(SKIP_1) | instid1(TRANS32_DEP_1)
	v_rcp_f32_e32 v28, v21
	v_nop
	v_fma_f32 v29, -v21, v28, 1.0
	s_delay_alu instid0(VALU_DEP_1) | instskip(NEXT) | instid1(VALU_DEP_1)
	v_fmac_f32_e32 v28, v29, v28
	v_mul_f32_e32 v29, v25, v28
	s_delay_alu instid0(VALU_DEP_1) | instskip(NEXT) | instid1(VALU_DEP_1)
	v_fma_f32 v36, -v21, v29, v25
	v_fmac_f32_e32 v29, v36, v28
	s_delay_alu instid0(VALU_DEP_1) | instskip(NEXT) | instid1(VALU_DEP_1)
	v_fma_f32 v21, -v21, v29, v25
	v_div_fmas_f32 v21, v21, v28, v29
	s_delay_alu instid0(VALU_DEP_1)
	v_div_fixup_f32 v21, v21, v9, |v13|
.LBB49_539:                             ;   in Loop: Header=BB49_418 Depth=1
	s_or_b32 exec_lo, exec_lo, s21
.LBB49_540:                             ;   in Loop: Header=BB49_418 Depth=1
	s_delay_alu instid0(SALU_CYCLE_1)
	s_or_b32 exec_lo, exec_lo, s20
.LBB49_541:                             ;   in Loop: Header=BB49_418 Depth=1
	s_and_not1_saveexec_b32 s19, s19
	s_cbranch_execz .LBB49_543
; %bb.542:                              ;   in Loop: Header=BB49_418 Depth=1
	v_mul_f32_e64 v9, 0x4f800000, |v13|
	v_cmp_gt_f32_e64 vcc_lo, 0xf800000, |v13|
	s_delay_alu instid0(VALU_DEP_1) | instskip(NEXT) | instid1(VALU_DEP_1)
	v_cndmask_b32_e64 v9, |v13|, v9, vcc_lo
	v_sqrt_f32_e32 v21, v9
	v_nop
	s_delay_alu instid0(TRANS32_DEP_1) | instskip(NEXT) | instid1(VALU_DEP_1)
	v_dual_add_nc_u32 v25, -1, v21 :: v_dual_add_nc_u32 v28, 1, v21
	v_dual_fma_f32 v29, -v25, v21, v9 :: v_dual_fma_f32 v36, -v28, v21, v9
	s_delay_alu instid0(VALU_DEP_1) | instskip(NEXT) | instid1(VALU_DEP_1)
	v_cmp_ge_f32_e64 s3, 0, v29
	v_cndmask_b32_e64 v21, v21, v25, s3
	s_delay_alu instid0(VALU_DEP_3) | instskip(NEXT) | instid1(VALU_DEP_1)
	v_cmp_lt_f32_e64 s3, 0, v36
	v_cndmask_b32_e64 v21, v21, v28, s3
	s_delay_alu instid0(VALU_DEP_1) | instskip(NEXT) | instid1(VALU_DEP_1)
	v_mul_f32_e32 v25, 0x37800000, v21
	v_cndmask_b32_e32 v21, v21, v25, vcc_lo
	v_cmp_class_f32_e64 vcc_lo, v9, 0x260
	s_delay_alu instid0(VALU_DEP_2)
	v_cndmask_b32_e32 v21, v21, v9, vcc_lo
.LBB49_543:                             ;   in Loop: Header=BB49_418 Depth=1
	s_or_b32 exec_lo, exec_lo, s19
.LBB49_544:                             ;   in Loop: Header=BB49_418 Depth=1
	s_delay_alu instid0(SALU_CYCLE_1) | instskip(NEXT) | instid1(SALU_CYCLE_1)
	s_or_b32 exec_lo, exec_lo, s4
	s_mov_b32 s19, exec_lo
                                        ; implicit-def: $sgpr3
                                        ; implicit-def: $vgpr29
                                        ; implicit-def: $vgpr25
	v_cmpx_ngt_f32_e64 0x21000000, |v12|
	s_xor_b32 s19, exec_lo, s19
	s_cbranch_execz .LBB49_568
; %bb.545:                              ;   in Loop: Header=BB49_418 Depth=1
	v_and_b32_e32 v28, 0x7fffffff, v12
	s_mov_b32 s3, 0
	s_mov_b32 s20, exec_lo
	s_delay_alu instid0(VALU_DEP_1) | instskip(NEXT) | instid1(VALU_DEP_1)
	v_div_scale_f32 v9, null, v8, v8, v28
	v_rcp_f32_e32 v25, v9
	v_nop
	s_delay_alu instid0(TRANS32_DEP_1) | instskip(NEXT) | instid1(VALU_DEP_1)
	v_fma_f32 v29, -v9, v25, 1.0
	v_fmac_f32_e32 v25, v29, v25
	v_div_scale_f32 v29, vcc_lo, v28, v8, v28
	s_delay_alu instid0(VALU_DEP_1) | instskip(NEXT) | instid1(VALU_DEP_1)
	v_mul_f32_e32 v36, v29, v25
	v_fma_f32 v37, -v9, v36, v29
	s_delay_alu instid0(VALU_DEP_1) | instskip(NEXT) | instid1(VALU_DEP_1)
	v_fmac_f32_e32 v36, v37, v25
	v_fma_f32 v9, -v9, v36, v29
	s_delay_alu instid0(VALU_DEP_1) | instskip(NEXT) | instid1(VALU_DEP_1)
	v_div_fmas_f32 v9, v9, v25, v36
	v_div_fixup_f32 v25, v9, v8, |v12|
	s_delay_alu instid0(VALU_DEP_1)
	v_cmpx_lt_f32_e32 0x3f244674, v25
	s_cbranch_execz .LBB49_567
; %bb.546:                              ;   in Loop: Header=BB49_418 Depth=1
	v_cmp_neq_f32_e64 s3, |v12|, 1.0
	v_cmp_ngt_f32_e64 s4, 0x30800000, |v13|
	s_or_b32 s3, s3, s4
	s_delay_alu instid0(SALU_CYCLE_1) | instskip(NEXT) | instid1(SALU_CYCLE_1)
	s_and_saveexec_b32 s4, s3
	s_xor_b32 s4, exec_lo, s4
	s_cbranch_execz .LBB49_564
; %bb.547:                              ;   in Loop: Header=BB49_418 Depth=1
	v_mul_f32_e64 v9, 0x34000000, |v10|
	s_mov_b32 s21, exec_lo
	s_delay_alu instid0(VALU_DEP_1)
	v_cmpx_ge_f32_e64 |v13|, v9
	s_xor_b32 s21, exec_lo, s21
	s_cbranch_execz .LBB49_557
; %bb.548:                              ;   in Loop: Header=BB49_418 Depth=1
	v_mov_b32_e32 v9, v34
	s_mov_b32 s3, exec_lo
	v_cmpx_neq_f32_e32 0, v11
	s_cbranch_execz .LBB49_550
; %bb.549:                              ;   in Loop: Header=BB49_418 Depth=1
	v_dual_mul_f32 v9, v13, v13 :: v_dual_add_f32 v11, v11, v35
	s_delay_alu instid0(VALU_DEP_1) | instskip(NEXT) | instid1(VALU_DEP_1)
	v_div_scale_f32 v29, null, v11, v11, v9
	v_rcp_f32_e32 v35, v29
	v_nop
	s_delay_alu instid0(TRANS32_DEP_1) | instskip(NEXT) | instid1(VALU_DEP_1)
	v_fma_f32 v36, -v29, v35, 1.0
	v_fmac_f32_e32 v35, v36, v35
	v_div_scale_f32 v36, vcc_lo, v9, v11, v9
	s_delay_alu instid0(VALU_DEP_1) | instskip(NEXT) | instid1(VALU_DEP_1)
	v_mul_f32_e32 v37, v36, v35
	v_fma_f32 v38, -v29, v37, v36
	s_delay_alu instid0(VALU_DEP_1) | instskip(NEXT) | instid1(VALU_DEP_1)
	v_fmac_f32_e32 v37, v38, v35
	v_fma_f32 v29, -v29, v37, v36
	s_delay_alu instid0(VALU_DEP_1) | instskip(NEXT) | instid1(VALU_DEP_1)
	v_div_fmas_f32 v29, v29, v35, v37
	v_div_fixup_f32 v9, v29, v11, v9
.LBB49_550:                             ;   in Loop: Header=BB49_418 Depth=1
	s_or_b32 exec_lo, exec_lo, s3
	s_delay_alu instid0(SALU_CYCLE_1)
	s_mov_b32 s3, exec_lo
	v_cmpx_ngt_f32_e32 0, v10
	s_xor_b32 s3, exec_lo, s3
	s_cbranch_execz .LBB49_554
; %bb.551:                              ;   in Loop: Header=BB49_418 Depth=1
	s_mov_b32 s22, exec_lo
	v_cmpx_neq_f32_e32 0, v10
	s_cbranch_execz .LBB49_553
; %bb.552:                              ;   in Loop: Header=BB49_418 Depth=1
	v_mul_f32_e32 v11, v13, v13
	v_add_f32_e32 v10, v10, v33
	s_delay_alu instid0(VALU_DEP_1) | instskip(NEXT) | instid1(VALU_DEP_1)
	v_div_scale_f32 v13, null, v10, v10, v11
	v_rcp_f32_e32 v29, v13
	v_nop
	s_delay_alu instid0(TRANS32_DEP_1) | instskip(NEXT) | instid1(VALU_DEP_1)
	v_fma_f32 v33, -v13, v29, 1.0
	v_fmac_f32_e32 v29, v33, v29
	v_div_scale_f32 v33, vcc_lo, v11, v10, v11
	s_delay_alu instid0(VALU_DEP_1) | instskip(NEXT) | instid1(VALU_DEP_1)
	v_mul_f32_e32 v34, v33, v29
	v_fma_f32 v35, -v13, v34, v33
	s_delay_alu instid0(VALU_DEP_1) | instskip(NEXT) | instid1(VALU_DEP_1)
	v_fmac_f32_e32 v34, v35, v29
	v_fma_f32 v13, -v13, v34, v33
	s_delay_alu instid0(VALU_DEP_1) | instskip(NEXT) | instid1(VALU_DEP_1)
	v_div_fmas_f32 v13, v13, v29, v34
	v_div_fixup_f32 v34, v13, v10, v11
.LBB49_553:                             ;   in Loop: Header=BB49_418 Depth=1
	s_or_b32 exec_lo, exec_lo, s22
                                        ; implicit-def: $vgpr33
                                        ; implicit-def: $vgpr10
.LBB49_554:                             ;   in Loop: Header=BB49_418 Depth=1
	s_and_not1_saveexec_b32 s3, s3
; %bb.555:                              ;   in Loop: Header=BB49_418 Depth=1
	v_sub_f32_e32 v34, v33, v10
; %bb.556:                              ;   in Loop: Header=BB49_418 Depth=1
	s_or_b32 exec_lo, exec_lo, s3
	s_delay_alu instid0(VALU_DEP_1) | instskip(SKIP_1) | instid1(VALU_DEP_1)
	v_dual_mul_f32 v11, 0.5, v9 :: v_dual_mul_f32 v9, 0.5, v34
	v_and_b32_e32 v10, 0x7fffffff, v12
	v_pk_add_f32 v[8:9], v[10:11], v[8:9]
	s_delay_alu instid0(VALU_DEP_1) | instskip(NEXT) | instid1(VALU_DEP_1)
	v_mul_f32_e32 v8, v8, v9
	v_mul_f32_e32 v9, 0x4f800000, v8
	v_cmp_gt_f32_e32 vcc_lo, 0xf800000, v8
	s_delay_alu instid0(VALU_DEP_2) | instskip(NEXT) | instid1(VALU_DEP_1)
	v_cndmask_b32_e32 v8, v8, v9, vcc_lo
	v_sqrt_f32_e32 v9, v8
	v_nop
	s_delay_alu instid0(TRANS32_DEP_1) | instskip(NEXT) | instid1(VALU_DEP_1)
	v_dual_add_nc_u32 v10, -1, v9 :: v_dual_add_nc_u32 v11, 1, v9
	v_dual_fma_f32 v12, -v10, v9, v8 :: v_dual_fma_f32 v13, -v11, v9, v8
	s_delay_alu instid0(VALU_DEP_1) | instskip(NEXT) | instid1(VALU_DEP_1)
	v_cmp_ge_f32_e64 s3, 0, v12
	v_cndmask_b32_e64 v9, v9, v10, s3
	s_delay_alu instid0(VALU_DEP_3) | instskip(NEXT) | instid1(VALU_DEP_1)
	v_cmp_lt_f32_e64 s3, 0, v13
	v_cndmask_b32_e64 v9, v9, v11, s3
	s_delay_alu instid0(VALU_DEP_1) | instskip(NEXT) | instid1(VALU_DEP_1)
	v_mul_f32_e32 v10, 0x37800000, v9
	v_cndmask_b32_e32 v9, v9, v10, vcc_lo
	v_cmp_class_f32_e64 vcc_lo, v8, 0x260
                                        ; implicit-def: $vgpr10_vgpr11_vgpr12_vgpr13
                                        ; implicit-def: $vgpr11
                                        ; implicit-def: $vgpr10
	s_delay_alu instid0(VALU_DEP_2)
	v_cndmask_b32_e32 v29, v9, v8, vcc_lo
.LBB49_557:                             ;   in Loop: Header=BB49_418 Depth=1
	s_and_not1_saveexec_b32 s21, s21
	s_cbranch_execz .LBB49_563
; %bb.558:                              ;   in Loop: Header=BB49_418 Depth=1
	s_mov_b32 s22, exec_lo
	v_cmpx_ngt_f32_e64 |v12|, 1.0
	s_xor_b32 s22, exec_lo, s22
	s_cbranch_execz .LBB49_560
; %bb.559:                              ;   in Loop: Header=BB49_418 Depth=1
	v_sub_f32_e64 v8, 1.0, |v12|
	s_delay_alu instid0(VALU_DEP_1) | instskip(NEXT) | instid1(VALU_DEP_1)
	v_mul_f32_e32 v8, v8, v11
	v_mul_f32_e32 v9, 0x4f800000, v8
	v_cmp_gt_f32_e32 vcc_lo, 0xf800000, v8
	s_delay_alu instid0(VALU_DEP_2) | instskip(NEXT) | instid1(VALU_DEP_1)
	v_cndmask_b32_e32 v8, v8, v9, vcc_lo
	v_sqrt_f32_e32 v9, v8
	v_nop
	s_delay_alu instid0(TRANS32_DEP_1) | instskip(NEXT) | instid1(VALU_DEP_1)
	v_dual_add_nc_u32 v10, -1, v9 :: v_dual_add_nc_u32 v11, 1, v9
	v_dual_fma_f32 v12, -v10, v9, v8 :: v_dual_fma_f32 v13, -v11, v9, v8
	s_delay_alu instid0(VALU_DEP_1) | instskip(NEXT) | instid1(VALU_DEP_1)
	v_cmp_ge_f32_e64 s3, 0, v12
	v_cndmask_b32_e64 v9, v9, v10, s3
	s_delay_alu instid0(VALU_DEP_3) | instskip(NEXT) | instid1(VALU_DEP_1)
	v_cmp_lt_f32_e64 s3, 0, v13
	v_cndmask_b32_e64 v9, v9, v11, s3
	s_delay_alu instid0(VALU_DEP_1) | instskip(NEXT) | instid1(VALU_DEP_1)
	v_mul_f32_e32 v10, 0x37800000, v9
	v_cndmask_b32_e32 v9, v9, v10, vcc_lo
	v_cmp_class_f32_e64 vcc_lo, v8, 0x260
                                        ; implicit-def: $vgpr10_vgpr11_vgpr12_vgpr13
                                        ; implicit-def: $vgpr11
                                        ; implicit-def: $vgpr10
	s_delay_alu instid0(VALU_DEP_2)
	v_cndmask_b32_e32 v29, v9, v8, vcc_lo
.LBB49_560:                             ;   in Loop: Header=BB49_418 Depth=1
	s_and_not1_saveexec_b32 s22, s22
	s_cbranch_execz .LBB49_562
; %bb.561:                              ;   in Loop: Header=BB49_418 Depth=1
	v_mul_f32_e32 v8, v11, v10
	s_delay_alu instid0(VALU_DEP_1) | instskip(SKIP_1) | instid1(VALU_DEP_2)
	v_mul_f32_e32 v9, 0x4f800000, v8
	v_cmp_gt_f32_e32 vcc_lo, 0xf800000, v8
	v_cndmask_b32_e32 v8, v8, v9, vcc_lo
	s_delay_alu instid0(VALU_DEP_1) | instskip(SKIP_1) | instid1(TRANS32_DEP_1)
	v_sqrt_f32_e32 v9, v8
	v_nop
	v_dual_add_nc_u32 v10, -1, v9 :: v_dual_add_nc_u32 v11, 1, v9
	s_delay_alu instid0(VALU_DEP_1) | instskip(NEXT) | instid1(VALU_DEP_1)
	v_dual_fma_f32 v28, -v10, v9, v8 :: v_dual_fma_f32 v29, -v11, v9, v8
	v_cmp_ge_f32_e64 s3, 0, v28
	s_delay_alu instid0(VALU_DEP_1) | instskip(NEXT) | instid1(VALU_DEP_3)
	v_cndmask_b32_e64 v9, v9, v10, s3
	v_cmp_lt_f32_e64 s3, 0, v29
	s_delay_alu instid0(VALU_DEP_1) | instskip(SKIP_1) | instid1(VALU_DEP_2)
	v_cndmask_b32_e64 v9, v9, v11, s3
	v_mul_f32_e64 v11, 0x57800000, |v13|
	v_mul_f32_e32 v10, 0x37800000, v9
	s_delay_alu instid0(VALU_DEP_1) | instskip(SKIP_1) | instid1(VALU_DEP_4)
	v_cndmask_b32_e32 v9, v9, v10, vcc_lo
	v_cmp_class_f32_e64 vcc_lo, v8, 0x260
	v_mul_f32_e64 v10, |v12|, v11
	s_delay_alu instid0(VALU_DEP_3) | instskip(NEXT) | instid1(VALU_DEP_1)
	v_cndmask_b32_e32 v8, v9, v8, vcc_lo
	v_div_scale_f32 v9, null, v8, v8, v10
	v_div_scale_f32 v28, vcc_lo, v10, v8, v10
	s_delay_alu instid0(VALU_DEP_2) | instskip(SKIP_1) | instid1(TRANS32_DEP_1)
	v_rcp_f32_e32 v11, v9
	v_nop
	v_fma_f32 v13, -v9, v11, 1.0
	s_delay_alu instid0(VALU_DEP_1) | instskip(NEXT) | instid1(VALU_DEP_1)
	v_fmac_f32_e32 v11, v13, v11
	v_mul_f32_e32 v13, v28, v11
	s_delay_alu instid0(VALU_DEP_1) | instskip(NEXT) | instid1(VALU_DEP_1)
	v_fma_f32 v29, -v9, v13, v28
	v_fmac_f32_e32 v13, v29, v11
	s_delay_alu instid0(VALU_DEP_1) | instskip(SKIP_1) | instid1(VALU_DEP_2)
	v_fma_f32 v9, -v9, v13, v28
	v_mul_f32_e64 v28, 0x57800000, |v12|
	v_div_fmas_f32 v9, v9, v11, v13
	s_delay_alu instid0(VALU_DEP_1)
	v_div_fixup_f32 v29, v9, v8, v10
.LBB49_562:                             ;   in Loop: Header=BB49_418 Depth=1
	s_or_b32 exec_lo, exec_lo, s22
.LBB49_563:                             ;   in Loop: Header=BB49_418 Depth=1
	s_delay_alu instid0(SALU_CYCLE_1)
	s_or_b32 exec_lo, exec_lo, s21
                                        ; implicit-def: $vgpr10_vgpr11_vgpr12_vgpr13
                                        ; implicit-def: $vgpr8
.LBB49_564:                             ;   in Loop: Header=BB49_418 Depth=1
	s_and_not1_saveexec_b32 s21, s4
	s_cbranch_execz .LBB49_566
; %bb.565:                              ;   in Loop: Header=BB49_418 Depth=1
	v_add_f32_e32 v8, 1.0, v8
	v_mul_f32_e64 v9, 0x4f800000, |v13|
	v_cmp_gt_f32_e64 vcc_lo, 0xf800000, |v13|
	s_delay_alu instid0(VALU_DEP_3) | instskip(NEXT) | instid1(VALU_DEP_2)
	v_mul_f32_e32 v8, 0.5, v8
	v_cndmask_b32_e64 v9, |v13|, v9, vcc_lo
	s_delay_alu instid0(VALU_DEP_2) | instskip(SKIP_1) | instid1(VALU_DEP_1)
	v_mul_f32_e32 v10, 0x4f800000, v8
	v_cmp_gt_f32_e64 s3, 0xf800000, v8
	v_cndmask_b32_e64 v8, v8, v10, s3
	s_delay_alu instid0(VALU_DEP_4) | instskip(SKIP_1) | instid1(TRANS32_DEP_1)
	v_sqrt_f32_e32 v10, v9
	v_nop
	v_add_nc_u32_e32 v28, 1, v10
	s_delay_alu instid0(VALU_DEP_3) | instskip(SKIP_1) | instid1(TRANS32_DEP_1)
	v_sqrt_f32_e32 v11, v8
	v_nop
	v_dual_add_nc_u32 v12, -1, v10 :: v_dual_add_nc_u32 v13, -1, v11
	s_delay_alu instid0(VALU_DEP_1) | instskip(NEXT) | instid1(VALU_DEP_2)
	v_dual_fma_f32 v29, -v12, v10, v9 :: v_dual_add_nc_u32 v33, 1, v11
	v_fma_f32 v34, -v13, v11, v8
	s_delay_alu instid0(VALU_DEP_2) | instskip(NEXT) | instid1(VALU_DEP_1)
	v_cmp_ge_f32_e64 s4, 0, v29
	v_dual_fma_f32 v35, -v28, v10, v9 :: v_dual_cndmask_b32 v10, v10, v12, s4
	s_delay_alu instid0(VALU_DEP_3) | instskip(NEXT) | instid1(VALU_DEP_1)
	v_cmp_ge_f32_e64 s4, 0, v34
	v_dual_fma_f32 v12, -v33, v11, v8 :: v_dual_cndmask_b32 v11, v11, v13, s4
	s_delay_alu instid0(VALU_DEP_3) | instskip(NEXT) | instid1(VALU_DEP_1)
	v_cmp_lt_f32_e64 s4, 0, v35
	v_cndmask_b32_e64 v10, v10, v28, s4
	s_delay_alu instid0(VALU_DEP_3) | instskip(NEXT) | instid1(VALU_DEP_1)
	v_cmp_lt_f32_e64 s4, 0, v12
	v_cndmask_b32_e64 v11, v11, v33, s4
	s_delay_alu instid0(VALU_DEP_1) | instskip(NEXT) | instid1(VALU_DEP_1)
	v_dual_mul_f32 v12, 0x37800000, v10 :: v_dual_mul_f32 v13, 0x37800000, v11
	v_cndmask_b32_e32 v10, v10, v12, vcc_lo
	v_cmp_class_f32_e64 vcc_lo, v9, 0x260
	s_delay_alu instid0(VALU_DEP_3) | instskip(NEXT) | instid1(VALU_DEP_3)
	v_cndmask_b32_e64 v11, v11, v13, s3
	v_cndmask_b32_e32 v9, v10, v9, vcc_lo
	v_cmp_class_f32_e64 vcc_lo, v8, 0x260
	s_delay_alu instid0(VALU_DEP_1) | instskip(NEXT) | instid1(VALU_DEP_1)
	v_dual_cndmask_b32 v8, v11, v8, vcc_lo :: v_dual_mov_b32 v28, 1.0
	v_mul_f32_e32 v29, v9, v8
.LBB49_566:                             ;   in Loop: Header=BB49_418 Depth=1
	s_or_b32 exec_lo, exec_lo, s21
	s_delay_alu instid0(SALU_CYCLE_1)
	s_mov_b32 s3, exec_lo
.LBB49_567:                             ;   in Loop: Header=BB49_418 Depth=1
	s_or_b32 exec_lo, exec_lo, s20
                                        ; implicit-def: $vgpr10_vgpr11_vgpr12_vgpr13
                                        ; implicit-def: $vgpr8
.LBB49_568:                             ;   in Loop: Header=BB49_418 Depth=1
	s_and_not1_saveexec_b32 s4, s19
; %bb.569:                              ;   in Loop: Header=BB49_418 Depth=1
	v_and_b32_e32 v10, 0x7fffffff, v12
	v_mov_b32_e32 v11, v8
	s_or_b32 s3, s3, exec_lo
                                        ; implicit-def: $vgpr25
	s_delay_alu instid0(VALU_DEP_1)
	v_pk_mul_f32 v[28:29], v[10:11], s[8:9] op_sel_hi:[1,0]
; %bb.570:                              ;   in Loop: Header=BB49_418 Depth=1
	s_or_b32 exec_lo, exec_lo, s4
	s_xor_b32 s3, s3, -1
	s_delay_alu instid0(SALU_CYCLE_1) | instskip(NEXT) | instid1(SALU_CYCLE_1)
	s_and_saveexec_b32 s4, s3
	s_xor_b32 s4, exec_lo, s4
	s_cbranch_execz .LBB49_576
; %bb.571:                              ;   in Loop: Header=BB49_418 Depth=1
	s_and_saveexec_b32 s3, s2
	s_delay_alu instid0(SALU_CYCLE_1)
	s_xor_b32 s3, exec_lo, s3
	s_cbranch_execz .LBB49_573
; %bb.572:                              ;   in Loop: Header=BB49_418 Depth=1
	v_fma_f32 v8, |v25|, -0.5, 0.5
	v_mul_f32_e32 v9, v25, v25
	v_cmp_gt_f32_e64 vcc_lo, |v25|, 0.5
	s_delay_alu instid0(VALU_DEP_2) | instskip(NEXT) | instid1(VALU_DEP_1)
	v_cndmask_b32_e32 v8, v9, v8, vcc_lo
	v_fmaak_f32 v9, s10, v8, 0x3c5fc5da
	v_sqrt_f32_e32 v10, v8
	s_delay_alu instid0(VALU_DEP_1) | instskip(NEXT) | instid1(VALU_DEP_1)
	v_fmaak_f32 v9, v8, v9, 0x3d034c3c
	v_fmaak_f32 v9, v8, v9, 0x3d3641b1
	s_delay_alu instid0(VALU_DEP_1) | instskip(NEXT) | instid1(VALU_DEP_1)
	v_fmaak_f32 v9, v8, v9, 0x3d999bc8
	v_fmaak_f32 v9, v8, v9, 0x3e2aaaac
	s_delay_alu instid0(VALU_DEP_1)
	v_mul_f32_e32 v8, v8, v9
	s_delay_alu instid0(TRANS32_DEP_1) | instid1(VALU_DEP_1)
	v_dual_fmac_f32 v10, v10, v8 :: v_dual_fmac_f32 v25, v25, v8
	s_delay_alu instid0(VALU_DEP_1) | instskip(NEXT) | instid1(VALU_DEP_1)
	v_dual_add_f32 v8, v10, v10 :: v_dual_sub_f32 v9, 0x3fc90fdb, v25
                                        ; implicit-def: $vgpr25
	v_cndmask_b32_e32 v8, v9, v8, vcc_lo
.LBB49_573:                             ;   in Loop: Header=BB49_418 Depth=1
	s_and_not1_saveexec_b32 s19, s3
	s_cbranch_execz .LBB49_575
; %bb.574:                              ;   in Loop: Header=BB49_418 Depth=1
	v_fma_f32 v8, |v25|, -0.5, 0.5
	v_mul_f32_e32 v9, v25, v25
	v_cmp_gt_f32_e64 vcc_lo, |v25|, 0.5
	v_cmp_lt_f32_e64 s3, 0, v25
	s_delay_alu instid0(VALU_DEP_3) | instskip(NEXT) | instid1(VALU_DEP_1)
	v_cndmask_b32_e32 v8, v9, v8, vcc_lo
	v_fmaak_f32 v9, s10, v8, 0x3c5fc5da
	v_sqrt_f32_e32 v10, v8
	s_delay_alu instid0(VALU_DEP_1) | instskip(NEXT) | instid1(VALU_DEP_1)
	v_fmaak_f32 v9, v8, v9, 0x3d034c3c
	v_fmaak_f32 v9, v8, v9, 0x3d3641b1
	s_delay_alu instid0(VALU_DEP_1) | instskip(NEXT) | instid1(VALU_DEP_1)
	v_fmaak_f32 v9, v8, v9, 0x3d999bc8
	v_fmaak_f32 v9, v8, v9, 0x3e2aaaac
	s_delay_alu instid0(VALU_DEP_1)
	v_mul_f32_e32 v8, v8, v9
	s_delay_alu instid0(TRANS32_DEP_1) | instid1(VALU_DEP_1)
	v_fmac_f32_e32 v10, v10, v8
	s_delay_alu instid0(VALU_DEP_1) | instskip(NEXT) | instid1(VALU_DEP_1)
	v_add_f32_e32 v9, v10, v10
	v_sub_f32_e32 v10, 0x40490fdb, v9
	s_delay_alu instid0(VALU_DEP_1) | instskip(SKIP_1) | instid1(VALU_DEP_1)
	v_cndmask_b32_e64 v9, v9, v10, s3
	v_fma_f32 v8, -v25, v8, -v25
	v_sub_f32_e32 v8, 0x3fc90fdb, v8
	s_delay_alu instid0(VALU_DEP_1)
	v_cndmask_b32_e32 v8, v8, v9, vcc_lo
.LBB49_575:                             ;   in Loop: Header=BB49_418 Depth=1
	s_or_b32 exec_lo, exec_lo, s19
                                        ; implicit-def: $vgpr28
.LBB49_576:                             ;   in Loop: Header=BB49_418 Depth=1
	s_and_not1_saveexec_b32 s3, s4
	s_cbranch_execz .LBB49_582
; %bb.577:                              ;   in Loop: Header=BB49_418 Depth=1
	v_max_num_f32_e64 v8, |v29|, |v29|
	v_max_num_f32_e32 v9, v28, v28
	v_cmp_gt_f32_e64 vcc_lo, |v29|, v28
	s_delay_alu instid0(VALU_DEP_2) | instskip(NEXT) | instid1(VALU_DEP_1)
	v_dual_max_num_f32 v10, v9, v8 :: v_dual_min_num_f32 v8, v9, v8
	v_frexp_mant_f32_e32 v11, v10
	v_frexp_exp_i32_f32_e32 v10, v10
	s_delay_alu instid0(VALU_DEP_2)
	v_rcp_f32_e32 v9, v11
	v_nop
	v_frexp_mant_f32_e32 v11, v8
	v_frexp_exp_i32_f32_e32 v8, v8
	s_delay_alu instid0(TRANS32_DEP_1) | instid1(VALU_DEP_1)
	v_dual_mul_f32 v9, v11, v9 :: v_dual_sub_nc_u32 v8, v8, v10
	s_delay_alu instid0(VALU_DEP_1) | instskip(NEXT) | instid1(VALU_DEP_1)
	v_ldexp_f32 v8, v9, v8
	v_mul_f32_e32 v9, v8, v8
	s_delay_alu instid0(VALU_DEP_1) | instskip(NEXT) | instid1(VALU_DEP_1)
	v_fmaak_f32 v10, s11, v9, 0xbc7a590c
	v_fmaak_f32 v10, v9, v10, 0x3d29fb3f
	s_delay_alu instid0(VALU_DEP_1) | instskip(NEXT) | instid1(VALU_DEP_1)
	v_fmaak_f32 v10, v9, v10, 0xbd97d4d7
	v_fmaak_f32 v10, v9, v10, 0x3dd931b2
	;; [unrolled: 3-line block ×3, first 2 shown]
	s_delay_alu instid0(VALU_DEP_1) | instskip(NEXT) | instid1(VALU_DEP_1)
	v_fmaak_f32 v10, v9, v10, 0xbeaaaa62
	v_mul_f32_e32 v9, v9, v10
	s_delay_alu instid0(VALU_DEP_1) | instskip(NEXT) | instid1(VALU_DEP_1)
	v_fmac_f32_e32 v8, v8, v9
	v_sub_f32_e32 v9, 0x3fc90fdb, v8
	s_delay_alu instid0(VALU_DEP_1) | instskip(SKIP_1) | instid1(SALU_CYCLE_1)
	v_cndmask_b32_e32 v9, v8, v9, vcc_lo
	s_and_saveexec_b32 s4, s2
	s_xor_b32 s4, exec_lo, s4
	s_cbranch_execz .LBB49_579
; %bb.578:                              ;   in Loop: Header=BB49_418 Depth=1
	v_cmp_neq_f32_e64 s2, 0, v29
	v_cmp_eq_f32_e32 vcc_lo, 0x7f800000, v28
	v_cmp_class_f32_e64 s19, v29, 0x204
	s_delay_alu instid0(VALU_DEP_3) | instskip(SKIP_2) | instid1(VALU_DEP_2)
	v_cndmask_b32_e64 v8, 0, v9, s2
                                        ; implicit-def: $vgpr9
	s_and_b32 s2, vcc_lo, s19
	v_cmp_o_f32_e32 vcc_lo, v29, v29
	v_cndmask_b32_e64 v8, v8, 0x3f490fdb, s2
	s_delay_alu instid0(VALU_DEP_1) | instskip(NEXT) | instid1(VALU_DEP_1)
	v_cndmask_b32_e32 v8, 0x7fc00000, v8, vcc_lo
	v_bfi_b32 v8, 0x7fffffff, v8, v29
                                        ; implicit-def: $vgpr28
.LBB49_579:                             ;   in Loop: Header=BB49_418 Depth=1
	s_and_not1_saveexec_b32 s4, s4
	s_cbranch_execz .LBB49_581
; %bb.580:                              ;   in Loop: Header=BB49_418 Depth=1
	v_sub_f32_e32 v8, 0x40490fdb, v9
	v_cmp_lt_f32_e32 vcc_lo, 0, v28
	v_cmp_neq_f32_e64 s2, 0, v29
	v_cmp_class_f32_e64 s19, v29, 0x204
	s_delay_alu instid0(VALU_DEP_4) | instskip(SKIP_1) | instid1(VALU_DEP_2)
	v_cndmask_b32_e32 v8, v9, v8, vcc_lo
	v_cmp_eq_f32_e32 vcc_lo, 0x7f800000, v28
	v_cndmask_b32_e64 v8, 0x40490fdb, v8, s2
	s_and_b32 s2, vcc_lo, s19
	v_cmp_o_f32_e32 vcc_lo, v29, v29
	s_delay_alu instid0(VALU_DEP_2) | instskip(NEXT) | instid1(VALU_DEP_1)
	v_cndmask_b32_e64 v8, v8, 0x4016cbe4, s2
	v_cndmask_b32_e32 v8, 0x7fc00000, v8, vcc_lo
	s_delay_alu instid0(VALU_DEP_1)
	v_bfi_b32 v8, 0x7fffffff, v8, v29
.LBB49_581:                             ;   in Loop: Header=BB49_418 Depth=1
	s_or_b32 exec_lo, exec_lo, s4
.LBB49_582:                             ;   in Loop: Header=BB49_418 Depth=1
	s_delay_alu instid0(SALU_CYCLE_1)
	s_or_b32 exec_lo, exec_lo, s3
	v_cndmask_b32_e64 v9, -v21, v21, s0
                                        ; implicit-def: $vgpr10_vgpr11_vgpr12_vgpr13
.LBB49_583:                             ;   in Loop: Header=BB49_418 Depth=1
	s_and_not1_saveexec_b32 s2, s18
	s_cbranch_execz .LBB49_585
; %bb.584:                              ;   in Loop: Header=BB49_418 Depth=1
	s_wait_dscnt 0x0
	flat_load_b32 v8, v[16:17] scope:SCOPE_SYS
	s_wait_loadcnt_dscnt 0x0
	v_sub_f32_e32 v8, v8, v12
	s_delay_alu instid0(VALU_DEP_1)
	v_add_f32_e32 v8, 0x3fc90fdb, v8
.LBB49_585:                             ;   in Loop: Header=BB49_418 Depth=1
	s_or_b32 exec_lo, exec_lo, s2
.LBB49_586:                             ;   in Loop: Header=BB49_418 Depth=1
	s_and_not1_saveexec_b32 s2, s17
	s_cbranch_execz .LBB49_588
; %bb.587:                              ;   in Loop: Header=BB49_418 Depth=1
	s_wait_dscnt 0x0
	v_mov_b32_e32 v8, 0
.LBB49_588:                             ;   in Loop: Header=BB49_418 Depth=1
	s_or_b32 exec_lo, exec_lo, s2
                                        ; implicit-def: $vgpr10_vgpr11_vgpr12_vgpr13
                                        ; implicit-def: $vgpr21
                                        ; implicit-def: $vgpr11
                                        ; implicit-def: $vgpr10
.LBB49_589:                             ;   in Loop: Header=BB49_418 Depth=1
	s_and_not1_saveexec_b32 s4, s16
	s_cbranch_execz .LBB49_599
; %bb.590:                              ;   in Loop: Header=BB49_418 Depth=1
	v_cmp_lt_f32_e64 s2, |v12|, |v13|
                                        ; implicit-def: $vgpr9
                                        ; implicit-def: $vgpr8
	s_mov_b32 s3, exec_lo
	v_cndmask_b32_e64 v25, |v12|, |v13|, s2
	s_delay_alu instid0(VALU_DEP_1)
	v_cmpx_nlt_f32_e32 0x7effffff, v25
	s_xor_b32 s16, exec_lo, s3
	s_cbranch_execz .LBB49_596
; %bb.591:                              ;   in Loop: Header=BB49_418 Depth=1
	v_cndmask_b32_e64 v28, |v13|, |v12|, s2
	v_cmp_nlt_f32_e32 vcc_lo, 0x5e000000, v25
                                        ; implicit-def: $vgpr9
                                        ; implicit-def: $vgpr8
	s_delay_alu instid0(VALU_DEP_2) | instskip(SKIP_1) | instid1(SALU_CYCLE_1)
	v_cmp_ngt_f32_e64 s3, 0x20000000, v28
	s_and_b32 s3, vcc_lo, s3
	s_and_saveexec_b32 s17, s3
	s_delay_alu instid0(SALU_CYCLE_1)
	s_xor_b32 s17, exec_lo, s17
	s_cbranch_execz .LBB49_593
; %bb.592:                              ;   in Loop: Header=BB49_418 Depth=1
	s_wait_dscnt 0x0
	v_frexp_mant_f32_e32 v8, v10
	v_dual_min_num_f32 v9, v11, v21 :: v_dual_mul_f32 v21, v28, v28
	v_frexp_exp_i32_f32_e32 v10, v10
	s_delay_alu instid0(VALU_DEP_3) | instskip(NEXT) | instid1(VALU_DEP_2)
	v_rcp_f32_e32 v8, v8
	v_frexp_exp_i32_f32_e32 v11, v9
	v_frexp_mant_f32_e32 v9, v9
	s_delay_alu instid0(TRANS32_DEP_1) | instid1(VALU_DEP_1)
	v_dual_sub_nc_u32 v10, v11, v10 :: v_dual_mul_f32 v8, v9, v8
	s_delay_alu instid0(VALU_DEP_1) | instskip(NEXT) | instid1(VALU_DEP_1)
	v_ldexp_f32 v8, v8, v10
	v_dual_fmac_f32 v21, v25, v25 :: v_dual_mul_f32 v10, v8, v8
	s_delay_alu instid0(VALU_DEP_1) | instskip(NEXT) | instid1(VALU_DEP_2)
	v_cmp_gt_f32_e32 vcc_lo, 0x800000, v21
	v_fmaak_f32 v11, s11, v10, 0xbc7a590c
	v_cndmask_b32_e64 v9, 0, 32, vcc_lo
	s_delay_alu instid0(VALU_DEP_2) | instskip(NEXT) | instid1(VALU_DEP_2)
	v_fmaak_f32 v11, v10, v11, 0x3d29fb3f
	v_ldexp_f32 v9, v21, v9
	s_delay_alu instid0(VALU_DEP_2) | instskip(NEXT) | instid1(VALU_DEP_2)
	v_fmaak_f32 v11, v10, v11, 0xbd97d4d7
	v_log_f32_e32 v9, v9
	s_delay_alu instid0(VALU_DEP_1) | instskip(NEXT) | instid1(TRANS32_DEP_1)
	v_fmaak_f32 v11, v10, v11, 0x3dd931b2
	v_cmp_gt_f32_e64 s3, 0x7f800000, |v9|
	s_delay_alu instid0(VALU_DEP_2) | instskip(NEXT) | instid1(VALU_DEP_1)
	v_fmaak_f32 v11, v10, v11, 0xbe1160e6
	v_fmaak_f32 v11, v10, v11, 0x3e4cb8bf
	s_delay_alu instid0(VALU_DEP_1) | instskip(NEXT) | instid1(VALU_DEP_1)
	v_fmaak_f32 v11, v10, v11, 0xbeaaaa62
	v_dual_mul_f32 v21, 0x3f317217, v9 :: v_dual_mul_f32 v10, v10, v11
	s_delay_alu instid0(VALU_DEP_1) | instskip(NEXT) | instid1(VALU_DEP_1)
	v_fma_f32 v21, 0x3f317217, v9, -v21
                                        ; implicit-def: $vgpr11
	v_dual_fmac_f32 v8, v8, v10 :: v_dual_fmac_f32 v21, 0x3377d1cf, v9
                                        ; implicit-def: $vgpr10
	s_delay_alu instid0(VALU_DEP_1) | instskip(NEXT) | instid1(VALU_DEP_1)
	v_fmac_f32_e32 v21, 0x3f317217, v9
	v_cndmask_b32_e64 v9, v9, v21, s3
	v_cndmask_b32_e64 v21, 0, 0x41b17218, vcc_lo
	s_delay_alu instid0(VALU_DEP_1) | instskip(NEXT) | instid1(VALU_DEP_1)
	v_sub_f32_e32 v9, v9, v21
                                        ; implicit-def: $vgpr21
	v_mul_f32_e32 v9, 0.5, v9
.LBB49_593:                             ;   in Loop: Header=BB49_418 Depth=1
	s_and_not1_saveexec_b32 s3, s17
	s_cbranch_execz .LBB49_595
; %bb.594:                              ;   in Loop: Header=BB49_418 Depth=1
	s_wait_dscnt 0x0
	v_cvt_f64_f32_e32 v[8:9], v10
	v_frexp_mant_f32_e32 v28, v10
	v_min_num_f32_e32 v11, v11, v21
	v_cmp_neq_f32_e32 vcc_lo, 0x7f800000, v10
	s_delay_alu instid0(VALU_DEP_3) | instskip(SKIP_1) | instid1(VALU_DEP_3)
	v_rcp_f32_e32 v21, v28
	v_nop
	v_frexp_exp_i32_f32_e32 v28, v11
	v_frexp_mant_f32_e32 v11, v11
	s_delay_alu instid0(TRANS32_DEP_1) | instid1(VALU_DEP_1)
	v_mul_f32_e32 v11, v11, v21
	v_frexp_exp_i32_f64_e32 v8, v[8:9]
	s_delay_alu instid0(VALU_DEP_1) | instskip(NEXT) | instid1(VALU_DEP_1)
	v_sub_nc_u32_e32 v9, 0, v8
	v_ldexp_f32 v25, |v13|, v9
	s_delay_alu instid0(VALU_DEP_1) | instskip(SKIP_1) | instid1(VALU_DEP_1)
	v_mul_f32_e32 v25, v25, v25
	v_ldexp_f32 v9, |v12|, v9
	v_fmac_f32_e32 v25, v9, v9
	v_frexp_exp_i32_f32_e32 v9, v10
	s_delay_alu instid0(VALU_DEP_1) | instskip(NEXT) | instid1(VALU_DEP_3)
	v_sub_nc_u32_e32 v9, v28, v9
	v_sqrt_f32_e32 v25, v25
	v_nop
	s_delay_alu instid0(TRANS32_DEP_1) | instskip(NEXT) | instid1(VALU_DEP_3)
	v_ldexp_f32 v21, v25, v8
	v_ldexp_f32 v8, v11, v9
	s_delay_alu instid0(VALU_DEP_1) | instskip(NEXT) | instid1(VALU_DEP_1)
	v_dual_mul_f32 v10, v8, v8 :: v_dual_cndmask_b32 v9, 0x7f800000, v21
	v_fmaak_f32 v21, s11, v10, 0xbc7a590c
	s_delay_alu instid0(VALU_DEP_2) | instskip(SKIP_2) | instid1(VALU_DEP_2)
	v_cmp_gt_f32_e32 vcc_lo, 0x800000, v9
	v_cndmask_b32_e64 v11, 0, 32, vcc_lo
	v_cndmask_b32_e64 v25, 0, 0x41b17218, vcc_lo
	v_ldexp_f32 v9, v9, v11
	v_fmaak_f32 v11, v10, v21, 0x3d29fb3f
	s_delay_alu instid0(VALU_DEP_2) | instskip(NEXT) | instid1(VALU_DEP_1)
	v_log_f32_e32 v9, v9
	v_fmaak_f32 v11, v10, v11, 0xbd97d4d7
	s_delay_alu instid0(VALU_DEP_1) | instskip(NEXT) | instid1(TRANS32_DEP_1)
	v_fmaak_f32 v11, v10, v11, 0x3dd931b2
	v_mul_f32_e32 v21, 0x3f317217, v9
	v_cmp_gt_f32_e64 vcc_lo, 0x7f800000, |v9|
	s_delay_alu instid0(VALU_DEP_3) | instskip(NEXT) | instid1(VALU_DEP_3)
	v_fmaak_f32 v11, v10, v11, 0xbe1160e6
	v_fma_f32 v21, 0x3f317217, v9, -v21
	s_delay_alu instid0(VALU_DEP_2) | instskip(NEXT) | instid1(VALU_DEP_2)
	v_fmaak_f32 v11, v10, v11, 0x3e4cb8bf
	v_fmac_f32_e32 v21, 0x3377d1cf, v9
	s_delay_alu instid0(VALU_DEP_2) | instskip(NEXT) | instid1(VALU_DEP_1)
	v_fmaak_f32 v11, v10, v11, 0xbeaaaa62
	v_dual_fmac_f32 v21, 0x3f317217, v9 :: v_dual_mul_f32 v10, v10, v11
	s_delay_alu instid0(VALU_DEP_1) | instskip(NEXT) | instid1(VALU_DEP_1)
	v_dual_cndmask_b32 v9, v9, v21 :: v_dual_fmac_f32 v8, v8, v10
	v_sub_f32_e32 v9, v9, v25
.LBB49_595:                             ;   in Loop: Header=BB49_418 Depth=1
	s_or_b32 exec_lo, exec_lo, s3
                                        ; implicit-def: $vgpr11
                                        ; implicit-def: $vgpr21
                                        ; implicit-def: $vgpr10
.LBB49_596:                             ;   in Loop: Header=BB49_418 Depth=1
	s_and_not1_saveexec_b32 s16, s16
	s_cbranch_execz .LBB49_598
; %bb.597:                              ;   in Loop: Header=BB49_418 Depth=1
	s_wait_dscnt 0x0
	v_div_scale_f32 v8, null, 0x402df854, 0x402df854, v12
	v_div_scale_f32 v9, null, 0x402df854, 0x402df854, v13
	v_div_scale_f32 v34, vcc_lo, v12, 0x402df854, v12
	s_delay_alu instid0(VALU_DEP_3) | instskip(NEXT) | instid1(VALU_DEP_2)
	v_rcp_f32_e32 v25, v8
	v_rcp_f32_e32 v28, v9
	v_min_num_f32_e32 v11, v11, v21
	s_delay_alu instid0(TRANS32_DEP_2) | instskip(NEXT) | instid1(TRANS32_DEP_1)
	v_fma_f32 v29, -v8, v25, 1.0
	v_fma_f32 v33, -v9, v28, 1.0
	s_delay_alu instid0(VALU_DEP_1) | instskip(NEXT) | instid1(VALU_DEP_3)
	v_fmac_f32_e32 v28, v33, v28
	v_fmac_f32_e32 v25, v29, v25
	v_div_scale_f32 v29, s3, v13, 0x402df854, v13
	s_delay_alu instid0(VALU_DEP_1) | instskip(NEXT) | instid1(VALU_DEP_1)
	v_dual_mul_f32 v35, v29, v28 :: v_dual_mul_f32 v33, v34, v25
	v_dual_fma_f32 v37, -v9, v35, v29 :: v_dual_fma_f32 v36, -v8, v33, v34
	s_delay_alu instid0(VALU_DEP_1) | instskip(NEXT) | instid1(VALU_DEP_1)
	v_dual_fmac_f32 v35, v37, v28 :: v_dual_fmac_f32 v33, v36, v25
	v_dual_fma_f32 v9, -v9, v35, v29 :: v_dual_fma_f32 v8, -v8, v33, v34
	s_delay_alu instid0(VALU_DEP_1) | instskip(SKIP_1) | instid1(VALU_DEP_2)
	v_div_fmas_f32 v8, v8, v25, v33
	s_mov_b32 vcc_lo, s3
	v_div_fmas_f32 v9, v9, v28, v35
	s_delay_alu instid0(VALU_DEP_2) | instskip(NEXT) | instid1(VALU_DEP_2)
	v_div_fixup_f32 v25, v8, 0x402df854, v12
	v_div_fixup_f32 v28, v9, 0x402df854, v13
	s_delay_alu instid0(VALU_DEP_1) | instskip(NEXT) | instid1(VALU_DEP_1)
	v_max_num_f32_e64 v29, |v25|, |v28|
	v_cvt_f64_f32_e32 v[8:9], v29
	v_cmp_neq_f32_e32 vcc_lo, 0x7f800000, v29
	s_delay_alu instid0(VALU_DEP_2) | instskip(NEXT) | instid1(VALU_DEP_1)
	v_frexp_exp_i32_f64_e32 v8, v[8:9]
	v_sub_nc_u32_e32 v9, 0, v8
	s_delay_alu instid0(VALU_DEP_1) | instskip(SKIP_1) | instid1(VALU_DEP_2)
	v_ldexp_f32 v28, |v28|, v9
	v_ldexp_f32 v9, |v25|, v9
	v_mul_f32_e32 v25, v28, v28
	s_delay_alu instid0(VALU_DEP_1) | instskip(SKIP_2) | instid1(VALU_DEP_3)
	v_fmac_f32_e32 v25, v9, v9
	v_frexp_mant_f32_e32 v9, v10
	v_frexp_exp_i32_f32_e32 v10, v10
	v_sqrt_f32_e32 v21, v25
	s_delay_alu instid0(VALU_DEP_2) | instskip(SKIP_2) | instid1(TRANS32_DEP_2)
	v_rcp_f32_e32 v9, v9
	v_frexp_exp_i32_f32_e32 v25, v11
	v_frexp_mant_f32_e32 v11, v11
	v_ldexp_f32 v8, v21, v8
	s_delay_alu instid0(TRANS32_DEP_1) | instid1(VALU_DEP_2)
	v_dual_mul_f32 v9, v11, v9 :: v_dual_sub_nc_u32 v10, v25, v10
	s_delay_alu instid0(VALU_DEP_2) | instskip(NEXT) | instid1(VALU_DEP_2)
	v_cndmask_b32_e32 v11, 0x7f800000, v8, vcc_lo
	v_ldexp_f32 v8, v9, v10
	s_delay_alu instid0(VALU_DEP_2) | instskip(NEXT) | instid1(VALU_DEP_2)
	v_cmp_gt_f32_e32 vcc_lo, 0x800000, v11
	v_mul_f32_e32 v10, v8, v8
	v_cndmask_b32_e64 v9, 0, 32, vcc_lo
	v_cndmask_b32_e64 v25, 0, 0x41b17218, vcc_lo
	s_delay_alu instid0(VALU_DEP_2) | instskip(NEXT) | instid1(VALU_DEP_4)
	v_ldexp_f32 v9, v11, v9
	v_fmaak_f32 v11, s11, v10, 0xbc7a590c
	s_delay_alu instid0(VALU_DEP_2) | instskip(NEXT) | instid1(VALU_DEP_1)
	v_log_f32_e32 v9, v9
	v_fmaak_f32 v11, v10, v11, 0x3d29fb3f
	s_delay_alu instid0(VALU_DEP_1) | instskip(NEXT) | instid1(TRANS32_DEP_1)
	v_fmaak_f32 v11, v10, v11, 0xbd97d4d7
	v_cmp_gt_f32_e64 vcc_lo, 0x7f800000, |v9|
	s_delay_alu instid0(VALU_DEP_2) | instskip(NEXT) | instid1(VALU_DEP_1)
	v_fmaak_f32 v11, v10, v11, 0x3dd931b2
	v_fmaak_f32 v11, v10, v11, 0xbe1160e6
	s_delay_alu instid0(VALU_DEP_1) | instskip(NEXT) | instid1(VALU_DEP_1)
	v_fmaak_f32 v11, v10, v11, 0x3e4cb8bf
	v_fmaak_f32 v11, v10, v11, 0xbeaaaa62
	s_delay_alu instid0(VALU_DEP_1) | instskip(NEXT) | instid1(VALU_DEP_1)
	v_dual_mul_f32 v21, 0x3f317217, v9 :: v_dual_mul_f32 v10, v10, v11
	v_fma_f32 v21, 0x3f317217, v9, -v21
	s_delay_alu instid0(VALU_DEP_1) | instskip(NEXT) | instid1(VALU_DEP_1)
	v_dual_fmac_f32 v8, v8, v10 :: v_dual_fmac_f32 v21, 0x3377d1cf, v9
	v_fmac_f32_e32 v21, 0x3f317217, v9
	s_delay_alu instid0(VALU_DEP_1) | instskip(NEXT) | instid1(VALU_DEP_1)
	v_cndmask_b32_e32 v9, v9, v21, vcc_lo
	v_sub_f32_e32 v9, v9, v25
	s_delay_alu instid0(VALU_DEP_1)
	v_add_f32_e32 v9, 1.0, v9
.LBB49_598:                             ;   in Loop: Header=BB49_418 Depth=1
	s_or_b32 exec_lo, exec_lo, s16
	s_wait_dscnt 0x0
	v_sub_f32_e32 v10, 0x3fc90fdb, v8
	s_delay_alu instid0(VALU_DEP_2) | instskip(SKIP_3) | instid1(VALU_DEP_4)
	v_add_f32_e32 v9, 0x3f317218, v9
	v_cmp_gt_f32_e32 vcc_lo, 0, v12
	v_cndmask_b32_e64 v11, 0, 0x40490fdb, s1
	v_cmp_class_f32_e64 s1, v12, 0x204
	v_dual_cndmask_b32 v8, v8, v10, s2 :: v_dual_cndmask_b32 v9, -v9, v9, s0
	v_cmp_class_f32_e64 s2, v13, 0x204
	s_delay_alu instid0(VALU_DEP_2) | instskip(NEXT) | instid1(VALU_DEP_1)
	v_sub_f32_e32 v10, 0x40490fdb, v8
	v_cndmask_b32_e32 v8, v8, v10, vcc_lo
	v_cndmask_b32_e32 v10, 0x3f490fdb, v32, vcc_lo
	v_cmp_eq_f32_e32 vcc_lo, 0, v13
	s_delay_alu instid0(VALU_DEP_3) | instskip(SKIP_1) | instid1(VALU_DEP_1)
	v_cndmask_b32_e64 v8, |v8|, v11, vcc_lo
	s_and_b32 vcc_lo, s1, s2
	v_cndmask_b32_e32 v8, v8, v10, vcc_lo
.LBB49_599:                             ;   in Loop: Header=BB49_418 Depth=1
	s_or_b32 exec_lo, exec_lo, s4
                                        ; implicit-def: $vgpr10_vgpr11_vgpr12_vgpr13
.LBB49_600:                             ;   in Loop: Header=BB49_418 Depth=1
	s_and_not1_saveexec_b32 s0, s15
	s_cbranch_execz .LBB49_614
; %bb.601:                              ;   in Loop: Header=BB49_418 Depth=1
	v_cmp_neq_f32_e64 s1, 0x7f800000, |v12|
	s_and_saveexec_b32 s2, s1
	s_delay_alu instid0(SALU_CYCLE_1)
	s_xor_b32 s1, exec_lo, s2
	s_cbranch_execz .LBB49_611
; %bb.602:                              ;   in Loop: Header=BB49_418 Depth=1
	v_cmp_neq_f32_e64 s2, 0x7f800000, |v13|
	v_xor_b32_e32 v9, 0x80000000, v13
	s_and_saveexec_b32 s3, s2
	s_delay_alu instid0(SALU_CYCLE_1)
	s_xor_b32 s2, exec_lo, s3
	s_cbranch_execz .LBB49_608
; %bb.603:                              ;   in Loop: Header=BB49_418 Depth=1
	s_mov_b32 s3, exec_lo
	v_cmpx_neq_f32_e32 0, v12
	s_xor_b32 s3, exec_lo, s3
	s_cbranch_execz .LBB49_605
; %bb.604:                              ;   in Loop: Header=BB49_418 Depth=1
	s_wait_dscnt 0x0
	v_add_f32_e32 v8, 0, v13
	s_delay_alu instid0(VALU_DEP_1)
	v_add_f32_e32 v9, v12, v8
                                        ; implicit-def: $vgpr10_vgpr11_vgpr12_vgpr13
.LBB49_605:                             ;   in Loop: Header=BB49_418 Depth=1
	s_or_saveexec_b32 s3, s3
	s_wait_dscnt 0x0
	s_delay_alu instid0(VALU_DEP_1)
	v_mov_b32_e32 v8, v9
	s_xor_b32 exec_lo, exec_lo, s3
	s_cbranch_execz .LBB49_607
; %bb.606:                              ;   in Loop: Header=BB49_418 Depth=1
	flat_load_b32 v8, v[16:17] scope:SCOPE_SYS
	s_wait_loadcnt_dscnt 0x0
	v_dual_add_f32 v9, v13, v13 :: v_dual_add_f32 v8, 0x3fc90fdb, v8
.LBB49_607:                             ;   in Loop: Header=BB49_418 Depth=1
	s_or_b32 exec_lo, exec_lo, s3
                                        ; implicit-def: $vgpr10_vgpr11_vgpr12_vgpr13
.LBB49_608:                             ;   in Loop: Header=BB49_418 Depth=1
	s_and_not1_saveexec_b32 s2, s2
	s_cbranch_execz .LBB49_610
; %bb.609:                              ;   in Loop: Header=BB49_418 Depth=1
	s_wait_dscnt 0x0
	v_add_f32_e32 v8, v12, v12
.LBB49_610:                             ;   in Loop: Header=BB49_418 Depth=1
	s_or_b32 exec_lo, exec_lo, s2
                                        ; implicit-def: $vgpr10_vgpr11_vgpr12_vgpr13
.LBB49_611:                             ;   in Loop: Header=BB49_418 Depth=1
	s_and_not1_saveexec_b32 s1, s1
	s_cbranch_execz .LBB49_613
; %bb.612:                              ;   in Loop: Header=BB49_418 Depth=1
	s_wait_dscnt 0x0
	v_dual_add_f32 v8, v13, v13 :: v_dual_mov_b32 v9, 0xff800000
.LBB49_613:                             ;   in Loop: Header=BB49_418 Depth=1
	s_or_b32 exec_lo, exec_lo, s1
.LBB49_614:                             ;   in Loop: Header=BB49_418 Depth=1
	s_delay_alu instid0(SALU_CYCLE_1)
	s_or_b32 exec_lo, exec_lo, s0
	flat_store_b32 v[16:17], v30 scope:SCOPE_SYS
	s_wait_storecnt 0x0
                                        ; implicit-def: $vgpr11
	s_mov_b32 s0, exec_lo
	s_wait_loadcnt 0x0
	v_cmpx_o_f32_e32 v2, v3
	s_xor_b32 s15, exec_lo, s0
	s_cbranch_execz .LBB49_698
; %bb.615:                              ;   in Loop: Header=BB49_418 Depth=1
	v_max_num_f32_e64 v12, |v3|, |v3|
	v_max_num_f32_e64 v21, |v2|, |v2|
	v_cmp_gt_i32_e64 s1, 0, v2
	v_cmp_lt_i32_e64 s2, -1, v2
	v_cmp_gt_i32_e64 s0, 0, v3
                                        ; implicit-def: $vgpr11
	s_mov_b32 s3, exec_lo
	v_max_num_f32_e32 v13, v21, v12
	s_delay_alu instid0(VALU_DEP_1)
	v_cmpx_nlt_f32_e32 0x4b000000, v13
	s_xor_b32 s16, exec_lo, s3
	s_cbranch_execz .LBB49_687
; %bb.616:                              ;   in Loop: Header=BB49_418 Depth=1
	v_cmp_neq_f32_e32 vcc_lo, 1.0, v2
	v_cmp_neq_f32_e64 s3, 0, v3
	v_xor_b32_e32 v11, 0x80000000, v3
	s_or_b32 s3, vcc_lo, s3
	s_delay_alu instid0(SALU_CYCLE_1) | instskip(NEXT) | instid1(SALU_CYCLE_1)
	s_and_saveexec_b32 s4, s3
	s_xor_b32 s17, exec_lo, s4
	s_cbranch_execz .LBB49_684
; %bb.617:                              ;   in Loop: Header=BB49_418 Depth=1
	flat_store_b32 v[18:19], v31 scope:SCOPE_SYS
	s_wait_storecnt 0x0
	flat_load_b32 v10, v[18:19] scope:SCOPE_SYS
	s_wait_loadcnt 0x0
	v_cmp_ngt_f32_e64 s3, 0x395db3d7, |v2|
	v_cmp_ngt_f32_e64 s4, 0x395db3d7, |v3|
	s_or_b32 s3, s3, s4
	s_wait_dscnt 0x0
	v_add_f32_e32 v10, 1.0, v10
	flat_store_b32 v[22:23], v10 scope:SCOPE_SYS
	s_wait_storecnt 0x0
	flat_load_b32 v10, v[22:23] scope:SCOPE_SYS
	s_wait_loadcnt_dscnt 0x0
	v_xor_b32_e32 v11, 0x80000000, v3
	s_and_saveexec_b32 s4, s3
	s_delay_alu instid0(SALU_CYCLE_1)
	s_xor_b32 s18, exec_lo, s4
	s_cbranch_execz .LBB49_681
; %bb.618:                              ;   in Loop: Header=BB49_418 Depth=1
	v_add_f32_e64 v29, |v2|, 1.0
	v_add_f32_e64 v28, |v2|, -1.0
	s_mov_b32 s3, exec_lo
	s_delay_alu instid0(VALU_DEP_2) | instskip(NEXT) | instid1(VALU_DEP_2)
	v_max_num_f32_e32 v21, v12, v29
	v_max_num_f32_e64 v25, v12, |v28|
	s_delay_alu instid0(VALU_DEP_2) | instskip(NEXT) | instid1(VALU_DEP_2)
	v_cvt_f64_f32_e32 v[10:11], v21
	v_cvt_f64_f32_e32 v[12:13], v25
	s_delay_alu instid0(VALU_DEP_2) | instskip(NEXT) | instid1(VALU_DEP_2)
	v_frexp_exp_i32_f64_e32 v10, v[10:11]
	v_frexp_exp_i32_f64_e32 v11, v[12:13]
	s_delay_alu instid0(VALU_DEP_2) | instskip(SKIP_1) | instid1(VALU_DEP_2)
	v_sub_nc_u32_e32 v12, 0, v10
	v_cmp_neq_f32_e32 vcc_lo, 0x7f800000, v21
                                        ; implicit-def: $vgpr21
	v_ldexp_f32 v33, v29, v12
	s_delay_alu instid0(VALU_DEP_4) | instskip(SKIP_1) | instid1(VALU_DEP_3)
	v_sub_nc_u32_e32 v13, 0, v11
	v_ldexp_f32 v12, |v3|, v12
	v_mul_f32_e32 v33, v33, v33
	s_delay_alu instid0(VALU_DEP_3) | instskip(SKIP_1) | instid1(VALU_DEP_2)
	v_ldexp_f32 v34, |v28|, v13
	v_ldexp_f32 v13, |v3|, v13
	v_dual_fmac_f32 v33, v12, v12 :: v_dual_mul_f32 v34, v34, v34
	s_delay_alu instid0(VALU_DEP_1) | instskip(SKIP_1) | instid1(TRANS32_DEP_1)
	v_sqrt_f32_e32 v12, v33
	v_nop
	v_ldexp_f32 v10, v12, v10
	s_delay_alu instid0(VALU_DEP_1) | instskip(NEXT) | instid1(VALU_DEP_1)
	v_dual_fmac_f32 v34, v13, v13 :: v_dual_cndmask_b32 v35, 0x7f800000, v10
	v_sqrt_f32_e32 v13, v34
	v_cmp_neq_f32_e32 vcc_lo, 0x7f800000, v25
	s_delay_alu instid0(TRANS32_DEP_1) | instskip(NEXT) | instid1(VALU_DEP_1)
	v_ldexp_f32 v11, v13, v11
	v_cndmask_b32_e32 v33, 0x7f800000, v11, vcc_lo
	s_delay_alu instid0(VALU_DEP_1) | instskip(NEXT) | instid1(VALU_DEP_1)
	v_add_f32_e32 v10, v35, v33
	v_mul_f32_e32 v10, 0.5, v10
	s_delay_alu instid0(VALU_DEP_1) | instskip(SKIP_1) | instid1(VALU_DEP_1)
	v_cmp_ngt_f32_e32 vcc_lo, 1.0, v10
	v_cndmask_b32_e32 v10, 1.0, v10, vcc_lo
	v_cmpx_ngt_f32_e32 0x41200000, v10
	s_xor_b32 s4, exec_lo, s3
	s_cbranch_execz .LBB49_620
; %bb.619:                              ;   in Loop: Header=BB49_418 Depth=1
	v_fma_f32 v11, v10, v10, -1.0
	s_delay_alu instid0(VALU_DEP_1) | instskip(SKIP_1) | instid1(VALU_DEP_2)
	v_mul_f32_e32 v12, 0x4f800000, v11
	v_cmp_gt_f32_e32 vcc_lo, 0xf800000, v11
	v_cndmask_b32_e32 v11, v11, v12, vcc_lo
	s_delay_alu instid0(VALU_DEP_1) | instskip(SKIP_1) | instid1(TRANS32_DEP_1)
	v_sqrt_f32_e32 v12, v11
	v_nop
	v_dual_add_nc_u32 v13, -1, v12 :: v_dual_add_nc_u32 v21, 1, v12
	s_delay_alu instid0(VALU_DEP_1) | instskip(NEXT) | instid1(VALU_DEP_1)
	v_fma_f32 v25, -v13, v12, v11
	v_cmp_ge_f32_e64 s3, 0, v25
	s_delay_alu instid0(VALU_DEP_1) | instskip(NEXT) | instid1(VALU_DEP_1)
	v_dual_fma_f32 v34, -v21, v12, v11 :: v_dual_cndmask_b32 v12, v12, v13, s3
	v_cmp_lt_f32_e64 s3, 0, v34
	s_delay_alu instid0(VALU_DEP_1) | instskip(NEXT) | instid1(VALU_DEP_1)
	v_cndmask_b32_e64 v12, v12, v21, s3
	v_mul_f32_e32 v13, 0x37800000, v12
	s_delay_alu instid0(VALU_DEP_1) | instskip(SKIP_1) | instid1(VALU_DEP_2)
	v_cndmask_b32_e32 v12, v12, v13, vcc_lo
	v_cmp_class_f32_e64 vcc_lo, v11, 0x260
	v_cndmask_b32_e32 v11, v12, v11, vcc_lo
	s_delay_alu instid0(VALU_DEP_1) | instskip(NEXT) | instid1(VALU_DEP_1)
	v_add_f32_e32 v11, v10, v11
	v_cmp_gt_f32_e32 vcc_lo, 0x800000, v11
	s_delay_alu instid0(VALU_DEP_4) | instskip(NEXT) | instid1(VALU_DEP_1)
	v_cndmask_b32_e64 v12, 0, 32, vcc_lo
	v_ldexp_f32 v11, v11, v12
	s_delay_alu instid0(VALU_DEP_1) | instskip(SKIP_1) | instid1(TRANS32_DEP_1)
	v_log_f32_e32 v11, v11
	v_nop
	v_mul_f32_e32 v12, 0x3f317217, v11
	v_cmp_gt_f32_e64 s3, 0x7f800000, |v11|
	s_delay_alu instid0(VALU_DEP_2) | instskip(NEXT) | instid1(VALU_DEP_1)
	v_fma_f32 v12, 0x3f317217, v11, -v12
	v_fmac_f32_e32 v12, 0x3377d1cf, v11
	s_delay_alu instid0(VALU_DEP_1) | instskip(NEXT) | instid1(VALU_DEP_1)
	v_fmac_f32_e32 v12, 0x3f317217, v11
	v_cndmask_b32_e64 v11, v11, v12, s3
	v_cndmask_b32_e64 v12, 0, 0x41b17218, vcc_lo
	s_delay_alu instid0(VALU_DEP_1)
	v_sub_f32_e32 v21, v11, v12
.LBB49_620:                             ;   in Loop: Header=BB49_418 Depth=1
	s_or_saveexec_b32 s4, s4
	v_and_b32_e32 v34, 0x7fffffff, v3
	s_xor_b32 exec_lo, exec_lo, s4
	s_cbranch_execz .LBB49_642
; %bb.621:                              ;   in Loop: Header=BB49_418 Depth=1
	v_cmp_neq_f32_e64 s3, |v2|, 1.0
	v_cmp_ngt_f32_e64 s19, 0x25000000, |v3|
                                        ; implicit-def: $vgpr21
	s_or_b32 s3, s3, s19
	s_delay_alu instid0(SALU_CYCLE_1) | instskip(NEXT) | instid1(SALU_CYCLE_1)
	s_and_saveexec_b32 s19, s3
	s_xor_b32 s19, exec_lo, s19
	s_cbranch_execz .LBB49_639
; %bb.622:                              ;   in Loop: Header=BB49_418 Depth=1
	v_mul_f32_e64 v11, 0x34000000, |v28|
	s_mov_b32 s20, exec_lo
                                        ; implicit-def: $vgpr21
	s_delay_alu instid0(VALU_DEP_1)
	v_cmpx_ge_f32_e64 |v3|, v11
	s_xor_b32 s20, exec_lo, s20
	s_cbranch_execz .LBB49_632
; %bb.623:                              ;   in Loop: Header=BB49_418 Depth=1
	v_mov_b32_e32 v11, v34
	s_mov_b32 s3, exec_lo
	v_cmpx_neq_f32_e32 0, v29
	s_cbranch_execz .LBB49_625
; %bb.624:                              ;   in Loop: Header=BB49_418 Depth=1
	v_mul_f32_e32 v11, v3, v3
	v_add_f32_e32 v12, v29, v35
	s_delay_alu instid0(VALU_DEP_1) | instskip(NEXT) | instid1(VALU_DEP_1)
	v_div_scale_f32 v13, null, v12, v12, v11
	v_rcp_f32_e32 v21, v13
	v_nop
	s_delay_alu instid0(TRANS32_DEP_1) | instskip(NEXT) | instid1(VALU_DEP_1)
	v_fma_f32 v25, -v13, v21, 1.0
	v_fmac_f32_e32 v21, v25, v21
	v_div_scale_f32 v25, vcc_lo, v11, v12, v11
	s_delay_alu instid0(VALU_DEP_1) | instskip(NEXT) | instid1(VALU_DEP_1)
	v_mul_f32_e32 v36, v25, v21
	v_fma_f32 v37, -v13, v36, v25
	s_delay_alu instid0(VALU_DEP_1) | instskip(NEXT) | instid1(VALU_DEP_1)
	v_fmac_f32_e32 v36, v37, v21
	v_fma_f32 v13, -v13, v36, v25
	s_delay_alu instid0(VALU_DEP_1) | instskip(NEXT) | instid1(VALU_DEP_1)
	v_div_fmas_f32 v13, v13, v21, v36
	v_div_fixup_f32 v11, v13, v12, v11
.LBB49_625:                             ;   in Loop: Header=BB49_418 Depth=1
	s_or_b32 exec_lo, exec_lo, s3
	v_sub_f32_e64 v13, 1.0, |v2|
	s_mov_b32 s3, exec_lo
                                        ; implicit-def: $vgpr12
	s_delay_alu instid0(VALU_DEP_1)
	v_cmpx_ngt_f32_e32 0, v13
	s_xor_b32 s3, exec_lo, s3
	s_cbranch_execz .LBB49_629
; %bb.626:                              ;   in Loop: Header=BB49_418 Depth=1
	v_mov_b32_e32 v12, v34
	s_mov_b32 s21, exec_lo
	v_cmpx_neq_f32_e32 0, v13
	s_cbranch_execz .LBB49_628
; %bb.627:                              ;   in Loop: Header=BB49_418 Depth=1
	v_dual_mul_f32 v12, v3, v3 :: v_dual_add_f32 v13, v13, v33
	s_delay_alu instid0(VALU_DEP_1) | instskip(NEXT) | instid1(VALU_DEP_1)
	v_div_scale_f32 v21, null, v13, v13, v12
	v_rcp_f32_e32 v25, v21
	v_nop
	s_delay_alu instid0(TRANS32_DEP_1) | instskip(NEXT) | instid1(VALU_DEP_1)
	v_fma_f32 v36, -v21, v25, 1.0
	v_fmac_f32_e32 v25, v36, v25
	v_div_scale_f32 v36, vcc_lo, v12, v13, v12
	s_delay_alu instid0(VALU_DEP_1) | instskip(NEXT) | instid1(VALU_DEP_1)
	v_mul_f32_e32 v37, v36, v25
	v_fma_f32 v38, -v21, v37, v36
	s_delay_alu instid0(VALU_DEP_1) | instskip(NEXT) | instid1(VALU_DEP_1)
	v_fmac_f32_e32 v37, v38, v25
	v_fma_f32 v21, -v21, v37, v36
	s_delay_alu instid0(VALU_DEP_1) | instskip(NEXT) | instid1(VALU_DEP_1)
	v_div_fmas_f32 v21, v21, v25, v37
	v_div_fixup_f32 v12, v21, v13, v12
.LBB49_628:                             ;   in Loop: Header=BB49_418 Depth=1
	s_or_b32 exec_lo, exec_lo, s21
                                        ; implicit-def: $vgpr13
.LBB49_629:                             ;   in Loop: Header=BB49_418 Depth=1
	s_and_not1_saveexec_b32 s3, s3
; %bb.630:                              ;   in Loop: Header=BB49_418 Depth=1
	v_sub_f32_e32 v12, v33, v13
; %bb.631:                              ;   in Loop: Header=BB49_418 Depth=1
	s_or_b32 exec_lo, exec_lo, s3
	s_delay_alu instid0(VALU_DEP_1) | instskip(NEXT) | instid1(VALU_DEP_1)
	v_dual_mul_f32 v11, 0.5, v11 :: v_dual_mul_f32 v21, 0.5, v12
	v_pk_add_f32 v[12:13], v[10:11], v[20:21]
	s_delay_alu instid0(VALU_DEP_1) | instskip(NEXT) | instid1(VALU_DEP_1)
	v_mul_f32_e32 v11, v12, v13
	v_mul_f32_e32 v12, 0x4f800000, v11
	v_cmp_gt_f32_e32 vcc_lo, 0xf800000, v11
	s_delay_alu instid0(VALU_DEP_2) | instskip(NEXT) | instid1(VALU_DEP_1)
	v_cndmask_b32_e32 v11, v11, v12, vcc_lo
	v_sqrt_f32_e32 v12, v11
	v_nop
	s_delay_alu instid0(TRANS32_DEP_1) | instskip(NEXT) | instid1(VALU_DEP_1)
	v_dual_add_nc_u32 v21, -1, v12 :: v_dual_add_nc_u32 v25, 1, v12
	v_fma_f32 v36, -v21, v12, v11
	s_delay_alu instid0(VALU_DEP_2) | instskip(NEXT) | instid1(VALU_DEP_2)
	v_fma_f32 v37, -v25, v12, v11
	v_cmp_ge_f32_e64 s3, 0, v36
	s_delay_alu instid0(VALU_DEP_1) | instskip(NEXT) | instid1(VALU_DEP_3)
	v_cndmask_b32_e64 v12, v12, v21, s3
	v_cmp_lt_f32_e64 s3, 0, v37
	s_delay_alu instid0(VALU_DEP_1) | instskip(NEXT) | instid1(VALU_DEP_1)
	v_cndmask_b32_e64 v12, v12, v25, s3
	v_mul_f32_e32 v21, 0x37800000, v12
	s_delay_alu instid0(VALU_DEP_1) | instskip(SKIP_1) | instid1(VALU_DEP_2)
	v_cndmask_b32_e32 v12, v12, v21, vcc_lo
	v_cmp_class_f32_e64 vcc_lo, v11, 0x260
	v_cndmask_b32_e32 v11, v12, v11, vcc_lo
	s_delay_alu instid0(VALU_DEP_1) | instskip(NEXT) | instid1(VALU_DEP_1)
	v_add_f32_e32 v12, v13, v11
	v_add_f32_e32 v37, 1.0, v12
	s_delay_alu instid0(VALU_DEP_1) | instskip(SKIP_2) | instid1(VALU_DEP_2)
	v_cvt_f64_f32_e32 v[38:39], v37
	v_frexp_mant_f32_e32 v21, v37
	v_add_f32_e32 v13, -1.0, v37
	v_cmp_gt_f32_e32 vcc_lo, 0x3f2aaaab, v21
	s_delay_alu instid0(VALU_DEP_2) | instskip(SKIP_1) | instid1(VALU_DEP_2)
	v_mov_b32_e32 v36, v13
	v_frexp_exp_i32_f64_e32 v11, v[38:39]
	v_pk_add_f32 v[38:39], v[12:13], v[36:37] neg_lo:[0,1] neg_hi:[0,1]
	s_delay_alu instid0(VALU_DEP_2) | instskip(SKIP_1) | instid1(VALU_DEP_2)
	v_subrev_co_ci_u32_e64 v11, null, 0, v11, vcc_lo
	v_cmp_neq_f32_e32 vcc_lo, 0x7f800000, v12
	v_sub_nc_u32_e32 v21, 0, v11
	s_delay_alu instid0(VALU_DEP_1) | instskip(NEXT) | instid1(VALU_DEP_1)
	v_ldexp_f32 v13, v37, v21
	v_dual_add_f32 v36, 1.0, v13 :: v_dual_add_f32 v25, 1.0, v39
	s_delay_alu instid0(VALU_DEP_1) | instskip(NEXT) | instid1(VALU_DEP_1)
	v_dual_add_f32 v37, -1.0, v36 :: v_dual_add_f32 v25, v38, v25
	v_ldexp_f32 v21, v25, v21
	v_add_f32_e32 v41, -1.0, v13
	s_delay_alu instid0(VALU_DEP_3) | instskip(NEXT) | instid1(VALU_DEP_2)
	v_sub_f32_e32 v25, v13, v37
	v_add_f32_e32 v37, 1.0, v41
	s_delay_alu instid0(VALU_DEP_1) | instskip(NEXT) | instid1(VALU_DEP_3)
	v_sub_f32_e32 v13, v13, v37
	v_add_f32_e32 v25, v21, v25
	s_delay_alu instid0(VALU_DEP_2) | instskip(NEXT) | instid1(VALU_DEP_2)
	v_add_f32_e32 v13, v21, v13
	v_add_f32_e32 v42, v36, v25
	s_delay_alu instid0(VALU_DEP_2) | instskip(NEXT) | instid1(VALU_DEP_2)
	v_add_f32_e32 v37, v41, v13
	v_rcp_f32_e32 v21, v42
	v_nop
	s_delay_alu instid0(TRANS32_DEP_1) | instskip(NEXT) | instid1(VALU_DEP_1)
	v_dual_sub_f32 v36, v42, v36 :: v_dual_mul_f32 v43, v37, v21
	v_dual_mul_f32 v38, v42, v43 :: v_dual_sub_f32 v25, v25, v36
	s_delay_alu instid0(VALU_DEP_1) | instskip(NEXT) | instid1(VALU_DEP_1)
	v_fma_f32 v40, v43, v42, -v38
	v_fmac_f32_e32 v40, v43, v25
	s_delay_alu instid0(VALU_DEP_1) | instskip(NEXT) | instid1(VALU_DEP_1)
	v_dual_add_f32 v36, v38, v40 :: v_dual_sub_f32 v44, v37, v41
	v_dual_sub_f32 v39, v37, v36 :: v_dual_mov_b32 v41, v36
	s_delay_alu instid0(VALU_DEP_2) | instskip(NEXT) | instid1(VALU_DEP_2)
	v_sub_f32_e32 v13, v13, v44
	v_pk_add_f32 v[36:37], v[36:37], v[38:39] neg_lo:[0,1] neg_hi:[0,1]
	s_delay_alu instid0(VALU_DEP_1) | instskip(NEXT) | instid1(VALU_DEP_1)
	v_pk_add_f32 v[36:37], v[36:37], v[40:41] neg_lo:[0,1] neg_hi:[0,1]
	v_add_f32_e32 v13, v13, v37
	s_delay_alu instid0(VALU_DEP_1) | instskip(NEXT) | instid1(VALU_DEP_1)
	v_add_f32_e32 v13, v36, v13
	v_add_f32_e32 v37, v39, v13
	s_delay_alu instid0(VALU_DEP_1) | instskip(NEXT) | instid1(VALU_DEP_1)
	v_mul_f32_e32 v44, v21, v37
	v_mul_f32_e32 v40, v42, v44
	s_delay_alu instid0(VALU_DEP_1) | instskip(NEXT) | instid1(VALU_DEP_1)
	v_fma_f32 v38, v44, v42, -v40
	v_fmac_f32_e32 v38, v44, v25
	v_sub_f32_e32 v25, v39, v37
	s_delay_alu instid0(VALU_DEP_2) | instskip(NEXT) | instid1(VALU_DEP_1)
	v_dual_add_f32 v42, v43, v44 :: v_dual_add_f32 v36, v40, v38
	v_dual_mov_b32 v39, v36 :: v_dual_sub_f32 v41, v37, v36
	s_delay_alu instid0(VALU_DEP_2) | instskip(NEXT) | instid1(VALU_DEP_2)
	v_dual_add_f32 v13, v13, v25 :: v_dual_sub_f32 v25, v42, v43
	v_pk_add_f32 v[36:37], v[36:37], v[40:41] neg_lo:[0,1] neg_hi:[0,1]
	s_delay_alu instid0(VALU_DEP_2) | instskip(NEXT) | instid1(VALU_DEP_2)
	v_sub_f32_e32 v25, v44, v25
	v_pk_add_f32 v[36:37], v[36:37], v[38:39] neg_lo:[0,1] neg_hi:[0,1]
	s_delay_alu instid0(VALU_DEP_1) | instskip(NEXT) | instid1(VALU_DEP_1)
	v_add_f32_e32 v13, v13, v37
	v_add_f32_e32 v13, v36, v13
	v_cvt_f32_i32_e32 v36, v11
	s_delay_alu instid0(VALU_DEP_2) | instskip(NEXT) | instid1(VALU_DEP_1)
	v_add_f32_e32 v13, v41, v13
	v_mul_f32_e32 v13, v21, v13
	s_delay_alu instid0(VALU_DEP_1) | instskip(NEXT) | instid1(VALU_DEP_1)
	v_add_f32_e32 v13, v25, v13
	v_add_f32_e32 v21, v42, v13
	s_delay_alu instid0(VALU_DEP_1) | instskip(NEXT) | instid1(VALU_DEP_1)
	v_sub_f32_e32 v11, v21, v42
	v_sub_f32_e32 v11, v13, v11
	v_mul_f32_e32 v25, v21, v21
	v_ldexp_f32 v41, v21, 1
	s_delay_alu instid0(VALU_DEP_3) | instskip(NEXT) | instid1(VALU_DEP_3)
	v_ldexp_f32 v11, v11, 1
	v_dual_fmaak_f32 v38, s9, v25, 0x3ecc95a3 :: v_dual_mul_f32 v37, v21, v25
	s_delay_alu instid0(VALU_DEP_1) | instskip(NEXT) | instid1(VALU_DEP_1)
	v_fmaak_f32 v25, v25, v38, 0x3f2aaada
	v_pk_mul_f32 v[38:39], v[36:37], v[24:25]
	s_delay_alu instid0(VALU_DEP_1) | instskip(SKIP_1) | instid1(VALU_DEP_2)
	v_fma_f32 v40, 0x3f317218, v36, -v38
	v_mov_b32_e32 v42, v38
	v_fmac_f32_e32 v40, 0xb102e308, v36
	s_delay_alu instid0(VALU_DEP_1) | instskip(NEXT) | instid1(VALU_DEP_1)
	v_pk_add_f32 v[36:37], v[38:39], v[40:41]
	v_dual_sub_f32 v13, v37, v41 :: v_dual_mov_b32 v50, v37
	s_delay_alu instid0(VALU_DEP_1) | instskip(SKIP_1) | instid1(VALU_DEP_2)
	v_dual_mov_b32 v41, v36 :: v_dual_sub_f32 v13, v39, v13
	v_pk_add_f32 v[38:39], v[36:37], v[38:39] neg_lo:[0,1] neg_hi:[0,1]
	v_add_f32_e32 v43, v11, v13
	s_delay_alu instid0(VALU_DEP_1) | instskip(NEXT) | instid1(VALU_DEP_1)
	v_pk_add_f32 v[44:45], v[36:37], v[42:43]
	v_mov_b32_e32 v39, v45
	s_delay_alu instid0(VALU_DEP_1) | instskip(SKIP_2) | instid1(VALU_DEP_3)
	v_pk_add_f32 v[46:47], v[40:41], v[38:39]
	v_mov_b32_e32 v46, v45
	v_pk_add_f32 v[38:39], v[40:41], v[38:39] neg_lo:[0,1] neg_hi:[0,1]
	v_dual_mov_b32 v42, v47 :: v_dual_mov_b32 v39, v47
	s_delay_alu instid0(VALU_DEP_1) | instskip(SKIP_1) | instid1(VALU_DEP_2)
	v_pk_add_f32 v[48:49], v[42:43], v[36:37] neg_lo:[0,1] neg_hi:[0,1]
	v_dual_mov_b32 v37, v36 :: v_dual_mov_b32 v36, v43
	v_dual_mov_b32 v51, v48 :: v_dual_mov_b32 v11, v48
	s_delay_alu instid0(VALU_DEP_1) | instskip(NEXT) | instid1(VALU_DEP_2)
	v_pk_add_f32 v[48:49], v[46:47], v[50:51] neg_lo:[0,1] neg_hi:[0,1]
	v_pk_add_f32 v[40:41], v[44:45], v[10:11] neg_lo:[0,1] neg_hi:[0,1]
	v_mov_b32_e32 v40, v38
	s_delay_alu instid0(VALU_DEP_3) | instskip(NEXT) | instid1(VALU_DEP_1)
	v_pk_add_f32 v[36:37], v[36:37], v[48:49] neg_lo:[0,1] neg_hi:[0,1]
	v_pk_add_f32 v[40:41], v[40:41], v[36:37]
	s_delay_alu instid0(VALU_DEP_1) | instskip(NEXT) | instid1(VALU_DEP_1)
	v_mov_b32_e32 v44, v41
	v_pk_add_f32 v[44:45], v[40:41], v[44:45]
	s_delay_alu instid0(VALU_DEP_1) | instskip(NEXT) | instid1(VALU_DEP_1)
	v_pk_add_f32 v[42:43], v[42:43], v[44:45]
	v_dual_mov_b32 v37, v44 :: v_dual_mov_b32 v41, v42
	s_delay_alu instid0(VALU_DEP_1) | instskip(NEXT) | instid1(VALU_DEP_1)
	v_pk_add_f32 v[46:47], v[40:41], v[38:39] neg_lo:[0,1] neg_hi:[0,1]
	v_sub_f32_e32 v11, v40, v46
	s_delay_alu instid0(VALU_DEP_2) | instskip(NEXT) | instid1(VALU_DEP_2)
	v_pk_add_f32 v[36:37], v[36:37], v[46:47] neg_lo:[0,1] neg_hi:[0,1]
	v_sub_f32_e32 v11, v38, v11
	s_delay_alu instid0(VALU_DEP_1) | instskip(NEXT) | instid1(VALU_DEP_1)
	v_add_f32_e32 v11, v36, v11
	v_add_f32_e32 v11, v11, v37
	s_delay_alu instid0(VALU_DEP_1) | instskip(NEXT) | instid1(VALU_DEP_1)
	v_add_f32_e32 v11, v42, v11
	v_cndmask_b32_e32 v11, 0x7f800000, v11, vcc_lo
	v_cmp_ngt_f32_e32 vcc_lo, -1.0, v12
	s_delay_alu instid0(VALU_DEP_2) | instskip(SKIP_1) | instid1(VALU_DEP_2)
	v_cndmask_b32_e32 v11, 0x7fc00000, v11, vcc_lo
	v_cmp_neq_f32_e32 vcc_lo, -1.0, v12
	v_cndmask_b32_e32 v11, 0xff800000, v11, vcc_lo
	v_cmp_gt_f32_e64 vcc_lo, 0x33800000, |v12|
	s_delay_alu instid0(VALU_DEP_2)
	v_cndmask_b32_e32 v21, v11, v12, vcc_lo
.LBB49_632:                             ;   in Loop: Header=BB49_418 Depth=1
	s_and_not1_saveexec_b32 s20, s20
	s_cbranch_execz .LBB49_638
; %bb.633:                              ;   in Loop: Header=BB49_418 Depth=1
	s_mov_b32 s21, exec_lo
                                        ; implicit-def: $vgpr21
	v_cmpx_nlt_f32_e64 |v2|, 1.0
	s_xor_b32 s21, exec_lo, s21
	s_cbranch_execz .LBB49_635
; %bb.634:                              ;   in Loop: Header=BB49_418 Depth=1
	v_mul_f32_e32 v11, v28, v29
	s_delay_alu instid0(VALU_DEP_1) | instskip(SKIP_1) | instid1(VALU_DEP_2)
	v_mul_f32_e32 v12, 0x4f800000, v11
	v_cmp_gt_f32_e32 vcc_lo, 0xf800000, v11
	v_cndmask_b32_e32 v11, v11, v12, vcc_lo
	s_delay_alu instid0(VALU_DEP_1) | instskip(SKIP_1) | instid1(TRANS32_DEP_1)
	v_sqrt_f32_e32 v12, v11
	v_nop
	v_dual_add_nc_u32 v13, -1, v12 :: v_dual_add_nc_u32 v21, 1, v12
	s_delay_alu instid0(VALU_DEP_1) | instskip(NEXT) | instid1(VALU_DEP_2)
	v_fma_f32 v25, -v13, v12, v11
	v_fma_f32 v36, -v21, v12, v11
	s_delay_alu instid0(VALU_DEP_2) | instskip(NEXT) | instid1(VALU_DEP_1)
	v_cmp_ge_f32_e64 s3, 0, v25
	v_cndmask_b32_e64 v12, v12, v13, s3
	s_delay_alu instid0(VALU_DEP_3) | instskip(NEXT) | instid1(VALU_DEP_1)
	v_cmp_lt_f32_e64 s3, 0, v36
	v_cndmask_b32_e64 v12, v12, v21, s3
	s_delay_alu instid0(VALU_DEP_1) | instskip(NEXT) | instid1(VALU_DEP_1)
	v_mul_f32_e32 v13, 0x37800000, v12
	v_cndmask_b32_e32 v12, v12, v13, vcc_lo
	v_cmp_class_f32_e64 vcc_lo, v11, 0x260
	s_delay_alu instid0(VALU_DEP_2) | instskip(NEXT) | instid1(VALU_DEP_1)
	v_cndmask_b32_e32 v11, v12, v11, vcc_lo
	v_add_f32_e32 v12, v28, v11
	s_delay_alu instid0(VALU_DEP_1) | instskip(NEXT) | instid1(VALU_DEP_1)
	v_add_f32_e32 v37, 1.0, v12
	v_cvt_f64_f32_e32 v[38:39], v37
	v_frexp_mant_f32_e32 v21, v37
	v_add_f32_e32 v13, -1.0, v37
	s_delay_alu instid0(VALU_DEP_2) | instskip(NEXT) | instid1(VALU_DEP_2)
	v_cmp_gt_f32_e32 vcc_lo, 0x3f2aaaab, v21
	v_mov_b32_e32 v36, v13
	v_frexp_exp_i32_f64_e32 v11, v[38:39]
	s_delay_alu instid0(VALU_DEP_2) | instskip(NEXT) | instid1(VALU_DEP_2)
	v_pk_add_f32 v[38:39], v[12:13], v[36:37] neg_lo:[0,1] neg_hi:[0,1]
	v_subrev_co_ci_u32_e64 v11, null, 0, v11, vcc_lo
	v_cmp_neq_f32_e32 vcc_lo, 0x7f800000, v12
	s_delay_alu instid0(VALU_DEP_2) | instskip(NEXT) | instid1(VALU_DEP_1)
	v_sub_nc_u32_e32 v21, 0, v11
	v_ldexp_f32 v13, v37, v21
	s_delay_alu instid0(VALU_DEP_1) | instskip(NEXT) | instid1(VALU_DEP_1)
	v_dual_add_f32 v36, 1.0, v13 :: v_dual_add_f32 v25, 1.0, v39
	v_dual_add_f32 v37, -1.0, v36 :: v_dual_add_f32 v25, v38, v25
	s_delay_alu instid0(VALU_DEP_1) | instskip(SKIP_1) | instid1(VALU_DEP_3)
	v_ldexp_f32 v21, v25, v21
	v_add_f32_e32 v41, -1.0, v13
	v_sub_f32_e32 v25, v13, v37
	s_delay_alu instid0(VALU_DEP_2) | instskip(NEXT) | instid1(VALU_DEP_1)
	v_add_f32_e32 v37, 1.0, v41
	v_sub_f32_e32 v13, v13, v37
	s_delay_alu instid0(VALU_DEP_3) | instskip(NEXT) | instid1(VALU_DEP_2)
	v_add_f32_e32 v25, v21, v25
	v_add_f32_e32 v13, v21, v13
	s_delay_alu instid0(VALU_DEP_2) | instskip(NEXT) | instid1(VALU_DEP_2)
	v_add_f32_e32 v42, v36, v25
	v_add_f32_e32 v37, v41, v13
	s_delay_alu instid0(VALU_DEP_2) | instskip(SKIP_1) | instid1(TRANS32_DEP_1)
	v_rcp_f32_e32 v21, v42
	v_nop
	v_dual_sub_f32 v36, v42, v36 :: v_dual_mul_f32 v43, v37, v21
	s_delay_alu instid0(VALU_DEP_1) | instskip(NEXT) | instid1(VALU_DEP_1)
	v_dual_mul_f32 v38, v42, v43 :: v_dual_sub_f32 v25, v25, v36
	v_fma_f32 v40, v43, v42, -v38
	s_delay_alu instid0(VALU_DEP_1) | instskip(NEXT) | instid1(VALU_DEP_1)
	v_fmac_f32_e32 v40, v43, v25
	v_dual_add_f32 v36, v38, v40 :: v_dual_sub_f32 v44, v37, v41
	s_delay_alu instid0(VALU_DEP_1) | instskip(NEXT) | instid1(VALU_DEP_2)
	v_dual_sub_f32 v39, v37, v36 :: v_dual_mov_b32 v41, v36
	v_sub_f32_e32 v13, v13, v44
	s_delay_alu instid0(VALU_DEP_2) | instskip(NEXT) | instid1(VALU_DEP_1)
	v_pk_add_f32 v[36:37], v[36:37], v[38:39] neg_lo:[0,1] neg_hi:[0,1]
	v_pk_add_f32 v[36:37], v[36:37], v[40:41] neg_lo:[0,1] neg_hi:[0,1]
	s_delay_alu instid0(VALU_DEP_1) | instskip(NEXT) | instid1(VALU_DEP_1)
	v_add_f32_e32 v13, v13, v37
	v_add_f32_e32 v13, v36, v13
	s_delay_alu instid0(VALU_DEP_1) | instskip(NEXT) | instid1(VALU_DEP_1)
	v_add_f32_e32 v37, v39, v13
	v_mul_f32_e32 v44, v21, v37
	s_delay_alu instid0(VALU_DEP_1) | instskip(NEXT) | instid1(VALU_DEP_1)
	v_mul_f32_e32 v40, v42, v44
	v_fma_f32 v38, v44, v42, -v40
	s_delay_alu instid0(VALU_DEP_1) | instskip(SKIP_1) | instid1(VALU_DEP_2)
	v_fmac_f32_e32 v38, v44, v25
	v_sub_f32_e32 v25, v39, v37
	v_dual_add_f32 v42, v43, v44 :: v_dual_add_f32 v36, v40, v38
	s_delay_alu instid0(VALU_DEP_1) | instskip(NEXT) | instid1(VALU_DEP_2)
	v_dual_mov_b32 v39, v36 :: v_dual_sub_f32 v41, v37, v36
	v_dual_add_f32 v13, v13, v25 :: v_dual_sub_f32 v25, v42, v43
	s_delay_alu instid0(VALU_DEP_2) | instskip(NEXT) | instid1(VALU_DEP_2)
	v_pk_add_f32 v[36:37], v[36:37], v[40:41] neg_lo:[0,1] neg_hi:[0,1]
	v_sub_f32_e32 v25, v44, v25
	s_delay_alu instid0(VALU_DEP_2) | instskip(NEXT) | instid1(VALU_DEP_1)
	v_pk_add_f32 v[36:37], v[36:37], v[38:39] neg_lo:[0,1] neg_hi:[0,1]
	v_add_f32_e32 v13, v13, v37
	s_delay_alu instid0(VALU_DEP_1) | instskip(SKIP_1) | instid1(VALU_DEP_2)
	v_add_f32_e32 v13, v36, v13
	v_cvt_f32_i32_e32 v36, v11
	v_add_f32_e32 v13, v41, v13
	s_delay_alu instid0(VALU_DEP_1) | instskip(NEXT) | instid1(VALU_DEP_1)
	v_mul_f32_e32 v13, v21, v13
	v_add_f32_e32 v13, v25, v13
	s_delay_alu instid0(VALU_DEP_1) | instskip(NEXT) | instid1(VALU_DEP_1)
	v_add_f32_e32 v21, v42, v13
	v_sub_f32_e32 v11, v21, v42
	s_delay_alu instid0(VALU_DEP_1) | instskip(SKIP_2) | instid1(VALU_DEP_3)
	v_sub_f32_e32 v11, v13, v11
	v_mul_f32_e32 v25, v21, v21
	v_ldexp_f32 v41, v21, 1
	v_ldexp_f32 v11, v11, 1
	s_delay_alu instid0(VALU_DEP_3) | instskip(NEXT) | instid1(VALU_DEP_1)
	v_dual_fmaak_f32 v38, s9, v25, 0x3ecc95a3 :: v_dual_mul_f32 v37, v21, v25
	v_fmaak_f32 v25, v25, v38, 0x3f2aaada
	s_delay_alu instid0(VALU_DEP_1) | instskip(NEXT) | instid1(VALU_DEP_1)
	v_pk_mul_f32 v[38:39], v[36:37], v[24:25]
	v_fma_f32 v40, 0x3f317218, v36, -v38
	v_mov_b32_e32 v42, v38
	s_delay_alu instid0(VALU_DEP_2) | instskip(NEXT) | instid1(VALU_DEP_1)
	v_fmac_f32_e32 v40, 0xb102e308, v36
	v_pk_add_f32 v[36:37], v[38:39], v[40:41]
	s_delay_alu instid0(VALU_DEP_1) | instskip(NEXT) | instid1(VALU_DEP_1)
	v_dual_sub_f32 v13, v37, v41 :: v_dual_mov_b32 v50, v37
	v_dual_mov_b32 v41, v36 :: v_dual_sub_f32 v13, v39, v13
	v_pk_add_f32 v[38:39], v[36:37], v[38:39] neg_lo:[0,1] neg_hi:[0,1]
	s_delay_alu instid0(VALU_DEP_2) | instskip(NEXT) | instid1(VALU_DEP_1)
	v_add_f32_e32 v43, v11, v13
	v_pk_add_f32 v[44:45], v[36:37], v[42:43]
	s_delay_alu instid0(VALU_DEP_1) | instskip(NEXT) | instid1(VALU_DEP_1)
	v_mov_b32_e32 v39, v45
	v_pk_add_f32 v[46:47], v[40:41], v[38:39]
	v_mov_b32_e32 v46, v45
	v_pk_add_f32 v[38:39], v[40:41], v[38:39] neg_lo:[0,1] neg_hi:[0,1]
	s_delay_alu instid0(VALU_DEP_3) | instskip(NEXT) | instid1(VALU_DEP_1)
	v_dual_mov_b32 v42, v47 :: v_dual_mov_b32 v39, v47
	v_pk_add_f32 v[48:49], v[42:43], v[36:37] neg_lo:[0,1] neg_hi:[0,1]
	v_dual_mov_b32 v37, v36 :: v_dual_mov_b32 v36, v43
	s_delay_alu instid0(VALU_DEP_2) | instskip(NEXT) | instid1(VALU_DEP_1)
	v_dual_mov_b32 v51, v48 :: v_dual_mov_b32 v11, v48
	v_pk_add_f32 v[48:49], v[46:47], v[50:51] neg_lo:[0,1] neg_hi:[0,1]
	s_delay_alu instid0(VALU_DEP_2) | instskip(SKIP_1) | instid1(VALU_DEP_3)
	v_pk_add_f32 v[40:41], v[44:45], v[10:11] neg_lo:[0,1] neg_hi:[0,1]
	v_mov_b32_e32 v40, v38
	v_pk_add_f32 v[36:37], v[36:37], v[48:49] neg_lo:[0,1] neg_hi:[0,1]
	s_delay_alu instid0(VALU_DEP_1) | instskip(NEXT) | instid1(VALU_DEP_1)
	v_pk_add_f32 v[40:41], v[40:41], v[36:37]
	v_mov_b32_e32 v44, v41
	s_delay_alu instid0(VALU_DEP_1) | instskip(NEXT) | instid1(VALU_DEP_1)
	v_pk_add_f32 v[44:45], v[40:41], v[44:45]
	v_pk_add_f32 v[42:43], v[42:43], v[44:45]
	s_delay_alu instid0(VALU_DEP_1) | instskip(NEXT) | instid1(VALU_DEP_1)
	v_dual_mov_b32 v37, v44 :: v_dual_mov_b32 v41, v42
	v_pk_add_f32 v[46:47], v[40:41], v[38:39] neg_lo:[0,1] neg_hi:[0,1]
	s_delay_alu instid0(VALU_DEP_1) | instskip(NEXT) | instid1(VALU_DEP_2)
	v_sub_f32_e32 v11, v40, v46
	v_pk_add_f32 v[36:37], v[36:37], v[46:47] neg_lo:[0,1] neg_hi:[0,1]
	s_delay_alu instid0(VALU_DEP_2) | instskip(NEXT) | instid1(VALU_DEP_1)
	v_sub_f32_e32 v11, v38, v11
	v_add_f32_e32 v11, v36, v11
	s_delay_alu instid0(VALU_DEP_1) | instskip(NEXT) | instid1(VALU_DEP_1)
	v_add_f32_e32 v11, v11, v37
	v_add_f32_e32 v11, v42, v11
	s_delay_alu instid0(VALU_DEP_1) | instskip(SKIP_1) | instid1(VALU_DEP_2)
	v_cndmask_b32_e32 v11, 0x7f800000, v11, vcc_lo
	v_cmp_ngt_f32_e32 vcc_lo, -1.0, v12
	v_cndmask_b32_e32 v11, 0x7fc00000, v11, vcc_lo
	v_cmp_neq_f32_e32 vcc_lo, -1.0, v12
	s_delay_alu instid0(VALU_DEP_2) | instskip(SKIP_1) | instid1(VALU_DEP_2)
	v_cndmask_b32_e32 v11, 0xff800000, v11, vcc_lo
	v_cmp_gt_f32_e64 vcc_lo, 0x33800000, |v12|
	v_cndmask_b32_e32 v21, v11, v12, vcc_lo
.LBB49_635:                             ;   in Loop: Header=BB49_418 Depth=1
	s_and_not1_saveexec_b32 s21, s21
	s_cbranch_execz .LBB49_637
; %bb.636:                              ;   in Loop: Header=BB49_418 Depth=1
	v_sub_f32_e64 v11, 1.0, |v2|
	s_delay_alu instid0(VALU_DEP_1) | instskip(NEXT) | instid1(VALU_DEP_1)
	v_mul_f32_e32 v11, v11, v29
	v_mul_f32_e32 v12, 0x4f800000, v11
	v_cmp_gt_f32_e32 vcc_lo, 0xf800000, v11
	s_delay_alu instid0(VALU_DEP_2) | instskip(NEXT) | instid1(VALU_DEP_1)
	v_cndmask_b32_e32 v11, v11, v12, vcc_lo
	v_sqrt_f32_e32 v12, v11
	v_nop
	s_delay_alu instid0(TRANS32_DEP_1) | instskip(NEXT) | instid1(VALU_DEP_1)
	v_dual_add_nc_u32 v13, -1, v12 :: v_dual_add_nc_u32 v21, 1, v12
	v_fma_f32 v25, -v13, v12, v11
	s_delay_alu instid0(VALU_DEP_2) | instskip(NEXT) | instid1(VALU_DEP_2)
	v_fma_f32 v36, -v21, v12, v11
	v_cmp_ge_f32_e64 s3, 0, v25
	s_delay_alu instid0(VALU_DEP_1) | instskip(NEXT) | instid1(VALU_DEP_3)
	v_cndmask_b32_e64 v12, v12, v13, s3
	v_cmp_lt_f32_e64 s3, 0, v36
	s_delay_alu instid0(VALU_DEP_1) | instskip(NEXT) | instid1(VALU_DEP_1)
	v_cndmask_b32_e64 v12, v12, v21, s3
	v_mul_f32_e32 v13, 0x37800000, v12
	s_delay_alu instid0(VALU_DEP_1) | instskip(SKIP_2) | instid1(VALU_DEP_3)
	v_cndmask_b32_e32 v12, v12, v13, vcc_lo
	v_cmp_class_f32_e64 vcc_lo, v11, 0x260
	v_and_b32_e32 v13, 0x7fffffff, v3
	v_cndmask_b32_e32 v11, v12, v11, vcc_lo
	s_delay_alu instid0(VALU_DEP_1) | instskip(SKIP_1) | instid1(VALU_DEP_2)
	v_div_scale_f32 v12, null, v11, v11, v13
	v_div_scale_f32 v13, vcc_lo, v13, v11, v13
	v_rcp_f32_e32 v21, v12
	v_nop
	s_delay_alu instid0(TRANS32_DEP_1) | instskip(NEXT) | instid1(VALU_DEP_1)
	v_fma_f32 v25, -v12, v21, 1.0
	v_fmac_f32_e32 v21, v25, v21
	s_delay_alu instid0(VALU_DEP_1) | instskip(NEXT) | instid1(VALU_DEP_1)
	v_mul_f32_e32 v25, v13, v21
	v_fma_f32 v36, -v12, v25, v13
	s_delay_alu instid0(VALU_DEP_1) | instskip(NEXT) | instid1(VALU_DEP_1)
	v_fmac_f32_e32 v25, v36, v21
	v_fma_f32 v12, -v12, v25, v13
	s_delay_alu instid0(VALU_DEP_1) | instskip(NEXT) | instid1(VALU_DEP_1)
	v_div_fmas_f32 v12, v12, v21, v25
	v_div_fixup_f32 v21, v12, v11, |v3|
.LBB49_637:                             ;   in Loop: Header=BB49_418 Depth=1
	s_or_b32 exec_lo, exec_lo, s21
.LBB49_638:                             ;   in Loop: Header=BB49_418 Depth=1
	s_delay_alu instid0(SALU_CYCLE_1)
	s_or_b32 exec_lo, exec_lo, s20
.LBB49_639:                             ;   in Loop: Header=BB49_418 Depth=1
	s_and_not1_saveexec_b32 s19, s19
	s_cbranch_execz .LBB49_641
; %bb.640:                              ;   in Loop: Header=BB49_418 Depth=1
	v_mul_f32_e64 v11, 0x4f800000, |v3|
	v_cmp_gt_f32_e64 vcc_lo, 0xf800000, |v3|
	s_delay_alu instid0(VALU_DEP_1) | instskip(NEXT) | instid1(VALU_DEP_1)
	v_cndmask_b32_e64 v11, |v3|, v11, vcc_lo
	v_sqrt_f32_e32 v12, v11
	v_nop
	s_delay_alu instid0(TRANS32_DEP_1) | instskip(NEXT) | instid1(VALU_DEP_1)
	v_dual_add_nc_u32 v13, -1, v12 :: v_dual_add_nc_u32 v21, 1, v12
	v_fma_f32 v25, -v13, v12, v11
	s_delay_alu instid0(VALU_DEP_2) | instskip(NEXT) | instid1(VALU_DEP_2)
	v_fma_f32 v36, -v21, v12, v11
	v_cmp_ge_f32_e64 s3, 0, v25
	s_delay_alu instid0(VALU_DEP_1) | instskip(NEXT) | instid1(VALU_DEP_3)
	v_cndmask_b32_e64 v12, v12, v13, s3
	v_cmp_lt_f32_e64 s3, 0, v36
	s_delay_alu instid0(VALU_DEP_1) | instskip(NEXT) | instid1(VALU_DEP_1)
	v_cndmask_b32_e64 v12, v12, v21, s3
	v_mul_f32_e32 v13, 0x37800000, v12
	s_delay_alu instid0(VALU_DEP_1) | instskip(SKIP_1) | instid1(VALU_DEP_2)
	v_cndmask_b32_e32 v12, v12, v13, vcc_lo
	v_cmp_class_f32_e64 vcc_lo, v11, 0x260
	v_cndmask_b32_e32 v21, v12, v11, vcc_lo
.LBB49_641:                             ;   in Loop: Header=BB49_418 Depth=1
	s_or_b32 exec_lo, exec_lo, s19
.LBB49_642:                             ;   in Loop: Header=BB49_418 Depth=1
	s_delay_alu instid0(SALU_CYCLE_1) | instskip(NEXT) | instid1(SALU_CYCLE_1)
	s_or_b32 exec_lo, exec_lo, s4
	s_mov_b32 s19, exec_lo
                                        ; implicit-def: $sgpr3
                                        ; implicit-def: $vgpr13
                                        ; implicit-def: $vgpr25
	v_cmpx_ngt_f32_e64 0x21000000, |v2|
	s_xor_b32 s19, exec_lo, s19
	s_cbranch_execz .LBB49_666
; %bb.643:                              ;   in Loop: Header=BB49_418 Depth=1
	v_and_b32_e32 v12, 0x7fffffff, v2
	s_mov_b32 s3, 0
	s_mov_b32 s20, exec_lo
	s_delay_alu instid0(VALU_DEP_1) | instskip(NEXT) | instid1(VALU_DEP_1)
	v_div_scale_f32 v11, null, v10, v10, v12
	v_rcp_f32_e32 v13, v11
	v_nop
	s_delay_alu instid0(TRANS32_DEP_1) | instskip(NEXT) | instid1(VALU_DEP_1)
	v_fma_f32 v25, -v11, v13, 1.0
	v_fmac_f32_e32 v13, v25, v13
	v_div_scale_f32 v25, vcc_lo, v12, v10, v12
	s_delay_alu instid0(VALU_DEP_1) | instskip(NEXT) | instid1(VALU_DEP_1)
	v_mul_f32_e32 v36, v25, v13
	v_fma_f32 v37, -v11, v36, v25
	s_delay_alu instid0(VALU_DEP_1) | instskip(NEXT) | instid1(VALU_DEP_1)
	v_fmac_f32_e32 v36, v37, v13
	v_fma_f32 v11, -v11, v36, v25
	s_delay_alu instid0(VALU_DEP_1) | instskip(NEXT) | instid1(VALU_DEP_1)
	v_div_fmas_f32 v11, v11, v13, v36
	v_div_fixup_f32 v25, v11, v10, |v2|
	s_delay_alu instid0(VALU_DEP_1)
	v_cmpx_lt_f32_e32 0x3f244674, v25
	s_cbranch_execz .LBB49_665
; %bb.644:                              ;   in Loop: Header=BB49_418 Depth=1
	v_cmp_neq_f32_e64 s3, |v2|, 1.0
	v_cmp_ngt_f32_e64 s4, 0x30800000, |v3|
	s_or_b32 s3, s3, s4
	s_delay_alu instid0(SALU_CYCLE_1) | instskip(NEXT) | instid1(SALU_CYCLE_1)
	s_and_saveexec_b32 s4, s3
	s_xor_b32 s4, exec_lo, s4
	s_cbranch_execz .LBB49_662
; %bb.645:                              ;   in Loop: Header=BB49_418 Depth=1
	v_mul_f32_e64 v11, 0x34000000, |v28|
	s_mov_b32 s21, exec_lo
	s_delay_alu instid0(VALU_DEP_1)
	v_cmpx_ge_f32_e64 |v3|, v11
	s_xor_b32 s21, exec_lo, s21
	s_cbranch_execz .LBB49_655
; %bb.646:                              ;   in Loop: Header=BB49_418 Depth=1
	v_mov_b32_e32 v11, v34
	s_mov_b32 s3, exec_lo
	v_cmpx_neq_f32_e32 0, v29
	s_cbranch_execz .LBB49_648
; %bb.647:                              ;   in Loop: Header=BB49_418 Depth=1
	v_mul_f32_e32 v11, v3, v3
	v_add_f32_e32 v13, v29, v35
	s_delay_alu instid0(VALU_DEP_1) | instskip(NEXT) | instid1(VALU_DEP_1)
	v_div_scale_f32 v29, null, v13, v13, v11
	v_rcp_f32_e32 v35, v29
	v_nop
	s_delay_alu instid0(TRANS32_DEP_1) | instskip(NEXT) | instid1(VALU_DEP_1)
	v_fma_f32 v36, -v29, v35, 1.0
	v_fmac_f32_e32 v35, v36, v35
	v_div_scale_f32 v36, vcc_lo, v11, v13, v11
	s_delay_alu instid0(VALU_DEP_1) | instskip(NEXT) | instid1(VALU_DEP_1)
	v_mul_f32_e32 v37, v36, v35
	v_fma_f32 v38, -v29, v37, v36
	s_delay_alu instid0(VALU_DEP_1) | instskip(NEXT) | instid1(VALU_DEP_1)
	v_fmac_f32_e32 v37, v38, v35
	v_fma_f32 v29, -v29, v37, v36
	s_delay_alu instid0(VALU_DEP_1) | instskip(NEXT) | instid1(VALU_DEP_1)
	v_div_fmas_f32 v29, v29, v35, v37
	v_div_fixup_f32 v11, v29, v13, v11
.LBB49_648:                             ;   in Loop: Header=BB49_418 Depth=1
	s_or_b32 exec_lo, exec_lo, s3
	s_delay_alu instid0(SALU_CYCLE_1)
	s_mov_b32 s3, exec_lo
	v_cmpx_ngt_f32_e32 0, v28
	s_xor_b32 s3, exec_lo, s3
	s_cbranch_execz .LBB49_652
; %bb.649:                              ;   in Loop: Header=BB49_418 Depth=1
	s_mov_b32 s22, exec_lo
	v_cmpx_neq_f32_e32 0, v28
	s_cbranch_execz .LBB49_651
; %bb.650:                              ;   in Loop: Header=BB49_418 Depth=1
	v_dual_mul_f32 v13, v3, v3 :: v_dual_add_f32 v28, v28, v33
	s_delay_alu instid0(VALU_DEP_1) | instskip(NEXT) | instid1(VALU_DEP_1)
	v_div_scale_f32 v29, null, v28, v28, v13
	v_rcp_f32_e32 v33, v29
	v_nop
	s_delay_alu instid0(TRANS32_DEP_1) | instskip(NEXT) | instid1(VALU_DEP_1)
	v_fma_f32 v34, -v29, v33, 1.0
	v_fmac_f32_e32 v33, v34, v33
	v_div_scale_f32 v34, vcc_lo, v13, v28, v13
	s_delay_alu instid0(VALU_DEP_1) | instskip(NEXT) | instid1(VALU_DEP_1)
	v_mul_f32_e32 v35, v34, v33
	v_fma_f32 v36, -v29, v35, v34
	s_delay_alu instid0(VALU_DEP_1) | instskip(NEXT) | instid1(VALU_DEP_1)
	v_fmac_f32_e32 v35, v36, v33
	v_fma_f32 v29, -v29, v35, v34
	s_delay_alu instid0(VALU_DEP_1) | instskip(NEXT) | instid1(VALU_DEP_1)
	v_div_fmas_f32 v29, v29, v33, v35
	v_div_fixup_f32 v34, v29, v28, v13
.LBB49_651:                             ;   in Loop: Header=BB49_418 Depth=1
	s_or_b32 exec_lo, exec_lo, s22
                                        ; implicit-def: $vgpr33
                                        ; implicit-def: $vgpr28
.LBB49_652:                             ;   in Loop: Header=BB49_418 Depth=1
	s_and_not1_saveexec_b32 s3, s3
; %bb.653:                              ;   in Loop: Header=BB49_418 Depth=1
	v_sub_f32_e32 v34, v33, v28
; %bb.654:                              ;   in Loop: Header=BB49_418 Depth=1
	s_or_b32 exec_lo, exec_lo, s3
	s_delay_alu instid0(VALU_DEP_1) | instskip(SKIP_1) | instid1(VALU_DEP_1)
	v_dual_mul_f32 v29, 0.5, v11 :: v_dual_mul_f32 v11, 0.5, v34
	v_and_b32_e32 v28, 0x7fffffff, v2
	v_pk_add_f32 v[10:11], v[28:29], v[10:11]
	s_delay_alu instid0(VALU_DEP_1) | instskip(NEXT) | instid1(VALU_DEP_1)
	v_mul_f32_e32 v10, v10, v11
	v_mul_f32_e32 v11, 0x4f800000, v10
	v_cmp_gt_f32_e32 vcc_lo, 0xf800000, v10
	s_delay_alu instid0(VALU_DEP_2) | instskip(NEXT) | instid1(VALU_DEP_1)
	v_cndmask_b32_e32 v10, v10, v11, vcc_lo
	v_sqrt_f32_e32 v11, v10
	v_nop
	s_delay_alu instid0(TRANS32_DEP_1) | instskip(NEXT) | instid1(VALU_DEP_1)
	v_dual_add_nc_u32 v13, -1, v11 :: v_dual_add_nc_u32 v28, 1, v11
	v_dual_fma_f32 v29, -v13, v11, v10 :: v_dual_fma_f32 v33, -v28, v11, v10
	s_delay_alu instid0(VALU_DEP_1) | instskip(NEXT) | instid1(VALU_DEP_1)
	v_cmp_ge_f32_e64 s3, 0, v29
                                        ; implicit-def: $vgpr29
	v_cndmask_b32_e64 v11, v11, v13, s3
	s_delay_alu instid0(VALU_DEP_3) | instskip(NEXT) | instid1(VALU_DEP_1)
	v_cmp_lt_f32_e64 s3, 0, v33
	v_cndmask_b32_e64 v11, v11, v28, s3
                                        ; implicit-def: $vgpr28
	s_delay_alu instid0(VALU_DEP_1) | instskip(NEXT) | instid1(VALU_DEP_1)
	v_mul_f32_e32 v13, 0x37800000, v11
	v_cndmask_b32_e32 v11, v11, v13, vcc_lo
	v_cmp_class_f32_e64 vcc_lo, v10, 0x260
	s_delay_alu instid0(VALU_DEP_2)
	v_cndmask_b32_e32 v13, v11, v10, vcc_lo
.LBB49_655:                             ;   in Loop: Header=BB49_418 Depth=1
	s_and_not1_saveexec_b32 s21, s21
	s_cbranch_execz .LBB49_661
; %bb.656:                              ;   in Loop: Header=BB49_418 Depth=1
	s_mov_b32 s22, exec_lo
	v_cmpx_ngt_f32_e64 |v2|, 1.0
	s_xor_b32 s22, exec_lo, s22
	s_cbranch_execz .LBB49_658
; %bb.657:                              ;   in Loop: Header=BB49_418 Depth=1
	v_sub_f32_e64 v10, 1.0, |v2|
	s_delay_alu instid0(VALU_DEP_1) | instskip(NEXT) | instid1(VALU_DEP_1)
	v_mul_f32_e32 v10, v10, v29
	v_mul_f32_e32 v11, 0x4f800000, v10
	v_cmp_gt_f32_e32 vcc_lo, 0xf800000, v10
	s_delay_alu instid0(VALU_DEP_2) | instskip(NEXT) | instid1(VALU_DEP_1)
	v_cndmask_b32_e32 v10, v10, v11, vcc_lo
	v_sqrt_f32_e32 v11, v10
	v_nop
	s_delay_alu instid0(TRANS32_DEP_1) | instskip(NEXT) | instid1(VALU_DEP_1)
	v_dual_add_nc_u32 v13, -1, v11 :: v_dual_add_nc_u32 v28, 1, v11
	v_dual_fma_f32 v29, -v13, v11, v10 :: v_dual_fma_f32 v33, -v28, v11, v10
	s_delay_alu instid0(VALU_DEP_1) | instskip(NEXT) | instid1(VALU_DEP_1)
	v_cmp_ge_f32_e64 s3, 0, v29
                                        ; implicit-def: $vgpr29
	v_cndmask_b32_e64 v11, v11, v13, s3
	s_delay_alu instid0(VALU_DEP_3) | instskip(NEXT) | instid1(VALU_DEP_1)
	v_cmp_lt_f32_e64 s3, 0, v33
	v_cndmask_b32_e64 v11, v11, v28, s3
                                        ; implicit-def: $vgpr28
	s_delay_alu instid0(VALU_DEP_1) | instskip(NEXT) | instid1(VALU_DEP_1)
	v_mul_f32_e32 v13, 0x37800000, v11
	v_cndmask_b32_e32 v11, v11, v13, vcc_lo
	v_cmp_class_f32_e64 vcc_lo, v10, 0x260
	s_delay_alu instid0(VALU_DEP_2)
	v_cndmask_b32_e32 v13, v11, v10, vcc_lo
.LBB49_658:                             ;   in Loop: Header=BB49_418 Depth=1
	s_and_not1_saveexec_b32 s22, s22
	s_cbranch_execz .LBB49_660
; %bb.659:                              ;   in Loop: Header=BB49_418 Depth=1
	v_mul_f32_e32 v10, v29, v28
	s_delay_alu instid0(VALU_DEP_1) | instskip(SKIP_1) | instid1(VALU_DEP_2)
	v_mul_f32_e32 v11, 0x4f800000, v10
	v_cmp_gt_f32_e32 vcc_lo, 0xf800000, v10
	v_cndmask_b32_e32 v10, v10, v11, vcc_lo
	s_delay_alu instid0(VALU_DEP_1) | instskip(SKIP_1) | instid1(TRANS32_DEP_1)
	v_sqrt_f32_e32 v11, v10
	v_nop
	v_dual_add_nc_u32 v12, -1, v11 :: v_dual_add_nc_u32 v13, 1, v11
	s_delay_alu instid0(VALU_DEP_1) | instskip(NEXT) | instid1(VALU_DEP_1)
	v_dual_fma_f32 v28, -v12, v11, v10 :: v_dual_fma_f32 v29, -v13, v11, v10
	v_cmp_ge_f32_e64 s3, 0, v28
	s_delay_alu instid0(VALU_DEP_1) | instskip(NEXT) | instid1(VALU_DEP_3)
	v_cndmask_b32_e64 v11, v11, v12, s3
	v_cmp_lt_f32_e64 s3, 0, v29
	s_delay_alu instid0(VALU_DEP_1) | instskip(SKIP_1) | instid1(VALU_DEP_2)
	v_cndmask_b32_e64 v11, v11, v13, s3
	v_mul_f32_e64 v13, 0x57800000, |v3|
	v_mul_f32_e32 v12, 0x37800000, v11
	s_delay_alu instid0(VALU_DEP_1) | instskip(SKIP_1) | instid1(VALU_DEP_4)
	v_cndmask_b32_e32 v11, v11, v12, vcc_lo
	v_cmp_class_f32_e64 vcc_lo, v10, 0x260
	v_mul_f32_e64 v12, |v2|, v13
	s_delay_alu instid0(VALU_DEP_3) | instskip(NEXT) | instid1(VALU_DEP_1)
	v_cndmask_b32_e32 v10, v11, v10, vcc_lo
	v_div_scale_f32 v11, null, v10, v10, v12
	v_div_scale_f32 v29, vcc_lo, v12, v10, v12
	s_delay_alu instid0(VALU_DEP_2) | instskip(SKIP_1) | instid1(TRANS32_DEP_1)
	v_rcp_f32_e32 v13, v11
	v_nop
	v_fma_f32 v28, -v11, v13, 1.0
	s_delay_alu instid0(VALU_DEP_1) | instskip(NEXT) | instid1(VALU_DEP_1)
	v_fmac_f32_e32 v13, v28, v13
	v_mul_f32_e32 v28, v29, v13
	s_delay_alu instid0(VALU_DEP_1) | instskip(NEXT) | instid1(VALU_DEP_1)
	v_fma_f32 v33, -v11, v28, v29
	v_fmac_f32_e32 v28, v33, v13
	s_delay_alu instid0(VALU_DEP_1) | instskip(NEXT) | instid1(VALU_DEP_1)
	v_fma_f32 v11, -v11, v28, v29
	v_div_fmas_f32 v11, v11, v13, v28
	s_delay_alu instid0(VALU_DEP_1)
	v_div_fixup_f32 v13, v11, v10, v12
	v_mul_f32_e64 v12, 0x57800000, |v2|
.LBB49_660:                             ;   in Loop: Header=BB49_418 Depth=1
	s_or_b32 exec_lo, exec_lo, s22
.LBB49_661:                             ;   in Loop: Header=BB49_418 Depth=1
	s_delay_alu instid0(SALU_CYCLE_1)
	s_or_b32 exec_lo, exec_lo, s21
                                        ; implicit-def: $vgpr10
.LBB49_662:                             ;   in Loop: Header=BB49_418 Depth=1
	s_and_not1_saveexec_b32 s21, s4
	s_cbranch_execz .LBB49_664
; %bb.663:                              ;   in Loop: Header=BB49_418 Depth=1
	v_add_f32_e32 v10, 1.0, v10
	v_mul_f32_e64 v11, 0x4f800000, |v3|
	v_cmp_gt_f32_e64 vcc_lo, 0xf800000, |v3|
	s_delay_alu instid0(VALU_DEP_3) | instskip(NEXT) | instid1(VALU_DEP_2)
	v_mul_f32_e32 v10, 0.5, v10
	v_cndmask_b32_e64 v11, |v3|, v11, vcc_lo
	s_delay_alu instid0(VALU_DEP_2) | instskip(SKIP_1) | instid1(VALU_DEP_1)
	v_mul_f32_e32 v12, 0x4f800000, v10
	v_cmp_gt_f32_e64 s3, 0xf800000, v10
	v_cndmask_b32_e64 v10, v10, v12, s3
	s_delay_alu instid0(VALU_DEP_4) | instskip(SKIP_1) | instid1(TRANS32_DEP_1)
	v_sqrt_f32_e32 v12, v11
	v_nop
	v_add_nc_u32_e32 v33, 1, v12
	s_delay_alu instid0(VALU_DEP_3) | instskip(SKIP_1) | instid1(TRANS32_DEP_1)
	v_sqrt_f32_e32 v13, v10
	v_nop
	v_dual_add_nc_u32 v28, -1, v12 :: v_dual_add_nc_u32 v29, -1, v13
	s_delay_alu instid0(VALU_DEP_1) | instskip(SKIP_1) | instid1(VALU_DEP_3)
	v_dual_fma_f32 v34, -v28, v12, v11 :: v_dual_add_nc_u32 v35, 1, v13
	v_fma_f32 v37, -v33, v12, v11
	v_fma_f32 v36, -v29, v13, v10
	s_delay_alu instid0(VALU_DEP_3) | instskip(NEXT) | instid1(VALU_DEP_1)
	v_cmp_ge_f32_e64 s4, 0, v34
	v_cndmask_b32_e64 v12, v12, v28, s4
	s_delay_alu instid0(VALU_DEP_3) | instskip(SKIP_1) | instid1(VALU_DEP_2)
	v_cmp_ge_f32_e64 s4, 0, v36
	v_fma_f32 v28, -v35, v13, v10
	v_cndmask_b32_e64 v13, v13, v29, s4
	v_cmp_lt_f32_e64 s4, 0, v37
	s_delay_alu instid0(VALU_DEP_1) | instskip(NEXT) | instid1(VALU_DEP_4)
	v_cndmask_b32_e64 v12, v12, v33, s4
	v_cmp_lt_f32_e64 s4, 0, v28
	s_delay_alu instid0(VALU_DEP_1) | instskip(NEXT) | instid1(VALU_DEP_1)
	v_cndmask_b32_e64 v13, v13, v35, s4
	v_dual_mul_f32 v28, 0x37800000, v12 :: v_dual_mul_f32 v29, 0x37800000, v13
	s_delay_alu instid0(VALU_DEP_1) | instskip(SKIP_1) | instid1(VALU_DEP_1)
	v_cndmask_b32_e32 v12, v12, v28, vcc_lo
	v_cmp_class_f32_e64 vcc_lo, v11, 0x260
	v_dual_cndmask_b32 v13, v13, v29, s3 :: v_dual_cndmask_b32 v11, v12, v11, vcc_lo
	v_cmp_class_f32_e64 vcc_lo, v10, 0x260
	s_delay_alu instid0(VALU_DEP_1) | instskip(NEXT) | instid1(VALU_DEP_1)
	v_dual_cndmask_b32 v10, v13, v10, vcc_lo :: v_dual_mov_b32 v12, 1.0
	v_mul_f32_e32 v13, v11, v10
.LBB49_664:                             ;   in Loop: Header=BB49_418 Depth=1
	s_or_b32 exec_lo, exec_lo, s21
	s_delay_alu instid0(SALU_CYCLE_1)
	s_mov_b32 s3, exec_lo
.LBB49_665:                             ;   in Loop: Header=BB49_418 Depth=1
	s_or_b32 exec_lo, exec_lo, s20
                                        ; implicit-def: $vgpr10
.LBB49_666:                             ;   in Loop: Header=BB49_418 Depth=1
	s_and_not1_saveexec_b32 s4, s19
; %bb.667:                              ;   in Loop: Header=BB49_418 Depth=1
	v_and_b32_e32 v12, 0x7fffffff, v2
	v_mov_b32_e32 v13, v10
	s_or_b32 s3, s3, exec_lo
                                        ; implicit-def: $vgpr25
	s_delay_alu instid0(VALU_DEP_1)
	v_pk_mul_f32 v[12:13], v[12:13], s[8:9] op_sel_hi:[1,0]
; %bb.668:                              ;   in Loop: Header=BB49_418 Depth=1
	s_or_b32 exec_lo, exec_lo, s4
	s_xor_b32 s3, s3, -1
                                        ; implicit-def: $vgpr10
	s_delay_alu instid0(SALU_CYCLE_1) | instskip(NEXT) | instid1(SALU_CYCLE_1)
	s_and_saveexec_b32 s4, s3
	s_xor_b32 s4, exec_lo, s4
	s_cbranch_execz .LBB49_674
; %bb.669:                              ;   in Loop: Header=BB49_418 Depth=1
                                        ; implicit-def: $vgpr10
	s_and_saveexec_b32 s3, s2
	s_delay_alu instid0(SALU_CYCLE_1)
	s_xor_b32 s3, exec_lo, s3
	s_cbranch_execz .LBB49_671
; %bb.670:                              ;   in Loop: Header=BB49_418 Depth=1
	v_fma_f32 v10, |v25|, -0.5, 0.5
	v_mul_f32_e32 v11, v25, v25
	v_cmp_gt_f32_e64 vcc_lo, |v25|, 0.5
	s_delay_alu instid0(VALU_DEP_2) | instskip(NEXT) | instid1(VALU_DEP_1)
	v_cndmask_b32_e32 v10, v11, v10, vcc_lo
	v_fmaak_f32 v11, s10, v10, 0x3c5fc5da
	v_sqrt_f32_e32 v12, v10
	s_delay_alu instid0(VALU_DEP_1) | instskip(NEXT) | instid1(VALU_DEP_1)
	v_fmaak_f32 v11, v10, v11, 0x3d034c3c
	v_fmaak_f32 v11, v10, v11, 0x3d3641b1
	s_delay_alu instid0(VALU_DEP_1) | instskip(NEXT) | instid1(VALU_DEP_1)
	v_fmaak_f32 v11, v10, v11, 0x3d999bc8
	v_fmaak_f32 v11, v10, v11, 0x3e2aaaac
	s_delay_alu instid0(VALU_DEP_1)
	v_mul_f32_e32 v10, v10, v11
	s_delay_alu instid0(TRANS32_DEP_1) | instid1(VALU_DEP_1)
	v_dual_fmac_f32 v12, v12, v10 :: v_dual_fmac_f32 v25, v25, v10
	s_delay_alu instid0(VALU_DEP_1) | instskip(NEXT) | instid1(VALU_DEP_1)
	v_dual_add_f32 v10, v12, v12 :: v_dual_sub_f32 v11, 0x3fc90fdb, v25
                                        ; implicit-def: $vgpr25
	v_cndmask_b32_e32 v10, v11, v10, vcc_lo
.LBB49_671:                             ;   in Loop: Header=BB49_418 Depth=1
	s_and_not1_saveexec_b32 s19, s3
	s_cbranch_execz .LBB49_673
; %bb.672:                              ;   in Loop: Header=BB49_418 Depth=1
	v_fma_f32 v10, |v25|, -0.5, 0.5
	v_mul_f32_e32 v11, v25, v25
	v_cmp_gt_f32_e64 vcc_lo, |v25|, 0.5
	v_cmp_lt_f32_e64 s3, 0, v25
	s_delay_alu instid0(VALU_DEP_3) | instskip(NEXT) | instid1(VALU_DEP_1)
	v_cndmask_b32_e32 v10, v11, v10, vcc_lo
	v_fmaak_f32 v11, s10, v10, 0x3c5fc5da
	v_sqrt_f32_e32 v12, v10
	s_delay_alu instid0(VALU_DEP_1) | instskip(NEXT) | instid1(VALU_DEP_1)
	v_fmaak_f32 v11, v10, v11, 0x3d034c3c
	v_fmaak_f32 v11, v10, v11, 0x3d3641b1
	s_delay_alu instid0(VALU_DEP_1) | instskip(NEXT) | instid1(VALU_DEP_1)
	v_fmaak_f32 v11, v10, v11, 0x3d999bc8
	v_fmaak_f32 v11, v10, v11, 0x3e2aaaac
	s_delay_alu instid0(VALU_DEP_1)
	v_mul_f32_e32 v10, v10, v11
	s_delay_alu instid0(TRANS32_DEP_1) | instid1(VALU_DEP_1)
	v_fmac_f32_e32 v12, v12, v10
	s_delay_alu instid0(VALU_DEP_1) | instskip(NEXT) | instid1(VALU_DEP_1)
	v_add_f32_e32 v11, v12, v12
	v_sub_f32_e32 v12, 0x40490fdb, v11
	s_delay_alu instid0(VALU_DEP_1) | instskip(NEXT) | instid1(VALU_DEP_1)
	v_dual_cndmask_b32 v11, v11, v12, s3 :: v_dual_fma_f32 v10, -v25, v10, -v25
	v_sub_f32_e32 v10, 0x3fc90fdb, v10
	s_delay_alu instid0(VALU_DEP_1)
	v_cndmask_b32_e32 v10, v10, v11, vcc_lo
.LBB49_673:                             ;   in Loop: Header=BB49_418 Depth=1
	s_or_b32 exec_lo, exec_lo, s19
                                        ; implicit-def: $vgpr12
.LBB49_674:                             ;   in Loop: Header=BB49_418 Depth=1
	s_and_not1_saveexec_b32 s3, s4
	s_cbranch_execz .LBB49_680
; %bb.675:                              ;   in Loop: Header=BB49_418 Depth=1
	v_max_num_f32_e64 v10, |v13|, |v13|
	v_max_num_f32_e32 v11, v12, v12
	v_cmp_gt_f32_e64 vcc_lo, |v13|, v12
	s_delay_alu instid0(VALU_DEP_2) | instskip(NEXT) | instid1(VALU_DEP_1)
	v_dual_max_num_f32 v25, v11, v10 :: v_dual_min_num_f32 v10, v11, v10
	v_frexp_mant_f32_e32 v28, v25
	v_frexp_exp_i32_f32_e32 v25, v25
	s_delay_alu instid0(VALU_DEP_2)
	v_rcp_f32_e32 v11, v28
	v_nop
	v_frexp_mant_f32_e32 v28, v10
	v_frexp_exp_i32_f32_e32 v10, v10
	s_delay_alu instid0(TRANS32_DEP_1) | instid1(VALU_DEP_1)
	v_dual_mul_f32 v11, v28, v11 :: v_dual_sub_nc_u32 v10, v10, v25
	s_delay_alu instid0(VALU_DEP_1) | instskip(NEXT) | instid1(VALU_DEP_1)
	v_ldexp_f32 v10, v11, v10
	v_mul_f32_e32 v11, v10, v10
	s_delay_alu instid0(VALU_DEP_1) | instskip(NEXT) | instid1(VALU_DEP_1)
	v_fmaak_f32 v25, s11, v11, 0xbc7a590c
	v_fmaak_f32 v25, v11, v25, 0x3d29fb3f
	s_delay_alu instid0(VALU_DEP_1) | instskip(NEXT) | instid1(VALU_DEP_1)
	v_fmaak_f32 v25, v11, v25, 0xbd97d4d7
	v_fmaak_f32 v25, v11, v25, 0x3dd931b2
	;; [unrolled: 3-line block ×3, first 2 shown]
	s_delay_alu instid0(VALU_DEP_1) | instskip(NEXT) | instid1(VALU_DEP_1)
	v_fmaak_f32 v25, v11, v25, 0xbeaaaa62
	v_mul_f32_e32 v11, v11, v25
	s_delay_alu instid0(VALU_DEP_1) | instskip(NEXT) | instid1(VALU_DEP_1)
	v_fmac_f32_e32 v10, v10, v11
	v_sub_f32_e32 v11, 0x3fc90fdb, v10
	s_delay_alu instid0(VALU_DEP_1) | instskip(SKIP_1) | instid1(SALU_CYCLE_1)
	v_cndmask_b32_e32 v11, v10, v11, vcc_lo
                                        ; implicit-def: $vgpr10
	s_and_saveexec_b32 s4, s2
	s_xor_b32 s4, exec_lo, s4
	s_cbranch_execz .LBB49_677
; %bb.676:                              ;   in Loop: Header=BB49_418 Depth=1
	v_cmp_neq_f32_e64 s2, 0, v13
	v_cmp_eq_f32_e32 vcc_lo, 0x7f800000, v12
	v_cmp_class_f32_e64 s19, v13, 0x204
	s_delay_alu instid0(VALU_DEP_3) | instskip(SKIP_2) | instid1(VALU_DEP_2)
	v_cndmask_b32_e64 v10, 0, v11, s2
                                        ; implicit-def: $vgpr11
	s_and_b32 s2, vcc_lo, s19
	v_cmp_o_f32_e32 vcc_lo, v13, v13
	v_cndmask_b32_e64 v10, v10, 0x3f490fdb, s2
	s_delay_alu instid0(VALU_DEP_1) | instskip(NEXT) | instid1(VALU_DEP_1)
	v_cndmask_b32_e32 v10, 0x7fc00000, v10, vcc_lo
	v_bfi_b32 v10, 0x7fffffff, v10, v13
                                        ; implicit-def: $vgpr12
.LBB49_677:                             ;   in Loop: Header=BB49_418 Depth=1
	s_and_not1_saveexec_b32 s4, s4
	s_cbranch_execz .LBB49_679
; %bb.678:                              ;   in Loop: Header=BB49_418 Depth=1
	v_sub_f32_e32 v10, 0x40490fdb, v11
	v_cmp_lt_f32_e32 vcc_lo, 0, v12
	v_cmp_neq_f32_e64 s2, 0, v13
	v_cmp_class_f32_e64 s19, v13, 0x204
	s_delay_alu instid0(VALU_DEP_4) | instskip(SKIP_1) | instid1(VALU_DEP_2)
	v_cndmask_b32_e32 v10, v11, v10, vcc_lo
	v_cmp_eq_f32_e32 vcc_lo, 0x7f800000, v12
	v_cndmask_b32_e64 v10, 0x40490fdb, v10, s2
	s_and_b32 s2, vcc_lo, s19
	v_cmp_o_f32_e32 vcc_lo, v13, v13
	s_delay_alu instid0(VALU_DEP_2) | instskip(NEXT) | instid1(VALU_DEP_1)
	v_cndmask_b32_e64 v10, v10, 0x4016cbe4, s2
	v_cndmask_b32_e32 v10, 0x7fc00000, v10, vcc_lo
	s_delay_alu instid0(VALU_DEP_1)
	v_bfi_b32 v10, 0x7fffffff, v10, v13
.LBB49_679:                             ;   in Loop: Header=BB49_418 Depth=1
	s_or_b32 exec_lo, exec_lo, s4
.LBB49_680:                             ;   in Loop: Header=BB49_418 Depth=1
	s_delay_alu instid0(SALU_CYCLE_1)
	s_or_b32 exec_lo, exec_lo, s3
	v_cndmask_b32_e64 v11, -v21, v21, s0
.LBB49_681:                             ;   in Loop: Header=BB49_418 Depth=1
	s_and_not1_saveexec_b32 s2, s18
	s_cbranch_execz .LBB49_683
; %bb.682:                              ;   in Loop: Header=BB49_418 Depth=1
	flat_load_b32 v10, v[16:17] scope:SCOPE_SYS
	s_wait_loadcnt_dscnt 0x0
	v_sub_f32_e32 v10, v10, v2
	s_delay_alu instid0(VALU_DEP_1)
	v_add_f32_e32 v10, 0x3fc90fdb, v10
.LBB49_683:                             ;   in Loop: Header=BB49_418 Depth=1
	s_or_b32 exec_lo, exec_lo, s2
.LBB49_684:                             ;   in Loop: Header=BB49_418 Depth=1
	s_and_not1_saveexec_b32 s2, s17
; %bb.685:                              ;   in Loop: Header=BB49_418 Depth=1
	v_mov_b32_e32 v10, 0
; %bb.686:                              ;   in Loop: Header=BB49_418 Depth=1
	s_or_b32 exec_lo, exec_lo, s2
                                        ; implicit-def: $vgpr21
                                        ; implicit-def: $vgpr12
                                        ; implicit-def: $vgpr13
.LBB49_687:                             ;   in Loop: Header=BB49_418 Depth=1
	s_and_not1_saveexec_b32 s4, s16
	s_cbranch_execz .LBB49_697
; %bb.688:                              ;   in Loop: Header=BB49_418 Depth=1
	v_cmp_lt_f32_e64 s2, |v2|, |v3|
                                        ; implicit-def: $vgpr11
                                        ; implicit-def: $vgpr10
	s_mov_b32 s3, exec_lo
	v_cndmask_b32_e64 v25, |v2|, |v3|, s2
	s_delay_alu instid0(VALU_DEP_1)
	v_cmpx_nlt_f32_e32 0x7effffff, v25
	s_xor_b32 s16, exec_lo, s3
	s_cbranch_execz .LBB49_694
; %bb.689:                              ;   in Loop: Header=BB49_418 Depth=1
	v_cndmask_b32_e64 v28, |v3|, |v2|, s2
	v_cmp_nlt_f32_e32 vcc_lo, 0x5e000000, v25
                                        ; implicit-def: $vgpr11
                                        ; implicit-def: $vgpr10
	s_delay_alu instid0(VALU_DEP_2) | instskip(SKIP_1) | instid1(SALU_CYCLE_1)
	v_cmp_ngt_f32_e64 s3, 0x20000000, v28
	s_and_b32 s3, vcc_lo, s3
	s_and_saveexec_b32 s17, s3
	s_delay_alu instid0(SALU_CYCLE_1)
	s_xor_b32 s17, exec_lo, s17
	s_cbranch_execz .LBB49_691
; %bb.690:                              ;   in Loop: Header=BB49_418 Depth=1
	v_frexp_mant_f32_e32 v10, v13
	v_min_num_f32_e32 v11, v21, v12
	v_frexp_exp_i32_f32_e32 v12, v13
	s_delay_alu instid0(VALU_DEP_3) | instskip(NEXT) | instid1(VALU_DEP_2)
	v_rcp_f32_e32 v10, v10
	v_frexp_exp_i32_f32_e32 v13, v11
	v_frexp_mant_f32_e32 v11, v11
	s_delay_alu instid0(TRANS32_DEP_1) | instid1(VALU_DEP_1)
	v_dual_mul_f32 v21, v28, v28 :: v_dual_mul_f32 v10, v11, v10
	s_delay_alu instid0(VALU_DEP_1) | instskip(NEXT) | instid1(VALU_DEP_1)
	v_fmac_f32_e32 v21, v25, v25
	v_cmp_gt_f32_e32 vcc_lo, 0x800000, v21
	v_cndmask_b32_e64 v11, 0, 32, vcc_lo
	s_delay_alu instid0(VALU_DEP_1) | instskip(NEXT) | instid1(VALU_DEP_1)
	v_ldexp_f32 v11, v21, v11
	v_log_f32_e32 v11, v11
	v_nop
	s_delay_alu instid0(TRANS32_DEP_1) | instskip(NEXT) | instid1(VALU_DEP_1)
	v_dual_mul_f32 v21, 0x3f317217, v11 :: v_dual_sub_nc_u32 v12, v13, v12
	v_ldexp_f32 v10, v10, v12
	v_cmp_gt_f32_e64 s3, 0x7f800000, |v11|
	s_delay_alu instid0(VALU_DEP_3) | instskip(NEXT) | instid1(VALU_DEP_3)
	v_fma_f32 v21, 0x3f317217, v11, -v21
	v_mul_f32_e32 v12, v10, v10
	s_delay_alu instid0(VALU_DEP_1) | instskip(NEXT) | instid1(VALU_DEP_1)
	v_fmaak_f32 v13, s11, v12, 0xbc7a590c
	v_fmaak_f32 v13, v12, v13, 0x3d29fb3f
	s_delay_alu instid0(VALU_DEP_1) | instskip(NEXT) | instid1(VALU_DEP_1)
	v_fmaak_f32 v13, v12, v13, 0xbd97d4d7
	v_fmaak_f32 v13, v12, v13, 0x3dd931b2
	;; [unrolled: 3-line block ×3, first 2 shown]
	s_delay_alu instid0(VALU_DEP_1) | instskip(NEXT) | instid1(VALU_DEP_1)
	v_fmaak_f32 v13, v12, v13, 0xbeaaaa62
	v_dual_fmac_f32 v21, 0x3377d1cf, v11 :: v_dual_mul_f32 v12, v12, v13
	s_delay_alu instid0(VALU_DEP_1) | instskip(NEXT) | instid1(VALU_DEP_1)
	v_fmac_f32_e32 v21, 0x3f317217, v11
                                        ; implicit-def: $vgpr13
	v_dual_fmac_f32 v10, v10, v12 :: v_dual_cndmask_b32 v11, v11, v21, s3
	v_cndmask_b32_e64 v21, 0, 0x41b17218, vcc_lo
                                        ; implicit-def: $vgpr12
	s_delay_alu instid0(VALU_DEP_1) | instskip(NEXT) | instid1(VALU_DEP_1)
	v_sub_f32_e32 v11, v11, v21
                                        ; implicit-def: $vgpr21
	v_mul_f32_e32 v11, 0.5, v11
.LBB49_691:                             ;   in Loop: Header=BB49_418 Depth=1
	s_and_not1_saveexec_b32 s3, s17
	s_cbranch_execz .LBB49_693
; %bb.692:                              ;   in Loop: Header=BB49_418 Depth=1
	v_cvt_f64_f32_e32 v[10:11], v13
	v_frexp_mant_f32_e32 v28, v13
	v_cmp_neq_f32_e32 vcc_lo, 0x7f800000, v13
	s_delay_alu instid0(VALU_DEP_3) | instskip(NEXT) | instid1(VALU_DEP_1)
	v_frexp_exp_i32_f64_e32 v10, v[10:11]
	v_sub_nc_u32_e32 v11, 0, v10
	s_delay_alu instid0(VALU_DEP_1) | instskip(NEXT) | instid1(VALU_DEP_1)
	v_ldexp_f32 v25, |v3|, v11
	v_mul_f32_e32 v25, v25, v25
	v_ldexp_f32 v11, |v2|, v11
	v_min_num_f32_e32 v12, v21, v12
	v_rcp_f32_e32 v21, v28
	s_delay_alu instid0(VALU_DEP_2) | instskip(SKIP_1) | instid1(VALU_DEP_3)
	v_fmac_f32_e32 v25, v11, v11
	v_frexp_exp_i32_f32_e32 v11, v13
	v_frexp_exp_i32_f32_e32 v28, v12
	v_frexp_mant_f32_e32 v12, v12
	s_delay_alu instid0(VALU_DEP_4) | instskip(NEXT) | instid1(VALU_DEP_2)
	v_sqrt_f32_e32 v25, v25
	v_sub_nc_u32_e32 v11, v28, v11
	s_delay_alu instid0(VALU_DEP_2) | instskip(NEXT) | instid1(TRANS32_DEP_1)
	v_mul_f32_e32 v12, v12, v21
	v_ldexp_f32 v21, v25, v10
	s_delay_alu instid0(VALU_DEP_2) | instskip(NEXT) | instid1(VALU_DEP_1)
	v_ldexp_f32 v10, v12, v11
	v_dual_cndmask_b32 v11, 0x7f800000, v21 :: v_dual_mul_f32 v12, v10, v10
	s_delay_alu instid0(VALU_DEP_1) | instskip(NEXT) | instid1(VALU_DEP_2)
	v_cmp_gt_f32_e32 vcc_lo, 0x800000, v11
	v_fmaak_f32 v21, s11, v12, 0xbc7a590c
	v_cndmask_b32_e64 v13, 0, 32, vcc_lo
	v_cndmask_b32_e64 v25, 0, 0x41b17218, vcc_lo
	s_delay_alu instid0(VALU_DEP_2) | instskip(NEXT) | instid1(VALU_DEP_4)
	v_ldexp_f32 v11, v11, v13
	v_fmaak_f32 v13, v12, v21, 0x3d29fb3f
	s_delay_alu instid0(VALU_DEP_2) | instskip(NEXT) | instid1(VALU_DEP_1)
	v_log_f32_e32 v11, v11
	v_fmaak_f32 v13, v12, v13, 0xbd97d4d7
	s_delay_alu instid0(VALU_DEP_1) | instskip(NEXT) | instid1(TRANS32_DEP_1)
	v_fmaak_f32 v13, v12, v13, 0x3dd931b2
	v_mul_f32_e32 v21, 0x3f317217, v11
	v_cmp_gt_f32_e64 vcc_lo, 0x7f800000, |v11|
	s_delay_alu instid0(VALU_DEP_3) | instskip(NEXT) | instid1(VALU_DEP_3)
	v_fmaak_f32 v13, v12, v13, 0xbe1160e6
	v_fma_f32 v21, 0x3f317217, v11, -v21
	s_delay_alu instid0(VALU_DEP_2) | instskip(NEXT) | instid1(VALU_DEP_2)
	v_fmaak_f32 v13, v12, v13, 0x3e4cb8bf
	v_fmac_f32_e32 v21, 0x3377d1cf, v11
	s_delay_alu instid0(VALU_DEP_2) | instskip(NEXT) | instid1(VALU_DEP_1)
	v_fmaak_f32 v13, v12, v13, 0xbeaaaa62
	v_dual_fmac_f32 v21, 0x3f317217, v11 :: v_dual_mul_f32 v12, v12, v13
	s_delay_alu instid0(VALU_DEP_1) | instskip(NEXT) | instid1(VALU_DEP_1)
	v_dual_cndmask_b32 v11, v11, v21 :: v_dual_fmac_f32 v10, v10, v12
	v_sub_f32_e32 v11, v11, v25
.LBB49_693:                             ;   in Loop: Header=BB49_418 Depth=1
	s_or_b32 exec_lo, exec_lo, s3
                                        ; implicit-def: $vgpr21
                                        ; implicit-def: $vgpr12
                                        ; implicit-def: $vgpr13
.LBB49_694:                             ;   in Loop: Header=BB49_418 Depth=1
	s_and_not1_saveexec_b32 s16, s16
	s_cbranch_execz .LBB49_696
; %bb.695:                              ;   in Loop: Header=BB49_418 Depth=1
	v_div_scale_f32 v10, null, 0x402df854, 0x402df854, v2
	v_div_scale_f32 v11, null, 0x402df854, 0x402df854, v3
	v_div_scale_f32 v34, vcc_lo, v2, 0x402df854, v2
	s_delay_alu instid0(VALU_DEP_3) | instskip(NEXT) | instid1(VALU_DEP_2)
	v_rcp_f32_e32 v25, v10
	v_rcp_f32_e32 v28, v11
	v_min_num_f32_e32 v12, v21, v12
	s_wait_dscnt 0x3
	s_delay_alu instid0(TRANS32_DEP_2) | instskip(NEXT) | instid1(TRANS32_DEP_1)
	v_fma_f32 v29, -v10, v25, 1.0
	v_fma_f32 v33, -v11, v28, 1.0
	s_delay_alu instid0(VALU_DEP_1) | instskip(NEXT) | instid1(VALU_DEP_3)
	v_fmac_f32_e32 v28, v33, v28
	v_fmac_f32_e32 v25, v29, v25
	v_div_scale_f32 v29, s3, v3, 0x402df854, v3
	s_delay_alu instid0(VALU_DEP_1) | instskip(NEXT) | instid1(VALU_DEP_1)
	v_dual_mul_f32 v35, v29, v28 :: v_dual_mul_f32 v33, v34, v25
	v_dual_fma_f32 v37, -v11, v35, v29 :: v_dual_fma_f32 v36, -v10, v33, v34
	s_delay_alu instid0(VALU_DEP_1) | instskip(NEXT) | instid1(VALU_DEP_1)
	v_dual_fmac_f32 v35, v37, v28 :: v_dual_fmac_f32 v33, v36, v25
	v_dual_fma_f32 v11, -v11, v35, v29 :: v_dual_fma_f32 v10, -v10, v33, v34
	s_delay_alu instid0(VALU_DEP_1) | instskip(SKIP_1) | instid1(VALU_DEP_2)
	v_div_fmas_f32 v10, v10, v25, v33
	s_mov_b32 vcc_lo, s3
	v_div_fmas_f32 v11, v11, v28, v35
	s_delay_alu instid0(VALU_DEP_2) | instskip(NEXT) | instid1(VALU_DEP_2)
	v_div_fixup_f32 v25, v10, 0x402df854, v2
	v_div_fixup_f32 v28, v11, 0x402df854, v3
	s_delay_alu instid0(VALU_DEP_1) | instskip(NEXT) | instid1(VALU_DEP_1)
	v_max_num_f32_e64 v29, |v25|, |v28|
	v_cvt_f64_f32_e32 v[10:11], v29
	v_cmp_neq_f32_e32 vcc_lo, 0x7f800000, v29
	s_delay_alu instid0(VALU_DEP_2) | instskip(NEXT) | instid1(VALU_DEP_1)
	v_frexp_exp_i32_f64_e32 v10, v[10:11]
	v_sub_nc_u32_e32 v11, 0, v10
	s_delay_alu instid0(VALU_DEP_1) | instskip(SKIP_1) | instid1(VALU_DEP_2)
	v_ldexp_f32 v28, |v28|, v11
	v_ldexp_f32 v11, |v25|, v11
	v_mul_f32_e32 v25, v28, v28
	s_delay_alu instid0(VALU_DEP_1) | instskip(SKIP_2) | instid1(VALU_DEP_3)
	v_fmac_f32_e32 v25, v11, v11
	v_frexp_mant_f32_e32 v11, v13
	v_frexp_exp_i32_f32_e32 v13, v13
	v_sqrt_f32_e32 v21, v25
	s_delay_alu instid0(VALU_DEP_2) | instskip(SKIP_2) | instid1(TRANS32_DEP_2)
	v_rcp_f32_e32 v11, v11
	v_frexp_exp_i32_f32_e32 v25, v12
	v_frexp_mant_f32_e32 v12, v12
	v_ldexp_f32 v10, v21, v10
	s_delay_alu instid0(TRANS32_DEP_1) | instid1(VALU_DEP_2)
	v_dual_sub_nc_u32 v13, v25, v13 :: v_dual_mul_f32 v11, v12, v11
	s_delay_alu instid0(VALU_DEP_2) | instskip(NEXT) | instid1(VALU_DEP_2)
	v_cndmask_b32_e32 v12, 0x7f800000, v10, vcc_lo
	v_ldexp_f32 v10, v11, v13
	s_delay_alu instid0(VALU_DEP_1) | instskip(NEXT) | instid1(VALU_DEP_3)
	v_mul_f32_e32 v13, v10, v10
	v_cmp_gt_f32_e32 vcc_lo, 0x800000, v12
	v_cndmask_b32_e64 v11, 0, 32, vcc_lo
	v_cndmask_b32_e64 v25, 0, 0x41b17218, vcc_lo
	s_delay_alu instid0(VALU_DEP_2) | instskip(NEXT) | instid1(VALU_DEP_1)
	v_ldexp_f32 v11, v12, v11
	v_log_f32_e32 v11, v11
	v_nop
	s_delay_alu instid0(TRANS32_DEP_1) | instskip(SKIP_1) | instid1(VALU_DEP_2)
	v_mul_f32_e32 v21, 0x3f317217, v11
	v_cmp_gt_f32_e64 vcc_lo, 0x7f800000, |v11|
	v_fma_f32 v21, 0x3f317217, v11, -v21
	s_delay_alu instid0(VALU_DEP_1) | instskip(NEXT) | instid1(VALU_DEP_1)
	v_fmac_f32_e32 v21, 0x3377d1cf, v11
	v_fmac_f32_e32 v21, 0x3f317217, v11
	s_delay_alu instid0(VALU_DEP_1) | instskip(NEXT) | instid1(VALU_DEP_1)
	v_cndmask_b32_e32 v11, v11, v21, vcc_lo
	v_sub_f32_e32 v11, v11, v25
	s_delay_alu instid0(VALU_DEP_1) | instskip(NEXT) | instid1(VALU_DEP_1)
	v_dual_fmaak_f32 v12, s11, v13, 0xbc7a590c :: v_dual_add_f32 v11, 1.0, v11
	v_fmaak_f32 v12, v13, v12, 0x3d29fb3f
	s_delay_alu instid0(VALU_DEP_1) | instskip(NEXT) | instid1(VALU_DEP_1)
	v_fmaak_f32 v12, v13, v12, 0xbd97d4d7
	v_fmaak_f32 v12, v13, v12, 0x3dd931b2
	s_delay_alu instid0(VALU_DEP_1) | instskip(NEXT) | instid1(VALU_DEP_1)
	v_fmaak_f32 v12, v13, v12, 0xbe1160e6
	v_fmaak_f32 v12, v13, v12, 0x3e4cb8bf
	s_delay_alu instid0(VALU_DEP_1) | instskip(NEXT) | instid1(VALU_DEP_1)
	v_fmaak_f32 v12, v13, v12, 0xbeaaaa62
	v_mul_f32_e32 v12, v13, v12
	s_delay_alu instid0(VALU_DEP_1)
	v_fmac_f32_e32 v10, v10, v12
.LBB49_696:                             ;   in Loop: Header=BB49_418 Depth=1
	s_or_b32 exec_lo, exec_lo, s16
	s_delay_alu instid0(VALU_DEP_1) | instskip(SKIP_4) | instid1(VALU_DEP_4)
	v_sub_f32_e32 v12, 0x3fc90fdb, v10
	v_add_f32_e32 v11, 0x3f317218, v11
	v_cmp_gt_f32_e32 vcc_lo, 0, v2
	v_cndmask_b32_e64 v13, 0, 0x40490fdb, s1
	v_cmp_class_f32_e64 s1, v2, 0x204
	v_dual_cndmask_b32 v10, v10, v12, s2 :: v_dual_cndmask_b32 v11, -v11, v11, s0
	v_cmp_class_f32_e64 s2, v3, 0x204
	s_delay_alu instid0(VALU_DEP_2) | instskip(NEXT) | instid1(VALU_DEP_1)
	v_sub_f32_e32 v12, 0x40490fdb, v10
	v_cndmask_b32_e32 v10, v10, v12, vcc_lo
	v_cndmask_b32_e32 v12, 0x3f490fdb, v32, vcc_lo
	v_cmp_eq_f32_e32 vcc_lo, 0, v3
	s_delay_alu instid0(VALU_DEP_3) | instskip(SKIP_1) | instid1(VALU_DEP_1)
	v_cndmask_b32_e64 v10, |v10|, v13, vcc_lo
	s_and_b32 vcc_lo, s1, s2
	v_cndmask_b32_e32 v10, v10, v12, vcc_lo
.LBB49_697:                             ;   in Loop: Header=BB49_418 Depth=1
	s_or_b32 exec_lo, exec_lo, s4
.LBB49_698:                             ;   in Loop: Header=BB49_418 Depth=1
	s_and_not1_saveexec_b32 s0, s15
	s_cbranch_execz .LBB49_712
; %bb.699:                              ;   in Loop: Header=BB49_418 Depth=1
	v_cmp_neq_f32_e64 s1, 0x7f800000, |v2|
                                        ; implicit-def: $vgpr11
	s_and_saveexec_b32 s2, s1
	s_delay_alu instid0(SALU_CYCLE_1)
	s_xor_b32 s1, exec_lo, s2
	s_cbranch_execz .LBB49_709
; %bb.700:                              ;   in Loop: Header=BB49_418 Depth=1
	v_cmp_neq_f32_e64 s2, 0x7f800000, |v3|
	v_xor_b32_e32 v11, 0x80000000, v3
	s_and_saveexec_b32 s3, s2
	s_delay_alu instid0(SALU_CYCLE_1)
	s_xor_b32 s2, exec_lo, s3
	s_cbranch_execz .LBB49_706
; %bb.701:                              ;   in Loop: Header=BB49_418 Depth=1
	s_mov_b32 s3, exec_lo
                                        ; implicit-def: $vgpr11
	v_cmpx_neq_f32_e32 0, v2
	s_xor_b32 s3, exec_lo, s3
; %bb.702:                              ;   in Loop: Header=BB49_418 Depth=1
	v_add_f32_e32 v10, 0, v3
	s_delay_alu instid0(VALU_DEP_1)
	v_add_f32_e32 v11, v2, v10
; %bb.703:                              ;   in Loop: Header=BB49_418 Depth=1
	s_or_saveexec_b32 s3, s3
	s_delay_alu instid0(VALU_DEP_1)
	v_mov_b32_e32 v10, v11
	s_xor_b32 exec_lo, exec_lo, s3
	s_cbranch_execz .LBB49_705
; %bb.704:                              ;   in Loop: Header=BB49_418 Depth=1
	flat_load_b32 v10, v[16:17] scope:SCOPE_SYS
	s_wait_loadcnt_dscnt 0x0
	v_dual_add_f32 v11, v3, v3 :: v_dual_add_f32 v10, 0x3fc90fdb, v10
.LBB49_705:                             ;   in Loop: Header=BB49_418 Depth=1
	s_or_b32 exec_lo, exec_lo, s3
.LBB49_706:                             ;   in Loop: Header=BB49_418 Depth=1
	s_and_not1_saveexec_b32 s2, s2
; %bb.707:                              ;   in Loop: Header=BB49_418 Depth=1
	v_add_f32_e32 v10, v2, v2
; %bb.708:                              ;   in Loop: Header=BB49_418 Depth=1
	s_or_b32 exec_lo, exec_lo, s2
.LBB49_709:                             ;   in Loop: Header=BB49_418 Depth=1
	s_and_not1_saveexec_b32 s1, s1
; %bb.710:                              ;   in Loop: Header=BB49_418 Depth=1
	v_dual_add_f32 v10, v3, v3 :: v_dual_mov_b32 v11, 0xff800000
; %bb.711:                              ;   in Loop: Header=BB49_418 Depth=1
	s_or_b32 exec_lo, exec_lo, s1
.LBB49_712:                             ;   in Loop: Header=BB49_418 Depth=1
	s_delay_alu instid0(SALU_CYCLE_1)
	s_or_b32 exec_lo, exec_lo, s0
	flat_store_b32 v[16:17], v30 scope:SCOPE_SYS
	s_wait_storecnt 0x0
	s_mov_b32 s0, exec_lo
	s_wait_xcnt 0x0
	v_cmpx_o_f32_e32 v4, v5
	s_xor_b32 s15, exec_lo, s0
	s_cbranch_execz .LBB49_796
; %bb.713:                              ;   in Loop: Header=BB49_418 Depth=1
	v_max_num_f32_e64 v2, |v5|, |v5|
	v_max_num_f32_e64 v21, |v4|, |v4|
	v_cmp_gt_i32_e64 s1, 0, v4
	v_cmp_lt_i32_e64 s2, -1, v4
	v_cmp_gt_i32_e64 s0, 0, v5
	s_mov_b32 s3, exec_lo
	v_max_num_f32_e32 v3, v21, v2
	s_delay_alu instid0(VALU_DEP_1)
	v_cmpx_nlt_f32_e32 0x4b000000, v3
	s_xor_b32 s16, exec_lo, s3
	s_cbranch_execz .LBB49_785
; %bb.714:                              ;   in Loop: Header=BB49_418 Depth=1
	v_cmp_neq_f32_e32 vcc_lo, 1.0, v4
	v_cmp_neq_f32_e64 s3, 0, v5
	v_xor_b32_e32 v13, 0x80000000, v5
	s_or_b32 s3, vcc_lo, s3
	s_delay_alu instid0(SALU_CYCLE_1) | instskip(NEXT) | instid1(SALU_CYCLE_1)
	s_and_saveexec_b32 s4, s3
	s_xor_b32 s17, exec_lo, s4
	s_cbranch_execz .LBB49_782
; %bb.715:                              ;   in Loop: Header=BB49_418 Depth=1
	flat_store_b32 v[18:19], v31 scope:SCOPE_SYS
	s_wait_storecnt 0x0
	flat_load_b32 v3, v[18:19] scope:SCOPE_SYS
	s_wait_loadcnt 0x0
	v_cmp_ngt_f32_e64 s3, 0x395db3d7, |v4|
	v_cmp_ngt_f32_e64 s4, 0x395db3d7, |v5|
	v_xor_b32_e32 v13, 0x80000000, v5
	s_or_b32 s3, s3, s4
	s_wait_dscnt 0x0
	v_add_f32_e32 v3, 1.0, v3
	flat_store_b32 v[22:23], v3 scope:SCOPE_SYS
	s_wait_storecnt 0x0
	flat_load_b32 v3, v[22:23] scope:SCOPE_SYS
	s_wait_loadcnt 0x0
	s_wait_xcnt 0x0
	s_and_saveexec_b32 s4, s3
	s_delay_alu instid0(SALU_CYCLE_1)
	s_xor_b32 s18, exec_lo, s4
	s_cbranch_execz .LBB49_779
; %bb.716:                              ;   in Loop: Header=BB49_418 Depth=1
	v_add_f32_e64 v13, |v4|, 1.0
	v_add_f32_e64 v12, |v4|, -1.0
	s_mov_b32 s3, exec_lo
	s_delay_alu instid0(VALU_DEP_2) | instskip(NEXT) | instid1(VALU_DEP_2)
	v_max_num_f32_e32 v21, v2, v13
	v_max_num_f32_e64 v25, v2, |v12|
	s_wait_dscnt 0x0
	s_delay_alu instid0(VALU_DEP_2) | instskip(NEXT) | instid1(VALU_DEP_2)
	v_cvt_f64_f32_e32 v[2:3], v21
	v_cvt_f64_f32_e32 v[28:29], v25
	s_delay_alu instid0(VALU_DEP_2) | instskip(NEXT) | instid1(VALU_DEP_2)
	v_frexp_exp_i32_f64_e32 v2, v[2:3]
	v_frexp_exp_i32_f64_e32 v3, v[28:29]
	s_delay_alu instid0(VALU_DEP_2) | instskip(SKIP_1) | instid1(VALU_DEP_2)
	v_sub_nc_u32_e32 v28, 0, v2
	v_cmp_neq_f32_e32 vcc_lo, 0x7f800000, v21
                                        ; implicit-def: $vgpr21
	v_ldexp_f32 v33, v13, v28
	s_delay_alu instid0(VALU_DEP_4) | instskip(SKIP_1) | instid1(VALU_DEP_3)
	v_sub_nc_u32_e32 v29, 0, v3
	v_ldexp_f32 v28, |v5|, v28
	v_mul_f32_e32 v33, v33, v33
	s_delay_alu instid0(VALU_DEP_3) | instskip(SKIP_1) | instid1(VALU_DEP_2)
	v_ldexp_f32 v34, |v12|, v29
	v_ldexp_f32 v29, |v5|, v29
	v_dual_fmac_f32 v33, v28, v28 :: v_dual_mul_f32 v34, v34, v34
	s_delay_alu instid0(VALU_DEP_1) | instskip(SKIP_1) | instid1(TRANS32_DEP_1)
	v_sqrt_f32_e32 v28, v33
	v_nop
	v_ldexp_f32 v2, v28, v2
	s_delay_alu instid0(VALU_DEP_1) | instskip(NEXT) | instid1(VALU_DEP_1)
	v_dual_fmac_f32 v34, v29, v29 :: v_dual_cndmask_b32 v35, 0x7f800000, v2
	v_sqrt_f32_e32 v29, v34
	v_cmp_neq_f32_e32 vcc_lo, 0x7f800000, v25
	s_delay_alu instid0(TRANS32_DEP_1) | instskip(NEXT) | instid1(VALU_DEP_1)
	v_ldexp_f32 v3, v29, v3
	v_cndmask_b32_e32 v33, 0x7f800000, v3, vcc_lo
	s_delay_alu instid0(VALU_DEP_1) | instskip(NEXT) | instid1(VALU_DEP_1)
	v_add_f32_e32 v2, v35, v33
	v_mul_f32_e32 v2, 0.5, v2
	s_delay_alu instid0(VALU_DEP_1) | instskip(SKIP_1) | instid1(VALU_DEP_1)
	v_cmp_ngt_f32_e32 vcc_lo, 1.0, v2
	v_cndmask_b32_e32 v2, 1.0, v2, vcc_lo
	v_cmpx_ngt_f32_e32 0x41200000, v2
	s_xor_b32 s4, exec_lo, s3
	s_cbranch_execz .LBB49_718
; %bb.717:                              ;   in Loop: Header=BB49_418 Depth=1
	v_fma_f32 v3, v2, v2, -1.0
	s_delay_alu instid0(VALU_DEP_1) | instskip(SKIP_1) | instid1(VALU_DEP_2)
	v_mul_f32_e32 v21, 0x4f800000, v3
	v_cmp_gt_f32_e32 vcc_lo, 0xf800000, v3
	v_cndmask_b32_e32 v3, v3, v21, vcc_lo
	s_delay_alu instid0(VALU_DEP_1) | instskip(SKIP_1) | instid1(TRANS32_DEP_1)
	v_sqrt_f32_e32 v21, v3
	v_nop
	v_dual_add_nc_u32 v25, -1, v21 :: v_dual_add_nc_u32 v28, 1, v21
	s_delay_alu instid0(VALU_DEP_1) | instskip(NEXT) | instid1(VALU_DEP_1)
	v_dual_fma_f32 v29, -v25, v21, v3 :: v_dual_fma_f32 v34, -v28, v21, v3
	v_cmp_ge_f32_e64 s3, 0, v29
	s_delay_alu instid0(VALU_DEP_1) | instskip(NEXT) | instid1(VALU_DEP_3)
	v_cndmask_b32_e64 v21, v21, v25, s3
	v_cmp_lt_f32_e64 s3, 0, v34
	s_delay_alu instid0(VALU_DEP_1) | instskip(NEXT) | instid1(VALU_DEP_1)
	v_cndmask_b32_e64 v21, v21, v28, s3
	v_mul_f32_e32 v25, 0x37800000, v21
	s_delay_alu instid0(VALU_DEP_1) | instskip(SKIP_1) | instid1(VALU_DEP_2)
	v_cndmask_b32_e32 v21, v21, v25, vcc_lo
	v_cmp_class_f32_e64 vcc_lo, v3, 0x260
	v_cndmask_b32_e32 v3, v21, v3, vcc_lo
	s_delay_alu instid0(VALU_DEP_1) | instskip(NEXT) | instid1(VALU_DEP_1)
	v_add_f32_e32 v3, v2, v3
	v_cmp_gt_f32_e32 vcc_lo, 0x800000, v3
	s_delay_alu instid0(VALU_DEP_4) | instskip(NEXT) | instid1(VALU_DEP_1)
	v_cndmask_b32_e64 v21, 0, 32, vcc_lo
	v_ldexp_f32 v3, v3, v21
	s_delay_alu instid0(VALU_DEP_1) | instskip(SKIP_1) | instid1(TRANS32_DEP_1)
	v_log_f32_e32 v3, v3
	v_nop
	v_mul_f32_e32 v21, 0x3f317217, v3
	v_cmp_gt_f32_e64 s3, 0x7f800000, |v3|
	s_delay_alu instid0(VALU_DEP_2) | instskip(NEXT) | instid1(VALU_DEP_1)
	v_fma_f32 v21, 0x3f317217, v3, -v21
	v_fmac_f32_e32 v21, 0x3377d1cf, v3
	s_delay_alu instid0(VALU_DEP_1) | instskip(NEXT) | instid1(VALU_DEP_1)
	v_fmac_f32_e32 v21, 0x3f317217, v3
	v_cndmask_b32_e64 v3, v3, v21, s3
	v_cndmask_b32_e64 v21, 0, 0x41b17218, vcc_lo
	s_delay_alu instid0(VALU_DEP_1)
	v_sub_f32_e32 v21, v3, v21
.LBB49_718:                             ;   in Loop: Header=BB49_418 Depth=1
	s_or_saveexec_b32 s4, s4
	v_and_b32_e32 v34, 0x7fffffff, v5
	s_xor_b32 exec_lo, exec_lo, s4
	s_cbranch_execz .LBB49_740
; %bb.719:                              ;   in Loop: Header=BB49_418 Depth=1
	v_cmp_neq_f32_e64 s3, |v4|, 1.0
	v_cmp_ngt_f32_e64 s19, 0x25000000, |v5|
                                        ; implicit-def: $vgpr21
	s_or_b32 s3, s3, s19
	s_delay_alu instid0(SALU_CYCLE_1) | instskip(NEXT) | instid1(SALU_CYCLE_1)
	s_and_saveexec_b32 s19, s3
	s_xor_b32 s19, exec_lo, s19
	s_cbranch_execz .LBB49_737
; %bb.720:                              ;   in Loop: Header=BB49_418 Depth=1
	v_mul_f32_e64 v3, 0x34000000, |v12|
	s_mov_b32 s20, exec_lo
                                        ; implicit-def: $vgpr21
	s_delay_alu instid0(VALU_DEP_1)
	v_cmpx_ge_f32_e64 |v5|, v3
	s_xor_b32 s20, exec_lo, s20
	s_cbranch_execz .LBB49_730
; %bb.721:                              ;   in Loop: Header=BB49_418 Depth=1
	v_mov_b32_e32 v3, v34
	s_mov_b32 s3, exec_lo
	v_cmpx_neq_f32_e32 0, v13
	s_cbranch_execz .LBB49_723
; %bb.722:                              ;   in Loop: Header=BB49_418 Depth=1
	v_mul_f32_e32 v3, v5, v5
	v_add_f32_e32 v21, v13, v35
	s_delay_alu instid0(VALU_DEP_1) | instskip(NEXT) | instid1(VALU_DEP_1)
	v_div_scale_f32 v25, null, v21, v21, v3
	v_rcp_f32_e32 v28, v25
	v_nop
	s_delay_alu instid0(TRANS32_DEP_1) | instskip(NEXT) | instid1(VALU_DEP_1)
	v_fma_f32 v29, -v25, v28, 1.0
	v_fmac_f32_e32 v28, v29, v28
	v_div_scale_f32 v29, vcc_lo, v3, v21, v3
	s_delay_alu instid0(VALU_DEP_1) | instskip(NEXT) | instid1(VALU_DEP_1)
	v_mul_f32_e32 v36, v29, v28
	v_fma_f32 v37, -v25, v36, v29
	s_delay_alu instid0(VALU_DEP_1) | instskip(NEXT) | instid1(VALU_DEP_1)
	v_fmac_f32_e32 v36, v37, v28
	v_fma_f32 v25, -v25, v36, v29
	s_delay_alu instid0(VALU_DEP_1) | instskip(NEXT) | instid1(VALU_DEP_1)
	v_div_fmas_f32 v25, v25, v28, v36
	v_div_fixup_f32 v3, v25, v21, v3
.LBB49_723:                             ;   in Loop: Header=BB49_418 Depth=1
	s_or_b32 exec_lo, exec_lo, s3
	v_sub_f32_e64 v25, 1.0, |v4|
	s_mov_b32 s3, exec_lo
                                        ; implicit-def: $vgpr21
	s_delay_alu instid0(VALU_DEP_1)
	v_cmpx_ngt_f32_e32 0, v25
	s_xor_b32 s3, exec_lo, s3
	s_cbranch_execz .LBB49_727
; %bb.724:                              ;   in Loop: Header=BB49_418 Depth=1
	v_mov_b32_e32 v21, v34
	s_mov_b32 s21, exec_lo
	v_cmpx_neq_f32_e32 0, v25
	s_cbranch_execz .LBB49_726
; %bb.725:                              ;   in Loop: Header=BB49_418 Depth=1
	v_mul_f32_e32 v21, v5, v5
	v_add_f32_e32 v25, v25, v33
	s_delay_alu instid0(VALU_DEP_1) | instskip(NEXT) | instid1(VALU_DEP_1)
	v_div_scale_f32 v28, null, v25, v25, v21
	v_rcp_f32_e32 v29, v28
	v_nop
	s_delay_alu instid0(TRANS32_DEP_1) | instskip(NEXT) | instid1(VALU_DEP_1)
	v_fma_f32 v36, -v28, v29, 1.0
	v_fmac_f32_e32 v29, v36, v29
	v_div_scale_f32 v36, vcc_lo, v21, v25, v21
	s_delay_alu instid0(VALU_DEP_1) | instskip(NEXT) | instid1(VALU_DEP_1)
	v_mul_f32_e32 v37, v36, v29
	v_fma_f32 v38, -v28, v37, v36
	s_delay_alu instid0(VALU_DEP_1) | instskip(NEXT) | instid1(VALU_DEP_1)
	v_fmac_f32_e32 v37, v38, v29
	v_fma_f32 v28, -v28, v37, v36
	s_delay_alu instid0(VALU_DEP_1) | instskip(NEXT) | instid1(VALU_DEP_1)
	v_div_fmas_f32 v28, v28, v29, v37
	v_div_fixup_f32 v21, v28, v25, v21
.LBB49_726:                             ;   in Loop: Header=BB49_418 Depth=1
	s_or_b32 exec_lo, exec_lo, s21
                                        ; implicit-def: $vgpr25
.LBB49_727:                             ;   in Loop: Header=BB49_418 Depth=1
	s_and_not1_saveexec_b32 s3, s3
; %bb.728:                              ;   in Loop: Header=BB49_418 Depth=1
	v_sub_f32_e32 v21, v33, v25
; %bb.729:                              ;   in Loop: Header=BB49_418 Depth=1
	s_or_b32 exec_lo, exec_lo, s3
	s_delay_alu instid0(VALU_DEP_1) | instskip(NEXT) | instid1(VALU_DEP_1)
	v_dual_mul_f32 v3, 0.5, v3 :: v_dual_mul_f32 v21, 0.5, v21
	v_pk_add_f32 v[28:29], v[2:3], v[20:21]
	s_delay_alu instid0(VALU_DEP_1) | instskip(NEXT) | instid1(VALU_DEP_1)
	v_mul_f32_e32 v3, v28, v29
	v_mul_f32_e32 v21, 0x4f800000, v3
	v_cmp_gt_f32_e32 vcc_lo, 0xf800000, v3
	s_delay_alu instid0(VALU_DEP_2) | instskip(NEXT) | instid1(VALU_DEP_1)
	v_cndmask_b32_e32 v3, v3, v21, vcc_lo
	v_sqrt_f32_e32 v21, v3
	v_nop
	s_delay_alu instid0(TRANS32_DEP_1) | instskip(NEXT) | instid1(VALU_DEP_1)
	v_dual_add_nc_u32 v25, -1, v21 :: v_dual_add_nc_u32 v28, 1, v21
	v_dual_fma_f32 v36, -v25, v21, v3 :: v_dual_fma_f32 v37, -v28, v21, v3
	s_delay_alu instid0(VALU_DEP_1) | instskip(NEXT) | instid1(VALU_DEP_1)
	v_cmp_ge_f32_e64 s3, 0, v36
	v_cndmask_b32_e64 v21, v21, v25, s3
	s_delay_alu instid0(VALU_DEP_3) | instskip(NEXT) | instid1(VALU_DEP_1)
	v_cmp_lt_f32_e64 s3, 0, v37
	v_cndmask_b32_e64 v21, v21, v28, s3
	s_delay_alu instid0(VALU_DEP_1) | instskip(NEXT) | instid1(VALU_DEP_1)
	v_mul_f32_e32 v25, 0x37800000, v21
	v_cndmask_b32_e32 v21, v21, v25, vcc_lo
	v_cmp_class_f32_e64 vcc_lo, v3, 0x260
	s_delay_alu instid0(VALU_DEP_2) | instskip(NEXT) | instid1(VALU_DEP_1)
	v_cndmask_b32_e32 v3, v21, v3, vcc_lo
	v_add_f32_e32 v28, v29, v3
	s_delay_alu instid0(VALU_DEP_1) | instskip(NEXT) | instid1(VALU_DEP_1)
	v_add_f32_e32 v37, 1.0, v28
	v_cvt_f64_f32_e32 v[38:39], v37
	v_frexp_mant_f32_e32 v21, v37
	s_delay_alu instid0(VALU_DEP_1) | instskip(NEXT) | instid1(VALU_DEP_3)
	v_cmp_gt_f32_e32 vcc_lo, 0x3f2aaaab, v21
	v_frexp_exp_i32_f64_e32 v3, v[38:39]
	s_delay_alu instid0(VALU_DEP_1) | instskip(SKIP_2) | instid1(VALU_DEP_2)
	v_subrev_co_ci_u32_e64 v3, null, 0, v3, vcc_lo
	v_add_f32_e32 v29, -1.0, v37
	v_cmp_neq_f32_e32 vcc_lo, 0x7f800000, v28
	v_dual_mov_b32 v36, v29 :: v_dual_sub_nc_u32 v21, 0, v3
	s_delay_alu instid0(VALU_DEP_1) | instskip(NEXT) | instid1(VALU_DEP_2)
	v_ldexp_f32 v25, v37, v21
	v_pk_add_f32 v[38:39], v[28:29], v[36:37] neg_lo:[0,1] neg_hi:[0,1]
	s_delay_alu instid0(VALU_DEP_2) | instskip(NEXT) | instid1(VALU_DEP_1)
	v_dual_add_f32 v36, 1.0, v25 :: v_dual_add_f32 v41, -1.0, v25
	v_dual_add_f32 v29, 1.0, v39 :: v_dual_add_f32 v37, -1.0, v36
	s_delay_alu instid0(VALU_DEP_1) | instskip(NEXT) | instid1(VALU_DEP_1)
	v_add_f32_e32 v29, v38, v29
	v_ldexp_f32 v21, v29, v21
	s_delay_alu instid0(VALU_DEP_3) | instskip(SKIP_1) | instid1(VALU_DEP_1)
	v_sub_f32_e32 v29, v25, v37
	v_add_f32_e32 v37, 1.0, v41
	v_sub_f32_e32 v25, v25, v37
	s_delay_alu instid0(VALU_DEP_3) | instskip(NEXT) | instid1(VALU_DEP_1)
	v_add_f32_e32 v29, v21, v29
	v_add_f32_e32 v42, v36, v29
	s_delay_alu instid0(VALU_DEP_3) | instskip(NEXT) | instid1(VALU_DEP_2)
	v_add_f32_e32 v21, v21, v25
	v_rcp_f32_e32 v25, v42
	s_delay_alu instid0(VALU_DEP_1)
	v_dual_add_f32 v37, v41, v21 :: v_dual_sub_f32 v36, v42, v36
	s_delay_alu instid0(TRANS32_DEP_1) | instid1(VALU_DEP_1)
	v_mul_f32_e32 v43, v37, v25
	s_delay_alu instid0(VALU_DEP_1) | instskip(NEXT) | instid1(VALU_DEP_1)
	v_dual_mul_f32 v38, v42, v43 :: v_dual_sub_f32 v29, v29, v36
	v_fma_f32 v40, v43, v42, -v38
	s_delay_alu instid0(VALU_DEP_1) | instskip(NEXT) | instid1(VALU_DEP_1)
	v_fmac_f32_e32 v40, v43, v29
	v_dual_add_f32 v36, v38, v40 :: v_dual_sub_f32 v44, v37, v41
	s_delay_alu instid0(VALU_DEP_1) | instskip(NEXT) | instid1(VALU_DEP_2)
	v_dual_sub_f32 v39, v37, v36 :: v_dual_mov_b32 v41, v36
	v_sub_f32_e32 v21, v21, v44
	s_delay_alu instid0(VALU_DEP_2) | instskip(NEXT) | instid1(VALU_DEP_1)
	v_pk_add_f32 v[36:37], v[36:37], v[38:39] neg_lo:[0,1] neg_hi:[0,1]
	v_pk_add_f32 v[36:37], v[36:37], v[40:41] neg_lo:[0,1] neg_hi:[0,1]
	s_delay_alu instid0(VALU_DEP_1) | instskip(NEXT) | instid1(VALU_DEP_1)
	v_add_f32_e32 v21, v21, v37
	v_add_f32_e32 v21, v36, v21
	s_delay_alu instid0(VALU_DEP_1) | instskip(NEXT) | instid1(VALU_DEP_1)
	v_add_f32_e32 v37, v39, v21
	v_mul_f32_e32 v44, v25, v37
	s_delay_alu instid0(VALU_DEP_1) | instskip(NEXT) | instid1(VALU_DEP_1)
	v_mul_f32_e32 v40, v42, v44
	v_fma_f32 v38, v44, v42, -v40
	s_delay_alu instid0(VALU_DEP_1) | instskip(NEXT) | instid1(VALU_DEP_1)
	v_fmac_f32_e32 v38, v44, v29
	v_dual_sub_f32 v29, v39, v37 :: v_dual_add_f32 v36, v40, v38
	s_delay_alu instid0(VALU_DEP_1) | instskip(NEXT) | instid1(VALU_DEP_2)
	v_dual_mov_b32 v39, v36 :: v_dual_sub_f32 v41, v37, v36
	v_dual_add_f32 v21, v21, v29 :: v_dual_add_f32 v29, v43, v44
	s_delay_alu instid0(VALU_DEP_2) | instskip(NEXT) | instid1(VALU_DEP_1)
	v_pk_add_f32 v[36:37], v[36:37], v[40:41] neg_lo:[0,1] neg_hi:[0,1]
	v_pk_add_f32 v[36:37], v[36:37], v[38:39] neg_lo:[0,1] neg_hi:[0,1]
	s_delay_alu instid0(VALU_DEP_1) | instskip(NEXT) | instid1(VALU_DEP_1)
	v_add_f32_e32 v21, v21, v37
	v_dual_add_f32 v21, v36, v21 :: v_dual_sub_f32 v36, v29, v43
	s_delay_alu instid0(VALU_DEP_1) | instskip(NEXT) | instid1(VALU_DEP_1)
	v_dual_add_f32 v21, v41, v21 :: v_dual_sub_f32 v36, v44, v36
	v_mul_f32_e32 v21, v25, v21
	s_delay_alu instid0(VALU_DEP_1) | instskip(SKIP_1) | instid1(VALU_DEP_2)
	v_add_f32_e32 v21, v36, v21
	v_cvt_f32_i32_e32 v36, v3
	v_add_f32_e32 v42, v29, v21
	s_delay_alu instid0(VALU_DEP_1) | instskip(SKIP_1) | instid1(VALU_DEP_2)
	v_mul_f32_e32 v25, v42, v42
	v_ldexp_f32 v41, v42, 1
	v_dual_fmaak_f32 v38, s9, v25, 0x3ecc95a3 :: v_dual_mul_f32 v37, v42, v25
	s_delay_alu instid0(VALU_DEP_1) | instskip(NEXT) | instid1(VALU_DEP_1)
	v_fmaak_f32 v25, v25, v38, 0x3f2aaada
	v_pk_mul_f32 v[38:39], v[36:37], v[24:25]
	s_delay_alu instid0(VALU_DEP_1) | instskip(NEXT) | instid1(VALU_DEP_1)
	v_fma_f32 v40, 0x3f317218, v36, -v38
	v_fmac_f32_e32 v40, 0xb102e308, v36
	s_delay_alu instid0(VALU_DEP_1) | instskip(SKIP_1) | instid1(VALU_DEP_2)
	v_pk_add_f32 v[36:37], v[38:39], v[40:41]
	v_sub_f32_e32 v3, v42, v29
	v_dual_mov_b32 v42, v38 :: v_dual_mov_b32 v50, v37
	s_delay_alu instid0(VALU_DEP_2) | instskip(NEXT) | instid1(VALU_DEP_4)
	v_sub_f32_e32 v3, v21, v3
	v_dual_sub_f32 v21, v37, v41 :: v_dual_mov_b32 v41, v36
	s_delay_alu instid0(VALU_DEP_2) | instskip(NEXT) | instid1(VALU_DEP_2)
	v_ldexp_f32 v3, v3, 1
	v_sub_f32_e32 v21, v39, v21
	v_pk_add_f32 v[38:39], v[36:37], v[38:39] neg_lo:[0,1] neg_hi:[0,1]
	s_delay_alu instid0(VALU_DEP_2) | instskip(NEXT) | instid1(VALU_DEP_1)
	v_add_f32_e32 v43, v3, v21
	v_pk_add_f32 v[44:45], v[36:37], v[42:43]
	s_delay_alu instid0(VALU_DEP_1) | instskip(NEXT) | instid1(VALU_DEP_1)
	v_mov_b32_e32 v39, v45
	v_pk_add_f32 v[46:47], v[40:41], v[38:39]
	v_pk_add_f32 v[38:39], v[40:41], v[38:39] neg_lo:[0,1] neg_hi:[0,1]
	s_delay_alu instid0(VALU_DEP_2) | instskip(NEXT) | instid1(VALU_DEP_1)
	v_dual_mov_b32 v42, v47 :: v_dual_mov_b32 v39, v47
	v_pk_add_f32 v[48:49], v[42:43], v[36:37] neg_lo:[0,1] neg_hi:[0,1]
	v_dual_mov_b32 v46, v45 :: v_dual_mov_b32 v37, v36
	s_delay_alu instid0(VALU_DEP_2) | instskip(SKIP_1) | instid1(VALU_DEP_2)
	v_dual_mov_b32 v36, v43 :: v_dual_mov_b32 v51, v48
	v_mov_b32_e32 v3, v48
	v_pk_add_f32 v[48:49], v[46:47], v[50:51] neg_lo:[0,1] neg_hi:[0,1]
	s_delay_alu instid0(VALU_DEP_2) | instskip(SKIP_1) | instid1(VALU_DEP_3)
	v_pk_add_f32 v[40:41], v[44:45], v[2:3] neg_lo:[0,1] neg_hi:[0,1]
	v_mov_b32_e32 v40, v38
	v_pk_add_f32 v[36:37], v[36:37], v[48:49] neg_lo:[0,1] neg_hi:[0,1]
	s_delay_alu instid0(VALU_DEP_1) | instskip(NEXT) | instid1(VALU_DEP_1)
	v_pk_add_f32 v[40:41], v[40:41], v[36:37]
	v_mov_b32_e32 v44, v41
	s_delay_alu instid0(VALU_DEP_1) | instskip(NEXT) | instid1(VALU_DEP_1)
	v_pk_add_f32 v[44:45], v[40:41], v[44:45]
	v_pk_add_f32 v[42:43], v[42:43], v[44:45]
	s_delay_alu instid0(VALU_DEP_1) | instskip(NEXT) | instid1(VALU_DEP_1)
	v_dual_mov_b32 v37, v44 :: v_dual_mov_b32 v41, v42
	v_pk_add_f32 v[46:47], v[40:41], v[38:39] neg_lo:[0,1] neg_hi:[0,1]
	s_delay_alu instid0(VALU_DEP_1) | instskip(NEXT) | instid1(VALU_DEP_2)
	v_sub_f32_e32 v3, v40, v46
	v_pk_add_f32 v[36:37], v[36:37], v[46:47] neg_lo:[0,1] neg_hi:[0,1]
	s_delay_alu instid0(VALU_DEP_2) | instskip(NEXT) | instid1(VALU_DEP_1)
	v_sub_f32_e32 v3, v38, v3
	v_add_f32_e32 v3, v36, v3
	s_delay_alu instid0(VALU_DEP_1) | instskip(NEXT) | instid1(VALU_DEP_1)
	v_add_f32_e32 v3, v3, v37
	v_add_f32_e32 v3, v42, v3
	s_delay_alu instid0(VALU_DEP_1) | instskip(SKIP_1) | instid1(VALU_DEP_2)
	v_cndmask_b32_e32 v3, 0x7f800000, v3, vcc_lo
	v_cmp_ngt_f32_e32 vcc_lo, -1.0, v28
	v_cndmask_b32_e32 v3, 0x7fc00000, v3, vcc_lo
	v_cmp_neq_f32_e32 vcc_lo, -1.0, v28
	s_delay_alu instid0(VALU_DEP_2) | instskip(SKIP_1) | instid1(VALU_DEP_2)
	v_cndmask_b32_e32 v3, 0xff800000, v3, vcc_lo
	v_cmp_gt_f32_e64 vcc_lo, 0x33800000, |v28|
	v_cndmask_b32_e32 v21, v3, v28, vcc_lo
.LBB49_730:                             ;   in Loop: Header=BB49_418 Depth=1
	s_and_not1_saveexec_b32 s20, s20
	s_cbranch_execz .LBB49_736
; %bb.731:                              ;   in Loop: Header=BB49_418 Depth=1
	s_mov_b32 s21, exec_lo
                                        ; implicit-def: $vgpr21
	v_cmpx_nlt_f32_e64 |v4|, 1.0
	s_xor_b32 s21, exec_lo, s21
	s_cbranch_execz .LBB49_733
; %bb.732:                              ;   in Loop: Header=BB49_418 Depth=1
	v_mul_f32_e32 v3, v12, v13
	s_delay_alu instid0(VALU_DEP_1) | instskip(SKIP_1) | instid1(VALU_DEP_2)
	v_mul_f32_e32 v21, 0x4f800000, v3
	v_cmp_gt_f32_e32 vcc_lo, 0xf800000, v3
	v_cndmask_b32_e32 v3, v3, v21, vcc_lo
	s_delay_alu instid0(VALU_DEP_1) | instskip(SKIP_1) | instid1(TRANS32_DEP_1)
	v_sqrt_f32_e32 v21, v3
	v_nop
	v_dual_add_nc_u32 v25, -1, v21 :: v_dual_add_nc_u32 v28, 1, v21
	s_delay_alu instid0(VALU_DEP_1) | instskip(NEXT) | instid1(VALU_DEP_1)
	v_dual_fma_f32 v29, -v25, v21, v3 :: v_dual_fma_f32 v36, -v28, v21, v3
	v_cmp_ge_f32_e64 s3, 0, v29
	s_delay_alu instid0(VALU_DEP_1) | instskip(NEXT) | instid1(VALU_DEP_3)
	v_cndmask_b32_e64 v21, v21, v25, s3
	v_cmp_lt_f32_e64 s3, 0, v36
	s_delay_alu instid0(VALU_DEP_1) | instskip(NEXT) | instid1(VALU_DEP_1)
	v_cndmask_b32_e64 v21, v21, v28, s3
	v_mul_f32_e32 v25, 0x37800000, v21
	s_delay_alu instid0(VALU_DEP_1) | instskip(SKIP_1) | instid1(VALU_DEP_2)
	v_cndmask_b32_e32 v21, v21, v25, vcc_lo
	v_cmp_class_f32_e64 vcc_lo, v3, 0x260
	v_cndmask_b32_e32 v3, v21, v3, vcc_lo
	s_delay_alu instid0(VALU_DEP_1) | instskip(NEXT) | instid1(VALU_DEP_1)
	v_add_f32_e32 v28, v12, v3
	v_add_f32_e32 v37, 1.0, v28
	s_delay_alu instid0(VALU_DEP_1) | instskip(SKIP_1) | instid1(VALU_DEP_1)
	v_cvt_f64_f32_e32 v[38:39], v37
	v_frexp_mant_f32_e32 v21, v37
	v_cmp_gt_f32_e32 vcc_lo, 0x3f2aaaab, v21
	s_delay_alu instid0(VALU_DEP_3) | instskip(NEXT) | instid1(VALU_DEP_1)
	v_frexp_exp_i32_f64_e32 v3, v[38:39]
	v_subrev_co_ci_u32_e64 v3, null, 0, v3, vcc_lo
	v_add_f32_e32 v29, -1.0, v37
	v_cmp_neq_f32_e32 vcc_lo, 0x7f800000, v28
	s_delay_alu instid0(VALU_DEP_2) | instskip(NEXT) | instid1(VALU_DEP_1)
	v_dual_mov_b32 v36, v29 :: v_dual_sub_nc_u32 v21, 0, v3
	v_ldexp_f32 v25, v37, v21
	s_delay_alu instid0(VALU_DEP_2) | instskip(NEXT) | instid1(VALU_DEP_2)
	v_pk_add_f32 v[38:39], v[28:29], v[36:37] neg_lo:[0,1] neg_hi:[0,1]
	v_dual_add_f32 v36, 1.0, v25 :: v_dual_add_f32 v41, -1.0, v25
	s_delay_alu instid0(VALU_DEP_1) | instskip(NEXT) | instid1(VALU_DEP_1)
	v_dual_add_f32 v29, 1.0, v39 :: v_dual_add_f32 v37, -1.0, v36
	v_add_f32_e32 v29, v38, v29
	s_delay_alu instid0(VALU_DEP_1) | instskip(NEXT) | instid1(VALU_DEP_3)
	v_ldexp_f32 v21, v29, v21
	v_sub_f32_e32 v29, v25, v37
	v_add_f32_e32 v37, 1.0, v41
	s_delay_alu instid0(VALU_DEP_1) | instskip(NEXT) | instid1(VALU_DEP_3)
	v_sub_f32_e32 v25, v25, v37
	v_add_f32_e32 v29, v21, v29
	s_delay_alu instid0(VALU_DEP_1) | instskip(NEXT) | instid1(VALU_DEP_3)
	v_add_f32_e32 v42, v36, v29
	v_add_f32_e32 v21, v21, v25
	s_delay_alu instid0(VALU_DEP_2) | instskip(NEXT) | instid1(VALU_DEP_1)
	v_rcp_f32_e32 v25, v42
	v_dual_add_f32 v37, v41, v21 :: v_dual_sub_f32 v36, v42, v36
	s_delay_alu instid0(TRANS32_DEP_1) | instid1(VALU_DEP_1)
	v_mul_f32_e32 v43, v37, v25
	s_delay_alu instid0(VALU_DEP_1) | instskip(NEXT) | instid1(VALU_DEP_1)
	v_dual_mul_f32 v38, v42, v43 :: v_dual_sub_f32 v29, v29, v36
	v_fma_f32 v40, v43, v42, -v38
	s_delay_alu instid0(VALU_DEP_1) | instskip(NEXT) | instid1(VALU_DEP_1)
	v_fmac_f32_e32 v40, v43, v29
	v_dual_add_f32 v36, v38, v40 :: v_dual_sub_f32 v44, v37, v41
	s_delay_alu instid0(VALU_DEP_1) | instskip(NEXT) | instid1(VALU_DEP_2)
	v_dual_sub_f32 v39, v37, v36 :: v_dual_mov_b32 v41, v36
	v_sub_f32_e32 v21, v21, v44
	s_delay_alu instid0(VALU_DEP_2) | instskip(NEXT) | instid1(VALU_DEP_1)
	v_pk_add_f32 v[36:37], v[36:37], v[38:39] neg_lo:[0,1] neg_hi:[0,1]
	v_pk_add_f32 v[36:37], v[36:37], v[40:41] neg_lo:[0,1] neg_hi:[0,1]
	s_delay_alu instid0(VALU_DEP_1) | instskip(NEXT) | instid1(VALU_DEP_1)
	v_add_f32_e32 v21, v21, v37
	v_add_f32_e32 v21, v36, v21
	s_delay_alu instid0(VALU_DEP_1) | instskip(NEXT) | instid1(VALU_DEP_1)
	v_add_f32_e32 v37, v39, v21
	v_mul_f32_e32 v44, v25, v37
	s_delay_alu instid0(VALU_DEP_1) | instskip(NEXT) | instid1(VALU_DEP_1)
	v_mul_f32_e32 v40, v42, v44
	v_fma_f32 v38, v44, v42, -v40
	s_delay_alu instid0(VALU_DEP_1) | instskip(NEXT) | instid1(VALU_DEP_1)
	v_fmac_f32_e32 v38, v44, v29
	v_dual_sub_f32 v29, v39, v37 :: v_dual_add_f32 v36, v40, v38
	s_delay_alu instid0(VALU_DEP_1) | instskip(NEXT) | instid1(VALU_DEP_2)
	v_dual_mov_b32 v39, v36 :: v_dual_sub_f32 v41, v37, v36
	v_dual_add_f32 v21, v21, v29 :: v_dual_add_f32 v29, v43, v44
	s_delay_alu instid0(VALU_DEP_2) | instskip(NEXT) | instid1(VALU_DEP_1)
	v_pk_add_f32 v[36:37], v[36:37], v[40:41] neg_lo:[0,1] neg_hi:[0,1]
	v_pk_add_f32 v[36:37], v[36:37], v[38:39] neg_lo:[0,1] neg_hi:[0,1]
	s_delay_alu instid0(VALU_DEP_1) | instskip(NEXT) | instid1(VALU_DEP_1)
	v_add_f32_e32 v21, v21, v37
	v_dual_add_f32 v21, v36, v21 :: v_dual_sub_f32 v36, v29, v43
	s_delay_alu instid0(VALU_DEP_1) | instskip(NEXT) | instid1(VALU_DEP_1)
	v_dual_add_f32 v21, v41, v21 :: v_dual_sub_f32 v36, v44, v36
	v_mul_f32_e32 v21, v25, v21
	s_delay_alu instid0(VALU_DEP_1) | instskip(SKIP_1) | instid1(VALU_DEP_2)
	v_add_f32_e32 v21, v36, v21
	v_cvt_f32_i32_e32 v36, v3
	v_add_f32_e32 v42, v29, v21
	s_delay_alu instid0(VALU_DEP_1) | instskip(SKIP_1) | instid1(VALU_DEP_2)
	v_mul_f32_e32 v25, v42, v42
	v_ldexp_f32 v41, v42, 1
	v_dual_fmaak_f32 v38, s9, v25, 0x3ecc95a3 :: v_dual_mul_f32 v37, v42, v25
	s_delay_alu instid0(VALU_DEP_1) | instskip(NEXT) | instid1(VALU_DEP_1)
	v_fmaak_f32 v25, v25, v38, 0x3f2aaada
	v_pk_mul_f32 v[38:39], v[36:37], v[24:25]
	s_delay_alu instid0(VALU_DEP_1) | instskip(NEXT) | instid1(VALU_DEP_1)
	v_fma_f32 v40, 0x3f317218, v36, -v38
	v_fmac_f32_e32 v40, 0xb102e308, v36
	s_delay_alu instid0(VALU_DEP_1) | instskip(SKIP_1) | instid1(VALU_DEP_2)
	v_pk_add_f32 v[36:37], v[38:39], v[40:41]
	v_sub_f32_e32 v3, v42, v29
	v_dual_mov_b32 v42, v38 :: v_dual_mov_b32 v50, v37
	s_delay_alu instid0(VALU_DEP_2) | instskip(NEXT) | instid1(VALU_DEP_4)
	v_sub_f32_e32 v3, v21, v3
	v_dual_sub_f32 v21, v37, v41 :: v_dual_mov_b32 v41, v36
	s_delay_alu instid0(VALU_DEP_2) | instskip(NEXT) | instid1(VALU_DEP_2)
	v_ldexp_f32 v3, v3, 1
	v_sub_f32_e32 v21, v39, v21
	v_pk_add_f32 v[38:39], v[36:37], v[38:39] neg_lo:[0,1] neg_hi:[0,1]
	s_delay_alu instid0(VALU_DEP_2) | instskip(NEXT) | instid1(VALU_DEP_1)
	v_add_f32_e32 v43, v3, v21
	v_pk_add_f32 v[44:45], v[36:37], v[42:43]
	s_delay_alu instid0(VALU_DEP_1) | instskip(NEXT) | instid1(VALU_DEP_1)
	v_mov_b32_e32 v39, v45
	v_pk_add_f32 v[46:47], v[40:41], v[38:39]
	v_pk_add_f32 v[38:39], v[40:41], v[38:39] neg_lo:[0,1] neg_hi:[0,1]
	s_delay_alu instid0(VALU_DEP_2) | instskip(NEXT) | instid1(VALU_DEP_1)
	v_dual_mov_b32 v42, v47 :: v_dual_mov_b32 v39, v47
	v_pk_add_f32 v[48:49], v[42:43], v[36:37] neg_lo:[0,1] neg_hi:[0,1]
	v_dual_mov_b32 v46, v45 :: v_dual_mov_b32 v37, v36
	s_delay_alu instid0(VALU_DEP_2) | instskip(SKIP_1) | instid1(VALU_DEP_2)
	v_dual_mov_b32 v36, v43 :: v_dual_mov_b32 v51, v48
	v_mov_b32_e32 v3, v48
	v_pk_add_f32 v[48:49], v[46:47], v[50:51] neg_lo:[0,1] neg_hi:[0,1]
	s_delay_alu instid0(VALU_DEP_2) | instskip(SKIP_1) | instid1(VALU_DEP_3)
	v_pk_add_f32 v[40:41], v[44:45], v[2:3] neg_lo:[0,1] neg_hi:[0,1]
	v_mov_b32_e32 v40, v38
	v_pk_add_f32 v[36:37], v[36:37], v[48:49] neg_lo:[0,1] neg_hi:[0,1]
	s_delay_alu instid0(VALU_DEP_1) | instskip(NEXT) | instid1(VALU_DEP_1)
	v_pk_add_f32 v[40:41], v[40:41], v[36:37]
	v_mov_b32_e32 v44, v41
	s_delay_alu instid0(VALU_DEP_1) | instskip(NEXT) | instid1(VALU_DEP_1)
	v_pk_add_f32 v[44:45], v[40:41], v[44:45]
	v_pk_add_f32 v[42:43], v[42:43], v[44:45]
	s_delay_alu instid0(VALU_DEP_1) | instskip(NEXT) | instid1(VALU_DEP_1)
	v_dual_mov_b32 v37, v44 :: v_dual_mov_b32 v41, v42
	v_pk_add_f32 v[46:47], v[40:41], v[38:39] neg_lo:[0,1] neg_hi:[0,1]
	s_delay_alu instid0(VALU_DEP_1) | instskip(NEXT) | instid1(VALU_DEP_2)
	v_sub_f32_e32 v3, v40, v46
	v_pk_add_f32 v[36:37], v[36:37], v[46:47] neg_lo:[0,1] neg_hi:[0,1]
	s_delay_alu instid0(VALU_DEP_2) | instskip(NEXT) | instid1(VALU_DEP_1)
	v_sub_f32_e32 v3, v38, v3
	v_add_f32_e32 v3, v36, v3
	s_delay_alu instid0(VALU_DEP_1) | instskip(NEXT) | instid1(VALU_DEP_1)
	v_add_f32_e32 v3, v3, v37
	v_add_f32_e32 v3, v42, v3
	s_delay_alu instid0(VALU_DEP_1) | instskip(SKIP_1) | instid1(VALU_DEP_2)
	v_cndmask_b32_e32 v3, 0x7f800000, v3, vcc_lo
	v_cmp_ngt_f32_e32 vcc_lo, -1.0, v28
	v_cndmask_b32_e32 v3, 0x7fc00000, v3, vcc_lo
	v_cmp_neq_f32_e32 vcc_lo, -1.0, v28
	s_delay_alu instid0(VALU_DEP_2) | instskip(SKIP_1) | instid1(VALU_DEP_2)
	v_cndmask_b32_e32 v3, 0xff800000, v3, vcc_lo
	v_cmp_gt_f32_e64 vcc_lo, 0x33800000, |v28|
	v_cndmask_b32_e32 v21, v3, v28, vcc_lo
.LBB49_733:                             ;   in Loop: Header=BB49_418 Depth=1
	s_and_not1_saveexec_b32 s21, s21
	s_cbranch_execz .LBB49_735
; %bb.734:                              ;   in Loop: Header=BB49_418 Depth=1
	v_sub_f32_e64 v3, 1.0, |v4|
	s_delay_alu instid0(VALU_DEP_1) | instskip(NEXT) | instid1(VALU_DEP_1)
	v_mul_f32_e32 v3, v3, v13
	v_mul_f32_e32 v21, 0x4f800000, v3
	v_cmp_gt_f32_e32 vcc_lo, 0xf800000, v3
	s_delay_alu instid0(VALU_DEP_2) | instskip(NEXT) | instid1(VALU_DEP_1)
	v_cndmask_b32_e32 v3, v3, v21, vcc_lo
	v_sqrt_f32_e32 v21, v3
	v_nop
	s_delay_alu instid0(TRANS32_DEP_1) | instskip(NEXT) | instid1(VALU_DEP_1)
	v_dual_add_nc_u32 v25, -1, v21 :: v_dual_add_nc_u32 v28, 1, v21
	v_dual_fma_f32 v29, -v25, v21, v3 :: v_dual_fma_f32 v36, -v28, v21, v3
	s_delay_alu instid0(VALU_DEP_1) | instskip(NEXT) | instid1(VALU_DEP_1)
	v_cmp_ge_f32_e64 s3, 0, v29
	v_cndmask_b32_e64 v21, v21, v25, s3
	s_delay_alu instid0(VALU_DEP_3) | instskip(NEXT) | instid1(VALU_DEP_1)
	v_cmp_lt_f32_e64 s3, 0, v36
	v_cndmask_b32_e64 v21, v21, v28, s3
	s_delay_alu instid0(VALU_DEP_1) | instskip(NEXT) | instid1(VALU_DEP_1)
	v_mul_f32_e32 v25, 0x37800000, v21
	v_cndmask_b32_e32 v21, v21, v25, vcc_lo
	v_cmp_class_f32_e64 vcc_lo, v3, 0x260
	v_and_b32_e32 v25, 0x7fffffff, v5
	s_delay_alu instid0(VALU_DEP_3) | instskip(NEXT) | instid1(VALU_DEP_1)
	v_cndmask_b32_e32 v3, v21, v3, vcc_lo
	v_div_scale_f32 v21, null, v3, v3, v25
	v_div_scale_f32 v25, vcc_lo, v25, v3, v25
	s_delay_alu instid0(VALU_DEP_2) | instskip(SKIP_1) | instid1(TRANS32_DEP_1)
	v_rcp_f32_e32 v28, v21
	v_nop
	v_fma_f32 v29, -v21, v28, 1.0
	s_delay_alu instid0(VALU_DEP_1) | instskip(NEXT) | instid1(VALU_DEP_1)
	v_fmac_f32_e32 v28, v29, v28
	v_mul_f32_e32 v29, v25, v28
	s_delay_alu instid0(VALU_DEP_1) | instskip(NEXT) | instid1(VALU_DEP_1)
	v_fma_f32 v36, -v21, v29, v25
	v_fmac_f32_e32 v29, v36, v28
	s_delay_alu instid0(VALU_DEP_1) | instskip(NEXT) | instid1(VALU_DEP_1)
	v_fma_f32 v21, -v21, v29, v25
	v_div_fmas_f32 v21, v21, v28, v29
	s_delay_alu instid0(VALU_DEP_1)
	v_div_fixup_f32 v21, v21, v3, |v5|
.LBB49_735:                             ;   in Loop: Header=BB49_418 Depth=1
	s_or_b32 exec_lo, exec_lo, s21
.LBB49_736:                             ;   in Loop: Header=BB49_418 Depth=1
	s_delay_alu instid0(SALU_CYCLE_1)
	s_or_b32 exec_lo, exec_lo, s20
.LBB49_737:                             ;   in Loop: Header=BB49_418 Depth=1
	s_and_not1_saveexec_b32 s19, s19
	s_cbranch_execz .LBB49_739
; %bb.738:                              ;   in Loop: Header=BB49_418 Depth=1
	v_mul_f32_e64 v3, 0x4f800000, |v5|
	v_cmp_gt_f32_e64 vcc_lo, 0xf800000, |v5|
	s_delay_alu instid0(VALU_DEP_1) | instskip(NEXT) | instid1(VALU_DEP_1)
	v_cndmask_b32_e64 v3, |v5|, v3, vcc_lo
	v_sqrt_f32_e32 v21, v3
	v_nop
	s_delay_alu instid0(TRANS32_DEP_1) | instskip(NEXT) | instid1(VALU_DEP_1)
	v_dual_add_nc_u32 v25, -1, v21 :: v_dual_add_nc_u32 v28, 1, v21
	v_dual_fma_f32 v29, -v25, v21, v3 :: v_dual_fma_f32 v36, -v28, v21, v3
	s_delay_alu instid0(VALU_DEP_1) | instskip(NEXT) | instid1(VALU_DEP_1)
	v_cmp_ge_f32_e64 s3, 0, v29
	v_cndmask_b32_e64 v21, v21, v25, s3
	s_delay_alu instid0(VALU_DEP_3) | instskip(NEXT) | instid1(VALU_DEP_1)
	v_cmp_lt_f32_e64 s3, 0, v36
	v_cndmask_b32_e64 v21, v21, v28, s3
	s_delay_alu instid0(VALU_DEP_1) | instskip(NEXT) | instid1(VALU_DEP_1)
	v_mul_f32_e32 v25, 0x37800000, v21
	v_cndmask_b32_e32 v21, v21, v25, vcc_lo
	v_cmp_class_f32_e64 vcc_lo, v3, 0x260
	s_delay_alu instid0(VALU_DEP_2)
	v_cndmask_b32_e32 v21, v21, v3, vcc_lo
.LBB49_739:                             ;   in Loop: Header=BB49_418 Depth=1
	s_or_b32 exec_lo, exec_lo, s19
.LBB49_740:                             ;   in Loop: Header=BB49_418 Depth=1
	s_delay_alu instid0(SALU_CYCLE_1) | instskip(NEXT) | instid1(SALU_CYCLE_1)
	s_or_b32 exec_lo, exec_lo, s4
	s_mov_b32 s19, exec_lo
                                        ; implicit-def: $sgpr3
                                        ; implicit-def: $vgpr29
                                        ; implicit-def: $vgpr25
	v_cmpx_ngt_f32_e64 0x21000000, |v4|
	s_xor_b32 s19, exec_lo, s19
	s_cbranch_execz .LBB49_764
; %bb.741:                              ;   in Loop: Header=BB49_418 Depth=1
	v_and_b32_e32 v28, 0x7fffffff, v4
	s_mov_b32 s3, 0
	s_mov_b32 s20, exec_lo
	s_delay_alu instid0(VALU_DEP_1) | instskip(NEXT) | instid1(VALU_DEP_1)
	v_div_scale_f32 v3, null, v2, v2, v28
	v_rcp_f32_e32 v25, v3
	v_nop
	s_delay_alu instid0(TRANS32_DEP_1) | instskip(NEXT) | instid1(VALU_DEP_1)
	v_fma_f32 v29, -v3, v25, 1.0
	v_fmac_f32_e32 v25, v29, v25
	v_div_scale_f32 v29, vcc_lo, v28, v2, v28
	s_delay_alu instid0(VALU_DEP_1) | instskip(NEXT) | instid1(VALU_DEP_1)
	v_mul_f32_e32 v36, v29, v25
	v_fma_f32 v37, -v3, v36, v29
	s_delay_alu instid0(VALU_DEP_1) | instskip(NEXT) | instid1(VALU_DEP_1)
	v_fmac_f32_e32 v36, v37, v25
	v_fma_f32 v3, -v3, v36, v29
	s_delay_alu instid0(VALU_DEP_1) | instskip(NEXT) | instid1(VALU_DEP_1)
	v_div_fmas_f32 v3, v3, v25, v36
	v_div_fixup_f32 v25, v3, v2, |v4|
	s_delay_alu instid0(VALU_DEP_1)
	v_cmpx_lt_f32_e32 0x3f244674, v25
	s_cbranch_execz .LBB49_763
; %bb.742:                              ;   in Loop: Header=BB49_418 Depth=1
	v_cmp_neq_f32_e64 s3, |v4|, 1.0
	v_cmp_ngt_f32_e64 s4, 0x30800000, |v5|
	s_or_b32 s3, s3, s4
	s_delay_alu instid0(SALU_CYCLE_1) | instskip(NEXT) | instid1(SALU_CYCLE_1)
	s_and_saveexec_b32 s4, s3
	s_xor_b32 s4, exec_lo, s4
	s_cbranch_execz .LBB49_760
; %bb.743:                              ;   in Loop: Header=BB49_418 Depth=1
	v_mul_f32_e64 v3, 0x34000000, |v12|
	s_mov_b32 s21, exec_lo
	s_delay_alu instid0(VALU_DEP_1)
	v_cmpx_ge_f32_e64 |v5|, v3
	s_xor_b32 s21, exec_lo, s21
	s_cbranch_execz .LBB49_753
; %bb.744:                              ;   in Loop: Header=BB49_418 Depth=1
	v_mov_b32_e32 v3, v34
	s_mov_b32 s3, exec_lo
	v_cmpx_neq_f32_e32 0, v13
	s_cbranch_execz .LBB49_746
; %bb.745:                              ;   in Loop: Header=BB49_418 Depth=1
	v_mul_f32_e32 v3, v5, v5
	v_add_f32_e32 v13, v13, v35
	s_delay_alu instid0(VALU_DEP_1) | instskip(NEXT) | instid1(VALU_DEP_1)
	v_div_scale_f32 v29, null, v13, v13, v3
	v_rcp_f32_e32 v35, v29
	v_nop
	s_delay_alu instid0(TRANS32_DEP_1) | instskip(NEXT) | instid1(VALU_DEP_1)
	v_fma_f32 v36, -v29, v35, 1.0
	v_fmac_f32_e32 v35, v36, v35
	v_div_scale_f32 v36, vcc_lo, v3, v13, v3
	s_delay_alu instid0(VALU_DEP_1) | instskip(NEXT) | instid1(VALU_DEP_1)
	v_mul_f32_e32 v37, v36, v35
	v_fma_f32 v38, -v29, v37, v36
	s_delay_alu instid0(VALU_DEP_1) | instskip(NEXT) | instid1(VALU_DEP_1)
	v_fmac_f32_e32 v37, v38, v35
	v_fma_f32 v29, -v29, v37, v36
	s_delay_alu instid0(VALU_DEP_1) | instskip(NEXT) | instid1(VALU_DEP_1)
	v_div_fmas_f32 v29, v29, v35, v37
	v_div_fixup_f32 v3, v29, v13, v3
.LBB49_746:                             ;   in Loop: Header=BB49_418 Depth=1
	s_or_b32 exec_lo, exec_lo, s3
	s_delay_alu instid0(SALU_CYCLE_1)
	s_mov_b32 s3, exec_lo
	v_cmpx_ngt_f32_e32 0, v12
	s_xor_b32 s3, exec_lo, s3
	s_cbranch_execz .LBB49_750
; %bb.747:                              ;   in Loop: Header=BB49_418 Depth=1
	s_mov_b32 s22, exec_lo
	v_cmpx_neq_f32_e32 0, v12
	s_cbranch_execz .LBB49_749
; %bb.748:                              ;   in Loop: Header=BB49_418 Depth=1
	v_mul_f32_e32 v5, v5, v5
	v_add_f32_e32 v12, v12, v33
	s_delay_alu instid0(VALU_DEP_1) | instskip(NEXT) | instid1(VALU_DEP_1)
	v_div_scale_f32 v13, null, v12, v12, v5
	v_rcp_f32_e32 v29, v13
	v_nop
	s_delay_alu instid0(TRANS32_DEP_1) | instskip(NEXT) | instid1(VALU_DEP_1)
	v_fma_f32 v33, -v13, v29, 1.0
	v_fmac_f32_e32 v29, v33, v29
	v_div_scale_f32 v33, vcc_lo, v5, v12, v5
	s_delay_alu instid0(VALU_DEP_1) | instskip(NEXT) | instid1(VALU_DEP_1)
	v_mul_f32_e32 v34, v33, v29
	v_fma_f32 v35, -v13, v34, v33
	s_delay_alu instid0(VALU_DEP_1) | instskip(NEXT) | instid1(VALU_DEP_1)
	v_fmac_f32_e32 v34, v35, v29
	v_fma_f32 v13, -v13, v34, v33
	s_delay_alu instid0(VALU_DEP_1) | instskip(NEXT) | instid1(VALU_DEP_1)
	v_div_fmas_f32 v13, v13, v29, v34
	v_div_fixup_f32 v34, v13, v12, v5
.LBB49_749:                             ;   in Loop: Header=BB49_418 Depth=1
	s_or_b32 exec_lo, exec_lo, s22
                                        ; implicit-def: $vgpr33
                                        ; implicit-def: $vgpr12
.LBB49_750:                             ;   in Loop: Header=BB49_418 Depth=1
	s_and_not1_saveexec_b32 s3, s3
; %bb.751:                              ;   in Loop: Header=BB49_418 Depth=1
	v_sub_f32_e32 v34, v33, v12
; %bb.752:                              ;   in Loop: Header=BB49_418 Depth=1
	s_or_b32 exec_lo, exec_lo, s3
	s_delay_alu instid0(VALU_DEP_1) | instskip(SKIP_1) | instid1(VALU_DEP_1)
	v_dual_mul_f32 v5, 0.5, v3 :: v_dual_mul_f32 v3, 0.5, v34
	v_and_b32_e32 v4, 0x7fffffff, v4
	v_pk_add_f32 v[2:3], v[4:5], v[2:3]
	s_delay_alu instid0(VALU_DEP_1) | instskip(NEXT) | instid1(VALU_DEP_1)
	v_mul_f32_e32 v2, v2, v3
	v_mul_f32_e32 v3, 0x4f800000, v2
	v_cmp_gt_f32_e32 vcc_lo, 0xf800000, v2
	s_delay_alu instid0(VALU_DEP_2) | instskip(NEXT) | instid1(VALU_DEP_1)
	v_cndmask_b32_e32 v2, v2, v3, vcc_lo
	v_sqrt_f32_e32 v3, v2
	v_nop
	s_delay_alu instid0(TRANS32_DEP_1) | instskip(NEXT) | instid1(VALU_DEP_1)
	v_dual_add_nc_u32 v4, -1, v3 :: v_dual_add_nc_u32 v5, 1, v3
	v_dual_fma_f32 v12, -v4, v3, v2 :: v_dual_fma_f32 v13, -v5, v3, v2
	s_delay_alu instid0(VALU_DEP_1) | instskip(NEXT) | instid1(VALU_DEP_1)
	v_cmp_ge_f32_e64 s3, 0, v12
                                        ; implicit-def: $vgpr12
	v_cndmask_b32_e64 v3, v3, v4, s3
	s_delay_alu instid0(VALU_DEP_3) | instskip(NEXT) | instid1(VALU_DEP_1)
	v_cmp_lt_f32_e64 s3, 0, v13
                                        ; implicit-def: $vgpr13
	v_cndmask_b32_e64 v3, v3, v5, s3
	s_delay_alu instid0(VALU_DEP_1) | instskip(NEXT) | instid1(VALU_DEP_1)
	v_mul_f32_e32 v4, 0x37800000, v3
	v_cndmask_b32_e32 v3, v3, v4, vcc_lo
	v_cmp_class_f32_e64 vcc_lo, v2, 0x260
	s_delay_alu instid0(VALU_DEP_2)
	v_cndmask_b32_e32 v29, v3, v2, vcc_lo
                                        ; implicit-def: $vgpr2_vgpr3_vgpr4_vgpr5
.LBB49_753:                             ;   in Loop: Header=BB49_418 Depth=1
	s_and_not1_saveexec_b32 s21, s21
	s_cbranch_execz .LBB49_759
; %bb.754:                              ;   in Loop: Header=BB49_418 Depth=1
	s_mov_b32 s22, exec_lo
	v_cmpx_ngt_f32_e64 |v4|, 1.0
	s_xor_b32 s22, exec_lo, s22
	s_cbranch_execz .LBB49_756
; %bb.755:                              ;   in Loop: Header=BB49_418 Depth=1
	v_sub_f32_e64 v2, 1.0, |v4|
	s_delay_alu instid0(VALU_DEP_1) | instskip(NEXT) | instid1(VALU_DEP_1)
	v_mul_f32_e32 v2, v2, v13
	v_mul_f32_e32 v3, 0x4f800000, v2
	v_cmp_gt_f32_e32 vcc_lo, 0xf800000, v2
	s_delay_alu instid0(VALU_DEP_2) | instskip(NEXT) | instid1(VALU_DEP_1)
	v_cndmask_b32_e32 v2, v2, v3, vcc_lo
	v_sqrt_f32_e32 v3, v2
	v_nop
	s_delay_alu instid0(TRANS32_DEP_1) | instskip(NEXT) | instid1(VALU_DEP_1)
	v_dual_add_nc_u32 v4, -1, v3 :: v_dual_add_nc_u32 v5, 1, v3
	v_dual_fma_f32 v12, -v4, v3, v2 :: v_dual_fma_f32 v13, -v5, v3, v2
	s_delay_alu instid0(VALU_DEP_1) | instskip(NEXT) | instid1(VALU_DEP_1)
	v_cmp_ge_f32_e64 s3, 0, v12
                                        ; implicit-def: $vgpr12
	v_cndmask_b32_e64 v3, v3, v4, s3
	s_delay_alu instid0(VALU_DEP_3) | instskip(NEXT) | instid1(VALU_DEP_1)
	v_cmp_lt_f32_e64 s3, 0, v13
                                        ; implicit-def: $vgpr13
	v_cndmask_b32_e64 v3, v3, v5, s3
	s_delay_alu instid0(VALU_DEP_1) | instskip(NEXT) | instid1(VALU_DEP_1)
	v_mul_f32_e32 v4, 0x37800000, v3
	v_cndmask_b32_e32 v3, v3, v4, vcc_lo
	v_cmp_class_f32_e64 vcc_lo, v2, 0x260
	s_delay_alu instid0(VALU_DEP_2)
	v_cndmask_b32_e32 v29, v3, v2, vcc_lo
                                        ; implicit-def: $vgpr2_vgpr3_vgpr4_vgpr5
.LBB49_756:                             ;   in Loop: Header=BB49_418 Depth=1
	s_and_not1_saveexec_b32 s22, s22
	s_cbranch_execz .LBB49_758
; %bb.757:                              ;   in Loop: Header=BB49_418 Depth=1
	v_mul_f32_e32 v2, v13, v12
	v_mul_f32_e64 v5, 0x57800000, |v5|
	s_delay_alu instid0(VALU_DEP_2) | instskip(SKIP_1) | instid1(VALU_DEP_3)
	v_mul_f32_e32 v3, 0x4f800000, v2
	v_cmp_gt_f32_e32 vcc_lo, 0xf800000, v2
	v_mul_f32_e64 v5, |v4|, v5
	s_delay_alu instid0(VALU_DEP_3) | instskip(NEXT) | instid1(VALU_DEP_1)
	v_cndmask_b32_e32 v2, v2, v3, vcc_lo
	v_sqrt_f32_e32 v3, v2
	v_nop
	s_delay_alu instid0(TRANS32_DEP_1) | instskip(NEXT) | instid1(VALU_DEP_1)
	v_dual_add_nc_u32 v12, -1, v3 :: v_dual_add_nc_u32 v13, 1, v3
	v_dual_fma_f32 v28, -v12, v3, v2 :: v_dual_fma_f32 v29, -v13, v3, v2
	s_delay_alu instid0(VALU_DEP_1) | instskip(NEXT) | instid1(VALU_DEP_1)
	v_cmp_ge_f32_e64 s3, 0, v28
	v_cndmask_b32_e64 v3, v3, v12, s3
	s_delay_alu instid0(VALU_DEP_3) | instskip(NEXT) | instid1(VALU_DEP_1)
	v_cmp_lt_f32_e64 s3, 0, v29
	v_cndmask_b32_e64 v3, v3, v13, s3
	s_delay_alu instid0(VALU_DEP_1) | instskip(NEXT) | instid1(VALU_DEP_1)
	v_mul_f32_e32 v12, 0x37800000, v3
	v_cndmask_b32_e32 v3, v3, v12, vcc_lo
	v_cmp_class_f32_e64 vcc_lo, v2, 0x260
	s_delay_alu instid0(VALU_DEP_2) | instskip(NEXT) | instid1(VALU_DEP_1)
	v_cndmask_b32_e32 v2, v3, v2, vcc_lo
	v_div_scale_f32 v3, null, v2, v2, v5
	v_div_scale_f32 v28, vcc_lo, v5, v2, v5
	s_delay_alu instid0(VALU_DEP_2) | instskip(SKIP_1) | instid1(TRANS32_DEP_1)
	v_rcp_f32_e32 v12, v3
	v_nop
	v_fma_f32 v13, -v3, v12, 1.0
	s_delay_alu instid0(VALU_DEP_1) | instskip(NEXT) | instid1(VALU_DEP_1)
	v_fmac_f32_e32 v12, v13, v12
	v_mul_f32_e32 v13, v28, v12
	s_delay_alu instid0(VALU_DEP_1) | instskip(NEXT) | instid1(VALU_DEP_1)
	v_fma_f32 v29, -v3, v13, v28
	v_fmac_f32_e32 v13, v29, v12
	s_delay_alu instid0(VALU_DEP_1) | instskip(SKIP_1) | instid1(VALU_DEP_2)
	v_fma_f32 v3, -v3, v13, v28
	v_mul_f32_e64 v28, 0x57800000, |v4|
	v_div_fmas_f32 v3, v3, v12, v13
	s_delay_alu instid0(VALU_DEP_1)
	v_div_fixup_f32 v29, v3, v2, v5
.LBB49_758:                             ;   in Loop: Header=BB49_418 Depth=1
	s_or_b32 exec_lo, exec_lo, s22
.LBB49_759:                             ;   in Loop: Header=BB49_418 Depth=1
	s_delay_alu instid0(SALU_CYCLE_1)
	s_or_b32 exec_lo, exec_lo, s21
                                        ; implicit-def: $vgpr2_vgpr3_vgpr4_vgpr5
                                        ; implicit-def: $vgpr2
.LBB49_760:                             ;   in Loop: Header=BB49_418 Depth=1
	s_and_not1_saveexec_b32 s21, s4
	s_cbranch_execz .LBB49_762
; %bb.761:                              ;   in Loop: Header=BB49_418 Depth=1
	v_add_f32_e32 v2, 1.0, v2
	v_mul_f32_e64 v3, 0x4f800000, |v5|
	v_cmp_gt_f32_e64 vcc_lo, 0xf800000, |v5|
	s_delay_alu instid0(VALU_DEP_3) | instskip(NEXT) | instid1(VALU_DEP_2)
	v_mul_f32_e32 v2, 0.5, v2
	v_cndmask_b32_e64 v3, |v5|, v3, vcc_lo
	s_delay_alu instid0(VALU_DEP_2) | instskip(SKIP_1) | instid1(VALU_DEP_1)
	v_mul_f32_e32 v4, 0x4f800000, v2
	v_cmp_gt_f32_e64 s3, 0xf800000, v2
	v_cndmask_b32_e64 v2, v2, v4, s3
	s_delay_alu instid0(VALU_DEP_4) | instskip(SKIP_1) | instid1(TRANS32_DEP_1)
	v_sqrt_f32_e32 v4, v3
	v_nop
	v_add_nc_u32_e32 v28, 1, v4
	s_delay_alu instid0(VALU_DEP_3) | instskip(SKIP_1) | instid1(TRANS32_DEP_1)
	v_sqrt_f32_e32 v5, v2
	v_nop
	v_dual_add_nc_u32 v12, -1, v4 :: v_dual_add_nc_u32 v13, -1, v5
	s_delay_alu instid0(VALU_DEP_1) | instskip(NEXT) | instid1(VALU_DEP_2)
	v_dual_fma_f32 v29, -v12, v4, v3 :: v_dual_add_nc_u32 v33, 1, v5
	v_dual_fma_f32 v35, -v28, v4, v3 :: v_dual_fma_f32 v34, -v13, v5, v2
	s_delay_alu instid0(VALU_DEP_2) | instskip(NEXT) | instid1(VALU_DEP_1)
	v_cmp_ge_f32_e64 s4, 0, v29
	v_cndmask_b32_e64 v4, v4, v12, s4
	s_delay_alu instid0(VALU_DEP_3) | instskip(SKIP_1) | instid1(VALU_DEP_2)
	v_cmp_ge_f32_e64 s4, 0, v34
	v_fma_f32 v12, -v33, v5, v2
	v_cndmask_b32_e64 v5, v5, v13, s4
	v_cmp_lt_f32_e64 s4, 0, v35
	s_delay_alu instid0(VALU_DEP_1) | instskip(NEXT) | instid1(VALU_DEP_4)
	v_cndmask_b32_e64 v4, v4, v28, s4
	v_cmp_lt_f32_e64 s4, 0, v12
	s_delay_alu instid0(VALU_DEP_1) | instskip(NEXT) | instid1(VALU_DEP_1)
	v_cndmask_b32_e64 v5, v5, v33, s4
	v_dual_mul_f32 v12, 0x37800000, v4 :: v_dual_mul_f32 v13, 0x37800000, v5
	s_delay_alu instid0(VALU_DEP_1) | instskip(SKIP_1) | instid1(VALU_DEP_1)
	v_cndmask_b32_e32 v4, v4, v12, vcc_lo
	v_cmp_class_f32_e64 vcc_lo, v3, 0x260
	v_dual_cndmask_b32 v5, v5, v13, s3 :: v_dual_cndmask_b32 v3, v4, v3, vcc_lo
	v_cmp_class_f32_e64 vcc_lo, v2, 0x260
	s_delay_alu instid0(VALU_DEP_1) | instskip(NEXT) | instid1(VALU_DEP_1)
	v_dual_cndmask_b32 v2, v5, v2, vcc_lo :: v_dual_mov_b32 v28, 1.0
	v_mul_f32_e32 v29, v3, v2
.LBB49_762:                             ;   in Loop: Header=BB49_418 Depth=1
	s_or_b32 exec_lo, exec_lo, s21
	s_delay_alu instid0(SALU_CYCLE_1)
	s_mov_b32 s3, exec_lo
.LBB49_763:                             ;   in Loop: Header=BB49_418 Depth=1
	s_or_b32 exec_lo, exec_lo, s20
                                        ; implicit-def: $vgpr2_vgpr3_vgpr4_vgpr5
                                        ; implicit-def: $vgpr2
.LBB49_764:                             ;   in Loop: Header=BB49_418 Depth=1
	s_and_not1_saveexec_b32 s4, s19
; %bb.765:                              ;   in Loop: Header=BB49_418 Depth=1
	v_and_b32_e32 v4, 0x7fffffff, v4
	v_mov_b32_e32 v5, v2
	s_or_b32 s3, s3, exec_lo
                                        ; implicit-def: $vgpr25
	s_delay_alu instid0(VALU_DEP_1)
	v_pk_mul_f32 v[28:29], v[4:5], s[8:9] op_sel_hi:[1,0]
; %bb.766:                              ;   in Loop: Header=BB49_418 Depth=1
	s_or_b32 exec_lo, exec_lo, s4
	s_xor_b32 s3, s3, -1
	s_delay_alu instid0(SALU_CYCLE_1) | instskip(NEXT) | instid1(SALU_CYCLE_1)
	s_and_saveexec_b32 s4, s3
	s_xor_b32 s4, exec_lo, s4
	s_cbranch_execz .LBB49_772
; %bb.767:                              ;   in Loop: Header=BB49_418 Depth=1
	s_and_saveexec_b32 s3, s2
	s_delay_alu instid0(SALU_CYCLE_1)
	s_xor_b32 s3, exec_lo, s3
	s_cbranch_execz .LBB49_769
; %bb.768:                              ;   in Loop: Header=BB49_418 Depth=1
	v_fma_f32 v2, |v25|, -0.5, 0.5
	v_mul_f32_e32 v3, v25, v25
	v_cmp_gt_f32_e64 vcc_lo, |v25|, 0.5
	s_delay_alu instid0(VALU_DEP_2) | instskip(NEXT) | instid1(VALU_DEP_1)
	v_cndmask_b32_e32 v2, v3, v2, vcc_lo
	v_fmaak_f32 v3, s10, v2, 0x3c5fc5da
	v_sqrt_f32_e32 v4, v2
	s_delay_alu instid0(VALU_DEP_1) | instskip(NEXT) | instid1(VALU_DEP_1)
	v_fmaak_f32 v3, v2, v3, 0x3d034c3c
	v_fmaak_f32 v3, v2, v3, 0x3d3641b1
	s_delay_alu instid0(VALU_DEP_1) | instskip(NEXT) | instid1(VALU_DEP_1)
	v_fmaak_f32 v3, v2, v3, 0x3d999bc8
	v_fmaak_f32 v3, v2, v3, 0x3e2aaaac
	s_delay_alu instid0(VALU_DEP_1)
	v_mul_f32_e32 v2, v2, v3
	s_delay_alu instid0(TRANS32_DEP_1) | instid1(VALU_DEP_1)
	v_dual_fmac_f32 v4, v4, v2 :: v_dual_fmac_f32 v25, v25, v2
	s_delay_alu instid0(VALU_DEP_1) | instskip(NEXT) | instid1(VALU_DEP_1)
	v_dual_add_f32 v2, v4, v4 :: v_dual_sub_f32 v3, 0x3fc90fdb, v25
                                        ; implicit-def: $vgpr25
	v_cndmask_b32_e32 v12, v3, v2, vcc_lo
.LBB49_769:                             ;   in Loop: Header=BB49_418 Depth=1
	s_and_not1_saveexec_b32 s19, s3
	s_cbranch_execz .LBB49_771
; %bb.770:                              ;   in Loop: Header=BB49_418 Depth=1
	v_fma_f32 v2, |v25|, -0.5, 0.5
	v_mul_f32_e32 v3, v25, v25
	v_cmp_gt_f32_e64 vcc_lo, |v25|, 0.5
	v_cmp_lt_f32_e64 s3, 0, v25
	s_delay_alu instid0(VALU_DEP_3) | instskip(NEXT) | instid1(VALU_DEP_1)
	v_cndmask_b32_e32 v2, v3, v2, vcc_lo
	v_fmaak_f32 v3, s10, v2, 0x3c5fc5da
	v_sqrt_f32_e32 v4, v2
	s_delay_alu instid0(VALU_DEP_1) | instskip(NEXT) | instid1(VALU_DEP_1)
	v_fmaak_f32 v3, v2, v3, 0x3d034c3c
	v_fmaak_f32 v3, v2, v3, 0x3d3641b1
	s_delay_alu instid0(VALU_DEP_1) | instskip(NEXT) | instid1(VALU_DEP_1)
	v_fmaak_f32 v3, v2, v3, 0x3d999bc8
	v_fmaak_f32 v3, v2, v3, 0x3e2aaaac
	s_delay_alu instid0(VALU_DEP_1)
	v_mul_f32_e32 v2, v2, v3
	s_delay_alu instid0(TRANS32_DEP_1) | instid1(VALU_DEP_1)
	v_fmac_f32_e32 v4, v4, v2
	s_delay_alu instid0(VALU_DEP_1) | instskip(NEXT) | instid1(VALU_DEP_1)
	v_add_f32_e32 v3, v4, v4
	v_sub_f32_e32 v4, 0x40490fdb, v3
	s_delay_alu instid0(VALU_DEP_1) | instskip(NEXT) | instid1(VALU_DEP_1)
	v_dual_cndmask_b32 v3, v3, v4, s3 :: v_dual_fma_f32 v2, -v25, v2, -v25
	v_sub_f32_e32 v2, 0x3fc90fdb, v2
	s_delay_alu instid0(VALU_DEP_1)
	v_cndmask_b32_e32 v12, v2, v3, vcc_lo
.LBB49_771:                             ;   in Loop: Header=BB49_418 Depth=1
	s_or_b32 exec_lo, exec_lo, s19
                                        ; implicit-def: $vgpr28
.LBB49_772:                             ;   in Loop: Header=BB49_418 Depth=1
	s_and_not1_saveexec_b32 s3, s4
	s_cbranch_execz .LBB49_778
; %bb.773:                              ;   in Loop: Header=BB49_418 Depth=1
	v_max_num_f32_e64 v2, |v29|, |v29|
	v_max_num_f32_e32 v3, v28, v28
	v_cmp_gt_f32_e64 vcc_lo, |v29|, v28
	s_delay_alu instid0(VALU_DEP_2) | instskip(NEXT) | instid1(VALU_DEP_1)
	v_dual_max_num_f32 v4, v3, v2 :: v_dual_min_num_f32 v2, v3, v2
	v_frexp_mant_f32_e32 v5, v4
	v_frexp_exp_i32_f32_e32 v4, v4
	s_delay_alu instid0(VALU_DEP_2)
	v_rcp_f32_e32 v3, v5
	v_nop
	v_frexp_mant_f32_e32 v5, v2
	v_frexp_exp_i32_f32_e32 v2, v2
	s_delay_alu instid0(TRANS32_DEP_1) | instid1(VALU_DEP_1)
	v_dual_mul_f32 v3, v5, v3 :: v_dual_sub_nc_u32 v2, v2, v4
	s_delay_alu instid0(VALU_DEP_1) | instskip(NEXT) | instid1(VALU_DEP_1)
	v_ldexp_f32 v2, v3, v2
	v_mul_f32_e32 v3, v2, v2
	s_delay_alu instid0(VALU_DEP_1) | instskip(NEXT) | instid1(VALU_DEP_1)
	v_fmaak_f32 v4, s11, v3, 0xbc7a590c
	v_fmaak_f32 v4, v3, v4, 0x3d29fb3f
	s_delay_alu instid0(VALU_DEP_1) | instskip(NEXT) | instid1(VALU_DEP_1)
	v_fmaak_f32 v4, v3, v4, 0xbd97d4d7
	v_fmaak_f32 v4, v3, v4, 0x3dd931b2
	;; [unrolled: 3-line block ×3, first 2 shown]
	s_delay_alu instid0(VALU_DEP_1) | instskip(NEXT) | instid1(VALU_DEP_1)
	v_fmaak_f32 v4, v3, v4, 0xbeaaaa62
	v_mul_f32_e32 v3, v3, v4
	s_delay_alu instid0(VALU_DEP_1) | instskip(NEXT) | instid1(VALU_DEP_1)
	v_fmac_f32_e32 v2, v2, v3
	v_sub_f32_e32 v3, 0x3fc90fdb, v2
	s_delay_alu instid0(VALU_DEP_1) | instskip(SKIP_1) | instid1(SALU_CYCLE_1)
	v_cndmask_b32_e32 v2, v2, v3, vcc_lo
	s_and_saveexec_b32 s4, s2
	s_xor_b32 s4, exec_lo, s4
	s_cbranch_execz .LBB49_775
; %bb.774:                              ;   in Loop: Header=BB49_418 Depth=1
	v_cmp_neq_f32_e64 s2, 0, v29
	v_cmp_eq_f32_e32 vcc_lo, 0x7f800000, v28
	v_cmp_class_f32_e64 s19, v29, 0x204
	s_delay_alu instid0(VALU_DEP_3) | instskip(SKIP_2) | instid1(VALU_DEP_2)
	v_cndmask_b32_e64 v2, 0, v2, s2
	s_and_b32 s2, vcc_lo, s19
	v_cmp_o_f32_e32 vcc_lo, v29, v29
	v_cndmask_b32_e64 v2, v2, 0x3f490fdb, s2
	s_delay_alu instid0(VALU_DEP_1) | instskip(NEXT) | instid1(VALU_DEP_1)
	v_cndmask_b32_e32 v2, 0x7fc00000, v2, vcc_lo
	v_bfi_b32 v12, 0x7fffffff, v2, v29
                                        ; implicit-def: $vgpr2
                                        ; implicit-def: $vgpr28
.LBB49_775:                             ;   in Loop: Header=BB49_418 Depth=1
	s_and_not1_saveexec_b32 s4, s4
	s_cbranch_execz .LBB49_777
; %bb.776:                              ;   in Loop: Header=BB49_418 Depth=1
	v_sub_f32_e32 v3, 0x40490fdb, v2
	v_cmp_lt_f32_e32 vcc_lo, 0, v28
	v_cmp_neq_f32_e64 s2, 0, v29
	v_cmp_class_f32_e64 s19, v29, 0x204
	s_delay_alu instid0(VALU_DEP_4) | instskip(SKIP_1) | instid1(VALU_DEP_2)
	v_cndmask_b32_e32 v2, v2, v3, vcc_lo
	v_cmp_eq_f32_e32 vcc_lo, 0x7f800000, v28
	v_cndmask_b32_e64 v2, 0x40490fdb, v2, s2
	s_and_b32 s2, vcc_lo, s19
	v_cmp_o_f32_e32 vcc_lo, v29, v29
	s_delay_alu instid0(VALU_DEP_2) | instskip(NEXT) | instid1(VALU_DEP_1)
	v_cndmask_b32_e64 v2, v2, 0x4016cbe4, s2
	v_cndmask_b32_e32 v2, 0x7fc00000, v2, vcc_lo
	s_delay_alu instid0(VALU_DEP_1)
	v_bfi_b32 v12, 0x7fffffff, v2, v29
.LBB49_777:                             ;   in Loop: Header=BB49_418 Depth=1
	s_or_b32 exec_lo, exec_lo, s4
.LBB49_778:                             ;   in Loop: Header=BB49_418 Depth=1
	s_delay_alu instid0(SALU_CYCLE_1)
	s_or_b32 exec_lo, exec_lo, s3
	v_cndmask_b32_e64 v13, -v21, v21, s0
                                        ; implicit-def: $vgpr2_vgpr3_vgpr4_vgpr5
.LBB49_779:                             ;   in Loop: Header=BB49_418 Depth=1
	s_and_not1_saveexec_b32 s2, s18
	s_cbranch_execz .LBB49_781
; %bb.780:                              ;   in Loop: Header=BB49_418 Depth=1
	flat_load_b32 v2, v[16:17] scope:SCOPE_SYS
	s_wait_loadcnt_dscnt 0x0
	v_sub_f32_e32 v2, v2, v4
	s_delay_alu instid0(VALU_DEP_1)
	v_add_f32_e32 v12, 0x3fc90fdb, v2
.LBB49_781:                             ;   in Loop: Header=BB49_418 Depth=1
	s_or_b32 exec_lo, exec_lo, s2
.LBB49_782:                             ;   in Loop: Header=BB49_418 Depth=1
	s_and_not1_saveexec_b32 s2, s17
; %bb.783:                              ;   in Loop: Header=BB49_418 Depth=1
	v_mov_b32_e32 v12, 0
; %bb.784:                              ;   in Loop: Header=BB49_418 Depth=1
	s_or_b32 exec_lo, exec_lo, s2
                                        ; implicit-def: $vgpr2_vgpr3_vgpr4_vgpr5
                                        ; implicit-def: $vgpr21
                                        ; implicit-def: $vgpr2
                                        ; implicit-def: $vgpr3
.LBB49_785:                             ;   in Loop: Header=BB49_418 Depth=1
	s_and_not1_saveexec_b32 s4, s16
	s_cbranch_execz .LBB49_795
; %bb.786:                              ;   in Loop: Header=BB49_418 Depth=1
	v_cmp_lt_f32_e64 s2, |v4|, |v5|
                                        ; implicit-def: $vgpr13
                                        ; implicit-def: $vgpr12
	s_mov_b32 s3, exec_lo
	v_cndmask_b32_e64 v25, |v4|, |v5|, s2
	s_delay_alu instid0(VALU_DEP_1)
	v_cmpx_nlt_f32_e32 0x7effffff, v25
	s_xor_b32 s16, exec_lo, s3
	s_cbranch_execz .LBB49_792
; %bb.787:                              ;   in Loop: Header=BB49_418 Depth=1
	v_cndmask_b32_e64 v28, |v5|, |v4|, s2
	v_cmp_nlt_f32_e32 vcc_lo, 0x5e000000, v25
                                        ; implicit-def: $vgpr13
                                        ; implicit-def: $vgpr12
	s_delay_alu instid0(VALU_DEP_2) | instskip(SKIP_1) | instid1(SALU_CYCLE_1)
	v_cmp_ngt_f32_e64 s3, 0x20000000, v28
	s_and_b32 s3, vcc_lo, s3
	s_and_saveexec_b32 s17, s3
	s_delay_alu instid0(SALU_CYCLE_1)
	s_xor_b32 s17, exec_lo, s17
	s_cbranch_execz .LBB49_789
; %bb.788:                              ;   in Loop: Header=BB49_418 Depth=1
	s_wait_dscnt 0x0
	v_frexp_mant_f32_e32 v12, v3
	v_dual_min_num_f32 v2, v21, v2 :: v_dual_mul_f32 v21, v28, v28
	v_frexp_exp_i32_f32_e32 v3, v3
	s_delay_alu instid0(VALU_DEP_3) | instskip(NEXT) | instid1(VALU_DEP_2)
	v_rcp_f32_e32 v12, v12
	v_frexp_exp_i32_f32_e32 v13, v2
	v_frexp_mant_f32_e32 v2, v2
	s_delay_alu instid0(TRANS32_DEP_1) | instid1(VALU_DEP_1)
	v_dual_mul_f32 v2, v2, v12 :: v_dual_sub_nc_u32 v3, v13, v3
	s_delay_alu instid0(VALU_DEP_1) | instskip(NEXT) | instid1(VALU_DEP_1)
	v_ldexp_f32 v12, v2, v3
	v_dual_fmac_f32 v21, v25, v25 :: v_dual_mul_f32 v3, v12, v12
	s_delay_alu instid0(VALU_DEP_1) | instskip(SKIP_1) | instid1(VALU_DEP_1)
	v_cmp_gt_f32_e32 vcc_lo, 0x800000, v21
	v_cndmask_b32_e64 v2, 0, 32, vcc_lo
	v_ldexp_f32 v2, v21, v2
	s_delay_alu instid0(VALU_DEP_1) | instskip(SKIP_1) | instid1(TRANS32_DEP_1)
	v_log_f32_e32 v2, v2
	v_nop
	v_mul_f32_e32 v21, 0x3f317217, v2
	v_cmp_gt_f32_e64 s3, 0x7f800000, |v2|
	s_delay_alu instid0(VALU_DEP_2) | instskip(NEXT) | instid1(VALU_DEP_1)
	v_fma_f32 v21, 0x3f317217, v2, -v21
	v_fmac_f32_e32 v21, 0x3377d1cf, v2
	s_delay_alu instid0(VALU_DEP_1) | instskip(NEXT) | instid1(VALU_DEP_1)
	v_fmac_f32_e32 v21, 0x3f317217, v2
	v_cndmask_b32_e64 v2, v2, v21, s3
	v_cndmask_b32_e64 v21, 0, 0x41b17218, vcc_lo
	s_delay_alu instid0(VALU_DEP_1) | instskip(NEXT) | instid1(VALU_DEP_1)
	v_dual_fmaak_f32 v13, s11, v3, 0xbc7a590c :: v_dual_sub_f32 v2, v2, v21
	v_fmaak_f32 v13, v3, v13, 0x3d29fb3f
                                        ; implicit-def: $vgpr21
	s_delay_alu instid0(VALU_DEP_1) | instskip(NEXT) | instid1(VALU_DEP_1)
	v_fmaak_f32 v13, v3, v13, 0xbd97d4d7
	v_fmaak_f32 v13, v3, v13, 0x3dd931b2
	s_delay_alu instid0(VALU_DEP_1) | instskip(NEXT) | instid1(VALU_DEP_1)
	v_fmaak_f32 v13, v3, v13, 0xbe1160e6
	v_fmaak_f32 v13, v3, v13, 0x3e4cb8bf
	s_delay_alu instid0(VALU_DEP_1) | instskip(NEXT) | instid1(VALU_DEP_1)
	v_fmaak_f32 v13, v3, v13, 0xbeaaaa62
	v_dual_mul_f32 v3, v3, v13 :: v_dual_mul_f32 v13, 0.5, v2
                                        ; implicit-def: $vgpr2
	s_delay_alu instid0(VALU_DEP_1)
	v_fmac_f32_e32 v12, v12, v3
                                        ; implicit-def: $vgpr3
.LBB49_789:                             ;   in Loop: Header=BB49_418 Depth=1
	s_and_not1_saveexec_b32 s3, s17
	s_cbranch_execz .LBB49_791
; %bb.790:                              ;   in Loop: Header=BB49_418 Depth=1
	s_wait_dscnt 0x0
	v_cvt_f64_f32_e32 v[12:13], v3
	v_frexp_mant_f32_e32 v28, v3
	v_cmp_neq_f32_e32 vcc_lo, 0x7f800000, v3
	s_delay_alu instid0(VALU_DEP_3) | instskip(NEXT) | instid1(VALU_DEP_1)
	v_frexp_exp_i32_f64_e32 v12, v[12:13]
	v_sub_nc_u32_e32 v13, 0, v12
	s_delay_alu instid0(VALU_DEP_1) | instskip(NEXT) | instid1(VALU_DEP_1)
	v_ldexp_f32 v25, |v5|, v13
	v_mul_f32_e32 v25, v25, v25
	v_ldexp_f32 v13, |v4|, v13
	s_delay_alu instid0(VALU_DEP_1) | instskip(SKIP_3) | instid1(VALU_DEP_3)
	v_fmac_f32_e32 v25, v13, v13
	v_frexp_exp_i32_f32_e32 v13, v3
	v_min_num_f32_e32 v2, v21, v2
	v_rcp_f32_e32 v21, v28
	v_sqrt_f32_e32 v25, v25
	s_delay_alu instid0(VALU_DEP_1) | instskip(NEXT) | instid1(VALU_DEP_1)
	v_frexp_exp_i32_f32_e32 v28, v2
	v_sub_nc_u32_e32 v13, v28, v13
	v_frexp_mant_f32_e32 v2, v2
	s_delay_alu instid0(TRANS32_DEP_2) | instid1(VALU_DEP_1)
	v_mul_f32_e32 v2, v2, v21
	s_delay_alu instid0(TRANS32_DEP_1) | instskip(NEXT) | instid1(VALU_DEP_2)
	v_ldexp_f32 v21, v25, v12
	v_ldexp_f32 v12, v2, v13
	s_delay_alu instid0(VALU_DEP_1) | instskip(NEXT) | instid1(VALU_DEP_1)
	v_dual_cndmask_b32 v2, 0x7f800000, v21 :: v_dual_mul_f32 v3, v12, v12
	v_cmp_gt_f32_e32 vcc_lo, 0x800000, v2
	s_delay_alu instid0(VALU_DEP_2) | instskip(SKIP_2) | instid1(VALU_DEP_2)
	v_fmaak_f32 v21, s11, v3, 0xbc7a590c
	v_cndmask_b32_e64 v13, 0, 32, vcc_lo
	v_cndmask_b32_e64 v25, 0, 0x41b17218, vcc_lo
	v_ldexp_f32 v2, v2, v13
	s_delay_alu instid0(VALU_DEP_1) | instskip(SKIP_1) | instid1(TRANS32_DEP_1)
	v_log_f32_e32 v2, v2
	v_nop
	v_cmp_gt_f32_e64 vcc_lo, 0x7f800000, |v2|
	v_fmaak_f32 v13, v3, v21, 0x3d29fb3f
	v_mul_f32_e32 v21, 0x3f317217, v2
	s_delay_alu instid0(VALU_DEP_1) | instskip(NEXT) | instid1(VALU_DEP_1)
	v_fma_f32 v21, 0x3f317217, v2, -v21
	v_fmac_f32_e32 v21, 0x3377d1cf, v2
	s_delay_alu instid0(VALU_DEP_1) | instskip(NEXT) | instid1(VALU_DEP_1)
	v_fmac_f32_e32 v21, 0x3f317217, v2
	v_cndmask_b32_e32 v2, v2, v21, vcc_lo
	v_fmaak_f32 v13, v3, v13, 0xbd97d4d7
	s_delay_alu instid0(VALU_DEP_1) | instskip(NEXT) | instid1(VALU_DEP_1)
	v_fmaak_f32 v13, v3, v13, 0x3dd931b2
	v_fmaak_f32 v13, v3, v13, 0xbe1160e6
	s_delay_alu instid0(VALU_DEP_1) | instskip(NEXT) | instid1(VALU_DEP_1)
	v_fmaak_f32 v13, v3, v13, 0x3e4cb8bf
	v_fmaak_f32 v13, v3, v13, 0xbeaaaa62
	s_delay_alu instid0(VALU_DEP_1) | instskip(NEXT) | instid1(VALU_DEP_1)
	v_mul_f32_e32 v3, v3, v13
	v_dual_sub_f32 v13, v2, v25 :: v_dual_fmac_f32 v12, v12, v3
.LBB49_791:                             ;   in Loop: Header=BB49_418 Depth=1
	s_or_b32 exec_lo, exec_lo, s3
                                        ; implicit-def: $vgpr21
                                        ; implicit-def: $vgpr2
                                        ; implicit-def: $vgpr3
.LBB49_792:                             ;   in Loop: Header=BB49_418 Depth=1
	s_and_not1_saveexec_b32 s16, s16
	s_cbranch_execz .LBB49_794
; %bb.793:                              ;   in Loop: Header=BB49_418 Depth=1
	v_div_scale_f32 v12, null, 0x402df854, 0x402df854, v4
	v_div_scale_f32 v13, null, 0x402df854, 0x402df854, v5
	v_div_scale_f32 v34, vcc_lo, v4, 0x402df854, v4
	s_delay_alu instid0(VALU_DEP_3) | instskip(NEXT) | instid1(VALU_DEP_2)
	v_rcp_f32_e32 v25, v12
	v_rcp_f32_e32 v28, v13
	v_min_num_f32_e32 v2, v21, v2
	s_wait_dscnt 0x4
	s_delay_alu instid0(TRANS32_DEP_2) | instskip(NEXT) | instid1(TRANS32_DEP_1)
	v_fma_f32 v29, -v12, v25, 1.0
	v_fma_f32 v33, -v13, v28, 1.0
	s_delay_alu instid0(VALU_DEP_1) | instskip(NEXT) | instid1(VALU_DEP_3)
	v_fmac_f32_e32 v28, v33, v28
	v_fmac_f32_e32 v25, v29, v25
	v_div_scale_f32 v29, s3, v5, 0x402df854, v5
	s_delay_alu instid0(VALU_DEP_1) | instskip(NEXT) | instid1(VALU_DEP_1)
	v_dual_mul_f32 v35, v29, v28 :: v_dual_mul_f32 v33, v34, v25
	v_dual_fma_f32 v37, -v13, v35, v29 :: v_dual_fma_f32 v36, -v12, v33, v34
	s_delay_alu instid0(VALU_DEP_1) | instskip(NEXT) | instid1(VALU_DEP_1)
	v_dual_fmac_f32 v35, v37, v28 :: v_dual_fmac_f32 v33, v36, v25
	v_dual_fma_f32 v13, -v13, v35, v29 :: v_dual_fma_f32 v12, -v12, v33, v34
	s_delay_alu instid0(VALU_DEP_1) | instskip(SKIP_1) | instid1(VALU_DEP_2)
	v_div_fmas_f32 v12, v12, v25, v33
	s_mov_b32 vcc_lo, s3
	v_div_fmas_f32 v13, v13, v28, v35
	s_delay_alu instid0(VALU_DEP_2) | instskip(NEXT) | instid1(VALU_DEP_2)
	v_div_fixup_f32 v25, v12, 0x402df854, v4
	v_div_fixup_f32 v28, v13, 0x402df854, v5
	s_delay_alu instid0(VALU_DEP_1) | instskip(NEXT) | instid1(VALU_DEP_1)
	v_max_num_f32_e64 v29, |v25|, |v28|
	v_cvt_f64_f32_e32 v[12:13], v29
	v_cmp_neq_f32_e32 vcc_lo, 0x7f800000, v29
	s_delay_alu instid0(VALU_DEP_2) | instskip(NEXT) | instid1(VALU_DEP_1)
	v_frexp_exp_i32_f64_e32 v12, v[12:13]
	v_sub_nc_u32_e32 v13, 0, v12
	s_delay_alu instid0(VALU_DEP_1) | instskip(SKIP_1) | instid1(VALU_DEP_2)
	v_ldexp_f32 v28, |v28|, v13
	v_ldexp_f32 v13, |v25|, v13
	v_mul_f32_e32 v25, v28, v28
	s_delay_alu instid0(VALU_DEP_1) | instskip(SKIP_3) | instid1(VALU_DEP_3)
	v_fmac_f32_e32 v25, v13, v13
	s_wait_dscnt 0x0
	v_frexp_mant_f32_e32 v13, v3
	v_frexp_exp_i32_f32_e32 v3, v3
	v_sqrt_f32_e32 v21, v25
	s_delay_alu instid0(VALU_DEP_2) | instskip(SKIP_2) | instid1(TRANS32_DEP_2)
	v_rcp_f32_e32 v13, v13
	v_frexp_exp_i32_f32_e32 v25, v2
	v_frexp_mant_f32_e32 v2, v2
	v_ldexp_f32 v12, v21, v12
	s_delay_alu instid0(TRANS32_DEP_1) | instid1(VALU_DEP_2)
	v_dual_mul_f32 v2, v2, v13 :: v_dual_sub_nc_u32 v3, v25, v3
	s_delay_alu instid0(VALU_DEP_2) | instskip(NEXT) | instid1(VALU_DEP_2)
	v_cndmask_b32_e32 v13, 0x7f800000, v12, vcc_lo
	v_ldexp_f32 v12, v2, v3
	s_delay_alu instid0(VALU_DEP_2) | instskip(NEXT) | instid1(VALU_DEP_2)
	v_cmp_gt_f32_e32 vcc_lo, 0x800000, v13
	v_mul_f32_e32 v3, v12, v12
	v_cndmask_b32_e64 v2, 0, 32, vcc_lo
	v_cndmask_b32_e64 v25, 0, 0x41b17218, vcc_lo
	s_delay_alu instid0(VALU_DEP_2) | instskip(NEXT) | instid1(VALU_DEP_4)
	v_ldexp_f32 v2, v13, v2
	v_fmaak_f32 v13, s11, v3, 0xbc7a590c
	s_delay_alu instid0(VALU_DEP_2) | instskip(NEXT) | instid1(VALU_DEP_1)
	v_log_f32_e32 v2, v2
	v_fmaak_f32 v13, v3, v13, 0x3d29fb3f
	s_delay_alu instid0(VALU_DEP_1) | instskip(NEXT) | instid1(TRANS32_DEP_1)
	v_fmaak_f32 v13, v3, v13, 0xbd97d4d7
	v_mul_f32_e32 v21, 0x3f317217, v2
	v_cmp_gt_f32_e64 vcc_lo, 0x7f800000, |v2|
	s_delay_alu instid0(VALU_DEP_3) | instskip(NEXT) | instid1(VALU_DEP_3)
	v_fmaak_f32 v13, v3, v13, 0x3dd931b2
	v_fma_f32 v21, 0x3f317217, v2, -v21
	s_delay_alu instid0(VALU_DEP_2) | instskip(NEXT) | instid1(VALU_DEP_2)
	v_fmaak_f32 v13, v3, v13, 0xbe1160e6
	v_fmac_f32_e32 v21, 0x3377d1cf, v2
	s_delay_alu instid0(VALU_DEP_2) | instskip(NEXT) | instid1(VALU_DEP_2)
	v_fmaak_f32 v13, v3, v13, 0x3e4cb8bf
	v_fmac_f32_e32 v21, 0x3f317217, v2
	s_delay_alu instid0(VALU_DEP_2) | instskip(NEXT) | instid1(VALU_DEP_2)
	v_fmaak_f32 v13, v3, v13, 0xbeaaaa62
	v_cndmask_b32_e32 v2, v2, v21, vcc_lo
	s_delay_alu instid0(VALU_DEP_1) | instskip(NEXT) | instid1(VALU_DEP_1)
	v_sub_f32_e32 v2, v2, v25
	v_dual_mul_f32 v3, v3, v13 :: v_dual_add_f32 v13, 1.0, v2
	s_delay_alu instid0(VALU_DEP_1)
	v_fmac_f32_e32 v12, v12, v3
.LBB49_794:                             ;   in Loop: Header=BB49_418 Depth=1
	s_or_b32 exec_lo, exec_lo, s16
	s_delay_alu instid0(VALU_DEP_1) | instskip(SKIP_1) | instid1(VALU_DEP_2)
	v_sub_f32_e32 v2, 0x3fc90fdb, v12
	v_cmp_gt_f32_e32 vcc_lo, 0, v4
	v_cndmask_b32_e64 v2, v12, v2, s2
	v_cndmask_b32_e64 v12, 0, 0x40490fdb, s1
	v_cmp_class_f32_e64 s1, v4, 0x204
	v_add_f32_e32 v4, 0x3f317218, v13
	v_cmp_class_f32_e64 s2, v5, 0x204
	s_wait_dscnt 0x0
	v_sub_f32_e32 v3, 0x40490fdb, v2
	s_delay_alu instid0(VALU_DEP_1) | instskip(SKIP_2) | instid1(VALU_DEP_3)
	v_dual_cndmask_b32 v13, -v4, v4, s0 :: v_dual_cndmask_b32 v2, v2, v3, vcc_lo
	v_cndmask_b32_e32 v3, 0x3f490fdb, v32, vcc_lo
	v_cmp_eq_f32_e32 vcc_lo, 0, v5
	v_cndmask_b32_e64 v2, |v2|, v12, vcc_lo
	s_and_b32 vcc_lo, s1, s2
	s_delay_alu instid0(VALU_DEP_1)
	v_cndmask_b32_e32 v12, v2, v3, vcc_lo
.LBB49_795:                             ;   in Loop: Header=BB49_418 Depth=1
	s_or_b32 exec_lo, exec_lo, s4
                                        ; implicit-def: $vgpr2_vgpr3_vgpr4_vgpr5
.LBB49_796:                             ;   in Loop: Header=BB49_418 Depth=1
	s_and_not1_saveexec_b32 s0, s15
	s_cbranch_execz .LBB49_417
; %bb.797:                              ;   in Loop: Header=BB49_418 Depth=1
	v_cmp_neq_f32_e64 s1, 0x7f800000, |v4|
	s_and_saveexec_b32 s2, s1
	s_delay_alu instid0(SALU_CYCLE_1)
	s_xor_b32 s1, exec_lo, s2
	s_cbranch_execz .LBB49_807
; %bb.798:                              ;   in Loop: Header=BB49_418 Depth=1
	v_cmp_neq_f32_e64 s2, 0x7f800000, |v5|
	v_xor_b32_e32 v13, 0x80000000, v5
	s_and_saveexec_b32 s3, s2
	s_delay_alu instid0(SALU_CYCLE_1)
	s_xor_b32 s2, exec_lo, s3
	s_cbranch_execz .LBB49_804
; %bb.799:                              ;   in Loop: Header=BB49_418 Depth=1
	s_mov_b32 s3, exec_lo
	v_cmpx_neq_f32_e32 0, v4
	s_xor_b32 s3, exec_lo, s3
; %bb.800:                              ;   in Loop: Header=BB49_418 Depth=1
	v_add_f32_e32 v2, 0, v5
	s_delay_alu instid0(VALU_DEP_1)
	v_add_f32_e32 v13, v4, v2
                                        ; implicit-def: $vgpr2_vgpr3_vgpr4_vgpr5
; %bb.801:                              ;   in Loop: Header=BB49_418 Depth=1
	s_or_saveexec_b32 s3, s3
	s_delay_alu instid0(VALU_DEP_1)
	v_mov_b32_e32 v12, v13
	s_xor_b32 exec_lo, exec_lo, s3
	s_cbranch_execz .LBB49_803
; %bb.802:                              ;   in Loop: Header=BB49_418 Depth=1
	flat_load_b32 v2, v[16:17] scope:SCOPE_SYS
	s_wait_loadcnt_dscnt 0x0
	v_dual_add_f32 v13, v5, v5 :: v_dual_add_f32 v12, 0x3fc90fdb, v2
.LBB49_803:                             ;   in Loop: Header=BB49_418 Depth=1
	s_or_b32 exec_lo, exec_lo, s3
                                        ; implicit-def: $vgpr2_vgpr3_vgpr4_vgpr5
.LBB49_804:                             ;   in Loop: Header=BB49_418 Depth=1
	s_and_not1_saveexec_b32 s2, s2
; %bb.805:                              ;   in Loop: Header=BB49_418 Depth=1
	v_add_f32_e32 v12, v4, v4
; %bb.806:                              ;   in Loop: Header=BB49_418 Depth=1
	s_or_b32 exec_lo, exec_lo, s2
                                        ; implicit-def: $vgpr2_vgpr3_vgpr4_vgpr5
.LBB49_807:                             ;   in Loop: Header=BB49_418 Depth=1
	s_and_not1_saveexec_b32 s1, s1
	s_cbranch_execz .LBB49_416
; %bb.808:                              ;   in Loop: Header=BB49_418 Depth=1
	v_dual_add_f32 v12, v5, v5 :: v_dual_mov_b32 v13, 0xff800000
	s_branch .LBB49_416
.LBB49_809:
	s_sendmsg sendmsg(MSG_DEALLOC_VGPRS)
	s_endpgm
	.section	.rodata,"a",@progbits
	.p2align	6, 0x0
	.amdhsa_kernel _ZN2at6native12_GLOBAL__N_125multi_tensor_apply_kernelINS1_18TensorListMetadataILi1EEENS1_14UnaryOpFunctorIN3c107complexIfEELi1ELi1ELi0EEEJNS0_4AcosIS8_EEEEEvT_T0_DpT1_
		.amdhsa_group_segment_fixed_size 0
		.amdhsa_private_segment_fixed_size 16
		.amdhsa_kernarg_size 3632
		.amdhsa_user_sgpr_count 2
		.amdhsa_user_sgpr_dispatch_ptr 0
		.amdhsa_user_sgpr_queue_ptr 0
		.amdhsa_user_sgpr_kernarg_segment_ptr 1
		.amdhsa_user_sgpr_dispatch_id 0
		.amdhsa_user_sgpr_kernarg_preload_length 0
		.amdhsa_user_sgpr_kernarg_preload_offset 0
		.amdhsa_user_sgpr_private_segment_size 0
		.amdhsa_wavefront_size32 1
		.amdhsa_uses_dynamic_stack 0
		.amdhsa_enable_private_segment 1
		.amdhsa_system_sgpr_workgroup_id_x 1
		.amdhsa_system_sgpr_workgroup_id_y 0
		.amdhsa_system_sgpr_workgroup_id_z 0
		.amdhsa_system_sgpr_workgroup_info 0
		.amdhsa_system_vgpr_workitem_id 0
		.amdhsa_next_free_vgpr 76
		.amdhsa_next_free_sgpr 36
		.amdhsa_named_barrier_count 0
		.amdhsa_reserve_vcc 1
		.amdhsa_float_round_mode_32 0
		.amdhsa_float_round_mode_16_64 0
		.amdhsa_float_denorm_mode_32 3
		.amdhsa_float_denorm_mode_16_64 3
		.amdhsa_fp16_overflow 0
		.amdhsa_memory_ordered 1
		.amdhsa_forward_progress 1
		.amdhsa_inst_pref_size 255
		.amdhsa_round_robin_scheduling 0
		.amdhsa_exception_fp_ieee_invalid_op 0
		.amdhsa_exception_fp_denorm_src 0
		.amdhsa_exception_fp_ieee_div_zero 0
		.amdhsa_exception_fp_ieee_overflow 0
		.amdhsa_exception_fp_ieee_underflow 0
		.amdhsa_exception_fp_ieee_inexact 0
		.amdhsa_exception_int_div_zero 0
	.end_amdhsa_kernel
	.section	.text._ZN2at6native12_GLOBAL__N_125multi_tensor_apply_kernelINS1_18TensorListMetadataILi1EEENS1_14UnaryOpFunctorIN3c107complexIfEELi1ELi1ELi0EEEJNS0_4AcosIS8_EEEEEvT_T0_DpT1_,"axG",@progbits,_ZN2at6native12_GLOBAL__N_125multi_tensor_apply_kernelINS1_18TensorListMetadataILi1EEENS1_14UnaryOpFunctorIN3c107complexIfEELi1ELi1ELi0EEEJNS0_4AcosIS8_EEEEEvT_T0_DpT1_,comdat
.Lfunc_end49:
	.size	_ZN2at6native12_GLOBAL__N_125multi_tensor_apply_kernelINS1_18TensorListMetadataILi1EEENS1_14UnaryOpFunctorIN3c107complexIfEELi1ELi1ELi0EEEJNS0_4AcosIS8_EEEEEvT_T0_DpT1_, .Lfunc_end49-_ZN2at6native12_GLOBAL__N_125multi_tensor_apply_kernelINS1_18TensorListMetadataILi1EEENS1_14UnaryOpFunctorIN3c107complexIfEELi1ELi1ELi0EEEJNS0_4AcosIS8_EEEEEvT_T0_DpT1_
                                        ; -- End function
	.set _ZN2at6native12_GLOBAL__N_125multi_tensor_apply_kernelINS1_18TensorListMetadataILi1EEENS1_14UnaryOpFunctorIN3c107complexIfEELi1ELi1ELi0EEEJNS0_4AcosIS8_EEEEEvT_T0_DpT1_.num_vgpr, 76
	.set _ZN2at6native12_GLOBAL__N_125multi_tensor_apply_kernelINS1_18TensorListMetadataILi1EEENS1_14UnaryOpFunctorIN3c107complexIfEELi1ELi1ELi0EEEJNS0_4AcosIS8_EEEEEvT_T0_DpT1_.num_agpr, 0
	.set _ZN2at6native12_GLOBAL__N_125multi_tensor_apply_kernelINS1_18TensorListMetadataILi1EEENS1_14UnaryOpFunctorIN3c107complexIfEELi1ELi1ELi0EEEJNS0_4AcosIS8_EEEEEvT_T0_DpT1_.numbered_sgpr, 36
	.set _ZN2at6native12_GLOBAL__N_125multi_tensor_apply_kernelINS1_18TensorListMetadataILi1EEENS1_14UnaryOpFunctorIN3c107complexIfEELi1ELi1ELi0EEEJNS0_4AcosIS8_EEEEEvT_T0_DpT1_.num_named_barrier, 0
	.set _ZN2at6native12_GLOBAL__N_125multi_tensor_apply_kernelINS1_18TensorListMetadataILi1EEENS1_14UnaryOpFunctorIN3c107complexIfEELi1ELi1ELi0EEEJNS0_4AcosIS8_EEEEEvT_T0_DpT1_.private_seg_size, 16
	.set _ZN2at6native12_GLOBAL__N_125multi_tensor_apply_kernelINS1_18TensorListMetadataILi1EEENS1_14UnaryOpFunctorIN3c107complexIfEELi1ELi1ELi0EEEJNS0_4AcosIS8_EEEEEvT_T0_DpT1_.uses_vcc, 1
	.set _ZN2at6native12_GLOBAL__N_125multi_tensor_apply_kernelINS1_18TensorListMetadataILi1EEENS1_14UnaryOpFunctorIN3c107complexIfEELi1ELi1ELi0EEEJNS0_4AcosIS8_EEEEEvT_T0_DpT1_.uses_flat_scratch, 0
	.set _ZN2at6native12_GLOBAL__N_125multi_tensor_apply_kernelINS1_18TensorListMetadataILi1EEENS1_14UnaryOpFunctorIN3c107complexIfEELi1ELi1ELi0EEEJNS0_4AcosIS8_EEEEEvT_T0_DpT1_.has_dyn_sized_stack, 0
	.set _ZN2at6native12_GLOBAL__N_125multi_tensor_apply_kernelINS1_18TensorListMetadataILi1EEENS1_14UnaryOpFunctorIN3c107complexIfEELi1ELi1ELi0EEEJNS0_4AcosIS8_EEEEEvT_T0_DpT1_.has_recursion, 0
	.set _ZN2at6native12_GLOBAL__N_125multi_tensor_apply_kernelINS1_18TensorListMetadataILi1EEENS1_14UnaryOpFunctorIN3c107complexIfEELi1ELi1ELi0EEEJNS0_4AcosIS8_EEEEEvT_T0_DpT1_.has_indirect_call, 0
	.section	.AMDGPU.csdata,"",@progbits
; Kernel info:
; codeLenInByte = 61692
; TotalNumSgprs: 38
; NumVgprs: 76
; ScratchSize: 16
; MemoryBound: 0
; FloatMode: 240
; IeeeMode: 1
; LDSByteSize: 0 bytes/workgroup (compile time only)
; SGPRBlocks: 0
; VGPRBlocks: 4
; NumSGPRsForWavesPerEU: 38
; NumVGPRsForWavesPerEU: 76
; NamedBarCnt: 0
; Occupancy: 12
; WaveLimiterHint : 0
; COMPUTE_PGM_RSRC2:SCRATCH_EN: 1
; COMPUTE_PGM_RSRC2:USER_SGPR: 2
; COMPUTE_PGM_RSRC2:TRAP_HANDLER: 0
; COMPUTE_PGM_RSRC2:TGID_X_EN: 1
; COMPUTE_PGM_RSRC2:TGID_Y_EN: 0
; COMPUTE_PGM_RSRC2:TGID_Z_EN: 0
; COMPUTE_PGM_RSRC2:TIDIG_COMP_CNT: 0
	.section	.text._ZN2at6native12_GLOBAL__N_125multi_tensor_apply_kernelINS1_18TensorListMetadataILi1EEENS1_14UnaryOpFunctorIN3c104HalfELi1ELi1ELi0EEEJNS0_4AcosIfEEEEEvT_T0_DpT1_,"axG",@progbits,_ZN2at6native12_GLOBAL__N_125multi_tensor_apply_kernelINS1_18TensorListMetadataILi1EEENS1_14UnaryOpFunctorIN3c104HalfELi1ELi1ELi0EEEJNS0_4AcosIfEEEEEvT_T0_DpT1_,comdat
	.globl	_ZN2at6native12_GLOBAL__N_125multi_tensor_apply_kernelINS1_18TensorListMetadataILi1EEENS1_14UnaryOpFunctorIN3c104HalfELi1ELi1ELi0EEEJNS0_4AcosIfEEEEEvT_T0_DpT1_ ; -- Begin function _ZN2at6native12_GLOBAL__N_125multi_tensor_apply_kernelINS1_18TensorListMetadataILi1EEENS1_14UnaryOpFunctorIN3c104HalfELi1ELi1ELi0EEEJNS0_4AcosIfEEEEEvT_T0_DpT1_
	.p2align	8
	.type	_ZN2at6native12_GLOBAL__N_125multi_tensor_apply_kernelINS1_18TensorListMetadataILi1EEENS1_14UnaryOpFunctorIN3c104HalfELi1ELi1ELi0EEEJNS0_4AcosIfEEEEEvT_T0_DpT1_,@function
_ZN2at6native12_GLOBAL__N_125multi_tensor_apply_kernelINS1_18TensorListMetadataILi1EEENS1_14UnaryOpFunctorIN3c104HalfELi1ELi1ELi0EEEJNS0_4AcosIfEEEEEvT_T0_DpT1_: ; @_ZN2at6native12_GLOBAL__N_125multi_tensor_apply_kernelINS1_18TensorListMetadataILi1EEENS1_14UnaryOpFunctorIN3c104HalfELi1ELi1ELi0EEEJNS0_4AcosIfEEEEEvT_T0_DpT1_
; %bb.0:
	s_bfe_u32 s2, ttmp6, 0x4000c
	s_and_b32 s3, ttmp6, 15
	s_add_co_i32 s2, s2, 1
	s_getreg_b32 s4, hwreg(HW_REG_IB_STS2, 6, 4)
	s_mul_i32 s2, ttmp9, s2
	s_delay_alu instid0(SALU_CYCLE_1)
	s_add_co_i32 s3, s3, s2
	s_cmp_eq_u32 s4, 0
	s_cselect_b32 s2, ttmp9, s3
	s_mov_b32 s3, 0
	s_load_u8 s8, s[0:1], s2 offset:0x6e0
	s_add_nc_u64 s[4:5], s[0:1], s[2:3]
	s_mul_u64 s[6:7], s[2:3], 3
	s_delay_alu instid0(SALU_CYCLE_1)
	s_add_nc_u64 s[4:5], s[4:5], s[6:7]
	s_load_b32 s10, s[4:5], 0x820
	s_wait_kmcnt 0x0
	s_clause 0x1
	s_load_b64 s[6:7], s[0:1], s8 offset:0x0 scale_offset
	s_load_b64 s[12:13], s[0:1], s8 offset:0x370 scale_offset
	s_ashr_i32 s11, s10, 31
	s_wait_kmcnt 0x0
	s_and_b64 s[4:5], s[6:7], 7
	s_and_b32 s2, s12, 3
	s_lshl_b64 s[8:9], s[10:11], 17
	s_or_b64 s[2:3], s[4:5], s[2:3]
	s_lshl_b64 s[4:5], s[10:11], 16
	s_cmp_eq_u64 s[2:3], 0
	s_sub_nc_u64 s[10:11], s[12:13], s[4:5]
	s_cbranch_scc1 .LBB50_21
; %bb.1:
	v_cmp_lt_i64_e64 s2, s[10:11], 1
	s_and_b32 vcc_lo, exec_lo, s2
	s_cbranch_vccnz .LBB50_20
; %bb.2:
	s_load_b32 s2, s[0:1], 0xd3c
	v_min_i64 v[2:3], 0x10000, s[10:11]
	v_min_u64 v[4:5], 0x10000, s[10:11]
	v_dual_mov_b32 v1, 0 :: v_dual_lshlrev_b32 v8, 1, v0
	s_mov_b32 s3, 0
	s_add_nc_u64 s[4:5], s[6:7], s[8:9]
	s_mov_b32 s17, s3
	s_delay_alu instid0(VALU_DEP_1)
	v_mov_b32_e32 v15, v1
	s_mov_b32 s19, s3
	s_mov_b32 s13, s3
	;; [unrolled: 1-line block ×3, first 2 shown]
	s_mov_b32 s20, 0.5
	s_mov_b32 s21, -0.5
	s_mov_b32 s22, 0x3d1c21a7
	s_wait_kmcnt 0x0
	s_and_b32 s2, s2, 0xffff
	s_delay_alu instid0(SALU_CYCLE_1)
	v_add_nc_u64_e32 v[6:7], s[2:3], v[0:1]
	v_mov_b32_e32 v9, v1
	s_lshl_b32 s16, s2, 1
	s_mul_i32 s18, s2, 3
	v_add_nc_u64_e32 v[12:13], s[16:17], v[0:1]
	v_add_nc_u64_e32 v[10:11], s[18:19], v[0:1]
	s_lshl_b32 s12, s2, 2
	v_lshlrev_b32_e32 v14, 1, v6
	v_add_nc_u64_e32 v[8:9], s[4:5], v[8:9]
	s_lshl_b32 s14, s2, 3
	s_mul_u64 s[16:17], s[2:3], 6
	s_mov_b64 s[18:19], 0
	v_add_nc_u64_e32 v[14:15], s[4:5], v[14:15]
	s_branch .LBB50_4
.LBB50_3:                               ;   in Loop: Header=BB50_4 Depth=1
	s_wait_xcnt 0x0
	s_or_b32 exec_lo, exec_lo, s3
	s_add_nc_u64 s[18:19], s[18:19], s[12:13]
	v_add_nc_u64_e32 v[8:9], s[14:15], v[8:9]
	v_cmp_lt_i64_e32 vcc_lo, s[18:19], v[2:3]
	v_add_nc_u64_e32 v[14:15], s[14:15], v[14:15]
	s_cbranch_vccz .LBB50_20
.LBB50_4:                               ; =>This Inner Loop Header: Depth=1
	v_add_nc_u64_e32 v[16:17], s[18:19], v[0:1]
	s_wait_loadcnt 0x0
	v_mov_b32_e32 v23, 0
	s_delay_alu instid0(VALU_DEP_2)
	v_cmp_lt_u64_e64 s4, v[16:17], v[4:5]
	s_and_saveexec_b32 s2, s4
	s_cbranch_execz .LBB50_6
; %bb.5:                                ;   in Loop: Header=BB50_4 Depth=1
	global_load_u16 v23, v[8:9], off
.LBB50_6:                               ;   in Loop: Header=BB50_4 Depth=1
	s_wait_xcnt 0x0
	s_or_b32 exec_lo, exec_lo, s2
	v_add_nc_u64_e32 v[16:17], s[18:19], v[6:7]
	v_dual_mov_b32 v21, 0 :: v_dual_mov_b32 v22, 0
	s_delay_alu instid0(VALU_DEP_2)
	v_cmp_lt_u64_e64 s3, v[16:17], v[4:5]
	s_and_saveexec_b32 s2, s3
	s_cbranch_execz .LBB50_8
; %bb.7:                                ;   in Loop: Header=BB50_4 Depth=1
	global_load_u16 v22, v[14:15], off
.LBB50_8:                               ;   in Loop: Header=BB50_4 Depth=1
	s_wait_xcnt 0x0
	s_or_b32 exec_lo, exec_lo, s2
	v_add_nc_u64_e32 v[16:17], s[18:19], v[12:13]
	v_add_nc_u64_e32 v[18:19], s[12:13], v[8:9]
	s_delay_alu instid0(VALU_DEP_2)
	v_cmp_lt_u64_e64 s2, v[16:17], v[4:5]
	s_and_saveexec_b32 s5, s2
	s_cbranch_execz .LBB50_10
; %bb.9:                                ;   in Loop: Header=BB50_4 Depth=1
	global_load_u16 v21, v[18:19], off
.LBB50_10:                              ;   in Loop: Header=BB50_4 Depth=1
	s_wait_xcnt 0x0
	s_or_b32 exec_lo, exec_lo, s5
	v_add_nc_u64_e32 v[16:17], s[18:19], v[10:11]
	v_mov_b32_e32 v20, 0
	s_delay_alu instid0(VALU_DEP_2)
	v_cmp_lt_u64_e32 vcc_lo, v[16:17], v[4:5]
	v_add_nc_u64_e32 v[16:17], s[16:17], v[8:9]
	s_and_saveexec_b32 s5, vcc_lo
	s_cbranch_execnz .LBB50_15
; %bb.11:                               ;   in Loop: Header=BB50_4 Depth=1
	s_or_b32 exec_lo, exec_lo, s5
	s_and_saveexec_b32 s23, s4
	s_cbranch_execnz .LBB50_16
.LBB50_12:                              ;   in Loop: Header=BB50_4 Depth=1
	s_or_b32 exec_lo, exec_lo, s23
	s_and_saveexec_b32 s5, s3
	s_cbranch_execnz .LBB50_17
.LBB50_13:                              ;   in Loop: Header=BB50_4 Depth=1
	s_or_b32 exec_lo, exec_lo, s5
	s_and_saveexec_b32 s4, s2
	s_cbranch_execnz .LBB50_18
.LBB50_14:                              ;   in Loop: Header=BB50_4 Depth=1
	s_or_b32 exec_lo, exec_lo, s4
	s_and_saveexec_b32 s3, vcc_lo
	s_cbranch_execz .LBB50_3
	s_branch .LBB50_19
.LBB50_15:                              ;   in Loop: Header=BB50_4 Depth=1
	global_load_u16 v20, v[16:17], off
	s_wait_xcnt 0x0
	s_or_b32 exec_lo, exec_lo, s5
	s_and_saveexec_b32 s23, s4
	s_cbranch_execz .LBB50_12
.LBB50_16:                              ;   in Loop: Header=BB50_4 Depth=1
	s_wait_loadcnt 0x0
	v_cvt_f32_f16_e32 v24, v23
	v_fma_mix_f32 v25, |v23|, s21, s20 op_sel_hi:[1,0,0]
	v_cmp_gt_f16_e64 s5, 0, v23
	s_delay_alu instid0(VALU_DEP_3) | instskip(SKIP_1) | instid1(VALU_DEP_1)
	v_mul_f32_e32 v26, v24, v24
	v_cmp_gt_f32_e64 s4, |v24|, 0.5
	v_cndmask_b32_e64 v24, v26, v25, s4
	s_delay_alu instid0(VALU_DEP_1) | instskip(SKIP_1) | instid1(VALU_DEP_1)
	v_fmaak_f32 v25, s22, v24, 0x3c5fc5da
	v_sqrt_f32_e32 v26, v24
	v_fmaak_f32 v25, v24, v25, 0x3d034c3c
	s_delay_alu instid0(VALU_DEP_1) | instskip(NEXT) | instid1(VALU_DEP_1)
	v_fmaak_f32 v25, v24, v25, 0x3d3641b1
	v_fmaak_f32 v25, v24, v25, 0x3d999bc8
	s_delay_alu instid0(VALU_DEP_1) | instskip(NEXT) | instid1(VALU_DEP_1)
	v_fmaak_f32 v25, v24, v25, 0x3e2aaaac
	v_mul_f32_e32 v24, v24, v25
	s_delay_alu instid0(TRANS32_DEP_1) | instid1(VALU_DEP_1)
	v_fmac_f32_e32 v26, v26, v24
	v_fma_mix_f32 v24, v23, v24, v23 op_sel_hi:[1,0,1]
	s_delay_alu instid0(VALU_DEP_1) | instskip(NEXT) | instid1(VALU_DEP_1)
	v_dual_add_f32 v25, v26, v26 :: v_dual_sub_f32 v24, 0x3fc90fdb, v24
	v_sub_f32_e32 v26, 0x40490fdb, v25
	s_delay_alu instid0(VALU_DEP_1) | instskip(NEXT) | instid1(VALU_DEP_1)
	v_cndmask_b32_e64 v23, v25, v26, s5
	v_cndmask_b32_e64 v23, v24, v23, s4
	s_delay_alu instid0(VALU_DEP_1)
	v_cvt_f16_f32_e32 v23, v23
	global_store_b16 v[8:9], v23, off
	s_wait_xcnt 0x0
	s_or_b32 exec_lo, exec_lo, s23
	s_and_saveexec_b32 s5, s3
	s_cbranch_execz .LBB50_13
.LBB50_17:                              ;   in Loop: Header=BB50_4 Depth=1
	s_wait_loadcnt 0x0
	v_cvt_f32_f16_e32 v23, v22
	v_fma_mix_f32 v24, |v22|, s21, s20 op_sel_hi:[1,0,0]
	v_cmp_gt_f16_e64 s4, 0, v22
	s_delay_alu instid0(VALU_DEP_3) | instskip(SKIP_1) | instid1(VALU_DEP_1)
	v_mul_f32_e32 v25, v23, v23
	v_cmp_gt_f32_e64 s3, |v23|, 0.5
	v_cndmask_b32_e64 v23, v25, v24, s3
	s_delay_alu instid0(VALU_DEP_1) | instskip(SKIP_1) | instid1(VALU_DEP_1)
	v_fmaak_f32 v24, s22, v23, 0x3c5fc5da
	v_sqrt_f32_e32 v25, v23
	v_fmaak_f32 v24, v23, v24, 0x3d034c3c
	s_delay_alu instid0(VALU_DEP_1) | instskip(NEXT) | instid1(VALU_DEP_1)
	v_fmaak_f32 v24, v23, v24, 0x3d3641b1
	v_fmaak_f32 v24, v23, v24, 0x3d999bc8
	s_delay_alu instid0(VALU_DEP_1) | instskip(NEXT) | instid1(VALU_DEP_1)
	v_fmaak_f32 v24, v23, v24, 0x3e2aaaac
	v_mul_f32_e32 v23, v23, v24
	s_delay_alu instid0(TRANS32_DEP_1) | instid1(VALU_DEP_1)
	v_fmac_f32_e32 v25, v25, v23
	v_fma_mix_f32 v23, v22, v23, v22 op_sel_hi:[1,0,1]
	s_delay_alu instid0(VALU_DEP_1) | instskip(NEXT) | instid1(VALU_DEP_1)
	v_dual_add_f32 v24, v25, v25 :: v_dual_sub_f32 v23, 0x3fc90fdb, v23
	v_sub_f32_e32 v25, 0x40490fdb, v24
	s_delay_alu instid0(VALU_DEP_1) | instskip(NEXT) | instid1(VALU_DEP_1)
	v_cndmask_b32_e64 v22, v24, v25, s4
	v_cndmask_b32_e64 v22, v23, v22, s3
	s_delay_alu instid0(VALU_DEP_1)
	v_cvt_f16_f32_e32 v22, v22
	global_store_b16 v[14:15], v22, off
	s_wait_xcnt 0x0
	s_or_b32 exec_lo, exec_lo, s5
	s_and_saveexec_b32 s4, s2
	s_cbranch_execz .LBB50_14
.LBB50_18:                              ;   in Loop: Header=BB50_4 Depth=1
	s_wait_loadcnt 0x0
	v_cvt_f32_f16_e32 v22, v21
	v_fma_mix_f32 v23, |v21|, s21, s20 op_sel_hi:[1,0,0]
	v_cmp_gt_f16_e64 s3, 0, v21
	s_delay_alu instid0(VALU_DEP_3) | instskip(SKIP_1) | instid1(VALU_DEP_1)
	v_mul_f32_e32 v24, v22, v22
	v_cmp_gt_f32_e64 s2, |v22|, 0.5
	v_cndmask_b32_e64 v22, v24, v23, s2
	s_delay_alu instid0(VALU_DEP_1) | instskip(SKIP_1) | instid1(VALU_DEP_1)
	v_fmaak_f32 v23, s22, v22, 0x3c5fc5da
	v_sqrt_f32_e32 v24, v22
	v_fmaak_f32 v23, v22, v23, 0x3d034c3c
	s_delay_alu instid0(VALU_DEP_1) | instskip(NEXT) | instid1(VALU_DEP_1)
	v_fmaak_f32 v23, v22, v23, 0x3d3641b1
	v_fmaak_f32 v23, v22, v23, 0x3d999bc8
	s_delay_alu instid0(VALU_DEP_1) | instskip(NEXT) | instid1(VALU_DEP_1)
	v_fmaak_f32 v23, v22, v23, 0x3e2aaaac
	v_mul_f32_e32 v22, v22, v23
	s_delay_alu instid0(TRANS32_DEP_1) | instid1(VALU_DEP_1)
	v_fmac_f32_e32 v24, v24, v22
	v_fma_mix_f32 v22, v21, v22, v21 op_sel_hi:[1,0,1]
	s_delay_alu instid0(VALU_DEP_1) | instskip(NEXT) | instid1(VALU_DEP_1)
	v_dual_add_f32 v23, v24, v24 :: v_dual_sub_f32 v22, 0x3fc90fdb, v22
	v_sub_f32_e32 v24, 0x40490fdb, v23
	s_delay_alu instid0(VALU_DEP_1) | instskip(NEXT) | instid1(VALU_DEP_1)
	v_cndmask_b32_e64 v21, v23, v24, s3
	v_cndmask_b32_e64 v21, v22, v21, s2
	s_delay_alu instid0(VALU_DEP_1)
	v_cvt_f16_f32_e32 v21, v21
	global_store_b16 v[18:19], v21, off
	s_wait_xcnt 0x0
	s_or_b32 exec_lo, exec_lo, s4
	s_and_saveexec_b32 s3, vcc_lo
	s_cbranch_execz .LBB50_3
.LBB50_19:                              ;   in Loop: Header=BB50_4 Depth=1
	s_wait_loadcnt 0x0
	v_cvt_f32_f16_e32 v18, v20
	v_fma_mix_f32 v19, |v20|, s21, s20 op_sel_hi:[1,0,0]
	v_cmp_gt_f16_e64 s2, 0, v20
	s_delay_alu instid0(VALU_DEP_3) | instskip(SKIP_1) | instid1(VALU_DEP_2)
	v_mul_f32_e32 v21, v18, v18
	v_cmp_gt_f32_e64 vcc_lo, |v18|, 0.5
	v_cndmask_b32_e32 v18, v21, v19, vcc_lo
	s_delay_alu instid0(VALU_DEP_1) | instskip(SKIP_1) | instid1(VALU_DEP_1)
	v_fmaak_f32 v19, s22, v18, 0x3c5fc5da
	v_sqrt_f32_e32 v21, v18
	v_fmaak_f32 v19, v18, v19, 0x3d034c3c
	s_delay_alu instid0(VALU_DEP_1) | instskip(NEXT) | instid1(VALU_DEP_1)
	v_fmaak_f32 v19, v18, v19, 0x3d3641b1
	v_fmaak_f32 v19, v18, v19, 0x3d999bc8
	s_delay_alu instid0(VALU_DEP_1) | instskip(NEXT) | instid1(VALU_DEP_1)
	v_fmaak_f32 v19, v18, v19, 0x3e2aaaac
	v_mul_f32_e32 v18, v18, v19
	s_delay_alu instid0(TRANS32_DEP_1) | instid1(VALU_DEP_1)
	v_fmac_f32_e32 v21, v21, v18
	v_fma_mix_f32 v18, v20, v18, v20 op_sel_hi:[1,0,1]
	s_delay_alu instid0(VALU_DEP_1) | instskip(NEXT) | instid1(VALU_DEP_1)
	v_dual_sub_f32 v18, 0x3fc90fdb, v18 :: v_dual_add_f32 v19, v21, v21
	v_sub_f32_e32 v21, 0x40490fdb, v19
	s_delay_alu instid0(VALU_DEP_1) | instskip(NEXT) | instid1(VALU_DEP_1)
	v_cndmask_b32_e64 v19, v19, v21, s2
	v_cndmask_b32_e32 v18, v18, v19, vcc_lo
	s_delay_alu instid0(VALU_DEP_1)
	v_cvt_f16_f32_e32 v18, v18
	global_store_b16 v[16:17], v18, off
	s_branch .LBB50_3
.LBB50_20:
	s_cbranch_execz .LBB50_22
	s_branch .LBB50_25
.LBB50_21:
.LBB50_22:
	v_min_i64 v[2:3], 0x10000, s[10:11]
	v_dual_mov_b32 v5, 0 :: v_dual_lshlrev_b32 v4, 2, v0
	s_mov_b32 s2, exec_lo
	s_delay_alu instid0(VALU_DEP_1)
	v_cmpx_lt_i64_e64 v[4:5], v[2:3]
	s_cbranch_execz .LBB50_25
; %bb.23:
	s_load_b32 s2, s[0:1], 0xd3c
	v_dual_mov_b32 v1, v5 :: v_dual_lshlrev_b32 v4, 3, v0
	s_wait_xcnt 0x0
	s_add_nc_u64 s[0:1], s[6:7], s[8:9]
	s_mov_b32 s5, 0
	s_mov_b32 s6, 0x3c5fc5da
	;; [unrolled: 1-line block ×3, first 2 shown]
	v_add_nc_u64_e32 v[4:5], s[0:1], v[4:5]
	s_mov_b32 s10, 0x3d034c3c
	s_mov_b32 s12, 0x3d3641b1
	;; [unrolled: 1-line block ×6, first 2 shown]
	s_wait_kmcnt 0x0
	s_and_b32 s4, s2, 0xffff
	s_delay_alu instid0(SALU_CYCLE_1)
	s_lshl_b32 s18, s4, 3
.LBB50_24:                              ; =>This Inner Loop Header: Depth=1
	global_load_b64 v[6:7], v[4:5], off
	v_add_nc_u64_e32 v[0:1], s[4:5], v[0:1]
	s_wait_loadcnt 0x0
	v_dual_lshrrev_b32 v24, 16, v7 :: v_dual_lshrrev_b32 v25, 16, v6
	v_cvt_f32_f16_e32 v8, v7
	v_cvt_f32_f16_e32 v10, v6
	v_cmp_gt_f16_e64 s3, 0, v7
	s_delay_alu instid0(VALU_DEP_4)
	v_cvt_f32_f16_e32 v9, v24
	v_cvt_f32_f16_e32 v11, v25
	v_and_b32_e32 v12, 0x7fffffff, v8
	v_and_b32_e32 v14, 0x7fffffff, v10
	v_cmp_gt_f32_e64 s0, |v8|, 0.5
	v_and_b32_e32 v13, 0x7fffffff, v9
	v_and_b32_e32 v15, 0x7fffffff, v11
	v_pk_mul_f32 v[16:17], v[8:9], v[8:9]
	v_cmp_gt_f32_e64 vcc_lo, |v9|, 0.5
	v_pk_mul_f32 v[18:19], v[10:11], v[10:11]
	v_pk_fma_f32 v[12:13], v[12:13], -0.5, 0.5 op_sel_hi:[1,0,0]
	v_pk_fma_f32 v[14:15], v[14:15], -0.5, 0.5 op_sel_hi:[1,0,0]
	v_cmp_gt_f32_e64 s1, |v11|, 0.5
	v_cmp_gt_f32_e64 s2, |v10|, 0.5
	s_delay_alu instid0(VALU_DEP_4) | instskip(NEXT) | instid1(VALU_DEP_2)
	v_dual_cndmask_b32 v13, v17, v13, vcc_lo :: v_dual_cndmask_b32 v12, v16, v12, s0
	v_dual_cndmask_b32 v15, v19, v15, s1 :: v_dual_cndmask_b32 v14, v18, v14, s2
	s_delay_alu instid0(VALU_DEP_2) | instskip(NEXT) | instid1(VALU_DEP_2)
	v_sqrt_f32_e32 v23, v13
	v_pk_fma_f32 v[16:17], v[12:13], s[8:9], s[6:7] op_sel_hi:[1,0,0]
	v_sqrt_f32_e32 v22, v12
	s_delay_alu instid0(VALU_DEP_2) | instskip(SKIP_3) | instid1(VALU_DEP_2)
	v_pk_fma_f32 v[18:19], v[14:15], s[8:9], s[6:7] op_sel_hi:[1,0,0]
	v_sqrt_f32_e32 v20, v14
	v_sqrt_f32_e32 v21, v15
	v_pk_fma_f32 v[16:17], v[12:13], v[16:17], s[10:11] op_sel_hi:[1,1,0]
	v_pk_fma_f32 v[18:19], v[14:15], v[18:19], s[10:11] op_sel_hi:[1,1,0]
	s_delay_alu instid0(VALU_DEP_2) | instskip(NEXT) | instid1(VALU_DEP_2)
	v_pk_fma_f32 v[16:17], v[12:13], v[16:17], s[12:13] op_sel_hi:[1,1,0]
	v_pk_fma_f32 v[18:19], v[14:15], v[18:19], s[12:13] op_sel_hi:[1,1,0]
	s_delay_alu instid0(VALU_DEP_2) | instskip(NEXT) | instid1(VALU_DEP_2)
	;; [unrolled: 3-line block ×4, first 2 shown]
	v_pk_mul_f32 v[12:13], v[12:13], v[16:17]
	v_pk_mul_f32 v[14:15], v[14:15], v[18:19]
	s_delay_alu instid0(VALU_DEP_2) | instskip(SKIP_1) | instid1(VALU_DEP_3)
	v_pk_fma_f32 v[16:17], v[22:23], v[12:13], v[22:23]
	v_pk_fma_f32 v[8:9], v[8:9], v[12:13], v[8:9]
	;; [unrolled: 1-line block ×4, first 2 shown]
	s_delay_alu instid0(VALU_DEP_4) | instskip(NEXT) | instid1(VALU_DEP_4)
	v_pk_add_f32 v[12:13], v[16:17], v[16:17]
	v_dual_sub_f32 v8, 0x3fc90fdb, v8 :: v_dual_sub_f32 v9, 0x3fc90fdb, v9
	s_delay_alu instid0(VALU_DEP_4) | instskip(NEXT) | instid1(VALU_DEP_4)
	v_pk_add_f32 v[14:15], v[18:19], v[18:19]
	v_dual_sub_f32 v10, 0x3fc90fdb, v10 :: v_dual_sub_f32 v11, 0x3fc90fdb, v11
	s_delay_alu instid0(VALU_DEP_4) | instskip(NEXT) | instid1(VALU_DEP_3)
	v_dual_sub_f32 v16, 0x40490fdb, v12 :: v_dual_sub_f32 v19, 0x40490fdb, v13
	v_dual_sub_f32 v18, 0x40490fdb, v14 :: v_dual_sub_f32 v17, 0x40490fdb, v15
	s_delay_alu instid0(VALU_DEP_2) | instskip(SKIP_1) | instid1(VALU_DEP_1)
	v_cndmask_b32_e64 v7, v12, v16, s3
	v_cmp_gt_f16_e64 s3, 0, v25
	v_cndmask_b32_e64 v12, v15, v17, s3
	v_cmp_gt_f16_e64 s3, 0, v24
	s_delay_alu instid0(VALU_DEP_1) | instskip(SKIP_1) | instid1(VALU_DEP_1)
	v_cndmask_b32_e64 v13, v13, v19, s3
	v_cmp_gt_f16_e64 s3, 0, v6
	v_dual_cndmask_b32 v6, v14, v18, s3 :: v_dual_cndmask_b32 v11, v11, v12, s1
	s_delay_alu instid0(VALU_DEP_3) | instskip(NEXT) | instid1(VALU_DEP_2)
	v_dual_cndmask_b32 v9, v9, v13, vcc_lo :: v_dual_cndmask_b32 v8, v8, v7, s0
	v_cndmask_b32_e64 v10, v10, v6, s2
	v_lshlrev_b64_e32 v[6:7], 2, v[0:1]
	s_delay_alu instid0(VALU_DEP_3) | instskip(NEXT) | instid1(VALU_DEP_3)
	v_cvt_pk_f16_f32 v9, v8, v9
	v_cvt_pk_f16_f32 v8, v10, v11
	s_delay_alu instid0(VALU_DEP_3) | instskip(SKIP_4) | instid1(SALU_CYCLE_1)
	v_cmp_ge_i64_e32 vcc_lo, v[6:7], v[2:3]
	global_store_b64 v[4:5], v[8:9], off
	s_wait_xcnt 0x0
	v_add_nc_u64_e32 v[4:5], s[18:19], v[4:5]
	s_or_b32 s7, vcc_lo, s7
	s_and_not1_b32 exec_lo, exec_lo, s7
	s_cbranch_execnz .LBB50_24
.LBB50_25:
	s_endpgm
	.section	.rodata,"a",@progbits
	.p2align	6, 0x0
	.amdhsa_kernel _ZN2at6native12_GLOBAL__N_125multi_tensor_apply_kernelINS1_18TensorListMetadataILi1EEENS1_14UnaryOpFunctorIN3c104HalfELi1ELi1ELi0EEEJNS0_4AcosIfEEEEEvT_T0_DpT1_
		.amdhsa_group_segment_fixed_size 0
		.amdhsa_private_segment_fixed_size 0
		.amdhsa_kernarg_size 3632
		.amdhsa_user_sgpr_count 2
		.amdhsa_user_sgpr_dispatch_ptr 0
		.amdhsa_user_sgpr_queue_ptr 0
		.amdhsa_user_sgpr_kernarg_segment_ptr 1
		.amdhsa_user_sgpr_dispatch_id 0
		.amdhsa_user_sgpr_kernarg_preload_length 0
		.amdhsa_user_sgpr_kernarg_preload_offset 0
		.amdhsa_user_sgpr_private_segment_size 0
		.amdhsa_wavefront_size32 1
		.amdhsa_uses_dynamic_stack 0
		.amdhsa_enable_private_segment 0
		.amdhsa_system_sgpr_workgroup_id_x 1
		.amdhsa_system_sgpr_workgroup_id_y 0
		.amdhsa_system_sgpr_workgroup_id_z 0
		.amdhsa_system_sgpr_workgroup_info 0
		.amdhsa_system_vgpr_workitem_id 0
		.amdhsa_next_free_vgpr 27
		.amdhsa_next_free_sgpr 24
		.amdhsa_named_barrier_count 0
		.amdhsa_reserve_vcc 1
		.amdhsa_float_round_mode_32 0
		.amdhsa_float_round_mode_16_64 0
		.amdhsa_float_denorm_mode_32 3
		.amdhsa_float_denorm_mode_16_64 3
		.amdhsa_fp16_overflow 0
		.amdhsa_memory_ordered 1
		.amdhsa_forward_progress 1
		.amdhsa_inst_pref_size 17
		.amdhsa_round_robin_scheduling 0
		.amdhsa_exception_fp_ieee_invalid_op 0
		.amdhsa_exception_fp_denorm_src 0
		.amdhsa_exception_fp_ieee_div_zero 0
		.amdhsa_exception_fp_ieee_overflow 0
		.amdhsa_exception_fp_ieee_underflow 0
		.amdhsa_exception_fp_ieee_inexact 0
		.amdhsa_exception_int_div_zero 0
	.end_amdhsa_kernel
	.section	.text._ZN2at6native12_GLOBAL__N_125multi_tensor_apply_kernelINS1_18TensorListMetadataILi1EEENS1_14UnaryOpFunctorIN3c104HalfELi1ELi1ELi0EEEJNS0_4AcosIfEEEEEvT_T0_DpT1_,"axG",@progbits,_ZN2at6native12_GLOBAL__N_125multi_tensor_apply_kernelINS1_18TensorListMetadataILi1EEENS1_14UnaryOpFunctorIN3c104HalfELi1ELi1ELi0EEEJNS0_4AcosIfEEEEEvT_T0_DpT1_,comdat
.Lfunc_end50:
	.size	_ZN2at6native12_GLOBAL__N_125multi_tensor_apply_kernelINS1_18TensorListMetadataILi1EEENS1_14UnaryOpFunctorIN3c104HalfELi1ELi1ELi0EEEJNS0_4AcosIfEEEEEvT_T0_DpT1_, .Lfunc_end50-_ZN2at6native12_GLOBAL__N_125multi_tensor_apply_kernelINS1_18TensorListMetadataILi1EEENS1_14UnaryOpFunctorIN3c104HalfELi1ELi1ELi0EEEJNS0_4AcosIfEEEEEvT_T0_DpT1_
                                        ; -- End function
	.set _ZN2at6native12_GLOBAL__N_125multi_tensor_apply_kernelINS1_18TensorListMetadataILi1EEENS1_14UnaryOpFunctorIN3c104HalfELi1ELi1ELi0EEEJNS0_4AcosIfEEEEEvT_T0_DpT1_.num_vgpr, 27
	.set _ZN2at6native12_GLOBAL__N_125multi_tensor_apply_kernelINS1_18TensorListMetadataILi1EEENS1_14UnaryOpFunctorIN3c104HalfELi1ELi1ELi0EEEJNS0_4AcosIfEEEEEvT_T0_DpT1_.num_agpr, 0
	.set _ZN2at6native12_GLOBAL__N_125multi_tensor_apply_kernelINS1_18TensorListMetadataILi1EEENS1_14UnaryOpFunctorIN3c104HalfELi1ELi1ELi0EEEJNS0_4AcosIfEEEEEvT_T0_DpT1_.numbered_sgpr, 24
	.set _ZN2at6native12_GLOBAL__N_125multi_tensor_apply_kernelINS1_18TensorListMetadataILi1EEENS1_14UnaryOpFunctorIN3c104HalfELi1ELi1ELi0EEEJNS0_4AcosIfEEEEEvT_T0_DpT1_.num_named_barrier, 0
	.set _ZN2at6native12_GLOBAL__N_125multi_tensor_apply_kernelINS1_18TensorListMetadataILi1EEENS1_14UnaryOpFunctorIN3c104HalfELi1ELi1ELi0EEEJNS0_4AcosIfEEEEEvT_T0_DpT1_.private_seg_size, 0
	.set _ZN2at6native12_GLOBAL__N_125multi_tensor_apply_kernelINS1_18TensorListMetadataILi1EEENS1_14UnaryOpFunctorIN3c104HalfELi1ELi1ELi0EEEJNS0_4AcosIfEEEEEvT_T0_DpT1_.uses_vcc, 1
	.set _ZN2at6native12_GLOBAL__N_125multi_tensor_apply_kernelINS1_18TensorListMetadataILi1EEENS1_14UnaryOpFunctorIN3c104HalfELi1ELi1ELi0EEEJNS0_4AcosIfEEEEEvT_T0_DpT1_.uses_flat_scratch, 0
	.set _ZN2at6native12_GLOBAL__N_125multi_tensor_apply_kernelINS1_18TensorListMetadataILi1EEENS1_14UnaryOpFunctorIN3c104HalfELi1ELi1ELi0EEEJNS0_4AcosIfEEEEEvT_T0_DpT1_.has_dyn_sized_stack, 0
	.set _ZN2at6native12_GLOBAL__N_125multi_tensor_apply_kernelINS1_18TensorListMetadataILi1EEENS1_14UnaryOpFunctorIN3c104HalfELi1ELi1ELi0EEEJNS0_4AcosIfEEEEEvT_T0_DpT1_.has_recursion, 0
	.set _ZN2at6native12_GLOBAL__N_125multi_tensor_apply_kernelINS1_18TensorListMetadataILi1EEENS1_14UnaryOpFunctorIN3c104HalfELi1ELi1ELi0EEEJNS0_4AcosIfEEEEEvT_T0_DpT1_.has_indirect_call, 0
	.section	.AMDGPU.csdata,"",@progbits
; Kernel info:
; codeLenInByte = 2148
; TotalNumSgprs: 26
; NumVgprs: 27
; ScratchSize: 0
; MemoryBound: 0
; FloatMode: 240
; IeeeMode: 1
; LDSByteSize: 0 bytes/workgroup (compile time only)
; SGPRBlocks: 0
; VGPRBlocks: 1
; NumSGPRsForWavesPerEU: 26
; NumVGPRsForWavesPerEU: 27
; NamedBarCnt: 0
; Occupancy: 16
; WaveLimiterHint : 0
; COMPUTE_PGM_RSRC2:SCRATCH_EN: 0
; COMPUTE_PGM_RSRC2:USER_SGPR: 2
; COMPUTE_PGM_RSRC2:TRAP_HANDLER: 0
; COMPUTE_PGM_RSRC2:TGID_X_EN: 1
; COMPUTE_PGM_RSRC2:TGID_Y_EN: 0
; COMPUTE_PGM_RSRC2:TGID_Z_EN: 0
; COMPUTE_PGM_RSRC2:TIDIG_COMP_CNT: 0
	.section	.text._ZN2at6native12_GLOBAL__N_125multi_tensor_apply_kernelINS1_18TensorListMetadataILi1EEENS1_14UnaryOpFunctorIN3c108BFloat16ELi1ELi1ELi0EEEJNS0_4AcosIfEEEEEvT_T0_DpT1_,"axG",@progbits,_ZN2at6native12_GLOBAL__N_125multi_tensor_apply_kernelINS1_18TensorListMetadataILi1EEENS1_14UnaryOpFunctorIN3c108BFloat16ELi1ELi1ELi0EEEJNS0_4AcosIfEEEEEvT_T0_DpT1_,comdat
	.globl	_ZN2at6native12_GLOBAL__N_125multi_tensor_apply_kernelINS1_18TensorListMetadataILi1EEENS1_14UnaryOpFunctorIN3c108BFloat16ELi1ELi1ELi0EEEJNS0_4AcosIfEEEEEvT_T0_DpT1_ ; -- Begin function _ZN2at6native12_GLOBAL__N_125multi_tensor_apply_kernelINS1_18TensorListMetadataILi1EEENS1_14UnaryOpFunctorIN3c108BFloat16ELi1ELi1ELi0EEEJNS0_4AcosIfEEEEEvT_T0_DpT1_
	.p2align	8
	.type	_ZN2at6native12_GLOBAL__N_125multi_tensor_apply_kernelINS1_18TensorListMetadataILi1EEENS1_14UnaryOpFunctorIN3c108BFloat16ELi1ELi1ELi0EEEJNS0_4AcosIfEEEEEvT_T0_DpT1_,@function
_ZN2at6native12_GLOBAL__N_125multi_tensor_apply_kernelINS1_18TensorListMetadataILi1EEENS1_14UnaryOpFunctorIN3c108BFloat16ELi1ELi1ELi0EEEJNS0_4AcosIfEEEEEvT_T0_DpT1_: ; @_ZN2at6native12_GLOBAL__N_125multi_tensor_apply_kernelINS1_18TensorListMetadataILi1EEENS1_14UnaryOpFunctorIN3c108BFloat16ELi1ELi1ELi0EEEJNS0_4AcosIfEEEEEvT_T0_DpT1_
; %bb.0:
	s_bfe_u32 s2, ttmp6, 0x4000c
	s_and_b32 s3, ttmp6, 15
	s_add_co_i32 s2, s2, 1
	s_getreg_b32 s4, hwreg(HW_REG_IB_STS2, 6, 4)
	s_mul_i32 s2, ttmp9, s2
	s_delay_alu instid0(SALU_CYCLE_1)
	s_add_co_i32 s3, s3, s2
	s_cmp_eq_u32 s4, 0
	s_cselect_b32 s2, ttmp9, s3
	s_mov_b32 s3, 0
	s_load_u8 s8, s[0:1], s2 offset:0x6e0
	s_add_nc_u64 s[4:5], s[0:1], s[2:3]
	s_mul_u64 s[6:7], s[2:3], 3
	s_delay_alu instid0(SALU_CYCLE_1)
	s_add_nc_u64 s[4:5], s[4:5], s[6:7]
	s_load_b32 s10, s[4:5], 0x820
	s_wait_kmcnt 0x0
	s_clause 0x1
	s_load_b64 s[6:7], s[0:1], s8 offset:0x0 scale_offset
	s_load_b64 s[12:13], s[0:1], s8 offset:0x370 scale_offset
	s_ashr_i32 s11, s10, 31
	s_wait_kmcnt 0x0
	s_and_b64 s[4:5], s[6:7], 7
	s_and_b32 s2, s12, 3
	s_lshl_b64 s[8:9], s[10:11], 17
	s_or_b64 s[2:3], s[4:5], s[2:3]
	s_lshl_b64 s[4:5], s[10:11], 16
	s_cmp_eq_u64 s[2:3], 0
	s_sub_nc_u64 s[10:11], s[12:13], s[4:5]
	s_cbranch_scc1 .LBB51_21
; %bb.1:
	v_cmp_lt_i64_e64 s2, s[10:11], 1
	s_and_b32 vcc_lo, exec_lo, s2
	s_cbranch_vccnz .LBB51_20
; %bb.2:
	s_load_b32 s2, s[0:1], 0xd3c
	v_min_i64 v[2:3], 0x10000, s[10:11]
	v_min_u64 v[4:5], 0x10000, s[10:11]
	v_dual_mov_b32 v1, 0 :: v_dual_lshlrev_b32 v8, 1, v0
	s_mov_b32 s3, 0
	s_add_nc_u64 s[4:5], s[6:7], s[8:9]
	s_mov_b32 s25, s3
	s_delay_alu instid0(VALU_DEP_1) | instskip(SKIP_3) | instid1(VALU_DEP_1)
	v_dual_mov_b32 v9, v1 :: v_dual_mov_b32 v15, v1
	s_mov_b32 s27, s3
	s_mov_b64 s[12:13], 0
	s_mov_b32 s14, 0x3d1c21a7
	v_add_nc_u64_e32 v[8:9], s[4:5], v[8:9]
	s_mov_b32 s16, 0x40490fdb
	s_mov_b32 s19, s3
	s_mov_b32 s21, s3
	s_mov_b32 s28, 0x3d034c3c
	s_mov_b32 s30, 0x3d3641b1
	s_mov_b32 s34, 0x3d999bc8
	s_wait_kmcnt 0x0
	s_and_b32 s2, s2, 0xffff
	s_mov_b32 s36, 0x3e2aaaac
	v_add_nc_u64_e32 v[6:7], s[2:3], v[0:1]
	s_lshl_b32 s24, s2, 1
	s_mul_i32 s26, s2, 3
	v_add_nc_u64_e32 v[12:13], s[24:25], v[0:1]
	v_add_nc_u64_e32 v[10:11], s[26:27], v[0:1]
	s_lshl_b32 s18, s2, 2
	s_lshl_b32 s20, s2, 3
	v_lshlrev_b32_e32 v14, 1, v6
	s_mul_u64 s[22:23], s[2:3], 6
	s_mov_b32 s24, 0x3fc90fdb
	s_mov_b32 s26, 0x3c5fc5da
	s_delay_alu instid0(VALU_DEP_1)
	v_add_nc_u64_e32 v[14:15], s[4:5], v[14:15]
	s_branch .LBB51_4
.LBB51_3:                               ;   in Loop: Header=BB51_4 Depth=1
	s_wait_xcnt 0x0
	s_or_b32 exec_lo, exec_lo, s4
	s_add_nc_u64 s[12:13], s[12:13], s[18:19]
	v_add_nc_u64_e32 v[8:9], s[20:21], v[8:9]
	v_cmp_lt_i64_e32 vcc_lo, s[12:13], v[2:3]
	v_add_nc_u64_e32 v[14:15], s[20:21], v[14:15]
	s_cbranch_vccz .LBB51_20
.LBB51_4:                               ; =>This Inner Loop Header: Depth=1
	v_add_nc_u64_e32 v[16:17], s[12:13], v[0:1]
	v_mov_b32_e32 v23, 0
	s_delay_alu instid0(VALU_DEP_2)
	v_cmp_lt_u64_e64 s4, v[16:17], v[4:5]
	s_and_saveexec_b32 s2, s4
	s_cbranch_execz .LBB51_6
; %bb.5:                                ;   in Loop: Header=BB51_4 Depth=1
	global_load_u16 v16, v[8:9], off
	s_wait_loadcnt 0x0
	v_lshlrev_b32_e32 v23, 16, v16
.LBB51_6:                               ;   in Loop: Header=BB51_4 Depth=1
	s_wait_xcnt 0x0
	s_or_b32 exec_lo, exec_lo, s2
	v_add_nc_u64_e32 v[16:17], s[12:13], v[6:7]
	v_dual_mov_b32 v19, 0 :: v_dual_mov_b32 v22, 0
	s_delay_alu instid0(VALU_DEP_2)
	v_cmp_lt_u64_e64 s3, v[16:17], v[4:5]
	s_and_saveexec_b32 s2, s3
	s_cbranch_execz .LBB51_8
; %bb.7:                                ;   in Loop: Header=BB51_4 Depth=1
	global_load_u16 v16, v[14:15], off
	s_wait_loadcnt 0x0
	v_lshlrev_b32_e32 v22, 16, v16
.LBB51_8:                               ;   in Loop: Header=BB51_4 Depth=1
	s_wait_xcnt 0x0
	s_or_b32 exec_lo, exec_lo, s2
	v_add_nc_u64_e32 v[16:17], s[12:13], v[12:13]
	s_delay_alu instid0(VALU_DEP_1)
	v_cmp_lt_u64_e32 vcc_lo, v[16:17], v[4:5]
	v_add_nc_u64_e32 v[16:17], s[18:19], v[8:9]
	s_and_saveexec_b32 s2, vcc_lo
	s_cbranch_execz .LBB51_10
; %bb.9:                                ;   in Loop: Header=BB51_4 Depth=1
	global_load_u16 v18, v[16:17], off
	s_wait_loadcnt 0x0
	v_lshlrev_b32_e32 v19, 16, v18
.LBB51_10:                              ;   in Loop: Header=BB51_4 Depth=1
	s_wait_xcnt 0x0
	s_or_b32 exec_lo, exec_lo, s2
	v_add_nc_u64_e32 v[20:21], s[12:13], v[10:11]
	v_mov_b32_e32 v18, 0
	s_delay_alu instid0(VALU_DEP_2)
	v_cmp_lt_u64_e64 s2, v[20:21], v[4:5]
	v_add_nc_u64_e32 v[20:21], s[22:23], v[8:9]
	s_and_saveexec_b32 s5, s2
	s_cbranch_execnz .LBB51_18
; %bb.11:                               ;   in Loop: Header=BB51_4 Depth=1
	s_or_b32 exec_lo, exec_lo, s5
	s_and_saveexec_b32 s15, s4
	s_cbranch_execnz .LBB51_19
.LBB51_12:                              ;   in Loop: Header=BB51_4 Depth=1
	s_or_b32 exec_lo, exec_lo, s15
	s_and_saveexec_b32 s5, s3
	s_cbranch_execz .LBB51_14
.LBB51_13:                              ;   in Loop: Header=BB51_4 Depth=1
	v_fma_f32 v23, |v22|, -0.5, 0.5
	v_mul_f32_e32 v24, v22, v22
	v_cmp_gt_f32_e64 s3, |v22|, 0.5
	v_cmp_gt_f32_e64 s4, 0, v22
	s_delay_alu instid0(VALU_DEP_2) | instskip(NEXT) | instid1(VALU_DEP_1)
	v_cndmask_b32_e64 v23, v24, v23, s3
	v_fmaak_f32 v24, s14, v23, 0x3c5fc5da
	v_sqrt_f32_e32 v25, v23
	s_delay_alu instid0(VALU_DEP_1) | instskip(NEXT) | instid1(VALU_DEP_1)
	v_fmaak_f32 v24, v23, v24, 0x3d034c3c
	v_fmaak_f32 v24, v23, v24, 0x3d3641b1
	s_delay_alu instid0(VALU_DEP_1) | instskip(NEXT) | instid1(VALU_DEP_1)
	v_fmaak_f32 v24, v23, v24, 0x3d999bc8
	v_fmaak_f32 v24, v23, v24, 0x3e2aaaac
	s_delay_alu instid0(VALU_DEP_1) | instskip(NEXT) | instid1(VALU_DEP_1)
	v_mul_f32_e32 v23, v23, v24
	v_fmac_f32_e32 v22, v22, v23
	s_delay_alu instid0(VALU_DEP_1) | instskip(NEXT) | instid1(VALU_DEP_1)
	v_dual_sub_f32 v22, 0x3fc90fdb, v22 :: v_dual_fmac_f32 v25, v25, v23
	v_add_f32_e32 v24, v25, v25
	s_delay_alu instid0(VALU_DEP_1) | instskip(NEXT) | instid1(VALU_DEP_1)
	v_sub_f32_e32 v25, 0x40490fdb, v24
	v_cndmask_b32_e64 v23, v24, v25, s4
	s_delay_alu instid0(VALU_DEP_1) | instskip(NEXT) | instid1(VALU_DEP_1)
	v_cndmask_b32_e64 v22, v22, v23, s3
	v_bfe_u32 v23, v22, 16, 1
	v_cmp_o_f32_e64 s3, v22, v22
	s_delay_alu instid0(VALU_DEP_2) | instskip(NEXT) | instid1(VALU_DEP_1)
	v_add3_u32 v23, v22, v23, 0x7fff
	v_lshrrev_b32_e32 v23, 16, v23
	s_delay_alu instid0(VALU_DEP_1)
	v_cndmask_b32_e64 v22, 0x7fc0, v23, s3
	global_store_b16 v[14:15], v22, off
.LBB51_14:                              ;   in Loop: Header=BB51_4 Depth=1
	s_wait_xcnt 0x0
	s_or_b32 exec_lo, exec_lo, s5
	v_and_b32_e32 v23, 0x7fffffff, v19
	v_and_b32_e32 v22, 0x7fffffff, v18
	v_pk_mul_f32 v[24:25], v[18:19], v[18:19]
	v_cmp_gt_f32_e64 s3, |v19|, 0.5
	v_cmp_gt_f32_e64 s4, |v18|, 0.5
	v_cmp_gt_f32_e64 s5, 0, v19
	v_pk_fma_f32 v[22:23], v[22:23], -0.5, 0.5 op_sel_hi:[1,0,0]
	s_delay_alu instid0(VALU_DEP_1) | instskip(NEXT) | instid1(VALU_DEP_1)
	v_dual_cndmask_b32 v23, v25, v23, s3 :: v_dual_cndmask_b32 v22, v24, v22, s4
	v_sqrt_f32_e32 v27, v23
	s_delay_alu instid0(VALU_DEP_1) | instskip(SKIP_1) | instid1(VALU_DEP_1)
	v_pk_fma_f32 v[24:25], v[22:23], s[14:15], s[26:27] op_sel_hi:[1,0,0]
	v_sqrt_f32_e32 v26, v22
	v_pk_fma_f32 v[24:25], v[22:23], v[24:25], s[28:29] op_sel_hi:[1,1,0]
	s_delay_alu instid0(VALU_DEP_1) | instskip(NEXT) | instid1(VALU_DEP_1)
	v_pk_fma_f32 v[24:25], v[22:23], v[24:25], s[30:31] op_sel_hi:[1,1,0]
	v_pk_fma_f32 v[24:25], v[22:23], v[24:25], s[34:35] op_sel_hi:[1,1,0]
	s_delay_alu instid0(VALU_DEP_1) | instskip(NEXT) | instid1(VALU_DEP_1)
	v_pk_fma_f32 v[24:25], v[22:23], v[24:25], s[36:37] op_sel_hi:[1,1,0]
	v_pk_mul_f32 v[22:23], v[22:23], v[24:25]
	s_delay_alu instid0(TRANS32_DEP_1) | instid1(VALU_DEP_1)
	v_pk_fma_f32 v[24:25], v[26:27], v[22:23], v[26:27]
	v_pk_fma_f32 v[22:23], v[18:19], v[22:23], v[18:19]
	s_delay_alu instid0(VALU_DEP_2) | instskip(NEXT) | instid1(VALU_DEP_2)
	v_pk_add_f32 v[24:25], v[24:25], v[24:25]
	v_pk_add_f32 v[22:23], v[22:23], s[24:25] op_sel_hi:[1,0] neg_lo:[1,0] neg_hi:[1,0]
	s_delay_alu instid0(VALU_DEP_2) | instskip(NEXT) | instid1(VALU_DEP_1)
	v_pk_add_f32 v[26:27], v[24:25], s[16:17] op_sel_hi:[1,0] neg_lo:[1,0] neg_hi:[1,0]
	v_cndmask_b32_e64 v19, v25, v27, s5
	v_cmp_gt_f32_e64 s5, 0, v18
	s_delay_alu instid0(VALU_DEP_1) | instskip(NEXT) | instid1(VALU_DEP_1)
	v_dual_cndmask_b32 v18, v24, v26, s5 :: v_dual_cndmask_b32 v19, v23, v19, s3
	v_cndmask_b32_e64 v18, v22, v18, s4
	s_delay_alu instid0(VALU_DEP_2) | instskip(NEXT) | instid1(VALU_DEP_2)
	v_cmp_u_f32_e64 s4, v19, v19
	v_cmp_u_f32_e64 s3, v18, v18
	s_and_saveexec_b32 s5, vcc_lo
	s_cbranch_execz .LBB51_16
; %bb.15:                               ;   in Loop: Header=BB51_4 Depth=1
	v_bfe_u32 v22, v19, 16, 1
	s_delay_alu instid0(VALU_DEP_1) | instskip(NEXT) | instid1(VALU_DEP_1)
	v_add3_u32 v19, v19, v22, 0x7fff
	v_lshrrev_b32_e32 v19, 16, v19
	s_delay_alu instid0(VALU_DEP_1)
	v_cndmask_b32_e64 v19, v19, 0x7fc0, s4
	global_store_b16 v[16:17], v19, off
.LBB51_16:                              ;   in Loop: Header=BB51_4 Depth=1
	s_wait_xcnt 0x0
	s_or_b32 exec_lo, exec_lo, s5
	s_and_saveexec_b32 s4, s2
	s_cbranch_execz .LBB51_3
; %bb.17:                               ;   in Loop: Header=BB51_4 Depth=1
	v_bfe_u32 v16, v18, 16, 1
	s_delay_alu instid0(VALU_DEP_1) | instskip(NEXT) | instid1(VALU_DEP_1)
	v_add3_u32 v16, v18, v16, 0x7fff
	v_lshrrev_b32_e32 v16, 16, v16
	s_delay_alu instid0(VALU_DEP_1)
	v_cndmask_b32_e64 v16, v16, 0x7fc0, s3
	global_store_b16 v[20:21], v16, off
	s_branch .LBB51_3
.LBB51_18:                              ;   in Loop: Header=BB51_4 Depth=1
	global_load_u16 v18, v[20:21], off
	s_wait_loadcnt 0x0
	v_lshlrev_b32_e32 v18, 16, v18
	s_wait_xcnt 0x0
	s_or_b32 exec_lo, exec_lo, s5
	s_and_saveexec_b32 s15, s4
	s_cbranch_execz .LBB51_12
.LBB51_19:                              ;   in Loop: Header=BB51_4 Depth=1
	v_fma_f32 v24, |v23|, -0.5, 0.5
	v_mul_f32_e32 v25, v23, v23
	v_cmp_gt_f32_e64 s4, |v23|, 0.5
	v_cmp_gt_f32_e64 s5, 0, v23
	s_delay_alu instid0(VALU_DEP_2) | instskip(NEXT) | instid1(VALU_DEP_1)
	v_cndmask_b32_e64 v24, v25, v24, s4
	v_fmaak_f32 v25, s14, v24, 0x3c5fc5da
	v_sqrt_f32_e32 v26, v24
	s_delay_alu instid0(VALU_DEP_1) | instskip(NEXT) | instid1(VALU_DEP_1)
	v_fmaak_f32 v25, v24, v25, 0x3d034c3c
	v_fmaak_f32 v25, v24, v25, 0x3d3641b1
	s_delay_alu instid0(VALU_DEP_1) | instskip(NEXT) | instid1(VALU_DEP_1)
	v_fmaak_f32 v25, v24, v25, 0x3d999bc8
	v_fmaak_f32 v25, v24, v25, 0x3e2aaaac
	s_delay_alu instid0(VALU_DEP_1) | instskip(NEXT) | instid1(VALU_DEP_1)
	v_mul_f32_e32 v24, v24, v25
	v_fmac_f32_e32 v23, v23, v24
	s_delay_alu instid0(VALU_DEP_1) | instskip(NEXT) | instid1(VALU_DEP_1)
	v_dual_sub_f32 v23, 0x3fc90fdb, v23 :: v_dual_fmac_f32 v26, v26, v24
	v_add_f32_e32 v25, v26, v26
	s_delay_alu instid0(VALU_DEP_1) | instskip(NEXT) | instid1(VALU_DEP_1)
	v_sub_f32_e32 v26, 0x40490fdb, v25
	v_cndmask_b32_e64 v24, v25, v26, s5
	s_delay_alu instid0(VALU_DEP_1) | instskip(NEXT) | instid1(VALU_DEP_1)
	v_cndmask_b32_e64 v23, v23, v24, s4
	v_bfe_u32 v24, v23, 16, 1
	v_cmp_o_f32_e64 s4, v23, v23
	s_delay_alu instid0(VALU_DEP_2) | instskip(NEXT) | instid1(VALU_DEP_1)
	v_add3_u32 v24, v23, v24, 0x7fff
	v_lshrrev_b32_e32 v24, 16, v24
	s_delay_alu instid0(VALU_DEP_1)
	v_cndmask_b32_e64 v23, 0x7fc0, v24, s4
	global_store_b16 v[8:9], v23, off
	s_wait_xcnt 0x0
	s_or_b32 exec_lo, exec_lo, s15
	s_and_saveexec_b32 s5, s3
	s_cbranch_execnz .LBB51_13
	s_branch .LBB51_14
.LBB51_20:
	s_cbranch_execz .LBB51_22
	s_branch .LBB51_25
.LBB51_21:
.LBB51_22:
	v_min_i64 v[2:3], 0x10000, s[10:11]
	v_dual_mov_b32 v5, 0 :: v_dual_lshlrev_b32 v4, 2, v0
	s_mov_b32 s2, exec_lo
	s_delay_alu instid0(VALU_DEP_1)
	v_cmpx_lt_i64_e64 v[4:5], v[2:3]
	s_cbranch_execz .LBB51_25
; %bb.23:
	s_load_b32 s2, s[0:1], 0xd3c
	v_dual_mov_b32 v1, v5 :: v_dual_lshlrev_b32 v4, 3, v0
	s_wait_xcnt 0x0
	s_add_nc_u64 s[0:1], s[6:7], s[8:9]
	s_mov_b32 s5, 0
	s_mov_b32 s6, 0x3c5fc5da
	s_mov_b32 s8, 0x3d1c21a7
	v_add_nc_u64_e32 v[4:5], s[0:1], v[4:5]
	s_mov_b32 s10, 0x3d034c3c
	s_mov_b32 s12, 0x3d3641b1
	;; [unrolled: 1-line block ×6, first 2 shown]
	s_wait_kmcnt 0x0
	s_and_b32 s4, s2, 0xffff
	s_delay_alu instid0(SALU_CYCLE_1)
	s_lshl_b32 s18, s4, 3
.LBB51_24:                              ; =>This Inner Loop Header: Depth=1
	global_load_b64 v[6:7], v[4:5], off
	v_add_nc_u64_e32 v[0:1], s[4:5], v[0:1]
	s_wait_loadcnt 0x0
	v_and_b32_e32 v9, 0xffff0000, v6
	v_alignbit_b32 v10, v7, v6, 16
	v_and_b32_e32 v7, 0xffff0000, v7
	s_delay_alu instid0(VALU_DEP_3) | instskip(SKIP_1) | instid1(VALU_DEP_4)
	v_cmp_gt_f32_e64 vcc_lo, |v9|, 0.5
	v_lshlrev_b32_e32 v8, 16, v6
	v_and_b32_e32 v6, 0xffff0000, v10
	v_and_b32_e32 v11, 0x7fffffff, v9
	;; [unrolled: 1-line block ×3, first 2 shown]
	v_cmp_gt_f32_e64 s2, |v7|, 0.5
	v_and_b32_e32 v10, 0x7fffffff, v8
	v_pk_mul_f32 v[14:15], v[8:9], v[8:9]
	v_and_b32_e32 v12, 0x7fffffff, v6
	v_pk_mul_f32 v[16:17], v[6:7], v[6:7]
	v_cmp_gt_f32_e64 s1, |v6|, 0.5
	v_pk_fma_f32 v[10:11], v[10:11], -0.5, 0.5 op_sel_hi:[1,0,0]
	v_cmp_gt_f32_e64 s3, 0, v9
	v_pk_fma_f32 v[12:13], v[12:13], -0.5, 0.5 op_sel_hi:[1,0,0]
	s_delay_alu instid0(VALU_DEP_3) | instskip(SKIP_1) | instid1(VALU_DEP_3)
	v_cndmask_b32_e32 v11, v15, v11, vcc_lo
	v_cmp_gt_f32_e64 s0, |v8|, 0.5
	v_dual_cndmask_b32 v13, v17, v13, s2 :: v_dual_cndmask_b32 v12, v16, v12, s1
	s_delay_alu instid0(VALU_DEP_3) | instskip(NEXT) | instid1(VALU_DEP_2)
	v_sqrt_f32_e32 v19, v11
	v_cndmask_b32_e64 v10, v14, v10, s0
	s_delay_alu instid0(VALU_DEP_2) | instskip(NEXT) | instid1(VALU_DEP_2)
	v_pk_fma_f32 v[16:17], v[12:13], s[8:9], s[6:7] op_sel_hi:[1,0,0]
	v_pk_fma_f32 v[14:15], v[10:11], s[8:9], s[6:7] op_sel_hi:[1,0,0]
	v_sqrt_f32_e32 v18, v10
	s_delay_alu instid0(VALU_DEP_2) | instskip(NEXT) | instid1(VALU_DEP_2)
	v_pk_fma_f32 v[16:17], v[12:13], v[16:17], s[10:11] op_sel_hi:[1,1,0]
	v_pk_fma_f32 v[14:15], v[10:11], v[14:15], s[10:11] op_sel_hi:[1,1,0]
	s_delay_alu instid0(VALU_DEP_2) | instskip(NEXT) | instid1(VALU_DEP_2)
	v_pk_fma_f32 v[16:17], v[12:13], v[16:17], s[12:13] op_sel_hi:[1,1,0]
	v_pk_fma_f32 v[14:15], v[10:11], v[14:15], s[12:13] op_sel_hi:[1,1,0]
	;; [unrolled: 3-line block ×4, first 2 shown]
	s_delay_alu instid0(VALU_DEP_1)
	v_pk_mul_f32 v[10:11], v[10:11], v[14:15]
	v_sqrt_f32_e32 v14, v12
	v_sqrt_f32_e32 v15, v13
	v_nop
	v_pk_mul_f32 v[12:13], v[12:13], v[16:17]
	v_pk_fma_f32 v[16:17], v[18:19], v[10:11], v[18:19]
	v_pk_fma_f32 v[10:11], v[8:9], v[10:11], v[8:9]
	s_delay_alu instid0(TRANS32_DEP_1) | instid1(VALU_DEP_3)
	v_pk_fma_f32 v[14:15], v[14:15], v[12:13], v[14:15]
	s_delay_alu instid0(VALU_DEP_3) | instskip(NEXT) | instid1(VALU_DEP_3)
	v_pk_add_f32 v[16:17], v[16:17], v[16:17]
	v_dual_sub_f32 v18, 0x3fc90fdb, v11 :: v_dual_sub_f32 v19, 0x3fc90fdb, v10
	v_pk_fma_f32 v[12:13], v[6:7], v[12:13], v[6:7]
	s_delay_alu instid0(VALU_DEP_4) | instskip(NEXT) | instid1(VALU_DEP_4)
	v_pk_add_f32 v[10:11], v[14:15], v[14:15]
	v_dual_sub_f32 v14, 0x40490fdb, v16 :: v_dual_sub_f32 v15, 0x40490fdb, v17
	s_delay_alu instid0(VALU_DEP_3) | instskip(NEXT) | instid1(VALU_DEP_3)
	v_dual_sub_f32 v13, 0x3fc90fdb, v13 :: v_dual_sub_f32 v12, 0x3fc90fdb, v12
	v_dual_sub_f32 v20, 0x40490fdb, v10 :: v_dual_sub_f32 v21, 0x40490fdb, v11
	s_delay_alu instid0(VALU_DEP_3) | instskip(SKIP_1) | instid1(VALU_DEP_1)
	v_cndmask_b32_e64 v9, v17, v15, s3
	v_cmp_gt_f32_e64 s3, 0, v8
	v_dual_cndmask_b32 v9, v18, v9, vcc_lo :: v_dual_cndmask_b32 v8, v16, v14, s3
	v_cmp_gt_f32_e64 s3, 0, v6
	s_delay_alu instid0(VALU_DEP_1) | instskip(SKIP_1) | instid1(VALU_DEP_2)
	v_cndmask_b32_e64 v6, v10, v20, s3
	v_cmp_gt_f32_e64 s3, 0, v7
	v_dual_cndmask_b32 v8, v19, v8, s0 :: v_dual_cndmask_b32 v6, v12, v6, s1
	s_delay_alu instid0(VALU_DEP_1) | instskip(SKIP_2) | instid1(VALU_DEP_3)
	v_dual_cndmask_b32 v7, v11, v21, s3 :: v_dual_lshrrev_b32 v10, 16, v8
	v_lshrrev_b32_e32 v12, 16, v9
	v_cmp_o_f32_e32 vcc_lo, v8, v8
	v_dual_lshrrev_b32 v11, 16, v6 :: v_dual_cndmask_b32 v7, v13, v7, s2
	s_delay_alu instid0(VALU_DEP_1) | instskip(NEXT) | instid1(VALU_DEP_1)
	v_dual_lshrrev_b32 v13, 16, v7 :: v_dual_bitop2_b32 v10, 1, v10 bitop3:0x40
	v_add3_u32 v10, v8, v10, 0x7fff
	s_delay_alu instid0(VALU_DEP_3) | instskip(NEXT) | instid1(VALU_DEP_2)
	v_and_b32_e32 v11, 1, v11
	v_dual_lshrrev_b32 v10, 16, v10 :: v_dual_bitop2_b32 v13, 1, v13 bitop3:0x40
	s_delay_alu instid0(VALU_DEP_2) | instskip(SKIP_1) | instid1(VALU_DEP_3)
	v_add3_u32 v11, v6, v11, 0x7fff
	v_and_b32_e32 v12, 1, v12
	v_add3_u32 v13, v7, v13, 0x7fff
	s_delay_alu instid0(VALU_DEP_3) | instskip(NEXT) | instid1(VALU_DEP_3)
	v_dual_cndmask_b32 v8, 0x7fc0, v10 :: v_dual_lshrrev_b32 v11, 16, v11
	v_add3_u32 v12, v9, v12, 0x7fff
	v_cmp_o_f32_e32 vcc_lo, v9, v9
	s_delay_alu instid0(VALU_DEP_4) | instskip(NEXT) | instid1(VALU_DEP_4)
	v_and_b32_e32 v13, 0xffff0000, v13
	v_and_b32_e32 v10, 0xffff, v11
	s_delay_alu instid0(VALU_DEP_4) | instskip(NEXT) | instid1(VALU_DEP_1)
	v_and_b32_e32 v12, 0xffff0000, v12
	v_cndmask_b32_e32 v9, 0x7fc00000, v12, vcc_lo
	v_cmp_o_f32_e32 vcc_lo, v7, v7
	s_delay_alu instid0(VALU_DEP_2) | instskip(SKIP_4) | instid1(VALU_DEP_2)
	v_or3_b32 v8, v8, 0, v9
	v_cndmask_b32_e32 v11, 0x7fc00000, v13, vcc_lo
	v_cmp_o_f32_e32 vcc_lo, v6, v6
	v_lshlrev_b64_e32 v[6:7], 2, v[0:1]
	v_cndmask_b32_e32 v10, 0x7fc0, v10, vcc_lo
	v_cmp_ge_i64_e32 vcc_lo, v[6:7], v[2:3]
	s_delay_alu instid0(VALU_DEP_2) | instskip(SKIP_4) | instid1(SALU_CYCLE_1)
	v_or3_b32 v9, 0, v10, v11
	global_store_b64 v[4:5], v[8:9], off
	s_wait_xcnt 0x0
	v_add_nc_u64_e32 v[4:5], s[18:19], v[4:5]
	s_or_b32 s7, vcc_lo, s7
	s_and_not1_b32 exec_lo, exec_lo, s7
	s_cbranch_execnz .LBB51_24
.LBB51_25:
	s_endpgm
	.section	.rodata,"a",@progbits
	.p2align	6, 0x0
	.amdhsa_kernel _ZN2at6native12_GLOBAL__N_125multi_tensor_apply_kernelINS1_18TensorListMetadataILi1EEENS1_14UnaryOpFunctorIN3c108BFloat16ELi1ELi1ELi0EEEJNS0_4AcosIfEEEEEvT_T0_DpT1_
		.amdhsa_group_segment_fixed_size 0
		.amdhsa_private_segment_fixed_size 0
		.amdhsa_kernarg_size 3632
		.amdhsa_user_sgpr_count 2
		.amdhsa_user_sgpr_dispatch_ptr 0
		.amdhsa_user_sgpr_queue_ptr 0
		.amdhsa_user_sgpr_kernarg_segment_ptr 1
		.amdhsa_user_sgpr_dispatch_id 0
		.amdhsa_user_sgpr_kernarg_preload_length 0
		.amdhsa_user_sgpr_kernarg_preload_offset 0
		.amdhsa_user_sgpr_private_segment_size 0
		.amdhsa_wavefront_size32 1
		.amdhsa_uses_dynamic_stack 0
		.amdhsa_enable_private_segment 0
		.amdhsa_system_sgpr_workgroup_id_x 1
		.amdhsa_system_sgpr_workgroup_id_y 0
		.amdhsa_system_sgpr_workgroup_id_z 0
		.amdhsa_system_sgpr_workgroup_info 0
		.amdhsa_system_vgpr_workitem_id 0
		.amdhsa_next_free_vgpr 28
		.amdhsa_next_free_sgpr 38
		.amdhsa_named_barrier_count 0
		.amdhsa_reserve_vcc 1
		.amdhsa_float_round_mode_32 0
		.amdhsa_float_round_mode_16_64 0
		.amdhsa_float_denorm_mode_32 3
		.amdhsa_float_denorm_mode_16_64 3
		.amdhsa_fp16_overflow 0
		.amdhsa_memory_ordered 1
		.amdhsa_forward_progress 1
		.amdhsa_inst_pref_size 20
		.amdhsa_round_robin_scheduling 0
		.amdhsa_exception_fp_ieee_invalid_op 0
		.amdhsa_exception_fp_denorm_src 0
		.amdhsa_exception_fp_ieee_div_zero 0
		.amdhsa_exception_fp_ieee_overflow 0
		.amdhsa_exception_fp_ieee_underflow 0
		.amdhsa_exception_fp_ieee_inexact 0
		.amdhsa_exception_int_div_zero 0
	.end_amdhsa_kernel
	.section	.text._ZN2at6native12_GLOBAL__N_125multi_tensor_apply_kernelINS1_18TensorListMetadataILi1EEENS1_14UnaryOpFunctorIN3c108BFloat16ELi1ELi1ELi0EEEJNS0_4AcosIfEEEEEvT_T0_DpT1_,"axG",@progbits,_ZN2at6native12_GLOBAL__N_125multi_tensor_apply_kernelINS1_18TensorListMetadataILi1EEENS1_14UnaryOpFunctorIN3c108BFloat16ELi1ELi1ELi0EEEJNS0_4AcosIfEEEEEvT_T0_DpT1_,comdat
.Lfunc_end51:
	.size	_ZN2at6native12_GLOBAL__N_125multi_tensor_apply_kernelINS1_18TensorListMetadataILi1EEENS1_14UnaryOpFunctorIN3c108BFloat16ELi1ELi1ELi0EEEJNS0_4AcosIfEEEEEvT_T0_DpT1_, .Lfunc_end51-_ZN2at6native12_GLOBAL__N_125multi_tensor_apply_kernelINS1_18TensorListMetadataILi1EEENS1_14UnaryOpFunctorIN3c108BFloat16ELi1ELi1ELi0EEEJNS0_4AcosIfEEEEEvT_T0_DpT1_
                                        ; -- End function
	.set _ZN2at6native12_GLOBAL__N_125multi_tensor_apply_kernelINS1_18TensorListMetadataILi1EEENS1_14UnaryOpFunctorIN3c108BFloat16ELi1ELi1ELi0EEEJNS0_4AcosIfEEEEEvT_T0_DpT1_.num_vgpr, 28
	.set _ZN2at6native12_GLOBAL__N_125multi_tensor_apply_kernelINS1_18TensorListMetadataILi1EEENS1_14UnaryOpFunctorIN3c108BFloat16ELi1ELi1ELi0EEEJNS0_4AcosIfEEEEEvT_T0_DpT1_.num_agpr, 0
	.set _ZN2at6native12_GLOBAL__N_125multi_tensor_apply_kernelINS1_18TensorListMetadataILi1EEENS1_14UnaryOpFunctorIN3c108BFloat16ELi1ELi1ELi0EEEJNS0_4AcosIfEEEEEvT_T0_DpT1_.numbered_sgpr, 38
	.set _ZN2at6native12_GLOBAL__N_125multi_tensor_apply_kernelINS1_18TensorListMetadataILi1EEENS1_14UnaryOpFunctorIN3c108BFloat16ELi1ELi1ELi0EEEJNS0_4AcosIfEEEEEvT_T0_DpT1_.num_named_barrier, 0
	.set _ZN2at6native12_GLOBAL__N_125multi_tensor_apply_kernelINS1_18TensorListMetadataILi1EEENS1_14UnaryOpFunctorIN3c108BFloat16ELi1ELi1ELi0EEEJNS0_4AcosIfEEEEEvT_T0_DpT1_.private_seg_size, 0
	.set _ZN2at6native12_GLOBAL__N_125multi_tensor_apply_kernelINS1_18TensorListMetadataILi1EEENS1_14UnaryOpFunctorIN3c108BFloat16ELi1ELi1ELi0EEEJNS0_4AcosIfEEEEEvT_T0_DpT1_.uses_vcc, 1
	.set _ZN2at6native12_GLOBAL__N_125multi_tensor_apply_kernelINS1_18TensorListMetadataILi1EEENS1_14UnaryOpFunctorIN3c108BFloat16ELi1ELi1ELi0EEEJNS0_4AcosIfEEEEEvT_T0_DpT1_.uses_flat_scratch, 0
	.set _ZN2at6native12_GLOBAL__N_125multi_tensor_apply_kernelINS1_18TensorListMetadataILi1EEENS1_14UnaryOpFunctorIN3c108BFloat16ELi1ELi1ELi0EEEJNS0_4AcosIfEEEEEvT_T0_DpT1_.has_dyn_sized_stack, 0
	.set _ZN2at6native12_GLOBAL__N_125multi_tensor_apply_kernelINS1_18TensorListMetadataILi1EEENS1_14UnaryOpFunctorIN3c108BFloat16ELi1ELi1ELi0EEEJNS0_4AcosIfEEEEEvT_T0_DpT1_.has_recursion, 0
	.set _ZN2at6native12_GLOBAL__N_125multi_tensor_apply_kernelINS1_18TensorListMetadataILi1EEENS1_14UnaryOpFunctorIN3c108BFloat16ELi1ELi1ELi0EEEJNS0_4AcosIfEEEEEvT_T0_DpT1_.has_indirect_call, 0
	.section	.AMDGPU.csdata,"",@progbits
; Kernel info:
; codeLenInByte = 2472
; TotalNumSgprs: 40
; NumVgprs: 28
; ScratchSize: 0
; MemoryBound: 0
; FloatMode: 240
; IeeeMode: 1
; LDSByteSize: 0 bytes/workgroup (compile time only)
; SGPRBlocks: 0
; VGPRBlocks: 1
; NumSGPRsForWavesPerEU: 40
; NumVGPRsForWavesPerEU: 28
; NamedBarCnt: 0
; Occupancy: 16
; WaveLimiterHint : 0
; COMPUTE_PGM_RSRC2:SCRATCH_EN: 0
; COMPUTE_PGM_RSRC2:USER_SGPR: 2
; COMPUTE_PGM_RSRC2:TRAP_HANDLER: 0
; COMPUTE_PGM_RSRC2:TGID_X_EN: 1
; COMPUTE_PGM_RSRC2:TGID_Y_EN: 0
; COMPUTE_PGM_RSRC2:TGID_Z_EN: 0
; COMPUTE_PGM_RSRC2:TIDIG_COMP_CNT: 0
	.section	.text._ZN2at6native12_GLOBAL__N_125multi_tensor_apply_kernelINS1_18TensorListMetadataILi2EEENS1_14UnaryOpFunctorIdLi2ELi1ELi1EEEJNS0_4AsinIdEEEEEvT_T0_DpT1_,"axG",@progbits,_ZN2at6native12_GLOBAL__N_125multi_tensor_apply_kernelINS1_18TensorListMetadataILi2EEENS1_14UnaryOpFunctorIdLi2ELi1ELi1EEEJNS0_4AsinIdEEEEEvT_T0_DpT1_,comdat
	.globl	_ZN2at6native12_GLOBAL__N_125multi_tensor_apply_kernelINS1_18TensorListMetadataILi2EEENS1_14UnaryOpFunctorIdLi2ELi1ELi1EEEJNS0_4AsinIdEEEEEvT_T0_DpT1_ ; -- Begin function _ZN2at6native12_GLOBAL__N_125multi_tensor_apply_kernelINS1_18TensorListMetadataILi2EEENS1_14UnaryOpFunctorIdLi2ELi1ELi1EEEJNS0_4AsinIdEEEEEvT_T0_DpT1_
	.p2align	8
	.type	_ZN2at6native12_GLOBAL__N_125multi_tensor_apply_kernelINS1_18TensorListMetadataILi2EEENS1_14UnaryOpFunctorIdLi2ELi1ELi1EEEJNS0_4AsinIdEEEEEvT_T0_DpT1_,@function
_ZN2at6native12_GLOBAL__N_125multi_tensor_apply_kernelINS1_18TensorListMetadataILi2EEENS1_14UnaryOpFunctorIdLi2ELi1ELi1EEEJNS0_4AsinIdEEEEEvT_T0_DpT1_: ; @_ZN2at6native12_GLOBAL__N_125multi_tensor_apply_kernelINS1_18TensorListMetadataILi2EEENS1_14UnaryOpFunctorIdLi2ELi1ELi1EEEJNS0_4AsinIdEEEEEvT_T0_DpT1_
; %bb.0:
	s_bfe_u32 s2, ttmp6, 0x4000c
	s_and_b32 s3, ttmp6, 15
	s_add_co_i32 s2, s2, 1
	s_getreg_b32 s4, hwreg(HW_REG_IB_STS2, 6, 4)
	s_mul_i32 s2, ttmp9, s2
	s_mov_b32 s9, 0
	s_add_co_i32 s3, s3, s2
	s_cmp_eq_u32 s4, 0
	s_mov_b32 s15, s9
	s_cselect_b32 s8, ttmp9, s3
	s_load_u8 s11, s[0:1], s8 offset:0x600
	s_add_nc_u64 s[2:3], s[0:1], s[8:9]
	s_mul_u64 s[4:5], s[8:9], 3
	s_delay_alu instid0(SALU_CYCLE_1)
	s_add_nc_u64 s[4:5], s[2:3], s[4:5]
	s_load_b32 s10, s[4:5], 0x740
	s_wait_kmcnt 0x0
	s_clause 0x2
	s_load_b64 s[2:3], s[0:1], s11 offset:0x0 scale_offset
	s_load_b64 s[6:7], s[0:1], s11 offset:0x200 scale_offset
	;; [unrolled: 1-line block ×3, first 2 shown]
	s_wait_xcnt 0x0
	s_ashr_i32 s11, s10, 31
	s_delay_alu instid0(SALU_CYCLE_1)
	s_lshl_b64 s[4:5], s[10:11], 19
	s_wait_kmcnt 0x0
	s_and_b64 s[18:19], s[6:7], 31
	s_add_nc_u64 s[16:17], s[2:3], s[4:5]
	s_and_b32 s14, s12, 3
	s_and_b32 s8, s16, 31
	s_or_b64 s[14:15], s[18:19], s[14:15]
	s_lshl_b64 s[10:11], s[10:11], 16
	s_or_b64 s[14:15], s[14:15], s[8:9]
	s_sub_nc_u64 s[8:9], s[12:13], s[10:11]
	s_cmp_eq_u64 s[14:15], 0
	s_mov_b32 s10, -1
	s_cbranch_scc0 .LBB52_13
; %bb.1:
	v_min_i64 v[18:19], 0x10000, s[8:9]
	v_dual_mov_b32 v3, 0 :: v_dual_lshlrev_b32 v2, 2, v0
	s_mov_b32 s16, exec_lo
	s_delay_alu instid0(VALU_DEP_1)
	v_cmpx_lt_i64_e64 v[2:3], v[18:19]
	s_cbranch_execz .LBB52_12
; %bb.2:
	s_load_b32 s10, s[0:1], 0xc5c
	v_dual_mov_b32 v1, v3 :: v_dual_lshlrev_b32 v2, 5, v0
	v_mov_b64_e32 v[20:21], 0xbf90a5a378a05eaf
	s_mov_b32 s11, 0
	s_mov_b64 s[12:13], 0x3fe921fb54442d18
	s_delay_alu instid0(VALU_DEP_2)
	v_mov_b64_e32 v[24:25], v[0:1]
	v_add_nc_u64_e32 v[22:23], s[4:5], v[2:3]
	s_mov_b32 s15, s11
	s_mov_b32 s17, s11
                                        ; implicit-def: $vgpr2_vgpr3
                                        ; implicit-def: $vgpr2_vgpr3
	;; [unrolled: 1-line block ×10, first 2 shown]
	s_wait_kmcnt 0x0
	s_and_b32 s10, s10, 0xffff
	s_delay_alu instid0(SALU_CYCLE_1)
	s_lshl_b32 s14, s10, 5
	s_branch .LBB52_4
.LBB52_3:                               ;   in Loop: Header=BB52_4 Depth=1
	s_or_b32 exec_lo, exec_lo, s18
	v_add_nc_u64_e32 v[24:25], s[10:11], v[24:25]
	v_bfi_b32 v15, 0x7fffffff, v15, v3
	v_add_nc_u64_e32 v[2:3], s[6:7], v[22:23]
	v_add_nc_u64_e32 v[22:23], s[14:15], v[22:23]
	v_bfi_b32 v13, 0x7fffffff, v13, v9
	v_bfi_b32 v11, 0x7fffffff, v11, v7
	;; [unrolled: 1-line block ×3, first 2 shown]
	v_lshlrev_b64_e32 v[26:27], 2, v[24:25]
	s_clause 0x1
	global_store_b128 v[2:3], v[10:13], off
	global_store_b128 v[2:3], v[14:17], off offset:16
	v_cmp_ge_i64_e32 vcc_lo, v[26:27], v[18:19]
	s_or_b32 s17, vcc_lo, s17
	s_wait_xcnt 0x0
	s_and_not1_b32 exec_lo, exec_lo, s17
	s_cbranch_execz .LBB52_12
.LBB52_4:                               ; =>This Inner Loop Header: Depth=1
	v_add_nc_u64_e32 v[10:11], s[2:3], v[22:23]
	s_clause 0x1
	global_load_b128 v[6:9], v[10:11], off
	global_load_b128 v[2:5], v[10:11], off offset:16
	s_wait_loadcnt 0x1
	v_fma_f64 v[14:15], |v[6:7]|, -0.5, 0.5
	s_wait_xcnt 0x0
	v_mul_f64_e32 v[10:11], v[6:7], v[6:7]
	v_cmp_ge_f64_e64 vcc_lo, |v[6:7]|, 0.5
	s_delay_alu instid0(VALU_DEP_2) | instskip(NEXT) | instid1(VALU_DEP_1)
	v_dual_cndmask_b32 v11, v11, v15 :: v_dual_cndmask_b32 v10, v10, v14
	v_fmamk_f64 v[12:13], v[10:11], 0x3fa059859fea6a70, v[20:21]
	s_delay_alu instid0(VALU_DEP_1) | instskip(NEXT) | instid1(VALU_DEP_1)
	v_fmaak_f64 v[12:13], v[10:11], v[12:13], 0x3f94052137024d6a
	v_fmaak_f64 v[12:13], v[10:11], v[12:13], 0x3f7ab3a098a70509
	s_delay_alu instid0(VALU_DEP_1) | instskip(NEXT) | instid1(VALU_DEP_1)
	v_fmaak_f64 v[12:13], v[10:11], v[12:13], 0x3f88ed60a300c8d2
	v_fmaak_f64 v[12:13], v[10:11], v[12:13], 0x3f8c6fa84b77012b
	;; [unrolled: 3-line block ×5, first 2 shown]
	s_delay_alu instid0(VALU_DEP_1) | instskip(NEXT) | instid1(VALU_DEP_1)
	v_mul_f64_e32 v[12:13], v[10:11], v[12:13]
	v_fma_f64 v[10:11], |v[6:7]|, v[12:13], |v[6:7]|
	s_and_saveexec_b32 s18, vcc_lo
	s_cbranch_execz .LBB52_6
; %bb.5:                                ;   in Loop: Header=BB52_4 Depth=1
	v_rsq_f64_e32 v[10:11], v[14:15]
	v_cmp_eq_f64_e32 vcc_lo, 0, v[14:15]
	s_delay_alu instid0(TRANS32_DEP_1) | instskip(SKIP_1) | instid1(VALU_DEP_1)
	v_mul_f64_e32 v[16:17], v[14:15], v[10:11]
	v_mul_f64_e32 v[10:11], 0.5, v[10:11]
	v_fma_f64 v[26:27], -v[10:11], v[16:17], 0.5
	s_delay_alu instid0(VALU_DEP_1) | instskip(SKIP_1) | instid1(VALU_DEP_2)
	v_fmac_f64_e32 v[16:17], v[16:17], v[26:27]
	v_fmac_f64_e32 v[10:11], v[10:11], v[26:27]
	v_fma_f64 v[26:27], -v[16:17], v[16:17], v[14:15]
	s_delay_alu instid0(VALU_DEP_1) | instskip(NEXT) | instid1(VALU_DEP_1)
	v_fmac_f64_e32 v[16:17], v[26:27], v[10:11]
	v_dual_cndmask_b32 v11, v17, v15 :: v_dual_cndmask_b32 v10, v16, v14
	s_delay_alu instid0(VALU_DEP_1) | instskip(SKIP_1) | instid1(VALU_DEP_2)
	v_add_f64_e32 v[16:17], v[10:11], v[10:11]
	v_mul_f64_e32 v[26:27], v[10:11], v[10:11]
	v_rcp_f64_e32 v[28:29], v[16:17]
	s_delay_alu instid0(VALU_DEP_1) | instskip(SKIP_1) | instid1(VALU_DEP_2)
	v_add_f64_e64 v[30:31], v[14:15], -v[26:27]
	v_fma_f64 v[34:35], v[10:11], v[10:11], -v[26:27]
	v_add_f64_e64 v[14:15], v[14:15], -v[30:31]
	s_delay_alu instid0(TRANS32_DEP_1) | instskip(NEXT) | instid1(VALU_DEP_2)
	v_fma_f64 v[32:33], -v[16:17], v[28:29], 1.0
	v_add_f64_e64 v[14:15], v[14:15], -v[26:27]
	s_delay_alu instid0(VALU_DEP_2) | instskip(NEXT) | instid1(VALU_DEP_2)
	v_fmac_f64_e32 v[28:29], v[32:33], v[28:29]
	v_add_f64_e64 v[14:15], v[14:15], -v[34:35]
	s_delay_alu instid0(VALU_DEP_2) | instskip(NEXT) | instid1(VALU_DEP_2)
	v_fma_f64 v[26:27], -v[16:17], v[28:29], 1.0
	v_add_f64_e32 v[14:15], v[30:31], v[14:15]
	s_delay_alu instid0(VALU_DEP_2) | instskip(NEXT) | instid1(VALU_DEP_1)
	v_fmac_f64_e32 v[28:29], v[26:27], v[28:29]
	v_mul_f64_e32 v[26:27], v[14:15], v[28:29]
	s_delay_alu instid0(VALU_DEP_1) | instskip(NEXT) | instid1(VALU_DEP_1)
	v_fma_f64 v[14:15], -v[16:17], v[26:27], v[14:15]
	v_fmac_f64_e32 v[26:27], v[14:15], v[28:29]
	s_delay_alu instid0(VALU_DEP_1) | instskip(NEXT) | instid1(VALU_DEP_2)
	v_cndmask_b32_e64 v15, v27, 0, vcc_lo
	v_cndmask_b32_e64 v14, v26, 0, vcc_lo
	v_cmp_neq_f64_e64 vcc_lo, |v[6:7]|, 1.0
	s_delay_alu instid0(VALU_DEP_2) | instskip(NEXT) | instid1(VALU_DEP_1)
	v_add_f64_e32 v[16:17], v[10:11], v[14:15]
	v_add_f64_e64 v[10:11], v[16:17], -v[10:11]
	v_mul_f64_e32 v[26:27], v[12:13], v[16:17]
	s_delay_alu instid0(VALU_DEP_2) | instskip(NEXT) | instid1(VALU_DEP_2)
	v_add_f64_e64 v[10:11], v[14:15], -v[10:11]
	v_fma_f64 v[14:15], v[16:17], v[12:13], -v[26:27]
	s_delay_alu instid0(VALU_DEP_1) | instskip(NEXT) | instid1(VALU_DEP_1)
	v_fmac_f64_e32 v[14:15], v[10:11], v[12:13]
	v_add_f64_e32 v[12:13], v[26:27], v[14:15]
	s_delay_alu instid0(VALU_DEP_1) | instskip(SKIP_1) | instid1(VALU_DEP_2)
	v_add_f64_e32 v[28:29], v[16:17], v[12:13]
	v_add_f64_e64 v[26:27], v[12:13], -v[26:27]
	v_add_f64_e64 v[16:17], v[28:29], -v[16:17]
	s_delay_alu instid0(VALU_DEP_2) | instskip(NEXT) | instid1(VALU_DEP_2)
	v_add_f64_e64 v[14:15], v[14:15], -v[26:27]
	v_add_f64_e64 v[12:13], v[12:13], -v[16:17]
	s_delay_alu instid0(VALU_DEP_2) | instskip(NEXT) | instid1(VALU_DEP_1)
	v_add_f64_e32 v[10:11], v[10:11], v[14:15]
	v_add_f64_e32 v[10:11], v[10:11], v[12:13]
	s_delay_alu instid0(VALU_DEP_1) | instskip(NEXT) | instid1(VALU_DEP_1)
	v_add_f64_e32 v[12:13], v[28:29], v[10:11]
	v_add_f64_e64 v[14:15], -v[12:13], s[12:13]
	v_add_f64_e64 v[26:27], v[12:13], -v[28:29]
	s_delay_alu instid0(VALU_DEP_2) | instskip(NEXT) | instid1(VALU_DEP_2)
	v_add_f64_e64 v[16:17], -v[14:15], s[12:13]
	v_add_f64_e64 v[10:11], v[26:27], -v[10:11]
	s_delay_alu instid0(VALU_DEP_2) | instskip(NEXT) | instid1(VALU_DEP_1)
	v_add_f64_e64 v[12:13], v[16:17], -v[12:13]
	v_add_f64_e32 v[12:13], 0x3c81a62633145c07, v[12:13]
	s_delay_alu instid0(VALU_DEP_1) | instskip(NEXT) | instid1(VALU_DEP_1)
	v_add_f64_e32 v[10:11], v[10:11], v[12:13]
	v_add_f64_e32 v[10:11], v[14:15], v[10:11]
	s_delay_alu instid0(VALU_DEP_1) | instskip(NEXT) | instid1(VALU_DEP_1)
	v_add_f64_e32 v[10:11], v[10:11], v[10:11]
	v_cndmask_b32_e32 v11, 0x3ff921fb, v11, vcc_lo
	s_delay_alu instid0(VALU_DEP_2)
	v_cndmask_b32_e32 v10, 0x54442d18, v10, vcc_lo
.LBB52_6:                               ;   in Loop: Header=BB52_4 Depth=1
	s_or_b32 exec_lo, exec_lo, s18
	v_fma_f64 v[16:17], |v[8:9]|, -0.5, 0.5
	v_mul_f64_e32 v[12:13], v[8:9], v[8:9]
	v_cmp_ge_f64_e64 vcc_lo, |v[8:9]|, 0.5
	s_delay_alu instid0(VALU_DEP_2) | instskip(NEXT) | instid1(VALU_DEP_1)
	v_dual_cndmask_b32 v13, v13, v17 :: v_dual_cndmask_b32 v12, v12, v16
	v_fmamk_f64 v[14:15], v[12:13], 0x3fa059859fea6a70, v[20:21]
	s_delay_alu instid0(VALU_DEP_1) | instskip(NEXT) | instid1(VALU_DEP_1)
	v_fmaak_f64 v[14:15], v[12:13], v[14:15], 0x3f94052137024d6a
	v_fmaak_f64 v[14:15], v[12:13], v[14:15], 0x3f7ab3a098a70509
	s_delay_alu instid0(VALU_DEP_1) | instskip(NEXT) | instid1(VALU_DEP_1)
	v_fmaak_f64 v[14:15], v[12:13], v[14:15], 0x3f88ed60a300c8d2
	v_fmaak_f64 v[14:15], v[12:13], v[14:15], 0x3f8c6fa84b77012b
	;; [unrolled: 3-line block ×5, first 2 shown]
	s_delay_alu instid0(VALU_DEP_1) | instskip(NEXT) | instid1(VALU_DEP_1)
	v_mul_f64_e32 v[14:15], v[12:13], v[14:15]
	v_fma_f64 v[12:13], |v[8:9]|, v[14:15], |v[8:9]|
	s_and_saveexec_b32 s18, vcc_lo
	s_cbranch_execz .LBB52_8
; %bb.7:                                ;   in Loop: Header=BB52_4 Depth=1
	v_rsq_f64_e32 v[12:13], v[16:17]
	v_cmp_eq_f64_e32 vcc_lo, 0, v[16:17]
	s_delay_alu instid0(TRANS32_DEP_1) | instskip(SKIP_1) | instid1(VALU_DEP_1)
	v_mul_f64_e32 v[26:27], v[16:17], v[12:13]
	v_mul_f64_e32 v[12:13], 0.5, v[12:13]
	v_fma_f64 v[28:29], -v[12:13], v[26:27], 0.5
	s_delay_alu instid0(VALU_DEP_1) | instskip(SKIP_1) | instid1(VALU_DEP_2)
	v_fmac_f64_e32 v[26:27], v[26:27], v[28:29]
	v_fmac_f64_e32 v[12:13], v[12:13], v[28:29]
	v_fma_f64 v[28:29], -v[26:27], v[26:27], v[16:17]
	s_delay_alu instid0(VALU_DEP_1) | instskip(NEXT) | instid1(VALU_DEP_1)
	v_fmac_f64_e32 v[26:27], v[28:29], v[12:13]
	v_dual_cndmask_b32 v13, v27, v17 :: v_dual_cndmask_b32 v12, v26, v16
	s_delay_alu instid0(VALU_DEP_1) | instskip(SKIP_1) | instid1(VALU_DEP_2)
	v_add_f64_e32 v[26:27], v[12:13], v[12:13]
	v_mul_f64_e32 v[28:29], v[12:13], v[12:13]
	v_rcp_f64_e32 v[30:31], v[26:27]
	s_delay_alu instid0(VALU_DEP_1) | instskip(SKIP_1) | instid1(VALU_DEP_2)
	v_add_f64_e64 v[32:33], v[16:17], -v[28:29]
	v_fma_f64 v[36:37], v[12:13], v[12:13], -v[28:29]
	v_add_f64_e64 v[16:17], v[16:17], -v[32:33]
	s_delay_alu instid0(TRANS32_DEP_1) | instskip(NEXT) | instid1(VALU_DEP_2)
	v_fma_f64 v[34:35], -v[26:27], v[30:31], 1.0
	v_add_f64_e64 v[16:17], v[16:17], -v[28:29]
	s_delay_alu instid0(VALU_DEP_2) | instskip(NEXT) | instid1(VALU_DEP_2)
	v_fmac_f64_e32 v[30:31], v[34:35], v[30:31]
	v_add_f64_e64 v[16:17], v[16:17], -v[36:37]
	s_delay_alu instid0(VALU_DEP_2) | instskip(NEXT) | instid1(VALU_DEP_2)
	v_fma_f64 v[28:29], -v[26:27], v[30:31], 1.0
	v_add_f64_e32 v[16:17], v[32:33], v[16:17]
	s_delay_alu instid0(VALU_DEP_2) | instskip(NEXT) | instid1(VALU_DEP_1)
	v_fmac_f64_e32 v[30:31], v[28:29], v[30:31]
	v_mul_f64_e32 v[28:29], v[16:17], v[30:31]
	s_delay_alu instid0(VALU_DEP_1) | instskip(NEXT) | instid1(VALU_DEP_1)
	v_fma_f64 v[16:17], -v[26:27], v[28:29], v[16:17]
	v_fmac_f64_e32 v[28:29], v[16:17], v[30:31]
	s_delay_alu instid0(VALU_DEP_1) | instskip(NEXT) | instid1(VALU_DEP_2)
	v_cndmask_b32_e64 v17, v29, 0, vcc_lo
	v_cndmask_b32_e64 v16, v28, 0, vcc_lo
	v_cmp_neq_f64_e64 vcc_lo, |v[8:9]|, 1.0
	s_delay_alu instid0(VALU_DEP_2) | instskip(NEXT) | instid1(VALU_DEP_1)
	v_add_f64_e32 v[26:27], v[12:13], v[16:17]
	v_add_f64_e64 v[12:13], v[26:27], -v[12:13]
	v_mul_f64_e32 v[28:29], v[14:15], v[26:27]
	s_delay_alu instid0(VALU_DEP_2) | instskip(NEXT) | instid1(VALU_DEP_2)
	v_add_f64_e64 v[12:13], v[16:17], -v[12:13]
	v_fma_f64 v[16:17], v[26:27], v[14:15], -v[28:29]
	s_delay_alu instid0(VALU_DEP_1) | instskip(NEXT) | instid1(VALU_DEP_1)
	v_fmac_f64_e32 v[16:17], v[12:13], v[14:15]
	v_add_f64_e32 v[14:15], v[28:29], v[16:17]
	s_delay_alu instid0(VALU_DEP_1) | instskip(SKIP_1) | instid1(VALU_DEP_2)
	v_add_f64_e32 v[30:31], v[26:27], v[14:15]
	v_add_f64_e64 v[28:29], v[14:15], -v[28:29]
	v_add_f64_e64 v[26:27], v[30:31], -v[26:27]
	s_delay_alu instid0(VALU_DEP_2) | instskip(NEXT) | instid1(VALU_DEP_2)
	v_add_f64_e64 v[16:17], v[16:17], -v[28:29]
	v_add_f64_e64 v[14:15], v[14:15], -v[26:27]
	s_delay_alu instid0(VALU_DEP_2) | instskip(NEXT) | instid1(VALU_DEP_1)
	v_add_f64_e32 v[12:13], v[12:13], v[16:17]
	v_add_f64_e32 v[12:13], v[12:13], v[14:15]
	s_delay_alu instid0(VALU_DEP_1) | instskip(NEXT) | instid1(VALU_DEP_1)
	v_add_f64_e32 v[14:15], v[30:31], v[12:13]
	v_add_f64_e64 v[16:17], -v[14:15], s[12:13]
	v_add_f64_e64 v[28:29], v[14:15], -v[30:31]
	s_delay_alu instid0(VALU_DEP_2) | instskip(NEXT) | instid1(VALU_DEP_2)
	v_add_f64_e64 v[26:27], -v[16:17], s[12:13]
	v_add_f64_e64 v[12:13], v[28:29], -v[12:13]
	s_delay_alu instid0(VALU_DEP_2) | instskip(NEXT) | instid1(VALU_DEP_1)
	v_add_f64_e64 v[14:15], v[26:27], -v[14:15]
	v_add_f64_e32 v[14:15], 0x3c81a62633145c07, v[14:15]
	s_delay_alu instid0(VALU_DEP_1) | instskip(NEXT) | instid1(VALU_DEP_1)
	v_add_f64_e32 v[12:13], v[12:13], v[14:15]
	v_add_f64_e32 v[12:13], v[16:17], v[12:13]
	s_delay_alu instid0(VALU_DEP_1) | instskip(NEXT) | instid1(VALU_DEP_1)
	v_add_f64_e32 v[12:13], v[12:13], v[12:13]
	v_cndmask_b32_e32 v13, 0x3ff921fb, v13, vcc_lo
	s_delay_alu instid0(VALU_DEP_2)
	v_cndmask_b32_e32 v12, 0x54442d18, v12, vcc_lo
.LBB52_8:                               ;   in Loop: Header=BB52_4 Depth=1
	s_or_b32 exec_lo, exec_lo, s18
	s_wait_loadcnt 0x0
	v_fma_f64 v[26:27], |v[2:3]|, -0.5, 0.5
	v_mul_f64_e32 v[14:15], v[2:3], v[2:3]
	v_cmp_ge_f64_e64 vcc_lo, |v[2:3]|, 0.5
	s_delay_alu instid0(VALU_DEP_2) | instskip(NEXT) | instid1(VALU_DEP_1)
	v_dual_cndmask_b32 v15, v15, v27 :: v_dual_cndmask_b32 v14, v14, v26
	v_fmamk_f64 v[16:17], v[14:15], 0x3fa059859fea6a70, v[20:21]
	s_delay_alu instid0(VALU_DEP_1) | instskip(NEXT) | instid1(VALU_DEP_1)
	v_fmaak_f64 v[16:17], v[14:15], v[16:17], 0x3f94052137024d6a
	v_fmaak_f64 v[16:17], v[14:15], v[16:17], 0x3f7ab3a098a70509
	s_delay_alu instid0(VALU_DEP_1) | instskip(NEXT) | instid1(VALU_DEP_1)
	v_fmaak_f64 v[16:17], v[14:15], v[16:17], 0x3f88ed60a300c8d2
	v_fmaak_f64 v[16:17], v[14:15], v[16:17], 0x3f8c6fa84b77012b
	;; [unrolled: 3-line block ×5, first 2 shown]
	s_delay_alu instid0(VALU_DEP_1) | instskip(NEXT) | instid1(VALU_DEP_1)
	v_mul_f64_e32 v[16:17], v[14:15], v[16:17]
	v_fma_f64 v[14:15], |v[2:3]|, v[16:17], |v[2:3]|
	s_and_saveexec_b32 s18, vcc_lo
	s_cbranch_execz .LBB52_10
; %bb.9:                                ;   in Loop: Header=BB52_4 Depth=1
	v_rsq_f64_e32 v[14:15], v[26:27]
	v_cmp_eq_f64_e32 vcc_lo, 0, v[26:27]
	s_delay_alu instid0(TRANS32_DEP_1) | instskip(SKIP_1) | instid1(VALU_DEP_1)
	v_mul_f64_e32 v[28:29], v[26:27], v[14:15]
	v_mul_f64_e32 v[14:15], 0.5, v[14:15]
	v_fma_f64 v[30:31], -v[14:15], v[28:29], 0.5
	s_delay_alu instid0(VALU_DEP_1) | instskip(SKIP_1) | instid1(VALU_DEP_2)
	v_fmac_f64_e32 v[28:29], v[28:29], v[30:31]
	v_fmac_f64_e32 v[14:15], v[14:15], v[30:31]
	v_fma_f64 v[30:31], -v[28:29], v[28:29], v[26:27]
	s_delay_alu instid0(VALU_DEP_1) | instskip(NEXT) | instid1(VALU_DEP_1)
	v_fmac_f64_e32 v[28:29], v[30:31], v[14:15]
	v_dual_cndmask_b32 v15, v29, v27 :: v_dual_cndmask_b32 v14, v28, v26
	s_delay_alu instid0(VALU_DEP_1) | instskip(SKIP_1) | instid1(VALU_DEP_2)
	v_add_f64_e32 v[28:29], v[14:15], v[14:15]
	v_mul_f64_e32 v[30:31], v[14:15], v[14:15]
	v_rcp_f64_e32 v[32:33], v[28:29]
	s_delay_alu instid0(VALU_DEP_1) | instskip(SKIP_1) | instid1(VALU_DEP_2)
	v_add_f64_e64 v[34:35], v[26:27], -v[30:31]
	v_fma_f64 v[38:39], v[14:15], v[14:15], -v[30:31]
	v_add_f64_e64 v[26:27], v[26:27], -v[34:35]
	s_delay_alu instid0(TRANS32_DEP_1) | instskip(NEXT) | instid1(VALU_DEP_2)
	v_fma_f64 v[36:37], -v[28:29], v[32:33], 1.0
	v_add_f64_e64 v[26:27], v[26:27], -v[30:31]
	s_delay_alu instid0(VALU_DEP_2) | instskip(NEXT) | instid1(VALU_DEP_2)
	v_fmac_f64_e32 v[32:33], v[36:37], v[32:33]
	v_add_f64_e64 v[26:27], v[26:27], -v[38:39]
	s_delay_alu instid0(VALU_DEP_2) | instskip(NEXT) | instid1(VALU_DEP_2)
	v_fma_f64 v[30:31], -v[28:29], v[32:33], 1.0
	v_add_f64_e32 v[26:27], v[34:35], v[26:27]
	s_delay_alu instid0(VALU_DEP_2) | instskip(NEXT) | instid1(VALU_DEP_1)
	v_fmac_f64_e32 v[32:33], v[30:31], v[32:33]
	v_mul_f64_e32 v[30:31], v[26:27], v[32:33]
	s_delay_alu instid0(VALU_DEP_1) | instskip(NEXT) | instid1(VALU_DEP_1)
	v_fma_f64 v[26:27], -v[28:29], v[30:31], v[26:27]
	v_fmac_f64_e32 v[30:31], v[26:27], v[32:33]
	s_delay_alu instid0(VALU_DEP_1) | instskip(NEXT) | instid1(VALU_DEP_2)
	v_cndmask_b32_e64 v27, v31, 0, vcc_lo
	v_cndmask_b32_e64 v26, v30, 0, vcc_lo
	v_cmp_neq_f64_e64 vcc_lo, |v[2:3]|, 1.0
	s_delay_alu instid0(VALU_DEP_2) | instskip(NEXT) | instid1(VALU_DEP_1)
	v_add_f64_e32 v[28:29], v[14:15], v[26:27]
	v_add_f64_e64 v[14:15], v[28:29], -v[14:15]
	v_mul_f64_e32 v[30:31], v[16:17], v[28:29]
	s_delay_alu instid0(VALU_DEP_2) | instskip(NEXT) | instid1(VALU_DEP_2)
	v_add_f64_e64 v[14:15], v[26:27], -v[14:15]
	v_fma_f64 v[26:27], v[28:29], v[16:17], -v[30:31]
	s_delay_alu instid0(VALU_DEP_1) | instskip(NEXT) | instid1(VALU_DEP_1)
	v_fmac_f64_e32 v[26:27], v[14:15], v[16:17]
	v_add_f64_e32 v[16:17], v[30:31], v[26:27]
	s_delay_alu instid0(VALU_DEP_1) | instskip(SKIP_1) | instid1(VALU_DEP_2)
	v_add_f64_e32 v[32:33], v[28:29], v[16:17]
	v_add_f64_e64 v[30:31], v[16:17], -v[30:31]
	v_add_f64_e64 v[28:29], v[32:33], -v[28:29]
	s_delay_alu instid0(VALU_DEP_2) | instskip(NEXT) | instid1(VALU_DEP_2)
	v_add_f64_e64 v[26:27], v[26:27], -v[30:31]
	v_add_f64_e64 v[16:17], v[16:17], -v[28:29]
	s_delay_alu instid0(VALU_DEP_2) | instskip(NEXT) | instid1(VALU_DEP_1)
	v_add_f64_e32 v[14:15], v[14:15], v[26:27]
	v_add_f64_e32 v[14:15], v[14:15], v[16:17]
	s_delay_alu instid0(VALU_DEP_1) | instskip(NEXT) | instid1(VALU_DEP_1)
	v_add_f64_e32 v[16:17], v[32:33], v[14:15]
	v_add_f64_e64 v[26:27], -v[16:17], s[12:13]
	v_add_f64_e64 v[30:31], v[16:17], -v[32:33]
	s_delay_alu instid0(VALU_DEP_2) | instskip(NEXT) | instid1(VALU_DEP_2)
	v_add_f64_e64 v[28:29], -v[26:27], s[12:13]
	v_add_f64_e64 v[14:15], v[30:31], -v[14:15]
	s_delay_alu instid0(VALU_DEP_2) | instskip(NEXT) | instid1(VALU_DEP_1)
	v_add_f64_e64 v[16:17], v[28:29], -v[16:17]
	v_add_f64_e32 v[16:17], 0x3c81a62633145c07, v[16:17]
	s_delay_alu instid0(VALU_DEP_1) | instskip(NEXT) | instid1(VALU_DEP_1)
	v_add_f64_e32 v[14:15], v[14:15], v[16:17]
	v_add_f64_e32 v[14:15], v[26:27], v[14:15]
	s_delay_alu instid0(VALU_DEP_1) | instskip(NEXT) | instid1(VALU_DEP_1)
	v_add_f64_e32 v[14:15], v[14:15], v[14:15]
	v_cndmask_b32_e32 v15, 0x3ff921fb, v15, vcc_lo
	s_delay_alu instid0(VALU_DEP_2)
	v_cndmask_b32_e32 v14, 0x54442d18, v14, vcc_lo
.LBB52_10:                              ;   in Loop: Header=BB52_4 Depth=1
	s_or_b32 exec_lo, exec_lo, s18
	v_fma_f64 v[28:29], |v[4:5]|, -0.5, 0.5
	v_mul_f64_e32 v[16:17], v[4:5], v[4:5]
	v_cmp_ge_f64_e64 vcc_lo, |v[4:5]|, 0.5
	s_delay_alu instid0(VALU_DEP_2) | instskip(NEXT) | instid1(VALU_DEP_1)
	v_dual_cndmask_b32 v17, v17, v29 :: v_dual_cndmask_b32 v16, v16, v28
	v_fmamk_f64 v[26:27], v[16:17], 0x3fa059859fea6a70, v[20:21]
	s_delay_alu instid0(VALU_DEP_1) | instskip(NEXT) | instid1(VALU_DEP_1)
	v_fmaak_f64 v[26:27], v[16:17], v[26:27], 0x3f94052137024d6a
	v_fmaak_f64 v[26:27], v[16:17], v[26:27], 0x3f7ab3a098a70509
	s_delay_alu instid0(VALU_DEP_1) | instskip(NEXT) | instid1(VALU_DEP_1)
	v_fmaak_f64 v[26:27], v[16:17], v[26:27], 0x3f88ed60a300c8d2
	v_fmaak_f64 v[26:27], v[16:17], v[26:27], 0x3f8c6fa84b77012b
	;; [unrolled: 3-line block ×5, first 2 shown]
	s_delay_alu instid0(VALU_DEP_1) | instskip(NEXT) | instid1(VALU_DEP_1)
	v_mul_f64_e32 v[26:27], v[16:17], v[26:27]
	v_fma_f64 v[16:17], |v[4:5]|, v[26:27], |v[4:5]|
	s_and_saveexec_b32 s18, vcc_lo
	s_cbranch_execz .LBB52_3
; %bb.11:                               ;   in Loop: Header=BB52_4 Depth=1
	v_rsq_f64_e32 v[16:17], v[28:29]
	v_cmp_eq_f64_e32 vcc_lo, 0, v[28:29]
	s_delay_alu instid0(TRANS32_DEP_1) | instskip(SKIP_1) | instid1(VALU_DEP_1)
	v_mul_f64_e32 v[30:31], v[28:29], v[16:17]
	v_mul_f64_e32 v[16:17], 0.5, v[16:17]
	v_fma_f64 v[32:33], -v[16:17], v[30:31], 0.5
	s_delay_alu instid0(VALU_DEP_1) | instskip(SKIP_1) | instid1(VALU_DEP_2)
	v_fmac_f64_e32 v[30:31], v[30:31], v[32:33]
	v_fmac_f64_e32 v[16:17], v[16:17], v[32:33]
	v_fma_f64 v[32:33], -v[30:31], v[30:31], v[28:29]
	s_delay_alu instid0(VALU_DEP_1) | instskip(NEXT) | instid1(VALU_DEP_1)
	v_fmac_f64_e32 v[30:31], v[32:33], v[16:17]
	v_dual_cndmask_b32 v17, v31, v29 :: v_dual_cndmask_b32 v16, v30, v28
	s_delay_alu instid0(VALU_DEP_1) | instskip(SKIP_1) | instid1(VALU_DEP_2)
	v_add_f64_e32 v[30:31], v[16:17], v[16:17]
	v_mul_f64_e32 v[32:33], v[16:17], v[16:17]
	v_rcp_f64_e32 v[34:35], v[30:31]
	s_delay_alu instid0(VALU_DEP_1) | instskip(SKIP_1) | instid1(VALU_DEP_2)
	v_add_f64_e64 v[36:37], v[28:29], -v[32:33]
	v_fma_f64 v[40:41], v[16:17], v[16:17], -v[32:33]
	v_add_f64_e64 v[28:29], v[28:29], -v[36:37]
	s_delay_alu instid0(TRANS32_DEP_1) | instskip(NEXT) | instid1(VALU_DEP_2)
	v_fma_f64 v[38:39], -v[30:31], v[34:35], 1.0
	v_add_f64_e64 v[28:29], v[28:29], -v[32:33]
	s_delay_alu instid0(VALU_DEP_2) | instskip(NEXT) | instid1(VALU_DEP_2)
	v_fmac_f64_e32 v[34:35], v[38:39], v[34:35]
	v_add_f64_e64 v[28:29], v[28:29], -v[40:41]
	s_delay_alu instid0(VALU_DEP_2) | instskip(NEXT) | instid1(VALU_DEP_2)
	v_fma_f64 v[32:33], -v[30:31], v[34:35], 1.0
	v_add_f64_e32 v[28:29], v[36:37], v[28:29]
	s_delay_alu instid0(VALU_DEP_2) | instskip(NEXT) | instid1(VALU_DEP_1)
	v_fmac_f64_e32 v[34:35], v[32:33], v[34:35]
	v_mul_f64_e32 v[32:33], v[28:29], v[34:35]
	s_delay_alu instid0(VALU_DEP_1) | instskip(NEXT) | instid1(VALU_DEP_1)
	v_fma_f64 v[28:29], -v[30:31], v[32:33], v[28:29]
	v_fmac_f64_e32 v[32:33], v[28:29], v[34:35]
	s_delay_alu instid0(VALU_DEP_1) | instskip(NEXT) | instid1(VALU_DEP_2)
	v_cndmask_b32_e64 v29, v33, 0, vcc_lo
	v_cndmask_b32_e64 v28, v32, 0, vcc_lo
	v_cmp_neq_f64_e64 vcc_lo, |v[4:5]|, 1.0
	s_delay_alu instid0(VALU_DEP_2) | instskip(NEXT) | instid1(VALU_DEP_1)
	v_add_f64_e32 v[30:31], v[16:17], v[28:29]
	v_add_f64_e64 v[16:17], v[30:31], -v[16:17]
	v_mul_f64_e32 v[32:33], v[26:27], v[30:31]
	s_delay_alu instid0(VALU_DEP_2) | instskip(NEXT) | instid1(VALU_DEP_2)
	v_add_f64_e64 v[16:17], v[28:29], -v[16:17]
	v_fma_f64 v[28:29], v[30:31], v[26:27], -v[32:33]
	s_delay_alu instid0(VALU_DEP_1) | instskip(NEXT) | instid1(VALU_DEP_1)
	v_fmac_f64_e32 v[28:29], v[16:17], v[26:27]
	v_add_f64_e32 v[26:27], v[32:33], v[28:29]
	s_delay_alu instid0(VALU_DEP_1) | instskip(SKIP_1) | instid1(VALU_DEP_2)
	v_add_f64_e32 v[34:35], v[30:31], v[26:27]
	v_add_f64_e64 v[32:33], v[26:27], -v[32:33]
	v_add_f64_e64 v[30:31], v[34:35], -v[30:31]
	s_delay_alu instid0(VALU_DEP_2) | instskip(NEXT) | instid1(VALU_DEP_2)
	v_add_f64_e64 v[28:29], v[28:29], -v[32:33]
	v_add_f64_e64 v[26:27], v[26:27], -v[30:31]
	s_delay_alu instid0(VALU_DEP_2) | instskip(NEXT) | instid1(VALU_DEP_1)
	v_add_f64_e32 v[16:17], v[16:17], v[28:29]
	v_add_f64_e32 v[16:17], v[16:17], v[26:27]
	s_delay_alu instid0(VALU_DEP_1) | instskip(NEXT) | instid1(VALU_DEP_1)
	v_add_f64_e32 v[26:27], v[34:35], v[16:17]
	v_add_f64_e64 v[28:29], -v[26:27], s[12:13]
	v_add_f64_e64 v[32:33], v[26:27], -v[34:35]
	s_delay_alu instid0(VALU_DEP_2) | instskip(NEXT) | instid1(VALU_DEP_2)
	v_add_f64_e64 v[30:31], -v[28:29], s[12:13]
	v_add_f64_e64 v[16:17], v[32:33], -v[16:17]
	s_delay_alu instid0(VALU_DEP_2) | instskip(NEXT) | instid1(VALU_DEP_1)
	v_add_f64_e64 v[26:27], v[30:31], -v[26:27]
	v_add_f64_e32 v[26:27], 0x3c81a62633145c07, v[26:27]
	s_delay_alu instid0(VALU_DEP_1) | instskip(NEXT) | instid1(VALU_DEP_1)
	v_add_f64_e32 v[16:17], v[16:17], v[26:27]
	v_add_f64_e32 v[16:17], v[28:29], v[16:17]
	s_delay_alu instid0(VALU_DEP_1) | instskip(NEXT) | instid1(VALU_DEP_1)
	v_add_f64_e32 v[16:17], v[16:17], v[16:17]
	v_cndmask_b32_e32 v17, 0x3ff921fb, v17, vcc_lo
	s_delay_alu instid0(VALU_DEP_2)
	v_cndmask_b32_e32 v16, 0x54442d18, v16, vcc_lo
	s_branch .LBB52_3
.LBB52_12:
	s_or_b32 exec_lo, exec_lo, s16
	s_mov_b32 s10, 0
.LBB52_13:
	s_delay_alu instid0(SALU_CYCLE_1)
	s_and_not1_b32 vcc_lo, exec_lo, s10
	s_cbranch_vccnz .LBB52_41
; %bb.14:
	v_cmp_lt_i64_e64 s10, s[8:9], 1
	s_and_b32 vcc_lo, exec_lo, s10
	s_cbranch_vccnz .LBB52_41
; %bb.15:
	s_load_b32 s0, s[0:1], 0xc5c
	v_min_i64 v[2:3], 0x10000, s[8:9]
	v_min_u64 v[4:5], 0x10000, s[8:9]
	v_dual_mov_b32 v1, 0 :: v_dual_lshlrev_b32 v12, 3, v0
	s_mov_b32 s11, 0
	v_mov_b64_e32 v[6:7], 0xbf90a5a378a05eaf
	s_mov_b32 s13, s11
	s_delay_alu instid0(VALU_DEP_2) | instskip(SKIP_3) | instid1(VALU_DEP_1)
	v_dual_mov_b32 v13, v1 :: v_dual_mov_b32 v29, v1
	s_wait_xcnt 0x0
	s_mov_b32 s1, s11
	s_mov_b32 s9, s11
                                        ; implicit-def: $vgpr30_vgpr31
                                        ; implicit-def: $vgpr30_vgpr31
	;; [unrolled: 1-line block ×10, first 2 shown]
	v_add_nc_u64_e32 v[8:9], s[2:3], v[12:13]
	s_wait_kmcnt 0x0
	s_and_b32 s10, s0, 0xffff
	s_delay_alu instid0(SALU_CYCLE_1)
	v_add_nc_u64_e32 v[10:11], s[10:11], v[0:1]
	v_mad_nc_u64_u32 v[24:25], s10, 24, v[12:13]
	s_lshl_b32 s12, s10, 4
	s_mul_i32 s8, s10, 3
	v_add_nc_u64_e32 v[20:21], s[12:13], v[12:13]
	s_lshl_b32 s0, s10, 1
	v_add_nc_u64_e32 v[12:13], s[6:7], v[12:13]
	v_lshlrev_b32_e32 v28, 3, v10
	v_add_nc_u64_e32 v[14:15], s[8:9], v[0:1]
	v_add_nc_u64_e32 v[16:17], s[0:1], v[0:1]
	s_lshl_b32 s8, s10, 2
	v_add_nc_u64_e32 v[18:19], s[2:3], v[20:21]
	v_add_nc_u64_e32 v[20:21], s[6:7], v[20:21]
	;; [unrolled: 1-line block ×6, first 2 shown]
	s_mov_b64 s[6:7], 0x3fe921fb54442d18
	s_lshl_b32 s10, s10, 5
	s_mov_b64 s[12:13], 0
	s_branch .LBB52_17
.LBB52_16:                              ;   in Loop: Header=BB52_17 Depth=1
	s_wait_xcnt 0x0
	s_or_b32 exec_lo, exec_lo, s0
	s_add_nc_u64 s[12:13], s[12:13], s[8:9]
	v_add_nc_u64_e32 v[8:9], s[10:11], v[8:9]
	v_cmp_ge_i64_e32 vcc_lo, s[12:13], v[2:3]
	v_add_nc_u64_e32 v[12:13], s[10:11], v[12:13]
	v_add_nc_u64_e32 v[22:23], s[10:11], v[22:23]
	;; [unrolled: 1-line block ×7, first 2 shown]
	s_cbranch_vccnz .LBB52_41
.LBB52_17:                              ; =>This Inner Loop Header: Depth=1
	v_add_nc_u64_e32 v[32:33], s[12:13], v[0:1]
	v_mov_b64_e32 v[30:31], 0
	v_mov_b64_e32 v[34:35], 0
	s_delay_alu instid0(VALU_DEP_3)
	v_cmp_lt_u64_e32 vcc_lo, v[32:33], v[4:5]
	s_and_saveexec_b32 s0, vcc_lo
	s_cbranch_execz .LBB52_19
; %bb.18:                               ;   in Loop: Header=BB52_17 Depth=1
	v_add_nc_u64_e32 v[32:33], s[4:5], v[8:9]
	global_load_b64 v[34:35], v[32:33], off
.LBB52_19:                              ;   in Loop: Header=BB52_17 Depth=1
	s_wait_xcnt 0x0
	s_or_b32 exec_lo, exec_lo, s0
	v_add_nc_u64_e32 v[32:33], s[12:13], v[10:11]
	s_delay_alu instid0(VALU_DEP_1)
	v_cmp_lt_u64_e64 s0, v[32:33], v[4:5]
	s_and_saveexec_b32 s1, s0
	s_cbranch_execz .LBB52_21
; %bb.20:                               ;   in Loop: Header=BB52_17 Depth=1
	v_add_nc_u64_e32 v[30:31], s[4:5], v[26:27]
	global_load_b64 v[30:31], v[30:31], off
.LBB52_21:                              ;   in Loop: Header=BB52_17 Depth=1
	s_wait_xcnt 0x0
	s_or_b32 exec_lo, exec_lo, s1
	v_add_nc_u64_e32 v[36:37], s[12:13], v[16:17]
	v_mov_b64_e32 v[32:33], 0
	s_delay_alu instid0(VALU_DEP_2)
	v_cmp_lt_u64_e64 s1, v[36:37], v[4:5]
	v_mov_b64_e32 v[36:37], 0
	s_and_saveexec_b32 s2, s1
	s_cbranch_execz .LBB52_23
; %bb.22:                               ;   in Loop: Header=BB52_17 Depth=1
	v_add_nc_u64_e32 v[36:37], s[4:5], v[18:19]
	global_load_b64 v[36:37], v[36:37], off
.LBB52_23:                              ;   in Loop: Header=BB52_17 Depth=1
	s_wait_xcnt 0x0
	s_or_b32 exec_lo, exec_lo, s2
	v_add_nc_u64_e32 v[38:39], s[12:13], v[14:15]
	s_delay_alu instid0(VALU_DEP_1)
	v_cmp_lt_u64_e64 s2, v[38:39], v[4:5]
	s_and_saveexec_b32 s3, s2
	s_cbranch_execz .LBB52_25
; %bb.24:                               ;   in Loop: Header=BB52_17 Depth=1
	v_add_nc_u64_e32 v[32:33], s[4:5], v[22:23]
	global_load_b64 v[32:33], v[32:33], off
.LBB52_25:                              ;   in Loop: Header=BB52_17 Depth=1
	s_wait_xcnt 0x0
	s_or_b32 exec_lo, exec_lo, s3
	s_wait_loadcnt 0x0
	v_fma_f64 v[42:43], |v[34:35]|, -0.5, 0.5
	v_mul_f64_e32 v[38:39], v[34:35], v[34:35]
	v_cmp_ge_f64_e64 s3, |v[34:35]|, 0.5
	s_delay_alu instid0(VALU_DEP_1) | instskip(NEXT) | instid1(VALU_DEP_1)
	v_dual_cndmask_b32 v39, v39, v43, s3 :: v_dual_cndmask_b32 v38, v38, v42, s3
	v_fmamk_f64 v[40:41], v[38:39], 0x3fa059859fea6a70, v[6:7]
	s_delay_alu instid0(VALU_DEP_1) | instskip(NEXT) | instid1(VALU_DEP_1)
	v_fmaak_f64 v[40:41], v[38:39], v[40:41], 0x3f94052137024d6a
	v_fmaak_f64 v[40:41], v[38:39], v[40:41], 0x3f7ab3a098a70509
	s_delay_alu instid0(VALU_DEP_1) | instskip(NEXT) | instid1(VALU_DEP_1)
	v_fmaak_f64 v[40:41], v[38:39], v[40:41], 0x3f88ed60a300c8d2
	v_fmaak_f64 v[40:41], v[38:39], v[40:41], 0x3f8c6fa84b77012b
	;; [unrolled: 3-line block ×5, first 2 shown]
	s_delay_alu instid0(VALU_DEP_1) | instskip(NEXT) | instid1(VALU_DEP_1)
	v_mul_f64_e32 v[40:41], v[38:39], v[40:41]
	v_fma_f64 v[38:39], |v[34:35]|, v[40:41], |v[34:35]|
	s_and_saveexec_b32 s14, s3
	s_cbranch_execz .LBB52_27
; %bb.26:                               ;   in Loop: Header=BB52_17 Depth=1
	v_rsq_f64_e32 v[38:39], v[42:43]
	v_cmp_eq_f64_e64 s3, 0, v[42:43]
	s_delay_alu instid0(TRANS32_DEP_1) | instskip(SKIP_1) | instid1(VALU_DEP_1)
	v_mul_f64_e32 v[44:45], v[42:43], v[38:39]
	v_mul_f64_e32 v[38:39], 0.5, v[38:39]
	v_fma_f64 v[46:47], -v[38:39], v[44:45], 0.5
	s_delay_alu instid0(VALU_DEP_1) | instskip(SKIP_1) | instid1(VALU_DEP_2)
	v_fmac_f64_e32 v[44:45], v[44:45], v[46:47]
	v_fmac_f64_e32 v[38:39], v[38:39], v[46:47]
	v_fma_f64 v[46:47], -v[44:45], v[44:45], v[42:43]
	s_delay_alu instid0(VALU_DEP_1) | instskip(NEXT) | instid1(VALU_DEP_1)
	v_fmac_f64_e32 v[44:45], v[46:47], v[38:39]
	v_dual_cndmask_b32 v39, v45, v43, s3 :: v_dual_cndmask_b32 v38, v44, v42, s3
	s_delay_alu instid0(VALU_DEP_1) | instskip(SKIP_1) | instid1(VALU_DEP_2)
	v_add_f64_e32 v[44:45], v[38:39], v[38:39]
	v_mul_f64_e32 v[46:47], v[38:39], v[38:39]
	v_rcp_f64_e32 v[48:49], v[44:45]
	s_delay_alu instid0(VALU_DEP_1) | instskip(SKIP_1) | instid1(VALU_DEP_2)
	v_add_f64_e64 v[50:51], v[42:43], -v[46:47]
	v_fma_f64 v[54:55], v[38:39], v[38:39], -v[46:47]
	v_add_f64_e64 v[42:43], v[42:43], -v[50:51]
	s_delay_alu instid0(TRANS32_DEP_1) | instskip(NEXT) | instid1(VALU_DEP_2)
	v_fma_f64 v[52:53], -v[44:45], v[48:49], 1.0
	v_add_f64_e64 v[42:43], v[42:43], -v[46:47]
	s_delay_alu instid0(VALU_DEP_2) | instskip(NEXT) | instid1(VALU_DEP_2)
	v_fmac_f64_e32 v[48:49], v[52:53], v[48:49]
	v_add_f64_e64 v[42:43], v[42:43], -v[54:55]
	s_delay_alu instid0(VALU_DEP_2) | instskip(NEXT) | instid1(VALU_DEP_2)
	v_fma_f64 v[46:47], -v[44:45], v[48:49], 1.0
	v_add_f64_e32 v[42:43], v[50:51], v[42:43]
	s_delay_alu instid0(VALU_DEP_2) | instskip(NEXT) | instid1(VALU_DEP_1)
	v_fmac_f64_e32 v[48:49], v[46:47], v[48:49]
	v_mul_f64_e32 v[46:47], v[42:43], v[48:49]
	s_delay_alu instid0(VALU_DEP_1) | instskip(NEXT) | instid1(VALU_DEP_1)
	v_fma_f64 v[42:43], -v[44:45], v[46:47], v[42:43]
	v_fmac_f64_e32 v[46:47], v[42:43], v[48:49]
	s_delay_alu instid0(VALU_DEP_1) | instskip(NEXT) | instid1(VALU_DEP_2)
	v_cndmask_b32_e64 v43, v47, 0, s3
	v_cndmask_b32_e64 v42, v46, 0, s3
	v_cmp_neq_f64_e64 s3, |v[34:35]|, 1.0
	s_delay_alu instid0(VALU_DEP_2) | instskip(NEXT) | instid1(VALU_DEP_1)
	v_add_f64_e32 v[44:45], v[38:39], v[42:43]
	v_add_f64_e64 v[38:39], v[44:45], -v[38:39]
	v_mul_f64_e32 v[46:47], v[40:41], v[44:45]
	s_delay_alu instid0(VALU_DEP_2) | instskip(NEXT) | instid1(VALU_DEP_2)
	v_add_f64_e64 v[38:39], v[42:43], -v[38:39]
	v_fma_f64 v[42:43], v[44:45], v[40:41], -v[46:47]
	s_delay_alu instid0(VALU_DEP_1) | instskip(NEXT) | instid1(VALU_DEP_1)
	v_fmac_f64_e32 v[42:43], v[38:39], v[40:41]
	v_add_f64_e32 v[40:41], v[46:47], v[42:43]
	s_delay_alu instid0(VALU_DEP_1) | instskip(SKIP_1) | instid1(VALU_DEP_2)
	v_add_f64_e32 v[48:49], v[44:45], v[40:41]
	v_add_f64_e64 v[46:47], v[40:41], -v[46:47]
	v_add_f64_e64 v[44:45], v[48:49], -v[44:45]
	s_delay_alu instid0(VALU_DEP_2) | instskip(NEXT) | instid1(VALU_DEP_2)
	v_add_f64_e64 v[42:43], v[42:43], -v[46:47]
	v_add_f64_e64 v[40:41], v[40:41], -v[44:45]
	s_delay_alu instid0(VALU_DEP_2) | instskip(NEXT) | instid1(VALU_DEP_1)
	v_add_f64_e32 v[38:39], v[38:39], v[42:43]
	v_add_f64_e32 v[38:39], v[38:39], v[40:41]
	s_delay_alu instid0(VALU_DEP_1) | instskip(NEXT) | instid1(VALU_DEP_1)
	v_add_f64_e32 v[40:41], v[48:49], v[38:39]
	v_add_f64_e64 v[42:43], -v[40:41], s[6:7]
	v_add_f64_e64 v[46:47], v[40:41], -v[48:49]
	s_delay_alu instid0(VALU_DEP_2) | instskip(NEXT) | instid1(VALU_DEP_2)
	v_add_f64_e64 v[44:45], -v[42:43], s[6:7]
	v_add_f64_e64 v[38:39], v[46:47], -v[38:39]
	s_delay_alu instid0(VALU_DEP_2) | instskip(NEXT) | instid1(VALU_DEP_1)
	v_add_f64_e64 v[40:41], v[44:45], -v[40:41]
	v_add_f64_e32 v[40:41], 0x3c81a62633145c07, v[40:41]
	s_delay_alu instid0(VALU_DEP_1) | instskip(NEXT) | instid1(VALU_DEP_1)
	v_add_f64_e32 v[38:39], v[38:39], v[40:41]
	v_add_f64_e32 v[38:39], v[42:43], v[38:39]
	s_delay_alu instid0(VALU_DEP_1) | instskip(NEXT) | instid1(VALU_DEP_1)
	v_add_f64_e32 v[38:39], v[38:39], v[38:39]
	v_cndmask_b32_e64 v39, 0x3ff921fb, v39, s3
	s_delay_alu instid0(VALU_DEP_2)
	v_cndmask_b32_e64 v38, 0x54442d18, v38, s3
.LBB52_27:                              ;   in Loop: Header=BB52_17 Depth=1
	s_or_b32 exec_lo, exec_lo, s14
	v_fma_f64 v[44:45], |v[30:31]|, -0.5, 0.5
	v_mul_f64_e32 v[40:41], v[30:31], v[30:31]
	v_cmp_ge_f64_e64 s3, |v[30:31]|, 0.5
	s_delay_alu instid0(VALU_DEP_1) | instskip(NEXT) | instid1(VALU_DEP_1)
	v_dual_cndmask_b32 v41, v41, v45, s3 :: v_dual_cndmask_b32 v40, v40, v44, s3
	v_fmamk_f64 v[42:43], v[40:41], 0x3fa059859fea6a70, v[6:7]
	s_delay_alu instid0(VALU_DEP_1) | instskip(NEXT) | instid1(VALU_DEP_1)
	v_fmaak_f64 v[42:43], v[40:41], v[42:43], 0x3f94052137024d6a
	v_fmaak_f64 v[42:43], v[40:41], v[42:43], 0x3f7ab3a098a70509
	s_delay_alu instid0(VALU_DEP_1) | instskip(NEXT) | instid1(VALU_DEP_1)
	v_fmaak_f64 v[42:43], v[40:41], v[42:43], 0x3f88ed60a300c8d2
	v_fmaak_f64 v[42:43], v[40:41], v[42:43], 0x3f8c6fa84b77012b
	;; [unrolled: 3-line block ×5, first 2 shown]
	s_delay_alu instid0(VALU_DEP_1) | instskip(NEXT) | instid1(VALU_DEP_1)
	v_mul_f64_e32 v[42:43], v[40:41], v[42:43]
	v_fma_f64 v[40:41], |v[30:31]|, v[42:43], |v[30:31]|
	s_and_saveexec_b32 s14, s3
	s_cbranch_execz .LBB52_29
; %bb.28:                               ;   in Loop: Header=BB52_17 Depth=1
	v_rsq_f64_e32 v[40:41], v[44:45]
	v_cmp_eq_f64_e64 s3, 0, v[44:45]
	s_delay_alu instid0(TRANS32_DEP_1) | instskip(SKIP_1) | instid1(VALU_DEP_1)
	v_mul_f64_e32 v[46:47], v[44:45], v[40:41]
	v_mul_f64_e32 v[40:41], 0.5, v[40:41]
	v_fma_f64 v[48:49], -v[40:41], v[46:47], 0.5
	s_delay_alu instid0(VALU_DEP_1) | instskip(SKIP_1) | instid1(VALU_DEP_2)
	v_fmac_f64_e32 v[46:47], v[46:47], v[48:49]
	v_fmac_f64_e32 v[40:41], v[40:41], v[48:49]
	v_fma_f64 v[48:49], -v[46:47], v[46:47], v[44:45]
	s_delay_alu instid0(VALU_DEP_1) | instskip(NEXT) | instid1(VALU_DEP_1)
	v_fmac_f64_e32 v[46:47], v[48:49], v[40:41]
	v_dual_cndmask_b32 v41, v47, v45, s3 :: v_dual_cndmask_b32 v40, v46, v44, s3
	s_delay_alu instid0(VALU_DEP_1) | instskip(SKIP_1) | instid1(VALU_DEP_2)
	v_add_f64_e32 v[46:47], v[40:41], v[40:41]
	v_mul_f64_e32 v[48:49], v[40:41], v[40:41]
	v_rcp_f64_e32 v[50:51], v[46:47]
	s_delay_alu instid0(VALU_DEP_1) | instskip(SKIP_1) | instid1(VALU_DEP_2)
	v_add_f64_e64 v[52:53], v[44:45], -v[48:49]
	v_fma_f64 v[56:57], v[40:41], v[40:41], -v[48:49]
	v_add_f64_e64 v[44:45], v[44:45], -v[52:53]
	s_delay_alu instid0(TRANS32_DEP_1) | instskip(NEXT) | instid1(VALU_DEP_2)
	v_fma_f64 v[54:55], -v[46:47], v[50:51], 1.0
	v_add_f64_e64 v[44:45], v[44:45], -v[48:49]
	s_delay_alu instid0(VALU_DEP_2) | instskip(NEXT) | instid1(VALU_DEP_2)
	v_fmac_f64_e32 v[50:51], v[54:55], v[50:51]
	v_add_f64_e64 v[44:45], v[44:45], -v[56:57]
	s_delay_alu instid0(VALU_DEP_2) | instskip(NEXT) | instid1(VALU_DEP_2)
	v_fma_f64 v[48:49], -v[46:47], v[50:51], 1.0
	v_add_f64_e32 v[44:45], v[52:53], v[44:45]
	s_delay_alu instid0(VALU_DEP_2) | instskip(NEXT) | instid1(VALU_DEP_1)
	v_fmac_f64_e32 v[50:51], v[48:49], v[50:51]
	v_mul_f64_e32 v[48:49], v[44:45], v[50:51]
	s_delay_alu instid0(VALU_DEP_1) | instskip(NEXT) | instid1(VALU_DEP_1)
	v_fma_f64 v[44:45], -v[46:47], v[48:49], v[44:45]
	v_fmac_f64_e32 v[48:49], v[44:45], v[50:51]
	s_delay_alu instid0(VALU_DEP_1) | instskip(NEXT) | instid1(VALU_DEP_2)
	v_cndmask_b32_e64 v45, v49, 0, s3
	v_cndmask_b32_e64 v44, v48, 0, s3
	v_cmp_neq_f64_e64 s3, |v[30:31]|, 1.0
	s_delay_alu instid0(VALU_DEP_2) | instskip(NEXT) | instid1(VALU_DEP_1)
	v_add_f64_e32 v[46:47], v[40:41], v[44:45]
	v_add_f64_e64 v[40:41], v[46:47], -v[40:41]
	v_mul_f64_e32 v[48:49], v[42:43], v[46:47]
	s_delay_alu instid0(VALU_DEP_2) | instskip(NEXT) | instid1(VALU_DEP_2)
	v_add_f64_e64 v[40:41], v[44:45], -v[40:41]
	v_fma_f64 v[44:45], v[46:47], v[42:43], -v[48:49]
	s_delay_alu instid0(VALU_DEP_1) | instskip(NEXT) | instid1(VALU_DEP_1)
	v_fmac_f64_e32 v[44:45], v[40:41], v[42:43]
	v_add_f64_e32 v[42:43], v[48:49], v[44:45]
	s_delay_alu instid0(VALU_DEP_1) | instskip(SKIP_1) | instid1(VALU_DEP_2)
	v_add_f64_e32 v[50:51], v[46:47], v[42:43]
	v_add_f64_e64 v[48:49], v[42:43], -v[48:49]
	v_add_f64_e64 v[46:47], v[50:51], -v[46:47]
	s_delay_alu instid0(VALU_DEP_2) | instskip(NEXT) | instid1(VALU_DEP_2)
	v_add_f64_e64 v[44:45], v[44:45], -v[48:49]
	v_add_f64_e64 v[42:43], v[42:43], -v[46:47]
	s_delay_alu instid0(VALU_DEP_2) | instskip(NEXT) | instid1(VALU_DEP_1)
	v_add_f64_e32 v[40:41], v[40:41], v[44:45]
	v_add_f64_e32 v[40:41], v[40:41], v[42:43]
	s_delay_alu instid0(VALU_DEP_1) | instskip(NEXT) | instid1(VALU_DEP_1)
	v_add_f64_e32 v[42:43], v[50:51], v[40:41]
	v_add_f64_e64 v[44:45], -v[42:43], s[6:7]
	v_add_f64_e64 v[48:49], v[42:43], -v[50:51]
	s_delay_alu instid0(VALU_DEP_2) | instskip(NEXT) | instid1(VALU_DEP_2)
	v_add_f64_e64 v[46:47], -v[44:45], s[6:7]
	v_add_f64_e64 v[40:41], v[48:49], -v[40:41]
	s_delay_alu instid0(VALU_DEP_2) | instskip(NEXT) | instid1(VALU_DEP_1)
	v_add_f64_e64 v[42:43], v[46:47], -v[42:43]
	v_add_f64_e32 v[42:43], 0x3c81a62633145c07, v[42:43]
	s_delay_alu instid0(VALU_DEP_1) | instskip(NEXT) | instid1(VALU_DEP_1)
	v_add_f64_e32 v[40:41], v[40:41], v[42:43]
	v_add_f64_e32 v[40:41], v[44:45], v[40:41]
	s_delay_alu instid0(VALU_DEP_1) | instskip(NEXT) | instid1(VALU_DEP_1)
	v_add_f64_e32 v[40:41], v[40:41], v[40:41]
	v_cndmask_b32_e64 v41, 0x3ff921fb, v41, s3
	s_delay_alu instid0(VALU_DEP_2)
	v_cndmask_b32_e64 v40, 0x54442d18, v40, s3
.LBB52_29:                              ;   in Loop: Header=BB52_17 Depth=1
	s_or_b32 exec_lo, exec_lo, s14
	v_fma_f64 v[46:47], |v[36:37]|, -0.5, 0.5
	v_mul_f64_e32 v[42:43], v[36:37], v[36:37]
	v_cmp_ge_f64_e64 s3, |v[36:37]|, 0.5
	s_delay_alu instid0(VALU_DEP_1) | instskip(NEXT) | instid1(VALU_DEP_1)
	v_dual_cndmask_b32 v43, v43, v47, s3 :: v_dual_cndmask_b32 v42, v42, v46, s3
	v_fmamk_f64 v[44:45], v[42:43], 0x3fa059859fea6a70, v[6:7]
	s_delay_alu instid0(VALU_DEP_1) | instskip(NEXT) | instid1(VALU_DEP_1)
	v_fmaak_f64 v[44:45], v[42:43], v[44:45], 0x3f94052137024d6a
	v_fmaak_f64 v[44:45], v[42:43], v[44:45], 0x3f7ab3a098a70509
	s_delay_alu instid0(VALU_DEP_1) | instskip(NEXT) | instid1(VALU_DEP_1)
	v_fmaak_f64 v[44:45], v[42:43], v[44:45], 0x3f88ed60a300c8d2
	v_fmaak_f64 v[44:45], v[42:43], v[44:45], 0x3f8c6fa84b77012b
	s_delay_alu instid0(VALU_DEP_1) | instskip(NEXT) | instid1(VALU_DEP_1)
	v_fmaak_f64 v[44:45], v[42:43], v[44:45], 0x3f91c6c111dccb70
	v_fmaak_f64 v[44:45], v[42:43], v[44:45], 0x3f96e89f0a0adacf
	s_delay_alu instid0(VALU_DEP_1) | instskip(NEXT) | instid1(VALU_DEP_1)
	v_fmaak_f64 v[44:45], v[42:43], v[44:45], 0x3f9f1c72c668963f
	v_fmaak_f64 v[44:45], v[42:43], v[44:45], 0x3fa6db6db41ce4bd
	s_delay_alu instid0(VALU_DEP_1) | instskip(NEXT) | instid1(VALU_DEP_1)
	v_fmaak_f64 v[44:45], v[42:43], v[44:45], 0x3fb333333336fd5b
	v_fmaak_f64 v[44:45], v[42:43], v[44:45], 0x3fc5555555555380
	s_delay_alu instid0(VALU_DEP_1) | instskip(NEXT) | instid1(VALU_DEP_1)
	v_mul_f64_e32 v[44:45], v[42:43], v[44:45]
	v_fma_f64 v[42:43], |v[36:37]|, v[44:45], |v[36:37]|
	s_and_saveexec_b32 s14, s3
	s_cbranch_execz .LBB52_31
; %bb.30:                               ;   in Loop: Header=BB52_17 Depth=1
	v_rsq_f64_e32 v[42:43], v[46:47]
	v_cmp_eq_f64_e64 s3, 0, v[46:47]
	s_delay_alu instid0(TRANS32_DEP_1) | instskip(SKIP_1) | instid1(VALU_DEP_1)
	v_mul_f64_e32 v[48:49], v[46:47], v[42:43]
	v_mul_f64_e32 v[42:43], 0.5, v[42:43]
	v_fma_f64 v[50:51], -v[42:43], v[48:49], 0.5
	s_delay_alu instid0(VALU_DEP_1) | instskip(SKIP_1) | instid1(VALU_DEP_2)
	v_fmac_f64_e32 v[48:49], v[48:49], v[50:51]
	v_fmac_f64_e32 v[42:43], v[42:43], v[50:51]
	v_fma_f64 v[50:51], -v[48:49], v[48:49], v[46:47]
	s_delay_alu instid0(VALU_DEP_1) | instskip(NEXT) | instid1(VALU_DEP_1)
	v_fmac_f64_e32 v[48:49], v[50:51], v[42:43]
	v_dual_cndmask_b32 v43, v49, v47, s3 :: v_dual_cndmask_b32 v42, v48, v46, s3
	s_delay_alu instid0(VALU_DEP_1) | instskip(SKIP_1) | instid1(VALU_DEP_2)
	v_add_f64_e32 v[48:49], v[42:43], v[42:43]
	v_mul_f64_e32 v[50:51], v[42:43], v[42:43]
	v_rcp_f64_e32 v[52:53], v[48:49]
	s_delay_alu instid0(VALU_DEP_1) | instskip(SKIP_1) | instid1(VALU_DEP_2)
	v_add_f64_e64 v[54:55], v[46:47], -v[50:51]
	v_fma_f64 v[58:59], v[42:43], v[42:43], -v[50:51]
	v_add_f64_e64 v[46:47], v[46:47], -v[54:55]
	s_delay_alu instid0(TRANS32_DEP_1) | instskip(NEXT) | instid1(VALU_DEP_2)
	v_fma_f64 v[56:57], -v[48:49], v[52:53], 1.0
	v_add_f64_e64 v[46:47], v[46:47], -v[50:51]
	s_delay_alu instid0(VALU_DEP_2) | instskip(NEXT) | instid1(VALU_DEP_2)
	v_fmac_f64_e32 v[52:53], v[56:57], v[52:53]
	v_add_f64_e64 v[46:47], v[46:47], -v[58:59]
	s_delay_alu instid0(VALU_DEP_2) | instskip(NEXT) | instid1(VALU_DEP_2)
	v_fma_f64 v[50:51], -v[48:49], v[52:53], 1.0
	v_add_f64_e32 v[46:47], v[54:55], v[46:47]
	s_delay_alu instid0(VALU_DEP_2) | instskip(NEXT) | instid1(VALU_DEP_1)
	v_fmac_f64_e32 v[52:53], v[50:51], v[52:53]
	v_mul_f64_e32 v[50:51], v[46:47], v[52:53]
	s_delay_alu instid0(VALU_DEP_1) | instskip(NEXT) | instid1(VALU_DEP_1)
	v_fma_f64 v[46:47], -v[48:49], v[50:51], v[46:47]
	v_fmac_f64_e32 v[50:51], v[46:47], v[52:53]
	s_delay_alu instid0(VALU_DEP_1) | instskip(NEXT) | instid1(VALU_DEP_2)
	v_cndmask_b32_e64 v47, v51, 0, s3
	v_cndmask_b32_e64 v46, v50, 0, s3
	v_cmp_neq_f64_e64 s3, |v[36:37]|, 1.0
	s_delay_alu instid0(VALU_DEP_2) | instskip(NEXT) | instid1(VALU_DEP_1)
	v_add_f64_e32 v[48:49], v[42:43], v[46:47]
	v_add_f64_e64 v[42:43], v[48:49], -v[42:43]
	v_mul_f64_e32 v[50:51], v[44:45], v[48:49]
	s_delay_alu instid0(VALU_DEP_2) | instskip(NEXT) | instid1(VALU_DEP_2)
	v_add_f64_e64 v[42:43], v[46:47], -v[42:43]
	v_fma_f64 v[46:47], v[48:49], v[44:45], -v[50:51]
	s_delay_alu instid0(VALU_DEP_1) | instskip(NEXT) | instid1(VALU_DEP_1)
	v_fmac_f64_e32 v[46:47], v[42:43], v[44:45]
	v_add_f64_e32 v[44:45], v[50:51], v[46:47]
	s_delay_alu instid0(VALU_DEP_1) | instskip(SKIP_1) | instid1(VALU_DEP_2)
	v_add_f64_e32 v[52:53], v[48:49], v[44:45]
	v_add_f64_e64 v[50:51], v[44:45], -v[50:51]
	v_add_f64_e64 v[48:49], v[52:53], -v[48:49]
	s_delay_alu instid0(VALU_DEP_2) | instskip(NEXT) | instid1(VALU_DEP_2)
	v_add_f64_e64 v[46:47], v[46:47], -v[50:51]
	v_add_f64_e64 v[44:45], v[44:45], -v[48:49]
	s_delay_alu instid0(VALU_DEP_2) | instskip(NEXT) | instid1(VALU_DEP_1)
	v_add_f64_e32 v[42:43], v[42:43], v[46:47]
	v_add_f64_e32 v[42:43], v[42:43], v[44:45]
	s_delay_alu instid0(VALU_DEP_1) | instskip(NEXT) | instid1(VALU_DEP_1)
	v_add_f64_e32 v[44:45], v[52:53], v[42:43]
	v_add_f64_e64 v[46:47], -v[44:45], s[6:7]
	v_add_f64_e64 v[50:51], v[44:45], -v[52:53]
	s_delay_alu instid0(VALU_DEP_2) | instskip(NEXT) | instid1(VALU_DEP_2)
	v_add_f64_e64 v[48:49], -v[46:47], s[6:7]
	v_add_f64_e64 v[42:43], v[50:51], -v[42:43]
	s_delay_alu instid0(VALU_DEP_2) | instskip(NEXT) | instid1(VALU_DEP_1)
	v_add_f64_e64 v[44:45], v[48:49], -v[44:45]
	v_add_f64_e32 v[44:45], 0x3c81a62633145c07, v[44:45]
	s_delay_alu instid0(VALU_DEP_1) | instskip(NEXT) | instid1(VALU_DEP_1)
	v_add_f64_e32 v[42:43], v[42:43], v[44:45]
	v_add_f64_e32 v[42:43], v[46:47], v[42:43]
	s_delay_alu instid0(VALU_DEP_1) | instskip(NEXT) | instid1(VALU_DEP_1)
	v_add_f64_e32 v[42:43], v[42:43], v[42:43]
	v_cndmask_b32_e64 v43, 0x3ff921fb, v43, s3
	s_delay_alu instid0(VALU_DEP_2)
	v_cndmask_b32_e64 v42, 0x54442d18, v42, s3
.LBB52_31:                              ;   in Loop: Header=BB52_17 Depth=1
	s_or_b32 exec_lo, exec_lo, s14
	v_fma_f64 v[48:49], |v[32:33]|, -0.5, 0.5
	v_mul_f64_e32 v[44:45], v[32:33], v[32:33]
	v_cmp_ge_f64_e64 s3, |v[32:33]|, 0.5
	s_delay_alu instid0(VALU_DEP_1) | instskip(NEXT) | instid1(VALU_DEP_1)
	v_dual_cndmask_b32 v45, v45, v49, s3 :: v_dual_cndmask_b32 v44, v44, v48, s3
	v_fmamk_f64 v[46:47], v[44:45], 0x3fa059859fea6a70, v[6:7]
	s_delay_alu instid0(VALU_DEP_1) | instskip(NEXT) | instid1(VALU_DEP_1)
	v_fmaak_f64 v[46:47], v[44:45], v[46:47], 0x3f94052137024d6a
	v_fmaak_f64 v[46:47], v[44:45], v[46:47], 0x3f7ab3a098a70509
	s_delay_alu instid0(VALU_DEP_1) | instskip(NEXT) | instid1(VALU_DEP_1)
	v_fmaak_f64 v[46:47], v[44:45], v[46:47], 0x3f88ed60a300c8d2
	v_fmaak_f64 v[46:47], v[44:45], v[46:47], 0x3f8c6fa84b77012b
	;; [unrolled: 3-line block ×5, first 2 shown]
	s_delay_alu instid0(VALU_DEP_1) | instskip(NEXT) | instid1(VALU_DEP_1)
	v_mul_f64_e32 v[46:47], v[44:45], v[46:47]
	v_fma_f64 v[44:45], |v[32:33]|, v[46:47], |v[32:33]|
	s_and_saveexec_b32 s14, s3
	s_cbranch_execnz .LBB52_36
; %bb.32:                               ;   in Loop: Header=BB52_17 Depth=1
	s_or_b32 exec_lo, exec_lo, s14
	s_and_saveexec_b32 s3, vcc_lo
	s_delay_alu instid0(SALU_CYCLE_1)
	s_xor_b32 s3, exec_lo, s3
	s_cbranch_execnz .LBB52_37
.LBB52_33:                              ;   in Loop: Header=BB52_17 Depth=1
	s_or_b32 exec_lo, exec_lo, s3
	s_and_saveexec_b32 s3, s0
	s_cbranch_execnz .LBB52_38
.LBB52_34:                              ;   in Loop: Header=BB52_17 Depth=1
	s_or_b32 exec_lo, exec_lo, s3
	s_and_saveexec_b32 s0, s1
	s_cbranch_execnz .LBB52_39
.LBB52_35:                              ;   in Loop: Header=BB52_17 Depth=1
	s_or_b32 exec_lo, exec_lo, s0
	s_and_saveexec_b32 s0, s2
	s_cbranch_execz .LBB52_16
	s_branch .LBB52_40
.LBB52_36:                              ;   in Loop: Header=BB52_17 Depth=1
	v_rsq_f64_e32 v[44:45], v[48:49]
	v_cmp_eq_f64_e64 s3, 0, v[48:49]
	s_delay_alu instid0(TRANS32_DEP_1) | instskip(SKIP_1) | instid1(VALU_DEP_1)
	v_mul_f64_e32 v[50:51], v[48:49], v[44:45]
	v_mul_f64_e32 v[44:45], 0.5, v[44:45]
	v_fma_f64 v[52:53], -v[44:45], v[50:51], 0.5
	s_delay_alu instid0(VALU_DEP_1) | instskip(SKIP_1) | instid1(VALU_DEP_2)
	v_fmac_f64_e32 v[50:51], v[50:51], v[52:53]
	v_fmac_f64_e32 v[44:45], v[44:45], v[52:53]
	v_fma_f64 v[52:53], -v[50:51], v[50:51], v[48:49]
	s_delay_alu instid0(VALU_DEP_1) | instskip(NEXT) | instid1(VALU_DEP_1)
	v_fmac_f64_e32 v[50:51], v[52:53], v[44:45]
	v_dual_cndmask_b32 v45, v51, v49, s3 :: v_dual_cndmask_b32 v44, v50, v48, s3
	s_delay_alu instid0(VALU_DEP_1) | instskip(SKIP_1) | instid1(VALU_DEP_2)
	v_add_f64_e32 v[50:51], v[44:45], v[44:45]
	v_mul_f64_e32 v[52:53], v[44:45], v[44:45]
	v_rcp_f64_e32 v[54:55], v[50:51]
	s_delay_alu instid0(VALU_DEP_1) | instskip(SKIP_1) | instid1(VALU_DEP_2)
	v_add_f64_e64 v[56:57], v[48:49], -v[52:53]
	v_fma_f64 v[60:61], v[44:45], v[44:45], -v[52:53]
	v_add_f64_e64 v[48:49], v[48:49], -v[56:57]
	s_delay_alu instid0(TRANS32_DEP_1) | instskip(NEXT) | instid1(VALU_DEP_2)
	v_fma_f64 v[58:59], -v[50:51], v[54:55], 1.0
	v_add_f64_e64 v[48:49], v[48:49], -v[52:53]
	s_delay_alu instid0(VALU_DEP_2) | instskip(NEXT) | instid1(VALU_DEP_2)
	v_fmac_f64_e32 v[54:55], v[58:59], v[54:55]
	v_add_f64_e64 v[48:49], v[48:49], -v[60:61]
	s_delay_alu instid0(VALU_DEP_2) | instskip(NEXT) | instid1(VALU_DEP_2)
	v_fma_f64 v[52:53], -v[50:51], v[54:55], 1.0
	v_add_f64_e32 v[48:49], v[56:57], v[48:49]
	s_delay_alu instid0(VALU_DEP_2) | instskip(NEXT) | instid1(VALU_DEP_1)
	v_fmac_f64_e32 v[54:55], v[52:53], v[54:55]
	v_mul_f64_e32 v[52:53], v[48:49], v[54:55]
	s_delay_alu instid0(VALU_DEP_1) | instskip(NEXT) | instid1(VALU_DEP_1)
	v_fma_f64 v[48:49], -v[50:51], v[52:53], v[48:49]
	v_fmac_f64_e32 v[52:53], v[48:49], v[54:55]
	s_delay_alu instid0(VALU_DEP_1) | instskip(NEXT) | instid1(VALU_DEP_2)
	v_cndmask_b32_e64 v49, v53, 0, s3
	v_cndmask_b32_e64 v48, v52, 0, s3
	v_cmp_neq_f64_e64 s3, |v[32:33]|, 1.0
	s_delay_alu instid0(VALU_DEP_2) | instskip(NEXT) | instid1(VALU_DEP_1)
	v_add_f64_e32 v[50:51], v[44:45], v[48:49]
	v_add_f64_e64 v[44:45], v[50:51], -v[44:45]
	v_mul_f64_e32 v[52:53], v[46:47], v[50:51]
	s_delay_alu instid0(VALU_DEP_2) | instskip(NEXT) | instid1(VALU_DEP_2)
	v_add_f64_e64 v[44:45], v[48:49], -v[44:45]
	v_fma_f64 v[48:49], v[50:51], v[46:47], -v[52:53]
	s_delay_alu instid0(VALU_DEP_1) | instskip(NEXT) | instid1(VALU_DEP_1)
	v_fmac_f64_e32 v[48:49], v[44:45], v[46:47]
	v_add_f64_e32 v[46:47], v[52:53], v[48:49]
	s_delay_alu instid0(VALU_DEP_1) | instskip(SKIP_1) | instid1(VALU_DEP_2)
	v_add_f64_e32 v[54:55], v[50:51], v[46:47]
	v_add_f64_e64 v[52:53], v[46:47], -v[52:53]
	v_add_f64_e64 v[50:51], v[54:55], -v[50:51]
	s_delay_alu instid0(VALU_DEP_2) | instskip(NEXT) | instid1(VALU_DEP_2)
	v_add_f64_e64 v[48:49], v[48:49], -v[52:53]
	v_add_f64_e64 v[46:47], v[46:47], -v[50:51]
	s_delay_alu instid0(VALU_DEP_2) | instskip(NEXT) | instid1(VALU_DEP_1)
	v_add_f64_e32 v[44:45], v[44:45], v[48:49]
	v_add_f64_e32 v[44:45], v[44:45], v[46:47]
	s_delay_alu instid0(VALU_DEP_1) | instskip(NEXT) | instid1(VALU_DEP_1)
	v_add_f64_e32 v[46:47], v[54:55], v[44:45]
	v_add_f64_e64 v[48:49], -v[46:47], s[6:7]
	v_add_f64_e64 v[52:53], v[46:47], -v[54:55]
	s_delay_alu instid0(VALU_DEP_2) | instskip(NEXT) | instid1(VALU_DEP_2)
	v_add_f64_e64 v[50:51], -v[48:49], s[6:7]
	v_add_f64_e64 v[44:45], v[52:53], -v[44:45]
	s_delay_alu instid0(VALU_DEP_2) | instskip(NEXT) | instid1(VALU_DEP_1)
	v_add_f64_e64 v[46:47], v[50:51], -v[46:47]
	v_add_f64_e32 v[46:47], 0x3c81a62633145c07, v[46:47]
	s_delay_alu instid0(VALU_DEP_1) | instskip(NEXT) | instid1(VALU_DEP_1)
	v_add_f64_e32 v[44:45], v[44:45], v[46:47]
	v_add_f64_e32 v[44:45], v[48:49], v[44:45]
	s_delay_alu instid0(VALU_DEP_1) | instskip(NEXT) | instid1(VALU_DEP_1)
	v_add_f64_e32 v[44:45], v[44:45], v[44:45]
	v_cndmask_b32_e64 v45, 0x3ff921fb, v45, s3
	s_delay_alu instid0(VALU_DEP_2) | instskip(SKIP_2) | instid1(SALU_CYCLE_1)
	v_cndmask_b32_e64 v44, 0x54442d18, v44, s3
	s_or_b32 exec_lo, exec_lo, s14
	s_and_saveexec_b32 s3, vcc_lo
	s_xor_b32 s3, exec_lo, s3
	s_cbranch_execz .LBB52_33
.LBB52_37:                              ;   in Loop: Header=BB52_17 Depth=1
	v_add_nc_u64_e32 v[46:47], s[4:5], v[12:13]
	v_bfi_b32 v39, 0x7fffffff, v39, v35
	global_store_b64 v[46:47], v[38:39], off
	s_wait_xcnt 0x0
	s_or_b32 exec_lo, exec_lo, s3
	s_and_saveexec_b32 s3, s0
	s_cbranch_execz .LBB52_34
.LBB52_38:                              ;   in Loop: Header=BB52_17 Depth=1
	v_add_nc_u64_e32 v[34:35], s[4:5], v[28:29]
	v_bfi_b32 v41, 0x7fffffff, v41, v31
	global_store_b64 v[34:35], v[40:41], off
	s_wait_xcnt 0x0
	s_or_b32 exec_lo, exec_lo, s3
	s_and_saveexec_b32 s0, s1
	s_cbranch_execz .LBB52_35
.LBB52_39:                              ;   in Loop: Header=BB52_17 Depth=1
	v_add_nc_u64_e32 v[30:31], s[4:5], v[20:21]
	v_bfi_b32 v43, 0x7fffffff, v43, v37
	global_store_b64 v[30:31], v[42:43], off
	s_wait_xcnt 0x0
	s_or_b32 exec_lo, exec_lo, s0
	s_and_saveexec_b32 s0, s2
	s_cbranch_execz .LBB52_16
.LBB52_40:                              ;   in Loop: Header=BB52_17 Depth=1
	v_add_nc_u64_e32 v[30:31], s[4:5], v[24:25]
	s_delay_alu instid0(VALU_DEP_2)
	v_bfi_b32 v45, 0x7fffffff, v45, v33
	global_store_b64 v[30:31], v[44:45], off
	s_branch .LBB52_16
.LBB52_41:
	s_endpgm
	.section	.rodata,"a",@progbits
	.p2align	6, 0x0
	.amdhsa_kernel _ZN2at6native12_GLOBAL__N_125multi_tensor_apply_kernelINS1_18TensorListMetadataILi2EEENS1_14UnaryOpFunctorIdLi2ELi1ELi1EEEJNS0_4AsinIdEEEEEvT_T0_DpT1_
		.amdhsa_group_segment_fixed_size 0
		.amdhsa_private_segment_fixed_size 0
		.amdhsa_kernarg_size 3408
		.amdhsa_user_sgpr_count 2
		.amdhsa_user_sgpr_dispatch_ptr 0
		.amdhsa_user_sgpr_queue_ptr 0
		.amdhsa_user_sgpr_kernarg_segment_ptr 1
		.amdhsa_user_sgpr_dispatch_id 0
		.amdhsa_user_sgpr_kernarg_preload_length 0
		.amdhsa_user_sgpr_kernarg_preload_offset 0
		.amdhsa_user_sgpr_private_segment_size 0
		.amdhsa_wavefront_size32 1
		.amdhsa_uses_dynamic_stack 0
		.amdhsa_enable_private_segment 0
		.amdhsa_system_sgpr_workgroup_id_x 1
		.amdhsa_system_sgpr_workgroup_id_y 0
		.amdhsa_system_sgpr_workgroup_id_z 0
		.amdhsa_system_sgpr_workgroup_info 0
		.amdhsa_system_vgpr_workitem_id 0
		.amdhsa_next_free_vgpr 62
		.amdhsa_next_free_sgpr 20
		.amdhsa_named_barrier_count 0
		.amdhsa_reserve_vcc 1
		.amdhsa_float_round_mode_32 0
		.amdhsa_float_round_mode_16_64 0
		.amdhsa_float_denorm_mode_32 3
		.amdhsa_float_denorm_mode_16_64 3
		.amdhsa_fp16_overflow 0
		.amdhsa_memory_ordered 1
		.amdhsa_forward_progress 1
		.amdhsa_inst_pref_size 51
		.amdhsa_round_robin_scheduling 0
		.amdhsa_exception_fp_ieee_invalid_op 0
		.amdhsa_exception_fp_denorm_src 0
		.amdhsa_exception_fp_ieee_div_zero 0
		.amdhsa_exception_fp_ieee_overflow 0
		.amdhsa_exception_fp_ieee_underflow 0
		.amdhsa_exception_fp_ieee_inexact 0
		.amdhsa_exception_int_div_zero 0
	.end_amdhsa_kernel
	.section	.text._ZN2at6native12_GLOBAL__N_125multi_tensor_apply_kernelINS1_18TensorListMetadataILi2EEENS1_14UnaryOpFunctorIdLi2ELi1ELi1EEEJNS0_4AsinIdEEEEEvT_T0_DpT1_,"axG",@progbits,_ZN2at6native12_GLOBAL__N_125multi_tensor_apply_kernelINS1_18TensorListMetadataILi2EEENS1_14UnaryOpFunctorIdLi2ELi1ELi1EEEJNS0_4AsinIdEEEEEvT_T0_DpT1_,comdat
.Lfunc_end52:
	.size	_ZN2at6native12_GLOBAL__N_125multi_tensor_apply_kernelINS1_18TensorListMetadataILi2EEENS1_14UnaryOpFunctorIdLi2ELi1ELi1EEEJNS0_4AsinIdEEEEEvT_T0_DpT1_, .Lfunc_end52-_ZN2at6native12_GLOBAL__N_125multi_tensor_apply_kernelINS1_18TensorListMetadataILi2EEENS1_14UnaryOpFunctorIdLi2ELi1ELi1EEEJNS0_4AsinIdEEEEEvT_T0_DpT1_
                                        ; -- End function
	.set _ZN2at6native12_GLOBAL__N_125multi_tensor_apply_kernelINS1_18TensorListMetadataILi2EEENS1_14UnaryOpFunctorIdLi2ELi1ELi1EEEJNS0_4AsinIdEEEEEvT_T0_DpT1_.num_vgpr, 62
	.set _ZN2at6native12_GLOBAL__N_125multi_tensor_apply_kernelINS1_18TensorListMetadataILi2EEENS1_14UnaryOpFunctorIdLi2ELi1ELi1EEEJNS0_4AsinIdEEEEEvT_T0_DpT1_.num_agpr, 0
	.set _ZN2at6native12_GLOBAL__N_125multi_tensor_apply_kernelINS1_18TensorListMetadataILi2EEENS1_14UnaryOpFunctorIdLi2ELi1ELi1EEEJNS0_4AsinIdEEEEEvT_T0_DpT1_.numbered_sgpr, 20
	.set _ZN2at6native12_GLOBAL__N_125multi_tensor_apply_kernelINS1_18TensorListMetadataILi2EEENS1_14UnaryOpFunctorIdLi2ELi1ELi1EEEJNS0_4AsinIdEEEEEvT_T0_DpT1_.num_named_barrier, 0
	.set _ZN2at6native12_GLOBAL__N_125multi_tensor_apply_kernelINS1_18TensorListMetadataILi2EEENS1_14UnaryOpFunctorIdLi2ELi1ELi1EEEJNS0_4AsinIdEEEEEvT_T0_DpT1_.private_seg_size, 0
	.set _ZN2at6native12_GLOBAL__N_125multi_tensor_apply_kernelINS1_18TensorListMetadataILi2EEENS1_14UnaryOpFunctorIdLi2ELi1ELi1EEEJNS0_4AsinIdEEEEEvT_T0_DpT1_.uses_vcc, 1
	.set _ZN2at6native12_GLOBAL__N_125multi_tensor_apply_kernelINS1_18TensorListMetadataILi2EEENS1_14UnaryOpFunctorIdLi2ELi1ELi1EEEJNS0_4AsinIdEEEEEvT_T0_DpT1_.uses_flat_scratch, 0
	.set _ZN2at6native12_GLOBAL__N_125multi_tensor_apply_kernelINS1_18TensorListMetadataILi2EEENS1_14UnaryOpFunctorIdLi2ELi1ELi1EEEJNS0_4AsinIdEEEEEvT_T0_DpT1_.has_dyn_sized_stack, 0
	.set _ZN2at6native12_GLOBAL__N_125multi_tensor_apply_kernelINS1_18TensorListMetadataILi2EEENS1_14UnaryOpFunctorIdLi2ELi1ELi1EEEJNS0_4AsinIdEEEEEvT_T0_DpT1_.has_recursion, 0
	.set _ZN2at6native12_GLOBAL__N_125multi_tensor_apply_kernelINS1_18TensorListMetadataILi2EEENS1_14UnaryOpFunctorIdLi2ELi1ELi1EEEJNS0_4AsinIdEEEEEvT_T0_DpT1_.has_indirect_call, 0
	.section	.AMDGPU.csdata,"",@progbits
; Kernel info:
; codeLenInByte = 6436
; TotalNumSgprs: 22
; NumVgprs: 62
; ScratchSize: 0
; MemoryBound: 0
; FloatMode: 240
; IeeeMode: 1
; LDSByteSize: 0 bytes/workgroup (compile time only)
; SGPRBlocks: 0
; VGPRBlocks: 3
; NumSGPRsForWavesPerEU: 22
; NumVGPRsForWavesPerEU: 62
; NamedBarCnt: 0
; Occupancy: 16
; WaveLimiterHint : 0
; COMPUTE_PGM_RSRC2:SCRATCH_EN: 0
; COMPUTE_PGM_RSRC2:USER_SGPR: 2
; COMPUTE_PGM_RSRC2:TRAP_HANDLER: 0
; COMPUTE_PGM_RSRC2:TGID_X_EN: 1
; COMPUTE_PGM_RSRC2:TGID_Y_EN: 0
; COMPUTE_PGM_RSRC2:TGID_Z_EN: 0
; COMPUTE_PGM_RSRC2:TIDIG_COMP_CNT: 0
	.section	.text._ZN2at6native12_GLOBAL__N_125multi_tensor_apply_kernelINS1_18TensorListMetadataILi2EEENS1_14UnaryOpFunctorIfLi2ELi1ELi1EEEJNS0_4AsinIfEEEEEvT_T0_DpT1_,"axG",@progbits,_ZN2at6native12_GLOBAL__N_125multi_tensor_apply_kernelINS1_18TensorListMetadataILi2EEENS1_14UnaryOpFunctorIfLi2ELi1ELi1EEEJNS0_4AsinIfEEEEEvT_T0_DpT1_,comdat
	.globl	_ZN2at6native12_GLOBAL__N_125multi_tensor_apply_kernelINS1_18TensorListMetadataILi2EEENS1_14UnaryOpFunctorIfLi2ELi1ELi1EEEJNS0_4AsinIfEEEEEvT_T0_DpT1_ ; -- Begin function _ZN2at6native12_GLOBAL__N_125multi_tensor_apply_kernelINS1_18TensorListMetadataILi2EEENS1_14UnaryOpFunctorIfLi2ELi1ELi1EEEJNS0_4AsinIfEEEEEvT_T0_DpT1_
	.p2align	8
	.type	_ZN2at6native12_GLOBAL__N_125multi_tensor_apply_kernelINS1_18TensorListMetadataILi2EEENS1_14UnaryOpFunctorIfLi2ELi1ELi1EEEJNS0_4AsinIfEEEEEvT_T0_DpT1_,@function
_ZN2at6native12_GLOBAL__N_125multi_tensor_apply_kernelINS1_18TensorListMetadataILi2EEENS1_14UnaryOpFunctorIfLi2ELi1ELi1EEEJNS0_4AsinIfEEEEEvT_T0_DpT1_: ; @_ZN2at6native12_GLOBAL__N_125multi_tensor_apply_kernelINS1_18TensorListMetadataILi2EEENS1_14UnaryOpFunctorIfLi2ELi1ELi1EEEJNS0_4AsinIfEEEEEvT_T0_DpT1_
; %bb.0:
	s_bfe_u32 s2, ttmp6, 0x4000c
	s_and_b32 s3, ttmp6, 15
	s_add_co_i32 s2, s2, 1
	s_getreg_b32 s4, hwreg(HW_REG_IB_STS2, 6, 4)
	s_mul_i32 s2, ttmp9, s2
	s_delay_alu instid0(SALU_CYCLE_1)
	s_add_co_i32 s3, s3, s2
	s_cmp_eq_u32 s4, 0
	s_cselect_b32 s2, ttmp9, s3
	s_mov_b32 s3, 0
	s_load_u8 s13, s[0:1], s2 offset:0x600
	s_add_nc_u64 s[4:5], s[0:1], s[2:3]
	s_mul_u64 s[6:7], s[2:3], 3
	s_delay_alu instid0(SALU_CYCLE_1)
	s_add_nc_u64 s[4:5], s[4:5], s[6:7]
	s_load_b32 s12, s[4:5], 0x740
	s_wait_kmcnt 0x0
	s_clause 0x2
	s_load_b64 s[8:9], s[0:1], s13 offset:0x0 scale_offset
	s_load_b64 s[10:11], s[0:1], s13 offset:0x200 scale_offset
	;; [unrolled: 1-line block ×3, first 2 shown]
	s_mov_b32 s5, s3
	s_wait_xcnt 0x0
	s_ashr_i32 s13, s12, 31
	s_delay_alu instid0(SALU_CYCLE_1)
	s_lshl_b64 s[6:7], s[12:13], 18
	s_wait_kmcnt 0x0
	s_and_b64 s[18:19], s[10:11], 15
	s_add_nc_u64 s[16:17], s[8:9], s[6:7]
	s_and_b32 s4, s14, 3
	s_and_b32 s2, s16, 15
	s_or_b64 s[4:5], s[18:19], s[4:5]
	s_lshl_b64 s[12:13], s[12:13], 16
	s_or_b64 s[2:3], s[4:5], s[2:3]
	s_sub_nc_u64 s[12:13], s[14:15], s[12:13]
	s_cmp_eq_u64 s[2:3], 0
	s_mov_b32 s2, -1
	s_cbranch_scc0 .LBB53_5
; %bb.1:
	v_min_i64 v[2:3], 0x10000, s[12:13]
	v_dual_mov_b32 v5, 0 :: v_dual_lshlrev_b32 v4, 2, v0
	s_mov_b32 s5, exec_lo
	s_delay_alu instid0(VALU_DEP_1)
	v_cmpx_lt_i64_e64 v[4:5], v[2:3]
	s_cbranch_execz .LBB53_4
; %bb.2:
	s_load_b32 s2, s[0:1], 0xc5c
	v_dual_mov_b32 v1, v5 :: v_dual_lshlrev_b32 v4, 4, v0
	s_mov_b32 s15, 0
	s_add_nc_u64 s[16:17], s[8:9], 8
	s_mov_b32 s18, 0x3c5fc5da
	s_delay_alu instid0(VALU_DEP_1)
	v_mov_b64_e32 v[6:7], v[0:1]
	v_add_nc_u64_e32 v[4:5], s[6:7], v[4:5]
	s_mov_b32 s20, 0x3d1c21a7
	s_mov_b32 s22, 0x3d034c3c
	s_mov_b32 s24, 0x3d3641b1
	s_mov_b32 s26, 0x3d999bc8
	s_mov_b32 s28, 0x3e2aaaac
	s_mov_b32 s30, 0x3fc90fdb
	s_mov_b32 s35, s15
	s_mov_b32 s19, s15
	s_wait_kmcnt 0x0
	s_and_b32 s14, s2, 0xffff
	s_delay_alu instid0(SALU_CYCLE_1)
	s_lshl_b32 s34, s14, 4
.LBB53_3:                               ; =>This Inner Loop Header: Depth=1
	v_add_nc_u64_e32 v[8:9], s[16:17], v[4:5]
	v_add_nc_u64_e32 v[6:7], s[14:15], v[6:7]
	;; [unrolled: 1-line block ×4, first 2 shown]
	global_load_b128 v[8:11], v[8:9], off offset:-8
	v_lshlrev_b64_e32 v[14:15], 2, v[6:7]
	s_wait_loadcnt 0x0
	v_and_b32_e32 v17, 0x7fffffff, v9
	v_and_b32_e32 v16, 0x7fffffff, v8
	;; [unrolled: 1-line block ×4, first 2 shown]
	v_pk_mul_f32 v[20:21], v[8:9], v[8:9]
	v_pk_mul_f32 v[22:23], v[10:11], v[10:11]
	v_pk_fma_f32 v[24:25], v[16:17], -0.5, 0.5 op_sel_hi:[1,0,0]
	v_cmp_ge_f32_e64 vcc_lo, |v9|, 0.5
	v_pk_fma_f32 v[26:27], v[18:19], -0.5, 0.5 op_sel_hi:[1,0,0]
	v_cmp_ge_f32_e64 s2, |v10|, 0.5
	v_cmp_ge_f32_e64 s3, |v11|, 0.5
	;; [unrolled: 1-line block ×3, first 2 shown]
	v_cndmask_b32_e32 v21, v21, v25, vcc_lo
	v_cmp_lt_f32_e64 vcc_lo, |v8|, 0.5
	s_delay_alu instid0(VALU_DEP_4) | instskip(NEXT) | instid1(VALU_DEP_4)
	v_dual_cndmask_b32 v22, v22, v26, s2 :: v_dual_cndmask_b32 v23, v23, v27, s3
	v_cndmask_b32_e64 v20, v20, v24, s4
	s_delay_alu instid0(VALU_DEP_4) | instskip(SKIP_1) | instid1(VALU_DEP_3)
	v_sqrt_f32_e32 v25, v21
	v_cmp_lt_f32_e64 s2, |v11|, 0.5
	v_sqrt_f32_e32 v30, v22
	v_pk_fma_f32 v[28:29], v[22:23], s[20:21], s[18:19] op_sel_hi:[1,0,0]
	v_pk_fma_f32 v[26:27], v[20:21], s[20:21], s[18:19] op_sel_hi:[1,0,0]
	v_sqrt_f32_e32 v24, v20
	v_sqrt_f32_e32 v31, v23
	v_cmp_lt_f32_e64 s3, |v10|, 0.5
	v_pk_fma_f32 v[28:29], v[22:23], v[28:29], s[22:23] op_sel_hi:[1,1,0]
	v_pk_fma_f32 v[26:27], v[20:21], v[26:27], s[22:23] op_sel_hi:[1,1,0]
	v_cmp_lt_f32_e64 s4, |v9|, 0.5
	s_delay_alu instid0(VALU_DEP_3) | instskip(NEXT) | instid1(VALU_DEP_3)
	v_pk_fma_f32 v[28:29], v[22:23], v[28:29], s[24:25] op_sel_hi:[1,1,0]
	v_pk_fma_f32 v[26:27], v[20:21], v[26:27], s[24:25] op_sel_hi:[1,1,0]
	s_delay_alu instid0(VALU_DEP_2) | instskip(NEXT) | instid1(VALU_DEP_2)
	v_pk_fma_f32 v[28:29], v[22:23], v[28:29], s[26:27] op_sel_hi:[1,1,0]
	v_pk_fma_f32 v[26:27], v[20:21], v[26:27], s[26:27] op_sel_hi:[1,1,0]
	s_delay_alu instid0(VALU_DEP_2) | instskip(NEXT) | instid1(VALU_DEP_2)
	;; [unrolled: 3-line block ×3, first 2 shown]
	v_pk_mul_f32 v[22:23], v[22:23], v[28:29]
	v_pk_mul_f32 v[20:21], v[20:21], v[26:27]
	s_delay_alu instid0(VALU_DEP_2) | instskip(NEXT) | instid1(VALU_DEP_2)
	v_pk_fma_f32 v[26:27], v[30:31], v[22:23], v[30:31]
	v_pk_fma_f32 v[24:25], v[24:25], v[20:21], v[24:25]
	v_pk_fma_f32 v[16:17], v[16:17], v[20:21], v[16:17]
	v_pk_fma_f32 v[18:19], v[18:19], v[22:23], v[18:19]
	s_delay_alu instid0(VALU_DEP_4) | instskip(NEXT) | instid1(VALU_DEP_4)
	v_pk_add_f32 v[22:23], v[26:27], v[26:27]
	v_pk_add_f32 v[20:21], v[24:25], v[24:25]
	s_delay_alu instid0(VALU_DEP_2) | instskip(NEXT) | instid1(VALU_DEP_2)
	v_pk_add_f32 v[22:23], v[22:23], s[30:31] op_sel_hi:[1,0] neg_lo:[1,0] neg_hi:[1,0]
	v_pk_add_f32 v[20:21], v[20:21], s[30:31] op_sel_hi:[1,0] neg_lo:[1,0] neg_hi:[1,0]
	s_delay_alu instid0(VALU_DEP_1) | instskip(NEXT) | instid1(VALU_DEP_2)
	v_dual_cndmask_b32 v18, v22, v18, s3 :: v_dual_cndmask_b32 v1, v21, v17, s4
	v_dual_cndmask_b32 v16, v20, v16, vcc_lo :: v_dual_cndmask_b32 v17, v23, v19, s2
	v_cmp_ge_i64_e32 vcc_lo, v[14:15], v[2:3]
	s_delay_alu instid0(VALU_DEP_3)
	v_bfi_b32 v10, 0x7fffffff, v18, v10
	s_wait_xcnt 0x0
	v_bfi_b32 v9, 0x7fffffff, v1, v9
	v_bfi_b32 v8, 0x7fffffff, v16, v8
	;; [unrolled: 1-line block ×3, first 2 shown]
	s_or_b32 s19, vcc_lo, s19
	global_store_b128 v[12:13], v[8:11], off
	s_wait_xcnt 0x0
	s_and_not1_b32 exec_lo, exec_lo, s19
	s_cbranch_execnz .LBB53_3
.LBB53_4:
	s_or_b32 exec_lo, exec_lo, s5
	s_mov_b32 s2, 0
.LBB53_5:
	s_delay_alu instid0(SALU_CYCLE_1)
	s_and_not1_b32 vcc_lo, exec_lo, s2
	s_cbranch_vccnz .LBB53_25
; %bb.6:
	v_cmp_lt_i64_e64 s2, s[12:13], 1
	s_and_b32 vcc_lo, exec_lo, s2
	s_cbranch_vccnz .LBB53_25
; %bb.7:
	s_load_b32 s0, s[0:1], 0xc5c
	v_min_i64 v[2:3], 0x10000, s[12:13]
	v_min_u64 v[4:5], 0x10000, s[12:13]
	v_dual_mov_b32 v1, 0 :: v_dual_lshlrev_b32 v12, 2, v0
	s_wait_xcnt 0x0
	s_mov_b32 s1, 0
	s_delay_alu instid0(SALU_CYCLE_1) | instskip(NEXT) | instid1(VALU_DEP_1)
	s_mov_b32 s5, s1
	v_dual_mov_b32 v13, v1 :: v_dual_mov_b32 v27, v1
	s_mov_b32 s3, s1
	s_mov_b32 s13, s1
	s_delay_alu instid0(VALU_DEP_1) | instskip(SKIP_3) | instid1(SALU_CYCLE_1)
	v_add_nc_u64_e32 v[6:7], s[8:9], v[12:13]
	v_add_nc_u64_e32 v[8:9], s[10:11], v[12:13]
	s_wait_kmcnt 0x0
	s_and_b32 s0, s0, 0xffff
	v_add_nc_u64_e32 v[10:11], s[0:1], v[0:1]
	v_mad_nc_u64_u32 v[22:23], s0, 12, v[12:13]
	s_lshl_b32 s4, s0, 3
	s_lshl_b32 s2, s0, 1
	v_add_nc_u64_e32 v[18:19], s[4:5], v[12:13]
	s_mul_i32 s12, s0, 3
	v_add_nc_u64_e32 v[14:15], s[2:3], v[0:1]
	v_lshlrev_b32_e32 v26, 2, v10
	v_add_nc_u64_e32 v[12:13], s[12:13], v[0:1]
	s_lshl_b32 s4, s0, 2
	s_mov_b32 s3, 0x3d1c21a7
	v_add_nc_u64_e32 v[16:17], s[8:9], v[18:19]
	v_add_nc_u64_e32 v[18:19], s[10:11], v[18:19]
	;; [unrolled: 1-line block ×6, first 2 shown]
	s_lshl_b32 s8, s0, 4
	s_mov_b32 s9, s1
	s_mov_b64 s[10:11], 0
	s_branch .LBB53_9
.LBB53_8:                               ;   in Loop: Header=BB53_9 Depth=1
	s_wait_xcnt 0x0
	s_or_b32 exec_lo, exec_lo, s0
	s_add_nc_u64 s[10:11], s[10:11], s[4:5]
	v_add_nc_u64_e32 v[6:7], s[8:9], v[6:7]
	v_cmp_ge_i64_e32 vcc_lo, s[10:11], v[2:3]
	v_add_nc_u64_e32 v[8:9], s[8:9], v[8:9]
	v_add_nc_u64_e32 v[20:21], s[8:9], v[20:21]
	v_add_nc_u64_e32 v[22:23], s[8:9], v[22:23]
	v_add_nc_u64_e32 v[16:17], s[8:9], v[16:17]
	v_add_nc_u64_e32 v[18:19], s[8:9], v[18:19]
	v_add_nc_u64_e32 v[24:25], s[8:9], v[24:25]
	v_add_nc_u64_e32 v[26:27], s[8:9], v[26:27]
	s_cbranch_vccnz .LBB53_25
.LBB53_9:                               ; =>This Inner Loop Header: Depth=1
	s_wait_loadcnt 0x0
	v_add_nc_u64_e32 v[28:29], s[10:11], v[0:1]
	v_mov_b32_e32 v31, 0
	s_delay_alu instid0(VALU_DEP_2)
	v_cmp_lt_u64_e64 s2, v[28:29], v[4:5]
	s_and_saveexec_b32 s0, s2
	s_cbranch_execz .LBB53_11
; %bb.10:                               ;   in Loop: Header=BB53_9 Depth=1
	v_add_nc_u64_e32 v[28:29], s[6:7], v[6:7]
	global_load_b32 v31, v[28:29], off
.LBB53_11:                              ;   in Loop: Header=BB53_9 Depth=1
	s_wait_xcnt 0x0
	s_or_b32 exec_lo, exec_lo, s0
	v_add_nc_u64_e32 v[28:29], s[10:11], v[10:11]
	v_mov_b32_e32 v30, 0
	s_delay_alu instid0(VALU_DEP_2)
	v_cmp_lt_u64_e64 s1, v[28:29], v[4:5]
	v_mov_b32_e32 v28, 0
	s_and_saveexec_b32 s0, s1
	s_cbranch_execz .LBB53_13
; %bb.12:                               ;   in Loop: Header=BB53_9 Depth=1
	v_add_nc_u64_e32 v[32:33], s[6:7], v[24:25]
	global_load_b32 v30, v[32:33], off
.LBB53_13:                              ;   in Loop: Header=BB53_9 Depth=1
	s_wait_xcnt 0x0
	s_or_b32 exec_lo, exec_lo, s0
	v_add_nc_u64_e32 v[32:33], s[10:11], v[14:15]
	s_delay_alu instid0(VALU_DEP_1)
	v_cmp_lt_u64_e64 s0, v[32:33], v[4:5]
	s_and_saveexec_b32 s12, s0
	s_cbranch_execz .LBB53_15
; %bb.14:                               ;   in Loop: Header=BB53_9 Depth=1
	v_add_nc_u64_e32 v[28:29], s[6:7], v[16:17]
	global_load_b32 v28, v[28:29], off
.LBB53_15:                              ;   in Loop: Header=BB53_9 Depth=1
	s_wait_xcnt 0x0
	s_or_b32 exec_lo, exec_lo, s12
	v_add_nc_u64_e32 v[32:33], s[10:11], v[12:13]
	v_mov_b32_e32 v29, 0
	s_delay_alu instid0(VALU_DEP_2)
	v_cmp_lt_u64_e32 vcc_lo, v[32:33], v[4:5]
	s_and_saveexec_b32 s12, vcc_lo
	s_cbranch_execnz .LBB53_20
; %bb.16:                               ;   in Loop: Header=BB53_9 Depth=1
	s_or_b32 exec_lo, exec_lo, s12
	s_and_saveexec_b32 s12, s2
	s_cbranch_execnz .LBB53_21
.LBB53_17:                              ;   in Loop: Header=BB53_9 Depth=1
	s_or_b32 exec_lo, exec_lo, s12
	s_and_saveexec_b32 s2, s1
	s_cbranch_execnz .LBB53_22
.LBB53_18:                              ;   in Loop: Header=BB53_9 Depth=1
	s_or_b32 exec_lo, exec_lo, s2
	s_and_saveexec_b32 s1, s0
	s_cbranch_execnz .LBB53_23
.LBB53_19:                              ;   in Loop: Header=BB53_9 Depth=1
	s_or_b32 exec_lo, exec_lo, s1
	s_and_saveexec_b32 s0, vcc_lo
	s_cbranch_execz .LBB53_8
	s_branch .LBB53_24
.LBB53_20:                              ;   in Loop: Header=BB53_9 Depth=1
	v_add_nc_u64_e32 v[32:33], s[6:7], v[20:21]
	global_load_b32 v29, v[32:33], off
	s_wait_xcnt 0x0
	s_or_b32 exec_lo, exec_lo, s12
	s_and_saveexec_b32 s12, s2
	s_cbranch_execz .LBB53_17
.LBB53_21:                              ;   in Loop: Header=BB53_9 Depth=1
	s_wait_loadcnt 0x0
	v_fma_f32 v32, |v31|, -0.5, 0.5
	v_mul_f32_e32 v33, v31, v31
	v_cmp_ge_f32_e64 s2, |v31|, 0.5
	s_delay_alu instid0(VALU_DEP_1) | instskip(SKIP_1) | instid1(VALU_DEP_2)
	v_cndmask_b32_e64 v32, v33, v32, s2
	v_cmp_lt_f32_e64 s2, |v31|, 0.5
	v_fmaak_f32 v33, s3, v32, 0x3c5fc5da
	v_sqrt_f32_e32 v34, v32
	s_delay_alu instid0(VALU_DEP_1) | instskip(NEXT) | instid1(VALU_DEP_1)
	v_fmaak_f32 v33, v32, v33, 0x3d034c3c
	v_fmaak_f32 v33, v32, v33, 0x3d3641b1
	s_delay_alu instid0(VALU_DEP_1) | instskip(NEXT) | instid1(VALU_DEP_1)
	v_fmaak_f32 v33, v32, v33, 0x3d999bc8
	v_fmaak_f32 v33, v32, v33, 0x3e2aaaac
	s_delay_alu instid0(VALU_DEP_1)
	v_mul_f32_e32 v32, v32, v33
	s_delay_alu instid0(TRANS32_DEP_1) | instid1(VALU_DEP_1)
	v_fmac_f32_e32 v34, v34, v32
	s_delay_alu instid0(VALU_DEP_1) | instskip(NEXT) | instid1(VALU_DEP_1)
	v_add_f32_e32 v33, v34, v34
	v_sub_f32_e32 v33, 0x3fc90fdb, v33
	v_fma_f32 v32, |v31|, v32, |v31|
	s_delay_alu instid0(VALU_DEP_1) | instskip(SKIP_1) | instid1(VALU_DEP_2)
	v_cndmask_b32_e64 v34, v33, v32, s2
	v_add_nc_u64_e32 v[32:33], s[6:7], v[8:9]
	v_bfi_b32 v31, 0x7fffffff, v34, v31
	global_store_b32 v[32:33], v31, off
	s_wait_xcnt 0x0
	s_or_b32 exec_lo, exec_lo, s12
	s_and_saveexec_b32 s2, s1
	s_cbranch_execz .LBB53_18
.LBB53_22:                              ;   in Loop: Header=BB53_9 Depth=1
	s_wait_loadcnt 0x0
	v_fma_f32 v31, |v30|, -0.5, 0.5
	v_mul_f32_e32 v32, v30, v30
	v_cmp_ge_f32_e64 s1, |v30|, 0.5
	s_delay_alu instid0(VALU_DEP_1) | instskip(SKIP_1) | instid1(VALU_DEP_2)
	v_cndmask_b32_e64 v31, v32, v31, s1
	v_cmp_lt_f32_e64 s1, |v30|, 0.5
	v_fmaak_f32 v32, s3, v31, 0x3c5fc5da
	v_sqrt_f32_e32 v33, v31
	s_delay_alu instid0(VALU_DEP_1) | instskip(NEXT) | instid1(VALU_DEP_1)
	v_fmaak_f32 v32, v31, v32, 0x3d034c3c
	v_fmaak_f32 v32, v31, v32, 0x3d3641b1
	s_delay_alu instid0(VALU_DEP_1) | instskip(NEXT) | instid1(VALU_DEP_1)
	v_fmaak_f32 v32, v31, v32, 0x3d999bc8
	v_fmaak_f32 v32, v31, v32, 0x3e2aaaac
	s_delay_alu instid0(VALU_DEP_1)
	v_mul_f32_e32 v31, v31, v32
	s_delay_alu instid0(TRANS32_DEP_1) | instid1(VALU_DEP_1)
	v_fmac_f32_e32 v33, v33, v31
	s_delay_alu instid0(VALU_DEP_1) | instskip(NEXT) | instid1(VALU_DEP_1)
	v_add_f32_e32 v32, v33, v33
	v_sub_f32_e32 v32, 0x3fc90fdb, v32
	v_fma_f32 v31, |v30|, v31, |v30|
	s_delay_alu instid0(VALU_DEP_1) | instskip(SKIP_1) | instid1(VALU_DEP_2)
	v_cndmask_b32_e64 v31, v32, v31, s1
	v_add_nc_u64_e32 v[32:33], s[6:7], v[26:27]
	v_bfi_b32 v30, 0x7fffffff, v31, v30
	global_store_b32 v[32:33], v30, off
	s_wait_xcnt 0x0
	s_or_b32 exec_lo, exec_lo, s2
	s_and_saveexec_b32 s1, s0
	s_cbranch_execz .LBB53_19
.LBB53_23:                              ;   in Loop: Header=BB53_9 Depth=1
	s_wait_loadcnt 0x0
	v_fma_f32 v30, |v28|, -0.5, 0.5
	v_mul_f32_e32 v31, v28, v28
	v_cmp_ge_f32_e64 s0, |v28|, 0.5
	s_delay_alu instid0(VALU_DEP_1) | instskip(SKIP_1) | instid1(VALU_DEP_2)
	v_cndmask_b32_e64 v30, v31, v30, s0
	v_cmp_lt_f32_e64 s0, |v28|, 0.5
	v_sqrt_f32_e32 v32, v30
	v_fmaak_f32 v31, s3, v30, 0x3c5fc5da
	s_delay_alu instid0(VALU_DEP_1) | instskip(NEXT) | instid1(VALU_DEP_1)
	v_fmaak_f32 v31, v30, v31, 0x3d034c3c
	v_fmaak_f32 v31, v30, v31, 0x3d3641b1
	s_delay_alu instid0(VALU_DEP_1) | instskip(NEXT) | instid1(VALU_DEP_1)
	v_fmaak_f32 v31, v30, v31, 0x3d999bc8
	v_fmaak_f32 v31, v30, v31, 0x3e2aaaac
	s_delay_alu instid0(VALU_DEP_1) | instskip(NEXT) | instid1(VALU_DEP_1)
	v_mul_f32_e32 v30, v30, v31
	v_fmac_f32_e32 v32, v32, v30
	s_delay_alu instid0(VALU_DEP_1) | instskip(NEXT) | instid1(VALU_DEP_1)
	v_add_f32_e32 v31, v32, v32
	v_sub_f32_e32 v31, 0x3fc90fdb, v31
	v_fma_f32 v30, |v28|, v30, |v28|
	s_delay_alu instid0(VALU_DEP_1) | instskip(SKIP_1) | instid1(VALU_DEP_2)
	v_cndmask_b32_e64 v32, v31, v30, s0
	v_add_nc_u64_e32 v[30:31], s[6:7], v[18:19]
	v_bfi_b32 v28, 0x7fffffff, v32, v28
	global_store_b32 v[30:31], v28, off
	s_wait_xcnt 0x0
	s_or_b32 exec_lo, exec_lo, s1
	s_and_saveexec_b32 s0, vcc_lo
	s_cbranch_execz .LBB53_8
.LBB53_24:                              ;   in Loop: Header=BB53_9 Depth=1
	s_wait_loadcnt 0x0
	v_fma_f32 v28, |v29|, -0.5, 0.5
	v_mul_f32_e32 v30, v29, v29
	v_cmp_ge_f32_e64 vcc_lo, |v29|, 0.5
	s_delay_alu instid0(VALU_DEP_2) | instskip(SKIP_1) | instid1(VALU_DEP_2)
	v_cndmask_b32_e32 v28, v30, v28, vcc_lo
	v_cmp_lt_f32_e64 vcc_lo, |v29|, 0.5
	v_fmaak_f32 v30, s3, v28, 0x3c5fc5da
	v_sqrt_f32_e32 v31, v28
	s_delay_alu instid0(VALU_DEP_1) | instskip(NEXT) | instid1(VALU_DEP_1)
	v_fmaak_f32 v30, v28, v30, 0x3d034c3c
	v_fmaak_f32 v30, v28, v30, 0x3d3641b1
	s_delay_alu instid0(VALU_DEP_1) | instskip(NEXT) | instid1(VALU_DEP_1)
	v_fmaak_f32 v30, v28, v30, 0x3d999bc8
	v_fmaak_f32 v30, v28, v30, 0x3e2aaaac
	s_delay_alu instid0(VALU_DEP_1)
	v_mul_f32_e32 v28, v28, v30
	s_delay_alu instid0(TRANS32_DEP_1) | instid1(VALU_DEP_1)
	v_fmac_f32_e32 v31, v31, v28
	v_fma_f32 v28, |v29|, v28, |v29|
	s_delay_alu instid0(VALU_DEP_2) | instskip(NEXT) | instid1(VALU_DEP_1)
	v_add_f32_e32 v30, v31, v31
	v_sub_f32_e32 v30, 0x3fc90fdb, v30
	s_delay_alu instid0(VALU_DEP_1) | instskip(SKIP_1) | instid1(VALU_DEP_2)
	v_cndmask_b32_e32 v28, v30, v28, vcc_lo
	v_add_nc_u64_e32 v[30:31], s[6:7], v[22:23]
	v_bfi_b32 v28, 0x7fffffff, v28, v29
	global_store_b32 v[30:31], v28, off
	s_branch .LBB53_8
.LBB53_25:
	s_endpgm
	.section	.rodata,"a",@progbits
	.p2align	6, 0x0
	.amdhsa_kernel _ZN2at6native12_GLOBAL__N_125multi_tensor_apply_kernelINS1_18TensorListMetadataILi2EEENS1_14UnaryOpFunctorIfLi2ELi1ELi1EEEJNS0_4AsinIfEEEEEvT_T0_DpT1_
		.amdhsa_group_segment_fixed_size 0
		.amdhsa_private_segment_fixed_size 0
		.amdhsa_kernarg_size 3408
		.amdhsa_user_sgpr_count 2
		.amdhsa_user_sgpr_dispatch_ptr 0
		.amdhsa_user_sgpr_queue_ptr 0
		.amdhsa_user_sgpr_kernarg_segment_ptr 1
		.amdhsa_user_sgpr_dispatch_id 0
		.amdhsa_user_sgpr_kernarg_preload_length 0
		.amdhsa_user_sgpr_kernarg_preload_offset 0
		.amdhsa_user_sgpr_private_segment_size 0
		.amdhsa_wavefront_size32 1
		.amdhsa_uses_dynamic_stack 0
		.amdhsa_enable_private_segment 0
		.amdhsa_system_sgpr_workgroup_id_x 1
		.amdhsa_system_sgpr_workgroup_id_y 0
		.amdhsa_system_sgpr_workgroup_id_z 0
		.amdhsa_system_sgpr_workgroup_info 0
		.amdhsa_system_vgpr_workitem_id 0
		.amdhsa_next_free_vgpr 35
		.amdhsa_next_free_sgpr 36
		.amdhsa_named_barrier_count 0
		.amdhsa_reserve_vcc 1
		.amdhsa_float_round_mode_32 0
		.amdhsa_float_round_mode_16_64 0
		.amdhsa_float_denorm_mode_32 3
		.amdhsa_float_denorm_mode_16_64 3
		.amdhsa_fp16_overflow 0
		.amdhsa_memory_ordered 1
		.amdhsa_forward_progress 1
		.amdhsa_inst_pref_size 17
		.amdhsa_round_robin_scheduling 0
		.amdhsa_exception_fp_ieee_invalid_op 0
		.amdhsa_exception_fp_denorm_src 0
		.amdhsa_exception_fp_ieee_div_zero 0
		.amdhsa_exception_fp_ieee_overflow 0
		.amdhsa_exception_fp_ieee_underflow 0
		.amdhsa_exception_fp_ieee_inexact 0
		.amdhsa_exception_int_div_zero 0
	.end_amdhsa_kernel
	.section	.text._ZN2at6native12_GLOBAL__N_125multi_tensor_apply_kernelINS1_18TensorListMetadataILi2EEENS1_14UnaryOpFunctorIfLi2ELi1ELi1EEEJNS0_4AsinIfEEEEEvT_T0_DpT1_,"axG",@progbits,_ZN2at6native12_GLOBAL__N_125multi_tensor_apply_kernelINS1_18TensorListMetadataILi2EEENS1_14UnaryOpFunctorIfLi2ELi1ELi1EEEJNS0_4AsinIfEEEEEvT_T0_DpT1_,comdat
.Lfunc_end53:
	.size	_ZN2at6native12_GLOBAL__N_125multi_tensor_apply_kernelINS1_18TensorListMetadataILi2EEENS1_14UnaryOpFunctorIfLi2ELi1ELi1EEEJNS0_4AsinIfEEEEEvT_T0_DpT1_, .Lfunc_end53-_ZN2at6native12_GLOBAL__N_125multi_tensor_apply_kernelINS1_18TensorListMetadataILi2EEENS1_14UnaryOpFunctorIfLi2ELi1ELi1EEEJNS0_4AsinIfEEEEEvT_T0_DpT1_
                                        ; -- End function
	.set _ZN2at6native12_GLOBAL__N_125multi_tensor_apply_kernelINS1_18TensorListMetadataILi2EEENS1_14UnaryOpFunctorIfLi2ELi1ELi1EEEJNS0_4AsinIfEEEEEvT_T0_DpT1_.num_vgpr, 35
	.set _ZN2at6native12_GLOBAL__N_125multi_tensor_apply_kernelINS1_18TensorListMetadataILi2EEENS1_14UnaryOpFunctorIfLi2ELi1ELi1EEEJNS0_4AsinIfEEEEEvT_T0_DpT1_.num_agpr, 0
	.set _ZN2at6native12_GLOBAL__N_125multi_tensor_apply_kernelINS1_18TensorListMetadataILi2EEENS1_14UnaryOpFunctorIfLi2ELi1ELi1EEEJNS0_4AsinIfEEEEEvT_T0_DpT1_.numbered_sgpr, 36
	.set _ZN2at6native12_GLOBAL__N_125multi_tensor_apply_kernelINS1_18TensorListMetadataILi2EEENS1_14UnaryOpFunctorIfLi2ELi1ELi1EEEJNS0_4AsinIfEEEEEvT_T0_DpT1_.num_named_barrier, 0
	.set _ZN2at6native12_GLOBAL__N_125multi_tensor_apply_kernelINS1_18TensorListMetadataILi2EEENS1_14UnaryOpFunctorIfLi2ELi1ELi1EEEJNS0_4AsinIfEEEEEvT_T0_DpT1_.private_seg_size, 0
	.set _ZN2at6native12_GLOBAL__N_125multi_tensor_apply_kernelINS1_18TensorListMetadataILi2EEENS1_14UnaryOpFunctorIfLi2ELi1ELi1EEEJNS0_4AsinIfEEEEEvT_T0_DpT1_.uses_vcc, 1
	.set _ZN2at6native12_GLOBAL__N_125multi_tensor_apply_kernelINS1_18TensorListMetadataILi2EEENS1_14UnaryOpFunctorIfLi2ELi1ELi1EEEJNS0_4AsinIfEEEEEvT_T0_DpT1_.uses_flat_scratch, 0
	.set _ZN2at6native12_GLOBAL__N_125multi_tensor_apply_kernelINS1_18TensorListMetadataILi2EEENS1_14UnaryOpFunctorIfLi2ELi1ELi1EEEJNS0_4AsinIfEEEEEvT_T0_DpT1_.has_dyn_sized_stack, 0
	.set _ZN2at6native12_GLOBAL__N_125multi_tensor_apply_kernelINS1_18TensorListMetadataILi2EEENS1_14UnaryOpFunctorIfLi2ELi1ELi1EEEJNS0_4AsinIfEEEEEvT_T0_DpT1_.has_recursion, 0
	.set _ZN2at6native12_GLOBAL__N_125multi_tensor_apply_kernelINS1_18TensorListMetadataILi2EEENS1_14UnaryOpFunctorIfLi2ELi1ELi1EEEJNS0_4AsinIfEEEEEvT_T0_DpT1_.has_indirect_call, 0
	.section	.AMDGPU.csdata,"",@progbits
; Kernel info:
; codeLenInByte = 2148
; TotalNumSgprs: 38
; NumVgprs: 35
; ScratchSize: 0
; MemoryBound: 0
; FloatMode: 240
; IeeeMode: 1
; LDSByteSize: 0 bytes/workgroup (compile time only)
; SGPRBlocks: 0
; VGPRBlocks: 2
; NumSGPRsForWavesPerEU: 38
; NumVGPRsForWavesPerEU: 35
; NamedBarCnt: 0
; Occupancy: 16
; WaveLimiterHint : 0
; COMPUTE_PGM_RSRC2:SCRATCH_EN: 0
; COMPUTE_PGM_RSRC2:USER_SGPR: 2
; COMPUTE_PGM_RSRC2:TRAP_HANDLER: 0
; COMPUTE_PGM_RSRC2:TGID_X_EN: 1
; COMPUTE_PGM_RSRC2:TGID_Y_EN: 0
; COMPUTE_PGM_RSRC2:TGID_Z_EN: 0
; COMPUTE_PGM_RSRC2:TIDIG_COMP_CNT: 0
	.text
	.p2align	2                               ; -- Begin function _ZNK2at6native4AsinIN3c107complexIdEEEclES4_
	.type	_ZNK2at6native4AsinIN3c107complexIdEEEclES4_,@function
_ZNK2at6native4AsinIN3c107complexIdEEEclES4_: ; @_ZNK2at6native4AsinIN3c107complexIdEEEclES4_
; %bb.0:
	s_wait_loadcnt_dscnt 0x0
	s_wait_kmcnt 0x0
	s_mov_b32 s0, exec_lo
	v_cmpx_o_f64_e32 v[2:3], v[0:1]
	s_xor_b32 s2, exec_lo, s0
	s_cbranch_execnz .LBB54_3
; %bb.1:
	s_and_not1_saveexec_b32 s0, s2
	s_cbranch_execnz .LBB54_88
.LBB54_2:
	s_or_b32 exec_lo, exec_lo, s0
	s_wait_dscnt 0x0
	s_set_pc_i64 s[30:31]
.LBB54_3:
	v_max_num_f64_e64 v[10:11], |v[2:3]|, |v[2:3]|
	v_max_num_f64_e64 v[4:5], |v[0:1]|, |v[0:1]|
	s_mov_b32 s0, exec_lo
	s_delay_alu instid0(VALU_DEP_1) | instskip(NEXT) | instid1(VALU_DEP_1)
	v_max_num_f64_e32 v[6:7], v[4:5], v[10:11]
	v_cmpx_nlt_f64_e32 0x43300000, v[6:7]
	s_xor_b32 s3, exec_lo, s0
	s_cbranch_execz .LBB54_65
; %bb.4:
	v_cmp_neq_f64_e32 vcc_lo, 0, v[2:3]
	v_cmp_neq_f64_e64 s0, 0, v[0:1]
	s_or_b32 s0, vcc_lo, s0
	s_delay_alu instid0(SALU_CYCLE_1)
	s_and_saveexec_b32 s4, s0
	s_cbranch_execz .LBB54_64
; %bb.5:
	v_mbcnt_lo_u32_b32 v4, -1, 0
	s_add_co_i32 s0, s32, 4
	s_delay_alu instid0(VALU_DEP_1) | instskip(NEXT) | instid1(VALU_DEP_1)
	v_dual_mov_b32 v4, s32 :: v_dual_lshlrev_b32 v5, 20, v4
	v_add_nc_u64_e32 v[6:7], src_flat_scratch_base_lo, v[4:5]
	v_mov_b32_e32 v4, 0xd800000
	flat_store_b32 v[6:7], v4 scope:SCOPE_SYS
	s_wait_storecnt 0x0
	flat_load_b32 v6, v[6:7] scope:SCOPE_SYS
	s_wait_loadcnt 0x0
	v_mov_b32_e32 v4, s0
	s_mov_b64 s[0:1], 0x3e43988e1409212f
	s_delay_alu instid0(SALU_CYCLE_1)
	v_cmp_nlt_f64_e64 s5, |v[2:3]|, s[0:1]
	v_cmp_nlt_f64_e64 s0, |v[0:1]|, s[0:1]
	s_or_b32 s0, s0, s5
	s_wait_dscnt 0x0
	s_wait_xcnt 0x0
	v_add_f32_e32 v6, 1.0, v6
	v_add_nc_u64_e32 v[4:5], src_flat_scratch_base_lo, v[4:5]
	flat_store_b32 v[4:5], v6 scope:SCOPE_SYS
	s_wait_storecnt 0x0
	flat_load_b32 v4, v[4:5] scope:SCOPE_SYS
	s_wait_loadcnt 0x0
	s_wait_xcnt 0x0
	s_and_saveexec_b32 s5, s0
	s_cbranch_execz .LBB54_63
; %bb.6:
	v_add_f64_e64 v[8:9], |v[0:1]|, 1.0
	s_wait_dscnt 0x0
	v_add_f64_e64 v[4:5], |v[0:1]|, -1.0
	s_delay_alu instid0(VALU_DEP_2) | instskip(NEXT) | instid1(VALU_DEP_2)
	v_max_num_f64_e32 v[6:7], v[10:11], v[8:9]
	v_max_num_f64_e64 v[10:11], v[10:11], |v[4:5]|
	s_delay_alu instid0(VALU_DEP_1) | instskip(NEXT) | instid1(VALU_DEP_1)
	v_frexp_exp_i32_f64_e32 v25, v[10:11]
	v_sub_nc_u32_e32 v14, 0, v25
	s_delay_alu instid0(VALU_DEP_1) | instskip(NEXT) | instid1(VALU_DEP_1)
	v_ldexp_f64 v[10:11], |v[4:5]|, v14
	v_mul_f64_e32 v[10:11], v[10:11], v[10:11]
	v_ldexp_f64 v[14:15], |v[2:3]|, v14
	s_delay_alu instid0(VALU_DEP_1) | instskip(NEXT) | instid1(VALU_DEP_1)
	v_fmac_f64_e32 v[10:11], v[14:15], v[14:15]
	v_rsq_f64_e32 v[14:15], v[10:11]
	v_cmp_eq_f64_e64 s0, 0, v[10:11]
	s_delay_alu instid0(TRANS32_DEP_1) | instskip(SKIP_1) | instid1(VALU_DEP_1)
	v_mul_f64_e32 v[18:19], v[10:11], v[14:15]
	v_mul_f64_e32 v[14:15], 0.5, v[14:15]
	v_fma_f64 v[22:23], -v[14:15], v[18:19], 0.5
	s_delay_alu instid0(VALU_DEP_1) | instskip(SKIP_1) | instid1(VALU_DEP_2)
	v_fmac_f64_e32 v[18:19], v[18:19], v[22:23]
	v_fmac_f64_e32 v[14:15], v[14:15], v[22:23]
	v_fma_f64 v[22:23], -v[18:19], v[18:19], v[10:11]
	s_delay_alu instid0(VALU_DEP_1) | instskip(NEXT) | instid1(VALU_DEP_1)
	v_fmac_f64_e32 v[18:19], v[22:23], v[14:15]
	v_dual_cndmask_b32 v11, v19, v11, s0 :: v_dual_cndmask_b32 v10, v18, v10, s0
	v_cmp_neq_f64_e64 s0, 0x7ff00000, |v[4:5]|
	s_delay_alu instid0(VALU_DEP_2) | instskip(NEXT) | instid1(VALU_DEP_1)
	v_ldexp_f64 v[10:11], v[10:11], v25
	v_cndmask_b32_e64 v10, 0, v10, s0
	v_frexp_exp_i32_f64_e32 v24, v[6:7]
	s_delay_alu instid0(VALU_DEP_3) | instskip(SKIP_1) | instid1(VALU_DEP_2)
	v_cndmask_b32_e64 v11, 0x7ff00000, v11, s0
	s_mov_b32 s0, exec_lo
	v_sub_nc_u32_e32 v12, 0, v24
	s_delay_alu instid0(VALU_DEP_1) | instskip(NEXT) | instid1(VALU_DEP_1)
	v_ldexp_f64 v[6:7], v[8:9], v12
	v_mul_f64_e32 v[6:7], v[6:7], v[6:7]
	v_ldexp_f64 v[12:13], |v[2:3]|, v12
	s_delay_alu instid0(VALU_DEP_1) | instskip(NEXT) | instid1(VALU_DEP_1)
	v_fmac_f64_e32 v[6:7], v[12:13], v[12:13]
	v_rsq_f64_e32 v[12:13], v[6:7]
	v_cmp_eq_f64_e32 vcc_lo, 0, v[6:7]
	s_delay_alu instid0(TRANS32_DEP_1) | instskip(SKIP_1) | instid1(VALU_DEP_1)
	v_mul_f64_e32 v[16:17], v[6:7], v[12:13]
	v_mul_f64_e32 v[12:13], 0.5, v[12:13]
	v_fma_f64 v[20:21], -v[12:13], v[16:17], 0.5
	s_delay_alu instid0(VALU_DEP_1) | instskip(SKIP_1) | instid1(VALU_DEP_2)
	v_fmac_f64_e32 v[16:17], v[16:17], v[20:21]
	v_fmac_f64_e32 v[12:13], v[12:13], v[20:21]
	v_fma_f64 v[20:21], -v[16:17], v[16:17], v[6:7]
	s_delay_alu instid0(VALU_DEP_1) | instskip(SKIP_1) | instid1(VALU_DEP_2)
	v_fmac_f64_e32 v[16:17], v[20:21], v[12:13]
	v_and_b32_e32 v13, 0x7fffffff, v3
	v_dual_cndmask_b32 v7, v17, v7 :: v_dual_cndmask_b32 v6, v16, v6
	v_cmp_neq_f64_e32 vcc_lo, 0x7ff00000, v[8:9]
                                        ; implicit-def: $vgpr16_vgpr17
	s_delay_alu instid0(VALU_DEP_2) | instskip(NEXT) | instid1(VALU_DEP_1)
	v_ldexp_f64 v[6:7], v[6:7], v24
	v_cndmask_b32_e32 v15, 0x7ff00000, v7, vcc_lo
	s_delay_alu instid0(VALU_DEP_2) | instskip(NEXT) | instid1(VALU_DEP_1)
	v_cndmask_b32_e32 v14, 0, v6, vcc_lo
	v_add_f64_e32 v[6:7], v[14:15], v[10:11]
	s_delay_alu instid0(VALU_DEP_1) | instskip(NEXT) | instid1(VALU_DEP_1)
	v_mul_f64_e32 v[6:7], 0.5, v[6:7]
	v_cmp_ngt_f64_e32 vcc_lo, 1.0, v[6:7]
	v_cndmask_b32_e32 v7, 0x3ff00000, v7, vcc_lo
	v_cndmask_b32_e32 v6, 0, v6, vcc_lo
	s_delay_alu instid0(VALU_DEP_1)
	v_cmpx_ngt_f64_e32 0x40240000, v[6:7]
	s_xor_b32 s0, exec_lo, s0
	s_cbranch_execz .LBB54_8
; %bb.7:
	v_fma_f64 v[16:17], v[6:7], v[6:7], -1.0
	s_mov_b64 s[6:7], 0x3fe5555555555555
	s_delay_alu instid0(VALU_DEP_1) | instskip(SKIP_1) | instid1(VALU_DEP_1)
	v_cmp_gt_f64_e32 vcc_lo, 0x10000000, v[16:17]
	v_cndmask_b32_e64 v12, 0, 0x100, vcc_lo
	v_ldexp_f64 v[16:17], v[16:17], v12
	v_cndmask_b32_e64 v12, 0, 0xffffff80, vcc_lo
	s_delay_alu instid0(VALU_DEP_2) | instskip(SKIP_1) | instid1(TRANS32_DEP_1)
	v_rsq_f64_e32 v[18:19], v[16:17]
	v_cmp_class_f64_e64 vcc_lo, v[16:17], 0x260
	v_mul_f64_e32 v[20:21], v[16:17], v[18:19]
	v_mul_f64_e32 v[18:19], 0.5, v[18:19]
	s_delay_alu instid0(VALU_DEP_1) | instskip(NEXT) | instid1(VALU_DEP_1)
	v_fma_f64 v[22:23], -v[18:19], v[20:21], 0.5
	v_fmac_f64_e32 v[20:21], v[20:21], v[22:23]
	v_fmac_f64_e32 v[18:19], v[18:19], v[22:23]
	s_delay_alu instid0(VALU_DEP_2) | instskip(NEXT) | instid1(VALU_DEP_1)
	v_fma_f64 v[22:23], -v[20:21], v[20:21], v[16:17]
	v_fmac_f64_e32 v[20:21], v[22:23], v[18:19]
	s_delay_alu instid0(VALU_DEP_1) | instskip(NEXT) | instid1(VALU_DEP_1)
	v_fma_f64 v[22:23], -v[20:21], v[20:21], v[16:17]
	v_fmac_f64_e32 v[20:21], v[22:23], v[18:19]
	s_delay_alu instid0(VALU_DEP_1) | instskip(NEXT) | instid1(VALU_DEP_1)
	v_ldexp_f64 v[18:19], v[20:21], v12
	v_dual_cndmask_b32 v17, v19, v17 :: v_dual_cndmask_b32 v16, v18, v16
	s_delay_alu instid0(VALU_DEP_1) | instskip(NEXT) | instid1(VALU_DEP_1)
	v_add_f64_e32 v[16:17], v[6:7], v[16:17]
	v_frexp_mant_f64_e32 v[18:19], v[16:17]
	s_delay_alu instid0(VALU_DEP_1) | instskip(SKIP_2) | instid1(VALU_DEP_1)
	v_cmp_gt_f64_e32 vcc_lo, s[6:7], v[18:19]
	s_mov_b64 s[6:7], 0x3fc3ab76bf559e2b
	v_cndmask_b32_e64 v12, 0, 1, vcc_lo
	v_ldexp_f64 v[18:19], v[18:19], v12
	v_frexp_exp_i32_f64_e32 v12, v[16:17]
	s_delay_alu instid0(VALU_DEP_2) | instskip(NEXT) | instid1(VALU_DEP_2)
	v_add_f64_e32 v[20:21], 1.0, v[18:19]
	v_subrev_co_ci_u32_e64 v12, null, 0, v12, vcc_lo
	v_cmp_class_f64_e64 vcc_lo, v[16:17], 0x204
	v_add_f64_e32 v[26:27], -1.0, v[18:19]
	s_delay_alu instid0(VALU_DEP_4) | instskip(SKIP_1) | instid1(VALU_DEP_1)
	v_rcp_f64_e32 v[22:23], v[20:21]
	v_add_f64_e32 v[28:29], -1.0, v[20:21]
	v_add_f64_e64 v[18:19], v[18:19], -v[28:29]
	s_delay_alu instid0(TRANS32_DEP_1) | instskip(NEXT) | instid1(VALU_DEP_1)
	v_fma_f64 v[24:25], -v[20:21], v[22:23], 1.0
	v_fmac_f64_e32 v[22:23], v[24:25], v[22:23]
	s_delay_alu instid0(VALU_DEP_1) | instskip(NEXT) | instid1(VALU_DEP_1)
	v_fma_f64 v[24:25], -v[20:21], v[22:23], 1.0
	v_fmac_f64_e32 v[22:23], v[24:25], v[22:23]
	s_delay_alu instid0(VALU_DEP_1) | instskip(NEXT) | instid1(VALU_DEP_1)
	v_mul_f64_e32 v[24:25], v[26:27], v[22:23]
	v_mul_f64_e32 v[30:31], v[20:21], v[24:25]
	s_delay_alu instid0(VALU_DEP_1) | instskip(NEXT) | instid1(VALU_DEP_1)
	v_fma_f64 v[20:21], v[24:25], v[20:21], -v[30:31]
	v_fmac_f64_e32 v[20:21], v[24:25], v[18:19]
	s_delay_alu instid0(VALU_DEP_1) | instskip(NEXT) | instid1(VALU_DEP_1)
	v_add_f64_e32 v[18:19], v[30:31], v[20:21]
	v_add_f64_e64 v[28:29], v[26:27], -v[18:19]
	v_add_f64_e64 v[30:31], v[18:19], -v[30:31]
	s_delay_alu instid0(VALU_DEP_2) | instskip(NEXT) | instid1(VALU_DEP_2)
	v_add_f64_e64 v[26:27], v[26:27], -v[28:29]
	v_add_f64_e64 v[20:21], v[30:31], -v[20:21]
	s_delay_alu instid0(VALU_DEP_2) | instskip(NEXT) | instid1(VALU_DEP_1)
	v_add_f64_e64 v[18:19], v[26:27], -v[18:19]
	v_add_f64_e32 v[18:19], v[20:21], v[18:19]
	s_delay_alu instid0(VALU_DEP_1) | instskip(NEXT) | instid1(VALU_DEP_1)
	v_add_f64_e32 v[18:19], v[28:29], v[18:19]
	v_mul_f64_e32 v[18:19], v[22:23], v[18:19]
	s_delay_alu instid0(VALU_DEP_1) | instskip(NEXT) | instid1(VALU_DEP_1)
	v_add_f64_e32 v[20:21], v[24:25], v[18:19]
	v_mul_f64_e32 v[22:23], v[20:21], v[20:21]
	s_delay_alu instid0(VALU_DEP_1) | instskip(SKIP_2) | instid1(VALU_DEP_2)
	v_fmaak_f64 v[26:27], s[6:7], v[22:23], 0x3fc385386b47b09a
	v_mul_f64_e32 v[28:29], v[20:21], v[22:23]
	s_mov_b64 s[6:7], 0x3fe62e42fefa39ef
	v_fmaak_f64 v[26:27], v[22:23], v[26:27], 0x3fc7474dd7f4df2e
	s_delay_alu instid0(VALU_DEP_1) | instskip(NEXT) | instid1(VALU_DEP_1)
	v_fmaak_f64 v[26:27], v[22:23], v[26:27], 0x3fcc71c016291751
	v_fmaak_f64 v[26:27], v[22:23], v[26:27], 0x3fd249249b27acf1
	s_delay_alu instid0(VALU_DEP_1) | instskip(NEXT) | instid1(VALU_DEP_1)
	v_fmaak_f64 v[26:27], v[22:23], v[26:27], 0x3fd99999998ef7b6
	v_fmaak_f64 v[22:23], v[22:23], v[26:27], 0x3fe5555555555780
	v_ldexp_f64 v[26:27], v[20:21], 1
	v_add_f64_e64 v[20:21], v[20:21], -v[24:25]
	s_delay_alu instid0(VALU_DEP_3) | instskip(SKIP_1) | instid1(VALU_DEP_3)
	v_mul_f64_e32 v[22:23], v[28:29], v[22:23]
	v_cvt_f64_i32_e32 v[28:29], v12
	v_add_f64_e64 v[18:19], v[18:19], -v[20:21]
	s_delay_alu instid0(VALU_DEP_3) | instskip(NEXT) | instid1(VALU_DEP_2)
	v_add_f64_e32 v[24:25], v[26:27], v[22:23]
	v_ldexp_f64 v[18:19], v[18:19], 1
	s_delay_alu instid0(VALU_DEP_2) | instskip(SKIP_1) | instid1(VALU_DEP_2)
	v_add_f64_e64 v[20:21], v[24:25], -v[26:27]
	v_mul_f64_e32 v[26:27], 0x3fe62e42fefa39ef, v[28:29]
	v_add_f64_e64 v[20:21], v[22:23], -v[20:21]
	s_delay_alu instid0(VALU_DEP_2) | instskip(NEXT) | instid1(VALU_DEP_2)
	v_fma_f64 v[22:23], v[28:29], s[6:7], -v[26:27]
	v_add_f64_e32 v[18:19], v[18:19], v[20:21]
	s_delay_alu instid0(VALU_DEP_2) | instskip(NEXT) | instid1(VALU_DEP_1)
	v_fmamk_f64 v[20:21], v[28:29], 0x3c7abc9e3b39803f, v[22:23]
	v_add_f64_e32 v[22:23], v[26:27], v[20:21]
	s_delay_alu instid0(VALU_DEP_3) | instskip(NEXT) | instid1(VALU_DEP_2)
	v_add_f64_e32 v[28:29], v[24:25], v[18:19]
	v_add_f64_e64 v[26:27], v[22:23], -v[26:27]
	s_delay_alu instid0(VALU_DEP_2) | instskip(SKIP_1) | instid1(VALU_DEP_3)
	v_add_f64_e32 v[30:31], v[22:23], v[28:29]
	v_add_f64_e64 v[24:25], v[28:29], -v[24:25]
	v_add_f64_e64 v[20:21], v[20:21], -v[26:27]
	s_delay_alu instid0(VALU_DEP_3) | instskip(NEXT) | instid1(VALU_DEP_3)
	v_add_f64_e64 v[32:33], v[30:31], -v[22:23]
	v_add_f64_e64 v[18:19], v[18:19], -v[24:25]
	s_delay_alu instid0(VALU_DEP_2) | instskip(SKIP_1) | instid1(VALU_DEP_3)
	v_add_f64_e64 v[34:35], v[30:31], -v[32:33]
	v_add_f64_e64 v[24:25], v[28:29], -v[32:33]
	v_add_f64_e32 v[26:27], v[20:21], v[18:19]
	s_delay_alu instid0(VALU_DEP_3) | instskip(NEXT) | instid1(VALU_DEP_1)
	v_add_f64_e64 v[22:23], v[22:23], -v[34:35]
	v_add_f64_e32 v[22:23], v[24:25], v[22:23]
	s_delay_alu instid0(VALU_DEP_3) | instskip(NEXT) | instid1(VALU_DEP_2)
	v_add_f64_e64 v[24:25], v[26:27], -v[20:21]
	v_add_f64_e32 v[22:23], v[26:27], v[22:23]
	s_delay_alu instid0(VALU_DEP_2) | instskip(SKIP_1) | instid1(VALU_DEP_3)
	v_add_f64_e64 v[26:27], v[26:27], -v[24:25]
	v_add_f64_e64 v[18:19], v[18:19], -v[24:25]
	v_add_f64_e32 v[28:29], v[30:31], v[22:23]
	s_delay_alu instid0(VALU_DEP_3) | instskip(NEXT) | instid1(VALU_DEP_2)
	v_add_f64_e64 v[20:21], v[20:21], -v[26:27]
	v_add_f64_e64 v[24:25], v[28:29], -v[30:31]
	s_delay_alu instid0(VALU_DEP_2) | instskip(NEXT) | instid1(VALU_DEP_2)
	v_add_f64_e32 v[18:19], v[18:19], v[20:21]
	v_add_f64_e64 v[20:21], v[22:23], -v[24:25]
	s_delay_alu instid0(VALU_DEP_1) | instskip(NEXT) | instid1(VALU_DEP_1)
	v_add_f64_e32 v[18:19], v[18:19], v[20:21]
	v_add_f64_e32 v[18:19], v[28:29], v[18:19]
	s_delay_alu instid0(VALU_DEP_1) | instskip(SKIP_1) | instid1(VALU_DEP_2)
	v_dual_cndmask_b32 v12, v18, v16, vcc_lo :: v_dual_cndmask_b32 v18, v19, v17, vcc_lo
	v_cmp_neq_f64_e32 vcc_lo, 0, v[16:17]
	v_cndmask_b32_e32 v17, 0xfff00000, v18, vcc_lo
	s_delay_alu instid0(VALU_DEP_3)
	v_cndmask_b32_e32 v16, 0, v12, vcc_lo
.LBB54_8:
	s_or_saveexec_b32 s6, s0
	v_mov_b32_e32 v12, v2
	s_xor_b32 exec_lo, exec_lo, s6
	s_cbranch_execz .LBB54_30
; %bb.9:
	v_cmp_neq_f64_e64 s0, |v[0:1]|, 1.0
	v_cmp_ngt_f64_e64 s1, 0x39000000, |v[2:3]|
                                        ; implicit-def: $vgpr16_vgpr17
	s_or_b32 s0, s0, s1
	s_delay_alu instid0(SALU_CYCLE_1) | instskip(NEXT) | instid1(SALU_CYCLE_1)
	s_and_saveexec_b32 s1, s0
	s_xor_b32 s7, exec_lo, s1
	s_cbranch_execz .LBB54_27
; %bb.10:
	v_ldexp_f64 v[16:17], |v[4:5]|, 0xffffffcc
	s_delay_alu instid0(VALU_DEP_1) | instskip(SKIP_1) | instid1(SALU_CYCLE_1)
	v_cmp_ge_f64_e64 s0, |v[2:3]|, v[16:17]
                                        ; implicit-def: $vgpr16_vgpr17
	s_and_saveexec_b32 s1, s0
	s_xor_b32 s8, exec_lo, s1
	s_cbranch_execz .LBB54_20
; %bb.11:
	v_mov_b64_e32 v[16:17], v[12:13]
	s_mov_b32 s0, exec_lo
	v_cmpx_neq_f64_e32 0, v[8:9]
	s_cbranch_execz .LBB54_13
; %bb.12:
	v_mul_f64_e32 v[16:17], v[2:3], v[2:3]
	v_add_f64_e32 v[18:19], v[8:9], v[14:15]
	s_delay_alu instid0(VALU_DEP_1) | instskip(NEXT) | instid1(VALU_DEP_1)
	v_div_scale_f64 v[20:21], null, v[18:19], v[18:19], v[16:17]
	v_rcp_f64_e32 v[22:23], v[20:21]
	v_nop
	s_delay_alu instid0(TRANS32_DEP_1) | instskip(NEXT) | instid1(VALU_DEP_1)
	v_fma_f64 v[24:25], -v[20:21], v[22:23], 1.0
	v_fmac_f64_e32 v[22:23], v[22:23], v[24:25]
	s_delay_alu instid0(VALU_DEP_1) | instskip(NEXT) | instid1(VALU_DEP_1)
	v_fma_f64 v[24:25], -v[20:21], v[22:23], 1.0
	v_fmac_f64_e32 v[22:23], v[22:23], v[24:25]
	v_div_scale_f64 v[24:25], vcc_lo, v[16:17], v[18:19], v[16:17]
	s_delay_alu instid0(VALU_DEP_1) | instskip(NEXT) | instid1(VALU_DEP_1)
	v_mul_f64_e32 v[26:27], v[24:25], v[22:23]
	v_fma_f64 v[20:21], -v[20:21], v[26:27], v[24:25]
	s_delay_alu instid0(VALU_DEP_1) | instskip(NEXT) | instid1(VALU_DEP_1)
	v_div_fmas_f64 v[20:21], v[20:21], v[22:23], v[26:27]
	v_div_fixup_f64 v[16:17], v[20:21], v[18:19], v[16:17]
.LBB54_13:
	s_or_b32 exec_lo, exec_lo, s0
	v_add_f64_e64 v[20:21], -|v[0:1]|, 1.0
	s_mov_b32 s0, exec_lo
                                        ; implicit-def: $vgpr18_vgpr19
	s_delay_alu instid0(VALU_DEP_1)
	v_cmpx_ngt_f64_e32 0, v[20:21]
	s_xor_b32 s0, exec_lo, s0
	s_cbranch_execz .LBB54_17
; %bb.14:
	v_mov_b64_e32 v[18:19], v[12:13]
	s_mov_b32 s1, exec_lo
	v_cmpx_neq_f64_e32 0, v[20:21]
	s_cbranch_execz .LBB54_16
; %bb.15:
	v_mul_f64_e32 v[18:19], v[2:3], v[2:3]
	v_add_f64_e32 v[20:21], v[20:21], v[10:11]
	s_delay_alu instid0(VALU_DEP_1) | instskip(NEXT) | instid1(VALU_DEP_1)
	v_div_scale_f64 v[22:23], null, v[20:21], v[20:21], v[18:19]
	v_rcp_f64_e32 v[24:25], v[22:23]
	v_nop
	s_delay_alu instid0(TRANS32_DEP_1) | instskip(NEXT) | instid1(VALU_DEP_1)
	v_fma_f64 v[26:27], -v[22:23], v[24:25], 1.0
	v_fmac_f64_e32 v[24:25], v[24:25], v[26:27]
	s_delay_alu instid0(VALU_DEP_1) | instskip(NEXT) | instid1(VALU_DEP_1)
	v_fma_f64 v[26:27], -v[22:23], v[24:25], 1.0
	v_fmac_f64_e32 v[24:25], v[24:25], v[26:27]
	v_div_scale_f64 v[26:27], vcc_lo, v[18:19], v[20:21], v[18:19]
	s_delay_alu instid0(VALU_DEP_1) | instskip(NEXT) | instid1(VALU_DEP_1)
	v_mul_f64_e32 v[28:29], v[26:27], v[24:25]
	v_fma_f64 v[22:23], -v[22:23], v[28:29], v[26:27]
	s_delay_alu instid0(VALU_DEP_1) | instskip(NEXT) | instid1(VALU_DEP_1)
	v_div_fmas_f64 v[22:23], v[22:23], v[24:25], v[28:29]
	v_div_fixup_f64 v[18:19], v[22:23], v[20:21], v[18:19]
.LBB54_16:
	s_or_b32 exec_lo, exec_lo, s1
                                        ; implicit-def: $vgpr20_vgpr21
.LBB54_17:
	s_and_not1_saveexec_b32 s0, s0
; %bb.18:
	v_add_f64_e64 v[18:19], v[10:11], -v[20:21]
; %bb.19:
	s_or_b32 exec_lo, exec_lo, s0
	s_delay_alu instid0(VALU_DEP_1) | instskip(SKIP_2) | instid1(VALU_DEP_2)
	v_mul_f64_e32 v[18:19], 0.5, v[18:19]
	v_add_f64_e32 v[20:21], 1.0, v[6:7]
	s_mov_b64 s[0:1], 0x3fe5555555555555
	v_fmac_f64_e32 v[18:19], 0.5, v[16:17]
	s_delay_alu instid0(VALU_DEP_1) | instskip(NEXT) | instid1(VALU_DEP_1)
	v_mul_f64_e32 v[16:17], v[20:21], v[18:19]
	v_cmp_gt_f64_e32 vcc_lo, 0x10000000, v[16:17]
	v_cndmask_b32_e64 v20, 0, 0x100, vcc_lo
	s_delay_alu instid0(VALU_DEP_1) | instskip(NEXT) | instid1(VALU_DEP_1)
	v_ldexp_f64 v[16:17], v[16:17], v20
	v_rsq_f64_e32 v[20:21], v[16:17]
	v_nop
	s_delay_alu instid0(TRANS32_DEP_1) | instskip(SKIP_1) | instid1(VALU_DEP_1)
	v_mul_f64_e32 v[22:23], v[16:17], v[20:21]
	v_mul_f64_e32 v[20:21], 0.5, v[20:21]
	v_fma_f64 v[24:25], -v[20:21], v[22:23], 0.5
	s_delay_alu instid0(VALU_DEP_1) | instskip(SKIP_1) | instid1(VALU_DEP_2)
	v_fmac_f64_e32 v[22:23], v[22:23], v[24:25]
	v_fmac_f64_e32 v[20:21], v[20:21], v[24:25]
	v_fma_f64 v[24:25], -v[22:23], v[22:23], v[16:17]
	s_delay_alu instid0(VALU_DEP_1) | instskip(NEXT) | instid1(VALU_DEP_1)
	v_fmac_f64_e32 v[22:23], v[24:25], v[20:21]
	v_fma_f64 v[24:25], -v[22:23], v[22:23], v[16:17]
	s_delay_alu instid0(VALU_DEP_1) | instskip(SKIP_2) | instid1(VALU_DEP_2)
	v_fmac_f64_e32 v[22:23], v[24:25], v[20:21]
	v_cndmask_b32_e64 v20, 0, 0xffffff80, vcc_lo
	v_cmp_class_f64_e64 vcc_lo, v[16:17], 0x260
	v_ldexp_f64 v[20:21], v[22:23], v20
	s_delay_alu instid0(VALU_DEP_1) | instskip(NEXT) | instid1(VALU_DEP_1)
	v_dual_cndmask_b32 v17, v21, v17 :: v_dual_cndmask_b32 v16, v20, v16
	v_add_f64_e32 v[18:19], v[18:19], v[16:17]
	s_delay_alu instid0(VALU_DEP_1) | instskip(NEXT) | instid1(VALU_DEP_1)
	v_add_f64_e32 v[16:17], 1.0, v[18:19]
	v_frexp_mant_f64_e32 v[20:21], v[16:17]
	v_frexp_exp_i32_f64_e32 v24, v[16:17]
	v_add_f64_e32 v[22:23], -1.0, v[16:17]
	s_delay_alu instid0(VALU_DEP_3) | instskip(SKIP_1) | instid1(VALU_DEP_2)
	v_cmp_gt_f64_e32 vcc_lo, s[0:1], v[20:21]
	s_mov_b64 s[0:1], 0x3fc3ab76bf559e2b
	v_add_f64_e64 v[20:21], v[22:23], -v[16:17]
	v_add_f64_e64 v[22:23], v[18:19], -v[22:23]
	v_subrev_co_ci_u32_e64 v48, null, 0, v24, vcc_lo
	s_delay_alu instid0(VALU_DEP_3) | instskip(SKIP_1) | instid1(VALU_DEP_3)
	v_add_f64_e32 v[20:21], 1.0, v[20:21]
	v_cmp_nge_f64_e32 vcc_lo, -1.0, v[18:19]
	v_sub_nc_u32_e32 v26, 0, v48
	s_delay_alu instid0(VALU_DEP_1) | instskip(NEXT) | instid1(VALU_DEP_4)
	v_ldexp_f64 v[16:17], v[16:17], v26
	v_add_f64_e32 v[20:21], v[22:23], v[20:21]
	s_delay_alu instid0(VALU_DEP_2) | instskip(SKIP_1) | instid1(VALU_DEP_3)
	v_add_f64_e32 v[24:25], 1.0, v[16:17]
	v_add_f64_e32 v[30:31], -1.0, v[16:17]
	v_ldexp_f64 v[20:21], v[20:21], v26
	s_delay_alu instid0(VALU_DEP_3) | instskip(NEXT) | instid1(VALU_DEP_3)
	v_add_f64_e32 v[22:23], -1.0, v[24:25]
	v_add_f64_e32 v[32:33], 1.0, v[30:31]
	s_delay_alu instid0(VALU_DEP_2) | instskip(NEXT) | instid1(VALU_DEP_2)
	v_add_f64_e64 v[22:23], v[16:17], -v[22:23]
	v_add_f64_e64 v[16:17], v[16:17], -v[32:33]
	s_delay_alu instid0(VALU_DEP_2) | instskip(NEXT) | instid1(VALU_DEP_2)
	v_add_f64_e32 v[22:23], v[20:21], v[22:23]
	v_add_f64_e32 v[16:17], v[20:21], v[16:17]
	s_delay_alu instid0(VALU_DEP_2) | instskip(NEXT) | instid1(VALU_DEP_2)
	v_add_f64_e32 v[26:27], v[24:25], v[22:23]
	v_add_f64_e32 v[32:33], v[30:31], v[16:17]
	s_delay_alu instid0(VALU_DEP_2) | instskip(SKIP_1) | instid1(VALU_DEP_2)
	v_rcp_f64_e32 v[28:29], v[26:27]
	v_add_f64_e64 v[24:25], v[26:27], -v[24:25]
	v_add_f64_e64 v[30:31], v[32:33], -v[30:31]
	s_delay_alu instid0(VALU_DEP_2) | instskip(NEXT) | instid1(VALU_DEP_2)
	v_add_f64_e64 v[22:23], v[22:23], -v[24:25]
	v_add_f64_e64 v[16:17], v[16:17], -v[30:31]
	s_delay_alu instid0(TRANS32_DEP_1) | instskip(NEXT) | instid1(VALU_DEP_1)
	v_fma_f64 v[34:35], -v[26:27], v[28:29], 1.0
	v_fmac_f64_e32 v[28:29], v[34:35], v[28:29]
	s_delay_alu instid0(VALU_DEP_1) | instskip(NEXT) | instid1(VALU_DEP_1)
	v_fma_f64 v[20:21], -v[26:27], v[28:29], 1.0
	v_fmac_f64_e32 v[28:29], v[20:21], v[28:29]
	s_delay_alu instid0(VALU_DEP_1) | instskip(NEXT) | instid1(VALU_DEP_1)
	v_mul_f64_e32 v[20:21], v[32:33], v[28:29]
	v_mul_f64_e32 v[34:35], v[26:27], v[20:21]
	s_delay_alu instid0(VALU_DEP_1) | instskip(NEXT) | instid1(VALU_DEP_1)
	v_fma_f64 v[24:25], v[20:21], v[26:27], -v[34:35]
	v_fmac_f64_e32 v[24:25], v[20:21], v[22:23]
	s_delay_alu instid0(VALU_DEP_1) | instskip(NEXT) | instid1(VALU_DEP_1)
	v_add_f64_e32 v[36:37], v[34:35], v[24:25]
	v_add_f64_e64 v[38:39], v[32:33], -v[36:37]
	v_add_f64_e64 v[30:31], v[36:37], -v[34:35]
	s_delay_alu instid0(VALU_DEP_2) | instskip(NEXT) | instid1(VALU_DEP_2)
	v_add_f64_e64 v[32:33], v[32:33], -v[38:39]
	v_add_f64_e64 v[24:25], v[30:31], -v[24:25]
	s_delay_alu instid0(VALU_DEP_2) | instskip(NEXT) | instid1(VALU_DEP_1)
	v_add_f64_e64 v[32:33], v[32:33], -v[36:37]
	v_add_f64_e32 v[16:17], v[16:17], v[32:33]
	s_delay_alu instid0(VALU_DEP_1) | instskip(NEXT) | instid1(VALU_DEP_1)
	v_add_f64_e32 v[16:17], v[24:25], v[16:17]
	v_add_f64_e32 v[24:25], v[38:39], v[16:17]
	s_delay_alu instid0(VALU_DEP_1) | instskip(SKIP_1) | instid1(VALU_DEP_2)
	v_mul_f64_e32 v[30:31], v[28:29], v[24:25]
	v_add_f64_e64 v[36:37], v[38:39], -v[24:25]
	v_mul_f64_e32 v[32:33], v[26:27], v[30:31]
	s_delay_alu instid0(VALU_DEP_2) | instskip(NEXT) | instid1(VALU_DEP_2)
	v_add_f64_e32 v[16:17], v[16:17], v[36:37]
	v_fma_f64 v[26:27], v[30:31], v[26:27], -v[32:33]
	s_delay_alu instid0(VALU_DEP_1) | instskip(NEXT) | instid1(VALU_DEP_1)
	v_fmac_f64_e32 v[26:27], v[30:31], v[22:23]
	v_add_f64_e32 v[22:23], v[32:33], v[26:27]
	s_delay_alu instid0(VALU_DEP_1) | instskip(SKIP_1) | instid1(VALU_DEP_2)
	v_add_f64_e64 v[34:35], v[24:25], -v[22:23]
	v_add_f64_e64 v[32:33], v[22:23], -v[32:33]
	;; [unrolled: 1-line block ×3, first 2 shown]
	s_delay_alu instid0(VALU_DEP_1) | instskip(NEXT) | instid1(VALU_DEP_3)
	v_add_f64_e64 v[22:23], v[24:25], -v[22:23]
	v_add_f64_e64 v[24:25], v[32:33], -v[26:27]
	s_delay_alu instid0(VALU_DEP_2) | instskip(SKIP_1) | instid1(VALU_DEP_2)
	v_add_f64_e32 v[16:17], v[16:17], v[22:23]
	v_add_f64_e32 v[22:23], v[20:21], v[30:31]
	;; [unrolled: 1-line block ×3, first 2 shown]
	s_delay_alu instid0(VALU_DEP_2) | instskip(NEXT) | instid1(VALU_DEP_2)
	v_add_f64_e64 v[20:21], v[22:23], -v[20:21]
	v_add_f64_e32 v[16:17], v[34:35], v[16:17]
	s_delay_alu instid0(VALU_DEP_2) | instskip(NEXT) | instid1(VALU_DEP_2)
	v_add_f64_e64 v[20:21], v[30:31], -v[20:21]
	v_mul_f64_e32 v[16:17], v[28:29], v[16:17]
	s_delay_alu instid0(VALU_DEP_1) | instskip(NEXT) | instid1(VALU_DEP_1)
	v_add_f64_e32 v[16:17], v[20:21], v[16:17]
	v_add_f64_e32 v[20:21], v[22:23], v[16:17]
	s_delay_alu instid0(VALU_DEP_1) | instskip(NEXT) | instid1(VALU_DEP_1)
	v_mul_f64_e32 v[24:25], v[20:21], v[20:21]
	v_fmaak_f64 v[26:27], s[0:1], v[24:25], 0x3fc385386b47b09a
	v_mul_f64_e32 v[28:29], v[20:21], v[24:25]
	s_mov_b64 s[0:1], 0x3fe62e42fefa39ef
	s_delay_alu instid0(VALU_DEP_2) | instskip(NEXT) | instid1(VALU_DEP_1)
	v_fmaak_f64 v[26:27], v[24:25], v[26:27], 0x3fc7474dd7f4df2e
	v_fmaak_f64 v[26:27], v[24:25], v[26:27], 0x3fcc71c016291751
	s_delay_alu instid0(VALU_DEP_1) | instskip(NEXT) | instid1(VALU_DEP_1)
	v_fmaak_f64 v[26:27], v[24:25], v[26:27], 0x3fd249249b27acf1
	v_fmaak_f64 v[26:27], v[24:25], v[26:27], 0x3fd99999998ef7b6
	s_delay_alu instid0(VALU_DEP_1) | instskip(SKIP_2) | instid1(VALU_DEP_3)
	v_fmaak_f64 v[24:25], v[24:25], v[26:27], 0x3fe5555555555780
	v_ldexp_f64 v[26:27], v[20:21], 1
	v_add_f64_e64 v[20:21], v[20:21], -v[22:23]
	v_mul_f64_e32 v[24:25], v[28:29], v[24:25]
	v_cvt_f64_i32_e32 v[28:29], v48
	s_delay_alu instid0(VALU_DEP_3) | instskip(NEXT) | instid1(VALU_DEP_3)
	v_add_f64_e64 v[16:17], v[16:17], -v[20:21]
	v_add_f64_e32 v[22:23], v[26:27], v[24:25]
	s_delay_alu instid0(VALU_DEP_2) | instskip(NEXT) | instid1(VALU_DEP_2)
	v_ldexp_f64 v[16:17], v[16:17], 1
	v_add_f64_e64 v[20:21], v[22:23], -v[26:27]
	v_mul_f64_e32 v[26:27], 0x3fe62e42fefa39ef, v[28:29]
	s_delay_alu instid0(VALU_DEP_2) | instskip(NEXT) | instid1(VALU_DEP_2)
	v_add_f64_e64 v[20:21], v[24:25], -v[20:21]
	v_fma_f64 v[24:25], v[28:29], s[0:1], -v[26:27]
	v_cmp_neq_f64_e64 s0, 0x7ff00000, v[18:19]
	v_cmp_ngt_f64_e64 s1, -1.0, v[18:19]
	s_delay_alu instid0(VALU_DEP_4) | instskip(NEXT) | instid1(VALU_DEP_4)
	v_add_f64_e32 v[16:17], v[16:17], v[20:21]
	v_fmamk_f64 v[20:21], v[28:29], 0x3c7abc9e3b39803f, v[24:25]
	s_and_b32 vcc_lo, vcc_lo, s0
	s_delay_alu instid0(VALU_DEP_1) | instskip(NEXT) | instid1(VALU_DEP_3)
	v_add_f64_e32 v[24:25], v[26:27], v[20:21]
	v_add_f64_e32 v[28:29], v[22:23], v[16:17]
	s_delay_alu instid0(VALU_DEP_2) | instskip(NEXT) | instid1(VALU_DEP_2)
	v_add_f64_e64 v[26:27], v[24:25], -v[26:27]
	v_add_f64_e32 v[30:31], v[24:25], v[28:29]
	v_add_f64_e64 v[22:23], v[28:29], -v[22:23]
	s_delay_alu instid0(VALU_DEP_3) | instskip(NEXT) | instid1(VALU_DEP_3)
	v_add_f64_e64 v[20:21], v[20:21], -v[26:27]
	v_add_f64_e64 v[32:33], v[30:31], -v[24:25]
	s_delay_alu instid0(VALU_DEP_3) | instskip(NEXT) | instid1(VALU_DEP_2)
	v_add_f64_e64 v[16:17], v[16:17], -v[22:23]
	v_add_f64_e64 v[34:35], v[30:31], -v[32:33]
	s_delay_alu instid0(VALU_DEP_2) | instskip(NEXT) | instid1(VALU_DEP_2)
	v_add_f64_e32 v[26:27], v[20:21], v[16:17]
	v_add_f64_e64 v[22:23], v[24:25], -v[34:35]
	v_add_f64_e64 v[24:25], v[28:29], -v[32:33]
	s_delay_alu instid0(VALU_DEP_1) | instskip(NEXT) | instid1(VALU_DEP_4)
	v_add_f64_e32 v[22:23], v[24:25], v[22:23]
	v_add_f64_e64 v[24:25], v[26:27], -v[20:21]
	s_delay_alu instid0(VALU_DEP_2) | instskip(NEXT) | instid1(VALU_DEP_2)
	v_add_f64_e32 v[22:23], v[26:27], v[22:23]
	v_add_f64_e64 v[26:27], v[26:27], -v[24:25]
	v_add_f64_e64 v[16:17], v[16:17], -v[24:25]
	s_delay_alu instid0(VALU_DEP_3) | instskip(NEXT) | instid1(VALU_DEP_3)
	v_add_f64_e32 v[28:29], v[30:31], v[22:23]
	v_add_f64_e64 v[20:21], v[20:21], -v[26:27]
	s_delay_alu instid0(VALU_DEP_2) | instskip(NEXT) | instid1(VALU_DEP_2)
	v_add_f64_e64 v[24:25], v[28:29], -v[30:31]
	v_add_f64_e32 v[16:17], v[16:17], v[20:21]
	s_delay_alu instid0(VALU_DEP_2) | instskip(NEXT) | instid1(VALU_DEP_1)
	v_add_f64_e64 v[20:21], v[22:23], -v[24:25]
	v_add_f64_e32 v[16:17], v[16:17], v[20:21]
	s_delay_alu instid0(VALU_DEP_1) | instskip(NEXT) | instid1(VALU_DEP_1)
	v_add_f64_e32 v[16:17], v[28:29], v[16:17]
	v_cndmask_b32_e32 v16, 0, v16, vcc_lo
	v_cmp_neq_f64_e32 vcc_lo, -1.0, v[18:19]
	s_delay_alu instid0(VALU_DEP_3) | instskip(NEXT) | instid1(VALU_DEP_1)
	v_cndmask_b32_e64 v17, 0x7ff00000, v17, s0
	v_cndmask_b32_e64 v17, 0x7ff80000, v17, s1
	s_delay_alu instid0(VALU_DEP_1)
	v_cndmask_b32_e32 v17, 0xfff00000, v17, vcc_lo
.LBB54_20:
	s_and_not1_saveexec_b32 s8, s8
	s_cbranch_execz .LBB54_26
; %bb.21:
                                        ; implicit-def: $vgpr16_vgpr17
	s_mov_b32 s1, exec_lo
	v_cmpx_nlt_f64_e64 |v[0:1]|, 1.0
	s_xor_b32 s9, exec_lo, s1
	s_cbranch_execz .LBB54_23
; %bb.22:
	v_mul_f64_e32 v[16:17], v[4:5], v[8:9]
	s_mov_b64 s[0:1], 0x3fe5555555555555
	s_delay_alu instid0(VALU_DEP_1) | instskip(SKIP_1) | instid1(VALU_DEP_1)
	v_cmp_gt_f64_e32 vcc_lo, 0x10000000, v[16:17]
	v_cndmask_b32_e64 v18, 0, 0x100, vcc_lo
	v_ldexp_f64 v[16:17], v[16:17], v18
	s_delay_alu instid0(VALU_DEP_1) | instskip(SKIP_1) | instid1(TRANS32_DEP_1)
	v_rsq_f64_e32 v[18:19], v[16:17]
	v_nop
	v_mul_f64_e32 v[20:21], v[16:17], v[18:19]
	v_mul_f64_e32 v[18:19], 0.5, v[18:19]
	s_delay_alu instid0(VALU_DEP_1) | instskip(NEXT) | instid1(VALU_DEP_1)
	v_fma_f64 v[22:23], -v[18:19], v[20:21], 0.5
	v_fmac_f64_e32 v[20:21], v[20:21], v[22:23]
	v_fmac_f64_e32 v[18:19], v[18:19], v[22:23]
	s_delay_alu instid0(VALU_DEP_2) | instskip(NEXT) | instid1(VALU_DEP_1)
	v_fma_f64 v[22:23], -v[20:21], v[20:21], v[16:17]
	v_fmac_f64_e32 v[20:21], v[22:23], v[18:19]
	s_delay_alu instid0(VALU_DEP_1) | instskip(NEXT) | instid1(VALU_DEP_1)
	v_fma_f64 v[22:23], -v[20:21], v[20:21], v[16:17]
	v_fmac_f64_e32 v[20:21], v[22:23], v[18:19]
	v_cndmask_b32_e64 v18, 0, 0xffffff80, vcc_lo
	v_cmp_class_f64_e64 vcc_lo, v[16:17], 0x260
	s_delay_alu instid0(VALU_DEP_2) | instskip(NEXT) | instid1(VALU_DEP_1)
	v_ldexp_f64 v[18:19], v[20:21], v18
	v_dual_cndmask_b32 v17, v19, v17 :: v_dual_cndmask_b32 v16, v18, v16
	s_delay_alu instid0(VALU_DEP_1) | instskip(NEXT) | instid1(VALU_DEP_1)
	v_add_f64_e32 v[18:19], v[4:5], v[16:17]
	v_add_f64_e32 v[16:17], 1.0, v[18:19]
	s_delay_alu instid0(VALU_DEP_1) | instskip(SKIP_2) | instid1(VALU_DEP_3)
	v_frexp_mant_f64_e32 v[20:21], v[16:17]
	v_frexp_exp_i32_f64_e32 v24, v[16:17]
	v_add_f64_e32 v[22:23], -1.0, v[16:17]
	v_cmp_gt_f64_e32 vcc_lo, s[0:1], v[20:21]
	s_mov_b64 s[0:1], 0x3fc3ab76bf559e2b
	s_delay_alu instid0(VALU_DEP_2) | instskip(SKIP_2) | instid1(VALU_DEP_3)
	v_add_f64_e64 v[20:21], v[22:23], -v[16:17]
	v_add_f64_e64 v[22:23], v[18:19], -v[22:23]
	v_subrev_co_ci_u32_e64 v48, null, 0, v24, vcc_lo
	v_add_f64_e32 v[20:21], 1.0, v[20:21]
	v_cmp_nge_f64_e32 vcc_lo, -1.0, v[18:19]
	s_delay_alu instid0(VALU_DEP_3) | instskip(NEXT) | instid1(VALU_DEP_1)
	v_sub_nc_u32_e32 v26, 0, v48
	v_ldexp_f64 v[16:17], v[16:17], v26
	s_delay_alu instid0(VALU_DEP_4) | instskip(NEXT) | instid1(VALU_DEP_2)
	v_add_f64_e32 v[20:21], v[22:23], v[20:21]
	v_add_f64_e32 v[24:25], 1.0, v[16:17]
	v_add_f64_e32 v[30:31], -1.0, v[16:17]
	s_delay_alu instid0(VALU_DEP_3) | instskip(NEXT) | instid1(VALU_DEP_3)
	v_ldexp_f64 v[20:21], v[20:21], v26
	v_add_f64_e32 v[22:23], -1.0, v[24:25]
	s_delay_alu instid0(VALU_DEP_3) | instskip(NEXT) | instid1(VALU_DEP_2)
	v_add_f64_e32 v[32:33], 1.0, v[30:31]
	v_add_f64_e64 v[22:23], v[16:17], -v[22:23]
	s_delay_alu instid0(VALU_DEP_2) | instskip(NEXT) | instid1(VALU_DEP_2)
	v_add_f64_e64 v[16:17], v[16:17], -v[32:33]
	v_add_f64_e32 v[22:23], v[20:21], v[22:23]
	s_delay_alu instid0(VALU_DEP_2) | instskip(NEXT) | instid1(VALU_DEP_2)
	v_add_f64_e32 v[16:17], v[20:21], v[16:17]
	v_add_f64_e32 v[26:27], v[24:25], v[22:23]
	s_delay_alu instid0(VALU_DEP_2) | instskip(NEXT) | instid1(VALU_DEP_2)
	v_add_f64_e32 v[32:33], v[30:31], v[16:17]
	v_rcp_f64_e32 v[28:29], v[26:27]
	v_add_f64_e64 v[24:25], v[26:27], -v[24:25]
	s_delay_alu instid0(VALU_DEP_2) | instskip(NEXT) | instid1(VALU_DEP_2)
	v_add_f64_e64 v[30:31], v[32:33], -v[30:31]
	v_add_f64_e64 v[22:23], v[22:23], -v[24:25]
	s_delay_alu instid0(VALU_DEP_2) | instskip(NEXT) | instid1(TRANS32_DEP_1)
	v_add_f64_e64 v[16:17], v[16:17], -v[30:31]
	v_fma_f64 v[34:35], -v[26:27], v[28:29], 1.0
	s_delay_alu instid0(VALU_DEP_1) | instskip(NEXT) | instid1(VALU_DEP_1)
	v_fmac_f64_e32 v[28:29], v[34:35], v[28:29]
	v_fma_f64 v[20:21], -v[26:27], v[28:29], 1.0
	s_delay_alu instid0(VALU_DEP_1) | instskip(NEXT) | instid1(VALU_DEP_1)
	v_fmac_f64_e32 v[28:29], v[20:21], v[28:29]
	v_mul_f64_e32 v[20:21], v[32:33], v[28:29]
	s_delay_alu instid0(VALU_DEP_1) | instskip(NEXT) | instid1(VALU_DEP_1)
	v_mul_f64_e32 v[34:35], v[26:27], v[20:21]
	v_fma_f64 v[24:25], v[20:21], v[26:27], -v[34:35]
	s_delay_alu instid0(VALU_DEP_1) | instskip(NEXT) | instid1(VALU_DEP_1)
	v_fmac_f64_e32 v[24:25], v[20:21], v[22:23]
	v_add_f64_e32 v[36:37], v[34:35], v[24:25]
	s_delay_alu instid0(VALU_DEP_1) | instskip(SKIP_1) | instid1(VALU_DEP_2)
	v_add_f64_e64 v[38:39], v[32:33], -v[36:37]
	v_add_f64_e64 v[30:31], v[36:37], -v[34:35]
	;; [unrolled: 1-line block ×3, first 2 shown]
	s_delay_alu instid0(VALU_DEP_2) | instskip(NEXT) | instid1(VALU_DEP_2)
	v_add_f64_e64 v[24:25], v[30:31], -v[24:25]
	v_add_f64_e64 v[32:33], v[32:33], -v[36:37]
	s_delay_alu instid0(VALU_DEP_1) | instskip(NEXT) | instid1(VALU_DEP_1)
	v_add_f64_e32 v[16:17], v[16:17], v[32:33]
	v_add_f64_e32 v[16:17], v[24:25], v[16:17]
	s_delay_alu instid0(VALU_DEP_1) | instskip(NEXT) | instid1(VALU_DEP_1)
	v_add_f64_e32 v[24:25], v[38:39], v[16:17]
	v_mul_f64_e32 v[30:31], v[28:29], v[24:25]
	v_add_f64_e64 v[36:37], v[38:39], -v[24:25]
	s_delay_alu instid0(VALU_DEP_2) | instskip(NEXT) | instid1(VALU_DEP_2)
	v_mul_f64_e32 v[32:33], v[26:27], v[30:31]
	v_add_f64_e32 v[16:17], v[16:17], v[36:37]
	s_delay_alu instid0(VALU_DEP_2) | instskip(NEXT) | instid1(VALU_DEP_1)
	v_fma_f64 v[26:27], v[30:31], v[26:27], -v[32:33]
	v_fmac_f64_e32 v[26:27], v[30:31], v[22:23]
	s_delay_alu instid0(VALU_DEP_1) | instskip(NEXT) | instid1(VALU_DEP_1)
	v_add_f64_e32 v[22:23], v[32:33], v[26:27]
	v_add_f64_e64 v[34:35], v[24:25], -v[22:23]
	v_add_f64_e64 v[32:33], v[22:23], -v[32:33]
	s_delay_alu instid0(VALU_DEP_2) | instskip(NEXT) | instid1(VALU_DEP_1)
	v_add_f64_e64 v[24:25], v[24:25], -v[34:35]
	v_add_f64_e64 v[22:23], v[24:25], -v[22:23]
	s_delay_alu instid0(VALU_DEP_3) | instskip(NEXT) | instid1(VALU_DEP_2)
	v_add_f64_e64 v[24:25], v[32:33], -v[26:27]
	v_add_f64_e32 v[16:17], v[16:17], v[22:23]
	v_add_f64_e32 v[22:23], v[20:21], v[30:31]
	s_delay_alu instid0(VALU_DEP_2) | instskip(NEXT) | instid1(VALU_DEP_2)
	v_add_f64_e32 v[16:17], v[24:25], v[16:17]
	v_add_f64_e64 v[20:21], v[22:23], -v[20:21]
	s_delay_alu instid0(VALU_DEP_2) | instskip(NEXT) | instid1(VALU_DEP_2)
	v_add_f64_e32 v[16:17], v[34:35], v[16:17]
	v_add_f64_e64 v[20:21], v[30:31], -v[20:21]
	s_delay_alu instid0(VALU_DEP_2) | instskip(NEXT) | instid1(VALU_DEP_1)
	v_mul_f64_e32 v[16:17], v[28:29], v[16:17]
	v_add_f64_e32 v[16:17], v[20:21], v[16:17]
	s_delay_alu instid0(VALU_DEP_1) | instskip(NEXT) | instid1(VALU_DEP_1)
	v_add_f64_e32 v[20:21], v[22:23], v[16:17]
	v_mul_f64_e32 v[24:25], v[20:21], v[20:21]
	s_delay_alu instid0(VALU_DEP_1) | instskip(SKIP_2) | instid1(VALU_DEP_2)
	v_fmaak_f64 v[26:27], s[0:1], v[24:25], 0x3fc385386b47b09a
	v_mul_f64_e32 v[28:29], v[20:21], v[24:25]
	s_mov_b64 s[0:1], 0x3fe62e42fefa39ef
	v_fmaak_f64 v[26:27], v[24:25], v[26:27], 0x3fc7474dd7f4df2e
	s_delay_alu instid0(VALU_DEP_1) | instskip(NEXT) | instid1(VALU_DEP_1)
	v_fmaak_f64 v[26:27], v[24:25], v[26:27], 0x3fcc71c016291751
	v_fmaak_f64 v[26:27], v[24:25], v[26:27], 0x3fd249249b27acf1
	s_delay_alu instid0(VALU_DEP_1) | instskip(NEXT) | instid1(VALU_DEP_1)
	v_fmaak_f64 v[26:27], v[24:25], v[26:27], 0x3fd99999998ef7b6
	v_fmaak_f64 v[24:25], v[24:25], v[26:27], 0x3fe5555555555780
	v_ldexp_f64 v[26:27], v[20:21], 1
	v_add_f64_e64 v[20:21], v[20:21], -v[22:23]
	s_delay_alu instid0(VALU_DEP_3) | instskip(SKIP_1) | instid1(VALU_DEP_3)
	v_mul_f64_e32 v[24:25], v[28:29], v[24:25]
	v_cvt_f64_i32_e32 v[28:29], v48
	v_add_f64_e64 v[16:17], v[16:17], -v[20:21]
	s_delay_alu instid0(VALU_DEP_3) | instskip(NEXT) | instid1(VALU_DEP_2)
	v_add_f64_e32 v[22:23], v[26:27], v[24:25]
	v_ldexp_f64 v[16:17], v[16:17], 1
	s_delay_alu instid0(VALU_DEP_2) | instskip(SKIP_1) | instid1(VALU_DEP_2)
	v_add_f64_e64 v[20:21], v[22:23], -v[26:27]
	v_mul_f64_e32 v[26:27], 0x3fe62e42fefa39ef, v[28:29]
	v_add_f64_e64 v[20:21], v[24:25], -v[20:21]
	s_delay_alu instid0(VALU_DEP_2) | instskip(SKIP_2) | instid1(VALU_DEP_4)
	v_fma_f64 v[24:25], v[28:29], s[0:1], -v[26:27]
	v_cmp_neq_f64_e64 s0, 0x7ff00000, v[18:19]
	v_cmp_ngt_f64_e64 s1, -1.0, v[18:19]
	v_add_f64_e32 v[16:17], v[16:17], v[20:21]
	s_delay_alu instid0(VALU_DEP_4) | instskip(SKIP_1) | instid1(VALU_DEP_1)
	v_fmamk_f64 v[20:21], v[28:29], 0x3c7abc9e3b39803f, v[24:25]
	s_and_b32 vcc_lo, vcc_lo, s0
	v_add_f64_e32 v[24:25], v[26:27], v[20:21]
	s_delay_alu instid0(VALU_DEP_3) | instskip(NEXT) | instid1(VALU_DEP_2)
	v_add_f64_e32 v[28:29], v[22:23], v[16:17]
	v_add_f64_e64 v[26:27], v[24:25], -v[26:27]
	s_delay_alu instid0(VALU_DEP_2) | instskip(SKIP_1) | instid1(VALU_DEP_3)
	v_add_f64_e32 v[30:31], v[24:25], v[28:29]
	v_add_f64_e64 v[22:23], v[28:29], -v[22:23]
	v_add_f64_e64 v[20:21], v[20:21], -v[26:27]
	s_delay_alu instid0(VALU_DEP_3) | instskip(NEXT) | instid1(VALU_DEP_3)
	v_add_f64_e64 v[32:33], v[30:31], -v[24:25]
	v_add_f64_e64 v[16:17], v[16:17], -v[22:23]
	s_delay_alu instid0(VALU_DEP_2) | instskip(NEXT) | instid1(VALU_DEP_2)
	v_add_f64_e64 v[34:35], v[30:31], -v[32:33]
	v_add_f64_e32 v[26:27], v[20:21], v[16:17]
	s_delay_alu instid0(VALU_DEP_2) | instskip(SKIP_1) | instid1(VALU_DEP_1)
	v_add_f64_e64 v[22:23], v[24:25], -v[34:35]
	v_add_f64_e64 v[24:25], v[28:29], -v[32:33]
	v_add_f64_e32 v[22:23], v[24:25], v[22:23]
	s_delay_alu instid0(VALU_DEP_4) | instskip(NEXT) | instid1(VALU_DEP_2)
	v_add_f64_e64 v[24:25], v[26:27], -v[20:21]
	v_add_f64_e32 v[22:23], v[26:27], v[22:23]
	s_delay_alu instid0(VALU_DEP_2) | instskip(SKIP_1) | instid1(VALU_DEP_3)
	v_add_f64_e64 v[26:27], v[26:27], -v[24:25]
	v_add_f64_e64 v[16:17], v[16:17], -v[24:25]
	v_add_f64_e32 v[28:29], v[30:31], v[22:23]
	s_delay_alu instid0(VALU_DEP_3) | instskip(NEXT) | instid1(VALU_DEP_2)
	v_add_f64_e64 v[20:21], v[20:21], -v[26:27]
	v_add_f64_e64 v[24:25], v[28:29], -v[30:31]
	s_delay_alu instid0(VALU_DEP_2) | instskip(NEXT) | instid1(VALU_DEP_2)
	v_add_f64_e32 v[16:17], v[16:17], v[20:21]
	v_add_f64_e64 v[20:21], v[22:23], -v[24:25]
	s_delay_alu instid0(VALU_DEP_1) | instskip(NEXT) | instid1(VALU_DEP_1)
	v_add_f64_e32 v[16:17], v[16:17], v[20:21]
	v_add_f64_e32 v[16:17], v[28:29], v[16:17]
	s_delay_alu instid0(VALU_DEP_1) | instskip(SKIP_1) | instid1(VALU_DEP_3)
	v_cndmask_b32_e32 v16, 0, v16, vcc_lo
	v_cmp_neq_f64_e32 vcc_lo, -1.0, v[18:19]
	v_cndmask_b32_e64 v17, 0x7ff00000, v17, s0
	s_delay_alu instid0(VALU_DEP_1) | instskip(NEXT) | instid1(VALU_DEP_1)
	v_cndmask_b32_e64 v17, 0x7ff80000, v17, s1
	v_cndmask_b32_e32 v17, 0xfff00000, v17, vcc_lo
.LBB54_23:
	s_and_not1_saveexec_b32 s0, s9
	s_cbranch_execz .LBB54_25
; %bb.24:
	v_add_f64_e64 v[16:17], -|v[0:1]|, 1.0
	s_delay_alu instid0(VALU_DEP_1) | instskip(NEXT) | instid1(VALU_DEP_1)
	v_mul_f64_e32 v[16:17], v[16:17], v[8:9]
	v_cmp_gt_f64_e32 vcc_lo, 0x10000000, v[16:17]
	v_cndmask_b32_e64 v18, 0, 0x100, vcc_lo
	s_delay_alu instid0(VALU_DEP_1) | instskip(NEXT) | instid1(VALU_DEP_1)
	v_ldexp_f64 v[16:17], v[16:17], v18
	v_rsq_f64_e32 v[18:19], v[16:17]
	v_nop
	s_delay_alu instid0(TRANS32_DEP_1) | instskip(SKIP_1) | instid1(VALU_DEP_1)
	v_mul_f64_e32 v[20:21], v[16:17], v[18:19]
	v_mul_f64_e32 v[18:19], 0.5, v[18:19]
	v_fma_f64 v[22:23], -v[18:19], v[20:21], 0.5
	s_delay_alu instid0(VALU_DEP_1) | instskip(SKIP_1) | instid1(VALU_DEP_2)
	v_fmac_f64_e32 v[20:21], v[20:21], v[22:23]
	v_fmac_f64_e32 v[18:19], v[18:19], v[22:23]
	v_fma_f64 v[22:23], -v[20:21], v[20:21], v[16:17]
	s_delay_alu instid0(VALU_DEP_1) | instskip(NEXT) | instid1(VALU_DEP_1)
	v_fmac_f64_e32 v[20:21], v[22:23], v[18:19]
	v_fma_f64 v[22:23], -v[20:21], v[20:21], v[16:17]
	s_delay_alu instid0(VALU_DEP_1) | instskip(SKIP_2) | instid1(VALU_DEP_2)
	v_fmac_f64_e32 v[20:21], v[22:23], v[18:19]
	v_cndmask_b32_e64 v18, 0, 0xffffff80, vcc_lo
	v_cmp_class_f64_e64 vcc_lo, v[16:17], 0x260
	v_ldexp_f64 v[18:19], v[20:21], v18
	v_dual_mov_b32 v20, v2 :: v_dual_mov_b32 v21, v13
	s_delay_alu instid0(VALU_DEP_2) | instskip(NEXT) | instid1(VALU_DEP_1)
	v_dual_cndmask_b32 v17, v19, v17 :: v_dual_cndmask_b32 v16, v18, v16
	v_div_scale_f64 v[18:19], null, v[16:17], v[16:17], v[20:21]
	v_div_scale_f64 v[20:21], vcc_lo, v[20:21], v[16:17], v[20:21]
	s_delay_alu instid0(VALU_DEP_2) | instskip(SKIP_1) | instid1(TRANS32_DEP_1)
	v_rcp_f64_e32 v[22:23], v[18:19]
	v_nop
	v_fma_f64 v[24:25], -v[18:19], v[22:23], 1.0
	s_delay_alu instid0(VALU_DEP_1) | instskip(NEXT) | instid1(VALU_DEP_1)
	v_fmac_f64_e32 v[22:23], v[22:23], v[24:25]
	v_fma_f64 v[24:25], -v[18:19], v[22:23], 1.0
	s_delay_alu instid0(VALU_DEP_1) | instskip(NEXT) | instid1(VALU_DEP_1)
	v_fmac_f64_e32 v[22:23], v[22:23], v[24:25]
	v_mul_f64_e32 v[24:25], v[20:21], v[22:23]
	s_delay_alu instid0(VALU_DEP_1) | instskip(NEXT) | instid1(VALU_DEP_1)
	v_fma_f64 v[18:19], -v[18:19], v[24:25], v[20:21]
	v_div_fmas_f64 v[18:19], v[18:19], v[22:23], v[24:25]
	s_delay_alu instid0(VALU_DEP_1)
	v_div_fixup_f64 v[16:17], v[18:19], v[16:17], |v[2:3]|
.LBB54_25:
	s_or_b32 exec_lo, exec_lo, s0
.LBB54_26:
	s_delay_alu instid0(SALU_CYCLE_1)
	s_or_b32 exec_lo, exec_lo, s8
.LBB54_27:
	s_and_not1_saveexec_b32 s0, s7
	s_cbranch_execz .LBB54_29
; %bb.28:
	v_cmp_gt_f64_e64 s1, 0x10000000, |v[2:3]|
	s_delay_alu instid0(VALU_DEP_1) | instskip(NEXT) | instid1(VALU_DEP_1)
	v_cndmask_b32_e64 v16, 0, 0x100, s1
	v_ldexp_f64 v[16:17], |v[2:3]|, v16
	s_delay_alu instid0(VALU_DEP_1) | instskip(SKIP_1) | instid1(TRANS32_DEP_1)
	v_rsq_f64_e32 v[18:19], v[16:17]
	v_cmp_class_f64_e64 vcc_lo, v[16:17], 0x260
	v_mul_f64_e32 v[20:21], v[16:17], v[18:19]
	v_mul_f64_e32 v[18:19], 0.5, v[18:19]
	s_delay_alu instid0(VALU_DEP_1) | instskip(NEXT) | instid1(VALU_DEP_1)
	v_fma_f64 v[22:23], -v[18:19], v[20:21], 0.5
	v_fmac_f64_e32 v[20:21], v[20:21], v[22:23]
	v_fmac_f64_e32 v[18:19], v[18:19], v[22:23]
	s_delay_alu instid0(VALU_DEP_2) | instskip(NEXT) | instid1(VALU_DEP_1)
	v_fma_f64 v[22:23], -v[20:21], v[20:21], v[16:17]
	v_fmac_f64_e32 v[20:21], v[22:23], v[18:19]
	s_delay_alu instid0(VALU_DEP_1) | instskip(NEXT) | instid1(VALU_DEP_1)
	v_fma_f64 v[22:23], -v[20:21], v[20:21], v[16:17]
	v_fmac_f64_e32 v[20:21], v[22:23], v[18:19]
	v_cndmask_b32_e64 v18, 0, 0xffffff80, s1
	s_delay_alu instid0(VALU_DEP_1) | instskip(NEXT) | instid1(VALU_DEP_1)
	v_ldexp_f64 v[18:19], v[20:21], v18
	v_dual_cndmask_b32 v17, v19, v17 :: v_dual_cndmask_b32 v16, v18, v16
.LBB54_29:
	s_or_b32 exec_lo, exec_lo, s0
.LBB54_30:
	s_delay_alu instid0(SALU_CYCLE_1) | instskip(SKIP_2) | instid1(SALU_CYCLE_1)
	s_or_b32 exec_lo, exec_lo, s6
	v_cmp_ngt_f64_e64 s1, 0x20200000, |v[0:1]|
                                        ; implicit-def: $sgpr0
                                        ; implicit-def: $vgpr18_vgpr19
                                        ; implicit-def: $vgpr22_vgpr23
                                        ; implicit-def: $vgpr20_vgpr21
	s_and_saveexec_b32 s6, s1
	s_xor_b32 s1, exec_lo, s6
	s_cbranch_execz .LBB54_54
; %bb.31:
	v_and_b32_e32 v21, 0x7fffffff, v1
	v_mov_b32_e32 v20, v0
	s_mov_b64 s[6:7], 0x3fe488ce703afb7f
	s_mov_b32 s0, 0
	s_delay_alu instid0(VALU_DEP_1) | instskip(NEXT) | instid1(VALU_DEP_1)
	v_div_scale_f64 v[18:19], null, v[6:7], v[6:7], v[20:21]
	v_rcp_f64_e32 v[22:23], v[18:19]
	v_nop
	s_delay_alu instid0(TRANS32_DEP_1) | instskip(NEXT) | instid1(VALU_DEP_1)
	v_fma_f64 v[24:25], -v[18:19], v[22:23], 1.0
	v_fmac_f64_e32 v[22:23], v[22:23], v[24:25]
	s_delay_alu instid0(VALU_DEP_1) | instskip(NEXT) | instid1(VALU_DEP_1)
	v_fma_f64 v[24:25], -v[18:19], v[22:23], 1.0
	v_fmac_f64_e32 v[22:23], v[22:23], v[24:25]
	v_div_scale_f64 v[24:25], vcc_lo, v[20:21], v[6:7], v[20:21]
	s_delay_alu instid0(VALU_DEP_1) | instskip(NEXT) | instid1(VALU_DEP_1)
	v_mul_f64_e32 v[26:27], v[24:25], v[22:23]
	v_fma_f64 v[18:19], -v[18:19], v[26:27], v[24:25]
	s_delay_alu instid0(VALU_DEP_1) | instskip(NEXT) | instid1(VALU_DEP_1)
	v_div_fmas_f64 v[18:19], v[18:19], v[22:23], v[26:27]
                                        ; implicit-def: $vgpr22_vgpr23
	v_div_fixup_f64 v[18:19], v[18:19], v[6:7], |v[0:1]|
	s_delay_alu instid0(VALU_DEP_1)
	v_cmp_lt_f64_e32 vcc_lo, s[6:7], v[18:19]
	s_and_saveexec_b32 s6, vcc_lo
	s_cbranch_execz .LBB54_53
; %bb.32:
	v_cmp_neq_f64_e64 s0, |v[0:1]|, 1.0
	v_cmp_ngt_f64_e64 s7, 0x3c400000, |v[2:3]|
                                        ; implicit-def: $vgpr22_vgpr23
	s_or_b32 s0, s0, s7
	s_delay_alu instid0(SALU_CYCLE_1) | instskip(NEXT) | instid1(SALU_CYCLE_1)
	s_and_saveexec_b32 s7, s0
	s_xor_b32 s0, exec_lo, s7
	s_cbranch_execz .LBB54_50
; %bb.33:
	v_ldexp_f64 v[22:23], |v[4:5]|, 0xffffffcc
	s_delay_alu instid0(VALU_DEP_1) | instskip(SKIP_1) | instid1(SALU_CYCLE_1)
	v_cmp_ge_f64_e64 s7, |v[2:3]|, v[22:23]
                                        ; implicit-def: $vgpr22_vgpr23
	s_and_saveexec_b32 s8, s7
	s_xor_b32 s7, exec_lo, s8
	s_cbranch_execz .LBB54_43
; %bb.34:
	v_mov_b64_e32 v[22:23], v[12:13]
	s_mov_b32 s8, exec_lo
	v_cmpx_neq_f64_e32 0, v[8:9]
	s_cbranch_execz .LBB54_36
; %bb.35:
	v_mul_f64_e32 v[22:23], v[2:3], v[2:3]
	v_add_f64_e32 v[8:9], v[8:9], v[14:15]
	s_delay_alu instid0(VALU_DEP_1) | instskip(NEXT) | instid1(VALU_DEP_1)
	v_div_scale_f64 v[14:15], null, v[8:9], v[8:9], v[22:23]
	v_rcp_f64_e32 v[24:25], v[14:15]
	v_nop
	s_delay_alu instid0(TRANS32_DEP_1) | instskip(NEXT) | instid1(VALU_DEP_1)
	v_fma_f64 v[26:27], -v[14:15], v[24:25], 1.0
	v_fmac_f64_e32 v[24:25], v[24:25], v[26:27]
	s_delay_alu instid0(VALU_DEP_1) | instskip(NEXT) | instid1(VALU_DEP_1)
	v_fma_f64 v[26:27], -v[14:15], v[24:25], 1.0
	v_fmac_f64_e32 v[24:25], v[24:25], v[26:27]
	v_div_scale_f64 v[26:27], vcc_lo, v[22:23], v[8:9], v[22:23]
	s_delay_alu instid0(VALU_DEP_1) | instskip(NEXT) | instid1(VALU_DEP_1)
	v_mul_f64_e32 v[28:29], v[26:27], v[24:25]
	v_fma_f64 v[14:15], -v[14:15], v[28:29], v[26:27]
	s_delay_alu instid0(VALU_DEP_1) | instskip(NEXT) | instid1(VALU_DEP_1)
	v_div_fmas_f64 v[14:15], v[14:15], v[24:25], v[28:29]
	v_div_fixup_f64 v[22:23], v[14:15], v[8:9], v[22:23]
.LBB54_36:
	s_or_b32 exec_lo, exec_lo, s8
	s_delay_alu instid0(SALU_CYCLE_1)
	s_mov_b32 s8, exec_lo
	v_cmpx_ngt_f64_e32 0, v[4:5]
	s_xor_b32 s8, exec_lo, s8
	s_cbranch_execz .LBB54_40
; %bb.37:
	s_mov_b32 s9, exec_lo
	v_cmpx_neq_f64_e32 0, v[4:5]
	s_cbranch_execz .LBB54_39
; %bb.38:
	v_mul_f64_e32 v[8:9], v[2:3], v[2:3]
	v_add_f64_e32 v[4:5], v[4:5], v[10:11]
	s_delay_alu instid0(VALU_DEP_1) | instskip(NEXT) | instid1(VALU_DEP_1)
	v_div_scale_f64 v[10:11], null, v[4:5], v[4:5], v[8:9]
	v_rcp_f64_e32 v[12:13], v[10:11]
	v_nop
	s_delay_alu instid0(TRANS32_DEP_1) | instskip(NEXT) | instid1(VALU_DEP_1)
	v_fma_f64 v[14:15], -v[10:11], v[12:13], 1.0
	v_fmac_f64_e32 v[12:13], v[12:13], v[14:15]
	s_delay_alu instid0(VALU_DEP_1) | instskip(NEXT) | instid1(VALU_DEP_1)
	v_fma_f64 v[14:15], -v[10:11], v[12:13], 1.0
	v_fmac_f64_e32 v[12:13], v[12:13], v[14:15]
	v_div_scale_f64 v[14:15], vcc_lo, v[8:9], v[4:5], v[8:9]
	s_delay_alu instid0(VALU_DEP_1) | instskip(NEXT) | instid1(VALU_DEP_1)
	v_mul_f64_e32 v[24:25], v[14:15], v[12:13]
	v_fma_f64 v[10:11], -v[10:11], v[24:25], v[14:15]
	s_delay_alu instid0(VALU_DEP_1) | instskip(NEXT) | instid1(VALU_DEP_1)
	v_div_fmas_f64 v[10:11], v[10:11], v[12:13], v[24:25]
	v_div_fixup_f64 v[12:13], v[10:11], v[4:5], v[8:9]
.LBB54_39:
	s_or_b32 exec_lo, exec_lo, s9
                                        ; implicit-def: $vgpr4_vgpr5
                                        ; implicit-def: $vgpr10_vgpr11
.LBB54_40:
	s_and_not1_saveexec_b32 s8, s8
; %bb.41:
	v_add_f64_e64 v[12:13], v[10:11], -v[4:5]
; %bb.42:
	s_or_b32 exec_lo, exec_lo, s8
	s_delay_alu instid0(VALU_DEP_1) | instskip(SKIP_1) | instid1(VALU_DEP_2)
	v_mul_f64_e32 v[4:5], 0.5, v[12:13]
	v_add_f64_e64 v[6:7], |v[0:1]|, v[6:7]
	v_fmac_f64_e32 v[4:5], 0.5, v[22:23]
	s_delay_alu instid0(VALU_DEP_1) | instskip(NEXT) | instid1(VALU_DEP_1)
	v_mul_f64_e32 v[4:5], v[6:7], v[4:5]
	v_cmp_gt_f64_e32 vcc_lo, 0x10000000, v[4:5]
	v_cndmask_b32_e64 v6, 0, 0x100, vcc_lo
	s_delay_alu instid0(VALU_DEP_1) | instskip(NEXT) | instid1(VALU_DEP_1)
	v_ldexp_f64 v[4:5], v[4:5], v6
	v_rsq_f64_e32 v[6:7], v[4:5]
	v_nop
	s_delay_alu instid0(TRANS32_DEP_1) | instskip(SKIP_1) | instid1(VALU_DEP_1)
	v_mul_f64_e32 v[8:9], v[4:5], v[6:7]
	v_mul_f64_e32 v[6:7], 0.5, v[6:7]
	v_fma_f64 v[10:11], -v[6:7], v[8:9], 0.5
	s_delay_alu instid0(VALU_DEP_1) | instskip(SKIP_1) | instid1(VALU_DEP_2)
	v_fmac_f64_e32 v[8:9], v[8:9], v[10:11]
	v_fmac_f64_e32 v[6:7], v[6:7], v[10:11]
	v_fma_f64 v[10:11], -v[8:9], v[8:9], v[4:5]
	s_delay_alu instid0(VALU_DEP_1) | instskip(NEXT) | instid1(VALU_DEP_1)
	v_fmac_f64_e32 v[8:9], v[10:11], v[6:7]
	v_fma_f64 v[10:11], -v[8:9], v[8:9], v[4:5]
	s_delay_alu instid0(VALU_DEP_1) | instskip(SKIP_2) | instid1(VALU_DEP_2)
	v_fmac_f64_e32 v[8:9], v[10:11], v[6:7]
	v_cndmask_b32_e64 v6, 0, 0xffffff80, vcc_lo
	v_cmp_class_f64_e64 vcc_lo, v[4:5], 0x260
	v_ldexp_f64 v[6:7], v[8:9], v6
                                        ; implicit-def: $vgpr8_vgpr9
	s_delay_alu instid0(VALU_DEP_1)
	v_dual_cndmask_b32 v23, v7, v5 :: v_dual_cndmask_b32 v22, v6, v4
                                        ; implicit-def: $vgpr4_vgpr5
.LBB54_43:
	s_and_not1_saveexec_b32 s7, s7
	s_cbranch_execz .LBB54_49
; %bb.44:
	v_cmp_ngt_f64_e64 s8, |v[0:1]|, 1.0
                                        ; implicit-def: $vgpr22_vgpr23
	s_and_saveexec_b32 s9, s8
	s_delay_alu instid0(SALU_CYCLE_1)
	s_xor_b32 s8, exec_lo, s9
	s_cbranch_execz .LBB54_46
; %bb.45:
	v_add_f64_e64 v[4:5], -|v[0:1]|, 1.0
	s_delay_alu instid0(VALU_DEP_1) | instskip(NEXT) | instid1(VALU_DEP_1)
	v_mul_f64_e32 v[4:5], v[4:5], v[8:9]
	v_cmp_gt_f64_e32 vcc_lo, 0x10000000, v[4:5]
	v_cndmask_b32_e64 v6, 0, 0x100, vcc_lo
	s_delay_alu instid0(VALU_DEP_1) | instskip(NEXT) | instid1(VALU_DEP_1)
	v_ldexp_f64 v[4:5], v[4:5], v6
	v_rsq_f64_e32 v[6:7], v[4:5]
	v_nop
	s_delay_alu instid0(TRANS32_DEP_1) | instskip(SKIP_1) | instid1(VALU_DEP_1)
	v_mul_f64_e32 v[8:9], v[4:5], v[6:7]
	v_mul_f64_e32 v[6:7], 0.5, v[6:7]
	v_fma_f64 v[10:11], -v[6:7], v[8:9], 0.5
	s_delay_alu instid0(VALU_DEP_1) | instskip(SKIP_1) | instid1(VALU_DEP_2)
	v_fmac_f64_e32 v[8:9], v[8:9], v[10:11]
	v_fmac_f64_e32 v[6:7], v[6:7], v[10:11]
	v_fma_f64 v[10:11], -v[8:9], v[8:9], v[4:5]
	s_delay_alu instid0(VALU_DEP_1) | instskip(NEXT) | instid1(VALU_DEP_1)
	v_fmac_f64_e32 v[8:9], v[10:11], v[6:7]
	v_fma_f64 v[10:11], -v[8:9], v[8:9], v[4:5]
	s_delay_alu instid0(VALU_DEP_1) | instskip(SKIP_2) | instid1(VALU_DEP_2)
	v_fmac_f64_e32 v[8:9], v[10:11], v[6:7]
	v_cndmask_b32_e64 v6, 0, 0xffffff80, vcc_lo
	v_cmp_class_f64_e64 vcc_lo, v[4:5], 0x260
	v_ldexp_f64 v[6:7], v[8:9], v6
                                        ; implicit-def: $vgpr8_vgpr9
	s_delay_alu instid0(VALU_DEP_1)
	v_dual_cndmask_b32 v23, v7, v5 :: v_dual_cndmask_b32 v22, v6, v4
                                        ; implicit-def: $vgpr4_vgpr5
.LBB54_46:
	s_and_not1_saveexec_b32 s8, s8
	s_cbranch_execz .LBB54_48
; %bb.47:
	v_mul_f64_e32 v[4:5], v[8:9], v[4:5]
	v_ldexp_f64 v[20:21], |v[0:1]|, 0x6a
	s_delay_alu instid0(VALU_DEP_2) | instskip(SKIP_1) | instid1(VALU_DEP_1)
	v_cmp_gt_f64_e32 vcc_lo, 0x10000000, v[4:5]
	v_cndmask_b32_e64 v6, 0, 0x100, vcc_lo
	v_ldexp_f64 v[4:5], v[4:5], v6
	s_delay_alu instid0(VALU_DEP_1) | instskip(SKIP_1) | instid1(TRANS32_DEP_1)
	v_rsq_f64_e32 v[6:7], v[4:5]
	v_nop
	v_mul_f64_e32 v[8:9], v[4:5], v[6:7]
	v_mul_f64_e32 v[6:7], 0.5, v[6:7]
	s_delay_alu instid0(VALU_DEP_1) | instskip(NEXT) | instid1(VALU_DEP_1)
	v_fma_f64 v[10:11], -v[6:7], v[8:9], 0.5
	v_fmac_f64_e32 v[8:9], v[8:9], v[10:11]
	v_fmac_f64_e32 v[6:7], v[6:7], v[10:11]
	s_delay_alu instid0(VALU_DEP_2) | instskip(NEXT) | instid1(VALU_DEP_1)
	v_fma_f64 v[10:11], -v[8:9], v[8:9], v[4:5]
	v_fmac_f64_e32 v[8:9], v[10:11], v[6:7]
	s_delay_alu instid0(VALU_DEP_1) | instskip(NEXT) | instid1(VALU_DEP_1)
	v_fma_f64 v[10:11], -v[8:9], v[8:9], v[4:5]
	v_fmac_f64_e32 v[8:9], v[10:11], v[6:7]
	v_ldexp_f64 v[6:7], |v[2:3]|, 0x6a
	v_cndmask_b32_e64 v10, 0, 0xffffff80, vcc_lo
	v_cmp_class_f64_e64 vcc_lo, v[4:5], 0x260
	s_delay_alu instid0(VALU_DEP_2) | instskip(NEXT) | instid1(VALU_DEP_4)
	v_ldexp_f64 v[8:9], v[8:9], v10
	v_mul_f64_e64 v[6:7], |v[0:1]|, v[6:7]
	s_delay_alu instid0(VALU_DEP_2) | instskip(NEXT) | instid1(VALU_DEP_1)
	v_dual_cndmask_b32 v5, v9, v5 :: v_dual_cndmask_b32 v4, v8, v4
	v_div_scale_f64 v[8:9], null, v[4:5], v[4:5], v[6:7]
	v_div_scale_f64 v[14:15], vcc_lo, v[6:7], v[4:5], v[6:7]
	s_delay_alu instid0(VALU_DEP_2) | instskip(SKIP_1) | instid1(TRANS32_DEP_1)
	v_rcp_f64_e32 v[10:11], v[8:9]
	v_nop
	v_fma_f64 v[12:13], -v[8:9], v[10:11], 1.0
	s_delay_alu instid0(VALU_DEP_1) | instskip(NEXT) | instid1(VALU_DEP_1)
	v_fmac_f64_e32 v[10:11], v[10:11], v[12:13]
	v_fma_f64 v[12:13], -v[8:9], v[10:11], 1.0
	s_delay_alu instid0(VALU_DEP_1) | instskip(NEXT) | instid1(VALU_DEP_1)
	v_fmac_f64_e32 v[10:11], v[10:11], v[12:13]
	v_mul_f64_e32 v[12:13], v[14:15], v[10:11]
	s_delay_alu instid0(VALU_DEP_1) | instskip(NEXT) | instid1(VALU_DEP_1)
	v_fma_f64 v[8:9], -v[8:9], v[12:13], v[14:15]
	v_div_fmas_f64 v[8:9], v[8:9], v[10:11], v[12:13]
	s_delay_alu instid0(VALU_DEP_1)
	v_div_fixup_f64 v[22:23], v[8:9], v[4:5], v[6:7]
.LBB54_48:
	s_or_b32 exec_lo, exec_lo, s8
.LBB54_49:
	s_delay_alu instid0(SALU_CYCLE_1)
	s_or_b32 exec_lo, exec_lo, s7
                                        ; implicit-def: $vgpr6_vgpr7
.LBB54_50:
	s_and_not1_saveexec_b32 s7, s0
	s_cbranch_execz .LBB54_52
; %bb.51:
	v_cmp_gt_f64_e64 s0, 0x10000000, |v[2:3]|
	v_add_f64_e32 v[4:5], 1.0, v[6:7]
	s_delay_alu instid0(VALU_DEP_2) | instskip(NEXT) | instid1(VALU_DEP_1)
	v_cndmask_b32_e64 v6, 0, 0x100, s0
	v_ldexp_f64 v[6:7], |v[2:3]|, v6
	s_delay_alu instid0(VALU_DEP_3) | instskip(SKIP_1) | instid1(VALU_DEP_2)
	v_mul_f64_e32 v[4:5], 0.5, v[4:5]
	v_cndmask_b32_e64 v2, 0, 0xffffff80, s0
	v_cmp_gt_f64_e32 vcc_lo, 0x10000000, v[4:5]
	v_cndmask_b32_e64 v8, 0, 0x100, vcc_lo
	s_delay_alu instid0(VALU_DEP_1) | instskip(SKIP_1) | instid1(VALU_DEP_1)
	v_ldexp_f64 v[4:5], v[4:5], v8
	v_rsq_f64_e32 v[8:9], v[6:7]
	v_rsq_f64_e32 v[10:11], v[4:5]
	v_cmp_class_f64_e64 s0, v[4:5], 0x260
	s_delay_alu instid0(TRANS32_DEP_1) | instskip(SKIP_1) | instid1(VALU_DEP_1)
	v_mul_f64_e32 v[14:15], v[4:5], v[10:11]
	v_mul_f64_e32 v[10:11], 0.5, v[10:11]
	v_fma_f64 v[22:23], -v[10:11], v[14:15], 0.5
	s_delay_alu instid0(VALU_DEP_1) | instskip(SKIP_1) | instid1(VALU_DEP_2)
	v_fmac_f64_e32 v[14:15], v[14:15], v[22:23]
	v_fmac_f64_e32 v[10:11], v[10:11], v[22:23]
	v_fma_f64 v[22:23], -v[14:15], v[14:15], v[4:5]
	s_delay_alu instid0(VALU_DEP_1) | instskip(NEXT) | instid1(VALU_DEP_1)
	v_fmac_f64_e32 v[14:15], v[22:23], v[10:11]
	v_fma_f64 v[22:23], -v[14:15], v[14:15], v[4:5]
	s_delay_alu instid0(VALU_DEP_1) | instskip(SKIP_2) | instid1(TRANS32_DEP_2)
	v_fmac_f64_e32 v[14:15], v[22:23], v[10:11]
	v_cndmask_b32_e64 v10, 0, 0xffffff80, vcc_lo
	v_cmp_class_f64_e64 vcc_lo, v[6:7], 0x260
	v_mul_f64_e32 v[12:13], v[6:7], v[8:9]
	v_mul_f64_e32 v[8:9], 0.5, v[8:9]
	s_delay_alu instid0(VALU_DEP_4) | instskip(NEXT) | instid1(VALU_DEP_2)
	v_ldexp_f64 v[10:11], v[14:15], v10
	v_fma_f64 v[20:21], -v[8:9], v[12:13], 0.5
	s_delay_alu instid0(VALU_DEP_2) | instskip(NEXT) | instid1(VALU_DEP_2)
	v_dual_cndmask_b32 v5, v11, v5, s0 :: v_dual_cndmask_b32 v4, v10, v4, s0
	v_fmac_f64_e32 v[12:13], v[12:13], v[20:21]
	v_fmac_f64_e32 v[8:9], v[8:9], v[20:21]
	s_delay_alu instid0(VALU_DEP_2) | instskip(NEXT) | instid1(VALU_DEP_1)
	v_fma_f64 v[20:21], -v[12:13], v[12:13], v[6:7]
	v_fmac_f64_e32 v[12:13], v[20:21], v[8:9]
	s_delay_alu instid0(VALU_DEP_1) | instskip(NEXT) | instid1(VALU_DEP_1)
	v_fma_f64 v[20:21], -v[12:13], v[12:13], v[6:7]
	v_fmac_f64_e32 v[12:13], v[20:21], v[8:9]
	v_mov_b64_e32 v[20:21], 1.0
	s_delay_alu instid0(VALU_DEP_2) | instskip(NEXT) | instid1(VALU_DEP_1)
	v_ldexp_f64 v[8:9], v[12:13], v2
	v_dual_cndmask_b32 v7, v9, v7 :: v_dual_cndmask_b32 v6, v8, v6
	s_delay_alu instid0(VALU_DEP_1)
	v_mul_f64_e32 v[22:23], v[6:7], v[4:5]
.LBB54_52:
	s_or_b32 exec_lo, exec_lo, s7
	s_delay_alu instid0(SALU_CYCLE_1)
	s_mov_b32 s0, exec_lo
.LBB54_53:
	s_or_b32 exec_lo, exec_lo, s6
                                        ; implicit-def: $vgpr6_vgpr7
.LBB54_54:
	s_and_not1_saveexec_b32 s1, s1
	s_cbranch_execz .LBB54_56
; %bb.55:
	v_ldexp_f64 v[22:23], v[6:7], 53
	v_ldexp_f64 v[20:21], |v[0:1]|, 53
	s_or_b32 s0, s0, exec_lo
                                        ; implicit-def: $vgpr18_vgpr19
.LBB54_56:
	s_or_b32 exec_lo, exec_lo, s1
	s_xor_b32 s0, s0, -1
                                        ; implicit-def: $vgpr6_vgpr7
	s_delay_alu instid0(SALU_CYCLE_1) | instskip(NEXT) | instid1(SALU_CYCLE_1)
	s_and_saveexec_b32 s1, s0
	s_xor_b32 s0, exec_lo, s1
	s_cbranch_execz .LBB54_60
; %bb.57:
	v_fma_f64 v[8:9], |v[18:19]|, -0.5, 0.5
	v_mul_f64_e32 v[4:5], v[18:19], v[18:19]
	v_cmp_ge_f64_e64 vcc_lo, |v[18:19]|, 0.5
	s_mov_b64 s[6:7], 0x3fa059859fea6a70
	v_dual_cndmask_b32 v5, v5, v9 :: v_dual_cndmask_b32 v4, v4, v8
	s_delay_alu instid0(VALU_DEP_1) | instskip(NEXT) | instid1(VALU_DEP_1)
	v_fmaak_f64 v[6:7], s[6:7], v[4:5], 0xbf90a5a378a05eaf
	v_fmaak_f64 v[6:7], v[4:5], v[6:7], 0x3f94052137024d6a
	s_delay_alu instid0(VALU_DEP_1) | instskip(NEXT) | instid1(VALU_DEP_1)
	v_fmaak_f64 v[6:7], v[4:5], v[6:7], 0x3f7ab3a098a70509
	v_fmaak_f64 v[6:7], v[4:5], v[6:7], 0x3f88ed60a300c8d2
	;; [unrolled: 3-line block ×5, first 2 shown]
	s_delay_alu instid0(VALU_DEP_1) | instskip(NEXT) | instid1(VALU_DEP_1)
	v_fmaak_f64 v[6:7], v[4:5], v[6:7], 0x3fc5555555555380
	v_mul_f64_e32 v[4:5], v[4:5], v[6:7]
	s_delay_alu instid0(VALU_DEP_1)
	v_fma_f64 v[6:7], |v[18:19]|, v[4:5], |v[18:19]|
	s_and_saveexec_b32 s1, vcc_lo
	s_cbranch_execz .LBB54_59
; %bb.58:
	v_rsq_f64_e32 v[6:7], v[8:9]
	v_cmp_eq_f64_e32 vcc_lo, 0, v[8:9]
	s_mov_b64 s[6:7], 0x3fe921fb54442d18
	s_delay_alu instid0(TRANS32_DEP_1) | instskip(SKIP_1) | instid1(VALU_DEP_1)
	v_mul_f64_e32 v[10:11], v[8:9], v[6:7]
	v_mul_f64_e32 v[6:7], 0.5, v[6:7]
	v_fma_f64 v[12:13], -v[6:7], v[10:11], 0.5
	s_delay_alu instid0(VALU_DEP_1) | instskip(SKIP_1) | instid1(VALU_DEP_2)
	v_fmac_f64_e32 v[10:11], v[10:11], v[12:13]
	v_fmac_f64_e32 v[6:7], v[6:7], v[12:13]
	v_fma_f64 v[12:13], -v[10:11], v[10:11], v[8:9]
	s_delay_alu instid0(VALU_DEP_1) | instskip(NEXT) | instid1(VALU_DEP_1)
	v_fmac_f64_e32 v[10:11], v[12:13], v[6:7]
	v_dual_cndmask_b32 v7, v11, v9 :: v_dual_cndmask_b32 v6, v10, v8
	s_delay_alu instid0(VALU_DEP_1) | instskip(SKIP_1) | instid1(VALU_DEP_2)
	v_add_f64_e32 v[10:11], v[6:7], v[6:7]
	v_mul_f64_e32 v[12:13], v[6:7], v[6:7]
	v_rcp_f64_e32 v[14:15], v[10:11]
	s_delay_alu instid0(VALU_DEP_1) | instskip(SKIP_1) | instid1(VALU_DEP_2)
	v_add_f64_e64 v[20:21], v[8:9], -v[12:13]
	v_fma_f64 v[24:25], v[6:7], v[6:7], -v[12:13]
	v_add_f64_e64 v[8:9], v[8:9], -v[20:21]
	s_delay_alu instid0(TRANS32_DEP_1) | instskip(NEXT) | instid1(VALU_DEP_2)
	v_fma_f64 v[22:23], -v[10:11], v[14:15], 1.0
	v_add_f64_e64 v[8:9], v[8:9], -v[12:13]
	s_delay_alu instid0(VALU_DEP_2) | instskip(NEXT) | instid1(VALU_DEP_2)
	v_fmac_f64_e32 v[14:15], v[22:23], v[14:15]
	v_add_f64_e64 v[8:9], v[8:9], -v[24:25]
	s_delay_alu instid0(VALU_DEP_2) | instskip(NEXT) | instid1(VALU_DEP_2)
	v_fma_f64 v[12:13], -v[10:11], v[14:15], 1.0
	v_add_f64_e32 v[8:9], v[20:21], v[8:9]
	s_delay_alu instid0(VALU_DEP_2) | instskip(NEXT) | instid1(VALU_DEP_1)
	v_fmac_f64_e32 v[14:15], v[12:13], v[14:15]
	v_mul_f64_e32 v[12:13], v[8:9], v[14:15]
	s_delay_alu instid0(VALU_DEP_1) | instskip(NEXT) | instid1(VALU_DEP_1)
	v_fma_f64 v[8:9], -v[10:11], v[12:13], v[8:9]
	v_fmac_f64_e32 v[12:13], v[8:9], v[14:15]
	s_delay_alu instid0(VALU_DEP_1) | instskip(NEXT) | instid1(VALU_DEP_2)
	v_cndmask_b32_e64 v9, v13, 0, vcc_lo
	v_cndmask_b32_e64 v8, v12, 0, vcc_lo
	v_cmp_neq_f64_e64 vcc_lo, |v[18:19]|, 1.0
	s_delay_alu instid0(VALU_DEP_2) | instskip(NEXT) | instid1(VALU_DEP_1)
	v_add_f64_e32 v[10:11], v[6:7], v[8:9]
	v_add_f64_e64 v[6:7], v[10:11], -v[6:7]
	v_mul_f64_e32 v[12:13], v[4:5], v[10:11]
	s_delay_alu instid0(VALU_DEP_2) | instskip(NEXT) | instid1(VALU_DEP_2)
	v_add_f64_e64 v[6:7], v[8:9], -v[6:7]
	v_fma_f64 v[8:9], v[10:11], v[4:5], -v[12:13]
	s_delay_alu instid0(VALU_DEP_1) | instskip(NEXT) | instid1(VALU_DEP_1)
	v_fmac_f64_e32 v[8:9], v[6:7], v[4:5]
	v_add_f64_e32 v[4:5], v[12:13], v[8:9]
	s_delay_alu instid0(VALU_DEP_1) | instskip(SKIP_1) | instid1(VALU_DEP_2)
	v_add_f64_e32 v[14:15], v[10:11], v[4:5]
	v_add_f64_e64 v[12:13], v[4:5], -v[12:13]
	v_add_f64_e64 v[10:11], v[14:15], -v[10:11]
	s_delay_alu instid0(VALU_DEP_2) | instskip(NEXT) | instid1(VALU_DEP_2)
	v_add_f64_e64 v[8:9], v[8:9], -v[12:13]
	v_add_f64_e64 v[4:5], v[4:5], -v[10:11]
	s_delay_alu instid0(VALU_DEP_2) | instskip(NEXT) | instid1(VALU_DEP_1)
	v_add_f64_e32 v[6:7], v[6:7], v[8:9]
	v_add_f64_e32 v[4:5], v[6:7], v[4:5]
	s_delay_alu instid0(VALU_DEP_1) | instskip(NEXT) | instid1(VALU_DEP_1)
	v_add_f64_e32 v[6:7], v[14:15], v[4:5]
	v_add_f64_e64 v[8:9], -v[6:7], s[6:7]
	v_add_f64_e64 v[12:13], v[6:7], -v[14:15]
	s_delay_alu instid0(VALU_DEP_2) | instskip(NEXT) | instid1(VALU_DEP_2)
	v_add_f64_e64 v[10:11], -v[8:9], s[6:7]
	v_add_f64_e64 v[4:5], v[12:13], -v[4:5]
	s_delay_alu instid0(VALU_DEP_2) | instskip(NEXT) | instid1(VALU_DEP_1)
	v_add_f64_e64 v[6:7], v[10:11], -v[6:7]
	v_add_f64_e32 v[6:7], 0x3c81a62633145c07, v[6:7]
	s_delay_alu instid0(VALU_DEP_1) | instskip(NEXT) | instid1(VALU_DEP_1)
	v_add_f64_e32 v[4:5], v[4:5], v[6:7]
	v_add_f64_e32 v[4:5], v[8:9], v[4:5]
	s_delay_alu instid0(VALU_DEP_1) | instskip(NEXT) | instid1(VALU_DEP_1)
	v_add_f64_e32 v[4:5], v[4:5], v[4:5]
	v_cndmask_b32_e32 v7, 0x3ff921fb, v5, vcc_lo
	s_delay_alu instid0(VALU_DEP_2)
	v_cndmask_b32_e32 v6, 0x54442d18, v4, vcc_lo
.LBB54_59:
	s_or_b32 exec_lo, exec_lo, s1
	s_delay_alu instid0(VALU_DEP_1)
	v_bfi_b32 v7, 0x7fffffff, v7, v19
                                        ; implicit-def: $vgpr20_vgpr21
                                        ; implicit-def: $vgpr22_vgpr23
.LBB54_60:
	s_and_not1_saveexec_b32 s6, s0
	s_cbranch_execz .LBB54_62
; %bb.61:
	s_delay_alu instid0(VALU_DEP_1) | instskip(NEXT) | instid1(VALU_DEP_2)
	v_dual_max_num_f64 v[4:5], v[20:21], v[20:21] :: v_dual_ashrrev_i32 v2, 31, v23
	v_max_num_f64_e64 v[6:7], |v[22:23]|, |v[22:23]|
	s_mov_b64 s[0:1], 0x3eeba404b5e68a13
	v_cmp_class_f64_e64 s7, v[22:23], 0x204
	v_mov_b32_e32 v0, 0x4002d97c
	s_delay_alu instid0(VALU_DEP_3) | instskip(SKIP_1) | instid1(VALU_DEP_1)
	v_max_num_f64_e32 v[8:9], v[6:7], v[4:5]
	v_min_num_f64_e32 v[4:5], v[6:7], v[4:5]
	v_div_scale_f64 v[6:7], null, v[8:9], v[8:9], v[4:5]
	v_div_scale_f64 v[14:15], vcc_lo, v[4:5], v[8:9], v[4:5]
	s_delay_alu instid0(VALU_DEP_2) | instskip(SKIP_1) | instid1(TRANS32_DEP_1)
	v_rcp_f64_e32 v[10:11], v[6:7]
	v_nop
	v_fma_f64 v[12:13], -v[6:7], v[10:11], 1.0
	s_delay_alu instid0(VALU_DEP_1) | instskip(NEXT) | instid1(VALU_DEP_1)
	v_fmac_f64_e32 v[10:11], v[10:11], v[12:13]
	v_fma_f64 v[12:13], -v[6:7], v[10:11], 1.0
	s_delay_alu instid0(VALU_DEP_1) | instskip(NEXT) | instid1(VALU_DEP_1)
	v_fmac_f64_e32 v[10:11], v[10:11], v[12:13]
	v_mul_f64_e32 v[12:13], v[14:15], v[10:11]
	s_delay_alu instid0(VALU_DEP_1) | instskip(NEXT) | instid1(VALU_DEP_1)
	v_fma_f64 v[6:7], -v[6:7], v[12:13], v[14:15]
	v_div_fmas_f64 v[6:7], v[6:7], v[10:11], v[12:13]
	v_cmp_lt_f64_e64 vcc_lo, |v[22:23]|, v[20:21]
	s_delay_alu instid0(VALU_DEP_2) | instskip(NEXT) | instid1(VALU_DEP_1)
	v_div_fixup_f64 v[4:5], v[6:7], v[8:9], v[4:5]
	v_mul_f64_e32 v[6:7], v[4:5], v[4:5]
	s_delay_alu instid0(VALU_DEP_1) | instskip(SKIP_1) | instid1(VALU_DEP_1)
	v_fmaak_f64 v[8:9], s[0:1], v[6:7], 0xbf23e260bd3237f4
	s_mov_b64 s[0:1], 0x3ff921fb54442d18
	v_fmaak_f64 v[8:9], v[6:7], v[8:9], 0x3f4b2bb069efb384
	s_delay_alu instid0(VALU_DEP_1) | instskip(NEXT) | instid1(VALU_DEP_1)
	v_fmaak_f64 v[8:9], v[6:7], v[8:9], 0xbf67952daf56de9b
	v_fmaak_f64 v[8:9], v[6:7], v[8:9], 0x3f7d6d43a595c56f
	s_delay_alu instid0(VALU_DEP_1) | instskip(NEXT) | instid1(VALU_DEP_1)
	v_fmaak_f64 v[8:9], v[6:7], v[8:9], 0xbf8c6ea4a57d9582
	;; [unrolled: 3-line block ×9, first 2 shown]
	v_mul_f64_e32 v[6:7], v[6:7], v[8:9]
	v_mov_b32_e32 v8, 0x7f3321d2
	s_delay_alu instid0(VALU_DEP_2) | instskip(NEXT) | instid1(VALU_DEP_1)
	v_fmac_f64_e32 v[4:5], v[4:5], v[6:7]
	v_add_f64_e64 v[6:7], -v[4:5], s[0:1]
	s_mov_b64 s[0:1], 0x400921fb54442d18
	s_delay_alu instid0(VALU_DEP_1) | instskip(SKIP_1) | instid1(VALU_DEP_2)
	v_dual_cndmask_b32 v5, v5, v7 :: v_dual_cndmask_b32 v4, v4, v6
	v_cmp_gt_i32_e32 vcc_lo, 0, v23
	v_add_f64_e64 v[6:7], -v[4:5], s[0:1]
	v_cmp_eq_f64_e64 s0, 0, v[20:21]
	v_cmp_eq_f64_e64 s1, 0x7ff00000, v[20:21]
	v_cndmask_b32_e32 v0, 0x3fe921fb, v0, vcc_lo
	s_delay_alu instid0(VALU_DEP_4) | instskip(SKIP_2) | instid1(VALU_DEP_3)
	v_cndmask_b32_e32 v5, v5, v7, vcc_lo
	v_and_b32_e32 v7, 0x400921fb, v2
	v_and_b32_e32 v2, 0x54442d18, v2
	;; [unrolled: 1-line block ×3, first 2 shown]
	v_cndmask_b32_e32 v4, v4, v6, vcc_lo
	v_cndmask_b32_e32 v6, 0x54442d18, v8, vcc_lo
	s_and_b32 vcc_lo, s1, s7
	s_delay_alu instid0(VALU_DEP_2) | instskip(NEXT) | instid1(VALU_DEP_1)
	v_dual_cndmask_b32 v5, v5, v7, s0 :: v_dual_cndmask_b32 v2, v4, v2, s0
	v_dual_cndmask_b32 v0, v5, v0, vcc_lo :: v_dual_cndmask_b32 v2, v2, v6, vcc_lo
	v_cmp_o_f64_e32 vcc_lo, v[22:23], v[22:23]
	s_delay_alu instid0(VALU_DEP_2) | instskip(NEXT) | instid1(VALU_DEP_3)
	v_cndmask_b32_e32 v7, 0x7ff80000, v0, vcc_lo
	v_cndmask_b32_e32 v6, 0, v2, vcc_lo
.LBB54_62:
	s_or_b32 exec_lo, exec_lo, s6
	s_delay_alu instid0(VALU_DEP_1) | instskip(SKIP_1) | instid1(VALU_DEP_2)
	v_bfi_b32 v7, 0x7fffffff, v7, v1
	v_bfi_b32 v17, 0x7fffffff, v17, v3
	v_mov_b64_e32 v[0:1], v[6:7]
	s_delay_alu instid0(VALU_DEP_2)
	v_mov_b64_e32 v[2:3], v[16:17]
.LBB54_63:
	s_or_b32 exec_lo, exec_lo, s5
.LBB54_64:
	s_delay_alu instid0(SALU_CYCLE_1)
	s_or_b32 exec_lo, exec_lo, s4
                                        ; implicit-def: $vgpr4_vgpr5
                                        ; implicit-def: $vgpr10_vgpr11
                                        ; implicit-def: $vgpr6_vgpr7
.LBB54_65:
	s_and_not1_saveexec_b32 s3, s3
	s_cbranch_execz .LBB54_87
; %bb.66:
	s_delay_alu instid0(VALU_DEP_2)
	v_and_b32_e32 v16, 0x7fffffff, v1
                                        ; implicit-def: $vgpr12_vgpr13
                                        ; implicit-def: $vgpr8_vgpr9
	s_mov_b32 s0, exec_lo
	v_cmpx_lt_i64_e32 -1, v[2:3]
	s_xor_b32 s4, exec_lo, s0
	s_cbranch_execz .LBB54_76
; %bb.67:
	v_cmp_lt_f64_e64 s0, |v[2:3]|, |v[0:1]|
	v_and_b32_e32 v17, 0x7fffffff, v3
	s_mov_b64 s[6:7], 0x7fdfffffffffffff
                                        ; implicit-def: $sgpr5
                                        ; implicit-def: $vgpr8_vgpr9
                                        ; implicit-def: $vgpr12_vgpr13
	s_mov_b32 s1, exec_lo
	s_delay_alu instid0(VALU_DEP_1) | instskip(SKIP_1) | instid1(VALU_DEP_1)
	v_cndmask_b32_e64 v15, v17, v16, s0
	v_cndmask_b32_e64 v14, v2, v0, s0
	v_cmpx_nlt_f64_e32 s[6:7], v[14:15]
	s_xor_b32 s6, exec_lo, s1
	s_cbranch_execz .LBB54_73
; %bb.68:
	v_cndmask_b32_e64 v17, v16, v17, s0
	v_cndmask_b32_e64 v16, v0, v2, s0
	v_cmp_nlt_f64_e32 vcc_lo, 0x20200000, v[14:15]
                                        ; implicit-def: $sgpr5
                                        ; implicit-def: $vgpr8_vgpr9
                                        ; implicit-def: $vgpr12_vgpr13
	s_delay_alu instid0(VALU_DEP_2) | instskip(SKIP_1) | instid1(SALU_CYCLE_1)
	v_cmp_ngt_f64_e64 s1, 0x20000000, v[16:17]
	s_and_b32 s1, vcc_lo, s1
	s_and_saveexec_b32 s7, s1
	s_delay_alu instid0(SALU_CYCLE_1)
	s_xor_b32 s1, exec_lo, s7
	s_cbranch_execz .LBB54_70
; %bb.69:
	v_mul_f64_e32 v[8:9], v[16:17], v[16:17]
	s_mov_b64 s[8:9], 0x3fe5555555555555
	s_wait_dscnt 0x0
	v_min_num_f64_e32 v[4:5], v[10:11], v[4:5]
	v_cmp_class_f64_e64 s5, v[0:1], 0x204
	v_cmp_class_f64_e64 s7, v[2:3], 0x204
	s_delay_alu instid0(VALU_DEP_4) | instskip(SKIP_1) | instid1(VALU_DEP_1)
	v_fmac_f64_e32 v[8:9], v[14:15], v[14:15]
	s_and_b32 s5, s5, s7
	v_frexp_mant_f64_e32 v[12:13], v[8:9]
	s_delay_alu instid0(VALU_DEP_1) | instskip(SKIP_2) | instid1(VALU_DEP_1)
	v_cmp_gt_f64_e32 vcc_lo, s[8:9], v[12:13]
	s_mov_b64 s[8:9], 0x3fc3ab76bf559e2b
	v_cndmask_b32_e64 v14, 0, 1, vcc_lo
	v_ldexp_f64 v[12:13], v[12:13], v14
	s_delay_alu instid0(VALU_DEP_1) | instskip(SKIP_1) | instid1(VALU_DEP_2)
	v_add_f64_e32 v[14:15], 1.0, v[12:13]
	v_add_f64_e32 v[20:21], -1.0, v[12:13]
	v_rcp_f64_e32 v[16:17], v[14:15]
	v_add_f64_e32 v[22:23], -1.0, v[14:15]
	s_delay_alu instid0(VALU_DEP_1) | instskip(NEXT) | instid1(TRANS32_DEP_1)
	v_add_f64_e64 v[12:13], v[12:13], -v[22:23]
	v_fma_f64 v[18:19], -v[14:15], v[16:17], 1.0
	s_delay_alu instid0(VALU_DEP_1) | instskip(NEXT) | instid1(VALU_DEP_1)
	v_fmac_f64_e32 v[16:17], v[18:19], v[16:17]
	v_fma_f64 v[18:19], -v[14:15], v[16:17], 1.0
	s_delay_alu instid0(VALU_DEP_1) | instskip(NEXT) | instid1(VALU_DEP_1)
	v_fmac_f64_e32 v[16:17], v[18:19], v[16:17]
	v_mul_f64_e32 v[18:19], v[20:21], v[16:17]
	s_delay_alu instid0(VALU_DEP_1) | instskip(NEXT) | instid1(VALU_DEP_1)
	v_mul_f64_e32 v[24:25], v[14:15], v[18:19]
	v_fma_f64 v[14:15], v[18:19], v[14:15], -v[24:25]
	s_delay_alu instid0(VALU_DEP_1) | instskip(NEXT) | instid1(VALU_DEP_1)
	v_fmac_f64_e32 v[14:15], v[18:19], v[12:13]
	v_add_f64_e32 v[12:13], v[24:25], v[14:15]
	s_delay_alu instid0(VALU_DEP_1) | instskip(SKIP_1) | instid1(VALU_DEP_2)
	v_add_f64_e64 v[22:23], v[20:21], -v[12:13]
	v_add_f64_e64 v[24:25], v[12:13], -v[24:25]
	;; [unrolled: 1-line block ×3, first 2 shown]
	s_delay_alu instid0(VALU_DEP_2) | instskip(NEXT) | instid1(VALU_DEP_2)
	v_add_f64_e64 v[14:15], v[24:25], -v[14:15]
	v_add_f64_e64 v[12:13], v[20:21], -v[12:13]
	s_delay_alu instid0(VALU_DEP_1) | instskip(NEXT) | instid1(VALU_DEP_1)
	v_add_f64_e32 v[12:13], v[14:15], v[12:13]
	v_add_f64_e32 v[12:13], v[22:23], v[12:13]
	s_delay_alu instid0(VALU_DEP_1) | instskip(NEXT) | instid1(VALU_DEP_1)
	v_mul_f64_e32 v[12:13], v[16:17], v[12:13]
	v_add_f64_e32 v[14:15], v[18:19], v[12:13]
	s_delay_alu instid0(VALU_DEP_1) | instskip(SKIP_1) | instid1(VALU_DEP_2)
	v_mul_f64_e32 v[16:17], v[14:15], v[14:15]
	v_ldexp_f64 v[10:11], v[14:15], 1
	v_fmaak_f64 v[20:21], s[8:9], v[16:17], 0x3fc385386b47b09a
	v_mul_f64_e32 v[22:23], v[14:15], v[16:17]
	v_add_f64_e64 v[14:15], v[14:15], -v[18:19]
	s_mov_b64 s[8:9], 0x3fe62e42fefa39ef
	s_delay_alu instid0(VALU_DEP_3) | instskip(NEXT) | instid1(VALU_DEP_1)
	v_fmaak_f64 v[20:21], v[16:17], v[20:21], 0x3fc7474dd7f4df2e
	v_fmaak_f64 v[20:21], v[16:17], v[20:21], 0x3fcc71c016291751
	s_delay_alu instid0(VALU_DEP_1) | instskip(NEXT) | instid1(VALU_DEP_1)
	v_fmaak_f64 v[20:21], v[16:17], v[20:21], 0x3fd249249b27acf1
	v_fmaak_f64 v[20:21], v[16:17], v[20:21], 0x3fd99999998ef7b6
	v_add_f64_e64 v[12:13], v[12:13], -v[14:15]
	s_delay_alu instid0(VALU_DEP_2) | instskip(SKIP_1) | instid1(VALU_DEP_2)
	v_fmaak_f64 v[16:17], v[16:17], v[20:21], 0x3fe5555555555780
	v_div_scale_f64 v[20:21], null, v[6:7], v[6:7], v[4:5]
	v_mul_f64_e32 v[16:17], v[22:23], v[16:17]
	v_frexp_exp_i32_f64_e32 v22, v[8:9]
	v_ldexp_f64 v[12:13], v[12:13], 1
	s_delay_alu instid0(VALU_DEP_4) | instskip(NEXT) | instid1(VALU_DEP_3)
	v_rcp_f64_e32 v[24:25], v[20:21]
	v_add_f64_e32 v[18:19], v[10:11], v[16:17]
	s_delay_alu instid0(VALU_DEP_3) | instskip(SKIP_1) | instid1(VALU_DEP_2)
	v_subrev_co_ci_u32_e64 v22, null, 0, v22, vcc_lo
	v_div_scale_f64 v[30:31], vcc_lo, v[4:5], v[6:7], v[4:5]
	v_cvt_f64_i32_e32 v[22:23], v22
	s_delay_alu instid0(VALU_DEP_4) | instskip(NEXT) | instid1(VALU_DEP_2)
	v_add_f64_e64 v[10:11], v[18:19], -v[10:11]
	v_mul_f64_e32 v[14:15], 0x3fe62e42fefa39ef, v[22:23]
	s_delay_alu instid0(VALU_DEP_2) | instskip(NEXT) | instid1(TRANS32_DEP_1)
	v_add_f64_e64 v[10:11], v[16:17], -v[10:11]
	v_fma_f64 v[16:17], -v[20:21], v[24:25], 1.0
	s_delay_alu instid0(VALU_DEP_3) | instskip(SKIP_1) | instid1(VALU_DEP_3)
	v_fma_f64 v[26:27], v[22:23], s[8:9], -v[14:15]
	s_mov_b64 s[8:9], 0x3eeba404b5e68a13
	v_add_f64_e32 v[10:11], v[12:13], v[10:11]
	s_delay_alu instid0(VALU_DEP_3) | instskip(NEXT) | instid1(VALU_DEP_3)
	v_fmac_f64_e32 v[24:25], v[24:25], v[16:17]
	v_fmamk_f64 v[12:13], v[22:23], 0x3c7abc9e3b39803f, v[26:27]
	s_delay_alu instid0(VALU_DEP_1) | instskip(NEXT) | instid1(VALU_DEP_4)
	v_add_f64_e32 v[16:17], v[14:15], v[12:13]
	v_add_f64_e32 v[22:23], v[18:19], v[10:11]
	s_delay_alu instid0(VALU_DEP_4) | instskip(NEXT) | instid1(VALU_DEP_3)
	v_fma_f64 v[26:27], -v[20:21], v[24:25], 1.0
	v_add_f64_e64 v[14:15], v[16:17], -v[14:15]
	s_delay_alu instid0(VALU_DEP_3) | instskip(NEXT) | instid1(VALU_DEP_3)
	v_add_f64_e32 v[28:29], v[16:17], v[22:23]
	v_fmac_f64_e32 v[24:25], v[24:25], v[26:27]
	v_add_f64_e64 v[18:19], v[22:23], -v[18:19]
	s_delay_alu instid0(VALU_DEP_4) | instskip(NEXT) | instid1(VALU_DEP_4)
	v_add_f64_e64 v[14:15], v[12:13], -v[14:15]
	v_add_f64_e64 v[26:27], v[28:29], -v[16:17]
	s_delay_alu instid0(VALU_DEP_4) | instskip(NEXT) | instid1(VALU_DEP_4)
	v_mul_f64_e32 v[32:33], v[30:31], v[24:25]
	v_add_f64_e64 v[10:11], v[10:11], -v[18:19]
	s_delay_alu instid0(VALU_DEP_3) | instskip(NEXT) | instid1(VALU_DEP_3)
	v_add_f64_e64 v[34:35], v[28:29], -v[26:27]
	v_fma_f64 v[20:21], -v[20:21], v[32:33], v[30:31]
	v_add_f64_e64 v[12:13], v[22:23], -v[26:27]
	s_delay_alu instid0(VALU_DEP_3) | instskip(NEXT) | instid1(VALU_DEP_3)
	v_add_f64_e64 v[16:17], v[16:17], -v[34:35]
	v_div_fmas_f64 v[18:19], v[20:21], v[24:25], v[32:33]
	v_add_f64_e32 v[20:21], v[14:15], v[10:11]
	v_cmp_class_f64_e64 vcc_lo, v[8:9], 0x204
	s_delay_alu instid0(VALU_DEP_4) | instskip(NEXT) | instid1(VALU_DEP_4)
	v_add_f64_e32 v[16:17], v[12:13], v[16:17]
	v_div_fixup_f64 v[12:13], v[18:19], v[6:7], v[4:5]
	s_delay_alu instid0(VALU_DEP_4) | instskip(NEXT) | instid1(VALU_DEP_3)
	v_add_f64_e64 v[4:5], v[20:21], -v[14:15]
	v_add_f64_e32 v[6:7], v[20:21], v[16:17]
	s_delay_alu instid0(VALU_DEP_3) | instskip(NEXT) | instid1(VALU_DEP_3)
	v_mul_f64_e32 v[16:17], v[12:13], v[12:13]
	v_add_f64_e64 v[18:19], v[20:21], -v[4:5]
	v_add_f64_e64 v[4:5], v[10:11], -v[4:5]
	s_delay_alu instid0(VALU_DEP_4) | instskip(NEXT) | instid1(VALU_DEP_4)
	v_add_f64_e32 v[20:21], v[28:29], v[6:7]
	v_fmaak_f64 v[22:23], s[8:9], v[16:17], 0xbf23e260bd3237f4
	s_delay_alu instid0(VALU_DEP_4) | instskip(NEXT) | instid1(VALU_DEP_2)
	v_add_f64_e64 v[10:11], v[14:15], -v[18:19]
	v_fmaak_f64 v[22:23], v[16:17], v[22:23], 0x3f4b2bb069efb384
	s_delay_alu instid0(VALU_DEP_1) | instskip(NEXT) | instid1(VALU_DEP_1)
	v_fmaak_f64 v[22:23], v[16:17], v[22:23], 0xbf67952daf56de9b
	v_fmaak_f64 v[22:23], v[16:17], v[22:23], 0x3f7d6d43a595c56f
	s_delay_alu instid0(VALU_DEP_1) | instskip(SKIP_2) | instid1(VALU_DEP_3)
	v_fmaak_f64 v[18:19], v[16:17], v[22:23], 0xbf8c6ea4a57d9582
	v_add_f64_e64 v[14:15], v[20:21], -v[28:29]
	v_add_f64_e32 v[4:5], v[4:5], v[10:11]
	v_fmaak_f64 v[18:19], v[16:17], v[18:19], 0x3f967e295f08b19f
	s_delay_alu instid0(VALU_DEP_1) | instskip(NEXT) | instid1(VALU_DEP_1)
	v_fmaak_f64 v[18:19], v[16:17], v[18:19], 0xbf9e9ae6fc27006a
	v_fmaak_f64 v[18:19], v[16:17], v[18:19], 0x3fa2c15b5711927a
	s_delay_alu instid0(VALU_DEP_1) | instskip(NEXT) | instid1(VALU_DEP_1)
	v_fmaak_f64 v[18:19], v[16:17], v[18:19], 0xbfa59976e82d3ff0
	v_fmaak_f64 v[10:11], v[16:17], v[18:19], 0x3fa82d5d6ef28734
	v_add_f64_e64 v[6:7], v[6:7], -v[14:15]
	s_delay_alu instid0(VALU_DEP_2) | instskip(NEXT) | instid1(VALU_DEP_1)
	v_fmaak_f64 v[10:11], v[16:17], v[10:11], 0xbfaae5ce6a214619
	v_fmaak_f64 v[10:11], v[16:17], v[10:11], 0x3fae1bb48427b883
	s_delay_alu instid0(VALU_DEP_1) | instskip(NEXT) | instid1(VALU_DEP_4)
	v_fmaak_f64 v[10:11], v[16:17], v[10:11], 0xbfb110e48b207f05
	v_add_f64_e32 v[4:5], v[4:5], v[6:7]
	s_delay_alu instid0(VALU_DEP_2) | instskip(NEXT) | instid1(VALU_DEP_1)
	v_fmaak_f64 v[6:7], v[16:17], v[10:11], 0x3fb3b13657b87036
                                        ; implicit-def: $vgpr10_vgpr11
	v_fmaak_f64 v[6:7], v[16:17], v[6:7], 0xbfb745d119378e4f
	s_delay_alu instid0(VALU_DEP_1) | instskip(NEXT) | instid1(VALU_DEP_1)
	v_fmaak_f64 v[6:7], v[16:17], v[6:7], 0x3fbc71c717e1913c
	v_fmaak_f64 v[6:7], v[16:17], v[6:7], 0xbfc2492492376b7d
	s_delay_alu instid0(VALU_DEP_1) | instskip(SKIP_1) | instid1(VALU_DEP_2)
	v_fmaak_f64 v[6:7], v[16:17], v[6:7], 0x3fc99999999952cc
	v_add_f64_e32 v[4:5], v[20:21], v[4:5]
	v_fmaak_f64 v[6:7], v[16:17], v[6:7], 0xbfd5555555555523
	s_delay_alu instid0(VALU_DEP_1) | instskip(NEXT) | instid1(VALU_DEP_3)
	v_mul_f64_e32 v[6:7], v[16:17], v[6:7]
	v_dual_cndmask_b32 v5, v5, v9 :: v_dual_cndmask_b32 v4, v4, v8
	v_cmp_neq_f64_e32 vcc_lo, 0, v[8:9]
	s_delay_alu instid0(VALU_DEP_2) | instskip(NEXT) | instid1(VALU_DEP_4)
	v_mul_f64_e32 v[4:5], 0.5, v[4:5]
	v_fmac_f64_e32 v[12:13], v[12:13], v[6:7]
                                        ; implicit-def: $vgpr6_vgpr7
	s_delay_alu instid0(VALU_DEP_2) | instskip(NEXT) | instid1(VALU_DEP_3)
	v_cndmask_b32_e32 v9, 0xfff00000, v5, vcc_lo
	v_cndmask_b32_e32 v8, 0, v4, vcc_lo
                                        ; implicit-def: $vgpr4_vgpr5
.LBB54_70:
	s_and_not1_saveexec_b32 s1, s1
	s_cbranch_execz .LBB54_72
; %bb.71:
	v_frexp_exp_i32_f64_e32 v18, v[6:7]
	v_cmp_class_f64_e64 s7, v[2:3], 0x204
	v_cmp_class_f64_e64 s10, v[0:1], 0x204
	s_wait_dscnt 0x0
	v_min_num_f64_e32 v[4:5], v[10:11], v[4:5]
	s_and_not1_b32 s5, s5, exec_lo
	v_sub_nc_u32_e32 v12, 0, v18
	s_or_b32 s8, s10, s7
	s_and_b32 s7, s10, s7
	s_delay_alu instid0(SALU_CYCLE_1) | instskip(NEXT) | instid1(VALU_DEP_1)
	s_and_b32 s7, s7, exec_lo
	v_ldexp_f64 v[8:9], |v[0:1]|, v12
	s_or_b32 s5, s5, s7
	s_delay_alu instid0(VALU_DEP_1) | instskip(SKIP_1) | instid1(VALU_DEP_1)
	v_mul_f64_e32 v[8:9], v[8:9], v[8:9]
	v_ldexp_f64 v[12:13], |v[2:3]|, v12
	v_fmac_f64_e32 v[8:9], v[12:13], v[12:13]
	s_delay_alu instid0(VALU_DEP_1) | instskip(SKIP_1) | instid1(TRANS32_DEP_1)
	v_rsq_f64_e32 v[12:13], v[8:9]
	v_cmp_eq_f64_e32 vcc_lo, 0, v[8:9]
	v_mul_f64_e32 v[14:15], v[8:9], v[12:13]
	v_mul_f64_e32 v[12:13], 0.5, v[12:13]
	s_delay_alu instid0(VALU_DEP_1) | instskip(NEXT) | instid1(VALU_DEP_1)
	v_fma_f64 v[16:17], -v[12:13], v[14:15], 0.5
	v_fmac_f64_e32 v[14:15], v[14:15], v[16:17]
	v_fmac_f64_e32 v[12:13], v[12:13], v[16:17]
	s_delay_alu instid0(VALU_DEP_2) | instskip(NEXT) | instid1(VALU_DEP_1)
	v_fma_f64 v[16:17], -v[14:15], v[14:15], v[8:9]
	v_fmac_f64_e32 v[14:15], v[16:17], v[12:13]
	s_delay_alu instid0(VALU_DEP_1) | instskip(NEXT) | instid1(VALU_DEP_1)
	v_dual_cndmask_b32 v9, v15, v9 :: v_dual_cndmask_b32 v8, v14, v8
	v_ldexp_f64 v[8:9], v[8:9], v18
	s_delay_alu instid0(VALU_DEP_1) | instskip(NEXT) | instid1(VALU_DEP_2)
	v_cndmask_b32_e64 v15, v9, 0x7ff00000, s8
	v_cndmask_b32_e64 v14, v8, 0, s8
	s_mov_b64 s[8:9], 0x3fe5555555555555
	s_delay_alu instid0(VALU_DEP_1) | instskip(NEXT) | instid1(VALU_DEP_1)
	v_frexp_mant_f64_e32 v[8:9], v[14:15]
	v_cmp_gt_f64_e32 vcc_lo, s[8:9], v[8:9]
	s_mov_b64 s[8:9], 0x3fc3ab76bf559e2b
	v_cndmask_b32_e64 v12, 0, 1, vcc_lo
	s_delay_alu instid0(VALU_DEP_1) | instskip(NEXT) | instid1(VALU_DEP_1)
	v_ldexp_f64 v[8:9], v[8:9], v12
	v_add_f64_e32 v[12:13], 1.0, v[8:9]
	v_add_f64_e32 v[20:21], -1.0, v[8:9]
	s_delay_alu instid0(VALU_DEP_2) | instskip(SKIP_1) | instid1(VALU_DEP_1)
	v_rcp_f64_e32 v[16:17], v[12:13]
	v_add_f64_e32 v[22:23], -1.0, v[12:13]
	v_add_f64_e64 v[8:9], v[8:9], -v[22:23]
	s_delay_alu instid0(TRANS32_DEP_1) | instskip(NEXT) | instid1(VALU_DEP_1)
	v_fma_f64 v[18:19], -v[12:13], v[16:17], 1.0
	v_fmac_f64_e32 v[16:17], v[18:19], v[16:17]
	s_delay_alu instid0(VALU_DEP_1) | instskip(NEXT) | instid1(VALU_DEP_1)
	v_fma_f64 v[18:19], -v[12:13], v[16:17], 1.0
	v_fmac_f64_e32 v[16:17], v[18:19], v[16:17]
	s_delay_alu instid0(VALU_DEP_1) | instskip(NEXT) | instid1(VALU_DEP_1)
	v_mul_f64_e32 v[18:19], v[20:21], v[16:17]
	v_mul_f64_e32 v[24:25], v[12:13], v[18:19]
	s_delay_alu instid0(VALU_DEP_1) | instskip(NEXT) | instid1(VALU_DEP_1)
	v_fma_f64 v[12:13], v[18:19], v[12:13], -v[24:25]
	v_fmac_f64_e32 v[12:13], v[18:19], v[8:9]
	s_delay_alu instid0(VALU_DEP_1) | instskip(NEXT) | instid1(VALU_DEP_1)
	v_add_f64_e32 v[8:9], v[24:25], v[12:13]
	v_add_f64_e64 v[22:23], v[20:21], -v[8:9]
	v_add_f64_e64 v[24:25], v[8:9], -v[24:25]
	s_delay_alu instid0(VALU_DEP_2) | instskip(NEXT) | instid1(VALU_DEP_2)
	v_add_f64_e64 v[20:21], v[20:21], -v[22:23]
	v_add_f64_e64 v[12:13], v[24:25], -v[12:13]
	v_frexp_exp_i32_f64_e32 v24, v[14:15]
	s_delay_alu instid0(VALU_DEP_3) | instskip(NEXT) | instid1(VALU_DEP_2)
	v_add_f64_e64 v[8:9], v[20:21], -v[8:9]
	v_subrev_co_ci_u32_e64 v24, null, 0, v24, vcc_lo
	v_div_scale_f64 v[28:29], vcc_lo, v[4:5], v[6:7], v[4:5]
	s_delay_alu instid0(VALU_DEP_2) | instskip(NEXT) | instid1(VALU_DEP_4)
	v_cvt_f64_i32_e32 v[24:25], v24
	v_add_f64_e32 v[8:9], v[12:13], v[8:9]
	s_delay_alu instid0(VALU_DEP_2) | instskip(NEXT) | instid1(VALU_DEP_2)
	v_mul_f64_e32 v[26:27], 0x3fe62e42fefa39ef, v[24:25]
	v_add_f64_e32 v[8:9], v[22:23], v[8:9]
	s_delay_alu instid0(VALU_DEP_1) | instskip(NEXT) | instid1(VALU_DEP_1)
	v_mul_f64_e32 v[8:9], v[16:17], v[8:9]
	v_add_f64_e32 v[12:13], v[18:19], v[8:9]
	s_delay_alu instid0(VALU_DEP_1) | instskip(NEXT) | instid1(VALU_DEP_1)
	v_mul_f64_e32 v[16:17], v[12:13], v[12:13]
	v_fmaak_f64 v[20:21], s[8:9], v[16:17], 0x3fc385386b47b09a
	v_mul_f64_e32 v[22:23], v[12:13], v[16:17]
	s_mov_b64 s[8:9], 0x3fe62e42fefa39ef
	s_delay_alu instid0(VALU_DEP_2) | instskip(NEXT) | instid1(VALU_DEP_1)
	v_fmaak_f64 v[20:21], v[16:17], v[20:21], 0x3fc7474dd7f4df2e
	v_fmaak_f64 v[10:11], v[16:17], v[20:21], 0x3fcc71c016291751
	v_div_scale_f64 v[20:21], null, v[6:7], v[6:7], v[4:5]
	s_delay_alu instid0(VALU_DEP_2) | instskip(NEXT) | instid1(VALU_DEP_1)
	v_fmaak_f64 v[10:11], v[16:17], v[10:11], 0x3fd249249b27acf1
	v_fmaak_f64 v[10:11], v[16:17], v[10:11], 0x3fd99999998ef7b6
	s_delay_alu instid0(VALU_DEP_1) | instskip(SKIP_2) | instid1(VALU_DEP_3)
	v_fmaak_f64 v[10:11], v[16:17], v[10:11], 0x3fe5555555555780
	v_ldexp_f64 v[16:17], v[12:13], 1
	v_add_f64_e64 v[12:13], v[12:13], -v[18:19]
	v_mul_f64_e32 v[10:11], v[22:23], v[10:11]
	v_rcp_f64_e32 v[22:23], v[20:21]
	s_delay_alu instid0(VALU_DEP_2) | instskip(NEXT) | instid1(VALU_DEP_2)
	v_add_f64_e64 v[8:9], v[8:9], -v[12:13]
	v_add_f64_e32 v[18:19], v[16:17], v[10:11]
	s_delay_alu instid0(VALU_DEP_2) | instskip(NEXT) | instid1(VALU_DEP_2)
	v_ldexp_f64 v[8:9], v[8:9], 1
	v_add_f64_e64 v[12:13], v[18:19], -v[16:17]
	s_delay_alu instid0(TRANS32_DEP_1) | instskip(NEXT) | instid1(VALU_DEP_2)
	v_fma_f64 v[16:17], -v[20:21], v[22:23], 1.0
	v_add_f64_e64 v[10:11], v[10:11], -v[12:13]
	v_fma_f64 v[12:13], v[24:25], s[8:9], -v[26:27]
	s_delay_alu instid0(VALU_DEP_3) | instskip(SKIP_1) | instid1(VALU_DEP_3)
	v_fmac_f64_e32 v[22:23], v[22:23], v[16:17]
	s_mov_b64 s[8:9], 0x3eeba404b5e68a13
	v_add_f64_e32 v[8:9], v[8:9], v[10:11]
	s_delay_alu instid0(VALU_DEP_3) | instskip(NEXT) | instid1(VALU_DEP_3)
	v_fmamk_f64 v[12:13], v[24:25], 0x3c7abc9e3b39803f, v[12:13]
	v_fma_f64 v[10:11], -v[20:21], v[22:23], 1.0
	s_delay_alu instid0(VALU_DEP_2) | instskip(NEXT) | instid1(VALU_DEP_4)
	v_add_f64_e32 v[16:17], v[26:27], v[12:13]
	v_add_f64_e32 v[24:25], v[18:19], v[8:9]
	s_delay_alu instid0(VALU_DEP_3) | instskip(NEXT) | instid1(VALU_DEP_3)
	v_fmac_f64_e32 v[22:23], v[22:23], v[10:11]
	v_add_f64_e64 v[26:27], v[16:17], -v[26:27]
	s_delay_alu instid0(VALU_DEP_3) | instskip(SKIP_1) | instid1(VALU_DEP_4)
	v_add_f64_e32 v[10:11], v[16:17], v[24:25]
	v_add_f64_e64 v[18:19], v[24:25], -v[18:19]
	v_mul_f64_e32 v[30:31], v[28:29], v[22:23]
	s_delay_alu instid0(VALU_DEP_3) | instskip(NEXT) | instid1(VALU_DEP_3)
	v_add_f64_e64 v[32:33], v[10:11], -v[16:17]
	v_add_f64_e64 v[8:9], v[8:9], -v[18:19]
	s_delay_alu instid0(VALU_DEP_3) | instskip(NEXT) | instid1(VALU_DEP_3)
	v_fma_f64 v[20:21], -v[20:21], v[30:31], v[28:29]
	v_add_f64_e64 v[28:29], v[10:11], -v[32:33]
	v_add_f64_e64 v[18:19], v[24:25], -v[32:33]
	s_delay_alu instid0(VALU_DEP_3) | instskip(SKIP_3) | instid1(VALU_DEP_4)
	v_div_fmas_f64 v[20:21], v[20:21], v[22:23], v[30:31]
	v_add_f64_e64 v[22:23], v[12:13], -v[26:27]
	v_cmp_class_f64_e64 vcc_lo, v[14:15], 0x204
	v_add_f64_e64 v[16:17], v[16:17], -v[28:29]
	v_div_fixup_f64 v[12:13], v[20:21], v[6:7], v[4:5]
	s_delay_alu instid0(VALU_DEP_4) | instskip(NEXT) | instid1(VALU_DEP_3)
	v_add_f64_e32 v[4:5], v[22:23], v[8:9]
	v_add_f64_e32 v[6:7], v[18:19], v[16:17]
	s_delay_alu instid0(VALU_DEP_3) | instskip(NEXT) | instid1(VALU_DEP_3)
	v_mul_f64_e32 v[16:17], v[12:13], v[12:13]
	v_add_f64_e64 v[18:19], v[4:5], -v[22:23]
	s_delay_alu instid0(VALU_DEP_3) | instskip(NEXT) | instid1(VALU_DEP_3)
	v_add_f64_e32 v[6:7], v[4:5], v[6:7]
	v_fmaak_f64 v[20:21], s[8:9], v[16:17], 0xbf23e260bd3237f4
	s_delay_alu instid0(VALU_DEP_3) | instskip(SKIP_1) | instid1(VALU_DEP_3)
	v_add_f64_e64 v[4:5], v[4:5], -v[18:19]
	v_add_f64_e64 v[8:9], v[8:9], -v[18:19]
	v_fmaak_f64 v[20:21], v[16:17], v[20:21], 0x3f4b2bb069efb384
	s_delay_alu instid0(VALU_DEP_1) | instskip(NEXT) | instid1(VALU_DEP_1)
	v_fmaak_f64 v[20:21], v[16:17], v[20:21], 0xbf67952daf56de9b
	v_fmaak_f64 v[20:21], v[16:17], v[20:21], 0x3f7d6d43a595c56f
	s_delay_alu instid0(VALU_DEP_1) | instskip(SKIP_2) | instid1(VALU_DEP_3)
	v_fmaak_f64 v[20:21], v[16:17], v[20:21], 0xbf8c6ea4a57d9582
	v_add_f64_e32 v[24:25], v[10:11], v[6:7]
	v_add_f64_e64 v[4:5], v[22:23], -v[4:5]
	v_fmaak_f64 v[20:21], v[16:17], v[20:21], 0x3f967e295f08b19f
	s_delay_alu instid0(VALU_DEP_1) | instskip(NEXT) | instid1(VALU_DEP_1)
	v_fmaak_f64 v[20:21], v[16:17], v[20:21], 0xbf9e9ae6fc27006a
	v_fmaak_f64 v[20:21], v[16:17], v[20:21], 0x3fa2c15b5711927a
	s_delay_alu instid0(VALU_DEP_1) | instskip(SKIP_1) | instid1(VALU_DEP_2)
	v_fmaak_f64 v[18:19], v[16:17], v[20:21], 0xbfa59976e82d3ff0
	v_add_f64_e64 v[10:11], v[24:25], -v[10:11]
	v_fmaak_f64 v[18:19], v[16:17], v[18:19], 0x3fa82d5d6ef28734
	v_add_f64_e32 v[4:5], v[8:9], v[4:5]
	s_delay_alu instid0(VALU_DEP_2) | instskip(NEXT) | instid1(VALU_DEP_1)
	v_fmaak_f64 v[18:19], v[16:17], v[18:19], 0xbfaae5ce6a214619
	v_fmaak_f64 v[18:19], v[16:17], v[18:19], 0x3fae1bb48427b883
	s_delay_alu instid0(VALU_DEP_1) | instskip(NEXT) | instid1(VALU_DEP_1)
	v_fmaak_f64 v[18:19], v[16:17], v[18:19], 0xbfb110e48b207f05
	v_fmaak_f64 v[8:9], v[16:17], v[18:19], 0x3fb3b13657b87036
	v_add_f64_e64 v[6:7], v[6:7], -v[10:11]
	s_delay_alu instid0(VALU_DEP_2) | instskip(NEXT) | instid1(VALU_DEP_1)
	v_fmaak_f64 v[8:9], v[16:17], v[8:9], 0xbfb745d119378e4f
	v_fmaak_f64 v[8:9], v[16:17], v[8:9], 0x3fbc71c717e1913c
	s_delay_alu instid0(VALU_DEP_1) | instskip(NEXT) | instid1(VALU_DEP_4)
	v_fmaak_f64 v[8:9], v[16:17], v[8:9], 0xbfc2492492376b7d
	v_add_f64_e32 v[4:5], v[4:5], v[6:7]
	s_delay_alu instid0(VALU_DEP_2) | instskip(NEXT) | instid1(VALU_DEP_1)
	v_fmaak_f64 v[6:7], v[16:17], v[8:9], 0x3fc99999999952cc
	v_fmaak_f64 v[6:7], v[16:17], v[6:7], 0xbfd5555555555523
	s_delay_alu instid0(VALU_DEP_1) | instskip(NEXT) | instid1(VALU_DEP_4)
	v_mul_f64_e32 v[6:7], v[16:17], v[6:7]
	v_add_f64_e32 v[4:5], v[24:25], v[4:5]
	s_delay_alu instid0(VALU_DEP_2) | instskip(NEXT) | instid1(VALU_DEP_2)
	v_fmac_f64_e32 v[12:13], v[12:13], v[6:7]
	v_dual_cndmask_b32 v4, v4, v14 :: v_dual_cndmask_b32 v5, v5, v15
	v_cmp_ngt_f64_e32 vcc_lo, 0, v[14:15]
	s_delay_alu instid0(VALU_DEP_2) | instskip(SKIP_1) | instid1(VALU_DEP_4)
	v_cndmask_b32_e32 v5, 0x7ff80000, v5, vcc_lo
	v_cmp_nge_f64_e32 vcc_lo, 0, v[14:15]
	v_cndmask_b32_e32 v8, 0, v4, vcc_lo
	v_cmp_neq_f64_e32 vcc_lo, 0, v[14:15]
	s_delay_alu instid0(VALU_DEP_4)
	v_cndmask_b32_e32 v9, 0xfff00000, v5, vcc_lo
.LBB54_72:
	s_or_b32 exec_lo, exec_lo, s1
                                        ; implicit-def: $vgpr10_vgpr11
                                        ; implicit-def: $vgpr4_vgpr5
                                        ; implicit-def: $vgpr6_vgpr7
.LBB54_73:
	s_and_not1_saveexec_b32 s6, s6
	s_cbranch_execz .LBB54_75
; %bb.74:
	s_mov_b64 s[8:9], 0x4005bf0a8b145769
	s_wait_dscnt 0x0
	v_min_num_f64_e32 v[4:5], v[10:11], v[4:5]
	v_div_scale_f64 v[8:9], null, s[8:9], s[8:9], v[2:3]
	v_div_scale_f64 v[12:13], null, s[8:9], s[8:9], v[0:1]
	v_div_scale_f64 v[22:23], vcc_lo, v[2:3], s[8:9], v[2:3]
	v_cmp_class_f64_e64 s7, v[2:3], 0x204
	s_and_not1_b32 s5, s5, exec_lo
	v_rcp_f64_e32 v[14:15], v[8:9]
	v_rcp_f64_e32 v[16:17], v[12:13]
	s_delay_alu instid0(TRANS32_DEP_2) | instskip(NEXT) | instid1(TRANS32_DEP_1)
	v_fma_f64 v[18:19], -v[8:9], v[14:15], 1.0
	v_fma_f64 v[20:21], -v[12:13], v[16:17], 1.0
	s_delay_alu instid0(VALU_DEP_2) | instskip(NEXT) | instid1(VALU_DEP_2)
	v_fmac_f64_e32 v[14:15], v[14:15], v[18:19]
	v_fmac_f64_e32 v[16:17], v[16:17], v[20:21]
	s_delay_alu instid0(VALU_DEP_2) | instskip(NEXT) | instid1(VALU_DEP_2)
	v_fma_f64 v[18:19], -v[8:9], v[14:15], 1.0
	v_fma_f64 v[20:21], -v[12:13], v[16:17], 1.0
	s_delay_alu instid0(VALU_DEP_2) | instskip(SKIP_1) | instid1(VALU_DEP_3)
	v_fmac_f64_e32 v[14:15], v[14:15], v[18:19]
	v_div_scale_f64 v[18:19], s1, v[0:1], s[8:9], v[0:1]
	v_fmac_f64_e32 v[16:17], v[16:17], v[20:21]
	s_delay_alu instid0(VALU_DEP_3) | instskip(NEXT) | instid1(VALU_DEP_2)
	v_mul_f64_e32 v[20:21], v[22:23], v[14:15]
	v_mul_f64_e32 v[24:25], v[18:19], v[16:17]
	s_delay_alu instid0(VALU_DEP_2) | instskip(NEXT) | instid1(VALU_DEP_2)
	v_fma_f64 v[8:9], -v[8:9], v[20:21], v[22:23]
	v_fma_f64 v[12:13], -v[12:13], v[24:25], v[18:19]
	s_delay_alu instid0(VALU_DEP_2) | instskip(SKIP_1) | instid1(VALU_DEP_2)
	v_div_fmas_f64 v[8:9], v[8:9], v[14:15], v[20:21]
	s_mov_b32 vcc_lo, s1
	v_div_fmas_f64 v[12:13], v[12:13], v[16:17], v[24:25]
	s_delay_alu instid0(VALU_DEP_2) | instskip(NEXT) | instid1(VALU_DEP_2)
	v_div_fixup_f64 v[8:9], v[8:9], s[8:9], v[2:3]
	v_div_fixup_f64 v[12:13], v[12:13], s[8:9], v[0:1]
	s_mov_b64 s[8:9], 0x3fe5555555555555
	s_delay_alu instid0(VALU_DEP_1) | instskip(SKIP_1) | instid1(VALU_DEP_2)
	v_max_num_f64_e64 v[14:15], v[8:9], |v[12:13]|
	v_cmp_class_f64_e64 s1, v[12:13], 0x204
	v_frexp_exp_i32_f64_e32 v22, v[14:15]
	s_delay_alu instid0(VALU_DEP_1) | instskip(NEXT) | instid1(VALU_DEP_1)
	v_sub_nc_u32_e32 v16, 0, v22
	v_ldexp_f64 v[14:15], |v[12:13]|, v16
	v_ldexp_f64 v[16:17], v[8:9], v16
	s_delay_alu instid0(VALU_DEP_2) | instskip(NEXT) | instid1(VALU_DEP_1)
	v_mul_f64_e32 v[14:15], v[14:15], v[14:15]
	v_fmac_f64_e32 v[14:15], v[16:17], v[16:17]
	s_delay_alu instid0(VALU_DEP_1) | instskip(SKIP_1) | instid1(TRANS32_DEP_1)
	v_rsq_f64_e32 v[16:17], v[14:15]
	v_cmp_eq_f64_e32 vcc_lo, 0, v[14:15]
	v_mul_f64_e32 v[18:19], v[14:15], v[16:17]
	v_mul_f64_e32 v[16:17], 0.5, v[16:17]
	s_delay_alu instid0(VALU_DEP_1) | instskip(NEXT) | instid1(VALU_DEP_1)
	v_fma_f64 v[20:21], -v[16:17], v[18:19], 0.5
	v_fmac_f64_e32 v[18:19], v[18:19], v[20:21]
	v_fmac_f64_e32 v[16:17], v[16:17], v[20:21]
	s_delay_alu instid0(VALU_DEP_2) | instskip(NEXT) | instid1(VALU_DEP_1)
	v_fma_f64 v[20:21], -v[18:19], v[18:19], v[14:15]
	v_fmac_f64_e32 v[18:19], v[20:21], v[16:17]
	s_delay_alu instid0(VALU_DEP_1) | instskip(SKIP_1) | instid1(VALU_DEP_2)
	v_dual_cndmask_b32 v15, v19, v15 :: v_dual_cndmask_b32 v14, v18, v14
	v_cmp_eq_f64_e32 vcc_lo, 0x7ff00000, v[8:9]
	v_ldexp_f64 v[8:9], v[14:15], v22
	s_or_b32 s1, vcc_lo, s1
	s_delay_alu instid0(VALU_DEP_1) | instid1(SALU_CYCLE_1)
	v_cndmask_b32_e64 v15, v9, 0x7ff00000, s1
	s_delay_alu instid0(VALU_DEP_2) | instskip(SKIP_1) | instid1(VALU_DEP_2)
	v_cndmask_b32_e64 v14, v8, 0, s1
	v_cmp_class_f64_e64 s1, v[0:1], 0x204
	v_frexp_mant_f64_e32 v[8:9], v[14:15]
	s_and_b32 s1, s1, s7
	s_delay_alu instid0(SALU_CYCLE_1) | instskip(NEXT) | instid1(VALU_DEP_1)
	s_and_b32 s1, s1, exec_lo
	v_cmp_gt_f64_e32 vcc_lo, s[8:9], v[8:9]
	s_mov_b64 s[8:9], 0x3fc3ab76bf559e2b
	s_or_b32 s5, s5, s1
	v_cndmask_b32_e64 v12, 0, 1, vcc_lo
	s_delay_alu instid0(VALU_DEP_1) | instskip(NEXT) | instid1(VALU_DEP_1)
	v_ldexp_f64 v[8:9], v[8:9], v12
	v_add_f64_e32 v[12:13], 1.0, v[8:9]
	v_add_f64_e32 v[20:21], -1.0, v[8:9]
	s_delay_alu instid0(VALU_DEP_2) | instskip(SKIP_1) | instid1(VALU_DEP_1)
	v_rcp_f64_e32 v[16:17], v[12:13]
	v_add_f64_e32 v[22:23], -1.0, v[12:13]
	v_add_f64_e64 v[8:9], v[8:9], -v[22:23]
	s_delay_alu instid0(TRANS32_DEP_1) | instskip(NEXT) | instid1(VALU_DEP_1)
	v_fma_f64 v[18:19], -v[12:13], v[16:17], 1.0
	v_fmac_f64_e32 v[16:17], v[18:19], v[16:17]
	s_delay_alu instid0(VALU_DEP_1) | instskip(NEXT) | instid1(VALU_DEP_1)
	v_fma_f64 v[18:19], -v[12:13], v[16:17], 1.0
	v_fmac_f64_e32 v[16:17], v[18:19], v[16:17]
	s_delay_alu instid0(VALU_DEP_1) | instskip(NEXT) | instid1(VALU_DEP_1)
	v_mul_f64_e32 v[18:19], v[20:21], v[16:17]
	v_mul_f64_e32 v[24:25], v[12:13], v[18:19]
	s_delay_alu instid0(VALU_DEP_1) | instskip(NEXT) | instid1(VALU_DEP_1)
	v_fma_f64 v[12:13], v[18:19], v[12:13], -v[24:25]
	v_fmac_f64_e32 v[12:13], v[18:19], v[8:9]
	s_delay_alu instid0(VALU_DEP_1) | instskip(NEXT) | instid1(VALU_DEP_1)
	v_add_f64_e32 v[8:9], v[24:25], v[12:13]
	v_add_f64_e64 v[22:23], v[20:21], -v[8:9]
	v_add_f64_e64 v[24:25], v[8:9], -v[24:25]
	s_delay_alu instid0(VALU_DEP_2) | instskip(NEXT) | instid1(VALU_DEP_2)
	v_add_f64_e64 v[20:21], v[20:21], -v[22:23]
	v_add_f64_e64 v[12:13], v[24:25], -v[12:13]
	s_delay_alu instid0(VALU_DEP_2) | instskip(NEXT) | instid1(VALU_DEP_1)
	v_add_f64_e64 v[8:9], v[20:21], -v[8:9]
	v_add_f64_e32 v[8:9], v[12:13], v[8:9]
	s_delay_alu instid0(VALU_DEP_1) | instskip(NEXT) | instid1(VALU_DEP_1)
	v_add_f64_e32 v[8:9], v[22:23], v[8:9]
	v_mul_f64_e32 v[8:9], v[16:17], v[8:9]
	s_delay_alu instid0(VALU_DEP_1) | instskip(NEXT) | instid1(VALU_DEP_1)
	v_add_f64_e32 v[12:13], v[18:19], v[8:9]
	v_mul_f64_e32 v[16:17], v[12:13], v[12:13]
	v_add_f64_e64 v[10:11], v[12:13], -v[18:19]
	v_div_scale_f64 v[18:19], null, v[6:7], v[6:7], v[4:5]
	s_delay_alu instid0(VALU_DEP_3) | instskip(SKIP_1) | instid1(VALU_DEP_4)
	v_fmaak_f64 v[20:21], s[8:9], v[16:17], 0x3fc385386b47b09a
	v_mul_f64_e32 v[22:23], v[12:13], v[16:17]
	v_add_f64_e64 v[8:9], v[8:9], -v[10:11]
	s_mov_b64 s[8:9], 0x3fe62e42fefa39ef
	s_delay_alu instid0(VALU_DEP_3) | instskip(NEXT) | instid1(VALU_DEP_1)
	v_fmaak_f64 v[20:21], v[16:17], v[20:21], 0x3fc7474dd7f4df2e
	v_fmaak_f64 v[20:21], v[16:17], v[20:21], 0x3fcc71c016291751
	s_delay_alu instid0(VALU_DEP_1) | instskip(NEXT) | instid1(VALU_DEP_1)
	v_fmaak_f64 v[20:21], v[16:17], v[20:21], 0x3fd249249b27acf1
	v_fmaak_f64 v[20:21], v[16:17], v[20:21], 0x3fd99999998ef7b6
	v_ldexp_f64 v[8:9], v[8:9], 1
	s_delay_alu instid0(VALU_DEP_2) | instskip(SKIP_1) | instid1(VALU_DEP_2)
	v_fmaak_f64 v[16:17], v[16:17], v[20:21], 0x3fe5555555555780
	v_ldexp_f64 v[20:21], v[12:13], 1
	v_mul_f64_e32 v[16:17], v[22:23], v[16:17]
	v_frexp_exp_i32_f64_e32 v22, v[14:15]
	s_delay_alu instid0(VALU_DEP_2) | instskip(NEXT) | instid1(VALU_DEP_2)
	v_add_f64_e32 v[12:13], v[20:21], v[16:17]
	v_subrev_co_ci_u32_e64 v22, null, 0, v22, vcc_lo
	v_div_scale_f64 v[30:31], vcc_lo, v[4:5], v[6:7], v[4:5]
	s_delay_alu instid0(VALU_DEP_2) | instskip(NEXT) | instid1(VALU_DEP_4)
	v_cvt_f64_i32_e32 v[22:23], v22
	v_add_f64_e64 v[10:11], v[12:13], -v[20:21]
	v_rcp_f64_e32 v[20:21], v[18:19]
	s_delay_alu instid0(VALU_DEP_2) | instskip(NEXT) | instid1(VALU_DEP_2)
	v_mul_f64_e32 v[24:25], 0x3fe62e42fefa39ef, v[22:23]
	v_add_f64_e64 v[10:11], v[16:17], -v[10:11]
	s_delay_alu instid0(VALU_DEP_2) | instskip(NEXT) | instid1(TRANS32_DEP_1)
	v_fma_f64 v[26:27], v[22:23], s[8:9], -v[24:25]
	v_fma_f64 v[16:17], -v[18:19], v[20:21], 1.0
	s_mov_b64 s[8:9], 0x3eeba404b5e68a13
	s_delay_alu instid0(VALU_DEP_3) | instskip(NEXT) | instid1(VALU_DEP_3)
	v_add_f64_e32 v[8:9], v[8:9], v[10:11]
	v_fmamk_f64 v[10:11], v[22:23], 0x3c7abc9e3b39803f, v[26:27]
	s_delay_alu instid0(VALU_DEP_3) | instskip(NEXT) | instid1(VALU_DEP_2)
	v_fmac_f64_e32 v[20:21], v[20:21], v[16:17]
	v_add_f64_e32 v[16:17], v[24:25], v[10:11]
	s_delay_alu instid0(VALU_DEP_4) | instskip(NEXT) | instid1(VALU_DEP_3)
	v_add_f64_e32 v[22:23], v[12:13], v[8:9]
	v_fma_f64 v[26:27], -v[18:19], v[20:21], 1.0
	s_delay_alu instid0(VALU_DEP_3) | instskip(NEXT) | instid1(VALU_DEP_3)
	v_add_f64_e64 v[24:25], v[16:17], -v[24:25]
	v_add_f64_e32 v[28:29], v[16:17], v[22:23]
	v_add_f64_e64 v[12:13], v[22:23], -v[12:13]
	s_delay_alu instid0(VALU_DEP_4) | instskip(NEXT) | instid1(VALU_DEP_4)
	v_fmac_f64_e32 v[20:21], v[20:21], v[26:27]
	v_add_f64_e64 v[10:11], v[10:11], -v[24:25]
	s_delay_alu instid0(VALU_DEP_4) | instskip(NEXT) | instid1(VALU_DEP_4)
	v_add_f64_e64 v[26:27], v[28:29], -v[16:17]
	v_add_f64_e64 v[8:9], v[8:9], -v[12:13]
	s_delay_alu instid0(VALU_DEP_4) | instskip(NEXT) | instid1(VALU_DEP_3)
	v_mul_f64_e32 v[32:33], v[30:31], v[20:21]
	v_add_f64_e64 v[34:35], v[28:29], -v[26:27]
	v_add_f64_e64 v[12:13], v[22:23], -v[26:27]
	s_delay_alu instid0(VALU_DEP_3) | instskip(NEXT) | instid1(VALU_DEP_3)
	v_fma_f64 v[18:19], -v[18:19], v[32:33], v[30:31]
	v_add_f64_e64 v[16:17], v[16:17], -v[34:35]
	s_delay_alu instid0(VALU_DEP_2) | instskip(SKIP_2) | instid1(VALU_DEP_4)
	v_div_fmas_f64 v[18:19], v[18:19], v[20:21], v[32:33]
	v_add_f64_e32 v[20:21], v[10:11], v[8:9]
	v_cmp_class_f64_e64 vcc_lo, v[14:15], 0x204
	v_add_f64_e32 v[16:17], v[12:13], v[16:17]
	s_delay_alu instid0(VALU_DEP_4) | instskip(NEXT) | instid1(VALU_DEP_4)
	v_div_fixup_f64 v[12:13], v[18:19], v[6:7], v[4:5]
	v_add_f64_e64 v[4:5], v[20:21], -v[10:11]
	s_delay_alu instid0(VALU_DEP_3) | instskip(NEXT) | instid1(VALU_DEP_3)
	v_add_f64_e32 v[6:7], v[20:21], v[16:17]
	v_mul_f64_e32 v[16:17], v[12:13], v[12:13]
	s_delay_alu instid0(VALU_DEP_3) | instskip(SKIP_1) | instid1(VALU_DEP_4)
	v_add_f64_e64 v[18:19], v[20:21], -v[4:5]
	v_add_f64_e64 v[4:5], v[8:9], -v[4:5]
	v_add_f64_e32 v[20:21], v[28:29], v[6:7]
	s_delay_alu instid0(VALU_DEP_4) | instskip(NEXT) | instid1(VALU_DEP_4)
	v_fmaak_f64 v[22:23], s[8:9], v[16:17], 0xbf23e260bd3237f4
	v_add_f64_e64 v[8:9], v[10:11], -v[18:19]
	s_delay_alu instid0(VALU_DEP_2) | instskip(NEXT) | instid1(VALU_DEP_1)
	v_fmaak_f64 v[22:23], v[16:17], v[22:23], 0x3f4b2bb069efb384
	v_fmaak_f64 v[22:23], v[16:17], v[22:23], 0xbf67952daf56de9b
	s_delay_alu instid0(VALU_DEP_1) | instskip(SKIP_1) | instid1(VALU_DEP_2)
	v_fmaak_f64 v[22:23], v[16:17], v[22:23], 0x3f7d6d43a595c56f
	v_add_f64_e64 v[10:11], v[20:21], -v[28:29]
	v_fmaak_f64 v[18:19], v[16:17], v[22:23], 0xbf8c6ea4a57d9582
	v_add_f64_e32 v[4:5], v[4:5], v[8:9]
	s_delay_alu instid0(VALU_DEP_2) | instskip(NEXT) | instid1(VALU_DEP_1)
	v_fmaak_f64 v[18:19], v[16:17], v[18:19], 0x3f967e295f08b19f
	v_fmaak_f64 v[18:19], v[16:17], v[18:19], 0xbf9e9ae6fc27006a
	s_delay_alu instid0(VALU_DEP_1) | instskip(NEXT) | instid1(VALU_DEP_1)
	v_fmaak_f64 v[18:19], v[16:17], v[18:19], 0x3fa2c15b5711927a
	v_fmaak_f64 v[8:9], v[16:17], v[18:19], 0xbfa59976e82d3ff0
	v_add_f64_e64 v[6:7], v[6:7], -v[10:11]
	s_delay_alu instid0(VALU_DEP_2) | instskip(NEXT) | instid1(VALU_DEP_1)
	v_fmaak_f64 v[8:9], v[16:17], v[8:9], 0x3fa82d5d6ef28734
	v_fmaak_f64 v[8:9], v[16:17], v[8:9], 0xbfaae5ce6a214619
	s_delay_alu instid0(VALU_DEP_1) | instskip(NEXT) | instid1(VALU_DEP_1)
	v_fmaak_f64 v[8:9], v[16:17], v[8:9], 0x3fae1bb48427b883
	v_fmaak_f64 v[8:9], v[16:17], v[8:9], 0xbfb110e48b207f05
	v_add_f64_e32 v[4:5], v[4:5], v[6:7]
	s_delay_alu instid0(VALU_DEP_2) | instskip(NEXT) | instid1(VALU_DEP_1)
	v_fmaak_f64 v[6:7], v[16:17], v[8:9], 0x3fb3b13657b87036
	v_fmaak_f64 v[6:7], v[16:17], v[6:7], 0xbfb745d119378e4f
	s_delay_alu instid0(VALU_DEP_1) | instskip(NEXT) | instid1(VALU_DEP_1)
	v_fmaak_f64 v[6:7], v[16:17], v[6:7], 0x3fbc71c717e1913c
	v_fmaak_f64 v[6:7], v[16:17], v[6:7], 0xbfc2492492376b7d
	s_delay_alu instid0(VALU_DEP_1) | instskip(SKIP_1) | instid1(VALU_DEP_2)
	v_fmaak_f64 v[6:7], v[16:17], v[6:7], 0x3fc99999999952cc
	v_add_f64_e32 v[4:5], v[20:21], v[4:5]
	v_fmaak_f64 v[6:7], v[16:17], v[6:7], 0xbfd5555555555523
	s_delay_alu instid0(VALU_DEP_1) | instskip(NEXT) | instid1(VALU_DEP_3)
	v_mul_f64_e32 v[6:7], v[16:17], v[6:7]
	v_dual_cndmask_b32 v5, v5, v15 :: v_dual_cndmask_b32 v4, v4, v14
	v_cmp_ngt_f64_e32 vcc_lo, 0, v[14:15]
	s_delay_alu instid0(VALU_DEP_2) | instskip(NEXT) | instid1(VALU_DEP_4)
	v_add_f64_e32 v[4:5], 1.0, v[4:5]
	v_fmac_f64_e32 v[12:13], v[12:13], v[6:7]
	s_delay_alu instid0(VALU_DEP_2) | instskip(SKIP_1) | instid1(VALU_DEP_4)
	v_cndmask_b32_e32 v5, 0x7ff80000, v5, vcc_lo
	v_cmp_nge_f64_e32 vcc_lo, 0, v[14:15]
	v_cndmask_b32_e32 v8, 0, v4, vcc_lo
	v_cmp_neq_f64_e32 vcc_lo, 0, v[14:15]
	s_delay_alu instid0(VALU_DEP_4)
	v_cndmask_b32_e32 v9, 0xfff00000, v5, vcc_lo
.LBB54_75:
	s_or_b32 exec_lo, exec_lo, s6
	s_mov_b64 s[6:7], 0x3ff921fb54442d18
	v_dual_mov_b32 v10, 0x4002d97c :: v_dual_ashrrev_i32 v11, 31, v3
	s_wait_dscnt 0x0
	s_delay_alu instid0(VALU_DEP_4) | instskip(SKIP_1) | instid1(VALU_DEP_3)
	v_add_f64_e64 v[4:5], -v[12:13], s[6:7]
	v_cmp_gt_i32_e32 vcc_lo, 0, v3
                                        ; implicit-def: $vgpr16
	v_cndmask_b32_e32 v10, 0x3fe921fb, v10, vcc_lo
	s_delay_alu instid0(VALU_DEP_3) | instskip(SKIP_3) | instid1(VALU_DEP_3)
	v_dual_cndmask_b32 v5, v13, v5, s0 :: v_dual_cndmask_b32 v4, v12, v4, s0
	s_mov_b64 s[0:1], 0x400921fb54442d18
	v_and_b32_e32 v12, 0x400921fb, v11
	v_and_b32_e32 v11, 0x54442d18, v11
	v_add_f64_e64 v[6:7], -v[4:5], s[0:1]
	v_cmp_eq_f64_e64 s0, 0, v[0:1]
	s_delay_alu instid0(VALU_DEP_2) | instskip(SKIP_1) | instid1(VALU_DEP_2)
	v_dual_cndmask_b32 v5, v5, v7 :: v_dual_cndmask_b32 v4, v4, v6
	v_mov_b32_e32 v7, 0x7f3321d2
	v_dual_cndmask_b32 v5, v5, v12, s0 :: v_dual_cndmask_b32 v4, v4, v11, s0
	s_delay_alu instid0(VALU_DEP_2) | instskip(NEXT) | instid1(VALU_DEP_2)
	v_cndmask_b32_e32 v6, 0x54442d18, v7, vcc_lo
	v_cndmask_b32_e64 v5, v5, v10, s5
	s_delay_alu instid0(VALU_DEP_2) | instskip(NEXT) | instid1(VALU_DEP_2)
	v_cndmask_b32_e64 v12, v4, v6, s5
	v_bfi_b32 v13, 0x7fffffff, v5, v1
                                        ; implicit-def: $vgpr4_vgpr5
.LBB54_76:
	s_and_not1_saveexec_b32 s4, s4
	s_cbranch_execz .LBB54_86
; %bb.77:
	v_cmp_gt_f64_e64 s0, |v[0:1]|, -v[2:3]
	v_xor_b32_e32 v7, 0x80000000, v3
	s_mov_b64 s[6:7], 0x7fdfffffffffffff
                                        ; implicit-def: $sgpr5
                                        ; implicit-def: $vgpr8_vgpr9
                                        ; implicit-def: $vgpr10_vgpr11
	s_mov_b32 s1, exec_lo
	s_delay_alu instid0(VALU_DEP_1) | instskip(SKIP_1) | instid1(VALU_DEP_1)
	v_dual_mov_b32 v6, v2 :: v_dual_cndmask_b32 v13, v7, v16, s0
	v_cndmask_b32_e64 v12, v2, v0, s0
	v_cmpx_nlt_f64_e32 s[6:7], v[12:13]
	s_xor_b32 s6, exec_lo, s1
	s_cbranch_execz .LBB54_83
; %bb.78:
	v_cndmask_b32_e64 v15, v16, v7, s0
	v_cndmask_b32_e64 v14, v0, v6, s0
	v_cmp_nlt_f64_e32 vcc_lo, 0x20200000, v[12:13]
                                        ; implicit-def: $sgpr5
                                        ; implicit-def: $vgpr8_vgpr9
                                        ; implicit-def: $vgpr10_vgpr11
	s_delay_alu instid0(VALU_DEP_2) | instskip(SKIP_1) | instid1(SALU_CYCLE_1)
	v_cmp_ngt_f64_e64 s1, 0x20000000, v[14:15]
	s_and_b32 s1, vcc_lo, s1
	s_and_saveexec_b32 s7, s1
	s_delay_alu instid0(SALU_CYCLE_1)
	s_xor_b32 s7, exec_lo, s7
	s_cbranch_execz .LBB54_80
; %bb.79:
	v_mul_f64_e32 v[8:9], v[14:15], v[14:15]
	s_mov_b64 s[8:9], 0x3fe5555555555555
	v_cmp_class_f64_e64 s5, v[0:1], 0x204
	v_cmp_eq_f64_e64 s1, 0xfff00000, v[2:3]
	s_delay_alu instid0(VALU_DEP_3) | instskip(SKIP_1) | instid1(VALU_DEP_1)
	v_fmac_f64_e32 v[8:9], v[12:13], v[12:13]
	s_and_b32 s5, s1, s5
	v_frexp_mant_f64_e32 v[10:11], v[8:9]
	s_delay_alu instid0(VALU_DEP_1) | instskip(SKIP_2) | instid1(VALU_DEP_1)
	v_cmp_gt_f64_e32 vcc_lo, s[8:9], v[10:11]
	s_mov_b64 s[8:9], 0x3fc3ab76bf559e2b
	v_cndmask_b32_e64 v6, 0, 1, vcc_lo
	v_ldexp_f64 v[10:11], v[10:11], v6
	v_frexp_exp_i32_f64_e32 v6, v[8:9]
	s_delay_alu instid0(VALU_DEP_2) | instskip(SKIP_1) | instid1(VALU_DEP_3)
	v_add_f64_e32 v[12:13], 1.0, v[10:11]
	v_add_f64_e32 v[18:19], -1.0, v[10:11]
	v_subrev_co_ci_u32_e64 v6, null, 0, v6, vcc_lo
	s_delay_alu instid0(VALU_DEP_1) | instskip(NEXT) | instid1(VALU_DEP_4)
	v_cvt_f64_i32_e32 v[24:25], v6
	v_rcp_f64_e32 v[14:15], v[12:13]
	v_add_f64_e32 v[20:21], -1.0, v[12:13]
	s_delay_alu instid0(VALU_DEP_1) | instskip(NEXT) | instid1(TRANS32_DEP_1)
	v_add_f64_e64 v[10:11], v[10:11], -v[20:21]
	v_fma_f64 v[16:17], -v[12:13], v[14:15], 1.0
	s_delay_alu instid0(VALU_DEP_1) | instskip(NEXT) | instid1(VALU_DEP_1)
	v_fmac_f64_e32 v[14:15], v[16:17], v[14:15]
	v_fma_f64 v[16:17], -v[12:13], v[14:15], 1.0
	s_delay_alu instid0(VALU_DEP_1) | instskip(NEXT) | instid1(VALU_DEP_1)
	v_fmac_f64_e32 v[14:15], v[16:17], v[14:15]
	v_mul_f64_e32 v[16:17], v[18:19], v[14:15]
	s_delay_alu instid0(VALU_DEP_1) | instskip(NEXT) | instid1(VALU_DEP_1)
	v_mul_f64_e32 v[22:23], v[12:13], v[16:17]
	v_fma_f64 v[12:13], v[16:17], v[12:13], -v[22:23]
	s_delay_alu instid0(VALU_DEP_1) | instskip(NEXT) | instid1(VALU_DEP_1)
	v_fmac_f64_e32 v[12:13], v[16:17], v[10:11]
	v_add_f64_e32 v[10:11], v[22:23], v[12:13]
	s_delay_alu instid0(VALU_DEP_1) | instskip(SKIP_1) | instid1(VALU_DEP_2)
	v_add_f64_e64 v[20:21], v[18:19], -v[10:11]
	v_add_f64_e64 v[22:23], v[10:11], -v[22:23]
	;; [unrolled: 1-line block ×3, first 2 shown]
	s_delay_alu instid0(VALU_DEP_2) | instskip(NEXT) | instid1(VALU_DEP_2)
	v_add_f64_e64 v[12:13], v[22:23], -v[12:13]
	v_add_f64_e64 v[10:11], v[18:19], -v[10:11]
	s_delay_alu instid0(VALU_DEP_1) | instskip(NEXT) | instid1(VALU_DEP_1)
	v_add_f64_e32 v[10:11], v[12:13], v[10:11]
	v_add_f64_e32 v[10:11], v[20:21], v[10:11]
	v_max_num_f64_e64 v[20:21], -v[2:3], -v[2:3]
	s_delay_alu instid0(VALU_DEP_2) | instskip(NEXT) | instid1(VALU_DEP_1)
	v_mul_f64_e32 v[10:11], v[14:15], v[10:11]
	v_add_f64_e32 v[12:13], v[16:17], v[10:11]
	s_delay_alu instid0(VALU_DEP_1) | instskip(NEXT) | instid1(VALU_DEP_1)
	v_mul_f64_e32 v[14:15], v[12:13], v[12:13]
	v_fmaak_f64 v[18:19], s[8:9], v[14:15], 0x3fc385386b47b09a
	v_mul_f64_e32 v[22:23], v[12:13], v[14:15]
	s_mov_b64 s[8:9], 0x3fe62e42fefa39ef
	s_delay_alu instid0(VALU_DEP_2) | instskip(NEXT) | instid1(VALU_DEP_1)
	v_fmaak_f64 v[18:19], v[14:15], v[18:19], 0x3fc7474dd7f4df2e
	v_fmaak_f64 v[18:19], v[14:15], v[18:19], 0x3fcc71c016291751
	s_delay_alu instid0(VALU_DEP_1) | instskip(NEXT) | instid1(VALU_DEP_1)
	v_fmaak_f64 v[18:19], v[14:15], v[18:19], 0x3fd249249b27acf1
	v_fmaak_f64 v[18:19], v[14:15], v[18:19], 0x3fd99999998ef7b6
	s_delay_alu instid0(VALU_DEP_1)
	v_fmaak_f64 v[14:15], v[14:15], v[18:19], 0x3fe5555555555780
	s_wait_dscnt 0x0
	v_max_num_f64_e32 v[18:19], v[20:21], v[4:5]
	v_min_num_f64_e32 v[4:5], v[20:21], v[4:5]
	v_ldexp_f64 v[20:21], v[12:13], 1
	v_add_f64_e64 v[12:13], v[12:13], -v[16:17]
	v_mul_f64_e32 v[14:15], v[22:23], v[14:15]
	s_delay_alu instid0(VALU_DEP_4) | instskip(NEXT) | instid1(VALU_DEP_3)
	v_div_scale_f64 v[22:23], null, v[18:19], v[18:19], v[4:5]
	v_add_f64_e64 v[10:11], v[10:11], -v[12:13]
	v_div_scale_f64 v[32:33], vcc_lo, v[4:5], v[18:19], v[4:5]
	s_delay_alu instid0(VALU_DEP_4) | instskip(NEXT) | instid1(VALU_DEP_4)
	v_add_f64_e32 v[16:17], v[20:21], v[14:15]
	v_rcp_f64_e32 v[26:27], v[22:23]
	s_delay_alu instid0(VALU_DEP_3) | instskip(NEXT) | instid1(VALU_DEP_2)
	v_ldexp_f64 v[10:11], v[10:11], 1
	v_add_f64_e64 v[12:13], v[16:17], -v[20:21]
	v_mul_f64_e32 v[20:21], 0x3fe62e42fefa39ef, v[24:25]
	s_delay_alu instid0(VALU_DEP_2) | instskip(NEXT) | instid1(VALU_DEP_2)
	v_add_f64_e64 v[12:13], v[14:15], -v[12:13]
	v_fma_f64 v[28:29], v[24:25], s[8:9], -v[20:21]
	s_delay_alu instid0(TRANS32_DEP_1) | instskip(SKIP_1) | instid1(VALU_DEP_3)
	v_fma_f64 v[14:15], -v[22:23], v[26:27], 1.0
	s_mov_b64 s[8:9], 0x3eeba404b5e68a13
	v_add_f64_e32 v[10:11], v[10:11], v[12:13]
	s_delay_alu instid0(VALU_DEP_3) | instskip(NEXT) | instid1(VALU_DEP_3)
	v_fmamk_f64 v[12:13], v[24:25], 0x3c7abc9e3b39803f, v[28:29]
	v_fmac_f64_e32 v[26:27], v[26:27], v[14:15]
	s_delay_alu instid0(VALU_DEP_2) | instskip(NEXT) | instid1(VALU_DEP_4)
	v_add_f64_e32 v[14:15], v[20:21], v[12:13]
	v_add_f64_e32 v[24:25], v[16:17], v[10:11]
	s_delay_alu instid0(VALU_DEP_3) | instskip(NEXT) | instid1(VALU_DEP_3)
	v_fma_f64 v[28:29], -v[22:23], v[26:27], 1.0
	v_add_f64_e64 v[20:21], v[14:15], -v[20:21]
	s_delay_alu instid0(VALU_DEP_3) | instskip(SKIP_1) | instid1(VALU_DEP_4)
	v_add_f64_e32 v[30:31], v[14:15], v[24:25]
	v_add_f64_e64 v[16:17], v[24:25], -v[16:17]
	v_fmac_f64_e32 v[26:27], v[26:27], v[28:29]
	s_delay_alu instid0(VALU_DEP_4) | instskip(NEXT) | instid1(VALU_DEP_4)
	v_add_f64_e64 v[12:13], v[12:13], -v[20:21]
	v_add_f64_e64 v[28:29], v[30:31], -v[14:15]
	s_delay_alu instid0(VALU_DEP_4) | instskip(NEXT) | instid1(VALU_DEP_4)
	v_add_f64_e64 v[16:17], v[10:11], -v[16:17]
	v_mul_f64_e32 v[34:35], v[32:33], v[26:27]
	s_delay_alu instid0(VALU_DEP_3) | instskip(SKIP_1) | instid1(VALU_DEP_3)
	v_add_f64_e64 v[36:37], v[30:31], -v[28:29]
	v_add_f64_e64 v[10:11], v[24:25], -v[28:29]
	v_fma_f64 v[22:23], -v[22:23], v[34:35], v[32:33]
	s_delay_alu instid0(VALU_DEP_3) | instskip(NEXT) | instid1(VALU_DEP_2)
	v_add_f64_e64 v[14:15], v[14:15], -v[36:37]
	v_div_fmas_f64 v[20:21], v[22:23], v[26:27], v[34:35]
	v_add_f64_e32 v[22:23], v[12:13], v[16:17]
	v_cmp_class_f64_e64 vcc_lo, v[8:9], 0x204
	s_delay_alu instid0(VALU_DEP_4) | instskip(NEXT) | instid1(VALU_DEP_4)
	v_add_f64_e32 v[14:15], v[10:11], v[14:15]
	v_div_fixup_f64 v[10:11], v[20:21], v[18:19], v[4:5]
	s_delay_alu instid0(VALU_DEP_4) | instskip(NEXT) | instid1(VALU_DEP_3)
	v_add_f64_e64 v[4:5], v[22:23], -v[12:13]
	v_add_f64_e32 v[14:15], v[22:23], v[14:15]
	s_delay_alu instid0(VALU_DEP_3) | instskip(NEXT) | instid1(VALU_DEP_3)
	v_mul_f64_e32 v[18:19], v[10:11], v[10:11]
	v_add_f64_e64 v[20:21], v[22:23], -v[4:5]
	v_add_f64_e64 v[4:5], v[16:17], -v[4:5]
	s_delay_alu instid0(VALU_DEP_4) | instskip(NEXT) | instid1(VALU_DEP_4)
	v_add_f64_e32 v[22:23], v[30:31], v[14:15]
	v_fmaak_f64 v[24:25], s[8:9], v[18:19], 0xbf23e260bd3237f4
	s_delay_alu instid0(VALU_DEP_4) | instskip(NEXT) | instid1(VALU_DEP_2)
	v_add_f64_e64 v[12:13], v[12:13], -v[20:21]
	v_fmaak_f64 v[24:25], v[18:19], v[24:25], 0x3f4b2bb069efb384
	s_delay_alu instid0(VALU_DEP_1) | instskip(NEXT) | instid1(VALU_DEP_1)
	v_fmaak_f64 v[24:25], v[18:19], v[24:25], 0xbf67952daf56de9b
	v_fmaak_f64 v[24:25], v[18:19], v[24:25], 0x3f7d6d43a595c56f
	s_delay_alu instid0(VALU_DEP_1) | instskip(SKIP_2) | instid1(VALU_DEP_3)
	v_fmaak_f64 v[20:21], v[18:19], v[24:25], 0xbf8c6ea4a57d9582
	v_add_f64_e64 v[16:17], v[22:23], -v[30:31]
	v_add_f64_e32 v[4:5], v[4:5], v[12:13]
	v_fmaak_f64 v[20:21], v[18:19], v[20:21], 0x3f967e295f08b19f
	s_delay_alu instid0(VALU_DEP_1) | instskip(NEXT) | instid1(VALU_DEP_1)
	v_fmaak_f64 v[20:21], v[18:19], v[20:21], 0xbf9e9ae6fc27006a
	v_fmaak_f64 v[20:21], v[18:19], v[20:21], 0x3fa2c15b5711927a
	s_delay_alu instid0(VALU_DEP_1) | instskip(SKIP_1) | instid1(VALU_DEP_2)
	v_fmaak_f64 v[20:21], v[18:19], v[20:21], 0xbfa59976e82d3ff0
	v_add_f64_e64 v[12:13], v[14:15], -v[16:17]
	v_fmaak_f64 v[14:15], v[18:19], v[20:21], 0x3fa82d5d6ef28734
	s_delay_alu instid0(VALU_DEP_1) | instskip(NEXT) | instid1(VALU_DEP_1)
	v_fmaak_f64 v[14:15], v[18:19], v[14:15], 0xbfaae5ce6a214619
	v_fmaak_f64 v[14:15], v[18:19], v[14:15], 0x3fae1bb48427b883
	s_delay_alu instid0(VALU_DEP_1) | instskip(SKIP_1) | instid1(VALU_DEP_2)
	v_fmaak_f64 v[14:15], v[18:19], v[14:15], 0xbfb110e48b207f05
	v_add_f64_e32 v[4:5], v[4:5], v[12:13]
	v_fmaak_f64 v[12:13], v[18:19], v[14:15], 0x3fb3b13657b87036
	s_delay_alu instid0(VALU_DEP_1) | instskip(NEXT) | instid1(VALU_DEP_1)
	v_fmaak_f64 v[12:13], v[18:19], v[12:13], 0xbfb745d119378e4f
	v_fmaak_f64 v[12:13], v[18:19], v[12:13], 0x3fbc71c717e1913c
	s_delay_alu instid0(VALU_DEP_1) | instskip(NEXT) | instid1(VALU_DEP_1)
	v_fmaak_f64 v[12:13], v[18:19], v[12:13], 0xbfc2492492376b7d
	v_fmaak_f64 v[12:13], v[18:19], v[12:13], 0x3fc99999999952cc
	v_add_f64_e32 v[4:5], v[22:23], v[4:5]
	s_delay_alu instid0(VALU_DEP_2) | instskip(NEXT) | instid1(VALU_DEP_1)
	v_fmaak_f64 v[12:13], v[18:19], v[12:13], 0xbfd5555555555523
	v_mul_f64_e32 v[12:13], v[18:19], v[12:13]
	s_delay_alu instid0(VALU_DEP_3) | instskip(SKIP_1) | instid1(VALU_DEP_2)
	v_dual_cndmask_b32 v5, v5, v9 :: v_dual_cndmask_b32 v4, v4, v8
	v_cmp_neq_f64_e32 vcc_lo, 0, v[8:9]
	v_mul_f64_e32 v[4:5], 0.5, v[4:5]
	s_delay_alu instid0(VALU_DEP_4) | instskip(NEXT) | instid1(VALU_DEP_2)
	v_fmac_f64_e32 v[10:11], v[10:11], v[12:13]
	v_cndmask_b32_e32 v9, 0xfff00000, v5, vcc_lo
	s_delay_alu instid0(VALU_DEP_3)
	v_cndmask_b32_e32 v8, 0, v4, vcc_lo
                                        ; implicit-def: $vgpr4_vgpr5
.LBB54_80:
	s_and_not1_saveexec_b32 s7, s7
	s_cbranch_execz .LBB54_82
; %bb.81:
	v_max_num_f64_e64 v[8:9], -v[2:3], -v[2:3]
	v_cmp_eq_f64_e64 s1, 0xfff00000, v[2:3]
	v_cmp_class_f64_e64 s10, v[0:1], 0x204
	s_and_not1_b32 s5, s5, exec_lo
	s_wait_dscnt 0x0
	v_max_num_f64_e32 v[10:11], v[8:9], v[4:5]
	s_or_b32 s8, s1, s10
	s_and_b32 s1, s1, s10
	s_delay_alu instid0(SALU_CYCLE_1) | instskip(NEXT) | instid1(SALU_CYCLE_1)
	s_and_b32 s1, s1, exec_lo
	s_or_b32 s5, s5, s1
	s_delay_alu instid0(VALU_DEP_1) | instskip(NEXT) | instid1(VALU_DEP_1)
	v_frexp_exp_i32_f64_e32 v6, v[10:11]
	v_sub_nc_u32_e32 v14, 0, v6
	s_delay_alu instid0(VALU_DEP_1) | instskip(SKIP_1) | instid1(VALU_DEP_2)
	v_ldexp_f64 v[12:13], |v[0:1]|, v14
	v_ldexp_f64 v[14:15], -v[2:3], v14
	v_mul_f64_e32 v[12:13], v[12:13], v[12:13]
	s_delay_alu instid0(VALU_DEP_1) | instskip(NEXT) | instid1(VALU_DEP_1)
	v_fmac_f64_e32 v[12:13], v[14:15], v[14:15]
	v_rsq_f64_e32 v[14:15], v[12:13]
	v_cmp_eq_f64_e32 vcc_lo, 0, v[12:13]
	s_delay_alu instid0(TRANS32_DEP_1) | instskip(SKIP_1) | instid1(VALU_DEP_1)
	v_mul_f64_e32 v[16:17], v[12:13], v[14:15]
	v_mul_f64_e32 v[14:15], 0.5, v[14:15]
	v_fma_f64 v[18:19], -v[14:15], v[16:17], 0.5
	s_delay_alu instid0(VALU_DEP_1) | instskip(SKIP_1) | instid1(VALU_DEP_2)
	v_fmac_f64_e32 v[16:17], v[16:17], v[18:19]
	v_fmac_f64_e32 v[14:15], v[14:15], v[18:19]
	v_fma_f64 v[18:19], -v[16:17], v[16:17], v[12:13]
	s_delay_alu instid0(VALU_DEP_1) | instskip(NEXT) | instid1(VALU_DEP_1)
	v_fmac_f64_e32 v[16:17], v[18:19], v[14:15]
	v_dual_cndmask_b32 v13, v17, v13 :: v_dual_cndmask_b32 v12, v16, v12
	v_min_num_f64_e32 v[4:5], v[8:9], v[4:5]
	s_delay_alu instid0(VALU_DEP_2) | instskip(NEXT) | instid1(VALU_DEP_1)
	v_ldexp_f64 v[12:13], v[12:13], v6
	v_cndmask_b32_e64 v13, v13, 0x7ff00000, s8
	s_delay_alu instid0(VALU_DEP_2) | instskip(SKIP_1) | instid1(VALU_DEP_1)
	v_cndmask_b32_e64 v12, v12, 0, s8
	s_mov_b64 s[8:9], 0x3fe5555555555555
	v_frexp_mant_f64_e32 v[14:15], v[12:13]
	s_delay_alu instid0(VALU_DEP_1) | instskip(SKIP_2) | instid1(VALU_DEP_1)
	v_cmp_gt_f64_e32 vcc_lo, s[8:9], v[14:15]
	s_mov_b64 s[8:9], 0x3fc3ab76bf559e2b
	v_cndmask_b32_e64 v6, 0, 1, vcc_lo
	v_ldexp_f64 v[14:15], v[14:15], v6
	v_frexp_exp_i32_f64_e32 v6, v[12:13]
	s_delay_alu instid0(VALU_DEP_2) | instskip(SKIP_1) | instid1(VALU_DEP_3)
	v_add_f64_e32 v[16:17], 1.0, v[14:15]
	v_add_f64_e32 v[22:23], -1.0, v[14:15]
	v_subrev_co_ci_u32_e64 v6, null, 0, v6, vcc_lo
	v_div_scale_f64 v[30:31], vcc_lo, v[4:5], v[10:11], v[4:5]
	s_delay_alu instid0(VALU_DEP_4) | instskip(SKIP_1) | instid1(VALU_DEP_1)
	v_rcp_f64_e32 v[18:19], v[16:17]
	v_add_f64_e32 v[24:25], -1.0, v[16:17]
	v_add_f64_e64 v[14:15], v[14:15], -v[24:25]
	s_delay_alu instid0(TRANS32_DEP_1) | instskip(NEXT) | instid1(VALU_DEP_1)
	v_fma_f64 v[20:21], -v[16:17], v[18:19], 1.0
	v_fmac_f64_e32 v[18:19], v[20:21], v[18:19]
	s_delay_alu instid0(VALU_DEP_1) | instskip(NEXT) | instid1(VALU_DEP_1)
	v_fma_f64 v[20:21], -v[16:17], v[18:19], 1.0
	v_fmac_f64_e32 v[18:19], v[20:21], v[18:19]
	s_delay_alu instid0(VALU_DEP_1) | instskip(NEXT) | instid1(VALU_DEP_1)
	v_mul_f64_e32 v[20:21], v[22:23], v[18:19]
	v_mul_f64_e32 v[26:27], v[16:17], v[20:21]
	s_delay_alu instid0(VALU_DEP_1) | instskip(NEXT) | instid1(VALU_DEP_1)
	v_fma_f64 v[16:17], v[20:21], v[16:17], -v[26:27]
	v_fmac_f64_e32 v[16:17], v[20:21], v[14:15]
	s_delay_alu instid0(VALU_DEP_1) | instskip(NEXT) | instid1(VALU_DEP_1)
	v_add_f64_e32 v[14:15], v[26:27], v[16:17]
	v_add_f64_e64 v[24:25], v[22:23], -v[14:15]
	v_add_f64_e64 v[26:27], v[14:15], -v[26:27]
	s_delay_alu instid0(VALU_DEP_2) | instskip(NEXT) | instid1(VALU_DEP_2)
	v_add_f64_e64 v[22:23], v[22:23], -v[24:25]
	v_add_f64_e64 v[16:17], v[26:27], -v[16:17]
	v_cvt_f64_i32_e32 v[26:27], v6
	s_delay_alu instid0(VALU_DEP_3) | instskip(NEXT) | instid1(VALU_DEP_2)
	v_add_f64_e64 v[14:15], v[22:23], -v[14:15]
	v_mul_f64_e32 v[28:29], 0x3fe62e42fefa39ef, v[26:27]
	s_delay_alu instid0(VALU_DEP_2) | instskip(NEXT) | instid1(VALU_DEP_1)
	v_add_f64_e32 v[14:15], v[16:17], v[14:15]
	v_add_f64_e32 v[14:15], v[24:25], v[14:15]
	s_delay_alu instid0(VALU_DEP_1) | instskip(NEXT) | instid1(VALU_DEP_1)
	v_mul_f64_e32 v[14:15], v[18:19], v[14:15]
	v_add_f64_e32 v[16:17], v[20:21], v[14:15]
	s_delay_alu instid0(VALU_DEP_1) | instskip(NEXT) | instid1(VALU_DEP_1)
	v_mul_f64_e32 v[18:19], v[16:17], v[16:17]
	v_fmaak_f64 v[22:23], s[8:9], v[18:19], 0x3fc385386b47b09a
	v_mul_f64_e32 v[24:25], v[16:17], v[18:19]
	s_mov_b64 s[8:9], 0x3fe62e42fefa39ef
	s_delay_alu instid0(VALU_DEP_2) | instskip(NEXT) | instid1(VALU_DEP_1)
	v_fmaak_f64 v[22:23], v[18:19], v[22:23], 0x3fc7474dd7f4df2e
	v_fmaak_f64 v[8:9], v[18:19], v[22:23], 0x3fcc71c016291751
	v_div_scale_f64 v[22:23], null, v[10:11], v[10:11], v[4:5]
	s_delay_alu instid0(VALU_DEP_2) | instskip(NEXT) | instid1(VALU_DEP_1)
	v_fmaak_f64 v[8:9], v[18:19], v[8:9], 0x3fd249249b27acf1
	v_fmaak_f64 v[8:9], v[18:19], v[8:9], 0x3fd99999998ef7b6
	s_delay_alu instid0(VALU_DEP_1) | instskip(SKIP_2) | instid1(VALU_DEP_3)
	v_fmaak_f64 v[8:9], v[18:19], v[8:9], 0x3fe5555555555780
	v_ldexp_f64 v[18:19], v[16:17], 1
	v_add_f64_e64 v[16:17], v[16:17], -v[20:21]
	v_mul_f64_e32 v[8:9], v[24:25], v[8:9]
	v_rcp_f64_e32 v[24:25], v[22:23]
	s_delay_alu instid0(VALU_DEP_2) | instskip(NEXT) | instid1(VALU_DEP_2)
	v_add_f64_e64 v[14:15], v[14:15], -v[16:17]
	v_add_f64_e32 v[20:21], v[18:19], v[8:9]
	s_delay_alu instid0(VALU_DEP_2) | instskip(NEXT) | instid1(VALU_DEP_2)
	v_ldexp_f64 v[14:15], v[14:15], 1
	v_add_f64_e64 v[16:17], v[20:21], -v[18:19]
	s_delay_alu instid0(TRANS32_DEP_1) | instskip(NEXT) | instid1(VALU_DEP_2)
	v_fma_f64 v[18:19], -v[22:23], v[24:25], 1.0
	v_add_f64_e64 v[8:9], v[8:9], -v[16:17]
	v_fma_f64 v[16:17], v[26:27], s[8:9], -v[28:29]
	s_delay_alu instid0(VALU_DEP_3) | instskip(SKIP_1) | instid1(VALU_DEP_3)
	v_fmac_f64_e32 v[24:25], v[24:25], v[18:19]
	s_mov_b64 s[8:9], 0x3eeba404b5e68a13
	v_add_f64_e32 v[8:9], v[14:15], v[8:9]
	s_delay_alu instid0(VALU_DEP_3) | instskip(NEXT) | instid1(VALU_DEP_3)
	v_fmamk_f64 v[16:17], v[26:27], 0x3c7abc9e3b39803f, v[16:17]
	v_fma_f64 v[14:15], -v[22:23], v[24:25], 1.0
	s_delay_alu instid0(VALU_DEP_2) | instskip(NEXT) | instid1(VALU_DEP_4)
	v_add_f64_e32 v[18:19], v[28:29], v[16:17]
	v_add_f64_e32 v[26:27], v[20:21], v[8:9]
	s_delay_alu instid0(VALU_DEP_3) | instskip(NEXT) | instid1(VALU_DEP_3)
	v_fmac_f64_e32 v[24:25], v[24:25], v[14:15]
	v_add_f64_e64 v[28:29], v[18:19], -v[28:29]
	s_delay_alu instid0(VALU_DEP_3) | instskip(SKIP_1) | instid1(VALU_DEP_4)
	v_add_f64_e32 v[14:15], v[18:19], v[26:27]
	v_add_f64_e64 v[20:21], v[26:27], -v[20:21]
	v_mul_f64_e32 v[32:33], v[30:31], v[24:25]
	s_delay_alu instid0(VALU_DEP_4) | instskip(NEXT) | instid1(VALU_DEP_4)
	v_add_f64_e64 v[16:17], v[16:17], -v[28:29]
	v_add_f64_e64 v[34:35], v[14:15], -v[18:19]
	s_delay_alu instid0(VALU_DEP_4) | instskip(NEXT) | instid1(VALU_DEP_4)
	v_add_f64_e64 v[8:9], v[8:9], -v[20:21]
	v_fma_f64 v[22:23], -v[22:23], v[32:33], v[30:31]
	s_delay_alu instid0(VALU_DEP_3) | instskip(SKIP_1) | instid1(VALU_DEP_3)
	v_add_f64_e64 v[30:31], v[14:15], -v[34:35]
	v_add_f64_e64 v[20:21], v[26:27], -v[34:35]
	v_div_fmas_f64 v[22:23], v[22:23], v[24:25], v[32:33]
	v_cmp_class_f64_e64 vcc_lo, v[12:13], 0x204
	s_delay_alu instid0(VALU_DEP_4) | instskip(NEXT) | instid1(VALU_DEP_3)
	v_add_f64_e64 v[18:19], v[18:19], -v[30:31]
	v_div_fixup_f64 v[10:11], v[22:23], v[10:11], v[4:5]
	v_add_f64_e32 v[4:5], v[16:17], v[8:9]
	s_delay_alu instid0(VALU_DEP_3) | instskip(NEXT) | instid1(VALU_DEP_3)
	v_add_f64_e32 v[18:19], v[20:21], v[18:19]
	v_mul_f64_e32 v[20:21], v[10:11], v[10:11]
	s_delay_alu instid0(VALU_DEP_3) | instskip(NEXT) | instid1(VALU_DEP_3)
	v_add_f64_e64 v[22:23], v[4:5], -v[16:17]
	v_add_f64_e32 v[18:19], v[4:5], v[18:19]
	s_delay_alu instid0(VALU_DEP_3) | instskip(NEXT) | instid1(VALU_DEP_3)
	v_fmaak_f64 v[24:25], s[8:9], v[20:21], 0xbf23e260bd3237f4
	v_add_f64_e64 v[4:5], v[4:5], -v[22:23]
	v_add_f64_e64 v[8:9], v[8:9], -v[22:23]
	s_delay_alu instid0(VALU_DEP_3) | instskip(NEXT) | instid1(VALU_DEP_1)
	v_fmaak_f64 v[24:25], v[20:21], v[24:25], 0x3f4b2bb069efb384
	v_fmaak_f64 v[24:25], v[20:21], v[24:25], 0xbf67952daf56de9b
	s_delay_alu instid0(VALU_DEP_1) | instskip(NEXT) | instid1(VALU_DEP_1)
	v_fmaak_f64 v[24:25], v[20:21], v[24:25], 0x3f7d6d43a595c56f
	v_fmaak_f64 v[24:25], v[20:21], v[24:25], 0xbf8c6ea4a57d9582
	v_add_f64_e32 v[26:27], v[14:15], v[18:19]
	v_add_f64_e64 v[4:5], v[16:17], -v[4:5]
	s_delay_alu instid0(VALU_DEP_3) | instskip(NEXT) | instid1(VALU_DEP_1)
	v_fmaak_f64 v[24:25], v[20:21], v[24:25], 0x3f967e295f08b19f
	v_fmaak_f64 v[24:25], v[20:21], v[24:25], 0xbf9e9ae6fc27006a
	s_delay_alu instid0(VALU_DEP_1) | instskip(NEXT) | instid1(VALU_DEP_1)
	v_fmaak_f64 v[24:25], v[20:21], v[24:25], 0x3fa2c15b5711927a
	v_fmaak_f64 v[16:17], v[20:21], v[24:25], 0xbfa59976e82d3ff0
	v_add_f64_e64 v[14:15], v[26:27], -v[14:15]
	s_delay_alu instid0(VALU_DEP_2) | instskip(SKIP_1) | instid1(VALU_DEP_2)
	v_fmaak_f64 v[16:17], v[20:21], v[16:17], 0x3fa82d5d6ef28734
	v_add_f64_e32 v[4:5], v[8:9], v[4:5]
	v_fmaak_f64 v[16:17], v[20:21], v[16:17], 0xbfaae5ce6a214619
	s_delay_alu instid0(VALU_DEP_1) | instskip(NEXT) | instid1(VALU_DEP_1)
	v_fmaak_f64 v[16:17], v[20:21], v[16:17], 0x3fae1bb48427b883
	v_fmaak_f64 v[16:17], v[20:21], v[16:17], 0xbfb110e48b207f05
	v_add_f64_e64 v[8:9], v[18:19], -v[14:15]
	s_delay_alu instid0(VALU_DEP_2) | instskip(NEXT) | instid1(VALU_DEP_1)
	v_fmaak_f64 v[14:15], v[20:21], v[16:17], 0x3fb3b13657b87036
	v_fmaak_f64 v[14:15], v[20:21], v[14:15], 0xbfb745d119378e4f
	s_delay_alu instid0(VALU_DEP_1) | instskip(NEXT) | instid1(VALU_DEP_1)
	v_fmaak_f64 v[14:15], v[20:21], v[14:15], 0x3fbc71c717e1913c
	v_fmaak_f64 v[14:15], v[20:21], v[14:15], 0xbfc2492492376b7d
	v_add_f64_e32 v[4:5], v[4:5], v[8:9]
	s_delay_alu instid0(VALU_DEP_2) | instskip(NEXT) | instid1(VALU_DEP_1)
	v_fmaak_f64 v[8:9], v[20:21], v[14:15], 0x3fc99999999952cc
	v_fmaak_f64 v[8:9], v[20:21], v[8:9], 0xbfd5555555555523
	s_delay_alu instid0(VALU_DEP_1) | instskip(NEXT) | instid1(VALU_DEP_4)
	v_mul_f64_e32 v[8:9], v[20:21], v[8:9]
	v_add_f64_e32 v[4:5], v[26:27], v[4:5]
	s_delay_alu instid0(VALU_DEP_2) | instskip(NEXT) | instid1(VALU_DEP_2)
	v_fmac_f64_e32 v[10:11], v[10:11], v[8:9]
	v_dual_cndmask_b32 v4, v4, v12 :: v_dual_cndmask_b32 v5, v5, v13
	v_cmp_ngt_f64_e32 vcc_lo, 0, v[12:13]
	s_delay_alu instid0(VALU_DEP_2) | instskip(SKIP_1) | instid1(VALU_DEP_4)
	v_cndmask_b32_e32 v5, 0x7ff80000, v5, vcc_lo
	v_cmp_nge_f64_e32 vcc_lo, 0, v[12:13]
	v_cndmask_b32_e32 v8, 0, v4, vcc_lo
	v_cmp_neq_f64_e32 vcc_lo, 0, v[12:13]
	s_delay_alu instid0(VALU_DEP_4)
	v_cndmask_b32_e32 v9, 0xfff00000, v5, vcc_lo
.LBB54_82:
	s_or_b32 exec_lo, exec_lo, s7
                                        ; implicit-def: $vgpr4_vgpr5
.LBB54_83:
	s_and_not1_saveexec_b32 s6, s6
	s_cbranch_execz .LBB54_85
; %bb.84:
	s_mov_b64 s[8:9], 0xc005bf0a8b145769
	s_and_not1_b32 s5, s5, exec_lo
	v_div_scale_f64 v[8:9], null, s[8:9], s[8:9], v[2:3]
	v_div_scale_f64 v[10:11], null, s[8:9], s[8:9], v[0:1]
	v_div_scale_f64 v[20:21], vcc_lo, v[2:3], s[8:9], v[2:3]
	s_delay_alu instid0(VALU_DEP_3) | instskip(NEXT) | instid1(VALU_DEP_2)
	v_rcp_f64_e32 v[12:13], v[8:9]
	v_rcp_f64_e32 v[14:15], v[10:11]
	s_delay_alu instid0(TRANS32_DEP_2) | instskip(NEXT) | instid1(TRANS32_DEP_1)
	v_fma_f64 v[16:17], -v[8:9], v[12:13], 1.0
	v_fma_f64 v[18:19], -v[10:11], v[14:15], 1.0
	s_delay_alu instid0(VALU_DEP_2) | instskip(NEXT) | instid1(VALU_DEP_2)
	v_fmac_f64_e32 v[12:13], v[12:13], v[16:17]
	v_fmac_f64_e32 v[14:15], v[14:15], v[18:19]
	s_delay_alu instid0(VALU_DEP_2) | instskip(NEXT) | instid1(VALU_DEP_2)
	v_fma_f64 v[16:17], -v[8:9], v[12:13], 1.0
	v_fma_f64 v[18:19], -v[10:11], v[14:15], 1.0
	s_delay_alu instid0(VALU_DEP_2) | instskip(SKIP_1) | instid1(VALU_DEP_3)
	v_fmac_f64_e32 v[12:13], v[12:13], v[16:17]
	v_div_scale_f64 v[16:17], s1, v[0:1], s[8:9], v[0:1]
	v_fmac_f64_e32 v[14:15], v[14:15], v[18:19]
	s_delay_alu instid0(VALU_DEP_3) | instskip(NEXT) | instid1(VALU_DEP_2)
	v_mul_f64_e32 v[18:19], v[20:21], v[12:13]
	v_mul_f64_e32 v[22:23], v[16:17], v[14:15]
	s_delay_alu instid0(VALU_DEP_2) | instskip(NEXT) | instid1(VALU_DEP_2)
	v_fma_f64 v[8:9], -v[8:9], v[18:19], v[20:21]
	v_fma_f64 v[10:11], -v[10:11], v[22:23], v[16:17]
	s_delay_alu instid0(VALU_DEP_2) | instskip(SKIP_1) | instid1(VALU_DEP_2)
	v_div_fmas_f64 v[8:9], v[8:9], v[12:13], v[18:19]
	s_mov_b32 vcc_lo, s1
	v_div_fmas_f64 v[10:11], v[10:11], v[14:15], v[22:23]
	s_delay_alu instid0(VALU_DEP_2) | instskip(NEXT) | instid1(VALU_DEP_2)
	v_div_fixup_f64 v[8:9], v[8:9], s[8:9], v[2:3]
	v_div_fixup_f64 v[10:11], v[10:11], s[8:9], v[0:1]
	s_mov_b64 s[8:9], 0x3fe5555555555555
	s_delay_alu instid0(VALU_DEP_2) | instskip(NEXT) | instid1(VALU_DEP_2)
	v_cmp_class_f64_e64 s1, v[8:9], 0x204
	v_max_num_f64_e64 v[12:13], |v[8:9]|, |v[10:11]|
	v_cmp_class_f64_e64 s7, v[10:11], 0x204
	s_delay_alu instid0(VALU_DEP_2) | instskip(SKIP_2) | instid1(VALU_DEP_2)
	v_frexp_exp_i32_f64_e32 v6, v[12:13]
	s_or_b32 s1, s7, s1
	v_cmp_class_f64_e64 s7, v[0:1], 0x204
	v_sub_nc_u32_e32 v14, 0, v6
	s_delay_alu instid0(VALU_DEP_1) | instskip(SKIP_1) | instid1(VALU_DEP_2)
	v_ldexp_f64 v[12:13], |v[10:11]|, v14
	v_ldexp_f64 v[14:15], |v[8:9]|, v14
	v_mul_f64_e32 v[12:13], v[12:13], v[12:13]
	s_delay_alu instid0(VALU_DEP_1) | instskip(NEXT) | instid1(VALU_DEP_1)
	v_fmac_f64_e32 v[12:13], v[14:15], v[14:15]
	v_rsq_f64_e32 v[14:15], v[12:13]
	v_cmp_eq_f64_e32 vcc_lo, 0, v[12:13]
	s_delay_alu instid0(TRANS32_DEP_1) | instskip(SKIP_1) | instid1(VALU_DEP_1)
	v_mul_f64_e32 v[16:17], v[12:13], v[14:15]
	v_mul_f64_e32 v[14:15], 0.5, v[14:15]
	v_fma_f64 v[18:19], -v[14:15], v[16:17], 0.5
	s_delay_alu instid0(VALU_DEP_1) | instskip(SKIP_1) | instid1(VALU_DEP_2)
	v_fmac_f64_e32 v[16:17], v[16:17], v[18:19]
	v_fmac_f64_e32 v[14:15], v[14:15], v[18:19]
	v_fma_f64 v[18:19], -v[16:17], v[16:17], v[12:13]
	s_delay_alu instid0(VALU_DEP_1) | instskip(NEXT) | instid1(VALU_DEP_1)
	v_fmac_f64_e32 v[16:17], v[18:19], v[14:15]
	v_dual_cndmask_b32 v13, v17, v13 :: v_dual_cndmask_b32 v12, v16, v12
	s_delay_alu instid0(VALU_DEP_1) | instskip(NEXT) | instid1(VALU_DEP_1)
	v_ldexp_f64 v[8:9], v[12:13], v6
	v_cndmask_b32_e64 v13, v9, 0x7ff00000, s1
	s_delay_alu instid0(VALU_DEP_2) | instskip(NEXT) | instid1(VALU_DEP_1)
	v_cndmask_b32_e64 v12, v8, 0, s1
	v_frexp_mant_f64_e32 v[8:9], v[12:13]
	v_cmp_ngt_f64_e64 s1, 0, v[12:13]
	s_delay_alu instid0(VALU_DEP_2) | instskip(SKIP_2) | instid1(VALU_DEP_1)
	v_cmp_gt_f64_e32 vcc_lo, s[8:9], v[8:9]
	s_mov_b64 s[8:9], 0x3fc3ab76bf559e2b
	v_cndmask_b32_e64 v6, 0, 1, vcc_lo
	v_ldexp_f64 v[8:9], v[8:9], v6
	v_frexp_exp_i32_f64_e32 v6, v[12:13]
	s_delay_alu instid0(VALU_DEP_2) | instskip(SKIP_1) | instid1(VALU_DEP_3)
	v_add_f64_e32 v[10:11], 1.0, v[8:9]
	v_add_f64_e32 v[18:19], -1.0, v[8:9]
	v_subrev_co_ci_u32_e64 v6, null, 0, v6, vcc_lo
	s_delay_alu instid0(VALU_DEP_1) | instskip(NEXT) | instid1(VALU_DEP_4)
	v_cvt_f64_i32_e32 v[24:25], v6
	v_rcp_f64_e32 v[14:15], v[10:11]
	v_add_f64_e32 v[20:21], -1.0, v[10:11]
	s_delay_alu instid0(VALU_DEP_2) | instskip(NEXT) | instid1(VALU_DEP_2)
	v_mul_f64_e32 v[26:27], 0x3fe62e42fefa39ef, v[24:25]
	v_add_f64_e64 v[8:9], v[8:9], -v[20:21]
	s_delay_alu instid0(TRANS32_DEP_1) | instskip(NEXT) | instid1(VALU_DEP_1)
	v_fma_f64 v[16:17], -v[10:11], v[14:15], 1.0
	v_fmac_f64_e32 v[14:15], v[16:17], v[14:15]
	s_delay_alu instid0(VALU_DEP_1) | instskip(NEXT) | instid1(VALU_DEP_1)
	v_fma_f64 v[16:17], -v[10:11], v[14:15], 1.0
	v_fmac_f64_e32 v[14:15], v[16:17], v[14:15]
	s_delay_alu instid0(VALU_DEP_1) | instskip(NEXT) | instid1(VALU_DEP_1)
	v_mul_f64_e32 v[16:17], v[18:19], v[14:15]
	v_mul_f64_e32 v[22:23], v[10:11], v[16:17]
	s_delay_alu instid0(VALU_DEP_1) | instskip(NEXT) | instid1(VALU_DEP_1)
	v_fma_f64 v[10:11], v[16:17], v[10:11], -v[22:23]
	v_fmac_f64_e32 v[10:11], v[16:17], v[8:9]
	s_delay_alu instid0(VALU_DEP_1) | instskip(NEXT) | instid1(VALU_DEP_1)
	v_add_f64_e32 v[8:9], v[22:23], v[10:11]
	v_add_f64_e64 v[20:21], v[18:19], -v[8:9]
	v_add_f64_e64 v[22:23], v[8:9], -v[22:23]
	s_delay_alu instid0(VALU_DEP_2) | instskip(NEXT) | instid1(VALU_DEP_2)
	v_add_f64_e64 v[18:19], v[18:19], -v[20:21]
	v_add_f64_e64 v[10:11], v[22:23], -v[10:11]
	v_max_num_f64_e64 v[22:23], -v[2:3], -v[2:3]
	s_delay_alu instid0(VALU_DEP_3) | instskip(NEXT) | instid1(VALU_DEP_1)
	v_add_f64_e64 v[8:9], v[18:19], -v[8:9]
	v_add_f64_e32 v[8:9], v[10:11], v[8:9]
	s_delay_alu instid0(VALU_DEP_1) | instskip(NEXT) | instid1(VALU_DEP_1)
	v_add_f64_e32 v[8:9], v[20:21], v[8:9]
	v_mul_f64_e32 v[8:9], v[14:15], v[8:9]
	s_delay_alu instid0(VALU_DEP_1) | instskip(NEXT) | instid1(VALU_DEP_1)
	v_add_f64_e32 v[10:11], v[16:17], v[8:9]
	v_mul_f64_e32 v[14:15], v[10:11], v[10:11]
	s_delay_alu instid0(VALU_DEP_1) | instskip(SKIP_2) | instid1(SALU_CYCLE_1)
	v_fmaak_f64 v[18:19], s[8:9], v[14:15], 0x3fc385386b47b09a
	v_mul_f64_e32 v[20:21], v[10:11], v[14:15]
	s_mov_b64 s[8:9], 0x3fe62e42fefa39ef
	v_fma_f64 v[28:29], v[24:25], s[8:9], -v[26:27]
	s_mov_b64 s[8:9], 0x3eeba404b5e68a13
	s_delay_alu instid0(VALU_DEP_3) | instskip(NEXT) | instid1(VALU_DEP_1)
	v_fmaak_f64 v[18:19], v[14:15], v[18:19], 0x3fc7474dd7f4df2e
	v_fmaak_f64 v[18:19], v[14:15], v[18:19], 0x3fcc71c016291751
	s_delay_alu instid0(VALU_DEP_1) | instskip(NEXT) | instid1(VALU_DEP_1)
	v_fmaak_f64 v[18:19], v[14:15], v[18:19], 0x3fd249249b27acf1
	v_fmaak_f64 v[18:19], v[14:15], v[18:19], 0x3fd99999998ef7b6
	s_delay_alu instid0(VALU_DEP_1) | instskip(SKIP_2) | instid1(VALU_DEP_3)
	v_fmaak_f64 v[14:15], v[14:15], v[18:19], 0x3fe5555555555780
	v_ldexp_f64 v[18:19], v[10:11], 1
	v_add_f64_e64 v[10:11], v[10:11], -v[16:17]
	v_mul_f64_e32 v[14:15], v[20:21], v[14:15]
	s_wait_dscnt 0x0
	v_max_num_f64_e32 v[20:21], v[22:23], v[4:5]
	v_min_num_f64_e32 v[4:5], v[22:23], v[4:5]
	s_delay_alu instid0(VALU_DEP_4) | instskip(NEXT) | instid1(VALU_DEP_4)
	v_add_f64_e64 v[8:9], v[8:9], -v[10:11]
	v_add_f64_e32 v[16:17], v[18:19], v[14:15]
	s_delay_alu instid0(VALU_DEP_3) | instskip(SKIP_1) | instid1(VALU_DEP_4)
	v_div_scale_f64 v[22:23], null, v[20:21], v[20:21], v[4:5]
	v_div_scale_f64 v[32:33], vcc_lo, v[4:5], v[20:21], v[4:5]
	v_ldexp_f64 v[8:9], v[8:9], 1
	s_delay_alu instid0(VALU_DEP_4) | instskip(NEXT) | instid1(VALU_DEP_4)
	v_add_f64_e64 v[10:11], v[16:17], -v[18:19]
	v_rcp_f64_e32 v[18:19], v[22:23]
	s_delay_alu instid0(VALU_DEP_1) | instskip(NEXT) | instid1(TRANS32_DEP_1)
	v_add_f64_e64 v[10:11], v[14:15], -v[10:11]
	v_fma_f64 v[14:15], -v[22:23], v[18:19], 1.0
	s_delay_alu instid0(VALU_DEP_2) | instskip(SKIP_1) | instid1(VALU_DEP_3)
	v_add_f64_e32 v[8:9], v[8:9], v[10:11]
	v_fmamk_f64 v[10:11], v[24:25], 0x3c7abc9e3b39803f, v[28:29]
	v_fmac_f64_e32 v[18:19], v[18:19], v[14:15]
	s_delay_alu instid0(VALU_DEP_2) | instskip(NEXT) | instid1(VALU_DEP_4)
	v_add_f64_e32 v[14:15], v[26:27], v[10:11]
	v_add_f64_e32 v[24:25], v[16:17], v[8:9]
	s_delay_alu instid0(VALU_DEP_3) | instskip(NEXT) | instid1(VALU_DEP_3)
	v_fma_f64 v[28:29], -v[22:23], v[18:19], 1.0
	v_add_f64_e64 v[26:27], v[14:15], -v[26:27]
	s_delay_alu instid0(VALU_DEP_3) | instskip(SKIP_1) | instid1(VALU_DEP_4)
	v_add_f64_e32 v[30:31], v[14:15], v[24:25]
	v_add_f64_e64 v[16:17], v[24:25], -v[16:17]
	v_fmac_f64_e32 v[18:19], v[18:19], v[28:29]
	s_delay_alu instid0(VALU_DEP_4) | instskip(NEXT) | instid1(VALU_DEP_4)
	v_add_f64_e64 v[26:27], v[10:11], -v[26:27]
	v_add_f64_e64 v[28:29], v[30:31], -v[14:15]
	s_delay_alu instid0(VALU_DEP_4) | instskip(NEXT) | instid1(VALU_DEP_4)
	v_add_f64_e64 v[8:9], v[8:9], -v[16:17]
	v_mul_f64_e32 v[34:35], v[32:33], v[18:19]
	s_delay_alu instid0(VALU_DEP_3) | instskip(SKIP_1) | instid1(VALU_DEP_3)
	v_add_f64_e64 v[36:37], v[30:31], -v[28:29]
	v_add_f64_e64 v[10:11], v[24:25], -v[28:29]
	v_fma_f64 v[22:23], -v[22:23], v[34:35], v[32:33]
	s_delay_alu instid0(VALU_DEP_3) | instskip(NEXT) | instid1(VALU_DEP_2)
	v_add_f64_e64 v[14:15], v[14:15], -v[36:37]
	v_div_fmas_f64 v[16:17], v[22:23], v[18:19], v[34:35]
	v_add_f64_e32 v[18:19], v[26:27], v[8:9]
	v_cmp_class_f64_e64 vcc_lo, v[12:13], 0x204
	s_delay_alu instid0(VALU_DEP_4) | instskip(NEXT) | instid1(VALU_DEP_4)
	v_add_f64_e32 v[14:15], v[10:11], v[14:15]
	v_div_fixup_f64 v[10:11], v[16:17], v[20:21], v[4:5]
	s_delay_alu instid0(VALU_DEP_4) | instskip(NEXT) | instid1(VALU_DEP_3)
	v_add_f64_e64 v[4:5], v[18:19], -v[26:27]
	v_add_f64_e32 v[14:15], v[18:19], v[14:15]
	s_delay_alu instid0(VALU_DEP_3) | instskip(NEXT) | instid1(VALU_DEP_3)
	v_mul_f64_e32 v[16:17], v[10:11], v[10:11]
	v_add_f64_e64 v[18:19], v[18:19], -v[4:5]
	v_add_f64_e64 v[4:5], v[8:9], -v[4:5]
	s_delay_alu instid0(VALU_DEP_4) | instskip(NEXT) | instid1(VALU_DEP_4)
	v_add_f64_e32 v[20:21], v[30:31], v[14:15]
	v_fmaak_f64 v[22:23], s[8:9], v[16:17], 0xbf23e260bd3237f4
	s_delay_alu instid0(VALU_DEP_4) | instskip(NEXT) | instid1(VALU_DEP_2)
	v_add_f64_e64 v[8:9], v[26:27], -v[18:19]
	v_fmaak_f64 v[22:23], v[16:17], v[22:23], 0x3f4b2bb069efb384
	s_delay_alu instid0(VALU_DEP_1) | instskip(NEXT) | instid1(VALU_DEP_1)
	v_fmaak_f64 v[22:23], v[16:17], v[22:23], 0xbf67952daf56de9b
	v_fmaak_f64 v[22:23], v[16:17], v[22:23], 0x3f7d6d43a595c56f
	v_add_f64_e64 v[18:19], v[20:21], -v[30:31]
	s_delay_alu instid0(VALU_DEP_2) | instskip(SKIP_1) | instid1(VALU_DEP_2)
	v_fmaak_f64 v[22:23], v[16:17], v[22:23], 0xbf8c6ea4a57d9582
	v_add_f64_e32 v[4:5], v[4:5], v[8:9]
	v_fmaak_f64 v[22:23], v[16:17], v[22:23], 0x3f967e295f08b19f
	s_delay_alu instid0(VALU_DEP_1) | instskip(NEXT) | instid1(VALU_DEP_1)
	v_fmaak_f64 v[22:23], v[16:17], v[22:23], 0xbf9e9ae6fc27006a
	v_fmaak_f64 v[22:23], v[16:17], v[22:23], 0x3fa2c15b5711927a
	v_add_f64_e64 v[8:9], v[14:15], -v[18:19]
	s_delay_alu instid0(VALU_DEP_2) | instskip(NEXT) | instid1(VALU_DEP_1)
	v_fmaak_f64 v[14:15], v[16:17], v[22:23], 0xbfa59976e82d3ff0
	v_fmaak_f64 v[14:15], v[16:17], v[14:15], 0x3fa82d5d6ef28734
	s_delay_alu instid0(VALU_DEP_1) | instskip(NEXT) | instid1(VALU_DEP_1)
	v_fmaak_f64 v[14:15], v[16:17], v[14:15], 0xbfaae5ce6a214619
	v_fmaak_f64 v[14:15], v[16:17], v[14:15], 0x3fae1bb48427b883
	s_delay_alu instid0(VALU_DEP_1) | instskip(SKIP_1) | instid1(VALU_DEP_2)
	v_fmaak_f64 v[14:15], v[16:17], v[14:15], 0xbfb110e48b207f05
	v_add_f64_e32 v[4:5], v[4:5], v[8:9]
	v_fmaak_f64 v[8:9], v[16:17], v[14:15], 0x3fb3b13657b87036
	s_delay_alu instid0(VALU_DEP_1) | instskip(NEXT) | instid1(VALU_DEP_1)
	v_fmaak_f64 v[8:9], v[16:17], v[8:9], 0xbfb745d119378e4f
	v_fmaak_f64 v[8:9], v[16:17], v[8:9], 0x3fbc71c717e1913c
	s_delay_alu instid0(VALU_DEP_1) | instskip(NEXT) | instid1(VALU_DEP_1)
	v_fmaak_f64 v[8:9], v[16:17], v[8:9], 0xbfc2492492376b7d
	v_fmaak_f64 v[8:9], v[16:17], v[8:9], 0x3fc99999999952cc
	v_add_f64_e32 v[4:5], v[20:21], v[4:5]
	s_delay_alu instid0(VALU_DEP_2) | instskip(NEXT) | instid1(VALU_DEP_1)
	v_fmaak_f64 v[8:9], v[16:17], v[8:9], 0xbfd5555555555523
	v_mul_f64_e32 v[8:9], v[16:17], v[8:9]
	s_delay_alu instid0(VALU_DEP_3) | instskip(SKIP_1) | instid1(VALU_DEP_2)
	v_dual_cndmask_b32 v5, v5, v13 :: v_dual_cndmask_b32 v4, v4, v12
	v_cmp_eq_f64_e32 vcc_lo, 0xfff00000, v[2:3]
	v_add_f64_e32 v[4:5], 1.0, v[4:5]
	s_delay_alu instid0(VALU_DEP_4) | instskip(NEXT) | instid1(VALU_DEP_2)
	v_fmac_f64_e32 v[10:11], v[10:11], v[8:9]
	v_cndmask_b32_e64 v2, 0x7ff80000, v5, s1
	s_and_b32 s1, vcc_lo, s7
	v_cmp_nge_f64_e32 vcc_lo, 0, v[12:13]
	s_and_b32 s1, s1, exec_lo
	s_delay_alu instid0(SALU_CYCLE_1) | instskip(NEXT) | instid1(VALU_DEP_4)
	s_or_b32 s5, s5, s1
	v_cndmask_b32_e32 v8, 0, v4, vcc_lo
	v_cmp_neq_f64_e32 vcc_lo, 0, v[12:13]
	v_cndmask_b32_e32 v9, 0xfff00000, v2, vcc_lo
.LBB54_85:
	s_or_b32 exec_lo, exec_lo, s6
	s_mov_b64 s[6:7], 0x3ff921fb54442d18
	v_cmp_gt_i32_e32 vcc_lo, 0, v7
	s_wait_dscnt 0x0
	s_delay_alu instid0(VALU_DEP_4) | instskip(NEXT) | instid1(VALU_DEP_1)
	v_add_f64_e64 v[4:5], -v[10:11], s[6:7]
	v_dual_cndmask_b32 v5, v11, v5, s0 :: v_dual_cndmask_b32 v4, v10, v4, s0
	s_mov_b64 s[0:1], 0x400921fb54442d18
	s_delay_alu instid0(VALU_DEP_1) | instid1(SALU_CYCLE_1)
	v_add_f64_e64 v[10:11], -v[4:5], s[0:1]
	v_cmp_eq_f64_e64 s0, 0, v[0:1]
	v_ashrrev_i32_e32 v6, 31, v7
	v_mov_b32_e32 v2, 0x4002d97c
	v_mov_b32_e32 v0, 0x7f3321d2
	s_delay_alu instid0(VALU_DEP_1) | instskip(SKIP_4) | instid1(VALU_DEP_3)
	v_cndmask_b32_e32 v0, 0x54442d18, v0, vcc_lo
	v_dual_cndmask_b32 v5, v5, v11 :: v_dual_cndmask_b32 v4, v4, v10
	v_and_b32_e32 v7, 0x400921fb, v6
	v_cndmask_b32_e32 v2, 0x3fe921fb, v2, vcc_lo
	v_and_b32_e32 v6, 0x54442d18, v6
	v_cndmask_b32_e64 v5, v5, v7, s0
	v_xor_b32_e32 v7, 0x80000000, v1
	s_delay_alu instid0(VALU_DEP_3) | instskip(NEXT) | instid1(VALU_DEP_1)
	v_cndmask_b32_e64 v4, v4, v6, s0
	v_dual_cndmask_b32 v2, v5, v2, s5 :: v_dual_cndmask_b32 v12, v4, v0, s5
	s_delay_alu instid0(VALU_DEP_1)
	v_bfi_b32 v13, 0x7fffffff, v2, v7
.LBB54_86:
	s_or_b32 exec_lo, exec_lo, s4
	s_wait_dscnt 0x0
	v_add_f64_e32 v[4:5], 0x3fe62e42fefa39ef, v[8:9]
	s_delay_alu instid0(VALU_DEP_2) | instskip(NEXT) | instid1(VALU_DEP_1)
	v_bfi_b32 v13, 0x7fffffff, v13, v1
	v_mov_b64_e32 v[0:1], v[12:13]
	s_delay_alu instid0(VALU_DEP_3) | instskip(NEXT) | instid1(VALU_DEP_1)
	v_bfi_b32 v5, 0x7fffffff, v5, v3
	v_mov_b64_e32 v[2:3], v[4:5]
.LBB54_87:
	s_or_b32 exec_lo, exec_lo, s3
	s_and_not1_saveexec_b32 s0, s2
	s_cbranch_execz .LBB54_2
.LBB54_88:
	s_delay_alu instid0(VALU_DEP_1) | instskip(SKIP_1) | instid1(SALU_CYCLE_1)
	v_cmp_neq_f64_e64 s1, 0x7ff00000, |v[2:3]|
                                        ; implicit-def: $vgpr4_vgpr5
                                        ; implicit-def: $vgpr6_vgpr7
	s_and_saveexec_b32 s2, s1
	s_xor_b32 s1, exec_lo, s2
	s_cbranch_execz .LBB54_98
; %bb.89:
	v_cmp_neq_f64_e64 s2, 0x7ff00000, |v[0:1]|
                                        ; implicit-def: $vgpr4_vgpr5
                                        ; implicit-def: $vgpr6_vgpr7
	s_and_saveexec_b32 s3, s2
	s_delay_alu instid0(SALU_CYCLE_1)
	s_xor_b32 s2, exec_lo, s3
	s_cbranch_execz .LBB54_95
; %bb.90:
	s_mov_b32 s3, exec_lo
                                        ; implicit-def: $vgpr4_vgpr5
	v_cmpx_neq_f64_e32 0, v[0:1]
	s_xor_b32 s3, exec_lo, s3
	s_cbranch_execz .LBB54_92
; %bb.91:
	v_add_f64_e32 v[2:3], 0, v[2:3]
	s_wait_dscnt 0x0
	s_delay_alu instid0(VALU_DEP_1)
	v_add_f64_e32 v[4:5], v[0:1], v[2:3]
                                        ; implicit-def: $vgpr2_vgpr3
                                        ; implicit-def: $vgpr0_vgpr1
.LBB54_92:
	s_or_saveexec_b32 s3, s3
	s_wait_dscnt 0x0
	s_delay_alu instid0(VALU_DEP_1)
	v_mov_b64_e32 v[6:7], v[4:5]
	s_xor_b32 exec_lo, exec_lo, s3
	s_cbranch_execz .LBB54_94
; %bb.93:
	v_add_f64_e32 v[6:7], v[2:3], v[2:3]
	v_mov_b64_e32 v[4:5], v[0:1]
.LBB54_94:
	s_or_b32 exec_lo, exec_lo, s3
                                        ; implicit-def: $vgpr2_vgpr3
                                        ; implicit-def: $vgpr0_vgpr1
.LBB54_95:
	s_and_not1_saveexec_b32 s2, s2
	s_cbranch_execz .LBB54_97
; %bb.96:
	s_wait_dscnt 0x0
	v_add_f64_e32 v[4:5], v[2:3], v[2:3]
	v_mov_b64_e32 v[6:7], v[0:1]
.LBB54_97:
	s_or_b32 exec_lo, exec_lo, s2
                                        ; implicit-def: $vgpr0_vgpr1
                                        ; implicit-def: $vgpr2_vgpr3
.LBB54_98:
	s_and_not1_saveexec_b32 s1, s1
	s_cbranch_execz .LBB54_100
; %bb.99:
	s_wait_dscnt 0x0
	v_add_f64_e32 v[4:5], v[0:1], v[0:1]
	v_mov_b64_e32 v[6:7], v[2:3]
.LBB54_100:
	s_or_b32 exec_lo, exec_lo, s1
	s_delay_alu instid0(VALU_DEP_1) | instskip(SKIP_1) | instid1(VALU_DEP_2)
	v_mov_b64_e32 v[2:3], v[6:7]
	s_wait_dscnt 0x0
	v_mov_b64_e32 v[0:1], v[4:5]
	s_or_b32 exec_lo, exec_lo, s0
	s_set_pc_i64 s[30:31]
.Lfunc_end54:
	.size	_ZNK2at6native4AsinIN3c107complexIdEEEclES4_, .Lfunc_end54-_ZNK2at6native4AsinIN3c107complexIdEEEclES4_
                                        ; -- End function
	.set .L_ZNK2at6native4AsinIN3c107complexIdEEEclES4_.num_vgpr, 49
	.set .L_ZNK2at6native4AsinIN3c107complexIdEEEclES4_.num_agpr, 0
	.set .L_ZNK2at6native4AsinIN3c107complexIdEEEclES4_.numbered_sgpr, 33
	.set .L_ZNK2at6native4AsinIN3c107complexIdEEEclES4_.num_named_barrier, 0
	.set .L_ZNK2at6native4AsinIN3c107complexIdEEEclES4_.private_seg_size, 12
	.set .L_ZNK2at6native4AsinIN3c107complexIdEEEclES4_.uses_vcc, 1
	.set .L_ZNK2at6native4AsinIN3c107complexIdEEEclES4_.uses_flat_scratch, 0
	.set .L_ZNK2at6native4AsinIN3c107complexIdEEEclES4_.has_dyn_sized_stack, 0
	.set .L_ZNK2at6native4AsinIN3c107complexIdEEEclES4_.has_recursion, 0
	.set .L_ZNK2at6native4AsinIN3c107complexIdEEEclES4_.has_indirect_call, 0
	.section	.AMDGPU.csdata,"",@progbits
; Function info:
; codeLenInByte = 16596
; TotalNumSgprs: 35
; NumVgprs: 49
; ScratchSize: 12
; MemoryBound: 0
	.section	.text._ZN2at6native12_GLOBAL__N_125multi_tensor_apply_kernelINS1_18TensorListMetadataILi2EEENS1_14UnaryOpFunctorIN3c107complexIdEELi2ELi1ELi1EEEJNS0_4AsinIS8_EEEEEvT_T0_DpT1_,"axG",@progbits,_ZN2at6native12_GLOBAL__N_125multi_tensor_apply_kernelINS1_18TensorListMetadataILi2EEENS1_14UnaryOpFunctorIN3c107complexIdEELi2ELi1ELi1EEEJNS0_4AsinIS8_EEEEEvT_T0_DpT1_,comdat
	.globl	_ZN2at6native12_GLOBAL__N_125multi_tensor_apply_kernelINS1_18TensorListMetadataILi2EEENS1_14UnaryOpFunctorIN3c107complexIdEELi2ELi1ELi1EEEJNS0_4AsinIS8_EEEEEvT_T0_DpT1_ ; -- Begin function _ZN2at6native12_GLOBAL__N_125multi_tensor_apply_kernelINS1_18TensorListMetadataILi2EEENS1_14UnaryOpFunctorIN3c107complexIdEELi2ELi1ELi1EEEJNS0_4AsinIS8_EEEEEvT_T0_DpT1_
	.p2align	8
	.type	_ZN2at6native12_GLOBAL__N_125multi_tensor_apply_kernelINS1_18TensorListMetadataILi2EEENS1_14UnaryOpFunctorIN3c107complexIdEELi2ELi1ELi1EEEJNS0_4AsinIS8_EEEEEvT_T0_DpT1_,@function
_ZN2at6native12_GLOBAL__N_125multi_tensor_apply_kernelINS1_18TensorListMetadataILi2EEENS1_14UnaryOpFunctorIN3c107complexIdEELi2ELi1ELi1EEEJNS0_4AsinIS8_EEEEEvT_T0_DpT1_: ; @_ZN2at6native12_GLOBAL__N_125multi_tensor_apply_kernelINS1_18TensorListMetadataILi2EEENS1_14UnaryOpFunctorIN3c107complexIdEELi2ELi1ELi1EEEJNS0_4AsinIS8_EEEEEvT_T0_DpT1_
; %bb.0:
	s_mov_b64 s[12:13], s[0:1]
	s_bfe_u32 s0, ttmp6, 0x4000c
	s_and_b32 s1, ttmp6, 15
	s_add_co_i32 s0, s0, 1
	s_getreg_b32 s2, hwreg(HW_REG_IB_STS2, 6, 4)
	s_mul_i32 s0, ttmp9, s0
	v_mov_b32_e32 v54, v0
	s_add_co_i32 s1, s1, s0
	s_cmp_eq_u32 s2, 0
	s_mov_b32 s32, 0
	s_cselect_b32 s0, ttmp9, s1
	s_mov_b32 s1, 0
	s_load_u8 s14, s[12:13], s0 offset:0x600
	s_add_nc_u64 s[2:3], s[12:13], s[0:1]
	s_mul_u64 s[4:5], s[0:1], 3
	s_delay_alu instid0(SALU_CYCLE_1)
	s_add_nc_u64 s[2:3], s[2:3], s[4:5]
	s_load_b32 s4, s[2:3], 0x740
	s_wait_kmcnt 0x0
	s_clause 0x2
	s_load_b64 s[6:7], s[12:13], s14 offset:0x0 scale_offset
	s_load_b64 s[8:9], s[12:13], s14 offset:0x200 scale_offset
	;; [unrolled: 1-line block ×3, first 2 shown]
	s_ashr_i32 s5, s4, 31
	s_delay_alu instid0(SALU_CYCLE_1)
	s_lshl_b64 s[2:3], s[4:5], 20
	s_lshl_b64 s[4:5], s[4:5], 16
	s_wait_kmcnt 0x0
	s_add_nc_u64 s[18:19], s[8:9], s[2:3]
	s_add_nc_u64 s[16:17], s[6:7], s[2:3]
	s_and_b32 s2, s10, 3
	s_and_b64 s[6:7], s[18:19], 63
	s_mov_b32 s3, s1
	s_and_b32 s0, s16, 63
	s_or_b64 s[2:3], s[6:7], s[2:3]
	s_sub_nc_u64 s[14:15], s[10:11], s[4:5]
	s_or_b64 s[0:1], s[2:3], s[0:1]
	s_delay_alu instid0(SALU_CYCLE_1)
	s_cmp_eq_u64 s[0:1], 0
	s_mov_b32 s0, -1
	s_cbranch_scc0 .LBB55_5
; %bb.1:
	v_min_i64 v[60:61], 0x10000, s[14:15]
	v_dual_mov_b32 v1, 0 :: v_dual_lshlrev_b32 v0, 2, v54
	s_mov_b32 s11, exec_lo
	s_delay_alu instid0(VALU_DEP_1)
	v_cmpx_lt_i64_e64 v[0:1], v[60:61]
	s_cbranch_execz .LBB55_4
; %bb.2:
	v_mov_b32_e32 v55, v1
	s_add_nc_u64 s[22:23], s[12:13], 0xc50
	s_mov_b32 s25, 0
	s_mov_b32 s26, 0
	s_get_pc_i64 s[20:21]
	s_add_nc_u64 s[20:21], s[20:21], _ZNK2at6native4AsinIN3c107complexIdEEEclES4_@rel64+4
	v_mov_b64_e32 v[62:63], v[54:55]
.LBB55_3:                               ; =>This Inner Loop Header: Depth=1
	s_delay_alu instid0(VALU_DEP_1) | instskip(NEXT) | instid1(VALU_DEP_1)
	v_lshlrev_b64_e32 v[64:65], 6, v[62:63]
	v_add_nc_u64_e32 v[4:5], s[16:17], v[64:65]
	s_clause 0x3
	global_load_b128 v[0:3], v[4:5], off
	global_load_b128 v[40:43], v[4:5], off offset:16
	global_load_b128 v[44:47], v[4:5], off offset:48
	global_load_b128 v[50:53], v[4:5], off offset:32
	s_swap_pc_i64 s[30:31], s[20:21]
	v_dual_mov_b32 v56, v0 :: v_dual_mov_b32 v57, v1
	v_dual_mov_b32 v58, v2 :: v_dual_mov_b32 v59, v3
	;; [unrolled: 1-line block ×4, first 2 shown]
	s_swap_pc_i64 s[30:31], s[20:21]
	s_delay_alu instid0(VALU_DEP_2) | instskip(NEXT) | instid1(VALU_DEP_2)
	v_dual_mov_b32 v40, v0 :: v_dual_mov_b32 v41, v1
	v_dual_mov_b32 v42, v2 :: v_dual_mov_b32 v43, v3
	;; [unrolled: 1-line block ×4, first 2 shown]
	s_swap_pc_i64 s[30:31], s[20:21]
	s_delay_alu instid0(VALU_DEP_2) | instskip(NEXT) | instid1(VALU_DEP_2)
	v_dual_mov_b32 v50, v0 :: v_dual_mov_b32 v51, v1
	v_dual_mov_b32 v52, v2 :: v_dual_mov_b32 v53, v3
	;; [unrolled: 1-line block ×4, first 2 shown]
	s_swap_pc_i64 s[30:31], s[20:21]
	s_wait_xcnt 0x0
	v_add_nc_u64_e32 v[4:5], s[18:19], v[64:65]
	s_clause 0x3
	global_store_b128 v[4:5], v[56:59], off
	global_store_b128 v[4:5], v[40:43], off offset:16
	global_store_b128 v[4:5], v[50:53], off offset:32
	;; [unrolled: 1-line block ×3, first 2 shown]
	s_load_b32 s0, s[22:23], 0xc
	s_wait_kmcnt 0x0
	s_and_b32 s24, s0, 0xffff
	s_delay_alu instid0(SALU_CYCLE_1) | instskip(NEXT) | instid1(VALU_DEP_1)
	v_add_nc_u64_e32 v[62:63], s[24:25], v[62:63]
	v_lshlrev_b64_e32 v[0:1], 2, v[62:63]
	s_delay_alu instid0(VALU_DEP_1) | instskip(SKIP_1) | instid1(SALU_CYCLE_1)
	v_cmp_ge_i64_e32 vcc_lo, v[0:1], v[60:61]
	s_or_b32 s26, vcc_lo, s26
	s_and_not1_b32 exec_lo, exec_lo, s26
	s_cbranch_execnz .LBB55_3
.LBB55_4:
	s_or_b32 exec_lo, exec_lo, s11
	s_mov_b32 s0, 0
.LBB55_5:
	s_delay_alu instid0(SALU_CYCLE_1)
	s_and_not1_b32 vcc_lo, exec_lo, s0
	s_cbranch_vccnz .LBB55_25
; %bb.6:
	v_cmp_lt_i64_e64 s0, s[14:15], 1
	s_and_b32 vcc_lo, exec_lo, s0
	s_cbranch_vccnz .LBB55_25
; %bb.7:
	v_min_i64 v[60:61], 0x10000, s[14:15]
	v_min_u64 v[62:63], 0x10000, s[14:15]
	s_load_b32 s0, s[12:13], 0xc5c
	v_mov_b32_e32 v55, 0
	s_mov_b32 s21, 0
	s_mov_b64 s[34:35], 0
	s_wait_xcnt 0x0
	s_mov_b32 s23, s21
	s_mov_b32 s25, s21
	;; [unrolled: 1-line block ×3, first 2 shown]
	s_get_pc_i64 s[26:27]
	s_add_nc_u64 s[26:27], s[26:27], _ZNK2at6native4AsinIN3c107complexIdEEEclES4_@rel64+4
	s_wait_kmcnt 0x0
	s_and_b32 s20, s0, 0xffff
	s_delay_alu instid0(SALU_CYCLE_1)
	s_lshl_b32 s22, s20, 1
	s_mul_i32 s24, s20, 3
	s_lshl_b32 s28, s20, 2
	s_branch .LBB55_9
.LBB55_8:                               ;   in Loop: Header=BB55_9 Depth=1
	s_wait_xcnt 0x0
	s_or_b32 exec_lo, exec_lo, s0
	s_add_nc_u64 s[34:35], s[34:35], s[28:29]
	s_delay_alu instid0(SALU_CYCLE_1)
	v_cmp_ge_i64_e32 vcc_lo, s[34:35], v[60:61]
	s_cbranch_vccnz .LBB55_25
.LBB55_9:                               ; =>This Inner Loop Header: Depth=1
	v_add_nc_u64_e32 v[64:65], s[34:35], v[54:55]
	v_mov_b64_e32 v[6:7], 0
	v_mov_b64_e32 v[2:3], 0
	;; [unrolled: 1-line block ×3, first 2 shown]
	s_delay_alu instid0(VALU_DEP_4)
	v_cmp_lt_u64_e64 s11, v[64:65], v[62:63]
	s_and_saveexec_b32 s0, s11
	s_cbranch_execz .LBB55_11
; %bb.10:                               ;   in Loop: Header=BB55_9 Depth=1
	v_lshl_add_u64 v[0:1], v[64:65], 4, s[16:17]
	global_load_b128 v[0:3], v[0:1], off
.LBB55_11:                              ;   in Loop: Header=BB55_9 Depth=1
	s_wait_xcnt 0x0
	s_or_b32 exec_lo, exec_lo, s0
	v_add_nc_u64_e32 v[66:67], s[20:21], v[64:65]
	v_mov_b64_e32 v[4:5], 0
	s_delay_alu instid0(VALU_DEP_2)
	v_cmp_lt_u64_e64 s12, v[66:67], v[62:63]
	s_and_saveexec_b32 s0, s12
	s_cbranch_execz .LBB55_13
; %bb.12:                               ;   in Loop: Header=BB55_9 Depth=1
	v_lshl_add_u64 v[4:5], v[66:67], 4, s[16:17]
	global_load_b128 v[4:7], v[4:5], off
.LBB55_13:                              ;   in Loop: Header=BB55_9 Depth=1
	s_wait_xcnt 0x0
	s_or_b32 exec_lo, exec_lo, s0
	v_add_nc_u64_e32 v[68:69], s[22:23], v[64:65]
	v_mov_b64_e32 v[58:59], 0
	v_mov_b64_e32 v[42:43], 0
	;; [unrolled: 1-line block ×3, first 2 shown]
	s_delay_alu instid0(VALU_DEP_4)
	v_cmp_lt_u64_e64 s13, v[68:69], v[62:63]
	s_and_saveexec_b32 s0, s13
	s_cbranch_execz .LBB55_15
; %bb.14:                               ;   in Loop: Header=BB55_9 Depth=1
	v_lshl_add_u64 v[8:9], v[68:69], 4, s[16:17]
	global_load_b128 v[40:43], v[8:9], off
.LBB55_15:                              ;   in Loop: Header=BB55_9 Depth=1
	s_wait_xcnt 0x0
	s_or_b32 exec_lo, exec_lo, s0
	v_add_nc_u64_e32 v[70:71], s[24:25], v[64:65]
	s_wait_loadcnt 0x0
	v_mov_b64_e32 v[52:53], v[6:7]
	v_mov_b64_e32 v[50:51], v[4:5]
	;; [unrolled: 1-line block ×3, first 2 shown]
	s_delay_alu instid0(VALU_DEP_4)
	v_cmp_lt_u64_e64 s14, v[70:71], v[62:63]
	s_and_saveexec_b32 s0, s14
	s_cbranch_execz .LBB55_17
; %bb.16:                               ;   in Loop: Header=BB55_9 Depth=1
	v_lshl_add_u64 v[4:5], v[70:71], 4, s[16:17]
	global_load_b128 v[56:59], v[4:5], off
.LBB55_17:                              ;   in Loop: Header=BB55_9 Depth=1
	s_wait_xcnt 0x0
	s_or_b32 exec_lo, exec_lo, s0
	s_swap_pc_i64 s[30:31], s[26:27]
	v_dual_mov_b32 v44, v0 :: v_dual_mov_b32 v45, v1
	v_dual_mov_b32 v46, v2 :: v_dual_mov_b32 v47, v3
	v_mov_b64_e32 v[0:1], v[50:51]
	v_mov_b64_e32 v[2:3], v[52:53]
	s_swap_pc_i64 s[30:31], s[26:27]
	s_delay_alu instid0(VALU_DEP_2) | instskip(NEXT) | instid1(VALU_DEP_2)
	v_dual_mov_b32 v50, v0 :: v_dual_mov_b32 v51, v1
	v_dual_mov_b32 v52, v2 :: v_dual_mov_b32 v53, v3
	;; [unrolled: 1-line block ×4, first 2 shown]
	s_swap_pc_i64 s[30:31], s[26:27]
	s_delay_alu instid0(VALU_DEP_2) | instskip(NEXT) | instid1(VALU_DEP_2)
	v_dual_mov_b32 v40, v0 :: v_dual_mov_b32 v41, v1
	v_dual_mov_b32 v42, v2 :: v_dual_mov_b32 v43, v3
	;; [unrolled: 1-line block ×4, first 2 shown]
	s_swap_pc_i64 s[30:31], s[26:27]
	s_and_saveexec_b32 s0, s11
	s_cbranch_execnz .LBB55_21
; %bb.18:                               ;   in Loop: Header=BB55_9 Depth=1
	s_or_b32 exec_lo, exec_lo, s0
	s_and_saveexec_b32 s0, s12
	s_cbranch_execnz .LBB55_22
.LBB55_19:                              ;   in Loop: Header=BB55_9 Depth=1
	s_or_b32 exec_lo, exec_lo, s0
	s_and_saveexec_b32 s0, s13
	s_cbranch_execnz .LBB55_23
.LBB55_20:                              ;   in Loop: Header=BB55_9 Depth=1
	s_or_b32 exec_lo, exec_lo, s0
	s_and_saveexec_b32 s0, s14
	s_cbranch_execz .LBB55_8
	s_branch .LBB55_24
.LBB55_21:                              ;   in Loop: Header=BB55_9 Depth=1
	v_lshl_add_u64 v[4:5], v[64:65], 4, s[18:19]
	global_store_b128 v[4:5], v[44:47], off
	s_wait_xcnt 0x0
	s_or_b32 exec_lo, exec_lo, s0
	s_and_saveexec_b32 s0, s12
	s_cbranch_execz .LBB55_19
.LBB55_22:                              ;   in Loop: Header=BB55_9 Depth=1
	v_lshl_add_u64 v[4:5], v[66:67], 4, s[18:19]
	global_store_b128 v[4:5], v[50:53], off
	s_wait_xcnt 0x0
	s_or_b32 exec_lo, exec_lo, s0
	s_and_saveexec_b32 s0, s13
	s_cbranch_execz .LBB55_20
.LBB55_23:                              ;   in Loop: Header=BB55_9 Depth=1
	v_lshl_add_u64 v[4:5], v[68:69], 4, s[18:19]
	global_store_b128 v[4:5], v[40:43], off
	s_wait_xcnt 0x0
	s_or_b32 exec_lo, exec_lo, s0
	s_and_saveexec_b32 s0, s14
	s_cbranch_execz .LBB55_8
.LBB55_24:                              ;   in Loop: Header=BB55_9 Depth=1
	v_lshl_add_u64 v[4:5], v[70:71], 4, s[18:19]
	global_store_b128 v[4:5], v[0:3], off
	s_branch .LBB55_8
.LBB55_25:
	s_endpgm
	.section	.rodata,"a",@progbits
	.p2align	6, 0x0
	.amdhsa_kernel _ZN2at6native12_GLOBAL__N_125multi_tensor_apply_kernelINS1_18TensorListMetadataILi2EEENS1_14UnaryOpFunctorIN3c107complexIdEELi2ELi1ELi1EEEJNS0_4AsinIS8_EEEEEvT_T0_DpT1_
		.amdhsa_group_segment_fixed_size 0
		.amdhsa_private_segment_fixed_size 12
		.amdhsa_kernarg_size 3408
		.amdhsa_user_sgpr_count 2
		.amdhsa_user_sgpr_dispatch_ptr 0
		.amdhsa_user_sgpr_queue_ptr 0
		.amdhsa_user_sgpr_kernarg_segment_ptr 1
		.amdhsa_user_sgpr_dispatch_id 0
		.amdhsa_user_sgpr_kernarg_preload_length 0
		.amdhsa_user_sgpr_kernarg_preload_offset 0
		.amdhsa_user_sgpr_private_segment_size 0
		.amdhsa_wavefront_size32 1
		.amdhsa_uses_dynamic_stack 0
		.amdhsa_enable_private_segment 1
		.amdhsa_system_sgpr_workgroup_id_x 1
		.amdhsa_system_sgpr_workgroup_id_y 0
		.amdhsa_system_sgpr_workgroup_id_z 0
		.amdhsa_system_sgpr_workgroup_info 0
		.amdhsa_system_vgpr_workitem_id 0
		.amdhsa_next_free_vgpr 72
		.amdhsa_next_free_sgpr 36
		.amdhsa_named_barrier_count 0
		.amdhsa_reserve_vcc 1
		.amdhsa_float_round_mode_32 0
		.amdhsa_float_round_mode_16_64 0
		.amdhsa_float_denorm_mode_32 3
		.amdhsa_float_denorm_mode_16_64 3
		.amdhsa_fp16_overflow 0
		.amdhsa_memory_ordered 1
		.amdhsa_forward_progress 1
		.amdhsa_inst_pref_size 10
		.amdhsa_round_robin_scheduling 0
		.amdhsa_exception_fp_ieee_invalid_op 0
		.amdhsa_exception_fp_denorm_src 0
		.amdhsa_exception_fp_ieee_div_zero 0
		.amdhsa_exception_fp_ieee_overflow 0
		.amdhsa_exception_fp_ieee_underflow 0
		.amdhsa_exception_fp_ieee_inexact 0
		.amdhsa_exception_int_div_zero 0
	.end_amdhsa_kernel
	.section	.text._ZN2at6native12_GLOBAL__N_125multi_tensor_apply_kernelINS1_18TensorListMetadataILi2EEENS1_14UnaryOpFunctorIN3c107complexIdEELi2ELi1ELi1EEEJNS0_4AsinIS8_EEEEEvT_T0_DpT1_,"axG",@progbits,_ZN2at6native12_GLOBAL__N_125multi_tensor_apply_kernelINS1_18TensorListMetadataILi2EEENS1_14UnaryOpFunctorIN3c107complexIdEELi2ELi1ELi1EEEJNS0_4AsinIS8_EEEEEvT_T0_DpT1_,comdat
.Lfunc_end55:
	.size	_ZN2at6native12_GLOBAL__N_125multi_tensor_apply_kernelINS1_18TensorListMetadataILi2EEENS1_14UnaryOpFunctorIN3c107complexIdEELi2ELi1ELi1EEEJNS0_4AsinIS8_EEEEEvT_T0_DpT1_, .Lfunc_end55-_ZN2at6native12_GLOBAL__N_125multi_tensor_apply_kernelINS1_18TensorListMetadataILi2EEENS1_14UnaryOpFunctorIN3c107complexIdEELi2ELi1ELi1EEEJNS0_4AsinIS8_EEEEEvT_T0_DpT1_
                                        ; -- End function
	.set _ZN2at6native12_GLOBAL__N_125multi_tensor_apply_kernelINS1_18TensorListMetadataILi2EEENS1_14UnaryOpFunctorIN3c107complexIdEELi2ELi1ELi1EEEJNS0_4AsinIS8_EEEEEvT_T0_DpT1_.num_vgpr, max(72, .L_ZNK2at6native4AsinIN3c107complexIdEEEclES4_.num_vgpr)
	.set _ZN2at6native12_GLOBAL__N_125multi_tensor_apply_kernelINS1_18TensorListMetadataILi2EEENS1_14UnaryOpFunctorIN3c107complexIdEELi2ELi1ELi1EEEJNS0_4AsinIS8_EEEEEvT_T0_DpT1_.num_agpr, max(0, .L_ZNK2at6native4AsinIN3c107complexIdEEEclES4_.num_agpr)
	.set _ZN2at6native12_GLOBAL__N_125multi_tensor_apply_kernelINS1_18TensorListMetadataILi2EEENS1_14UnaryOpFunctorIN3c107complexIdEELi2ELi1ELi1EEEJNS0_4AsinIS8_EEEEEvT_T0_DpT1_.numbered_sgpr, max(36, .L_ZNK2at6native4AsinIN3c107complexIdEEEclES4_.numbered_sgpr)
	.set _ZN2at6native12_GLOBAL__N_125multi_tensor_apply_kernelINS1_18TensorListMetadataILi2EEENS1_14UnaryOpFunctorIN3c107complexIdEELi2ELi1ELi1EEEJNS0_4AsinIS8_EEEEEvT_T0_DpT1_.num_named_barrier, max(0, .L_ZNK2at6native4AsinIN3c107complexIdEEEclES4_.num_named_barrier)
	.set _ZN2at6native12_GLOBAL__N_125multi_tensor_apply_kernelINS1_18TensorListMetadataILi2EEENS1_14UnaryOpFunctorIN3c107complexIdEELi2ELi1ELi1EEEJNS0_4AsinIS8_EEEEEvT_T0_DpT1_.private_seg_size, 0+max(.L_ZNK2at6native4AsinIN3c107complexIdEEEclES4_.private_seg_size)
	.set _ZN2at6native12_GLOBAL__N_125multi_tensor_apply_kernelINS1_18TensorListMetadataILi2EEENS1_14UnaryOpFunctorIN3c107complexIdEELi2ELi1ELi1EEEJNS0_4AsinIS8_EEEEEvT_T0_DpT1_.uses_vcc, or(1, .L_ZNK2at6native4AsinIN3c107complexIdEEEclES4_.uses_vcc)
	.set _ZN2at6native12_GLOBAL__N_125multi_tensor_apply_kernelINS1_18TensorListMetadataILi2EEENS1_14UnaryOpFunctorIN3c107complexIdEELi2ELi1ELi1EEEJNS0_4AsinIS8_EEEEEvT_T0_DpT1_.uses_flat_scratch, or(0, .L_ZNK2at6native4AsinIN3c107complexIdEEEclES4_.uses_flat_scratch)
	.set _ZN2at6native12_GLOBAL__N_125multi_tensor_apply_kernelINS1_18TensorListMetadataILi2EEENS1_14UnaryOpFunctorIN3c107complexIdEELi2ELi1ELi1EEEJNS0_4AsinIS8_EEEEEvT_T0_DpT1_.has_dyn_sized_stack, or(0, .L_ZNK2at6native4AsinIN3c107complexIdEEEclES4_.has_dyn_sized_stack)
	.set _ZN2at6native12_GLOBAL__N_125multi_tensor_apply_kernelINS1_18TensorListMetadataILi2EEENS1_14UnaryOpFunctorIN3c107complexIdEELi2ELi1ELi1EEEJNS0_4AsinIS8_EEEEEvT_T0_DpT1_.has_recursion, or(0, .L_ZNK2at6native4AsinIN3c107complexIdEEEclES4_.has_recursion)
	.set _ZN2at6native12_GLOBAL__N_125multi_tensor_apply_kernelINS1_18TensorListMetadataILi2EEENS1_14UnaryOpFunctorIN3c107complexIdEELi2ELi1ELi1EEEJNS0_4AsinIS8_EEEEEvT_T0_DpT1_.has_indirect_call, or(0, .L_ZNK2at6native4AsinIN3c107complexIdEEEclES4_.has_indirect_call)
	.section	.AMDGPU.csdata,"",@progbits
; Kernel info:
; codeLenInByte = 1280
; TotalNumSgprs: 38
; NumVgprs: 72
; ScratchSize: 12
; MemoryBound: 1
; FloatMode: 240
; IeeeMode: 1
; LDSByteSize: 0 bytes/workgroup (compile time only)
; SGPRBlocks: 0
; VGPRBlocks: 4
; NumSGPRsForWavesPerEU: 38
; NumVGPRsForWavesPerEU: 72
; NamedBarCnt: 0
; Occupancy: 12
; WaveLimiterHint : 0
; COMPUTE_PGM_RSRC2:SCRATCH_EN: 1
; COMPUTE_PGM_RSRC2:USER_SGPR: 2
; COMPUTE_PGM_RSRC2:TRAP_HANDLER: 0
; COMPUTE_PGM_RSRC2:TGID_X_EN: 1
; COMPUTE_PGM_RSRC2:TGID_Y_EN: 0
; COMPUTE_PGM_RSRC2:TGID_Z_EN: 0
; COMPUTE_PGM_RSRC2:TIDIG_COMP_CNT: 0
	.section	.text._ZN2at6native12_GLOBAL__N_125multi_tensor_apply_kernelINS1_18TensorListMetadataILi2EEENS1_14UnaryOpFunctorIN3c107complexIfEELi2ELi1ELi1EEEJNS0_4AsinIS8_EEEEEvT_T0_DpT1_,"axG",@progbits,_ZN2at6native12_GLOBAL__N_125multi_tensor_apply_kernelINS1_18TensorListMetadataILi2EEENS1_14UnaryOpFunctorIN3c107complexIfEELi2ELi1ELi1EEEJNS0_4AsinIS8_EEEEEvT_T0_DpT1_,comdat
	.globl	_ZN2at6native12_GLOBAL__N_125multi_tensor_apply_kernelINS1_18TensorListMetadataILi2EEENS1_14UnaryOpFunctorIN3c107complexIfEELi2ELi1ELi1EEEJNS0_4AsinIS8_EEEEEvT_T0_DpT1_ ; -- Begin function _ZN2at6native12_GLOBAL__N_125multi_tensor_apply_kernelINS1_18TensorListMetadataILi2EEENS1_14UnaryOpFunctorIN3c107complexIfEELi2ELi1ELi1EEEJNS0_4AsinIS8_EEEEEvT_T0_DpT1_
	.p2align	8
	.type	_ZN2at6native12_GLOBAL__N_125multi_tensor_apply_kernelINS1_18TensorListMetadataILi2EEENS1_14UnaryOpFunctorIN3c107complexIfEELi2ELi1ELi1EEEJNS0_4AsinIS8_EEEEEvT_T0_DpT1_,@function
_ZN2at6native12_GLOBAL__N_125multi_tensor_apply_kernelINS1_18TensorListMetadataILi2EEENS1_14UnaryOpFunctorIN3c107complexIfEELi2ELi1ELi1EEEJNS0_4AsinIS8_EEEEEvT_T0_DpT1_: ; @_ZN2at6native12_GLOBAL__N_125multi_tensor_apply_kernelINS1_18TensorListMetadataILi2EEENS1_14UnaryOpFunctorIN3c107complexIfEELi2ELi1ELi1EEEJNS0_4AsinIS8_EEEEEvT_T0_DpT1_
; %bb.0:
	s_bfe_u32 s2, ttmp6, 0x4000c
	s_and_b32 s3, ttmp6, 15
	s_add_co_i32 s2, s2, 1
	s_getreg_b32 s4, hwreg(HW_REG_IB_STS2, 6, 4)
	s_mul_i32 s2, ttmp9, s2
	s_delay_alu instid0(SALU_CYCLE_1)
	s_add_co_i32 s3, s3, s2
	s_cmp_eq_u32 s4, 0
	s_cselect_b32 s2, ttmp9, s3
	s_mov_b32 s3, 0
	s_load_u8 s9, s[0:1], s2 offset:0x600
	s_add_nc_u64 s[4:5], s[0:1], s[2:3]
	s_mul_u64 s[6:7], s[2:3], 3
	s_mov_b32 s19, s3
	s_add_nc_u64 s[6:7], s[4:5], s[6:7]
	s_load_b32 s8, s[6:7], 0x740
	s_wait_kmcnt 0x0
	s_clause 0x2
	s_load_b64 s[4:5], s[0:1], s9 offset:0x0 scale_offset
	s_load_b64 s[12:13], s[0:1], s9 offset:0x200 scale_offset
	;; [unrolled: 1-line block ×3, first 2 shown]
	s_wait_xcnt 0x0
	s_ashr_i32 s9, s8, 31
	s_delay_alu instid0(SALU_CYCLE_1)
	s_lshl_b64 s[6:7], s[8:9], 19
	s_wait_kmcnt 0x0
	s_and_b32 s18, s16, 3
	s_add_nc_u64 s[14:15], s[12:13], s[6:7]
	s_add_nc_u64 s[10:11], s[4:5], s[6:7]
	s_and_b64 s[20:21], s[14:15], 31
	s_and_b32 s2, s10, 31
	s_or_b64 s[18:19], s[20:21], s[18:19]
	s_lshl_b64 s[8:9], s[8:9], 16
	s_or_b64 s[2:3], s[18:19], s[2:3]
	s_sub_nc_u64 s[8:9], s[16:17], s[8:9]
	s_cmp_eq_u64 s[2:3], 0
	s_mov_b32 s2, -1
	s_cbranch_scc0 .LBB56_397
; %bb.1:
	v_min_i64 v[14:15], 0x10000, s[8:9]
	v_dual_mov_b32 v3, 0 :: v_dual_lshlrev_b32 v2, 2, v0
	s_mov_b32 s21, exec_lo
	s_delay_alu instid0(VALU_DEP_1)
	v_cmpx_lt_i64_e64 v[2:3], v[14:15]
	s_cbranch_execz .LBB56_396
; %bb.2:
	v_mbcnt_lo_u32_b32 v1, -1, 0
	v_mov_b32_e32 v4, 0
	v_mov_b32_e32 v28, 0xd800000
	v_dual_mov_b32 v18, 1.0 :: v_dual_mov_b32 v29, 0x4016cbe4
	s_delay_alu instid0(VALU_DEP_4) | instskip(SKIP_3) | instid1(VALU_DEP_2)
	v_dual_lshlrev_b32 v5, 20, v1 :: v_dual_mov_b32 v1, v3
	v_mov_b32_e32 v22, 0x3f317218
	s_add_nc_u64 s[16:17], s[0:1], 0xc50
	s_mov_b32 s19, 0
	v_add_nc_u64_e32 v[16:17], src_flat_scratch_base_lo, v[4:5]
	v_mov_b32_e32 v4, 4
	v_mov_b64_e32 v[24:25], v[0:1]
	s_mov_b32 s22, 0x3e9b6dac
	s_mov_b32 s20, 0x4b800000
	;; [unrolled: 1-line block ×3, first 2 shown]
	v_add_nc_u64_e32 v[20:21], src_flat_scratch_base_lo, v[4:5]
	s_mov_b32 s24, 0x3b2d2a58
	s_mov_b32 s25, 0
	s_branch .LBB56_5
.LBB56_3:                               ;   in Loop: Header=BB56_5 Depth=1
	s_or_b32 exec_lo, exec_lo, s3
.LBB56_4:                               ;   in Loop: Header=BB56_5 Depth=1
	s_delay_alu instid0(SALU_CYCLE_1)
	s_or_b32 exec_lo, exec_lo, s2
	v_add_nc_u64_e32 v[2:3], s[14:15], v[26:27]
	s_clause 0x1
	global_store_b128 v[2:3], v[6:9], off
	global_store_b128 v[2:3], v[10:13], off offset:16
	s_load_b32 s2, s[16:17], 0xc
	s_wait_kmcnt 0x0
	s_and_b32 s18, s2, 0xffff
	s_delay_alu instid0(SALU_CYCLE_1) | instskip(NEXT) | instid1(VALU_DEP_1)
	v_add_nc_u64_e32 v[24:25], s[18:19], v[24:25]
	v_lshlrev_b64_e32 v[2:3], 2, v[24:25]
	s_delay_alu instid0(VALU_DEP_1) | instskip(SKIP_1) | instid1(SALU_CYCLE_1)
	v_cmp_ge_i64_e32 vcc_lo, v[2:3], v[14:15]
	s_or_b32 s25, vcc_lo, s25
	s_and_not1_b32 exec_lo, exec_lo, s25
	s_cbranch_execz .LBB56_396
.LBB56_5:                               ; =>This Inner Loop Header: Depth=1
	v_lshlrev_b64_e32 v[26:27], 5, v[24:25]
	s_mov_b32 s2, exec_lo
	s_delay_alu instid0(VALU_DEP_1)
	v_add_nc_u64_e32 v[6:7], s[10:11], v[26:27]
	s_clause 0x1
	global_load_b128 v[10:13], v[6:7], off
	global_load_b128 v[2:5], v[6:7], off offset:16
                                        ; implicit-def: $vgpr7
	s_wait_loadcnt 0x1
	s_wait_xcnt 0x0
	v_cmpx_o_f32_e32 v11, v10
	s_xor_b32 s18, exec_lo, s2
	s_cbranch_execz .LBB56_89
; %bb.6:                                ;   in Loop: Header=BB56_5 Depth=1
	v_max_num_f32_e64 v8, |v11|, |v11|
	s_wait_dscnt 0x0
	v_max_num_f32_e64 v1, |v10|, |v10|
                                        ; implicit-def: $vgpr7
	s_mov_b32 s2, exec_lo
	s_delay_alu instid0(VALU_DEP_1) | instskip(NEXT) | instid1(VALU_DEP_1)
	v_max_num_f32_e32 v9, v1, v8
	v_cmpx_nlt_f32_e32 0x4b000000, v9
	s_xor_b32 s26, exec_lo, s2
	s_cbranch_execz .LBB56_66
; %bb.7:                                ;   in Loop: Header=BB56_5 Depth=1
	v_cmp_neq_f32_e32 vcc_lo, 0, v11
	v_cmp_neq_f32_e64 s2, 0, v10
	v_dual_mov_b32 v7, v11 :: v_dual_mov_b32 v6, v10
	s_or_b32 s2, vcc_lo, s2
	s_delay_alu instid0(SALU_CYCLE_1)
	s_and_saveexec_b32 s27, s2
	s_cbranch_execz .LBB56_65
; %bb.8:                                ;   in Loop: Header=BB56_5 Depth=1
	flat_store_b32 v[16:17], v28 scope:SCOPE_SYS
	s_wait_storecnt 0x0
	flat_load_b32 v1, v[16:17] scope:SCOPE_SYS
	s_wait_loadcnt 0x0
	v_cmp_ngt_f32_e64 s2, 0x395db3d7, |v11|
	v_cmp_ngt_f32_e64 s3, 0x395db3d7, |v10|
	v_dual_mov_b32 v6, v10 :: v_dual_mov_b32 v7, v11
	s_or_b32 s2, s3, s2
	s_wait_dscnt 0x0
	v_add_f32_e32 v1, 1.0, v1
	flat_store_b32 v[20:21], v1 scope:SCOPE_SYS
	s_wait_storecnt 0x0
	flat_load_b32 v1, v[20:21] scope:SCOPE_SYS
	s_wait_loadcnt 0x0
	s_wait_xcnt 0x0
	s_and_saveexec_b32 s28, s2
	s_cbranch_execz .LBB56_64
; %bb.9:                                ;   in Loop: Header=BB56_5 Depth=1
	v_add_f32_e64 v30, |v10|, 1.0
	s_wait_dscnt 0x0
	v_add_f32_e64 v1, |v10|, -1.0
	s_mov_b32 s2, exec_lo
	s_delay_alu instid0(VALU_DEP_2) | instskip(NEXT) | instid1(VALU_DEP_2)
	v_max_num_f32_e32 v19, v8, v30
	v_max_num_f32_e64 v23, v8, |v1|
	s_delay_alu instid0(VALU_DEP_2) | instskip(NEXT) | instid1(VALU_DEP_2)
	v_cvt_f64_f32_e32 v[6:7], v19
	v_cvt_f64_f32_e32 v[8:9], v23
	s_delay_alu instid0(VALU_DEP_2) | instskip(NEXT) | instid1(VALU_DEP_2)
	v_frexp_exp_i32_f64_e32 v6, v[6:7]
	v_frexp_exp_i32_f64_e32 v7, v[8:9]
	s_delay_alu instid0(VALU_DEP_1) | instskip(SKIP_1) | instid1(VALU_DEP_2)
	v_dual_sub_nc_u32 v8, 0, v6 :: v_dual_sub_nc_u32 v9, 0, v7
	v_cmp_neq_f32_e32 vcc_lo, 0x7f800000, v19
                                        ; implicit-def: $vgpr19
	v_ldexp_f32 v31, v30, v8
	s_delay_alu instid0(VALU_DEP_3) | instskip(SKIP_1) | instid1(VALU_DEP_3)
	v_ldexp_f32 v32, |v1|, v9
	v_ldexp_f32 v9, |v11|, v9
	v_mul_f32_e32 v31, v31, v31
	v_ldexp_f32 v8, |v11|, v8
	s_delay_alu instid0(VALU_DEP_4) | instskip(NEXT) | instid1(VALU_DEP_1)
	v_mul_f32_e32 v32, v32, v32
	v_dual_fmac_f32 v31, v8, v8 :: v_dual_fmac_f32 v32, v9, v9
	s_delay_alu instid0(VALU_DEP_1) | instskip(NEXT) | instid1(VALU_DEP_1)
	v_sqrt_f32_e32 v8, v31
	v_sqrt_f32_e32 v9, v32
	s_delay_alu instid0(TRANS32_DEP_2) | instskip(NEXT) | instid1(TRANS32_DEP_1)
	v_ldexp_f32 v6, v8, v6
	v_ldexp_f32 v7, v9, v7
	s_delay_alu instid0(VALU_DEP_2) | instskip(SKIP_1) | instid1(VALU_DEP_3)
	v_cndmask_b32_e32 v32, 0x7f800000, v6, vcc_lo
	v_cmp_neq_f32_e32 vcc_lo, 0x7f800000, v23
	v_cndmask_b32_e32 v8, 0x7f800000, v7, vcc_lo
	s_delay_alu instid0(VALU_DEP_1) | instskip(NEXT) | instid1(VALU_DEP_1)
	v_add_f32_e32 v6, v32, v8
	v_mul_f32_e32 v6, 0.5, v6
	s_delay_alu instid0(VALU_DEP_1) | instskip(SKIP_1) | instid1(VALU_DEP_1)
	v_cmp_ngt_f32_e32 vcc_lo, 1.0, v6
	v_cndmask_b32_e32 v6, 1.0, v6, vcc_lo
	v_cmpx_ngt_f32_e32 0x41200000, v6
	s_xor_b32 s3, exec_lo, s2
	s_cbranch_execz .LBB56_11
; %bb.10:                               ;   in Loop: Header=BB56_5 Depth=1
	v_fma_f32 v7, v6, v6, -1.0
	s_delay_alu instid0(VALU_DEP_1) | instskip(SKIP_1) | instid1(VALU_DEP_2)
	v_mul_f32_e32 v9, 0x4f800000, v7
	v_cmp_gt_f32_e32 vcc_lo, 0xf800000, v7
	v_cndmask_b32_e32 v7, v7, v9, vcc_lo
	s_delay_alu instid0(VALU_DEP_1) | instskip(SKIP_1) | instid1(TRANS32_DEP_1)
	v_sqrt_f32_e32 v9, v7
	v_nop
	v_dual_add_nc_u32 v19, -1, v9 :: v_dual_add_nc_u32 v23, 1, v9
	s_delay_alu instid0(VALU_DEP_1) | instskip(NEXT) | instid1(VALU_DEP_1)
	v_fma_f32 v31, -v19, v9, v7
	v_cmp_ge_f32_e64 s2, 0, v31
	s_delay_alu instid0(VALU_DEP_1) | instskip(NEXT) | instid1(VALU_DEP_1)
	v_dual_fma_f32 v33, -v23, v9, v7 :: v_dual_cndmask_b32 v9, v9, v19, s2
	v_cmp_lt_f32_e64 s2, 0, v33
	s_delay_alu instid0(VALU_DEP_1) | instskip(NEXT) | instid1(VALU_DEP_1)
	v_cndmask_b32_e64 v9, v9, v23, s2
	v_mul_f32_e32 v19, 0x37800000, v9
	s_delay_alu instid0(VALU_DEP_1) | instskip(SKIP_1) | instid1(VALU_DEP_2)
	v_cndmask_b32_e32 v9, v9, v19, vcc_lo
	v_cmp_class_f32_e64 vcc_lo, v7, 0x260
	v_cndmask_b32_e32 v7, v9, v7, vcc_lo
	s_delay_alu instid0(VALU_DEP_1) | instskip(NEXT) | instid1(VALU_DEP_1)
	v_add_f32_e32 v7, v6, v7
	v_cmp_gt_f32_e32 vcc_lo, 0x800000, v7
	s_delay_alu instid0(VALU_DEP_4) | instskip(NEXT) | instid1(VALU_DEP_1)
	v_cndmask_b32_e64 v9, 0, 32, vcc_lo
	v_ldexp_f32 v7, v7, v9
	s_delay_alu instid0(VALU_DEP_1) | instskip(SKIP_1) | instid1(TRANS32_DEP_1)
	v_log_f32_e32 v7, v7
	v_nop
	v_mul_f32_e32 v9, 0x3f317217, v7
	v_cmp_gt_f32_e64 s2, 0x7f800000, |v7|
	s_delay_alu instid0(VALU_DEP_2) | instskip(NEXT) | instid1(VALU_DEP_1)
	v_fma_f32 v9, 0x3f317217, v7, -v9
	v_fmac_f32_e32 v9, 0x3377d1cf, v7
	s_delay_alu instid0(VALU_DEP_1) | instskip(NEXT) | instid1(VALU_DEP_1)
	v_fmac_f32_e32 v9, 0x3f317217, v7
	v_cndmask_b32_e64 v7, v7, v9, s2
	v_cndmask_b32_e64 v9, 0, 0x41b17218, vcc_lo
	s_delay_alu instid0(VALU_DEP_1)
	v_sub_f32_e32 v19, v7, v9
.LBB56_11:                              ;   in Loop: Header=BB56_5 Depth=1
	s_or_saveexec_b32 s3, s3
	v_and_b32_e32 v31, 0x7fffffff, v11
	s_xor_b32 exec_lo, exec_lo, s3
	s_cbranch_execz .LBB56_33
; %bb.12:                               ;   in Loop: Header=BB56_5 Depth=1
	v_cmp_neq_f32_e64 s2, |v10|, 1.0
	v_cmp_ngt_f32_e64 s29, 0x25000000, |v11|
                                        ; implicit-def: $vgpr19
	s_or_b32 s2, s2, s29
	s_delay_alu instid0(SALU_CYCLE_1) | instskip(NEXT) | instid1(SALU_CYCLE_1)
	s_and_saveexec_b32 s29, s2
	s_xor_b32 s29, exec_lo, s29
	s_cbranch_execz .LBB56_30
; %bb.13:                               ;   in Loop: Header=BB56_5 Depth=1
	v_mul_f32_e64 v7, 0x34000000, |v1|
	s_mov_b32 s30, exec_lo
                                        ; implicit-def: $vgpr19
	s_delay_alu instid0(VALU_DEP_1)
	v_cmpx_ge_f32_e64 |v11|, v7
	s_xor_b32 s30, exec_lo, s30
	s_cbranch_execz .LBB56_23
; %bb.14:                               ;   in Loop: Header=BB56_5 Depth=1
	v_mov_b32_e32 v7, v31
	s_mov_b32 s2, exec_lo
	v_cmpx_neq_f32_e32 0, v30
	s_cbranch_execz .LBB56_16
; %bb.15:                               ;   in Loop: Header=BB56_5 Depth=1
	v_dual_mul_f32 v7, v11, v11 :: v_dual_add_f32 v9, v30, v32
	s_delay_alu instid0(VALU_DEP_1) | instskip(NEXT) | instid1(VALU_DEP_1)
	v_div_scale_f32 v19, null, v9, v9, v7
	v_rcp_f32_e32 v23, v19
	v_nop
	s_delay_alu instid0(TRANS32_DEP_1) | instskip(NEXT) | instid1(VALU_DEP_1)
	v_fma_f32 v33, -v19, v23, 1.0
	v_fmac_f32_e32 v23, v33, v23
	v_div_scale_f32 v33, vcc_lo, v7, v9, v7
	s_delay_alu instid0(VALU_DEP_1) | instskip(NEXT) | instid1(VALU_DEP_1)
	v_mul_f32_e32 v34, v33, v23
	v_fma_f32 v35, -v19, v34, v33
	s_delay_alu instid0(VALU_DEP_1) | instskip(NEXT) | instid1(VALU_DEP_1)
	v_fmac_f32_e32 v34, v35, v23
	v_fma_f32 v19, -v19, v34, v33
	s_delay_alu instid0(VALU_DEP_1) | instskip(NEXT) | instid1(VALU_DEP_1)
	v_div_fmas_f32 v19, v19, v23, v34
	v_div_fixup_f32 v7, v19, v9, v7
.LBB56_16:                              ;   in Loop: Header=BB56_5 Depth=1
	s_or_b32 exec_lo, exec_lo, s2
	v_sub_f32_e64 v19, 1.0, |v10|
	s_mov_b32 s2, exec_lo
                                        ; implicit-def: $vgpr9
	s_delay_alu instid0(VALU_DEP_1)
	v_cmpx_ngt_f32_e32 0, v19
	s_xor_b32 s2, exec_lo, s2
	s_cbranch_execz .LBB56_20
; %bb.17:                               ;   in Loop: Header=BB56_5 Depth=1
	v_mov_b32_e32 v9, v31
	s_mov_b32 s31, exec_lo
	v_cmpx_neq_f32_e32 0, v19
	s_cbranch_execz .LBB56_19
; %bb.18:                               ;   in Loop: Header=BB56_5 Depth=1
	v_mul_f32_e32 v9, v11, v11
	v_add_f32_e32 v19, v19, v8
	s_delay_alu instid0(VALU_DEP_1) | instskip(NEXT) | instid1(VALU_DEP_1)
	v_div_scale_f32 v23, null, v19, v19, v9
	v_rcp_f32_e32 v33, v23
	v_nop
	s_delay_alu instid0(TRANS32_DEP_1) | instskip(NEXT) | instid1(VALU_DEP_1)
	v_fma_f32 v34, -v23, v33, 1.0
	v_fmac_f32_e32 v33, v34, v33
	v_div_scale_f32 v34, vcc_lo, v9, v19, v9
	s_delay_alu instid0(VALU_DEP_1) | instskip(NEXT) | instid1(VALU_DEP_1)
	v_mul_f32_e32 v35, v34, v33
	v_fma_f32 v36, -v23, v35, v34
	s_delay_alu instid0(VALU_DEP_1) | instskip(NEXT) | instid1(VALU_DEP_1)
	v_fmac_f32_e32 v35, v36, v33
	v_fma_f32 v23, -v23, v35, v34
	s_delay_alu instid0(VALU_DEP_1) | instskip(NEXT) | instid1(VALU_DEP_1)
	v_div_fmas_f32 v23, v23, v33, v35
	v_div_fixup_f32 v9, v23, v19, v9
.LBB56_19:                              ;   in Loop: Header=BB56_5 Depth=1
	s_or_b32 exec_lo, exec_lo, s31
                                        ; implicit-def: $vgpr19
.LBB56_20:                              ;   in Loop: Header=BB56_5 Depth=1
	s_and_not1_saveexec_b32 s2, s2
; %bb.21:                               ;   in Loop: Header=BB56_5 Depth=1
	v_sub_f32_e32 v9, v8, v19
; %bb.22:                               ;   in Loop: Header=BB56_5 Depth=1
	s_or_b32 exec_lo, exec_lo, s2
	s_delay_alu instid0(VALU_DEP_1) | instskip(NEXT) | instid1(VALU_DEP_1)
	v_dual_mul_f32 v7, 0.5, v7 :: v_dual_mul_f32 v19, 0.5, v9
	v_pk_add_f32 v[34:35], v[6:7], v[18:19]
	s_delay_alu instid0(VALU_DEP_1) | instskip(NEXT) | instid1(VALU_DEP_1)
	v_mul_f32_e32 v7, v34, v35
	v_mul_f32_e32 v9, 0x4f800000, v7
	v_cmp_gt_f32_e32 vcc_lo, 0xf800000, v7
	s_delay_alu instid0(VALU_DEP_2) | instskip(NEXT) | instid1(VALU_DEP_1)
	v_cndmask_b32_e32 v7, v7, v9, vcc_lo
	v_sqrt_f32_e32 v9, v7
	v_nop
	s_delay_alu instid0(TRANS32_DEP_1) | instskip(NEXT) | instid1(VALU_DEP_1)
	v_dual_add_nc_u32 v19, -1, v9 :: v_dual_add_nc_u32 v23, 1, v9
	v_fma_f32 v33, -v19, v9, v7
	s_delay_alu instid0(VALU_DEP_2) | instskip(NEXT) | instid1(VALU_DEP_2)
	v_fma_f32 v34, -v23, v9, v7
	v_cmp_ge_f32_e64 s2, 0, v33
	s_delay_alu instid0(VALU_DEP_1) | instskip(NEXT) | instid1(VALU_DEP_3)
	v_cndmask_b32_e64 v9, v9, v19, s2
	v_cmp_lt_f32_e64 s2, 0, v34
	s_delay_alu instid0(VALU_DEP_1) | instskip(NEXT) | instid1(VALU_DEP_1)
	v_cndmask_b32_e64 v9, v9, v23, s2
	v_mul_f32_e32 v19, 0x37800000, v9
	s_delay_alu instid0(VALU_DEP_1) | instskip(SKIP_1) | instid1(VALU_DEP_2)
	v_cndmask_b32_e32 v9, v9, v19, vcc_lo
	v_cmp_class_f32_e64 vcc_lo, v7, 0x260
	v_cndmask_b32_e32 v7, v9, v7, vcc_lo
	s_delay_alu instid0(VALU_DEP_1) | instskip(NEXT) | instid1(VALU_DEP_1)
	v_add_f32_e32 v34, v35, v7
	v_add_f32_e32 v37, 1.0, v34
	s_delay_alu instid0(VALU_DEP_1) | instskip(SKIP_2) | instid1(VALU_DEP_2)
	v_cvt_f64_f32_e32 v[38:39], v37
	v_frexp_mant_f32_e32 v9, v37
	v_add_f32_e32 v35, -1.0, v37
	v_cmp_gt_f32_e32 vcc_lo, 0x3f2aaaab, v9
	s_delay_alu instid0(VALU_DEP_2) | instskip(SKIP_1) | instid1(VALU_DEP_2)
	v_mov_b32_e32 v36, v35
	v_frexp_exp_i32_f64_e32 v7, v[38:39]
	v_pk_add_f32 v[38:39], v[34:35], v[36:37] neg_lo:[0,1] neg_hi:[0,1]
	s_delay_alu instid0(VALU_DEP_2) | instskip(SKIP_1) | instid1(VALU_DEP_2)
	v_subrev_co_ci_u32_e64 v7, null, 0, v7, vcc_lo
	v_cmp_neq_f32_e32 vcc_lo, 0x7f800000, v34
	v_sub_nc_u32_e32 v9, 0, v7
	s_delay_alu instid0(VALU_DEP_1) | instskip(NEXT) | instid1(VALU_DEP_1)
	v_ldexp_f32 v19, v37, v9
	v_dual_add_f32 v33, 1.0, v19 :: v_dual_add_f32 v41, -1.0, v19
	s_delay_alu instid0(VALU_DEP_1) | instskip(NEXT) | instid1(VALU_DEP_1)
	v_dual_add_f32 v23, 1.0, v39 :: v_dual_add_f32 v35, -1.0, v33
	v_add_f32_e32 v23, v38, v23
	s_delay_alu instid0(VALU_DEP_1) | instskip(NEXT) | instid1(VALU_DEP_3)
	v_ldexp_f32 v9, v23, v9
	v_dual_sub_f32 v23, v19, v35 :: v_dual_add_f32 v35, 1.0, v41
	s_delay_alu instid0(VALU_DEP_1) | instskip(NEXT) | instid1(VALU_DEP_2)
	v_sub_f32_e32 v19, v19, v35
	v_add_f32_e32 v23, v9, v23
	s_delay_alu instid0(VALU_DEP_1) | instskip(NEXT) | instid1(VALU_DEP_1)
	v_add_f32_e32 v35, v33, v23
	v_sub_f32_e32 v33, v35, v33
	s_delay_alu instid0(VALU_DEP_1) | instskip(SKIP_1) | instid1(VALU_DEP_1)
	v_dual_sub_f32 v23, v23, v33 :: v_dual_add_f32 v9, v9, v19
	v_rcp_f32_e32 v19, v35
	v_add_f32_e32 v37, v41, v9
	s_delay_alu instid0(TRANS32_DEP_1) | instid1(VALU_DEP_1)
	v_dual_mul_f32 v42, v37, v19 :: v_dual_sub_f32 v33, v37, v41
	s_delay_alu instid0(VALU_DEP_1) | instskip(NEXT) | instid1(VALU_DEP_1)
	v_dual_mul_f32 v38, v35, v42 :: v_dual_sub_f32 v9, v9, v33
	v_fma_f32 v40, v42, v35, -v38
	s_delay_alu instid0(VALU_DEP_1) | instskip(NEXT) | instid1(VALU_DEP_1)
	v_fmac_f32_e32 v40, v42, v23
	v_add_f32_e32 v36, v38, v40
	s_delay_alu instid0(VALU_DEP_1) | instskip(NEXT) | instid1(VALU_DEP_1)
	v_dual_sub_f32 v39, v37, v36 :: v_dual_mov_b32 v41, v36
	v_pk_add_f32 v[36:37], v[36:37], v[38:39] neg_lo:[0,1] neg_hi:[0,1]
	s_delay_alu instid0(VALU_DEP_1) | instskip(NEXT) | instid1(VALU_DEP_1)
	v_pk_add_f32 v[36:37], v[36:37], v[40:41] neg_lo:[0,1] neg_hi:[0,1]
	v_add_f32_e32 v9, v9, v37
	s_delay_alu instid0(VALU_DEP_1) | instskip(NEXT) | instid1(VALU_DEP_1)
	v_add_f32_e32 v9, v36, v9
	v_add_f32_e32 v37, v39, v9
	s_delay_alu instid0(VALU_DEP_1) | instskip(NEXT) | instid1(VALU_DEP_1)
	v_mul_f32_e32 v33, v19, v37
	v_mul_f32_e32 v40, v35, v33
	s_delay_alu instid0(VALU_DEP_1) | instskip(NEXT) | instid1(VALU_DEP_1)
	v_dual_fma_f32 v38, v33, v35, -v40 :: v_dual_add_f32 v35, v42, v33
	v_dual_fmac_f32 v38, v33, v23 :: v_dual_sub_f32 v23, v39, v37
	s_delay_alu instid0(VALU_DEP_1) | instskip(NEXT) | instid1(VALU_DEP_1)
	v_dual_add_f32 v36, v40, v38 :: v_dual_add_f32 v9, v9, v23
	v_dual_sub_f32 v23, v35, v42 :: v_dual_sub_f32 v41, v37, v36
	s_delay_alu instid0(VALU_DEP_1) | instskip(NEXT) | instid1(VALU_DEP_2)
	v_dual_mov_b32 v39, v36 :: v_dual_sub_f32 v23, v33, v23
	v_pk_add_f32 v[36:37], v[36:37], v[40:41] neg_lo:[0,1] neg_hi:[0,1]
	s_delay_alu instid0(VALU_DEP_1) | instskip(NEXT) | instid1(VALU_DEP_1)
	v_pk_add_f32 v[36:37], v[36:37], v[38:39] neg_lo:[0,1] neg_hi:[0,1]
	v_add_f32_e32 v9, v9, v37
	s_delay_alu instid0(VALU_DEP_1) | instskip(SKIP_1) | instid1(VALU_DEP_2)
	v_add_f32_e32 v9, v36, v9
	v_cvt_f32_i32_e32 v36, v7
	v_add_f32_e32 v9, v41, v9
	s_delay_alu instid0(VALU_DEP_1) | instskip(NEXT) | instid1(VALU_DEP_1)
	v_mul_f32_e32 v9, v19, v9
	v_add_f32_e32 v9, v23, v9
	s_delay_alu instid0(VALU_DEP_1) | instskip(NEXT) | instid1(VALU_DEP_1)
	v_add_f32_e32 v19, v35, v9
	v_mul_f32_e32 v23, v19, v19
	v_sub_f32_e32 v7, v19, v35
	s_delay_alu instid0(VALU_DEP_2) | instskip(SKIP_1) | instid1(VALU_DEP_2)
	v_fmaak_f32 v33, s22, v23, 0x3ecc95a3
	v_mul_f32_e32 v37, v19, v23
	v_fmaak_f32 v23, v23, v33, 0x3f2aaada
	s_delay_alu instid0(VALU_DEP_1) | instskip(NEXT) | instid1(VALU_DEP_1)
	v_pk_mul_f32 v[38:39], v[36:37], v[22:23]
	v_fma_f32 v40, 0x3f317218, v36, -v38
	v_dual_mov_b32 v42, v38 :: v_dual_sub_f32 v7, v9, v7
	v_ldexp_f32 v41, v19, 1
	s_delay_alu instid0(VALU_DEP_3) | instskip(NEXT) | instid1(VALU_DEP_3)
	v_fmac_f32_e32 v40, 0xb102e308, v36
	v_ldexp_f32 v7, v7, 1
	s_delay_alu instid0(VALU_DEP_2) | instskip(NEXT) | instid1(VALU_DEP_1)
	v_pk_add_f32 v[36:37], v[38:39], v[40:41]
	v_dual_sub_f32 v9, v37, v41 :: v_dual_mov_b32 v41, v36
	s_delay_alu instid0(VALU_DEP_1) | instskip(SKIP_1) | instid1(VALU_DEP_2)
	v_dual_mov_b32 v50, v37 :: v_dual_sub_f32 v9, v39, v9
	v_pk_add_f32 v[38:39], v[36:37], v[38:39] neg_lo:[0,1] neg_hi:[0,1]
	v_add_f32_e32 v43, v7, v9
	s_delay_alu instid0(VALU_DEP_1) | instskip(NEXT) | instid1(VALU_DEP_1)
	v_pk_add_f32 v[44:45], v[36:37], v[42:43]
	v_mov_b32_e32 v39, v45
	s_delay_alu instid0(VALU_DEP_1) | instskip(SKIP_1) | instid1(VALU_DEP_2)
	v_pk_add_f32 v[46:47], v[40:41], v[38:39]
	v_pk_add_f32 v[38:39], v[40:41], v[38:39] neg_lo:[0,1] neg_hi:[0,1]
	v_dual_mov_b32 v42, v47 :: v_dual_mov_b32 v39, v47
	s_delay_alu instid0(VALU_DEP_1) | instskip(SKIP_1) | instid1(VALU_DEP_2)
	v_pk_add_f32 v[48:49], v[42:43], v[36:37] neg_lo:[0,1] neg_hi:[0,1]
	v_dual_mov_b32 v46, v45 :: v_dual_mov_b32 v37, v36
	v_dual_mov_b32 v36, v43 :: v_dual_mov_b32 v51, v48
	v_mov_b32_e32 v7, v48
	s_delay_alu instid0(VALU_DEP_2) | instskip(NEXT) | instid1(VALU_DEP_2)
	v_pk_add_f32 v[48:49], v[46:47], v[50:51] neg_lo:[0,1] neg_hi:[0,1]
	v_pk_add_f32 v[40:41], v[44:45], v[6:7] neg_lo:[0,1] neg_hi:[0,1]
	v_mov_b32_e32 v40, v38
	s_delay_alu instid0(VALU_DEP_3) | instskip(NEXT) | instid1(VALU_DEP_1)
	v_pk_add_f32 v[36:37], v[36:37], v[48:49] neg_lo:[0,1] neg_hi:[0,1]
	v_pk_add_f32 v[40:41], v[40:41], v[36:37]
	s_delay_alu instid0(VALU_DEP_1) | instskip(NEXT) | instid1(VALU_DEP_1)
	v_mov_b32_e32 v44, v41
	v_pk_add_f32 v[44:45], v[40:41], v[44:45]
	s_delay_alu instid0(VALU_DEP_1) | instskip(NEXT) | instid1(VALU_DEP_1)
	v_pk_add_f32 v[42:43], v[42:43], v[44:45]
	v_dual_mov_b32 v37, v44 :: v_dual_mov_b32 v41, v42
	s_delay_alu instid0(VALU_DEP_1) | instskip(NEXT) | instid1(VALU_DEP_1)
	v_pk_add_f32 v[46:47], v[40:41], v[38:39] neg_lo:[0,1] neg_hi:[0,1]
	v_sub_f32_e32 v7, v40, v46
	s_delay_alu instid0(VALU_DEP_2) | instskip(NEXT) | instid1(VALU_DEP_2)
	v_pk_add_f32 v[36:37], v[36:37], v[46:47] neg_lo:[0,1] neg_hi:[0,1]
	v_sub_f32_e32 v7, v38, v7
	s_delay_alu instid0(VALU_DEP_1) | instskip(NEXT) | instid1(VALU_DEP_1)
	v_add_f32_e32 v7, v36, v7
	v_add_f32_e32 v7, v7, v37
	s_delay_alu instid0(VALU_DEP_1) | instskip(NEXT) | instid1(VALU_DEP_1)
	v_add_f32_e32 v7, v42, v7
	v_cndmask_b32_e32 v7, 0x7f800000, v7, vcc_lo
	v_cmp_ngt_f32_e32 vcc_lo, -1.0, v34
	s_delay_alu instid0(VALU_DEP_2) | instskip(SKIP_1) | instid1(VALU_DEP_2)
	v_cndmask_b32_e32 v7, 0x7fc00000, v7, vcc_lo
	v_cmp_neq_f32_e32 vcc_lo, -1.0, v34
	v_cndmask_b32_e32 v7, 0xff800000, v7, vcc_lo
	v_cmp_gt_f32_e64 vcc_lo, 0x33800000, |v34|
	s_delay_alu instid0(VALU_DEP_2)
	v_cndmask_b32_e32 v19, v7, v34, vcc_lo
.LBB56_23:                              ;   in Loop: Header=BB56_5 Depth=1
	s_and_not1_saveexec_b32 s30, s30
	s_cbranch_execz .LBB56_29
; %bb.24:                               ;   in Loop: Header=BB56_5 Depth=1
	s_mov_b32 s31, exec_lo
                                        ; implicit-def: $vgpr19
	v_cmpx_nlt_f32_e64 |v10|, 1.0
	s_xor_b32 s31, exec_lo, s31
	s_cbranch_execz .LBB56_26
; %bb.25:                               ;   in Loop: Header=BB56_5 Depth=1
	v_mul_f32_e32 v7, v1, v30
	s_delay_alu instid0(VALU_DEP_1) | instskip(SKIP_1) | instid1(VALU_DEP_2)
	v_mul_f32_e32 v9, 0x4f800000, v7
	v_cmp_gt_f32_e32 vcc_lo, 0xf800000, v7
	v_cndmask_b32_e32 v7, v7, v9, vcc_lo
	s_delay_alu instid0(VALU_DEP_1) | instskip(SKIP_1) | instid1(TRANS32_DEP_1)
	v_sqrt_f32_e32 v9, v7
	v_nop
	v_dual_add_nc_u32 v19, -1, v9 :: v_dual_add_nc_u32 v23, 1, v9
	s_delay_alu instid0(VALU_DEP_1) | instskip(NEXT) | instid1(VALU_DEP_2)
	v_fma_f32 v33, -v19, v9, v7
	v_fma_f32 v34, -v23, v9, v7
	s_delay_alu instid0(VALU_DEP_2) | instskip(NEXT) | instid1(VALU_DEP_1)
	v_cmp_ge_f32_e64 s2, 0, v33
	v_cndmask_b32_e64 v9, v9, v19, s2
	s_delay_alu instid0(VALU_DEP_3) | instskip(NEXT) | instid1(VALU_DEP_1)
	v_cmp_lt_f32_e64 s2, 0, v34
	v_cndmask_b32_e64 v9, v9, v23, s2
	s_delay_alu instid0(VALU_DEP_1) | instskip(NEXT) | instid1(VALU_DEP_1)
	v_mul_f32_e32 v19, 0x37800000, v9
	v_cndmask_b32_e32 v9, v9, v19, vcc_lo
	v_cmp_class_f32_e64 vcc_lo, v7, 0x260
	s_delay_alu instid0(VALU_DEP_2) | instskip(NEXT) | instid1(VALU_DEP_1)
	v_cndmask_b32_e32 v7, v9, v7, vcc_lo
	v_add_f32_e32 v34, v1, v7
	s_delay_alu instid0(VALU_DEP_1) | instskip(NEXT) | instid1(VALU_DEP_1)
	v_add_f32_e32 v37, 1.0, v34
	v_cvt_f64_f32_e32 v[38:39], v37
	v_frexp_mant_f32_e32 v9, v37
	v_add_f32_e32 v35, -1.0, v37
	s_delay_alu instid0(VALU_DEP_2) | instskip(NEXT) | instid1(VALU_DEP_2)
	v_cmp_gt_f32_e32 vcc_lo, 0x3f2aaaab, v9
	v_mov_b32_e32 v36, v35
	v_frexp_exp_i32_f64_e32 v7, v[38:39]
	s_delay_alu instid0(VALU_DEP_2) | instskip(NEXT) | instid1(VALU_DEP_2)
	v_pk_add_f32 v[38:39], v[34:35], v[36:37] neg_lo:[0,1] neg_hi:[0,1]
	v_subrev_co_ci_u32_e64 v7, null, 0, v7, vcc_lo
	v_cmp_neq_f32_e32 vcc_lo, 0x7f800000, v34
	s_delay_alu instid0(VALU_DEP_2) | instskip(NEXT) | instid1(VALU_DEP_1)
	v_sub_nc_u32_e32 v9, 0, v7
	v_ldexp_f32 v19, v37, v9
	s_delay_alu instid0(VALU_DEP_1) | instskip(NEXT) | instid1(VALU_DEP_1)
	v_dual_add_f32 v33, 1.0, v19 :: v_dual_add_f32 v41, -1.0, v19
	v_dual_add_f32 v23, 1.0, v39 :: v_dual_add_f32 v35, -1.0, v33
	s_delay_alu instid0(VALU_DEP_1) | instskip(NEXT) | instid1(VALU_DEP_1)
	v_add_f32_e32 v23, v38, v23
	v_ldexp_f32 v9, v23, v9
	s_delay_alu instid0(VALU_DEP_3) | instskip(NEXT) | instid1(VALU_DEP_1)
	v_dual_sub_f32 v23, v19, v35 :: v_dual_add_f32 v35, 1.0, v41
	v_sub_f32_e32 v19, v19, v35
	s_delay_alu instid0(VALU_DEP_2) | instskip(NEXT) | instid1(VALU_DEP_1)
	v_add_f32_e32 v23, v9, v23
	v_add_f32_e32 v35, v33, v23
	s_delay_alu instid0(VALU_DEP_1) | instskip(NEXT) | instid1(VALU_DEP_1)
	v_sub_f32_e32 v33, v35, v33
	v_dual_sub_f32 v23, v23, v33 :: v_dual_add_f32 v9, v9, v19
	v_rcp_f32_e32 v19, v35
	s_delay_alu instid0(VALU_DEP_1)
	v_add_f32_e32 v37, v41, v9
	s_delay_alu instid0(TRANS32_DEP_1) | instid1(VALU_DEP_1)
	v_dual_mul_f32 v42, v37, v19 :: v_dual_sub_f32 v33, v37, v41
	s_delay_alu instid0(VALU_DEP_1) | instskip(NEXT) | instid1(VALU_DEP_1)
	v_dual_mul_f32 v38, v35, v42 :: v_dual_sub_f32 v9, v9, v33
	v_fma_f32 v40, v42, v35, -v38
	s_delay_alu instid0(VALU_DEP_1) | instskip(NEXT) | instid1(VALU_DEP_1)
	v_fmac_f32_e32 v40, v42, v23
	v_add_f32_e32 v36, v38, v40
	s_delay_alu instid0(VALU_DEP_1) | instskip(NEXT) | instid1(VALU_DEP_1)
	v_dual_sub_f32 v39, v37, v36 :: v_dual_mov_b32 v41, v36
	v_pk_add_f32 v[36:37], v[36:37], v[38:39] neg_lo:[0,1] neg_hi:[0,1]
	s_delay_alu instid0(VALU_DEP_1) | instskip(NEXT) | instid1(VALU_DEP_1)
	v_pk_add_f32 v[36:37], v[36:37], v[40:41] neg_lo:[0,1] neg_hi:[0,1]
	v_add_f32_e32 v9, v9, v37
	s_delay_alu instid0(VALU_DEP_1) | instskip(NEXT) | instid1(VALU_DEP_1)
	v_add_f32_e32 v9, v36, v9
	v_add_f32_e32 v37, v39, v9
	s_delay_alu instid0(VALU_DEP_1) | instskip(NEXT) | instid1(VALU_DEP_1)
	v_mul_f32_e32 v33, v19, v37
	v_mul_f32_e32 v40, v35, v33
	s_delay_alu instid0(VALU_DEP_1) | instskip(NEXT) | instid1(VALU_DEP_1)
	v_dual_fma_f32 v38, v33, v35, -v40 :: v_dual_add_f32 v35, v42, v33
	v_dual_fmac_f32 v38, v33, v23 :: v_dual_sub_f32 v23, v39, v37
	s_delay_alu instid0(VALU_DEP_1) | instskip(NEXT) | instid1(VALU_DEP_1)
	v_dual_add_f32 v36, v40, v38 :: v_dual_add_f32 v9, v9, v23
	v_dual_sub_f32 v23, v35, v42 :: v_dual_sub_f32 v41, v37, v36
	s_delay_alu instid0(VALU_DEP_1) | instskip(NEXT) | instid1(VALU_DEP_2)
	v_dual_mov_b32 v39, v36 :: v_dual_sub_f32 v23, v33, v23
	v_pk_add_f32 v[36:37], v[36:37], v[40:41] neg_lo:[0,1] neg_hi:[0,1]
	s_delay_alu instid0(VALU_DEP_1) | instskip(NEXT) | instid1(VALU_DEP_1)
	v_pk_add_f32 v[36:37], v[36:37], v[38:39] neg_lo:[0,1] neg_hi:[0,1]
	v_add_f32_e32 v9, v9, v37
	s_delay_alu instid0(VALU_DEP_1) | instskip(SKIP_1) | instid1(VALU_DEP_2)
	v_add_f32_e32 v9, v36, v9
	v_cvt_f32_i32_e32 v36, v7
	v_add_f32_e32 v9, v41, v9
	s_delay_alu instid0(VALU_DEP_1) | instskip(NEXT) | instid1(VALU_DEP_1)
	v_mul_f32_e32 v9, v19, v9
	v_add_f32_e32 v9, v23, v9
	s_delay_alu instid0(VALU_DEP_1) | instskip(NEXT) | instid1(VALU_DEP_1)
	v_add_f32_e32 v19, v35, v9
	v_mul_f32_e32 v23, v19, v19
	v_sub_f32_e32 v7, v19, v35
	s_delay_alu instid0(VALU_DEP_2) | instskip(SKIP_1) | instid1(VALU_DEP_2)
	v_fmaak_f32 v33, s22, v23, 0x3ecc95a3
	v_mul_f32_e32 v37, v19, v23
	v_fmaak_f32 v23, v23, v33, 0x3f2aaada
	s_delay_alu instid0(VALU_DEP_1) | instskip(NEXT) | instid1(VALU_DEP_1)
	v_pk_mul_f32 v[38:39], v[36:37], v[22:23]
	v_fma_f32 v40, 0x3f317218, v36, -v38
	v_dual_mov_b32 v42, v38 :: v_dual_sub_f32 v7, v9, v7
	v_ldexp_f32 v41, v19, 1
	s_delay_alu instid0(VALU_DEP_3) | instskip(NEXT) | instid1(VALU_DEP_3)
	v_fmac_f32_e32 v40, 0xb102e308, v36
	v_ldexp_f32 v7, v7, 1
	s_delay_alu instid0(VALU_DEP_2) | instskip(NEXT) | instid1(VALU_DEP_1)
	v_pk_add_f32 v[36:37], v[38:39], v[40:41]
	v_dual_sub_f32 v9, v37, v41 :: v_dual_mov_b32 v41, v36
	s_delay_alu instid0(VALU_DEP_1) | instskip(SKIP_1) | instid1(VALU_DEP_2)
	v_dual_mov_b32 v50, v37 :: v_dual_sub_f32 v9, v39, v9
	v_pk_add_f32 v[38:39], v[36:37], v[38:39] neg_lo:[0,1] neg_hi:[0,1]
	v_add_f32_e32 v43, v7, v9
	s_delay_alu instid0(VALU_DEP_1) | instskip(NEXT) | instid1(VALU_DEP_1)
	v_pk_add_f32 v[44:45], v[36:37], v[42:43]
	v_mov_b32_e32 v39, v45
	s_delay_alu instid0(VALU_DEP_1) | instskip(SKIP_1) | instid1(VALU_DEP_2)
	v_pk_add_f32 v[46:47], v[40:41], v[38:39]
	v_pk_add_f32 v[38:39], v[40:41], v[38:39] neg_lo:[0,1] neg_hi:[0,1]
	v_dual_mov_b32 v42, v47 :: v_dual_mov_b32 v39, v47
	s_delay_alu instid0(VALU_DEP_1) | instskip(SKIP_1) | instid1(VALU_DEP_2)
	v_pk_add_f32 v[48:49], v[42:43], v[36:37] neg_lo:[0,1] neg_hi:[0,1]
	v_dual_mov_b32 v46, v45 :: v_dual_mov_b32 v37, v36
	v_dual_mov_b32 v36, v43 :: v_dual_mov_b32 v51, v48
	v_mov_b32_e32 v7, v48
	s_delay_alu instid0(VALU_DEP_2) | instskip(NEXT) | instid1(VALU_DEP_2)
	v_pk_add_f32 v[48:49], v[46:47], v[50:51] neg_lo:[0,1] neg_hi:[0,1]
	v_pk_add_f32 v[40:41], v[44:45], v[6:7] neg_lo:[0,1] neg_hi:[0,1]
	v_mov_b32_e32 v40, v38
	s_delay_alu instid0(VALU_DEP_3) | instskip(NEXT) | instid1(VALU_DEP_1)
	v_pk_add_f32 v[36:37], v[36:37], v[48:49] neg_lo:[0,1] neg_hi:[0,1]
	v_pk_add_f32 v[40:41], v[40:41], v[36:37]
	s_delay_alu instid0(VALU_DEP_1) | instskip(NEXT) | instid1(VALU_DEP_1)
	v_mov_b32_e32 v44, v41
	v_pk_add_f32 v[44:45], v[40:41], v[44:45]
	s_delay_alu instid0(VALU_DEP_1) | instskip(NEXT) | instid1(VALU_DEP_1)
	v_pk_add_f32 v[42:43], v[42:43], v[44:45]
	v_dual_mov_b32 v37, v44 :: v_dual_mov_b32 v41, v42
	s_delay_alu instid0(VALU_DEP_1) | instskip(NEXT) | instid1(VALU_DEP_1)
	v_pk_add_f32 v[46:47], v[40:41], v[38:39] neg_lo:[0,1] neg_hi:[0,1]
	v_sub_f32_e32 v7, v40, v46
	s_delay_alu instid0(VALU_DEP_2) | instskip(NEXT) | instid1(VALU_DEP_2)
	v_pk_add_f32 v[36:37], v[36:37], v[46:47] neg_lo:[0,1] neg_hi:[0,1]
	v_sub_f32_e32 v7, v38, v7
	s_delay_alu instid0(VALU_DEP_1) | instskip(NEXT) | instid1(VALU_DEP_1)
	v_add_f32_e32 v7, v36, v7
	v_add_f32_e32 v7, v7, v37
	s_delay_alu instid0(VALU_DEP_1) | instskip(NEXT) | instid1(VALU_DEP_1)
	v_add_f32_e32 v7, v42, v7
	v_cndmask_b32_e32 v7, 0x7f800000, v7, vcc_lo
	v_cmp_ngt_f32_e32 vcc_lo, -1.0, v34
	s_delay_alu instid0(VALU_DEP_2) | instskip(SKIP_1) | instid1(VALU_DEP_2)
	v_cndmask_b32_e32 v7, 0x7fc00000, v7, vcc_lo
	v_cmp_neq_f32_e32 vcc_lo, -1.0, v34
	v_cndmask_b32_e32 v7, 0xff800000, v7, vcc_lo
	v_cmp_gt_f32_e64 vcc_lo, 0x33800000, |v34|
	s_delay_alu instid0(VALU_DEP_2)
	v_cndmask_b32_e32 v19, v7, v34, vcc_lo
.LBB56_26:                              ;   in Loop: Header=BB56_5 Depth=1
	s_and_not1_saveexec_b32 s31, s31
	s_cbranch_execz .LBB56_28
; %bb.27:                               ;   in Loop: Header=BB56_5 Depth=1
	v_sub_f32_e64 v7, 1.0, |v10|
	s_delay_alu instid0(VALU_DEP_1) | instskip(NEXT) | instid1(VALU_DEP_1)
	v_mul_f32_e32 v7, v7, v30
	v_mul_f32_e32 v9, 0x4f800000, v7
	v_cmp_gt_f32_e32 vcc_lo, 0xf800000, v7
	s_delay_alu instid0(VALU_DEP_2) | instskip(NEXT) | instid1(VALU_DEP_1)
	v_cndmask_b32_e32 v7, v7, v9, vcc_lo
	v_sqrt_f32_e32 v9, v7
	v_nop
	s_delay_alu instid0(TRANS32_DEP_1) | instskip(NEXT) | instid1(VALU_DEP_1)
	v_dual_add_nc_u32 v19, -1, v9 :: v_dual_add_nc_u32 v23, 1, v9
	v_fma_f32 v33, -v19, v9, v7
	s_delay_alu instid0(VALU_DEP_2) | instskip(NEXT) | instid1(VALU_DEP_2)
	v_fma_f32 v34, -v23, v9, v7
	v_cmp_ge_f32_e64 s2, 0, v33
	s_delay_alu instid0(VALU_DEP_1) | instskip(NEXT) | instid1(VALU_DEP_3)
	v_cndmask_b32_e64 v9, v9, v19, s2
	v_cmp_lt_f32_e64 s2, 0, v34
	s_delay_alu instid0(VALU_DEP_1) | instskip(NEXT) | instid1(VALU_DEP_1)
	v_cndmask_b32_e64 v9, v9, v23, s2
	v_mul_f32_e32 v19, 0x37800000, v9
	s_delay_alu instid0(VALU_DEP_1) | instskip(SKIP_2) | instid1(VALU_DEP_3)
	v_cndmask_b32_e32 v9, v9, v19, vcc_lo
	v_cmp_class_f32_e64 vcc_lo, v7, 0x260
	v_and_b32_e32 v19, 0x7fffffff, v11
	v_cndmask_b32_e32 v7, v9, v7, vcc_lo
	s_delay_alu instid0(VALU_DEP_1) | instskip(SKIP_1) | instid1(VALU_DEP_2)
	v_div_scale_f32 v9, null, v7, v7, v19
	v_div_scale_f32 v19, vcc_lo, v19, v7, v19
	v_rcp_f32_e32 v23, v9
	v_nop
	s_delay_alu instid0(TRANS32_DEP_1) | instskip(NEXT) | instid1(VALU_DEP_1)
	v_fma_f32 v33, -v9, v23, 1.0
	v_fmac_f32_e32 v23, v33, v23
	s_delay_alu instid0(VALU_DEP_1) | instskip(NEXT) | instid1(VALU_DEP_1)
	v_mul_f32_e32 v33, v19, v23
	v_fma_f32 v34, -v9, v33, v19
	s_delay_alu instid0(VALU_DEP_1) | instskip(NEXT) | instid1(VALU_DEP_1)
	v_fmac_f32_e32 v33, v34, v23
	v_fma_f32 v9, -v9, v33, v19
	s_delay_alu instid0(VALU_DEP_1) | instskip(NEXT) | instid1(VALU_DEP_1)
	v_div_fmas_f32 v9, v9, v23, v33
	v_div_fixup_f32 v19, v9, v7, |v11|
.LBB56_28:                              ;   in Loop: Header=BB56_5 Depth=1
	s_or_b32 exec_lo, exec_lo, s31
.LBB56_29:                              ;   in Loop: Header=BB56_5 Depth=1
	s_delay_alu instid0(SALU_CYCLE_1)
	s_or_b32 exec_lo, exec_lo, s30
.LBB56_30:                              ;   in Loop: Header=BB56_5 Depth=1
	s_and_not1_saveexec_b32 s29, s29
	s_cbranch_execz .LBB56_32
; %bb.31:                               ;   in Loop: Header=BB56_5 Depth=1
	v_mul_f32_e64 v7, 0x4f800000, |v11|
	v_cmp_gt_f32_e64 vcc_lo, 0xf800000, |v11|
	s_delay_alu instid0(VALU_DEP_1) | instskip(NEXT) | instid1(VALU_DEP_1)
	v_cndmask_b32_e64 v7, |v11|, v7, vcc_lo
	v_sqrt_f32_e32 v9, v7
	v_nop
	s_delay_alu instid0(TRANS32_DEP_1) | instskip(NEXT) | instid1(VALU_DEP_1)
	v_dual_add_nc_u32 v19, -1, v9 :: v_dual_add_nc_u32 v23, 1, v9
	v_fma_f32 v33, -v19, v9, v7
	s_delay_alu instid0(VALU_DEP_2) | instskip(NEXT) | instid1(VALU_DEP_2)
	v_fma_f32 v34, -v23, v9, v7
	v_cmp_ge_f32_e64 s2, 0, v33
	s_delay_alu instid0(VALU_DEP_1) | instskip(NEXT) | instid1(VALU_DEP_3)
	v_cndmask_b32_e64 v9, v9, v19, s2
	v_cmp_lt_f32_e64 s2, 0, v34
	s_delay_alu instid0(VALU_DEP_1) | instskip(NEXT) | instid1(VALU_DEP_1)
	v_cndmask_b32_e64 v9, v9, v23, s2
	v_mul_f32_e32 v19, 0x37800000, v9
	s_delay_alu instid0(VALU_DEP_1) | instskip(SKIP_1) | instid1(VALU_DEP_2)
	v_cndmask_b32_e32 v9, v9, v19, vcc_lo
	v_cmp_class_f32_e64 vcc_lo, v7, 0x260
	v_cndmask_b32_e32 v19, v9, v7, vcc_lo
.LBB56_32:                              ;   in Loop: Header=BB56_5 Depth=1
	s_or_b32 exec_lo, exec_lo, s29
.LBB56_33:                              ;   in Loop: Header=BB56_5 Depth=1
	s_delay_alu instid0(SALU_CYCLE_1) | instskip(NEXT) | instid1(SALU_CYCLE_1)
	s_or_b32 exec_lo, exec_lo, s3
	s_mov_b32 s29, exec_lo
                                        ; implicit-def: $sgpr2
                                        ; implicit-def: $vgpr9
                                        ; implicit-def: $vgpr23
	v_cmpx_ngt_f32_e64 0x21000000, |v10|
	s_xor_b32 s29, exec_lo, s29
	s_cbranch_execz .LBB56_57
; %bb.34:                               ;   in Loop: Header=BB56_5 Depth=1
	v_and_b32_e32 v9, 0x7fffffff, v10
	s_mov_b32 s2, 0
	s_mov_b32 s30, exec_lo
	s_delay_alu instid0(VALU_DEP_1) | instskip(NEXT) | instid1(VALU_DEP_1)
	v_div_scale_f32 v7, null, v6, v6, v9
	v_rcp_f32_e32 v23, v7
	v_nop
	s_delay_alu instid0(TRANS32_DEP_1) | instskip(NEXT) | instid1(VALU_DEP_1)
	v_fma_f32 v33, -v7, v23, 1.0
	v_fmac_f32_e32 v23, v33, v23
	v_div_scale_f32 v33, vcc_lo, v9, v6, v9
	s_delay_alu instid0(VALU_DEP_1) | instskip(NEXT) | instid1(VALU_DEP_1)
	v_mul_f32_e32 v34, v33, v23
	v_fma_f32 v35, -v7, v34, v33
	s_delay_alu instid0(VALU_DEP_1) | instskip(NEXT) | instid1(VALU_DEP_1)
	v_fmac_f32_e32 v34, v35, v23
	v_fma_f32 v7, -v7, v34, v33
	s_delay_alu instid0(VALU_DEP_1) | instskip(NEXT) | instid1(VALU_DEP_1)
	v_div_fmas_f32 v7, v7, v23, v34
	v_div_fixup_f32 v23, v7, v6, |v10|
	s_delay_alu instid0(VALU_DEP_1)
	v_cmpx_lt_f32_e32 0x3f244674, v23
	s_cbranch_execz .LBB56_56
; %bb.35:                               ;   in Loop: Header=BB56_5 Depth=1
	v_cmp_neq_f32_e64 s2, |v10|, 1.0
	v_cmp_ngt_f32_e64 s3, 0x30800000, |v11|
	s_or_b32 s2, s2, s3
	s_delay_alu instid0(SALU_CYCLE_1) | instskip(NEXT) | instid1(SALU_CYCLE_1)
	s_and_saveexec_b32 s3, s2
	s_xor_b32 s3, exec_lo, s3
	s_cbranch_execz .LBB56_53
; %bb.36:                               ;   in Loop: Header=BB56_5 Depth=1
	v_mul_f32_e64 v7, 0x34000000, |v1|
	s_mov_b32 s31, exec_lo
	s_delay_alu instid0(VALU_DEP_1)
	v_cmpx_ge_f32_e64 |v11|, v7
	s_xor_b32 s31, exec_lo, s31
	s_cbranch_execz .LBB56_46
; %bb.37:                               ;   in Loop: Header=BB56_5 Depth=1
	v_mov_b32_e32 v7, v31
	s_mov_b32 s2, exec_lo
	v_cmpx_neq_f32_e32 0, v30
	s_cbranch_execz .LBB56_39
; %bb.38:                               ;   in Loop: Header=BB56_5 Depth=1
	v_dual_mul_f32 v7, v11, v11 :: v_dual_add_f32 v30, v30, v32
	s_delay_alu instid0(VALU_DEP_1) | instskip(NEXT) | instid1(VALU_DEP_1)
	v_div_scale_f32 v32, null, v30, v30, v7
	v_rcp_f32_e32 v33, v32
	v_nop
	s_delay_alu instid0(TRANS32_DEP_1) | instskip(NEXT) | instid1(VALU_DEP_1)
	v_fma_f32 v34, -v32, v33, 1.0
	v_fmac_f32_e32 v33, v34, v33
	v_div_scale_f32 v34, vcc_lo, v7, v30, v7
	s_delay_alu instid0(VALU_DEP_1) | instskip(NEXT) | instid1(VALU_DEP_1)
	v_mul_f32_e32 v35, v34, v33
	v_fma_f32 v36, -v32, v35, v34
	s_delay_alu instid0(VALU_DEP_1) | instskip(NEXT) | instid1(VALU_DEP_1)
	v_fmac_f32_e32 v35, v36, v33
	v_fma_f32 v32, -v32, v35, v34
	s_delay_alu instid0(VALU_DEP_1) | instskip(NEXT) | instid1(VALU_DEP_1)
	v_div_fmas_f32 v32, v32, v33, v35
	v_div_fixup_f32 v7, v32, v30, v7
.LBB56_39:                              ;   in Loop: Header=BB56_5 Depth=1
	s_or_b32 exec_lo, exec_lo, s2
	s_delay_alu instid0(SALU_CYCLE_1)
	s_mov_b32 s2, exec_lo
	v_cmpx_ngt_f32_e32 0, v1
	s_xor_b32 s2, exec_lo, s2
	s_cbranch_execz .LBB56_43
; %bb.40:                               ;   in Loop: Header=BB56_5 Depth=1
	s_mov_b32 s33, exec_lo
	v_cmpx_neq_f32_e32 0, v1
	s_cbranch_execz .LBB56_42
; %bb.41:                               ;   in Loop: Header=BB56_5 Depth=1
	v_dual_mul_f32 v30, v11, v11 :: v_dual_add_f32 v1, v1, v8
	s_delay_alu instid0(VALU_DEP_1) | instskip(NEXT) | instid1(VALU_DEP_1)
	v_div_scale_f32 v8, null, v1, v1, v30
	v_rcp_f32_e32 v31, v8
	v_nop
	s_delay_alu instid0(TRANS32_DEP_1) | instskip(NEXT) | instid1(VALU_DEP_1)
	v_fma_f32 v32, -v8, v31, 1.0
	v_fmac_f32_e32 v31, v32, v31
	v_div_scale_f32 v32, vcc_lo, v30, v1, v30
	s_delay_alu instid0(VALU_DEP_1) | instskip(NEXT) | instid1(VALU_DEP_1)
	v_mul_f32_e32 v33, v32, v31
	v_fma_f32 v34, -v8, v33, v32
	s_delay_alu instid0(VALU_DEP_1) | instskip(NEXT) | instid1(VALU_DEP_1)
	v_fmac_f32_e32 v33, v34, v31
	v_fma_f32 v8, -v8, v33, v32
	s_delay_alu instid0(VALU_DEP_1) | instskip(NEXT) | instid1(VALU_DEP_1)
	v_div_fmas_f32 v8, v8, v31, v33
	v_div_fixup_f32 v31, v8, v1, v30
.LBB56_42:                              ;   in Loop: Header=BB56_5 Depth=1
	s_or_b32 exec_lo, exec_lo, s33
                                        ; implicit-def: $vgpr8
                                        ; implicit-def: $vgpr1
.LBB56_43:                              ;   in Loop: Header=BB56_5 Depth=1
	s_and_not1_saveexec_b32 s2, s2
; %bb.44:                               ;   in Loop: Header=BB56_5 Depth=1
	v_sub_f32_e32 v31, v8, v1
; %bb.45:                               ;   in Loop: Header=BB56_5 Depth=1
	s_or_b32 exec_lo, exec_lo, s2
	v_mul_f32_e32 v33, 0.5, v7
	s_delay_alu instid0(VALU_DEP_2) | instskip(SKIP_1) | instid1(VALU_DEP_1)
	v_mul_f32_e32 v7, 0.5, v31
	v_and_b32_e32 v32, 0x7fffffff, v10
	v_pk_add_f32 v[6:7], v[32:33], v[6:7]
	s_delay_alu instid0(VALU_DEP_1) | instskip(NEXT) | instid1(VALU_DEP_1)
	v_mul_f32_e32 v1, v6, v7
	v_mul_f32_e32 v6, 0x4f800000, v1
	v_cmp_gt_f32_e32 vcc_lo, 0xf800000, v1
	s_delay_alu instid0(VALU_DEP_2) | instskip(NEXT) | instid1(VALU_DEP_1)
	v_cndmask_b32_e32 v1, v1, v6, vcc_lo
	v_sqrt_f32_e32 v6, v1
	v_nop
	s_delay_alu instid0(TRANS32_DEP_1) | instskip(NEXT) | instid1(VALU_DEP_1)
	v_dual_add_nc_u32 v7, -1, v6 :: v_dual_add_nc_u32 v8, 1, v6
	v_fma_f32 v30, -v7, v6, v1
	s_delay_alu instid0(VALU_DEP_1) | instskip(NEXT) | instid1(VALU_DEP_3)
	v_cmp_ge_f32_e64 s2, 0, v30
	v_fma_f32 v31, -v8, v6, v1
                                        ; implicit-def: $vgpr30
	s_delay_alu instid0(VALU_DEP_2) | instskip(NEXT) | instid1(VALU_DEP_2)
	v_cndmask_b32_e64 v6, v6, v7, s2
	v_cmp_lt_f32_e64 s2, 0, v31
	s_delay_alu instid0(VALU_DEP_1) | instskip(NEXT) | instid1(VALU_DEP_1)
	v_cndmask_b32_e64 v6, v6, v8, s2
	v_mul_f32_e32 v7, 0x37800000, v6
	s_delay_alu instid0(VALU_DEP_1) | instskip(SKIP_1) | instid1(VALU_DEP_2)
	v_cndmask_b32_e32 v6, v6, v7, vcc_lo
	v_cmp_class_f32_e64 vcc_lo, v1, 0x260
	v_cndmask_b32_e32 v8, v6, v1, vcc_lo
                                        ; implicit-def: $vgpr1
.LBB56_46:                              ;   in Loop: Header=BB56_5 Depth=1
	s_and_not1_saveexec_b32 s31, s31
	s_cbranch_execz .LBB56_52
; %bb.47:                               ;   in Loop: Header=BB56_5 Depth=1
	s_mov_b32 s33, exec_lo
	v_cmpx_ngt_f32_e64 |v10|, 1.0
	s_xor_b32 s33, exec_lo, s33
	s_cbranch_execz .LBB56_49
; %bb.48:                               ;   in Loop: Header=BB56_5 Depth=1
	v_sub_f32_e64 v1, 1.0, |v10|
	s_delay_alu instid0(VALU_DEP_1) | instskip(NEXT) | instid1(VALU_DEP_1)
	v_mul_f32_e32 v1, v1, v30
	v_mul_f32_e32 v6, 0x4f800000, v1
	v_cmp_gt_f32_e32 vcc_lo, 0xf800000, v1
	s_delay_alu instid0(VALU_DEP_2) | instskip(NEXT) | instid1(VALU_DEP_1)
	v_cndmask_b32_e32 v1, v1, v6, vcc_lo
	v_sqrt_f32_e32 v6, v1
	v_nop
	s_delay_alu instid0(TRANS32_DEP_1) | instskip(NEXT) | instid1(VALU_DEP_1)
	v_dual_add_nc_u32 v7, -1, v6 :: v_dual_add_nc_u32 v8, 1, v6
	v_dual_fma_f32 v30, -v7, v6, v1 :: v_dual_fma_f32 v31, -v8, v6, v1
	s_delay_alu instid0(VALU_DEP_1) | instskip(NEXT) | instid1(VALU_DEP_1)
	v_cmp_ge_f32_e64 s2, 0, v30
                                        ; implicit-def: $vgpr30
	v_cndmask_b32_e64 v6, v6, v7, s2
	s_delay_alu instid0(VALU_DEP_3) | instskip(NEXT) | instid1(VALU_DEP_1)
	v_cmp_lt_f32_e64 s2, 0, v31
	v_cndmask_b32_e64 v6, v6, v8, s2
	s_delay_alu instid0(VALU_DEP_1) | instskip(NEXT) | instid1(VALU_DEP_1)
	v_mul_f32_e32 v7, 0x37800000, v6
	v_cndmask_b32_e32 v6, v6, v7, vcc_lo
	v_cmp_class_f32_e64 vcc_lo, v1, 0x260
	s_delay_alu instid0(VALU_DEP_2)
	v_cndmask_b32_e32 v8, v6, v1, vcc_lo
                                        ; implicit-def: $vgpr1
.LBB56_49:                              ;   in Loop: Header=BB56_5 Depth=1
	s_and_not1_saveexec_b32 s33, s33
	s_cbranch_execz .LBB56_51
; %bb.50:                               ;   in Loop: Header=BB56_5 Depth=1
	v_mul_f32_e32 v1, v30, v1
	s_delay_alu instid0(VALU_DEP_1) | instskip(SKIP_1) | instid1(VALU_DEP_2)
	v_mul_f32_e32 v6, 0x4f800000, v1
	v_cmp_gt_f32_e32 vcc_lo, 0xf800000, v1
	v_cndmask_b32_e32 v1, v1, v6, vcc_lo
	s_delay_alu instid0(VALU_DEP_1) | instskip(SKIP_1) | instid1(TRANS32_DEP_1)
	v_sqrt_f32_e32 v6, v1
	v_nop
	v_dual_add_nc_u32 v7, -1, v6 :: v_dual_add_nc_u32 v8, 1, v6
	s_delay_alu instid0(VALU_DEP_1) | instskip(NEXT) | instid1(VALU_DEP_1)
	v_dual_fma_f32 v9, -v7, v6, v1 :: v_dual_fma_f32 v30, -v8, v6, v1
	v_cmp_ge_f32_e64 s2, 0, v9
	s_delay_alu instid0(VALU_DEP_1) | instskip(NEXT) | instid1(VALU_DEP_3)
	v_cndmask_b32_e64 v6, v6, v7, s2
	v_cmp_lt_f32_e64 s2, 0, v30
	s_delay_alu instid0(VALU_DEP_1) | instskip(SKIP_1) | instid1(VALU_DEP_2)
	v_cndmask_b32_e64 v6, v6, v8, s2
	v_mul_f32_e64 v8, 0x57800000, |v11|
	v_mul_f32_e32 v7, 0x37800000, v6
	s_delay_alu instid0(VALU_DEP_1) | instskip(SKIP_1) | instid1(VALU_DEP_4)
	v_cndmask_b32_e32 v6, v6, v7, vcc_lo
	v_cmp_class_f32_e64 vcc_lo, v1, 0x260
	v_mul_f32_e64 v7, |v10|, v8
	s_delay_alu instid0(VALU_DEP_3) | instskip(NEXT) | instid1(VALU_DEP_1)
	v_cndmask_b32_e32 v1, v6, v1, vcc_lo
	v_div_scale_f32 v6, null, v1, v1, v7
	v_div_scale_f32 v30, vcc_lo, v7, v1, v7
	s_delay_alu instid0(VALU_DEP_2) | instskip(SKIP_1) | instid1(TRANS32_DEP_1)
	v_rcp_f32_e32 v8, v6
	v_nop
	v_fma_f32 v9, -v6, v8, 1.0
	s_delay_alu instid0(VALU_DEP_1) | instskip(NEXT) | instid1(VALU_DEP_1)
	v_fmac_f32_e32 v8, v9, v8
	v_mul_f32_e32 v9, v30, v8
	s_delay_alu instid0(VALU_DEP_1) | instskip(NEXT) | instid1(VALU_DEP_1)
	v_fma_f32 v31, -v6, v9, v30
	v_fmac_f32_e32 v9, v31, v8
	s_delay_alu instid0(VALU_DEP_1) | instskip(NEXT) | instid1(VALU_DEP_1)
	v_fma_f32 v6, -v6, v9, v30
	v_div_fmas_f32 v6, v6, v8, v9
	v_mul_f32_e64 v9, 0x57800000, |v10|
	s_delay_alu instid0(VALU_DEP_2)
	v_div_fixup_f32 v8, v6, v1, v7
.LBB56_51:                              ;   in Loop: Header=BB56_5 Depth=1
	s_or_b32 exec_lo, exec_lo, s33
.LBB56_52:                              ;   in Loop: Header=BB56_5 Depth=1
	s_delay_alu instid0(SALU_CYCLE_1)
	s_or_b32 exec_lo, exec_lo, s31
                                        ; implicit-def: $vgpr6
.LBB56_53:                              ;   in Loop: Header=BB56_5 Depth=1
	s_and_not1_saveexec_b32 s31, s3
	s_cbranch_execz .LBB56_55
; %bb.54:                               ;   in Loop: Header=BB56_5 Depth=1
	v_add_f32_e32 v1, 1.0, v6
	v_mul_f32_e64 v6, 0x4f800000, |v11|
	v_cmp_gt_f32_e64 vcc_lo, 0xf800000, |v11|
	s_delay_alu instid0(VALU_DEP_3) | instskip(NEXT) | instid1(VALU_DEP_2)
	v_mul_f32_e32 v1, 0.5, v1
	v_cndmask_b32_e64 v6, |v11|, v6, vcc_lo
	s_delay_alu instid0(VALU_DEP_2) | instskip(SKIP_1) | instid1(VALU_DEP_1)
	v_mul_f32_e32 v7, 0x4f800000, v1
	v_cmp_gt_f32_e64 s2, 0xf800000, v1
	v_cndmask_b32_e64 v1, v1, v7, s2
	s_delay_alu instid0(VALU_DEP_4) | instskip(SKIP_1) | instid1(TRANS32_DEP_1)
	v_sqrt_f32_e32 v7, v6
	v_nop
	v_add_nc_u32_e32 v31, 1, v7
	s_delay_alu instid0(VALU_DEP_3) | instskip(NEXT) | instid1(VALU_DEP_1)
	v_sqrt_f32_e32 v8, v1
	v_dual_add_nc_u32 v9, -1, v7 :: v_dual_fma_f32 v35, -v31, v7, v6
	s_delay_alu instid0(TRANS32_DEP_1) | instid1(VALU_DEP_1)
	v_dual_fma_f32 v32, -v9, v7, v6 :: v_dual_add_nc_u32 v33, 1, v8
	v_add_nc_u32_e32 v30, -1, v8
	s_delay_alu instid0(VALU_DEP_2) | instskip(NEXT) | instid1(VALU_DEP_1)
	v_cmp_ge_f32_e64 s3, 0, v32
	v_dual_fma_f32 v34, -v30, v8, v1 :: v_dual_cndmask_b32 v7, v7, v9, s3
	s_delay_alu instid0(VALU_DEP_4) | instskip(NEXT) | instid1(VALU_DEP_2)
	v_fma_f32 v9, -v33, v8, v1
	v_cmp_ge_f32_e64 s3, 0, v34
	s_delay_alu instid0(VALU_DEP_1) | instskip(SKIP_1) | instid1(VALU_DEP_1)
	v_cndmask_b32_e64 v8, v8, v30, s3
	v_cmp_lt_f32_e64 s3, 0, v35
	v_cndmask_b32_e64 v7, v7, v31, s3
	v_cmp_lt_f32_e64 s3, 0, v9
	s_delay_alu instid0(VALU_DEP_2) | instskip(NEXT) | instid1(VALU_DEP_1)
	v_mul_f32_e32 v9, 0x37800000, v7
	v_cndmask_b32_e32 v7, v7, v9, vcc_lo
	v_cmp_class_f32_e64 vcc_lo, v6, 0x260
	s_delay_alu instid0(VALU_DEP_4) | instskip(NEXT) | instid1(VALU_DEP_3)
	v_dual_cndmask_b32 v8, v8, v33, s3 :: v_dual_mov_b32 v9, 1.0
	v_cndmask_b32_e32 v6, v7, v6, vcc_lo
	s_delay_alu instid0(VALU_DEP_2) | instskip(SKIP_1) | instid1(VALU_DEP_2)
	v_mul_f32_e32 v30, 0x37800000, v8
	v_cmp_class_f32_e64 vcc_lo, v1, 0x260
	v_cndmask_b32_e64 v8, v8, v30, s2
	s_delay_alu instid0(VALU_DEP_1) | instskip(NEXT) | instid1(VALU_DEP_1)
	v_cndmask_b32_e32 v1, v8, v1, vcc_lo
	v_mul_f32_e32 v8, v6, v1
.LBB56_55:                              ;   in Loop: Header=BB56_5 Depth=1
	s_or_b32 exec_lo, exec_lo, s31
	s_delay_alu instid0(SALU_CYCLE_1)
	s_mov_b32 s2, exec_lo
.LBB56_56:                              ;   in Loop: Header=BB56_5 Depth=1
	s_or_b32 exec_lo, exec_lo, s30
                                        ; implicit-def: $vgpr6
.LBB56_57:                              ;   in Loop: Header=BB56_5 Depth=1
	s_and_not1_saveexec_b32 s3, s29
; %bb.58:                               ;   in Loop: Header=BB56_5 Depth=1
	v_and_b32_e32 v7, 0x7fffffff, v10
	s_or_b32 s2, s2, exec_lo
                                        ; implicit-def: $vgpr23
	s_delay_alu instid0(VALU_DEP_1)
	v_pk_mul_f32 v[8:9], v[6:7], s[20:21] op_sel_hi:[1,0]
; %bb.59:                               ;   in Loop: Header=BB56_5 Depth=1
	s_or_b32 exec_lo, exec_lo, s3
	s_xor_b32 s2, s2, -1
                                        ; implicit-def: $vgpr1
	s_delay_alu instid0(SALU_CYCLE_1) | instskip(NEXT) | instid1(SALU_CYCLE_1)
	s_and_saveexec_b32 s3, s2
	s_xor_b32 s2, exec_lo, s3
	s_cbranch_execz .LBB56_61
; %bb.60:                               ;   in Loop: Header=BB56_5 Depth=1
	v_fma_f32 v1, |v23|, -0.5, 0.5
	v_mul_f32_e32 v6, v23, v23
	v_cmp_ge_f32_e64 vcc_lo, |v23|, 0.5
                                        ; implicit-def: $vgpr9
	s_delay_alu instid0(VALU_DEP_2) | instskip(SKIP_1) | instid1(VALU_DEP_2)
	v_cndmask_b32_e32 v1, v6, v1, vcc_lo
	v_cmp_lt_f32_e64 vcc_lo, |v23|, 0.5
	v_sqrt_f32_e32 v7, v1
	v_fmaak_f32 v6, s23, v1, 0x3c5fc5da
	s_delay_alu instid0(VALU_DEP_1) | instskip(NEXT) | instid1(VALU_DEP_1)
	v_fmaak_f32 v6, v1, v6, 0x3d034c3c
	v_fmaak_f32 v6, v1, v6, 0x3d3641b1
	s_delay_alu instid0(VALU_DEP_1) | instskip(NEXT) | instid1(VALU_DEP_1)
	v_fmaak_f32 v6, v1, v6, 0x3d999bc8
	v_fmaak_f32 v6, v1, v6, 0x3e2aaaac
	s_delay_alu instid0(VALU_DEP_1) | instskip(NEXT) | instid1(VALU_DEP_1)
	v_mul_f32_e32 v1, v1, v6
	v_fmac_f32_e32 v7, v7, v1
	s_delay_alu instid0(VALU_DEP_1) | instskip(NEXT) | instid1(VALU_DEP_1)
	v_add_f32_e32 v6, v7, v7
	v_sub_f32_e32 v6, 0x3fc90fdb, v6
	v_fma_f32 v1, |v23|, v1, |v23|
	s_delay_alu instid0(VALU_DEP_1) | instskip(NEXT) | instid1(VALU_DEP_1)
	v_cndmask_b32_e32 v1, v6, v1, vcc_lo
	v_bfi_b32 v1, 0x7fffffff, v1, v23
.LBB56_61:                              ;   in Loop: Header=BB56_5 Depth=1
	s_and_not1_saveexec_b32 s3, s2
	s_cbranch_execz .LBB56_63
; %bb.62:                               ;   in Loop: Header=BB56_5 Depth=1
	v_max_num_f32_e32 v1, v9, v9
	v_max_num_f32_e64 v6, |v8|, |v8|
	v_cmp_gt_f32_e64 vcc_lo, v9, |v8|
	v_cmp_gt_i32_e64 s2, 0, v8
	v_cmp_class_f32_e64 s29, v8, 0x204
	s_delay_alu instid0(VALU_DEP_4) | instskip(NEXT) | instid1(VALU_DEP_1)
	v_dual_max_num_f32 v7, v6, v1 :: v_dual_min_num_f32 v1, v6, v1
	v_frexp_mant_f32_e32 v23, v7
	v_frexp_exp_i32_f32_e32 v6, v7
	s_delay_alu instid0(VALU_DEP_2)
	v_rcp_f32_e32 v7, v23
	v_nop
	v_frexp_exp_i32_f32_e32 v23, v1
	v_frexp_mant_f32_e32 v1, v1
	s_delay_alu instid0(TRANS32_DEP_1) | instid1(VALU_DEP_1)
	v_dual_mul_f32 v1, v1, v7 :: v_dual_sub_nc_u32 v6, v23, v6
	s_delay_alu instid0(VALU_DEP_1) | instskip(NEXT) | instid1(VALU_DEP_1)
	v_ldexp_f32 v1, v1, v6
	v_mul_f32_e32 v6, v1, v1
	s_delay_alu instid0(VALU_DEP_1) | instskip(NEXT) | instid1(VALU_DEP_1)
	v_fmaak_f32 v7, s24, v6, 0xbc7a590c
	v_fmaak_f32 v7, v6, v7, 0x3d29fb3f
	s_delay_alu instid0(VALU_DEP_1) | instskip(NEXT) | instid1(VALU_DEP_1)
	v_fmaak_f32 v7, v6, v7, 0xbd97d4d7
	v_fmaak_f32 v7, v6, v7, 0x3dd931b2
	;; [unrolled: 3-line block ×3, first 2 shown]
	s_delay_alu instid0(VALU_DEP_1) | instskip(NEXT) | instid1(VALU_DEP_1)
	v_fmaak_f32 v7, v6, v7, 0xbeaaaa62
	v_mul_f32_e32 v6, v6, v7
	s_delay_alu instid0(VALU_DEP_1) | instskip(NEXT) | instid1(VALU_DEP_1)
	v_fmac_f32_e32 v1, v1, v6
	v_sub_f32_e32 v6, 0x3fc90fdb, v1
	s_delay_alu instid0(VALU_DEP_1) | instskip(SKIP_1) | instid1(VALU_DEP_2)
	v_cndmask_b32_e32 v1, v1, v6, vcc_lo
	v_cmp_gt_f32_e32 vcc_lo, 0, v8
	v_sub_f32_e32 v6, 0x40490fdb, v1
	v_cndmask_b32_e32 v7, 0x3f490fdb, v29, vcc_lo
	s_delay_alu instid0(VALU_DEP_2) | instskip(SKIP_3) | instid1(VALU_DEP_2)
	v_cndmask_b32_e32 v1, v1, v6, vcc_lo
	v_cndmask_b32_e64 v6, 0, 0x40490fdb, s2
	v_cmp_eq_f32_e64 s2, 0, v9
	v_cmp_eq_f32_e32 vcc_lo, 0x7f800000, v9
	v_cndmask_b32_e64 v1, |v1|, v6, s2
	s_and_b32 vcc_lo, vcc_lo, s29
	s_delay_alu instid0(VALU_DEP_1) | instskip(SKIP_1) | instid1(VALU_DEP_2)
	v_cndmask_b32_e32 v1, v1, v7, vcc_lo
	v_cmp_o_f32_e32 vcc_lo, v8, v8
	v_cndmask_b32_e32 v1, 0x7fc00000, v1, vcc_lo
.LBB56_63:                              ;   in Loop: Header=BB56_5 Depth=1
	s_or_b32 exec_lo, exec_lo, s3
	s_delay_alu instid0(VALU_DEP_1)
	v_bfi_b32 v6, 0x7fffffff, v1, v10
	v_bfi_b32 v7, 0x7fffffff, v19, v11
.LBB56_64:                              ;   in Loop: Header=BB56_5 Depth=1
	s_or_b32 exec_lo, exec_lo, s28
.LBB56_65:                              ;   in Loop: Header=BB56_5 Depth=1
	s_delay_alu instid0(SALU_CYCLE_1)
	s_or_b32 exec_lo, exec_lo, s27
                                        ; implicit-def: $vgpr1
                                        ; implicit-def: $vgpr8
                                        ; implicit-def: $vgpr9
.LBB56_66:                              ;   in Loop: Header=BB56_5 Depth=1
	s_and_not1_saveexec_b32 s26, s26
	s_cbranch_execz .LBB56_88
; %bb.67:                               ;   in Loop: Header=BB56_5 Depth=1
                                        ; implicit-def: $sgpr27
                                        ; implicit-def: $vgpr6
                                        ; implicit-def: $vgpr7
	s_mov_b32 s2, exec_lo
	v_cmpx_lt_i32_e32 -1, v11
	s_xor_b32 s28, exec_lo, s2
	s_cbranch_execz .LBB56_77
; %bb.68:                               ;   in Loop: Header=BB56_5 Depth=1
	v_cmp_lt_f32_e64 s2, |v11|, |v10|
                                        ; implicit-def: $vgpr6
                                        ; implicit-def: $vgpr7
	s_mov_b32 s3, exec_lo
	v_cndmask_b32_e64 v19, |v11|, |v10|, s2
	s_delay_alu instid0(VALU_DEP_1)
	v_cmpx_nlt_f32_e32 0x7effffff, v19
	s_xor_b32 s27, exec_lo, s3
	s_cbranch_execz .LBB56_74
; %bb.69:                               ;   in Loop: Header=BB56_5 Depth=1
	v_cndmask_b32_e64 v23, |v10|, |v11|, s2
	v_cmp_nlt_f32_e32 vcc_lo, 0x5e000000, v19
                                        ; implicit-def: $vgpr6
                                        ; implicit-def: $vgpr7
	s_delay_alu instid0(VALU_DEP_2) | instskip(SKIP_1) | instid1(SALU_CYCLE_1)
	v_cmp_ngt_f32_e64 s3, 0x20000000, v23
	s_and_b32 s3, vcc_lo, s3
	s_and_saveexec_b32 s29, s3
	s_delay_alu instid0(SALU_CYCLE_1)
	s_xor_b32 s29, exec_lo, s29
	s_cbranch_execz .LBB56_71
; %bb.70:                               ;   in Loop: Header=BB56_5 Depth=1
	v_frexp_mant_f32_e32 v6, v9
	s_wait_dscnt 0x0
	v_min_num_f32_e32 v1, v8, v1
	v_frexp_exp_i32_f32_e32 v7, v9
	v_mul_f32_e32 v9, v23, v23
	v_rcp_f32_e32 v6, v6
	s_delay_alu instid0(VALU_DEP_3)
	v_frexp_exp_i32_f32_e32 v8, v1
	v_frexp_mant_f32_e32 v1, v1
	s_delay_alu instid0(TRANS32_DEP_1) | instid1(VALU_DEP_1)
	v_dual_sub_nc_u32 v7, v8, v7 :: v_dual_mul_f32 v1, v1, v6
	s_delay_alu instid0(VALU_DEP_1) | instskip(NEXT) | instid1(VALU_DEP_1)
	v_ldexp_f32 v7, v1, v7
	v_mul_f32_e32 v6, v7, v7
	s_delay_alu instid0(VALU_DEP_1) | instskip(NEXT) | instid1(VALU_DEP_1)
	v_dual_fmac_f32 v9, v19, v19 :: v_dual_fmaak_f32 v8, s24, v6, 0xbc7a590c
	v_cmp_gt_f32_e32 vcc_lo, 0x800000, v9
	v_cndmask_b32_e64 v1, 0, 32, vcc_lo
	s_delay_alu instid0(VALU_DEP_1) | instskip(NEXT) | instid1(VALU_DEP_1)
	v_ldexp_f32 v1, v9, v1
	v_log_f32_e32 v1, v1
	v_nop
	s_delay_alu instid0(TRANS32_DEP_1) | instskip(SKIP_1) | instid1(VALU_DEP_2)
	v_mul_f32_e32 v9, 0x3f317217, v1
	v_cmp_gt_f32_e64 s3, 0x7f800000, |v1|
	v_fma_f32 v9, 0x3f317217, v1, -v9
	s_delay_alu instid0(VALU_DEP_1) | instskip(NEXT) | instid1(VALU_DEP_1)
	v_fmac_f32_e32 v9, 0x3377d1cf, v1
	v_fmac_f32_e32 v9, 0x3f317217, v1
	s_delay_alu instid0(VALU_DEP_1) | instskip(SKIP_1) | instid1(VALU_DEP_1)
	v_cndmask_b32_e64 v1, v1, v9, s3
	v_cndmask_b32_e64 v9, 0, 0x41b17218, vcc_lo
	v_dual_fmaak_f32 v8, v6, v8, 0x3d29fb3f :: v_dual_sub_f32 v1, v1, v9
	s_delay_alu instid0(VALU_DEP_1) | instskip(NEXT) | instid1(VALU_DEP_1)
	v_fmaak_f32 v8, v6, v8, 0xbd97d4d7
                                        ; implicit-def: $vgpr9
	v_fmaak_f32 v8, v6, v8, 0x3dd931b2
	s_delay_alu instid0(VALU_DEP_1) | instskip(NEXT) | instid1(VALU_DEP_1)
	v_fmaak_f32 v8, v6, v8, 0xbe1160e6
	v_fmaak_f32 v8, v6, v8, 0x3e4cb8bf
	s_delay_alu instid0(VALU_DEP_1) | instskip(NEXT) | instid1(VALU_DEP_1)
	v_fmaak_f32 v8, v6, v8, 0xbeaaaa62
	v_dual_mul_f32 v8, v6, v8 :: v_dual_mul_f32 v6, 0.5, v1
                                        ; implicit-def: $vgpr1
	s_delay_alu instid0(VALU_DEP_1)
	v_fmac_f32_e32 v7, v7, v8
                                        ; implicit-def: $vgpr8
.LBB56_71:                              ;   in Loop: Header=BB56_5 Depth=1
	s_and_not1_saveexec_b32 s3, s29
	s_cbranch_execz .LBB56_73
; %bb.72:                               ;   in Loop: Header=BB56_5 Depth=1
	v_cvt_f64_f32_e32 v[6:7], v9
	v_frexp_mant_f32_e32 v23, v9
	v_cmp_neq_f32_e32 vcc_lo, 0x7f800000, v9
	s_delay_alu instid0(VALU_DEP_3) | instskip(NEXT) | instid1(VALU_DEP_1)
	v_frexp_exp_i32_f64_e32 v6, v[6:7]
	v_sub_nc_u32_e32 v7, 0, v6
	s_delay_alu instid0(VALU_DEP_1) | instskip(NEXT) | instid1(VALU_DEP_1)
	v_ldexp_f32 v19, |v10|, v7
	v_mul_f32_e32 v19, v19, v19
	v_ldexp_f32 v7, |v11|, v7
	s_wait_dscnt 0x0
	v_min_num_f32_e32 v1, v8, v1
	v_rcp_f32_e32 v8, v23
	s_delay_alu instid0(VALU_DEP_2) | instskip(SKIP_1) | instid1(VALU_DEP_3)
	v_fmac_f32_e32 v19, v7, v7
	v_frexp_exp_i32_f32_e32 v7, v9
	v_frexp_exp_i32_f32_e32 v23, v1
	v_frexp_mant_f32_e32 v1, v1
	s_delay_alu instid0(VALU_DEP_4)
	v_sqrt_f32_e32 v19, v19
	s_delay_alu instid0(TRANS32_DEP_2) | instid1(VALU_DEP_1)
	v_dual_sub_nc_u32 v7, v23, v7 :: v_dual_mul_f32 v1, v1, v8
	s_delay_alu instid0(TRANS32_DEP_1) | instskip(NEXT) | instid1(VALU_DEP_2)
	v_ldexp_f32 v6, v19, v6
	v_ldexp_f32 v7, v1, v7
	s_delay_alu instid0(VALU_DEP_1) | instskip(NEXT) | instid1(VALU_DEP_1)
	v_dual_cndmask_b32 v1, 0x7f800000, v6 :: v_dual_mul_f32 v6, v7, v7
	v_cmp_gt_f32_e32 vcc_lo, 0x800000, v1
	s_delay_alu instid0(VALU_DEP_2) | instskip(SKIP_2) | instid1(VALU_DEP_2)
	v_fmaak_f32 v9, s24, v6, 0xbc7a590c
	v_cndmask_b32_e64 v8, 0, 32, vcc_lo
	v_cndmask_b32_e64 v19, 0, 0x41b17218, vcc_lo
	v_ldexp_f32 v1, v1, v8
	s_delay_alu instid0(VALU_DEP_1) | instskip(SKIP_1) | instid1(TRANS32_DEP_1)
	v_log_f32_e32 v1, v1
	v_nop
	v_cmp_gt_f32_e64 vcc_lo, 0x7f800000, |v1|
	v_fmaak_f32 v8, v6, v9, 0x3d29fb3f
	v_mul_f32_e32 v9, 0x3f317217, v1
	s_delay_alu instid0(VALU_DEP_1) | instskip(NEXT) | instid1(VALU_DEP_1)
	v_fma_f32 v9, 0x3f317217, v1, -v9
	v_fmac_f32_e32 v9, 0x3377d1cf, v1
	s_delay_alu instid0(VALU_DEP_1) | instskip(NEXT) | instid1(VALU_DEP_1)
	v_fmac_f32_e32 v9, 0x3f317217, v1
	v_dual_cndmask_b32 v1, v1, v9 :: v_dual_fmaak_f32 v8, v6, v8, 0xbd97d4d7
	s_delay_alu instid0(VALU_DEP_1) | instskip(NEXT) | instid1(VALU_DEP_1)
	v_fmaak_f32 v8, v6, v8, 0x3dd931b2
	v_fmaak_f32 v8, v6, v8, 0xbe1160e6
	s_delay_alu instid0(VALU_DEP_1) | instskip(NEXT) | instid1(VALU_DEP_1)
	v_fmaak_f32 v8, v6, v8, 0x3e4cb8bf
	v_fmaak_f32 v8, v6, v8, 0xbeaaaa62
	s_delay_alu instid0(VALU_DEP_1) | instskip(NEXT) | instid1(VALU_DEP_1)
	v_dual_mul_f32 v8, v6, v8 :: v_dual_sub_f32 v6, v1, v19
	v_fmac_f32_e32 v7, v7, v8
.LBB56_73:                              ;   in Loop: Header=BB56_5 Depth=1
	s_or_b32 exec_lo, exec_lo, s3
                                        ; implicit-def: $vgpr8
                                        ; implicit-def: $vgpr1
                                        ; implicit-def: $vgpr9
.LBB56_74:                              ;   in Loop: Header=BB56_5 Depth=1
	s_and_not1_saveexec_b32 s27, s27
	s_cbranch_execz .LBB56_76
; %bb.75:                               ;   in Loop: Header=BB56_5 Depth=1
	v_div_scale_f32 v6, null, 0x402df854, 0x402df854, v11
	v_div_scale_f32 v7, null, 0x402df854, 0x402df854, v10
	v_div_scale_f32 v32, vcc_lo, v11, 0x402df854, v11
	s_delay_alu instid0(VALU_DEP_3) | instskip(NEXT) | instid1(VALU_DEP_2)
	v_rcp_f32_e32 v19, v6
	v_rcp_f32_e32 v23, v7
	s_wait_dscnt 0x0
	v_min_num_f32_e32 v1, v8, v1
	s_delay_alu instid0(TRANS32_DEP_2) | instskip(NEXT) | instid1(TRANS32_DEP_1)
	v_fma_f32 v30, -v6, v19, 1.0
	v_fma_f32 v31, -v7, v23, 1.0
	s_delay_alu instid0(VALU_DEP_2) | instskip(SKIP_1) | instid1(VALU_DEP_3)
	v_fmac_f32_e32 v19, v30, v19
	v_div_scale_f32 v30, s3, v10, 0x402df854, v10
	v_fmac_f32_e32 v23, v31, v23
	s_delay_alu instid0(VALU_DEP_1) | instskip(NEXT) | instid1(VALU_DEP_1)
	v_mul_f32_e32 v33, v30, v23
	v_fma_f32 v35, -v7, v33, v30
	s_delay_alu instid0(VALU_DEP_1) | instskip(NEXT) | instid1(VALU_DEP_1)
	v_fmac_f32_e32 v33, v35, v23
	v_dual_mul_f32 v31, v32, v19 :: v_dual_fma_f32 v7, -v7, v33, v30
	s_delay_alu instid0(VALU_DEP_1) | instskip(NEXT) | instid1(VALU_DEP_1)
	v_fma_f32 v34, -v6, v31, v32
	v_fmac_f32_e32 v31, v34, v19
	s_delay_alu instid0(VALU_DEP_1) | instskip(NEXT) | instid1(VALU_DEP_1)
	v_fma_f32 v6, -v6, v31, v32
	v_div_fmas_f32 v6, v6, v19, v31
	s_mov_b32 vcc_lo, s3
	v_div_fmas_f32 v7, v7, v23, v33
	s_delay_alu instid0(VALU_DEP_2) | instskip(NEXT) | instid1(VALU_DEP_2)
	v_div_fixup_f32 v19, v6, 0x402df854, v11
	v_div_fixup_f32 v23, v7, 0x402df854, v10
	s_delay_alu instid0(VALU_DEP_1) | instskip(NEXT) | instid1(VALU_DEP_1)
	v_max_num_f32_e64 v30, v19, |v23|
	v_cvt_f64_f32_e32 v[6:7], v30
	v_cmp_neq_f32_e32 vcc_lo, 0x7f800000, v30
	s_delay_alu instid0(VALU_DEP_2) | instskip(NEXT) | instid1(VALU_DEP_1)
	v_frexp_exp_i32_f64_e32 v6, v[6:7]
	v_sub_nc_u32_e32 v7, 0, v6
	s_delay_alu instid0(VALU_DEP_1) | instskip(SKIP_1) | instid1(VALU_DEP_2)
	v_ldexp_f32 v23, |v23|, v7
	v_ldexp_f32 v7, v19, v7
	v_mul_f32_e32 v19, v23, v23
	s_delay_alu instid0(VALU_DEP_1) | instskip(SKIP_2) | instid1(VALU_DEP_3)
	v_fmac_f32_e32 v19, v7, v7
	v_frexp_mant_f32_e32 v7, v9
	v_frexp_exp_i32_f32_e32 v9, v9
	v_sqrt_f32_e32 v8, v19
	s_delay_alu instid0(VALU_DEP_2) | instskip(SKIP_2) | instid1(TRANS32_DEP_2)
	v_rcp_f32_e32 v7, v7
	v_frexp_exp_i32_f32_e32 v19, v1
	v_frexp_mant_f32_e32 v1, v1
	v_ldexp_f32 v6, v8, v6
	s_delay_alu instid0(TRANS32_DEP_1) | instid1(VALU_DEP_2)
	v_dual_mul_f32 v1, v1, v7 :: v_dual_sub_nc_u32 v8, v19, v9
	s_delay_alu instid0(VALU_DEP_2) | instskip(NEXT) | instid1(VALU_DEP_2)
	v_cndmask_b32_e32 v6, 0x7f800000, v6, vcc_lo
	v_ldexp_f32 v7, v1, v8
	s_delay_alu instid0(VALU_DEP_2) | instskip(SKIP_2) | instid1(VALU_DEP_2)
	v_cmp_gt_f32_e32 vcc_lo, 0x800000, v6
	v_cndmask_b32_e64 v1, 0, 32, vcc_lo
	v_cndmask_b32_e64 v19, 0, 0x41b17218, vcc_lo
	v_ldexp_f32 v1, v6, v1
	s_delay_alu instid0(VALU_DEP_1) | instskip(SKIP_1) | instid1(TRANS32_DEP_1)
	v_log_f32_e32 v1, v1
	v_nop
	v_dual_mul_f32 v8, v7, v7 :: v_dual_mul_f32 v9, 0x3f317217, v1
	v_cmp_gt_f32_e64 vcc_lo, 0x7f800000, |v1|
	s_delay_alu instid0(VALU_DEP_2) | instskip(NEXT) | instid1(VALU_DEP_1)
	v_fma_f32 v9, 0x3f317217, v1, -v9
	v_fmac_f32_e32 v9, 0x3377d1cf, v1
	s_delay_alu instid0(VALU_DEP_1) | instskip(NEXT) | instid1(VALU_DEP_1)
	v_fmac_f32_e32 v9, 0x3f317217, v1
	v_cndmask_b32_e32 v1, v1, v9, vcc_lo
	s_delay_alu instid0(VALU_DEP_1) | instskip(NEXT) | instid1(VALU_DEP_1)
	v_dual_fmaak_f32 v6, s24, v8, 0xbc7a590c :: v_dual_sub_f32 v1, v1, v19
	v_fmaak_f32 v6, v8, v6, 0x3d29fb3f
	s_delay_alu instid0(VALU_DEP_1) | instskip(NEXT) | instid1(VALU_DEP_1)
	v_fmaak_f32 v6, v8, v6, 0xbd97d4d7
	v_fmaak_f32 v6, v8, v6, 0x3dd931b2
	s_delay_alu instid0(VALU_DEP_1) | instskip(NEXT) | instid1(VALU_DEP_1)
	v_fmaak_f32 v6, v8, v6, 0xbe1160e6
	;; [unrolled: 3-line block ×3, first 2 shown]
	v_dual_mul_f32 v8, v8, v6 :: v_dual_add_f32 v6, 1.0, v1
	s_delay_alu instid0(VALU_DEP_1)
	v_fmac_f32_e32 v7, v7, v8
.LBB56_76:                              ;   in Loop: Header=BB56_5 Depth=1
	s_or_b32 exec_lo, exec_lo, s27
	s_wait_dscnt 0x0
	s_delay_alu instid0(VALU_DEP_1) | instskip(SKIP_2) | instid1(VALU_DEP_3)
	v_sub_f32_e32 v1, 0x3fc90fdb, v7
	v_cmp_neq_f32_e32 vcc_lo, 0, v10
	v_cmp_class_f32_e64 s27, v11, 0x204
	v_cndmask_b32_e64 v1, v7, v1, s2
	s_delay_alu instid0(VALU_DEP_1)
	v_cndmask_b32_e32 v7, 0, v1, vcc_lo
                                        ; implicit-def: $vgpr1
.LBB56_77:                              ;   in Loop: Header=BB56_5 Depth=1
	s_and_not1_saveexec_b32 s28, s28
	s_cbranch_execz .LBB56_87
; %bb.78:                               ;   in Loop: Header=BB56_5 Depth=1
	v_cmp_gt_f32_e64 s2, |v10|, -v11
                                        ; implicit-def: $vgpr6
                                        ; implicit-def: $vgpr7
	s_mov_b32 s3, exec_lo
	v_cndmask_b32_e64 v8, -v11, |v10|, s2
	s_delay_alu instid0(VALU_DEP_1)
	v_cmpx_nlt_f32_e32 0x7effffff, v8
	s_xor_b32 s29, exec_lo, s3
	s_cbranch_execz .LBB56_84
; %bb.79:                               ;   in Loop: Header=BB56_5 Depth=1
	v_xor_b32_e32 v6, 0x80000000, v11
	v_cmp_nlt_f32_e32 vcc_lo, 0x5e000000, v8
                                        ; implicit-def: $vgpr7
	s_delay_alu instid0(VALU_DEP_2) | instskip(NEXT) | instid1(VALU_DEP_1)
	v_cndmask_b32_e64 v9, |v10|, v6, s2
                                        ; implicit-def: $vgpr6
	v_cmp_ngt_f32_e64 s3, 0x20000000, v9
	s_and_b32 s3, vcc_lo, s3
	s_delay_alu instid0(SALU_CYCLE_1) | instskip(NEXT) | instid1(SALU_CYCLE_1)
	s_and_saveexec_b32 s30, s3
	s_xor_b32 s30, exec_lo, s30
	s_cbranch_execz .LBB56_81
; %bb.80:                               ;   in Loop: Header=BB56_5 Depth=1
	v_dual_max_num_f32 v6, -v11, -v11 :: v_dual_mul_f32 v9, v9, v9
	s_wait_dscnt 0x0
	s_delay_alu instid0(VALU_DEP_1) | instskip(NEXT) | instid1(VALU_DEP_1)
	v_dual_max_num_f32 v7, v6, v1 :: v_dual_min_num_f32 v1, v6, v1
	v_frexp_mant_f32_e32 v19, v7
	v_frexp_exp_i32_f32_e32 v6, v7
	s_delay_alu instid0(VALU_DEP_2)
	v_rcp_f32_e32 v7, v19
	v_nop
	v_frexp_exp_i32_f32_e32 v19, v1
	v_frexp_mant_f32_e32 v1, v1
	s_delay_alu instid0(TRANS32_DEP_1) | instid1(VALU_DEP_1)
	v_dual_mul_f32 v1, v1, v7 :: v_dual_sub_nc_u32 v6, v19, v6
	s_delay_alu instid0(VALU_DEP_1) | instskip(NEXT) | instid1(VALU_DEP_1)
	v_ldexp_f32 v7, v1, v6
	v_dual_fmac_f32 v9, v8, v8 :: v_dual_mul_f32 v6, v7, v7
	s_delay_alu instid0(VALU_DEP_1) | instskip(SKIP_1) | instid1(VALU_DEP_1)
	v_cmp_gt_f32_e32 vcc_lo, 0x800000, v9
	v_cndmask_b32_e64 v1, 0, 32, vcc_lo
	v_ldexp_f32 v1, v9, v1
	s_delay_alu instid0(VALU_DEP_1) | instskip(SKIP_1) | instid1(TRANS32_DEP_1)
	v_log_f32_e32 v1, v1
	v_nop
	v_mul_f32_e32 v9, 0x3f317217, v1
	v_cmp_gt_f32_e64 s3, 0x7f800000, |v1|
	s_delay_alu instid0(VALU_DEP_2) | instskip(NEXT) | instid1(VALU_DEP_1)
	v_fma_f32 v9, 0x3f317217, v1, -v9
	v_fmac_f32_e32 v9, 0x3377d1cf, v1
	s_delay_alu instid0(VALU_DEP_1) | instskip(NEXT) | instid1(VALU_DEP_1)
	v_fmac_f32_e32 v9, 0x3f317217, v1
	v_cndmask_b32_e64 v1, v1, v9, s3
	v_cndmask_b32_e64 v9, 0, 0x41b17218, vcc_lo
	s_delay_alu instid0(VALU_DEP_1) | instskip(NEXT) | instid1(VALU_DEP_1)
	v_dual_fmaak_f32 v8, s24, v6, 0xbc7a590c :: v_dual_sub_f32 v1, v1, v9
	v_fmaak_f32 v8, v6, v8, 0x3d29fb3f
	s_delay_alu instid0(VALU_DEP_1) | instskip(NEXT) | instid1(VALU_DEP_1)
	v_fmaak_f32 v8, v6, v8, 0xbd97d4d7
	v_fmaak_f32 v8, v6, v8, 0x3dd931b2
	s_delay_alu instid0(VALU_DEP_1) | instskip(NEXT) | instid1(VALU_DEP_1)
	v_fmaak_f32 v8, v6, v8, 0xbe1160e6
	;; [unrolled: 3-line block ×3, first 2 shown]
	v_dual_mul_f32 v8, v6, v8 :: v_dual_mul_f32 v6, 0.5, v1
                                        ; implicit-def: $vgpr1
	s_delay_alu instid0(VALU_DEP_1)
	v_fmac_f32_e32 v7, v7, v8
.LBB56_81:                              ;   in Loop: Header=BB56_5 Depth=1
	s_and_not1_saveexec_b32 s3, s30
	s_cbranch_execz .LBB56_83
; %bb.82:                               ;   in Loop: Header=BB56_5 Depth=1
	v_max_num_f32_e64 v8, -v11, -v11
	s_wait_dscnt 0x0
	s_delay_alu instid0(VALU_DEP_1) | instskip(NEXT) | instid1(VALU_DEP_1)
	v_max_num_f32_e32 v9, v8, v1
	v_cvt_f64_f32_e32 v[6:7], v9
	s_delay_alu instid0(VALU_DEP_1) | instskip(NEXT) | instid1(VALU_DEP_1)
	v_frexp_exp_i32_f64_e32 v6, v[6:7]
	v_sub_nc_u32_e32 v7, 0, v6
	s_delay_alu instid0(VALU_DEP_1) | instskip(SKIP_1) | instid1(VALU_DEP_2)
	v_ldexp_f32 v19, |v10|, v7
	v_ldexp_f32 v7, -v11, v7
	v_dual_mul_f32 v19, v19, v19 :: v_dual_min_num_f32 v1, v8, v1
	v_frexp_mant_f32_e32 v8, v9
	v_cmp_neq_f32_e32 vcc_lo, 0x7f800000, v9
	s_delay_alu instid0(VALU_DEP_3) | instskip(SKIP_1) | instid1(VALU_DEP_4)
	v_fmac_f32_e32 v19, v7, v7
	v_frexp_exp_i32_f32_e32 v7, v9
	v_rcp_f32_e32 v8, v8
	v_frexp_exp_i32_f32_e32 v23, v1
	v_frexp_mant_f32_e32 v1, v1
	v_sqrt_f32_e32 v19, v19
	s_delay_alu instid0(TRANS32_DEP_2) | instid1(VALU_DEP_1)
	v_dual_sub_nc_u32 v7, v23, v7 :: v_dual_mul_f32 v1, v1, v8
	s_delay_alu instid0(TRANS32_DEP_1) | instskip(NEXT) | instid1(VALU_DEP_2)
	v_ldexp_f32 v6, v19, v6
	v_ldexp_f32 v7, v1, v7
	s_delay_alu instid0(VALU_DEP_1) | instskip(NEXT) | instid1(VALU_DEP_1)
	v_dual_cndmask_b32 v1, 0x7f800000, v6 :: v_dual_mul_f32 v6, v7, v7
	v_cmp_gt_f32_e32 vcc_lo, 0x800000, v1
	s_delay_alu instid0(VALU_DEP_2) | instskip(SKIP_2) | instid1(VALU_DEP_2)
	v_fmaak_f32 v9, s24, v6, 0xbc7a590c
	v_cndmask_b32_e64 v8, 0, 32, vcc_lo
	v_cndmask_b32_e64 v19, 0, 0x41b17218, vcc_lo
	v_ldexp_f32 v1, v1, v8
	s_delay_alu instid0(VALU_DEP_1) | instskip(SKIP_1) | instid1(TRANS32_DEP_1)
	v_log_f32_e32 v1, v1
	v_nop
	v_cmp_gt_f32_e64 vcc_lo, 0x7f800000, |v1|
	v_fmaak_f32 v8, v6, v9, 0x3d29fb3f
	v_mul_f32_e32 v9, 0x3f317217, v1
	s_delay_alu instid0(VALU_DEP_1) | instskip(NEXT) | instid1(VALU_DEP_1)
	v_fma_f32 v9, 0x3f317217, v1, -v9
	v_fmac_f32_e32 v9, 0x3377d1cf, v1
	s_delay_alu instid0(VALU_DEP_1) | instskip(NEXT) | instid1(VALU_DEP_1)
	v_fmac_f32_e32 v9, 0x3f317217, v1
	v_dual_cndmask_b32 v1, v1, v9 :: v_dual_fmaak_f32 v8, v6, v8, 0xbd97d4d7
	s_delay_alu instid0(VALU_DEP_1) | instskip(NEXT) | instid1(VALU_DEP_1)
	v_fmaak_f32 v8, v6, v8, 0x3dd931b2
	v_fmaak_f32 v8, v6, v8, 0xbe1160e6
	s_delay_alu instid0(VALU_DEP_1) | instskip(NEXT) | instid1(VALU_DEP_1)
	v_fmaak_f32 v8, v6, v8, 0x3e4cb8bf
	v_fmaak_f32 v8, v6, v8, 0xbeaaaa62
	s_delay_alu instid0(VALU_DEP_1) | instskip(NEXT) | instid1(VALU_DEP_1)
	v_dual_mul_f32 v8, v6, v8 :: v_dual_sub_f32 v6, v1, v19
	v_fmac_f32_e32 v7, v7, v8
.LBB56_83:                              ;   in Loop: Header=BB56_5 Depth=1
	s_or_b32 exec_lo, exec_lo, s3
                                        ; implicit-def: $vgpr1
.LBB56_84:                              ;   in Loop: Header=BB56_5 Depth=1
	s_and_not1_saveexec_b32 s29, s29
	s_cbranch_execz .LBB56_86
; %bb.85:                               ;   in Loop: Header=BB56_5 Depth=1
	v_div_scale_f32 v6, null, 0xc02df854, 0xc02df854, v11
	v_div_scale_f32 v7, null, 0xc02df854, 0xc02df854, v10
	v_div_scale_f32 v30, vcc_lo, v11, 0xc02df854, v11
	s_delay_alu instid0(VALU_DEP_3) | instskip(NEXT) | instid1(VALU_DEP_2)
	v_rcp_f32_e32 v8, v6
	v_rcp_f32_e32 v9, v7
	s_delay_alu instid0(TRANS32_DEP_2) | instskip(NEXT) | instid1(TRANS32_DEP_1)
	v_fma_f32 v19, -v6, v8, 1.0
	v_fma_f32 v23, -v7, v9, 1.0
	s_delay_alu instid0(VALU_DEP_1) | instskip(NEXT) | instid1(VALU_DEP_3)
	v_fmac_f32_e32 v9, v23, v9
	v_fmac_f32_e32 v8, v19, v8
	v_div_scale_f32 v19, s3, v10, 0xc02df854, v10
	s_delay_alu instid0(VALU_DEP_1) | instskip(NEXT) | instid1(VALU_DEP_1)
	v_dual_mul_f32 v31, v19, v9 :: v_dual_mul_f32 v23, v30, v8
	v_fma_f32 v33, -v7, v31, v19
	s_delay_alu instid0(VALU_DEP_1) | instskip(NEXT) | instid1(VALU_DEP_1)
	v_dual_fma_f32 v32, -v6, v23, v30 :: v_dual_fmac_f32 v31, v33, v9
	v_fmac_f32_e32 v23, v32, v8
	s_delay_alu instid0(VALU_DEP_2) | instskip(NEXT) | instid1(VALU_DEP_2)
	v_fma_f32 v7, -v7, v31, v19
	v_fma_f32 v6, -v6, v23, v30
	s_delay_alu instid0(VALU_DEP_1) | instskip(SKIP_3) | instid1(VALU_DEP_3)
	v_div_fmas_f32 v6, v6, v8, v23
	s_mov_b32 vcc_lo, s3
	v_max_num_f32_e64 v23, -v11, -v11
	v_div_fmas_f32 v7, v7, v9, v31
	v_div_fixup_f32 v8, v6, 0xc02df854, v11
	s_delay_alu instid0(VALU_DEP_2) | instskip(NEXT) | instid1(VALU_DEP_1)
	v_div_fixup_f32 v9, v7, 0xc02df854, v10
	v_max_num_f32_e64 v19, |v8|, |v9|
	s_delay_alu instid0(VALU_DEP_1) | instskip(SKIP_1) | instid1(VALU_DEP_2)
	v_cvt_f64_f32_e32 v[6:7], v19
	v_cmp_neq_f32_e32 vcc_lo, 0x7f800000, v19
	v_frexp_exp_i32_f64_e32 v6, v[6:7]
	s_delay_alu instid0(VALU_DEP_1) | instskip(NEXT) | instid1(VALU_DEP_1)
	v_sub_nc_u32_e32 v7, 0, v6
	v_ldexp_f32 v9, |v9|, v7
	v_ldexp_f32 v7, |v8|, v7
	s_delay_alu instid0(VALU_DEP_2) | instskip(SKIP_2) | instid1(VALU_DEP_1)
	v_mul_f32_e32 v8, v9, v9
	s_wait_dscnt 0x0
	v_dual_max_num_f32 v9, v23, v1 :: v_dual_min_num_f32 v1, v23, v1
	v_frexp_exp_i32_f32_e32 v23, v1
	v_frexp_mant_f32_e32 v1, v1
	v_fmac_f32_e32 v8, v7, v7
	s_delay_alu instid0(VALU_DEP_4) | instskip(SKIP_1) | instid1(VALU_DEP_2)
	v_frexp_mant_f32_e32 v7, v9
	v_frexp_exp_i32_f32_e32 v9, v9
	v_rcp_f32_e32 v7, v7
	v_nop
	s_delay_alu instid0(TRANS32_DEP_1) | instskip(SKIP_2) | instid1(TRANS32_DEP_1)
	v_mul_f32_e32 v1, v1, v7
	v_sqrt_f32_e32 v8, v8
	v_nop
	v_ldexp_f32 v6, v8, v6
	s_delay_alu instid0(VALU_DEP_1) | instskip(NEXT) | instid1(VALU_DEP_1)
	v_cndmask_b32_e32 v6, 0x7f800000, v6, vcc_lo
	v_cmp_gt_f32_e32 vcc_lo, 0x800000, v6
	v_cndmask_b32_e64 v19, 0, 0x41b17218, vcc_lo
	v_sub_nc_u32_e32 v8, v23, v9
	s_delay_alu instid0(VALU_DEP_1) | instskip(SKIP_1) | instid1(VALU_DEP_1)
	v_ldexp_f32 v7, v1, v8
	v_cndmask_b32_e64 v1, 0, 32, vcc_lo
	v_ldexp_f32 v1, v6, v1
	s_delay_alu instid0(VALU_DEP_1) | instskip(SKIP_1) | instid1(TRANS32_DEP_1)
	v_log_f32_e32 v1, v1
	v_nop
	v_dual_mul_f32 v8, v7, v7 :: v_dual_mul_f32 v9, 0x3f317217, v1
	s_delay_alu instid0(VALU_DEP_1) | instskip(SKIP_1) | instid1(VALU_DEP_3)
	v_fmaak_f32 v6, s24, v8, 0xbc7a590c
	v_cmp_gt_f32_e64 vcc_lo, 0x7f800000, |v1|
	v_fma_f32 v9, 0x3f317217, v1, -v9
	s_delay_alu instid0(VALU_DEP_3) | instskip(NEXT) | instid1(VALU_DEP_1)
	v_fmaak_f32 v6, v8, v6, 0x3d29fb3f
	v_fmaak_f32 v6, v8, v6, 0xbd97d4d7
	s_delay_alu instid0(VALU_DEP_1) | instskip(NEXT) | instid1(VALU_DEP_1)
	v_fmaak_f32 v6, v8, v6, 0x3dd931b2
	v_fmaak_f32 v6, v8, v6, 0xbe1160e6
	s_delay_alu instid0(VALU_DEP_1) | instskip(NEXT) | instid1(VALU_DEP_1)
	;; [unrolled: 3-line block ×3, first 2 shown]
	v_dual_fmac_f32 v9, 0x3377d1cf, v1 :: v_dual_mul_f32 v8, v8, v6
	v_fmac_f32_e32 v9, 0x3f317217, v1
	s_delay_alu instid0(VALU_DEP_1) | instskip(NEXT) | instid1(VALU_DEP_1)
	v_dual_fmac_f32 v7, v7, v8 :: v_dual_cndmask_b32 v1, v1, v9, vcc_lo
	v_sub_f32_e32 v1, v1, v19
	s_delay_alu instid0(VALU_DEP_1)
	v_add_f32_e32 v6, 1.0, v1
.LBB56_86:                              ;   in Loop: Header=BB56_5 Depth=1
	s_or_b32 exec_lo, exec_lo, s29
	s_wait_dscnt 0x0
	v_sub_f32_e32 v1, 0x3fc90fdb, v7
	v_cmp_eq_f32_e32 vcc_lo, 0xff800000, v11
	s_delay_alu instid0(VALU_DEP_2) | instskip(SKIP_4) | instid1(SALU_CYCLE_1)
	v_cndmask_b32_e64 v1, v7, v1, s2
	v_cmp_neq_f32_e64 s2, 0, v10
	s_and_b32 s3, vcc_lo, exec_lo
	v_cndmask_b32_e64 v7, 0, v1, s2
	s_and_not1_b32 s2, s27, exec_lo
	s_or_b32 s27, s2, s3
.LBB56_87:                              ;   in Loop: Header=BB56_5 Depth=1
	s_or_b32 exec_lo, exec_lo, s28
	v_cmp_class_f32_e64 s2, v10, 0x204
	s_and_b32 s2, s2, s27
	s_wait_dscnt 0x0
	v_cndmask_b32_e64 v1, v7, 0x3f490fdb, s2
	v_add_f32_e32 v7, 0x3f317218, v6
	s_delay_alu instid0(VALU_DEP_2) | instskip(NEXT) | instid1(VALU_DEP_2)
	v_bfi_b32 v6, 0x7fffffff, v1, v10
	v_bfi_b32 v7, 0x7fffffff, v7, v11
.LBB56_88:                              ;   in Loop: Header=BB56_5 Depth=1
	s_or_b32 exec_lo, exec_lo, s26
.LBB56_89:                              ;   in Loop: Header=BB56_5 Depth=1
	s_and_not1_saveexec_b32 s2, s18
	s_cbranch_execz .LBB56_103
; %bb.90:                               ;   in Loop: Header=BB56_5 Depth=1
	v_cmp_neq_f32_e64 s3, 0x7f800000, |v11|
                                        ; implicit-def: $vgpr7
	s_and_saveexec_b32 s18, s3
	s_delay_alu instid0(SALU_CYCLE_1)
	s_xor_b32 s3, exec_lo, s18
	s_cbranch_execz .LBB56_100
; %bb.91:                               ;   in Loop: Header=BB56_5 Depth=1
	v_cmp_neq_f32_e64 s18, 0x7f800000, |v10|
                                        ; implicit-def: $vgpr7
	s_and_saveexec_b32 s26, s18
	s_delay_alu instid0(SALU_CYCLE_1)
	s_xor_b32 s18, exec_lo, s26
	s_cbranch_execz .LBB56_97
; %bb.92:                               ;   in Loop: Header=BB56_5 Depth=1
	s_mov_b32 s26, exec_lo
                                        ; implicit-def: $vgpr7
	v_cmpx_neq_f32_e32 0, v10
	s_xor_b32 s26, exec_lo, s26
	s_cbranch_execz .LBB56_94
; %bb.93:                               ;   in Loop: Header=BB56_5 Depth=1
	s_wait_dscnt 0x0
	v_add_f32_e32 v1, 0, v11
	s_delay_alu instid0(VALU_DEP_1)
	v_add_f32_e32 v7, v10, v1
.LBB56_94:                              ;   in Loop: Header=BB56_5 Depth=1
	s_or_saveexec_b32 s26, s26
	s_delay_alu instid0(VALU_DEP_1)
	v_mov_b32_e32 v6, v7
	s_xor_b32 exec_lo, exec_lo, s26
; %bb.95:                               ;   in Loop: Header=BB56_5 Depth=1
	v_pk_add_f32 v[6:7], v[10:11], v[10:11]
	v_mov_b32_e32 v6, v10
; %bb.96:                               ;   in Loop: Header=BB56_5 Depth=1
	s_or_b32 exec_lo, exec_lo, s26
.LBB56_97:                              ;   in Loop: Header=BB56_5 Depth=1
	s_and_not1_saveexec_b32 s18, s18
; %bb.98:                               ;   in Loop: Header=BB56_5 Depth=1
	v_dual_add_f32 v6, v11, v11 :: v_dual_mov_b32 v7, v10
; %bb.99:                               ;   in Loop: Header=BB56_5 Depth=1
	s_or_b32 exec_lo, exec_lo, s18
.LBB56_100:                             ;   in Loop: Header=BB56_5 Depth=1
	s_and_not1_saveexec_b32 s3, s3
; %bb.101:                              ;   in Loop: Header=BB56_5 Depth=1
	v_dual_add_f32 v6, v10, v10 :: v_dual_mov_b32 v7, v11
; %bb.102:                              ;   in Loop: Header=BB56_5 Depth=1
	s_or_b32 exec_lo, exec_lo, s3
.LBB56_103:                             ;   in Loop: Header=BB56_5 Depth=1
	s_delay_alu instid0(SALU_CYCLE_1) | instskip(NEXT) | instid1(SALU_CYCLE_1)
	s_or_b32 exec_lo, exec_lo, s2
	s_mov_b32 s2, exec_lo
	v_cmpx_o_f32_e32 v13, v12
	s_xor_b32 s18, exec_lo, s2
	s_cbranch_execz .LBB56_187
; %bb.104:                              ;   in Loop: Header=BB56_5 Depth=1
	v_max_num_f32_e64 v10, |v13|, |v13|
	s_wait_dscnt 0x0
	v_max_num_f32_e64 v1, |v12|, |v12|
	s_mov_b32 s2, exec_lo
	s_delay_alu instid0(VALU_DEP_1) | instskip(NEXT) | instid1(VALU_DEP_1)
	v_max_num_f32_e32 v11, v1, v10
	v_cmpx_nlt_f32_e32 0x4b000000, v11
	s_xor_b32 s26, exec_lo, s2
	s_cbranch_execz .LBB56_164
; %bb.105:                              ;   in Loop: Header=BB56_5 Depth=1
	v_cmp_neq_f32_e32 vcc_lo, 0, v13
	v_cmp_neq_f32_e64 s2, 0, v12
	s_or_b32 s2, vcc_lo, s2
	s_delay_alu instid0(SALU_CYCLE_1)
	s_and_saveexec_b32 s27, s2
	s_cbranch_execz .LBB56_163
; %bb.106:                              ;   in Loop: Header=BB56_5 Depth=1
	flat_store_b32 v[16:17], v28 scope:SCOPE_SYS
	s_wait_storecnt 0x0
	flat_load_b32 v1, v[16:17] scope:SCOPE_SYS
	s_wait_loadcnt 0x0
	v_cmp_ngt_f32_e64 s2, 0x395db3d7, |v13|
	v_cmp_ngt_f32_e64 s3, 0x395db3d7, |v12|
	s_or_b32 s2, s3, s2
	s_wait_dscnt 0x0
	v_add_f32_e32 v1, 1.0, v1
	flat_store_b32 v[20:21], v1 scope:SCOPE_SYS
	s_wait_storecnt 0x0
	flat_load_b32 v1, v[20:21] scope:SCOPE_SYS
	s_wait_loadcnt 0x0
	s_wait_xcnt 0x0
	s_and_saveexec_b32 s28, s2
	s_cbranch_execz .LBB56_162
; %bb.107:                              ;   in Loop: Header=BB56_5 Depth=1
	v_add_f32_e64 v30, |v12|, 1.0
	s_wait_dscnt 0x0
	v_add_f32_e64 v1, |v12|, -1.0
	s_mov_b32 s2, exec_lo
	s_delay_alu instid0(VALU_DEP_2) | instskip(NEXT) | instid1(VALU_DEP_2)
	v_max_num_f32_e32 v19, v10, v30
	v_max_num_f32_e64 v23, v10, |v1|
	s_delay_alu instid0(VALU_DEP_2) | instskip(NEXT) | instid1(VALU_DEP_2)
	v_cvt_f64_f32_e32 v[8:9], v19
	v_cvt_f64_f32_e32 v[10:11], v23
	s_delay_alu instid0(VALU_DEP_2) | instskip(NEXT) | instid1(VALU_DEP_2)
	v_frexp_exp_i32_f64_e32 v8, v[8:9]
	v_frexp_exp_i32_f64_e32 v9, v[10:11]
	s_delay_alu instid0(VALU_DEP_2) | instskip(SKIP_1) | instid1(VALU_DEP_2)
	v_sub_nc_u32_e32 v10, 0, v8
	v_cmp_neq_f32_e32 vcc_lo, 0x7f800000, v19
                                        ; implicit-def: $vgpr19
	v_ldexp_f32 v31, v30, v10
	s_delay_alu instid0(VALU_DEP_4) | instskip(SKIP_1) | instid1(VALU_DEP_3)
	v_sub_nc_u32_e32 v11, 0, v9
	v_ldexp_f32 v10, |v13|, v10
	v_mul_f32_e32 v31, v31, v31
	s_delay_alu instid0(VALU_DEP_3) | instskip(SKIP_1) | instid1(VALU_DEP_2)
	v_ldexp_f32 v32, |v1|, v11
	v_ldexp_f32 v11, |v13|, v11
	v_dual_fmac_f32 v31, v10, v10 :: v_dual_mul_f32 v32, v32, v32
	s_delay_alu instid0(VALU_DEP_1) | instskip(NEXT) | instid1(VALU_DEP_1)
	v_sqrt_f32_e32 v10, v31
	v_fmac_f32_e32 v32, v11, v11
	s_delay_alu instid0(VALU_DEP_1) | instskip(NEXT) | instid1(TRANS32_DEP_2)
	v_sqrt_f32_e32 v11, v32
	v_ldexp_f32 v8, v10, v8
	s_delay_alu instid0(VALU_DEP_1) | instskip(NEXT) | instid1(TRANS32_DEP_1)
	v_cndmask_b32_e32 v32, 0x7f800000, v8, vcc_lo
	v_ldexp_f32 v9, v11, v9
	v_cmp_neq_f32_e32 vcc_lo, 0x7f800000, v23
	s_delay_alu instid0(VALU_DEP_2) | instskip(NEXT) | instid1(VALU_DEP_1)
	v_cndmask_b32_e32 v10, 0x7f800000, v9, vcc_lo
	v_add_f32_e32 v8, v32, v10
	s_delay_alu instid0(VALU_DEP_1) | instskip(NEXT) | instid1(VALU_DEP_1)
	v_mul_f32_e32 v8, 0.5, v8
	v_cmp_ngt_f32_e32 vcc_lo, 1.0, v8
	v_cndmask_b32_e32 v8, 1.0, v8, vcc_lo
	s_delay_alu instid0(VALU_DEP_1)
	v_cmpx_ngt_f32_e32 0x41200000, v8
	s_xor_b32 s3, exec_lo, s2
	s_cbranch_execz .LBB56_109
; %bb.108:                              ;   in Loop: Header=BB56_5 Depth=1
	v_fma_f32 v9, v8, v8, -1.0
	s_delay_alu instid0(VALU_DEP_1) | instskip(SKIP_1) | instid1(VALU_DEP_2)
	v_mul_f32_e32 v11, 0x4f800000, v9
	v_cmp_gt_f32_e32 vcc_lo, 0xf800000, v9
	v_cndmask_b32_e32 v9, v9, v11, vcc_lo
	s_delay_alu instid0(VALU_DEP_1) | instskip(SKIP_1) | instid1(TRANS32_DEP_1)
	v_sqrt_f32_e32 v11, v9
	v_nop
	v_dual_add_nc_u32 v19, -1, v11 :: v_dual_add_nc_u32 v23, 1, v11
	s_delay_alu instid0(VALU_DEP_1) | instskip(NEXT) | instid1(VALU_DEP_2)
	v_fma_f32 v31, -v19, v11, v9
	v_fma_f32 v33, -v23, v11, v9
	s_delay_alu instid0(VALU_DEP_2) | instskip(NEXT) | instid1(VALU_DEP_1)
	v_cmp_ge_f32_e64 s2, 0, v31
	v_cndmask_b32_e64 v11, v11, v19, s2
	s_delay_alu instid0(VALU_DEP_3) | instskip(NEXT) | instid1(VALU_DEP_1)
	v_cmp_lt_f32_e64 s2, 0, v33
	v_cndmask_b32_e64 v11, v11, v23, s2
	s_delay_alu instid0(VALU_DEP_1) | instskip(NEXT) | instid1(VALU_DEP_1)
	v_mul_f32_e32 v19, 0x37800000, v11
	v_cndmask_b32_e32 v11, v11, v19, vcc_lo
	v_cmp_class_f32_e64 vcc_lo, v9, 0x260
	s_delay_alu instid0(VALU_DEP_2) | instskip(NEXT) | instid1(VALU_DEP_1)
	v_cndmask_b32_e32 v9, v11, v9, vcc_lo
	v_add_f32_e32 v9, v8, v9
	s_delay_alu instid0(VALU_DEP_1) | instskip(NEXT) | instid1(VALU_DEP_4)
	v_cmp_gt_f32_e32 vcc_lo, 0x800000, v9
	v_cndmask_b32_e64 v11, 0, 32, vcc_lo
	s_delay_alu instid0(VALU_DEP_1) | instskip(NEXT) | instid1(VALU_DEP_1)
	v_ldexp_f32 v9, v9, v11
	v_log_f32_e32 v9, v9
	v_nop
	s_delay_alu instid0(TRANS32_DEP_1) | instskip(SKIP_1) | instid1(VALU_DEP_2)
	v_mul_f32_e32 v11, 0x3f317217, v9
	v_cmp_gt_f32_e64 s2, 0x7f800000, |v9|
	v_fma_f32 v11, 0x3f317217, v9, -v11
	s_delay_alu instid0(VALU_DEP_1) | instskip(NEXT) | instid1(VALU_DEP_1)
	v_fmac_f32_e32 v11, 0x3377d1cf, v9
	v_fmac_f32_e32 v11, 0x3f317217, v9
	s_delay_alu instid0(VALU_DEP_1) | instskip(SKIP_1) | instid1(VALU_DEP_1)
	v_cndmask_b32_e64 v9, v9, v11, s2
	v_cndmask_b32_e64 v11, 0, 0x41b17218, vcc_lo
	v_sub_f32_e32 v19, v9, v11
.LBB56_109:                             ;   in Loop: Header=BB56_5 Depth=1
	s_or_saveexec_b32 s3, s3
	v_and_b32_e32 v31, 0x7fffffff, v13
	s_xor_b32 exec_lo, exec_lo, s3
	s_cbranch_execz .LBB56_131
; %bb.110:                              ;   in Loop: Header=BB56_5 Depth=1
	v_cmp_neq_f32_e64 s2, |v12|, 1.0
	v_cmp_ngt_f32_e64 s29, 0x25000000, |v13|
                                        ; implicit-def: $vgpr19
	s_or_b32 s2, s2, s29
	s_delay_alu instid0(SALU_CYCLE_1) | instskip(NEXT) | instid1(SALU_CYCLE_1)
	s_and_saveexec_b32 s29, s2
	s_xor_b32 s29, exec_lo, s29
	s_cbranch_execz .LBB56_128
; %bb.111:                              ;   in Loop: Header=BB56_5 Depth=1
	v_mul_f32_e64 v9, 0x34000000, |v1|
	s_mov_b32 s30, exec_lo
                                        ; implicit-def: $vgpr19
	s_delay_alu instid0(VALU_DEP_1)
	v_cmpx_ge_f32_e64 |v13|, v9
	s_xor_b32 s30, exec_lo, s30
	s_cbranch_execz .LBB56_121
; %bb.112:                              ;   in Loop: Header=BB56_5 Depth=1
	v_mov_b32_e32 v9, v31
	s_mov_b32 s2, exec_lo
	v_cmpx_neq_f32_e32 0, v30
	s_cbranch_execz .LBB56_114
; %bb.113:                              ;   in Loop: Header=BB56_5 Depth=1
	v_dual_mul_f32 v9, v13, v13 :: v_dual_add_f32 v11, v30, v32
	s_delay_alu instid0(VALU_DEP_1) | instskip(NEXT) | instid1(VALU_DEP_1)
	v_div_scale_f32 v19, null, v11, v11, v9
	v_rcp_f32_e32 v23, v19
	v_nop
	s_delay_alu instid0(TRANS32_DEP_1) | instskip(NEXT) | instid1(VALU_DEP_1)
	v_fma_f32 v33, -v19, v23, 1.0
	v_fmac_f32_e32 v23, v33, v23
	v_div_scale_f32 v33, vcc_lo, v9, v11, v9
	s_delay_alu instid0(VALU_DEP_1) | instskip(NEXT) | instid1(VALU_DEP_1)
	v_mul_f32_e32 v34, v33, v23
	v_fma_f32 v35, -v19, v34, v33
	s_delay_alu instid0(VALU_DEP_1) | instskip(NEXT) | instid1(VALU_DEP_1)
	v_fmac_f32_e32 v34, v35, v23
	v_fma_f32 v19, -v19, v34, v33
	s_delay_alu instid0(VALU_DEP_1) | instskip(NEXT) | instid1(VALU_DEP_1)
	v_div_fmas_f32 v19, v19, v23, v34
	v_div_fixup_f32 v9, v19, v11, v9
.LBB56_114:                             ;   in Loop: Header=BB56_5 Depth=1
	s_or_b32 exec_lo, exec_lo, s2
	v_sub_f32_e64 v19, 1.0, |v12|
	s_mov_b32 s2, exec_lo
                                        ; implicit-def: $vgpr11
	s_delay_alu instid0(VALU_DEP_1)
	v_cmpx_ngt_f32_e32 0, v19
	s_xor_b32 s2, exec_lo, s2
	s_cbranch_execz .LBB56_118
; %bb.115:                              ;   in Loop: Header=BB56_5 Depth=1
	v_mov_b32_e32 v11, v31
	s_mov_b32 s31, exec_lo
	v_cmpx_neq_f32_e32 0, v19
	s_cbranch_execz .LBB56_117
; %bb.116:                              ;   in Loop: Header=BB56_5 Depth=1
	v_dual_mul_f32 v11, v13, v13 :: v_dual_add_f32 v19, v19, v10
	s_delay_alu instid0(VALU_DEP_1) | instskip(NEXT) | instid1(VALU_DEP_1)
	v_div_scale_f32 v23, null, v19, v19, v11
	v_rcp_f32_e32 v33, v23
	v_nop
	s_delay_alu instid0(TRANS32_DEP_1) | instskip(NEXT) | instid1(VALU_DEP_1)
	v_fma_f32 v34, -v23, v33, 1.0
	v_fmac_f32_e32 v33, v34, v33
	v_div_scale_f32 v34, vcc_lo, v11, v19, v11
	s_delay_alu instid0(VALU_DEP_1) | instskip(NEXT) | instid1(VALU_DEP_1)
	v_mul_f32_e32 v35, v34, v33
	v_fma_f32 v36, -v23, v35, v34
	s_delay_alu instid0(VALU_DEP_1) | instskip(NEXT) | instid1(VALU_DEP_1)
	v_fmac_f32_e32 v35, v36, v33
	v_fma_f32 v23, -v23, v35, v34
	s_delay_alu instid0(VALU_DEP_1) | instskip(NEXT) | instid1(VALU_DEP_1)
	v_div_fmas_f32 v23, v23, v33, v35
	v_div_fixup_f32 v11, v23, v19, v11
.LBB56_117:                             ;   in Loop: Header=BB56_5 Depth=1
	s_or_b32 exec_lo, exec_lo, s31
                                        ; implicit-def: $vgpr19
.LBB56_118:                             ;   in Loop: Header=BB56_5 Depth=1
	s_and_not1_saveexec_b32 s2, s2
; %bb.119:                              ;   in Loop: Header=BB56_5 Depth=1
	v_sub_f32_e32 v11, v10, v19
; %bb.120:                              ;   in Loop: Header=BB56_5 Depth=1
	s_or_b32 exec_lo, exec_lo, s2
	s_delay_alu instid0(VALU_DEP_1) | instskip(NEXT) | instid1(VALU_DEP_1)
	v_dual_mul_f32 v9, 0.5, v9 :: v_dual_mul_f32 v19, 0.5, v11
	v_pk_add_f32 v[34:35], v[8:9], v[18:19]
	s_delay_alu instid0(VALU_DEP_1) | instskip(NEXT) | instid1(VALU_DEP_1)
	v_mul_f32_e32 v9, v34, v35
	v_mul_f32_e32 v11, 0x4f800000, v9
	v_cmp_gt_f32_e32 vcc_lo, 0xf800000, v9
	s_delay_alu instid0(VALU_DEP_2) | instskip(NEXT) | instid1(VALU_DEP_1)
	v_cndmask_b32_e32 v9, v9, v11, vcc_lo
	v_sqrt_f32_e32 v11, v9
	v_nop
	s_delay_alu instid0(TRANS32_DEP_1) | instskip(NEXT) | instid1(VALU_DEP_1)
	v_dual_add_nc_u32 v19, -1, v11 :: v_dual_add_nc_u32 v23, 1, v11
	v_fma_f32 v33, -v19, v11, v9
	s_delay_alu instid0(VALU_DEP_2) | instskip(NEXT) | instid1(VALU_DEP_2)
	v_fma_f32 v34, -v23, v11, v9
	v_cmp_ge_f32_e64 s2, 0, v33
	s_delay_alu instid0(VALU_DEP_1) | instskip(NEXT) | instid1(VALU_DEP_3)
	v_cndmask_b32_e64 v11, v11, v19, s2
	v_cmp_lt_f32_e64 s2, 0, v34
	s_delay_alu instid0(VALU_DEP_1) | instskip(NEXT) | instid1(VALU_DEP_1)
	v_cndmask_b32_e64 v11, v11, v23, s2
	v_mul_f32_e32 v19, 0x37800000, v11
	s_delay_alu instid0(VALU_DEP_1) | instskip(SKIP_1) | instid1(VALU_DEP_2)
	v_cndmask_b32_e32 v11, v11, v19, vcc_lo
	v_cmp_class_f32_e64 vcc_lo, v9, 0x260
	v_cndmask_b32_e32 v9, v11, v9, vcc_lo
	s_delay_alu instid0(VALU_DEP_1) | instskip(NEXT) | instid1(VALU_DEP_1)
	v_add_f32_e32 v34, v35, v9
	v_add_f32_e32 v37, 1.0, v34
	s_delay_alu instid0(VALU_DEP_1) | instskip(SKIP_2) | instid1(VALU_DEP_2)
	v_cvt_f64_f32_e32 v[38:39], v37
	v_frexp_mant_f32_e32 v11, v37
	v_add_f32_e32 v35, -1.0, v37
	v_cmp_gt_f32_e32 vcc_lo, 0x3f2aaaab, v11
	s_delay_alu instid0(VALU_DEP_2) | instskip(SKIP_1) | instid1(VALU_DEP_2)
	v_mov_b32_e32 v36, v35
	v_frexp_exp_i32_f64_e32 v9, v[38:39]
	v_pk_add_f32 v[38:39], v[34:35], v[36:37] neg_lo:[0,1] neg_hi:[0,1]
	s_delay_alu instid0(VALU_DEP_1) | instskip(NEXT) | instid1(VALU_DEP_1)
	v_add_f32_e32 v23, 1.0, v39
	v_add_f32_e32 v23, v38, v23
	s_delay_alu instid0(VALU_DEP_4) | instskip(SKIP_1) | instid1(VALU_DEP_2)
	v_subrev_co_ci_u32_e64 v9, null, 0, v9, vcc_lo
	v_cmp_neq_f32_e32 vcc_lo, 0x7f800000, v34
	v_sub_nc_u32_e32 v11, 0, v9
	s_delay_alu instid0(VALU_DEP_1) | instskip(NEXT) | instid1(VALU_DEP_1)
	v_ldexp_f32 v19, v37, v11
	v_dual_add_f32 v33, 1.0, v19 :: v_dual_add_f32 v41, -1.0, v19
	v_ldexp_f32 v11, v23, v11
	s_delay_alu instid0(VALU_DEP_2) | instskip(NEXT) | instid1(VALU_DEP_1)
	v_add_f32_e32 v35, -1.0, v33
	v_dual_sub_f32 v23, v19, v35 :: v_dual_add_f32 v35, 1.0, v41
	s_delay_alu instid0(VALU_DEP_1) | instskip(NEXT) | instid1(VALU_DEP_2)
	v_add_f32_e32 v23, v11, v23
	v_sub_f32_e32 v19, v19, v35
	s_delay_alu instid0(VALU_DEP_2) | instskip(NEXT) | instid1(VALU_DEP_2)
	v_add_f32_e32 v35, v33, v23
	v_add_f32_e32 v11, v11, v19
	s_delay_alu instid0(VALU_DEP_1) | instskip(NEXT) | instid1(VALU_DEP_1)
	v_dual_sub_f32 v33, v35, v33 :: v_dual_add_f32 v37, v41, v11
	v_sub_f32_e32 v23, v23, v33
	v_rcp_f32_e32 v19, v35
	v_nop
	s_delay_alu instid0(TRANS32_DEP_1) | instskip(NEXT) | instid1(VALU_DEP_1)
	v_dual_sub_f32 v33, v37, v41 :: v_dual_mul_f32 v42, v37, v19
	v_sub_f32_e32 v11, v11, v33
	s_delay_alu instid0(VALU_DEP_2) | instskip(NEXT) | instid1(VALU_DEP_1)
	v_mul_f32_e32 v38, v35, v42
	v_fma_f32 v40, v42, v35, -v38
	s_delay_alu instid0(VALU_DEP_1) | instskip(NEXT) | instid1(VALU_DEP_1)
	v_fmac_f32_e32 v40, v42, v23
	v_add_f32_e32 v36, v38, v40
	s_delay_alu instid0(VALU_DEP_1) | instskip(NEXT) | instid1(VALU_DEP_1)
	v_dual_sub_f32 v39, v37, v36 :: v_dual_mov_b32 v41, v36
	v_pk_add_f32 v[36:37], v[36:37], v[38:39] neg_lo:[0,1] neg_hi:[0,1]
	s_delay_alu instid0(VALU_DEP_1) | instskip(NEXT) | instid1(VALU_DEP_1)
	v_pk_add_f32 v[36:37], v[36:37], v[40:41] neg_lo:[0,1] neg_hi:[0,1]
	v_add_f32_e32 v11, v11, v37
	s_delay_alu instid0(VALU_DEP_1) | instskip(NEXT) | instid1(VALU_DEP_1)
	v_add_f32_e32 v11, v36, v11
	v_add_f32_e32 v37, v39, v11
	s_delay_alu instid0(VALU_DEP_1) | instskip(NEXT) | instid1(VALU_DEP_1)
	v_mul_f32_e32 v33, v19, v37
	v_mul_f32_e32 v40, v35, v33
	s_delay_alu instid0(VALU_DEP_1) | instskip(NEXT) | instid1(VALU_DEP_1)
	v_fma_f32 v38, v33, v35, -v40
	v_fmac_f32_e32 v38, v33, v23
	s_delay_alu instid0(VALU_DEP_1) | instskip(NEXT) | instid1(VALU_DEP_1)
	v_dual_add_f32 v36, v40, v38 :: v_dual_sub_f32 v23, v39, v37
	v_dual_sub_f32 v41, v37, v36 :: v_dual_mov_b32 v39, v36
	s_delay_alu instid0(VALU_DEP_2) | instskip(NEXT) | instid1(VALU_DEP_2)
	v_add_f32_e32 v11, v11, v23
	v_pk_add_f32 v[36:37], v[36:37], v[40:41] neg_lo:[0,1] neg_hi:[0,1]
	s_delay_alu instid0(VALU_DEP_1) | instskip(SKIP_1) | instid1(VALU_DEP_1)
	v_pk_add_f32 v[36:37], v[36:37], v[38:39] neg_lo:[0,1] neg_hi:[0,1]
	v_add_f32_e32 v35, v42, v33
	v_sub_f32_e32 v23, v35, v42
	s_delay_alu instid0(VALU_DEP_1) | instskip(NEXT) | instid1(VALU_DEP_1)
	v_dual_add_f32 v11, v11, v37 :: v_dual_sub_f32 v23, v33, v23
	v_add_f32_e32 v11, v36, v11
	v_cvt_f32_i32_e32 v36, v9
	s_delay_alu instid0(VALU_DEP_2) | instskip(NEXT) | instid1(VALU_DEP_1)
	v_add_f32_e32 v11, v41, v11
	v_mul_f32_e32 v11, v19, v11
	s_delay_alu instid0(VALU_DEP_1) | instskip(NEXT) | instid1(VALU_DEP_1)
	v_add_f32_e32 v11, v23, v11
	v_add_f32_e32 v19, v35, v11
	s_delay_alu instid0(VALU_DEP_1) | instskip(SKIP_2) | instid1(VALU_DEP_3)
	v_mul_f32_e32 v23, v19, v19
	v_ldexp_f32 v41, v19, 1
	v_sub_f32_e32 v9, v19, v35
	v_fmaak_f32 v33, s22, v23, 0x3ecc95a3
	v_mul_f32_e32 v37, v19, v23
	s_delay_alu instid0(VALU_DEP_2) | instskip(NEXT) | instid1(VALU_DEP_1)
	v_fmaak_f32 v23, v23, v33, 0x3f2aaada
	v_pk_mul_f32 v[38:39], v[36:37], v[22:23]
	s_delay_alu instid0(VALU_DEP_1) | instskip(SKIP_1) | instid1(VALU_DEP_2)
	v_fma_f32 v40, 0x3f317218, v36, -v38
	v_dual_mov_b32 v42, v38 :: v_dual_sub_f32 v9, v11, v9
	v_fmac_f32_e32 v40, 0xb102e308, v36
	s_delay_alu instid0(VALU_DEP_2) | instskip(NEXT) | instid1(VALU_DEP_2)
	v_ldexp_f32 v9, v9, 1
	v_pk_add_f32 v[36:37], v[38:39], v[40:41]
	s_delay_alu instid0(VALU_DEP_1) | instskip(NEXT) | instid1(VALU_DEP_1)
	v_dual_sub_f32 v11, v37, v41 :: v_dual_mov_b32 v41, v36
	v_dual_mov_b32 v50, v37 :: v_dual_sub_f32 v11, v39, v11
	v_pk_add_f32 v[38:39], v[36:37], v[38:39] neg_lo:[0,1] neg_hi:[0,1]
	s_delay_alu instid0(VALU_DEP_2) | instskip(NEXT) | instid1(VALU_DEP_1)
	v_add_f32_e32 v43, v9, v11
	v_pk_add_f32 v[44:45], v[36:37], v[42:43]
	s_delay_alu instid0(VALU_DEP_1) | instskip(NEXT) | instid1(VALU_DEP_1)
	v_mov_b32_e32 v39, v45
	v_pk_add_f32 v[46:47], v[40:41], v[38:39]
	v_mov_b32_e32 v46, v45
	v_pk_add_f32 v[38:39], v[40:41], v[38:39] neg_lo:[0,1] neg_hi:[0,1]
	s_delay_alu instid0(VALU_DEP_3) | instskip(NEXT) | instid1(VALU_DEP_1)
	v_dual_mov_b32 v42, v47 :: v_dual_mov_b32 v39, v47
	v_pk_add_f32 v[48:49], v[42:43], v[36:37] neg_lo:[0,1] neg_hi:[0,1]
	s_delay_alu instid0(VALU_DEP_1) | instskip(SKIP_1) | instid1(VALU_DEP_2)
	v_dual_mov_b32 v37, v36 :: v_dual_mov_b32 v51, v48
	v_dual_mov_b32 v9, v48 :: v_dual_mov_b32 v36, v43
	v_pk_add_f32 v[48:49], v[46:47], v[50:51] neg_lo:[0,1] neg_hi:[0,1]
	s_delay_alu instid0(VALU_DEP_2) | instskip(SKIP_1) | instid1(VALU_DEP_3)
	v_pk_add_f32 v[40:41], v[44:45], v[8:9] neg_lo:[0,1] neg_hi:[0,1]
	v_mov_b32_e32 v40, v38
	v_pk_add_f32 v[36:37], v[36:37], v[48:49] neg_lo:[0,1] neg_hi:[0,1]
	s_delay_alu instid0(VALU_DEP_1) | instskip(NEXT) | instid1(VALU_DEP_1)
	v_pk_add_f32 v[40:41], v[40:41], v[36:37]
	v_mov_b32_e32 v44, v41
	s_delay_alu instid0(VALU_DEP_1) | instskip(NEXT) | instid1(VALU_DEP_1)
	v_pk_add_f32 v[44:45], v[40:41], v[44:45]
	v_pk_add_f32 v[42:43], v[42:43], v[44:45]
	s_delay_alu instid0(VALU_DEP_1) | instskip(NEXT) | instid1(VALU_DEP_1)
	v_dual_mov_b32 v37, v44 :: v_dual_mov_b32 v41, v42
	v_pk_add_f32 v[46:47], v[40:41], v[38:39] neg_lo:[0,1] neg_hi:[0,1]
	s_delay_alu instid0(VALU_DEP_1) | instskip(NEXT) | instid1(VALU_DEP_2)
	v_sub_f32_e32 v9, v40, v46
	v_pk_add_f32 v[36:37], v[36:37], v[46:47] neg_lo:[0,1] neg_hi:[0,1]
	s_delay_alu instid0(VALU_DEP_2) | instskip(NEXT) | instid1(VALU_DEP_1)
	v_sub_f32_e32 v9, v38, v9
	v_add_f32_e32 v9, v36, v9
	s_delay_alu instid0(VALU_DEP_1) | instskip(NEXT) | instid1(VALU_DEP_1)
	v_add_f32_e32 v9, v9, v37
	v_add_f32_e32 v9, v42, v9
	s_delay_alu instid0(VALU_DEP_1) | instskip(SKIP_1) | instid1(VALU_DEP_2)
	v_cndmask_b32_e32 v9, 0x7f800000, v9, vcc_lo
	v_cmp_ngt_f32_e32 vcc_lo, -1.0, v34
	v_cndmask_b32_e32 v9, 0x7fc00000, v9, vcc_lo
	v_cmp_neq_f32_e32 vcc_lo, -1.0, v34
	s_delay_alu instid0(VALU_DEP_2) | instskip(SKIP_1) | instid1(VALU_DEP_2)
	v_cndmask_b32_e32 v9, 0xff800000, v9, vcc_lo
	v_cmp_gt_f32_e64 vcc_lo, 0x33800000, |v34|
	v_cndmask_b32_e32 v19, v9, v34, vcc_lo
.LBB56_121:                             ;   in Loop: Header=BB56_5 Depth=1
	s_and_not1_saveexec_b32 s30, s30
	s_cbranch_execz .LBB56_127
; %bb.122:                              ;   in Loop: Header=BB56_5 Depth=1
	s_mov_b32 s31, exec_lo
                                        ; implicit-def: $vgpr19
	v_cmpx_nlt_f32_e64 |v12|, 1.0
	s_xor_b32 s31, exec_lo, s31
	s_cbranch_execz .LBB56_124
; %bb.123:                              ;   in Loop: Header=BB56_5 Depth=1
	v_mul_f32_e32 v9, v1, v30
	s_delay_alu instid0(VALU_DEP_1) | instskip(SKIP_1) | instid1(VALU_DEP_2)
	v_mul_f32_e32 v11, 0x4f800000, v9
	v_cmp_gt_f32_e32 vcc_lo, 0xf800000, v9
	v_cndmask_b32_e32 v9, v9, v11, vcc_lo
	s_delay_alu instid0(VALU_DEP_1) | instskip(SKIP_1) | instid1(TRANS32_DEP_1)
	v_sqrt_f32_e32 v11, v9
	v_nop
	v_dual_add_nc_u32 v19, -1, v11 :: v_dual_add_nc_u32 v23, 1, v11
	s_delay_alu instid0(VALU_DEP_1) | instskip(NEXT) | instid1(VALU_DEP_2)
	v_fma_f32 v33, -v19, v11, v9
	v_fma_f32 v34, -v23, v11, v9
	s_delay_alu instid0(VALU_DEP_2) | instskip(NEXT) | instid1(VALU_DEP_1)
	v_cmp_ge_f32_e64 s2, 0, v33
	v_cndmask_b32_e64 v11, v11, v19, s2
	s_delay_alu instid0(VALU_DEP_3) | instskip(NEXT) | instid1(VALU_DEP_1)
	v_cmp_lt_f32_e64 s2, 0, v34
	v_cndmask_b32_e64 v11, v11, v23, s2
	s_delay_alu instid0(VALU_DEP_1) | instskip(NEXT) | instid1(VALU_DEP_1)
	v_mul_f32_e32 v19, 0x37800000, v11
	v_cndmask_b32_e32 v11, v11, v19, vcc_lo
	v_cmp_class_f32_e64 vcc_lo, v9, 0x260
	s_delay_alu instid0(VALU_DEP_2) | instskip(NEXT) | instid1(VALU_DEP_1)
	v_cndmask_b32_e32 v9, v11, v9, vcc_lo
	v_add_f32_e32 v34, v1, v9
	s_delay_alu instid0(VALU_DEP_1) | instskip(NEXT) | instid1(VALU_DEP_1)
	v_add_f32_e32 v37, 1.0, v34
	v_cvt_f64_f32_e32 v[38:39], v37
	v_frexp_mant_f32_e32 v11, v37
	v_add_f32_e32 v35, -1.0, v37
	s_delay_alu instid0(VALU_DEP_2) | instskip(NEXT) | instid1(VALU_DEP_2)
	v_cmp_gt_f32_e32 vcc_lo, 0x3f2aaaab, v11
	v_mov_b32_e32 v36, v35
	v_frexp_exp_i32_f64_e32 v9, v[38:39]
	s_delay_alu instid0(VALU_DEP_2) | instskip(NEXT) | instid1(VALU_DEP_1)
	v_pk_add_f32 v[38:39], v[34:35], v[36:37] neg_lo:[0,1] neg_hi:[0,1]
	v_add_f32_e32 v23, 1.0, v39
	s_delay_alu instid0(VALU_DEP_1) | instskip(NEXT) | instid1(VALU_DEP_4)
	v_add_f32_e32 v23, v38, v23
	v_subrev_co_ci_u32_e64 v9, null, 0, v9, vcc_lo
	v_cmp_neq_f32_e32 vcc_lo, 0x7f800000, v34
	s_delay_alu instid0(VALU_DEP_2) | instskip(NEXT) | instid1(VALU_DEP_1)
	v_sub_nc_u32_e32 v11, 0, v9
	v_ldexp_f32 v19, v37, v11
	s_delay_alu instid0(VALU_DEP_1) | instskip(SKIP_1) | instid1(VALU_DEP_2)
	v_dual_add_f32 v33, 1.0, v19 :: v_dual_add_f32 v41, -1.0, v19
	v_ldexp_f32 v11, v23, v11
	v_add_f32_e32 v35, -1.0, v33
	s_delay_alu instid0(VALU_DEP_1) | instskip(NEXT) | instid1(VALU_DEP_1)
	v_dual_sub_f32 v23, v19, v35 :: v_dual_add_f32 v35, 1.0, v41
	v_add_f32_e32 v23, v11, v23
	s_delay_alu instid0(VALU_DEP_2) | instskip(NEXT) | instid1(VALU_DEP_2)
	v_sub_f32_e32 v19, v19, v35
	v_add_f32_e32 v35, v33, v23
	s_delay_alu instid0(VALU_DEP_2) | instskip(NEXT) | instid1(VALU_DEP_1)
	v_add_f32_e32 v11, v11, v19
	v_dual_sub_f32 v33, v35, v33 :: v_dual_add_f32 v37, v41, v11
	s_delay_alu instid0(VALU_DEP_1) | instskip(SKIP_2) | instid1(TRANS32_DEP_1)
	v_sub_f32_e32 v23, v23, v33
	v_rcp_f32_e32 v19, v35
	v_nop
	v_dual_sub_f32 v33, v37, v41 :: v_dual_mul_f32 v42, v37, v19
	s_delay_alu instid0(VALU_DEP_1) | instskip(NEXT) | instid1(VALU_DEP_2)
	v_sub_f32_e32 v11, v11, v33
	v_mul_f32_e32 v38, v35, v42
	s_delay_alu instid0(VALU_DEP_1) | instskip(NEXT) | instid1(VALU_DEP_1)
	v_fma_f32 v40, v42, v35, -v38
	v_fmac_f32_e32 v40, v42, v23
	s_delay_alu instid0(VALU_DEP_1) | instskip(NEXT) | instid1(VALU_DEP_1)
	v_add_f32_e32 v36, v38, v40
	v_dual_sub_f32 v39, v37, v36 :: v_dual_mov_b32 v41, v36
	s_delay_alu instid0(VALU_DEP_1) | instskip(NEXT) | instid1(VALU_DEP_1)
	v_pk_add_f32 v[36:37], v[36:37], v[38:39] neg_lo:[0,1] neg_hi:[0,1]
	v_pk_add_f32 v[36:37], v[36:37], v[40:41] neg_lo:[0,1] neg_hi:[0,1]
	s_delay_alu instid0(VALU_DEP_1) | instskip(NEXT) | instid1(VALU_DEP_1)
	v_add_f32_e32 v11, v11, v37
	v_add_f32_e32 v11, v36, v11
	s_delay_alu instid0(VALU_DEP_1) | instskip(NEXT) | instid1(VALU_DEP_1)
	v_add_f32_e32 v37, v39, v11
	v_mul_f32_e32 v33, v19, v37
	s_delay_alu instid0(VALU_DEP_1) | instskip(NEXT) | instid1(VALU_DEP_1)
	v_mul_f32_e32 v40, v35, v33
	v_fma_f32 v38, v33, v35, -v40
	s_delay_alu instid0(VALU_DEP_1) | instskip(NEXT) | instid1(VALU_DEP_1)
	v_fmac_f32_e32 v38, v33, v23
	v_dual_add_f32 v36, v40, v38 :: v_dual_sub_f32 v23, v39, v37
	s_delay_alu instid0(VALU_DEP_1) | instskip(NEXT) | instid1(VALU_DEP_2)
	v_dual_sub_f32 v41, v37, v36 :: v_dual_mov_b32 v39, v36
	v_add_f32_e32 v11, v11, v23
	s_delay_alu instid0(VALU_DEP_2) | instskip(NEXT) | instid1(VALU_DEP_1)
	v_pk_add_f32 v[36:37], v[36:37], v[40:41] neg_lo:[0,1] neg_hi:[0,1]
	v_pk_add_f32 v[36:37], v[36:37], v[38:39] neg_lo:[0,1] neg_hi:[0,1]
	v_add_f32_e32 v35, v42, v33
	s_delay_alu instid0(VALU_DEP_1) | instskip(NEXT) | instid1(VALU_DEP_1)
	v_sub_f32_e32 v23, v35, v42
	v_dual_add_f32 v11, v11, v37 :: v_dual_sub_f32 v23, v33, v23
	s_delay_alu instid0(VALU_DEP_1) | instskip(SKIP_1) | instid1(VALU_DEP_2)
	v_add_f32_e32 v11, v36, v11
	v_cvt_f32_i32_e32 v36, v9
	v_add_f32_e32 v11, v41, v11
	s_delay_alu instid0(VALU_DEP_1) | instskip(NEXT) | instid1(VALU_DEP_1)
	v_mul_f32_e32 v11, v19, v11
	v_add_f32_e32 v11, v23, v11
	s_delay_alu instid0(VALU_DEP_1) | instskip(NEXT) | instid1(VALU_DEP_1)
	v_add_f32_e32 v19, v35, v11
	v_mul_f32_e32 v23, v19, v19
	v_ldexp_f32 v41, v19, 1
	v_sub_f32_e32 v9, v19, v35
	s_delay_alu instid0(VALU_DEP_3) | instskip(SKIP_1) | instid1(VALU_DEP_2)
	v_fmaak_f32 v33, s22, v23, 0x3ecc95a3
	v_mul_f32_e32 v37, v19, v23
	v_fmaak_f32 v23, v23, v33, 0x3f2aaada
	s_delay_alu instid0(VALU_DEP_1) | instskip(NEXT) | instid1(VALU_DEP_1)
	v_pk_mul_f32 v[38:39], v[36:37], v[22:23]
	v_fma_f32 v40, 0x3f317218, v36, -v38
	v_dual_mov_b32 v42, v38 :: v_dual_sub_f32 v9, v11, v9
	s_delay_alu instid0(VALU_DEP_2) | instskip(NEXT) | instid1(VALU_DEP_2)
	v_fmac_f32_e32 v40, 0xb102e308, v36
	v_ldexp_f32 v9, v9, 1
	s_delay_alu instid0(VALU_DEP_2) | instskip(NEXT) | instid1(VALU_DEP_1)
	v_pk_add_f32 v[36:37], v[38:39], v[40:41]
	v_dual_sub_f32 v11, v37, v41 :: v_dual_mov_b32 v41, v36
	s_delay_alu instid0(VALU_DEP_1) | instskip(SKIP_1) | instid1(VALU_DEP_2)
	v_dual_mov_b32 v50, v37 :: v_dual_sub_f32 v11, v39, v11
	v_pk_add_f32 v[38:39], v[36:37], v[38:39] neg_lo:[0,1] neg_hi:[0,1]
	v_add_f32_e32 v43, v9, v11
	s_delay_alu instid0(VALU_DEP_1) | instskip(NEXT) | instid1(VALU_DEP_1)
	v_pk_add_f32 v[44:45], v[36:37], v[42:43]
	v_mov_b32_e32 v39, v45
	s_delay_alu instid0(VALU_DEP_1) | instskip(SKIP_2) | instid1(VALU_DEP_3)
	v_pk_add_f32 v[46:47], v[40:41], v[38:39]
	v_mov_b32_e32 v46, v45
	v_pk_add_f32 v[38:39], v[40:41], v[38:39] neg_lo:[0,1] neg_hi:[0,1]
	v_dual_mov_b32 v42, v47 :: v_dual_mov_b32 v39, v47
	s_delay_alu instid0(VALU_DEP_1) | instskip(NEXT) | instid1(VALU_DEP_1)
	v_pk_add_f32 v[48:49], v[42:43], v[36:37] neg_lo:[0,1] neg_hi:[0,1]
	v_dual_mov_b32 v37, v36 :: v_dual_mov_b32 v51, v48
	v_dual_mov_b32 v9, v48 :: v_dual_mov_b32 v36, v43
	s_delay_alu instid0(VALU_DEP_2) | instskip(NEXT) | instid1(VALU_DEP_2)
	v_pk_add_f32 v[48:49], v[46:47], v[50:51] neg_lo:[0,1] neg_hi:[0,1]
	v_pk_add_f32 v[40:41], v[44:45], v[8:9] neg_lo:[0,1] neg_hi:[0,1]
	v_mov_b32_e32 v40, v38
	s_delay_alu instid0(VALU_DEP_3) | instskip(NEXT) | instid1(VALU_DEP_1)
	v_pk_add_f32 v[36:37], v[36:37], v[48:49] neg_lo:[0,1] neg_hi:[0,1]
	v_pk_add_f32 v[40:41], v[40:41], v[36:37]
	s_delay_alu instid0(VALU_DEP_1) | instskip(NEXT) | instid1(VALU_DEP_1)
	v_mov_b32_e32 v44, v41
	v_pk_add_f32 v[44:45], v[40:41], v[44:45]
	s_delay_alu instid0(VALU_DEP_1) | instskip(NEXT) | instid1(VALU_DEP_1)
	v_pk_add_f32 v[42:43], v[42:43], v[44:45]
	v_dual_mov_b32 v37, v44 :: v_dual_mov_b32 v41, v42
	s_delay_alu instid0(VALU_DEP_1) | instskip(NEXT) | instid1(VALU_DEP_1)
	v_pk_add_f32 v[46:47], v[40:41], v[38:39] neg_lo:[0,1] neg_hi:[0,1]
	v_sub_f32_e32 v9, v40, v46
	s_delay_alu instid0(VALU_DEP_2) | instskip(NEXT) | instid1(VALU_DEP_2)
	v_pk_add_f32 v[36:37], v[36:37], v[46:47] neg_lo:[0,1] neg_hi:[0,1]
	v_sub_f32_e32 v9, v38, v9
	s_delay_alu instid0(VALU_DEP_1) | instskip(NEXT) | instid1(VALU_DEP_1)
	v_add_f32_e32 v9, v36, v9
	v_add_f32_e32 v9, v9, v37
	s_delay_alu instid0(VALU_DEP_1) | instskip(NEXT) | instid1(VALU_DEP_1)
	v_add_f32_e32 v9, v42, v9
	v_cndmask_b32_e32 v9, 0x7f800000, v9, vcc_lo
	v_cmp_ngt_f32_e32 vcc_lo, -1.0, v34
	s_delay_alu instid0(VALU_DEP_2) | instskip(SKIP_1) | instid1(VALU_DEP_2)
	v_cndmask_b32_e32 v9, 0x7fc00000, v9, vcc_lo
	v_cmp_neq_f32_e32 vcc_lo, -1.0, v34
	v_cndmask_b32_e32 v9, 0xff800000, v9, vcc_lo
	v_cmp_gt_f32_e64 vcc_lo, 0x33800000, |v34|
	s_delay_alu instid0(VALU_DEP_2)
	v_cndmask_b32_e32 v19, v9, v34, vcc_lo
.LBB56_124:                             ;   in Loop: Header=BB56_5 Depth=1
	s_and_not1_saveexec_b32 s31, s31
	s_cbranch_execz .LBB56_126
; %bb.125:                              ;   in Loop: Header=BB56_5 Depth=1
	v_sub_f32_e64 v9, 1.0, |v12|
	s_delay_alu instid0(VALU_DEP_1) | instskip(NEXT) | instid1(VALU_DEP_1)
	v_mul_f32_e32 v9, v9, v30
	v_mul_f32_e32 v11, 0x4f800000, v9
	v_cmp_gt_f32_e32 vcc_lo, 0xf800000, v9
	s_delay_alu instid0(VALU_DEP_2) | instskip(NEXT) | instid1(VALU_DEP_1)
	v_cndmask_b32_e32 v9, v9, v11, vcc_lo
	v_sqrt_f32_e32 v11, v9
	v_nop
	s_delay_alu instid0(TRANS32_DEP_1) | instskip(NEXT) | instid1(VALU_DEP_1)
	v_dual_add_nc_u32 v19, -1, v11 :: v_dual_add_nc_u32 v23, 1, v11
	v_fma_f32 v33, -v19, v11, v9
	s_delay_alu instid0(VALU_DEP_2) | instskip(NEXT) | instid1(VALU_DEP_2)
	v_fma_f32 v34, -v23, v11, v9
	v_cmp_ge_f32_e64 s2, 0, v33
	s_delay_alu instid0(VALU_DEP_1) | instskip(NEXT) | instid1(VALU_DEP_3)
	v_cndmask_b32_e64 v11, v11, v19, s2
	v_cmp_lt_f32_e64 s2, 0, v34
	s_delay_alu instid0(VALU_DEP_1) | instskip(NEXT) | instid1(VALU_DEP_1)
	v_cndmask_b32_e64 v11, v11, v23, s2
	v_mul_f32_e32 v19, 0x37800000, v11
	s_delay_alu instid0(VALU_DEP_1) | instskip(SKIP_2) | instid1(VALU_DEP_3)
	v_cndmask_b32_e32 v11, v11, v19, vcc_lo
	v_cmp_class_f32_e64 vcc_lo, v9, 0x260
	v_and_b32_e32 v19, 0x7fffffff, v13
	v_cndmask_b32_e32 v9, v11, v9, vcc_lo
	s_delay_alu instid0(VALU_DEP_1) | instskip(SKIP_1) | instid1(VALU_DEP_2)
	v_div_scale_f32 v11, null, v9, v9, v19
	v_div_scale_f32 v19, vcc_lo, v19, v9, v19
	v_rcp_f32_e32 v23, v11
	v_nop
	s_delay_alu instid0(TRANS32_DEP_1) | instskip(NEXT) | instid1(VALU_DEP_1)
	v_fma_f32 v33, -v11, v23, 1.0
	v_fmac_f32_e32 v23, v33, v23
	s_delay_alu instid0(VALU_DEP_1) | instskip(NEXT) | instid1(VALU_DEP_1)
	v_mul_f32_e32 v33, v19, v23
	v_fma_f32 v34, -v11, v33, v19
	s_delay_alu instid0(VALU_DEP_1) | instskip(NEXT) | instid1(VALU_DEP_1)
	v_fmac_f32_e32 v33, v34, v23
	v_fma_f32 v11, -v11, v33, v19
	s_delay_alu instid0(VALU_DEP_1) | instskip(NEXT) | instid1(VALU_DEP_1)
	v_div_fmas_f32 v11, v11, v23, v33
	v_div_fixup_f32 v19, v11, v9, |v13|
.LBB56_126:                             ;   in Loop: Header=BB56_5 Depth=1
	s_or_b32 exec_lo, exec_lo, s31
.LBB56_127:                             ;   in Loop: Header=BB56_5 Depth=1
	s_delay_alu instid0(SALU_CYCLE_1)
	s_or_b32 exec_lo, exec_lo, s30
.LBB56_128:                             ;   in Loop: Header=BB56_5 Depth=1
	s_and_not1_saveexec_b32 s29, s29
	s_cbranch_execz .LBB56_130
; %bb.129:                              ;   in Loop: Header=BB56_5 Depth=1
	v_mul_f32_e64 v9, 0x4f800000, |v13|
	v_cmp_gt_f32_e64 vcc_lo, 0xf800000, |v13|
	s_delay_alu instid0(VALU_DEP_1) | instskip(NEXT) | instid1(VALU_DEP_1)
	v_cndmask_b32_e64 v9, |v13|, v9, vcc_lo
	v_sqrt_f32_e32 v11, v9
	v_nop
	s_delay_alu instid0(TRANS32_DEP_1) | instskip(NEXT) | instid1(VALU_DEP_1)
	v_dual_add_nc_u32 v19, -1, v11 :: v_dual_add_nc_u32 v23, 1, v11
	v_fma_f32 v33, -v19, v11, v9
	s_delay_alu instid0(VALU_DEP_2) | instskip(NEXT) | instid1(VALU_DEP_2)
	v_fma_f32 v34, -v23, v11, v9
	v_cmp_ge_f32_e64 s2, 0, v33
	s_delay_alu instid0(VALU_DEP_1) | instskip(NEXT) | instid1(VALU_DEP_3)
	v_cndmask_b32_e64 v11, v11, v19, s2
	v_cmp_lt_f32_e64 s2, 0, v34
	s_delay_alu instid0(VALU_DEP_1) | instskip(NEXT) | instid1(VALU_DEP_1)
	v_cndmask_b32_e64 v11, v11, v23, s2
	v_mul_f32_e32 v19, 0x37800000, v11
	s_delay_alu instid0(VALU_DEP_1) | instskip(SKIP_1) | instid1(VALU_DEP_2)
	v_cndmask_b32_e32 v11, v11, v19, vcc_lo
	v_cmp_class_f32_e64 vcc_lo, v9, 0x260
	v_cndmask_b32_e32 v19, v11, v9, vcc_lo
.LBB56_130:                             ;   in Loop: Header=BB56_5 Depth=1
	s_or_b32 exec_lo, exec_lo, s29
.LBB56_131:                             ;   in Loop: Header=BB56_5 Depth=1
	s_delay_alu instid0(SALU_CYCLE_1) | instskip(NEXT) | instid1(SALU_CYCLE_1)
	s_or_b32 exec_lo, exec_lo, s3
	s_mov_b32 s29, exec_lo
                                        ; implicit-def: $sgpr2
                                        ; implicit-def: $vgpr11
                                        ; implicit-def: $vgpr23
	v_cmpx_ngt_f32_e64 0x21000000, |v12|
	s_xor_b32 s29, exec_lo, s29
	s_cbranch_execz .LBB56_155
; %bb.132:                              ;   in Loop: Header=BB56_5 Depth=1
	v_and_b32_e32 v11, 0x7fffffff, v12
	s_mov_b32 s2, 0
	s_mov_b32 s30, exec_lo
	s_delay_alu instid0(VALU_DEP_1) | instskip(NEXT) | instid1(VALU_DEP_1)
	v_div_scale_f32 v9, null, v8, v8, v11
	v_rcp_f32_e32 v23, v9
	v_nop
	s_delay_alu instid0(TRANS32_DEP_1) | instskip(NEXT) | instid1(VALU_DEP_1)
	v_fma_f32 v33, -v9, v23, 1.0
	v_fmac_f32_e32 v23, v33, v23
	v_div_scale_f32 v33, vcc_lo, v11, v8, v11
	s_delay_alu instid0(VALU_DEP_1) | instskip(NEXT) | instid1(VALU_DEP_1)
	v_mul_f32_e32 v34, v33, v23
	v_fma_f32 v35, -v9, v34, v33
	s_delay_alu instid0(VALU_DEP_1) | instskip(NEXT) | instid1(VALU_DEP_1)
	v_fmac_f32_e32 v34, v35, v23
	v_fma_f32 v9, -v9, v34, v33
	s_delay_alu instid0(VALU_DEP_1) | instskip(NEXT) | instid1(VALU_DEP_1)
	v_div_fmas_f32 v9, v9, v23, v34
	v_div_fixup_f32 v23, v9, v8, |v12|
	s_delay_alu instid0(VALU_DEP_1)
	v_cmpx_lt_f32_e32 0x3f244674, v23
	s_cbranch_execz .LBB56_154
; %bb.133:                              ;   in Loop: Header=BB56_5 Depth=1
	v_cmp_neq_f32_e64 s2, |v12|, 1.0
	v_cmp_ngt_f32_e64 s3, 0x30800000, |v13|
	s_or_b32 s2, s2, s3
	s_delay_alu instid0(SALU_CYCLE_1) | instskip(NEXT) | instid1(SALU_CYCLE_1)
	s_and_saveexec_b32 s3, s2
	s_xor_b32 s3, exec_lo, s3
	s_cbranch_execz .LBB56_151
; %bb.134:                              ;   in Loop: Header=BB56_5 Depth=1
	v_mul_f32_e64 v9, 0x34000000, |v1|
	s_mov_b32 s31, exec_lo
	s_delay_alu instid0(VALU_DEP_1)
	v_cmpx_ge_f32_e64 |v13|, v9
	s_xor_b32 s31, exec_lo, s31
	s_cbranch_execz .LBB56_144
; %bb.135:                              ;   in Loop: Header=BB56_5 Depth=1
	v_mov_b32_e32 v9, v31
	s_mov_b32 s2, exec_lo
	v_cmpx_neq_f32_e32 0, v30
	s_cbranch_execz .LBB56_137
; %bb.136:                              ;   in Loop: Header=BB56_5 Depth=1
	v_dual_mul_f32 v9, v13, v13 :: v_dual_add_f32 v30, v30, v32
	s_delay_alu instid0(VALU_DEP_1) | instskip(NEXT) | instid1(VALU_DEP_1)
	v_div_scale_f32 v32, null, v30, v30, v9
	v_rcp_f32_e32 v33, v32
	v_nop
	s_delay_alu instid0(TRANS32_DEP_1) | instskip(NEXT) | instid1(VALU_DEP_1)
	v_fma_f32 v34, -v32, v33, 1.0
	v_fmac_f32_e32 v33, v34, v33
	v_div_scale_f32 v34, vcc_lo, v9, v30, v9
	s_delay_alu instid0(VALU_DEP_1) | instskip(NEXT) | instid1(VALU_DEP_1)
	v_mul_f32_e32 v35, v34, v33
	v_fma_f32 v36, -v32, v35, v34
	s_delay_alu instid0(VALU_DEP_1) | instskip(NEXT) | instid1(VALU_DEP_1)
	v_fmac_f32_e32 v35, v36, v33
	v_fma_f32 v32, -v32, v35, v34
	s_delay_alu instid0(VALU_DEP_1) | instskip(NEXT) | instid1(VALU_DEP_1)
	v_div_fmas_f32 v32, v32, v33, v35
	v_div_fixup_f32 v9, v32, v30, v9
.LBB56_137:                             ;   in Loop: Header=BB56_5 Depth=1
	s_or_b32 exec_lo, exec_lo, s2
	s_delay_alu instid0(SALU_CYCLE_1)
	s_mov_b32 s2, exec_lo
	v_cmpx_ngt_f32_e32 0, v1
	s_xor_b32 s2, exec_lo, s2
	s_cbranch_execz .LBB56_141
; %bb.138:                              ;   in Loop: Header=BB56_5 Depth=1
	s_mov_b32 s33, exec_lo
	v_cmpx_neq_f32_e32 0, v1
	s_cbranch_execz .LBB56_140
; %bb.139:                              ;   in Loop: Header=BB56_5 Depth=1
	v_mul_f32_e32 v30, v13, v13
	v_add_f32_e32 v1, v1, v10
	s_delay_alu instid0(VALU_DEP_1) | instskip(NEXT) | instid1(VALU_DEP_1)
	v_div_scale_f32 v10, null, v1, v1, v30
	v_rcp_f32_e32 v31, v10
	v_nop
	s_delay_alu instid0(TRANS32_DEP_1) | instskip(NEXT) | instid1(VALU_DEP_1)
	v_fma_f32 v32, -v10, v31, 1.0
	v_fmac_f32_e32 v31, v32, v31
	v_div_scale_f32 v32, vcc_lo, v30, v1, v30
	s_delay_alu instid0(VALU_DEP_1) | instskip(NEXT) | instid1(VALU_DEP_1)
	v_mul_f32_e32 v33, v32, v31
	v_fma_f32 v34, -v10, v33, v32
	s_delay_alu instid0(VALU_DEP_1) | instskip(NEXT) | instid1(VALU_DEP_1)
	v_fmac_f32_e32 v33, v34, v31
	v_fma_f32 v10, -v10, v33, v32
	s_delay_alu instid0(VALU_DEP_1) | instskip(NEXT) | instid1(VALU_DEP_1)
	v_div_fmas_f32 v10, v10, v31, v33
	v_div_fixup_f32 v31, v10, v1, v30
.LBB56_140:                             ;   in Loop: Header=BB56_5 Depth=1
	s_or_b32 exec_lo, exec_lo, s33
                                        ; implicit-def: $vgpr10
                                        ; implicit-def: $vgpr1
.LBB56_141:                             ;   in Loop: Header=BB56_5 Depth=1
	s_and_not1_saveexec_b32 s2, s2
; %bb.142:                              ;   in Loop: Header=BB56_5 Depth=1
	v_sub_f32_e32 v31, v10, v1
; %bb.143:                              ;   in Loop: Header=BB56_5 Depth=1
	s_or_b32 exec_lo, exec_lo, s2
	s_delay_alu instid0(VALU_DEP_1) | instskip(SKIP_1) | instid1(VALU_DEP_1)
	v_dual_mul_f32 v33, 0.5, v9 :: v_dual_mul_f32 v9, 0.5, v31
	v_and_b32_e32 v32, 0x7fffffff, v12
	v_pk_add_f32 v[8:9], v[32:33], v[8:9]
	s_delay_alu instid0(VALU_DEP_1) | instskip(NEXT) | instid1(VALU_DEP_1)
	v_mul_f32_e32 v1, v8, v9
	v_mul_f32_e32 v8, 0x4f800000, v1
	v_cmp_gt_f32_e32 vcc_lo, 0xf800000, v1
	s_delay_alu instid0(VALU_DEP_2) | instskip(NEXT) | instid1(VALU_DEP_1)
	v_cndmask_b32_e32 v1, v1, v8, vcc_lo
	v_sqrt_f32_e32 v8, v1
	v_nop
	s_delay_alu instid0(TRANS32_DEP_1) | instskip(NEXT) | instid1(VALU_DEP_1)
	v_dual_add_nc_u32 v9, -1, v8 :: v_dual_add_nc_u32 v10, 1, v8
	v_dual_fma_f32 v30, -v9, v8, v1 :: v_dual_fma_f32 v31, -v10, v8, v1
	s_delay_alu instid0(VALU_DEP_1) | instskip(NEXT) | instid1(VALU_DEP_1)
	v_cmp_ge_f32_e64 s2, 0, v30
                                        ; implicit-def: $vgpr30
	v_cndmask_b32_e64 v8, v8, v9, s2
	s_delay_alu instid0(VALU_DEP_3) | instskip(NEXT) | instid1(VALU_DEP_1)
	v_cmp_lt_f32_e64 s2, 0, v31
	v_cndmask_b32_e64 v8, v8, v10, s2
	s_delay_alu instid0(VALU_DEP_1) | instskip(NEXT) | instid1(VALU_DEP_1)
	v_mul_f32_e32 v9, 0x37800000, v8
	v_cndmask_b32_e32 v8, v8, v9, vcc_lo
	v_cmp_class_f32_e64 vcc_lo, v1, 0x260
	s_delay_alu instid0(VALU_DEP_2)
	v_cndmask_b32_e32 v10, v8, v1, vcc_lo
                                        ; implicit-def: $vgpr1
.LBB56_144:                             ;   in Loop: Header=BB56_5 Depth=1
	s_and_not1_saveexec_b32 s31, s31
	s_cbranch_execz .LBB56_150
; %bb.145:                              ;   in Loop: Header=BB56_5 Depth=1
	s_mov_b32 s33, exec_lo
	v_cmpx_ngt_f32_e64 |v12|, 1.0
	s_xor_b32 s33, exec_lo, s33
	s_cbranch_execz .LBB56_147
; %bb.146:                              ;   in Loop: Header=BB56_5 Depth=1
	v_sub_f32_e64 v1, 1.0, |v12|
	s_delay_alu instid0(VALU_DEP_1) | instskip(NEXT) | instid1(VALU_DEP_1)
	v_mul_f32_e32 v1, v1, v30
	v_mul_f32_e32 v8, 0x4f800000, v1
	v_cmp_gt_f32_e32 vcc_lo, 0xf800000, v1
	s_delay_alu instid0(VALU_DEP_2) | instskip(NEXT) | instid1(VALU_DEP_1)
	v_cndmask_b32_e32 v1, v1, v8, vcc_lo
	v_sqrt_f32_e32 v8, v1
	v_nop
	s_delay_alu instid0(TRANS32_DEP_1) | instskip(NEXT) | instid1(VALU_DEP_1)
	v_dual_add_nc_u32 v9, -1, v8 :: v_dual_add_nc_u32 v10, 1, v8
	v_dual_fma_f32 v30, -v9, v8, v1 :: v_dual_fma_f32 v31, -v10, v8, v1
	s_delay_alu instid0(VALU_DEP_1) | instskip(NEXT) | instid1(VALU_DEP_1)
	v_cmp_ge_f32_e64 s2, 0, v30
                                        ; implicit-def: $vgpr30
	v_cndmask_b32_e64 v8, v8, v9, s2
	s_delay_alu instid0(VALU_DEP_3) | instskip(NEXT) | instid1(VALU_DEP_1)
	v_cmp_lt_f32_e64 s2, 0, v31
	v_cndmask_b32_e64 v8, v8, v10, s2
	s_delay_alu instid0(VALU_DEP_1) | instskip(NEXT) | instid1(VALU_DEP_1)
	v_mul_f32_e32 v9, 0x37800000, v8
	v_cndmask_b32_e32 v8, v8, v9, vcc_lo
	v_cmp_class_f32_e64 vcc_lo, v1, 0x260
	s_delay_alu instid0(VALU_DEP_2)
	v_cndmask_b32_e32 v10, v8, v1, vcc_lo
                                        ; implicit-def: $vgpr1
.LBB56_147:                             ;   in Loop: Header=BB56_5 Depth=1
	s_and_not1_saveexec_b32 s33, s33
	s_cbranch_execz .LBB56_149
; %bb.148:                              ;   in Loop: Header=BB56_5 Depth=1
	v_mul_f32_e32 v1, v30, v1
	s_delay_alu instid0(VALU_DEP_1) | instskip(SKIP_1) | instid1(VALU_DEP_2)
	v_mul_f32_e32 v8, 0x4f800000, v1
	v_cmp_gt_f32_e32 vcc_lo, 0xf800000, v1
	v_cndmask_b32_e32 v1, v1, v8, vcc_lo
	s_delay_alu instid0(VALU_DEP_1) | instskip(SKIP_1) | instid1(TRANS32_DEP_1)
	v_sqrt_f32_e32 v8, v1
	v_nop
	v_dual_add_nc_u32 v9, -1, v8 :: v_dual_add_nc_u32 v10, 1, v8
	s_delay_alu instid0(VALU_DEP_1) | instskip(NEXT) | instid1(VALU_DEP_1)
	v_dual_fma_f32 v11, -v9, v8, v1 :: v_dual_fma_f32 v30, -v10, v8, v1
	v_cmp_ge_f32_e64 s2, 0, v11
	s_delay_alu instid0(VALU_DEP_1) | instskip(NEXT) | instid1(VALU_DEP_3)
	v_cndmask_b32_e64 v8, v8, v9, s2
	v_cmp_lt_f32_e64 s2, 0, v30
	s_delay_alu instid0(VALU_DEP_1) | instskip(SKIP_1) | instid1(VALU_DEP_2)
	v_cndmask_b32_e64 v8, v8, v10, s2
	v_mul_f32_e64 v10, 0x57800000, |v13|
	v_mul_f32_e32 v9, 0x37800000, v8
	s_delay_alu instid0(VALU_DEP_1) | instskip(SKIP_1) | instid1(VALU_DEP_4)
	v_cndmask_b32_e32 v8, v8, v9, vcc_lo
	v_cmp_class_f32_e64 vcc_lo, v1, 0x260
	v_mul_f32_e64 v9, |v12|, v10
	s_delay_alu instid0(VALU_DEP_3) | instskip(NEXT) | instid1(VALU_DEP_1)
	v_cndmask_b32_e32 v1, v8, v1, vcc_lo
	v_div_scale_f32 v8, null, v1, v1, v9
	v_div_scale_f32 v30, vcc_lo, v9, v1, v9
	s_delay_alu instid0(VALU_DEP_2) | instskip(SKIP_1) | instid1(TRANS32_DEP_1)
	v_rcp_f32_e32 v10, v8
	v_nop
	v_fma_f32 v11, -v8, v10, 1.0
	s_delay_alu instid0(VALU_DEP_1) | instskip(NEXT) | instid1(VALU_DEP_1)
	v_fmac_f32_e32 v10, v11, v10
	v_mul_f32_e32 v11, v30, v10
	s_delay_alu instid0(VALU_DEP_1) | instskip(NEXT) | instid1(VALU_DEP_1)
	v_fma_f32 v31, -v8, v11, v30
	v_fmac_f32_e32 v11, v31, v10
	s_delay_alu instid0(VALU_DEP_1) | instskip(NEXT) | instid1(VALU_DEP_1)
	v_fma_f32 v8, -v8, v11, v30
	v_div_fmas_f32 v8, v8, v10, v11
	v_mul_f32_e64 v11, 0x57800000, |v12|
	s_delay_alu instid0(VALU_DEP_2)
	v_div_fixup_f32 v10, v8, v1, v9
.LBB56_149:                             ;   in Loop: Header=BB56_5 Depth=1
	s_or_b32 exec_lo, exec_lo, s33
.LBB56_150:                             ;   in Loop: Header=BB56_5 Depth=1
	s_delay_alu instid0(SALU_CYCLE_1)
	s_or_b32 exec_lo, exec_lo, s31
                                        ; implicit-def: $vgpr8
.LBB56_151:                             ;   in Loop: Header=BB56_5 Depth=1
	s_and_not1_saveexec_b32 s31, s3
	s_cbranch_execz .LBB56_153
; %bb.152:                              ;   in Loop: Header=BB56_5 Depth=1
	v_add_f32_e32 v1, 1.0, v8
	v_mul_f32_e64 v8, 0x4f800000, |v13|
	v_cmp_gt_f32_e64 vcc_lo, 0xf800000, |v13|
	s_delay_alu instid0(VALU_DEP_3) | instskip(NEXT) | instid1(VALU_DEP_2)
	v_mul_f32_e32 v1, 0.5, v1
	v_cndmask_b32_e64 v8, |v13|, v8, vcc_lo
	s_delay_alu instid0(VALU_DEP_2) | instskip(SKIP_1) | instid1(VALU_DEP_1)
	v_mul_f32_e32 v9, 0x4f800000, v1
	v_cmp_gt_f32_e64 s2, 0xf800000, v1
	v_cndmask_b32_e64 v1, v1, v9, s2
	s_delay_alu instid0(VALU_DEP_4) | instskip(SKIP_1) | instid1(TRANS32_DEP_1)
	v_sqrt_f32_e32 v9, v8
	v_nop
	v_add_nc_u32_e32 v31, 1, v9
	s_delay_alu instid0(VALU_DEP_3) | instskip(NEXT) | instid1(VALU_DEP_1)
	v_sqrt_f32_e32 v10, v1
	v_dual_add_nc_u32 v11, -1, v9 :: v_dual_fma_f32 v35, -v31, v9, v8
	s_delay_alu instid0(TRANS32_DEP_1) | instid1(VALU_DEP_1)
	v_dual_fma_f32 v32, -v11, v9, v8 :: v_dual_add_nc_u32 v33, 1, v10
	v_add_nc_u32_e32 v30, -1, v10
	s_delay_alu instid0(VALU_DEP_2) | instskip(NEXT) | instid1(VALU_DEP_1)
	v_cmp_ge_f32_e64 s3, 0, v32
	v_dual_fma_f32 v34, -v30, v10, v1 :: v_dual_cndmask_b32 v9, v9, v11, s3
	s_delay_alu instid0(VALU_DEP_4) | instskip(NEXT) | instid1(VALU_DEP_2)
	v_fma_f32 v11, -v33, v10, v1
	v_cmp_ge_f32_e64 s3, 0, v34
	s_delay_alu instid0(VALU_DEP_1) | instskip(SKIP_1) | instid1(VALU_DEP_1)
	v_cndmask_b32_e64 v10, v10, v30, s3
	v_cmp_lt_f32_e64 s3, 0, v35
	v_cndmask_b32_e64 v9, v9, v31, s3
	v_cmp_lt_f32_e64 s3, 0, v11
	s_delay_alu instid0(VALU_DEP_1) | instskip(NEXT) | instid1(VALU_DEP_1)
	v_cndmask_b32_e64 v10, v10, v33, s3
	v_mul_f32_e32 v30, 0x37800000, v10
	s_delay_alu instid0(VALU_DEP_1) | instskip(SKIP_1) | instid1(VALU_DEP_1)
	v_cndmask_b32_e64 v10, v10, v30, s2
	v_mul_f32_e32 v11, 0x37800000, v9
	v_cndmask_b32_e32 v9, v9, v11, vcc_lo
	v_cmp_class_f32_e64 vcc_lo, v8, 0x260
	s_delay_alu instid0(VALU_DEP_2) | instskip(SKIP_2) | instid1(VALU_DEP_1)
	v_dual_mov_b32 v11, 1.0 :: v_dual_cndmask_b32 v8, v9, v8
	v_cmp_class_f32_e64 vcc_lo, v1, 0x260
	v_cndmask_b32_e32 v1, v10, v1, vcc_lo
	v_mul_f32_e32 v10, v8, v1
.LBB56_153:                             ;   in Loop: Header=BB56_5 Depth=1
	s_or_b32 exec_lo, exec_lo, s31
	s_delay_alu instid0(SALU_CYCLE_1)
	s_mov_b32 s2, exec_lo
.LBB56_154:                             ;   in Loop: Header=BB56_5 Depth=1
	s_or_b32 exec_lo, exec_lo, s30
                                        ; implicit-def: $vgpr8
.LBB56_155:                             ;   in Loop: Header=BB56_5 Depth=1
	s_and_not1_saveexec_b32 s3, s29
; %bb.156:                              ;   in Loop: Header=BB56_5 Depth=1
	v_and_b32_e32 v9, 0x7fffffff, v12
	s_or_b32 s2, s2, exec_lo
                                        ; implicit-def: $vgpr23
	s_delay_alu instid0(VALU_DEP_1)
	v_pk_mul_f32 v[10:11], v[8:9], s[20:21] op_sel_hi:[1,0]
; %bb.157:                              ;   in Loop: Header=BB56_5 Depth=1
	s_or_b32 exec_lo, exec_lo, s3
	s_xor_b32 s2, s2, -1
                                        ; implicit-def: $vgpr1
	s_delay_alu instid0(SALU_CYCLE_1) | instskip(NEXT) | instid1(SALU_CYCLE_1)
	s_and_saveexec_b32 s3, s2
	s_xor_b32 s2, exec_lo, s3
	s_cbranch_execz .LBB56_159
; %bb.158:                              ;   in Loop: Header=BB56_5 Depth=1
	v_fma_f32 v1, |v23|, -0.5, 0.5
	v_mul_f32_e32 v8, v23, v23
	v_cmp_ge_f32_e64 vcc_lo, |v23|, 0.5
                                        ; implicit-def: $vgpr11
	s_delay_alu instid0(VALU_DEP_2) | instskip(SKIP_1) | instid1(VALU_DEP_2)
	v_cndmask_b32_e32 v1, v8, v1, vcc_lo
	v_cmp_lt_f32_e64 vcc_lo, |v23|, 0.5
	v_fmaak_f32 v8, s23, v1, 0x3c5fc5da
	v_sqrt_f32_e32 v9, v1
	s_delay_alu instid0(VALU_DEP_1) | instskip(NEXT) | instid1(VALU_DEP_1)
	v_fmaak_f32 v8, v1, v8, 0x3d034c3c
	v_fmaak_f32 v8, v1, v8, 0x3d3641b1
	s_delay_alu instid0(VALU_DEP_1) | instskip(NEXT) | instid1(VALU_DEP_1)
	v_fmaak_f32 v8, v1, v8, 0x3d999bc8
	v_fmaak_f32 v8, v1, v8, 0x3e2aaaac
	s_delay_alu instid0(VALU_DEP_1)
	v_mul_f32_e32 v1, v1, v8
	s_delay_alu instid0(TRANS32_DEP_1) | instid1(VALU_DEP_1)
	v_fmac_f32_e32 v9, v9, v1
	v_fma_f32 v1, |v23|, v1, |v23|
	s_delay_alu instid0(VALU_DEP_2) | instskip(NEXT) | instid1(VALU_DEP_1)
	v_add_f32_e32 v8, v9, v9
	v_sub_f32_e32 v8, 0x3fc90fdb, v8
	s_delay_alu instid0(VALU_DEP_1) | instskip(NEXT) | instid1(VALU_DEP_1)
	v_cndmask_b32_e32 v1, v8, v1, vcc_lo
	v_bfi_b32 v1, 0x7fffffff, v1, v23
.LBB56_159:                             ;   in Loop: Header=BB56_5 Depth=1
	s_and_not1_saveexec_b32 s3, s2
	s_cbranch_execz .LBB56_161
; %bb.160:                              ;   in Loop: Header=BB56_5 Depth=1
	v_max_num_f32_e32 v1, v11, v11
	v_max_num_f32_e64 v8, |v10|, |v10|
	v_cmp_gt_f32_e64 vcc_lo, v11, |v10|
	v_cmp_gt_i32_e64 s2, 0, v10
	v_cmp_class_f32_e64 s29, v10, 0x204
	s_delay_alu instid0(VALU_DEP_4) | instskip(NEXT) | instid1(VALU_DEP_1)
	v_dual_max_num_f32 v9, v8, v1 :: v_dual_min_num_f32 v1, v8, v1
	v_frexp_mant_f32_e32 v23, v9
	v_frexp_exp_i32_f32_e32 v8, v9
	s_delay_alu instid0(VALU_DEP_2)
	v_rcp_f32_e32 v9, v23
	v_nop
	v_frexp_exp_i32_f32_e32 v23, v1
	v_frexp_mant_f32_e32 v1, v1
	s_delay_alu instid0(TRANS32_DEP_1) | instid1(VALU_DEP_1)
	v_dual_mul_f32 v1, v1, v9 :: v_dual_sub_nc_u32 v8, v23, v8
	s_delay_alu instid0(VALU_DEP_1) | instskip(NEXT) | instid1(VALU_DEP_1)
	v_ldexp_f32 v1, v1, v8
	v_mul_f32_e32 v8, v1, v1
	s_delay_alu instid0(VALU_DEP_1) | instskip(NEXT) | instid1(VALU_DEP_1)
	v_fmaak_f32 v9, s24, v8, 0xbc7a590c
	v_fmaak_f32 v9, v8, v9, 0x3d29fb3f
	s_delay_alu instid0(VALU_DEP_1) | instskip(NEXT) | instid1(VALU_DEP_1)
	v_fmaak_f32 v9, v8, v9, 0xbd97d4d7
	v_fmaak_f32 v9, v8, v9, 0x3dd931b2
	;; [unrolled: 3-line block ×3, first 2 shown]
	s_delay_alu instid0(VALU_DEP_1) | instskip(NEXT) | instid1(VALU_DEP_1)
	v_fmaak_f32 v9, v8, v9, 0xbeaaaa62
	v_mul_f32_e32 v8, v8, v9
	s_delay_alu instid0(VALU_DEP_1) | instskip(NEXT) | instid1(VALU_DEP_1)
	v_fmac_f32_e32 v1, v1, v8
	v_sub_f32_e32 v8, 0x3fc90fdb, v1
	s_delay_alu instid0(VALU_DEP_1) | instskip(SKIP_1) | instid1(VALU_DEP_2)
	v_cndmask_b32_e32 v1, v1, v8, vcc_lo
	v_cmp_gt_f32_e32 vcc_lo, 0, v10
	v_sub_f32_e32 v8, 0x40490fdb, v1
	v_cndmask_b32_e32 v9, 0x3f490fdb, v29, vcc_lo
	s_delay_alu instid0(VALU_DEP_2) | instskip(SKIP_3) | instid1(VALU_DEP_2)
	v_cndmask_b32_e32 v1, v1, v8, vcc_lo
	v_cndmask_b32_e64 v8, 0, 0x40490fdb, s2
	v_cmp_eq_f32_e64 s2, 0, v11
	v_cmp_eq_f32_e32 vcc_lo, 0x7f800000, v11
	v_cndmask_b32_e64 v1, |v1|, v8, s2
	s_and_b32 vcc_lo, vcc_lo, s29
	s_delay_alu instid0(VALU_DEP_1) | instskip(SKIP_1) | instid1(VALU_DEP_2)
	v_cndmask_b32_e32 v1, v1, v9, vcc_lo
	v_cmp_o_f32_e32 vcc_lo, v10, v10
	v_cndmask_b32_e32 v1, 0x7fc00000, v1, vcc_lo
.LBB56_161:                             ;   in Loop: Header=BB56_5 Depth=1
	s_or_b32 exec_lo, exec_lo, s3
	s_delay_alu instid0(VALU_DEP_1)
	v_bfi_b32 v12, 0x7fffffff, v1, v12
	v_bfi_b32 v13, 0x7fffffff, v19, v13
.LBB56_162:                             ;   in Loop: Header=BB56_5 Depth=1
	s_or_b32 exec_lo, exec_lo, s28
.LBB56_163:                             ;   in Loop: Header=BB56_5 Depth=1
	s_delay_alu instid0(SALU_CYCLE_1) | instskip(NEXT) | instid1(VALU_DEP_1)
	s_or_b32 exec_lo, exec_lo, s27
	v_dual_mov_b32 v9, v13 :: v_dual_mov_b32 v8, v12
                                        ; implicit-def: $vgpr10_vgpr11_vgpr12_vgpr13
                                        ; implicit-def: $vgpr1
                                        ; implicit-def: $vgpr10
                                        ; implicit-def: $vgpr11
.LBB56_164:                             ;   in Loop: Header=BB56_5 Depth=1
	s_and_not1_saveexec_b32 s26, s26
	s_cbranch_execz .LBB56_186
; %bb.165:                              ;   in Loop: Header=BB56_5 Depth=1
                                        ; implicit-def: $sgpr27
                                        ; implicit-def: $vgpr8
                                        ; implicit-def: $vgpr9
	s_mov_b32 s2, exec_lo
	v_cmpx_lt_i32_e32 -1, v13
	s_xor_b32 s28, exec_lo, s2
	s_cbranch_execz .LBB56_175
; %bb.166:                              ;   in Loop: Header=BB56_5 Depth=1
	v_cmp_lt_f32_e64 s2, |v13|, |v12|
                                        ; implicit-def: $vgpr8
                                        ; implicit-def: $vgpr9
	s_mov_b32 s3, exec_lo
	v_cndmask_b32_e64 v19, |v13|, |v12|, s2
	s_delay_alu instid0(VALU_DEP_1)
	v_cmpx_nlt_f32_e32 0x7effffff, v19
	s_xor_b32 s27, exec_lo, s3
	s_cbranch_execz .LBB56_172
; %bb.167:                              ;   in Loop: Header=BB56_5 Depth=1
	v_cndmask_b32_e64 v23, |v12|, |v13|, s2
	v_cmp_nlt_f32_e32 vcc_lo, 0x5e000000, v19
                                        ; implicit-def: $vgpr8
                                        ; implicit-def: $vgpr9
	s_delay_alu instid0(VALU_DEP_2) | instskip(SKIP_1) | instid1(SALU_CYCLE_1)
	v_cmp_ngt_f32_e64 s3, 0x20000000, v23
	s_and_b32 s3, vcc_lo, s3
	s_and_saveexec_b32 s29, s3
	s_delay_alu instid0(SALU_CYCLE_1)
	s_xor_b32 s29, exec_lo, s29
	s_cbranch_execz .LBB56_169
; %bb.168:                              ;   in Loop: Header=BB56_5 Depth=1
	v_frexp_mant_f32_e32 v8, v11
	s_wait_dscnt 0x0
	v_min_num_f32_e32 v1, v10, v1
	v_frexp_exp_i32_f32_e32 v9, v11
	v_mul_f32_e32 v11, v23, v23
	v_rcp_f32_e32 v8, v8
	s_delay_alu instid0(VALU_DEP_3)
	v_frexp_exp_i32_f32_e32 v10, v1
	v_frexp_mant_f32_e32 v1, v1
	s_delay_alu instid0(TRANS32_DEP_1) | instid1(VALU_DEP_1)
	v_dual_sub_nc_u32 v9, v10, v9 :: v_dual_mul_f32 v1, v1, v8
	s_delay_alu instid0(VALU_DEP_1) | instskip(NEXT) | instid1(VALU_DEP_1)
	v_ldexp_f32 v9, v1, v9
	v_dual_fmac_f32 v11, v19, v19 :: v_dual_mul_f32 v8, v9, v9
	s_delay_alu instid0(VALU_DEP_1) | instskip(SKIP_1) | instid1(VALU_DEP_1)
	v_cmp_gt_f32_e32 vcc_lo, 0x800000, v11
	v_cndmask_b32_e64 v1, 0, 32, vcc_lo
	v_ldexp_f32 v1, v11, v1
	s_delay_alu instid0(VALU_DEP_1) | instskip(SKIP_1) | instid1(TRANS32_DEP_1)
	v_log_f32_e32 v1, v1
	v_nop
	v_mul_f32_e32 v11, 0x3f317217, v1
	v_cmp_gt_f32_e64 s3, 0x7f800000, |v1|
	s_delay_alu instid0(VALU_DEP_2) | instskip(NEXT) | instid1(VALU_DEP_1)
	v_fma_f32 v11, 0x3f317217, v1, -v11
	v_fmac_f32_e32 v11, 0x3377d1cf, v1
	s_delay_alu instid0(VALU_DEP_1) | instskip(NEXT) | instid1(VALU_DEP_1)
	v_fmac_f32_e32 v11, 0x3f317217, v1
	v_cndmask_b32_e64 v1, v1, v11, s3
	v_cndmask_b32_e64 v11, 0, 0x41b17218, vcc_lo
	s_delay_alu instid0(VALU_DEP_1) | instskip(NEXT) | instid1(VALU_DEP_1)
	v_dual_fmaak_f32 v10, s24, v8, 0xbc7a590c :: v_dual_sub_f32 v1, v1, v11
	v_fmaak_f32 v10, v8, v10, 0x3d29fb3f
                                        ; implicit-def: $vgpr11
	s_delay_alu instid0(VALU_DEP_1) | instskip(NEXT) | instid1(VALU_DEP_1)
	v_fmaak_f32 v10, v8, v10, 0xbd97d4d7
	v_fmaak_f32 v10, v8, v10, 0x3dd931b2
	s_delay_alu instid0(VALU_DEP_1) | instskip(NEXT) | instid1(VALU_DEP_1)
	v_fmaak_f32 v10, v8, v10, 0xbe1160e6
	v_fmaak_f32 v10, v8, v10, 0x3e4cb8bf
	s_delay_alu instid0(VALU_DEP_1) | instskip(NEXT) | instid1(VALU_DEP_1)
	v_fmaak_f32 v10, v8, v10, 0xbeaaaa62
	v_dual_mul_f32 v10, v8, v10 :: v_dual_mul_f32 v8, 0.5, v1
                                        ; implicit-def: $vgpr1
	s_delay_alu instid0(VALU_DEP_1)
	v_fmac_f32_e32 v9, v9, v10
                                        ; implicit-def: $vgpr10
.LBB56_169:                             ;   in Loop: Header=BB56_5 Depth=1
	s_and_not1_saveexec_b32 s3, s29
	s_cbranch_execz .LBB56_171
; %bb.170:                              ;   in Loop: Header=BB56_5 Depth=1
	v_cvt_f64_f32_e32 v[8:9], v11
	v_frexp_mant_f32_e32 v23, v11
	s_wait_dscnt 0x0
	v_min_num_f32_e32 v1, v10, v1
	v_cmp_neq_f32_e32 vcc_lo, 0x7f800000, v11
	s_delay_alu instid0(VALU_DEP_3) | instskip(SKIP_1) | instid1(VALU_DEP_3)
	v_rcp_f32_e32 v10, v23
	v_nop
	v_frexp_exp_i32_f32_e32 v23, v1
	v_frexp_mant_f32_e32 v1, v1
	s_delay_alu instid0(TRANS32_DEP_1) | instid1(VALU_DEP_1)
	v_mul_f32_e32 v1, v1, v10
	v_frexp_exp_i32_f64_e32 v8, v[8:9]
	s_delay_alu instid0(VALU_DEP_1) | instskip(NEXT) | instid1(VALU_DEP_1)
	v_sub_nc_u32_e32 v9, 0, v8
	v_ldexp_f32 v19, |v12|, v9
	s_delay_alu instid0(VALU_DEP_1) | instskip(SKIP_1) | instid1(VALU_DEP_1)
	v_mul_f32_e32 v19, v19, v19
	v_ldexp_f32 v9, |v13|, v9
	v_fmac_f32_e32 v19, v9, v9
	v_frexp_exp_i32_f32_e32 v9, v11
	s_delay_alu instid0(VALU_DEP_1) | instskip(NEXT) | instid1(VALU_DEP_3)
	v_sub_nc_u32_e32 v9, v23, v9
	v_sqrt_f32_e32 v19, v19
	s_delay_alu instid0(VALU_DEP_1) | instskip(NEXT) | instid1(TRANS32_DEP_1)
	v_ldexp_f32 v9, v1, v9
	v_ldexp_f32 v8, v19, v8
	s_delay_alu instid0(VALU_DEP_1) | instskip(NEXT) | instid1(VALU_DEP_1)
	v_dual_cndmask_b32 v1, 0x7f800000, v8 :: v_dual_mul_f32 v8, v9, v9
	v_cmp_gt_f32_e32 vcc_lo, 0x800000, v1
	s_delay_alu instid0(VALU_DEP_2) | instskip(SKIP_2) | instid1(VALU_DEP_2)
	v_fmaak_f32 v11, s24, v8, 0xbc7a590c
	v_cndmask_b32_e64 v10, 0, 32, vcc_lo
	v_cndmask_b32_e64 v19, 0, 0x41b17218, vcc_lo
	v_ldexp_f32 v1, v1, v10
	s_delay_alu instid0(VALU_DEP_4) | instskip(NEXT) | instid1(VALU_DEP_2)
	v_fmaak_f32 v10, v8, v11, 0x3d29fb3f
	v_log_f32_e32 v1, v1
	s_delay_alu instid0(VALU_DEP_1) | instskip(NEXT) | instid1(TRANS32_DEP_1)
	v_fmaak_f32 v10, v8, v10, 0xbd97d4d7
	v_mul_f32_e32 v11, 0x3f317217, v1
	v_cmp_gt_f32_e64 vcc_lo, 0x7f800000, |v1|
	s_delay_alu instid0(VALU_DEP_2) | instskip(NEXT) | instid1(VALU_DEP_1)
	v_fma_f32 v11, 0x3f317217, v1, -v11
	v_fmac_f32_e32 v11, 0x3377d1cf, v1
	s_delay_alu instid0(VALU_DEP_1) | instskip(NEXT) | instid1(VALU_DEP_1)
	v_fmac_f32_e32 v11, 0x3f317217, v1
	v_dual_fmaak_f32 v10, v8, v10, 0x3dd931b2 :: v_dual_cndmask_b32 v1, v1, v11
	s_delay_alu instid0(VALU_DEP_1) | instskip(NEXT) | instid1(VALU_DEP_1)
	v_fmaak_f32 v10, v8, v10, 0xbe1160e6
	v_fmaak_f32 v10, v8, v10, 0x3e4cb8bf
	s_delay_alu instid0(VALU_DEP_1) | instskip(NEXT) | instid1(VALU_DEP_1)
	v_fmaak_f32 v10, v8, v10, 0xbeaaaa62
	v_dual_mul_f32 v10, v8, v10 :: v_dual_sub_f32 v8, v1, v19
	s_delay_alu instid0(VALU_DEP_1)
	v_fmac_f32_e32 v9, v9, v10
.LBB56_171:                             ;   in Loop: Header=BB56_5 Depth=1
	s_or_b32 exec_lo, exec_lo, s3
                                        ; implicit-def: $vgpr10
                                        ; implicit-def: $vgpr1
                                        ; implicit-def: $vgpr11
.LBB56_172:                             ;   in Loop: Header=BB56_5 Depth=1
	s_and_not1_saveexec_b32 s27, s27
	s_cbranch_execz .LBB56_174
; %bb.173:                              ;   in Loop: Header=BB56_5 Depth=1
	v_div_scale_f32 v8, null, 0x402df854, 0x402df854, v13
	v_div_scale_f32 v9, null, 0x402df854, 0x402df854, v12
	v_div_scale_f32 v32, vcc_lo, v13, 0x402df854, v13
	s_delay_alu instid0(VALU_DEP_3) | instskip(NEXT) | instid1(VALU_DEP_2)
	v_rcp_f32_e32 v19, v8
	v_rcp_f32_e32 v23, v9
	s_delay_alu instid0(TRANS32_DEP_2) | instskip(NEXT) | instid1(TRANS32_DEP_1)
	v_fma_f32 v30, -v8, v19, 1.0
	v_fma_f32 v31, -v9, v23, 1.0
	s_delay_alu instid0(VALU_DEP_2) | instskip(SKIP_1) | instid1(VALU_DEP_3)
	v_fmac_f32_e32 v19, v30, v19
	v_div_scale_f32 v30, s3, v12, 0x402df854, v12
	v_fmac_f32_e32 v23, v31, v23
	s_delay_alu instid0(VALU_DEP_1) | instskip(NEXT) | instid1(VALU_DEP_1)
	v_mul_f32_e32 v33, v30, v23
	v_dual_fma_f32 v35, -v9, v33, v30 :: v_dual_mul_f32 v31, v32, v19
	s_delay_alu instid0(VALU_DEP_1) | instskip(NEXT) | instid1(VALU_DEP_1)
	v_fmac_f32_e32 v33, v35, v23
	v_dual_fma_f32 v34, -v8, v31, v32 :: v_dual_fma_f32 v9, -v9, v33, v30
	s_delay_alu instid0(VALU_DEP_1) | instskip(NEXT) | instid1(VALU_DEP_1)
	v_fmac_f32_e32 v31, v34, v19
	v_fma_f32 v8, -v8, v31, v32
	s_delay_alu instid0(VALU_DEP_1) | instskip(SKIP_2) | instid1(VALU_DEP_2)
	v_div_fmas_f32 v8, v8, v19, v31
	s_mov_b32 vcc_lo, s3
	v_div_fmas_f32 v9, v9, v23, v33
	v_div_fixup_f32 v19, v8, 0x402df854, v13
	s_delay_alu instid0(VALU_DEP_2) | instskip(NEXT) | instid1(VALU_DEP_1)
	v_div_fixup_f32 v23, v9, 0x402df854, v12
	v_max_num_f32_e64 v30, v19, |v23|
	s_delay_alu instid0(VALU_DEP_1) | instskip(SKIP_1) | instid1(VALU_DEP_2)
	v_cvt_f64_f32_e32 v[8:9], v30
	v_cmp_neq_f32_e32 vcc_lo, 0x7f800000, v30
	v_frexp_exp_i32_f64_e32 v8, v[8:9]
	s_delay_alu instid0(VALU_DEP_1) | instskip(NEXT) | instid1(VALU_DEP_1)
	v_sub_nc_u32_e32 v9, 0, v8
	v_ldexp_f32 v23, |v23|, v9
	v_ldexp_f32 v9, v19, v9
	s_delay_alu instid0(VALU_DEP_2) | instskip(NEXT) | instid1(VALU_DEP_1)
	v_mul_f32_e32 v19, v23, v23
	v_fmac_f32_e32 v19, v9, v9
	v_frexp_mant_f32_e32 v9, v11
	v_frexp_exp_i32_f32_e32 v11, v11
	s_wait_dscnt 0x0
	v_min_num_f32_e32 v1, v10, v1
	v_sqrt_f32_e32 v10, v19
	v_rcp_f32_e32 v9, v9
	s_delay_alu instid0(VALU_DEP_1) | instskip(NEXT) | instid1(TRANS32_DEP_2)
	v_frexp_exp_i32_f32_e32 v19, v1
	v_ldexp_f32 v8, v10, v8
	s_delay_alu instid0(VALU_DEP_2)
	v_sub_nc_u32_e32 v10, v19, v11
	v_frexp_mant_f32_e32 v1, v1
	s_delay_alu instid0(TRANS32_DEP_1) | instid1(VALU_DEP_1)
	v_dual_cndmask_b32 v8, 0x7f800000, v8 :: v_dual_mul_f32 v1, v1, v9
	s_delay_alu instid0(VALU_DEP_1) | instskip(NEXT) | instid1(VALU_DEP_2)
	v_cmp_gt_f32_e32 vcc_lo, 0x800000, v8
	v_ldexp_f32 v9, v1, v10
	v_cndmask_b32_e64 v1, 0, 32, vcc_lo
	v_cndmask_b32_e64 v19, 0, 0x41b17218, vcc_lo
	s_delay_alu instid0(VALU_DEP_3) | instskip(NEXT) | instid1(VALU_DEP_3)
	v_mul_f32_e32 v10, v9, v9
	v_ldexp_f32 v1, v8, v1
	s_delay_alu instid0(VALU_DEP_2) | instskip(NEXT) | instid1(VALU_DEP_2)
	v_fmaak_f32 v8, s24, v10, 0xbc7a590c
	v_log_f32_e32 v1, v1
	v_nop
	s_delay_alu instid0(TRANS32_DEP_1) | instskip(SKIP_1) | instid1(VALU_DEP_2)
	v_mul_f32_e32 v11, 0x3f317217, v1
	v_cmp_gt_f32_e64 vcc_lo, 0x7f800000, |v1|
	v_fma_f32 v11, 0x3f317217, v1, -v11
	s_delay_alu instid0(VALU_DEP_1) | instskip(NEXT) | instid1(VALU_DEP_1)
	v_fmac_f32_e32 v11, 0x3377d1cf, v1
	v_fmac_f32_e32 v11, 0x3f317217, v1
	s_delay_alu instid0(VALU_DEP_1) | instskip(NEXT) | instid1(VALU_DEP_1)
	v_dual_fmaak_f32 v8, v10, v8, 0x3d29fb3f :: v_dual_cndmask_b32 v1, v1, v11
	v_dual_fmaak_f32 v8, v10, v8, 0xbd97d4d7 :: v_dual_sub_f32 v1, v1, v19
	s_delay_alu instid0(VALU_DEP_1) | instskip(NEXT) | instid1(VALU_DEP_1)
	v_fmaak_f32 v8, v10, v8, 0x3dd931b2
	v_fmaak_f32 v8, v10, v8, 0xbe1160e6
	s_delay_alu instid0(VALU_DEP_1) | instskip(NEXT) | instid1(VALU_DEP_1)
	v_fmaak_f32 v8, v10, v8, 0x3e4cb8bf
	v_fmaak_f32 v8, v10, v8, 0xbeaaaa62
	s_delay_alu instid0(VALU_DEP_1) | instskip(NEXT) | instid1(VALU_DEP_1)
	v_dual_mul_f32 v10, v10, v8 :: v_dual_add_f32 v8, 1.0, v1
	v_fmac_f32_e32 v9, v9, v10
.LBB56_174:                             ;   in Loop: Header=BB56_5 Depth=1
	s_or_b32 exec_lo, exec_lo, s27
	s_wait_dscnt 0x0
	s_delay_alu instid0(VALU_DEP_1) | instskip(SKIP_2) | instid1(VALU_DEP_3)
	v_sub_f32_e32 v1, 0x3fc90fdb, v9
	v_cmp_neq_f32_e32 vcc_lo, 0, v12
	v_cmp_class_f32_e64 s27, v13, 0x204
	v_cndmask_b32_e64 v1, v9, v1, s2
	s_delay_alu instid0(VALU_DEP_1)
	v_cndmask_b32_e32 v9, 0, v1, vcc_lo
                                        ; implicit-def: $vgpr1
.LBB56_175:                             ;   in Loop: Header=BB56_5 Depth=1
	s_and_not1_saveexec_b32 s28, s28
	s_cbranch_execz .LBB56_185
; %bb.176:                              ;   in Loop: Header=BB56_5 Depth=1
	v_cmp_gt_f32_e64 s2, |v12|, -v13
                                        ; implicit-def: $vgpr8
                                        ; implicit-def: $vgpr9
	s_mov_b32 s3, exec_lo
	v_cndmask_b32_e64 v10, -v13, |v12|, s2
	s_delay_alu instid0(VALU_DEP_1)
	v_cmpx_nlt_f32_e32 0x7effffff, v10
	s_xor_b32 s29, exec_lo, s3
	s_cbranch_execz .LBB56_182
; %bb.177:                              ;   in Loop: Header=BB56_5 Depth=1
	v_xor_b32_e32 v8, 0x80000000, v13
	v_cmp_nlt_f32_e32 vcc_lo, 0x5e000000, v10
                                        ; implicit-def: $vgpr9
	s_delay_alu instid0(VALU_DEP_2) | instskip(NEXT) | instid1(VALU_DEP_1)
	v_cndmask_b32_e64 v11, |v12|, v8, s2
                                        ; implicit-def: $vgpr8
	v_cmp_ngt_f32_e64 s3, 0x20000000, v11
	s_and_b32 s3, vcc_lo, s3
	s_delay_alu instid0(SALU_CYCLE_1) | instskip(NEXT) | instid1(SALU_CYCLE_1)
	s_and_saveexec_b32 s30, s3
	s_xor_b32 s30, exec_lo, s30
	s_cbranch_execz .LBB56_179
; %bb.178:                              ;   in Loop: Header=BB56_5 Depth=1
	v_dual_max_num_f32 v8, -v13, -v13 :: v_dual_mul_f32 v11, v11, v11
	s_wait_dscnt 0x0
	s_delay_alu instid0(VALU_DEP_1) | instskip(NEXT) | instid1(VALU_DEP_1)
	v_dual_max_num_f32 v9, v8, v1 :: v_dual_min_num_f32 v1, v8, v1
	v_frexp_mant_f32_e32 v19, v9
	v_frexp_exp_i32_f32_e32 v8, v9
	s_delay_alu instid0(VALU_DEP_2)
	v_rcp_f32_e32 v9, v19
	v_nop
	v_frexp_exp_i32_f32_e32 v19, v1
	v_frexp_mant_f32_e32 v1, v1
	s_delay_alu instid0(TRANS32_DEP_1) | instid1(VALU_DEP_1)
	v_dual_mul_f32 v1, v1, v9 :: v_dual_sub_nc_u32 v8, v19, v8
	s_delay_alu instid0(VALU_DEP_1) | instskip(NEXT) | instid1(VALU_DEP_1)
	v_ldexp_f32 v9, v1, v8
	v_dual_fmac_f32 v11, v10, v10 :: v_dual_mul_f32 v8, v9, v9
	s_delay_alu instid0(VALU_DEP_1) | instskip(SKIP_1) | instid1(VALU_DEP_1)
	v_cmp_gt_f32_e32 vcc_lo, 0x800000, v11
	v_cndmask_b32_e64 v1, 0, 32, vcc_lo
	v_ldexp_f32 v1, v11, v1
	s_delay_alu instid0(VALU_DEP_1) | instskip(SKIP_1) | instid1(TRANS32_DEP_1)
	v_log_f32_e32 v1, v1
	v_nop
	v_mul_f32_e32 v11, 0x3f317217, v1
	v_cmp_gt_f32_e64 s3, 0x7f800000, |v1|
	s_delay_alu instid0(VALU_DEP_2) | instskip(NEXT) | instid1(VALU_DEP_1)
	v_fma_f32 v11, 0x3f317217, v1, -v11
	v_fmac_f32_e32 v11, 0x3377d1cf, v1
	s_delay_alu instid0(VALU_DEP_1) | instskip(NEXT) | instid1(VALU_DEP_1)
	v_fmac_f32_e32 v11, 0x3f317217, v1
	v_cndmask_b32_e64 v1, v1, v11, s3
	v_cndmask_b32_e64 v11, 0, 0x41b17218, vcc_lo
	s_delay_alu instid0(VALU_DEP_1) | instskip(NEXT) | instid1(VALU_DEP_1)
	v_dual_fmaak_f32 v10, s24, v8, 0xbc7a590c :: v_dual_sub_f32 v1, v1, v11
	v_fmaak_f32 v10, v8, v10, 0x3d29fb3f
	s_delay_alu instid0(VALU_DEP_1) | instskip(NEXT) | instid1(VALU_DEP_1)
	v_fmaak_f32 v10, v8, v10, 0xbd97d4d7
	v_fmaak_f32 v10, v8, v10, 0x3dd931b2
	s_delay_alu instid0(VALU_DEP_1) | instskip(NEXT) | instid1(VALU_DEP_1)
	v_fmaak_f32 v10, v8, v10, 0xbe1160e6
	v_fmaak_f32 v10, v8, v10, 0x3e4cb8bf
	s_delay_alu instid0(VALU_DEP_1) | instskip(NEXT) | instid1(VALU_DEP_1)
	v_fmaak_f32 v10, v8, v10, 0xbeaaaa62
	v_dual_mul_f32 v10, v8, v10 :: v_dual_mul_f32 v8, 0.5, v1
                                        ; implicit-def: $vgpr1
	s_delay_alu instid0(VALU_DEP_1)
	v_fmac_f32_e32 v9, v9, v10
.LBB56_179:                             ;   in Loop: Header=BB56_5 Depth=1
	s_and_not1_saveexec_b32 s3, s30
	s_cbranch_execz .LBB56_181
; %bb.180:                              ;   in Loop: Header=BB56_5 Depth=1
	v_max_num_f32_e64 v10, -v13, -v13
	s_wait_dscnt 0x0
	s_delay_alu instid0(VALU_DEP_1) | instskip(NEXT) | instid1(VALU_DEP_1)
	v_max_num_f32_e32 v11, v10, v1
	v_cvt_f64_f32_e32 v[8:9], v11
	s_delay_alu instid0(VALU_DEP_1) | instskip(NEXT) | instid1(VALU_DEP_1)
	v_frexp_exp_i32_f64_e32 v8, v[8:9]
	v_dual_sub_nc_u32 v9, 0, v8 :: v_dual_min_num_f32 v1, v10, v1
	s_delay_alu instid0(VALU_DEP_1) | instskip(SKIP_1) | instid1(VALU_DEP_3)
	v_ldexp_f32 v19, |v12|, v9
	v_ldexp_f32 v9, -v13, v9
	v_frexp_exp_i32_f32_e32 v23, v1
	v_frexp_mant_f32_e32 v1, v1
	s_delay_alu instid0(VALU_DEP_4) | instskip(SKIP_2) | instid1(VALU_DEP_3)
	v_mul_f32_e32 v19, v19, v19
	v_frexp_mant_f32_e32 v10, v11
	v_cmp_neq_f32_e32 vcc_lo, 0x7f800000, v11
	v_fmac_f32_e32 v19, v9, v9
	v_frexp_exp_i32_f32_e32 v9, v11
	s_delay_alu instid0(VALU_DEP_4) | instskip(NEXT) | instid1(VALU_DEP_1)
	v_rcp_f32_e32 v10, v10
	v_sub_nc_u32_e32 v9, v23, v9
	s_delay_alu instid0(VALU_DEP_3) | instskip(NEXT) | instid1(TRANS32_DEP_2)
	v_sqrt_f32_e32 v19, v19
	v_mul_f32_e32 v1, v1, v10
	s_delay_alu instid0(TRANS32_DEP_1) | instskip(NEXT) | instid1(VALU_DEP_2)
	v_ldexp_f32 v8, v19, v8
	v_ldexp_f32 v9, v1, v9
	s_delay_alu instid0(VALU_DEP_1) | instskip(NEXT) | instid1(VALU_DEP_1)
	v_dual_cndmask_b32 v1, 0x7f800000, v8 :: v_dual_mul_f32 v8, v9, v9
	v_cmp_gt_f32_e32 vcc_lo, 0x800000, v1
	s_delay_alu instid0(VALU_DEP_2) | instskip(SKIP_2) | instid1(VALU_DEP_2)
	v_fmaak_f32 v11, s24, v8, 0xbc7a590c
	v_cndmask_b32_e64 v10, 0, 32, vcc_lo
	v_cndmask_b32_e64 v19, 0, 0x41b17218, vcc_lo
	v_ldexp_f32 v1, v1, v10
	s_delay_alu instid0(VALU_DEP_4) | instskip(NEXT) | instid1(VALU_DEP_2)
	v_fmaak_f32 v10, v8, v11, 0x3d29fb3f
	v_log_f32_e32 v1, v1
	s_delay_alu instid0(VALU_DEP_1) | instskip(NEXT) | instid1(TRANS32_DEP_1)
	v_fmaak_f32 v10, v8, v10, 0xbd97d4d7
	v_mul_f32_e32 v11, 0x3f317217, v1
	v_cmp_gt_f32_e64 vcc_lo, 0x7f800000, |v1|
	s_delay_alu instid0(VALU_DEP_2) | instskip(NEXT) | instid1(VALU_DEP_1)
	v_fma_f32 v11, 0x3f317217, v1, -v11
	v_fmac_f32_e32 v11, 0x3377d1cf, v1
	s_delay_alu instid0(VALU_DEP_1) | instskip(NEXT) | instid1(VALU_DEP_1)
	v_fmac_f32_e32 v11, 0x3f317217, v1
	v_dual_fmaak_f32 v10, v8, v10, 0x3dd931b2 :: v_dual_cndmask_b32 v1, v1, v11
	s_delay_alu instid0(VALU_DEP_1) | instskip(NEXT) | instid1(VALU_DEP_1)
	v_fmaak_f32 v10, v8, v10, 0xbe1160e6
	v_fmaak_f32 v10, v8, v10, 0x3e4cb8bf
	s_delay_alu instid0(VALU_DEP_1) | instskip(NEXT) | instid1(VALU_DEP_1)
	v_fmaak_f32 v10, v8, v10, 0xbeaaaa62
	v_dual_mul_f32 v10, v8, v10 :: v_dual_sub_f32 v8, v1, v19
	s_delay_alu instid0(VALU_DEP_1)
	v_fmac_f32_e32 v9, v9, v10
.LBB56_181:                             ;   in Loop: Header=BB56_5 Depth=1
	s_or_b32 exec_lo, exec_lo, s3
                                        ; implicit-def: $vgpr1
.LBB56_182:                             ;   in Loop: Header=BB56_5 Depth=1
	s_and_not1_saveexec_b32 s29, s29
	s_cbranch_execz .LBB56_184
; %bb.183:                              ;   in Loop: Header=BB56_5 Depth=1
	v_div_scale_f32 v8, null, 0xc02df854, 0xc02df854, v13
	v_div_scale_f32 v9, null, 0xc02df854, 0xc02df854, v12
	v_div_scale_f32 v30, vcc_lo, v13, 0xc02df854, v13
	s_delay_alu instid0(VALU_DEP_3) | instskip(NEXT) | instid1(VALU_DEP_2)
	v_rcp_f32_e32 v10, v8
	v_rcp_f32_e32 v11, v9
	s_delay_alu instid0(TRANS32_DEP_2) | instskip(NEXT) | instid1(TRANS32_DEP_1)
	v_fma_f32 v19, -v8, v10, 1.0
	v_fma_f32 v23, -v9, v11, 1.0
	s_delay_alu instid0(VALU_DEP_1) | instskip(NEXT) | instid1(VALU_DEP_3)
	v_fmac_f32_e32 v11, v23, v11
	v_fmac_f32_e32 v10, v19, v10
	v_div_scale_f32 v19, s3, v12, 0xc02df854, v12
	s_delay_alu instid0(VALU_DEP_1) | instskip(NEXT) | instid1(VALU_DEP_1)
	v_dual_mul_f32 v31, v19, v11 :: v_dual_mul_f32 v23, v30, v10
	v_fma_f32 v33, -v9, v31, v19
	s_delay_alu instid0(VALU_DEP_2) | instskip(NEXT) | instid1(VALU_DEP_2)
	v_fma_f32 v32, -v8, v23, v30
	v_fmac_f32_e32 v31, v33, v11
	s_delay_alu instid0(VALU_DEP_2) | instskip(NEXT) | instid1(VALU_DEP_2)
	v_fmac_f32_e32 v23, v32, v10
	v_fma_f32 v9, -v9, v31, v19
	s_delay_alu instid0(VALU_DEP_2) | instskip(NEXT) | instid1(VALU_DEP_1)
	v_fma_f32 v8, -v8, v23, v30
	v_div_fmas_f32 v8, v8, v10, v23
	s_mov_b32 vcc_lo, s3
	v_max_num_f32_e64 v23, -v13, -v13
	v_div_fmas_f32 v9, v9, v11, v31
	s_delay_alu instid0(VALU_DEP_3) | instskip(NEXT) | instid1(VALU_DEP_2)
	v_div_fixup_f32 v10, v8, 0xc02df854, v13
	v_div_fixup_f32 v11, v9, 0xc02df854, v12
	s_delay_alu instid0(VALU_DEP_1) | instskip(NEXT) | instid1(VALU_DEP_1)
	v_max_num_f32_e64 v19, |v10|, |v11|
	v_cvt_f64_f32_e32 v[8:9], v19
	v_cmp_neq_f32_e32 vcc_lo, 0x7f800000, v19
	s_delay_alu instid0(VALU_DEP_2) | instskip(NEXT) | instid1(VALU_DEP_1)
	v_frexp_exp_i32_f64_e32 v8, v[8:9]
	v_sub_nc_u32_e32 v9, 0, v8
	s_delay_alu instid0(VALU_DEP_1) | instskip(SKIP_1) | instid1(VALU_DEP_2)
	v_ldexp_f32 v11, |v11|, v9
	v_ldexp_f32 v9, |v10|, v9
	v_mul_f32_e32 v10, v11, v11
	s_wait_dscnt 0x0
	v_dual_max_num_f32 v11, v23, v1 :: v_dual_min_num_f32 v1, v23, v1
	s_delay_alu instid0(VALU_DEP_2) | instskip(NEXT) | instid1(VALU_DEP_2)
	v_fmac_f32_e32 v10, v9, v9
	v_frexp_mant_f32_e32 v9, v11
	v_frexp_exp_i32_f32_e32 v11, v11
	s_delay_alu instid0(VALU_DEP_4) | instskip(SKIP_3) | instid1(TRANS32_DEP_2)
	v_frexp_exp_i32_f32_e32 v23, v1
	v_frexp_mant_f32_e32 v1, v1
	v_sqrt_f32_e32 v10, v10
	v_rcp_f32_e32 v9, v9
	v_ldexp_f32 v8, v10, v8
	s_delay_alu instid0(TRANS32_DEP_1) | instskip(NEXT) | instid1(VALU_DEP_2)
	v_dual_mul_f32 v1, v1, v9 :: v_dual_sub_nc_u32 v10, v23, v11
	v_cndmask_b32_e32 v8, 0x7f800000, v8, vcc_lo
	s_delay_alu instid0(VALU_DEP_2) | instskip(NEXT) | instid1(VALU_DEP_2)
	v_ldexp_f32 v9, v1, v10
	v_cmp_gt_f32_e32 vcc_lo, 0x800000, v8
	s_delay_alu instid0(VALU_DEP_2) | instskip(SKIP_2) | instid1(VALU_DEP_2)
	v_mul_f32_e32 v10, v9, v9
	v_cndmask_b32_e64 v1, 0, 32, vcc_lo
	v_cndmask_b32_e64 v19, 0, 0x41b17218, vcc_lo
	v_ldexp_f32 v1, v8, v1
	s_delay_alu instid0(VALU_DEP_4) | instskip(NEXT) | instid1(VALU_DEP_2)
	v_fmaak_f32 v8, s24, v10, 0xbc7a590c
	v_log_f32_e32 v1, v1
	v_nop
	s_delay_alu instid0(TRANS32_DEP_1) | instskip(SKIP_1) | instid1(VALU_DEP_2)
	v_mul_f32_e32 v11, 0x3f317217, v1
	v_cmp_gt_f32_e64 vcc_lo, 0x7f800000, |v1|
	v_fma_f32 v11, 0x3f317217, v1, -v11
	s_delay_alu instid0(VALU_DEP_1) | instskip(NEXT) | instid1(VALU_DEP_1)
	v_fmac_f32_e32 v11, 0x3377d1cf, v1
	v_fmac_f32_e32 v11, 0x3f317217, v1
	s_delay_alu instid0(VALU_DEP_1) | instskip(NEXT) | instid1(VALU_DEP_1)
	v_dual_fmaak_f32 v8, v10, v8, 0x3d29fb3f :: v_dual_cndmask_b32 v1, v1, v11
	v_dual_fmaak_f32 v8, v10, v8, 0xbd97d4d7 :: v_dual_sub_f32 v1, v1, v19
	s_delay_alu instid0(VALU_DEP_1) | instskip(NEXT) | instid1(VALU_DEP_1)
	v_fmaak_f32 v8, v10, v8, 0x3dd931b2
	v_fmaak_f32 v8, v10, v8, 0xbe1160e6
	s_delay_alu instid0(VALU_DEP_1) | instskip(NEXT) | instid1(VALU_DEP_1)
	v_fmaak_f32 v8, v10, v8, 0x3e4cb8bf
	v_fmaak_f32 v8, v10, v8, 0xbeaaaa62
	s_delay_alu instid0(VALU_DEP_1) | instskip(NEXT) | instid1(VALU_DEP_1)
	v_dual_mul_f32 v10, v10, v8 :: v_dual_add_f32 v8, 1.0, v1
	v_fmac_f32_e32 v9, v9, v10
.LBB56_184:                             ;   in Loop: Header=BB56_5 Depth=1
	s_or_b32 exec_lo, exec_lo, s29
	s_wait_dscnt 0x0
	s_delay_alu instid0(VALU_DEP_1) | instskip(SKIP_1) | instid1(VALU_DEP_2)
	v_sub_f32_e32 v1, 0x3fc90fdb, v9
	v_cmp_eq_f32_e32 vcc_lo, 0xff800000, v13
	v_cndmask_b32_e64 v1, v9, v1, s2
	v_cmp_neq_f32_e64 s2, 0, v12
	s_and_b32 s3, vcc_lo, exec_lo
	v_cndmask_b32_e64 v9, 0, v1, s2
	s_and_not1_b32 s2, s27, exec_lo
	s_delay_alu instid0(SALU_CYCLE_1)
	s_or_b32 s27, s2, s3
.LBB56_185:                             ;   in Loop: Header=BB56_5 Depth=1
	s_or_b32 exec_lo, exec_lo, s28
	v_cmp_class_f32_e64 s2, v12, 0x204
	s_and_b32 s2, s2, s27
	s_wait_dscnt 0x0
	v_cndmask_b32_e64 v1, v9, 0x3f490fdb, s2
	v_add_f32_e32 v9, 0x3f317218, v8
	s_delay_alu instid0(VALU_DEP_2) | instskip(NEXT) | instid1(VALU_DEP_2)
	v_bfi_b32 v8, 0x7fffffff, v1, v12
	v_bfi_b32 v9, 0x7fffffff, v9, v13
.LBB56_186:                             ;   in Loop: Header=BB56_5 Depth=1
	s_or_b32 exec_lo, exec_lo, s26
                                        ; implicit-def: $vgpr12_vgpr13
.LBB56_187:                             ;   in Loop: Header=BB56_5 Depth=1
	s_and_not1_saveexec_b32 s2, s18
	s_cbranch_execz .LBB56_201
; %bb.188:                              ;   in Loop: Header=BB56_5 Depth=1
	v_cmp_neq_f32_e64 s3, 0x7f800000, |v13|
	s_and_saveexec_b32 s18, s3
	s_delay_alu instid0(SALU_CYCLE_1)
	s_xor_b32 s3, exec_lo, s18
	s_cbranch_execz .LBB56_198
; %bb.189:                              ;   in Loop: Header=BB56_5 Depth=1
	v_cmp_neq_f32_e64 s18, 0x7f800000, |v12|
	s_and_saveexec_b32 s26, s18
	s_delay_alu instid0(SALU_CYCLE_1)
	s_xor_b32 s18, exec_lo, s26
	s_cbranch_execz .LBB56_195
; %bb.190:                              ;   in Loop: Header=BB56_5 Depth=1
	s_mov_b32 s26, exec_lo
	v_cmpx_neq_f32_e32 0, v12
	s_xor_b32 s26, exec_lo, s26
	s_cbranch_execz .LBB56_192
; %bb.191:                              ;   in Loop: Header=BB56_5 Depth=1
	s_wait_dscnt 0x0
	v_add_f32_e32 v1, 0, v13
	s_delay_alu instid0(VALU_DEP_1)
	v_add_f32_e32 v9, v12, v1
                                        ; implicit-def: $vgpr12_vgpr13
.LBB56_192:                             ;   in Loop: Header=BB56_5 Depth=1
	s_or_saveexec_b32 s26, s26
	s_delay_alu instid0(VALU_DEP_1)
	v_mov_b32_e32 v8, v9
	s_xor_b32 exec_lo, exec_lo, s26
; %bb.193:                              ;   in Loop: Header=BB56_5 Depth=1
	v_pk_add_f32 v[8:9], v[12:13], v[12:13]
	v_mov_b32_e32 v8, v12
; %bb.194:                              ;   in Loop: Header=BB56_5 Depth=1
	s_or_b32 exec_lo, exec_lo, s26
                                        ; implicit-def: $vgpr12_vgpr13
.LBB56_195:                             ;   in Loop: Header=BB56_5 Depth=1
	s_and_not1_saveexec_b32 s18, s18
; %bb.196:                              ;   in Loop: Header=BB56_5 Depth=1
	v_dual_add_f32 v8, v13, v13 :: v_dual_mov_b32 v9, v12
; %bb.197:                              ;   in Loop: Header=BB56_5 Depth=1
	s_or_b32 exec_lo, exec_lo, s18
                                        ; implicit-def: $vgpr12_vgpr13
.LBB56_198:                             ;   in Loop: Header=BB56_5 Depth=1
	s_and_not1_saveexec_b32 s3, s3
; %bb.199:                              ;   in Loop: Header=BB56_5 Depth=1
	v_dual_add_f32 v8, v12, v12 :: v_dual_mov_b32 v9, v13
; %bb.200:                              ;   in Loop: Header=BB56_5 Depth=1
	s_or_b32 exec_lo, exec_lo, s3
.LBB56_201:                             ;   in Loop: Header=BB56_5 Depth=1
	s_delay_alu instid0(SALU_CYCLE_1) | instskip(NEXT) | instid1(SALU_CYCLE_1)
	s_or_b32 exec_lo, exec_lo, s2
                                        ; implicit-def: $vgpr11
	s_mov_b32 s2, exec_lo
	s_wait_loadcnt 0x0
	v_cmpx_o_f32_e32 v3, v2
	s_xor_b32 s18, exec_lo, s2
	s_cbranch_execz .LBB56_285
; %bb.202:                              ;   in Loop: Header=BB56_5 Depth=1
	v_max_num_f32_e64 v12, |v3|, |v3|
	s_wait_dscnt 0x0
	v_max_num_f32_e64 v1, |v2|, |v2|
                                        ; implicit-def: $vgpr11
	s_mov_b32 s2, exec_lo
	s_delay_alu instid0(VALU_DEP_1) | instskip(NEXT) | instid1(VALU_DEP_1)
	v_max_num_f32_e32 v13, v1, v12
	v_cmpx_nlt_f32_e32 0x4b000000, v13
	s_xor_b32 s26, exec_lo, s2
	s_cbranch_execz .LBB56_262
; %bb.203:                              ;   in Loop: Header=BB56_5 Depth=1
	v_cmp_neq_f32_e32 vcc_lo, 0, v3
	v_cmp_neq_f32_e64 s2, 0, v2
	v_dual_mov_b32 v11, v3 :: v_dual_mov_b32 v10, v2
	s_or_b32 s2, vcc_lo, s2
	s_delay_alu instid0(SALU_CYCLE_1)
	s_and_saveexec_b32 s27, s2
	s_cbranch_execz .LBB56_261
; %bb.204:                              ;   in Loop: Header=BB56_5 Depth=1
	flat_store_b32 v[16:17], v28 scope:SCOPE_SYS
	s_wait_storecnt 0x0
	flat_load_b32 v1, v[16:17] scope:SCOPE_SYS
	s_wait_loadcnt 0x0
	v_cmp_ngt_f32_e64 s2, 0x395db3d7, |v3|
	v_cmp_ngt_f32_e64 s3, 0x395db3d7, |v2|
	v_dual_mov_b32 v10, v2 :: v_dual_mov_b32 v11, v3
	s_or_b32 s2, s3, s2
	s_wait_dscnt 0x0
	v_add_f32_e32 v1, 1.0, v1
	flat_store_b32 v[20:21], v1 scope:SCOPE_SYS
	s_wait_storecnt 0x0
	flat_load_b32 v1, v[20:21] scope:SCOPE_SYS
	s_wait_loadcnt 0x0
	s_wait_xcnt 0x0
	s_and_saveexec_b32 s28, s2
	s_cbranch_execz .LBB56_260
; %bb.205:                              ;   in Loop: Header=BB56_5 Depth=1
	v_add_f32_e64 v30, |v2|, 1.0
	s_wait_dscnt 0x0
	v_add_f32_e64 v1, |v2|, -1.0
	s_mov_b32 s2, exec_lo
	s_delay_alu instid0(VALU_DEP_2) | instskip(NEXT) | instid1(VALU_DEP_2)
	v_max_num_f32_e32 v19, v12, v30
	v_max_num_f32_e64 v23, v12, |v1|
	s_delay_alu instid0(VALU_DEP_2) | instskip(NEXT) | instid1(VALU_DEP_2)
	v_cvt_f64_f32_e32 v[10:11], v19
	v_cvt_f64_f32_e32 v[12:13], v23
	s_delay_alu instid0(VALU_DEP_2) | instskip(NEXT) | instid1(VALU_DEP_2)
	v_frexp_exp_i32_f64_e32 v10, v[10:11]
	v_frexp_exp_i32_f64_e32 v11, v[12:13]
	s_delay_alu instid0(VALU_DEP_1) | instskip(SKIP_1) | instid1(VALU_DEP_2)
	v_dual_sub_nc_u32 v12, 0, v10 :: v_dual_sub_nc_u32 v13, 0, v11
	v_cmp_neq_f32_e32 vcc_lo, 0x7f800000, v19
                                        ; implicit-def: $vgpr19
	v_ldexp_f32 v31, v30, v12
	s_delay_alu instid0(VALU_DEP_3) | instskip(SKIP_1) | instid1(VALU_DEP_3)
	v_ldexp_f32 v32, |v1|, v13
	v_ldexp_f32 v13, |v3|, v13
	v_mul_f32_e32 v31, v31, v31
	v_ldexp_f32 v12, |v3|, v12
	s_delay_alu instid0(VALU_DEP_4) | instskip(NEXT) | instid1(VALU_DEP_1)
	v_mul_f32_e32 v32, v32, v32
	v_dual_fmac_f32 v31, v12, v12 :: v_dual_fmac_f32 v32, v13, v13
	s_delay_alu instid0(VALU_DEP_1) | instskip(NEXT) | instid1(VALU_DEP_1)
	v_sqrt_f32_e32 v12, v31
	v_sqrt_f32_e32 v13, v32
	s_delay_alu instid0(TRANS32_DEP_2) | instskip(NEXT) | instid1(TRANS32_DEP_1)
	v_ldexp_f32 v10, v12, v10
	v_ldexp_f32 v11, v13, v11
	s_delay_alu instid0(VALU_DEP_2) | instskip(SKIP_1) | instid1(VALU_DEP_3)
	v_cndmask_b32_e32 v32, 0x7f800000, v10, vcc_lo
	v_cmp_neq_f32_e32 vcc_lo, 0x7f800000, v23
	v_cndmask_b32_e32 v12, 0x7f800000, v11, vcc_lo
	s_delay_alu instid0(VALU_DEP_1) | instskip(NEXT) | instid1(VALU_DEP_1)
	v_add_f32_e32 v10, v32, v12
	v_mul_f32_e32 v10, 0.5, v10
	s_delay_alu instid0(VALU_DEP_1) | instskip(SKIP_1) | instid1(VALU_DEP_1)
	v_cmp_ngt_f32_e32 vcc_lo, 1.0, v10
	v_cndmask_b32_e32 v10, 1.0, v10, vcc_lo
	v_cmpx_ngt_f32_e32 0x41200000, v10
	s_xor_b32 s3, exec_lo, s2
	s_cbranch_execz .LBB56_207
; %bb.206:                              ;   in Loop: Header=BB56_5 Depth=1
	v_fma_f32 v11, v10, v10, -1.0
	s_delay_alu instid0(VALU_DEP_1) | instskip(SKIP_1) | instid1(VALU_DEP_2)
	v_mul_f32_e32 v13, 0x4f800000, v11
	v_cmp_gt_f32_e32 vcc_lo, 0xf800000, v11
	v_cndmask_b32_e32 v11, v11, v13, vcc_lo
	s_delay_alu instid0(VALU_DEP_1) | instskip(SKIP_1) | instid1(TRANS32_DEP_1)
	v_sqrt_f32_e32 v13, v11
	v_nop
	v_dual_add_nc_u32 v19, -1, v13 :: v_dual_add_nc_u32 v23, 1, v13
	s_delay_alu instid0(VALU_DEP_1) | instskip(NEXT) | instid1(VALU_DEP_1)
	v_fma_f32 v31, -v19, v13, v11
	v_cmp_ge_f32_e64 s2, 0, v31
	s_delay_alu instid0(VALU_DEP_1) | instskip(NEXT) | instid1(VALU_DEP_1)
	v_dual_fma_f32 v33, -v23, v13, v11 :: v_dual_cndmask_b32 v13, v13, v19, s2
	v_cmp_lt_f32_e64 s2, 0, v33
	s_delay_alu instid0(VALU_DEP_1) | instskip(NEXT) | instid1(VALU_DEP_1)
	v_cndmask_b32_e64 v13, v13, v23, s2
	v_mul_f32_e32 v19, 0x37800000, v13
	s_delay_alu instid0(VALU_DEP_1) | instskip(SKIP_1) | instid1(VALU_DEP_2)
	v_cndmask_b32_e32 v13, v13, v19, vcc_lo
	v_cmp_class_f32_e64 vcc_lo, v11, 0x260
	v_cndmask_b32_e32 v11, v13, v11, vcc_lo
	s_delay_alu instid0(VALU_DEP_1) | instskip(NEXT) | instid1(VALU_DEP_1)
	v_add_f32_e32 v11, v10, v11
	v_cmp_gt_f32_e32 vcc_lo, 0x800000, v11
	s_delay_alu instid0(VALU_DEP_4) | instskip(NEXT) | instid1(VALU_DEP_1)
	v_cndmask_b32_e64 v13, 0, 32, vcc_lo
	v_ldexp_f32 v11, v11, v13
	s_delay_alu instid0(VALU_DEP_1) | instskip(SKIP_1) | instid1(TRANS32_DEP_1)
	v_log_f32_e32 v11, v11
	v_nop
	v_mul_f32_e32 v13, 0x3f317217, v11
	v_cmp_gt_f32_e64 s2, 0x7f800000, |v11|
	s_delay_alu instid0(VALU_DEP_2) | instskip(NEXT) | instid1(VALU_DEP_1)
	v_fma_f32 v13, 0x3f317217, v11, -v13
	v_fmac_f32_e32 v13, 0x3377d1cf, v11
	s_delay_alu instid0(VALU_DEP_1) | instskip(NEXT) | instid1(VALU_DEP_1)
	v_fmac_f32_e32 v13, 0x3f317217, v11
	v_cndmask_b32_e64 v11, v11, v13, s2
	v_cndmask_b32_e64 v13, 0, 0x41b17218, vcc_lo
	s_delay_alu instid0(VALU_DEP_1)
	v_sub_f32_e32 v19, v11, v13
.LBB56_207:                             ;   in Loop: Header=BB56_5 Depth=1
	s_or_saveexec_b32 s3, s3
	v_and_b32_e32 v31, 0x7fffffff, v3
	s_xor_b32 exec_lo, exec_lo, s3
	s_cbranch_execz .LBB56_229
; %bb.208:                              ;   in Loop: Header=BB56_5 Depth=1
	v_cmp_neq_f32_e64 s2, |v2|, 1.0
	v_cmp_ngt_f32_e64 s29, 0x25000000, |v3|
                                        ; implicit-def: $vgpr19
	s_or_b32 s2, s2, s29
	s_delay_alu instid0(SALU_CYCLE_1) | instskip(NEXT) | instid1(SALU_CYCLE_1)
	s_and_saveexec_b32 s29, s2
	s_xor_b32 s29, exec_lo, s29
	s_cbranch_execz .LBB56_226
; %bb.209:                              ;   in Loop: Header=BB56_5 Depth=1
	v_mul_f32_e64 v11, 0x34000000, |v1|
	s_mov_b32 s30, exec_lo
                                        ; implicit-def: $vgpr19
	s_delay_alu instid0(VALU_DEP_1)
	v_cmpx_ge_f32_e64 |v3|, v11
	s_xor_b32 s30, exec_lo, s30
	s_cbranch_execz .LBB56_219
; %bb.210:                              ;   in Loop: Header=BB56_5 Depth=1
	v_mov_b32_e32 v11, v31
	s_mov_b32 s2, exec_lo
	v_cmpx_neq_f32_e32 0, v30
	s_cbranch_execz .LBB56_212
; %bb.211:                              ;   in Loop: Header=BB56_5 Depth=1
	v_dual_mul_f32 v11, v3, v3 :: v_dual_add_f32 v13, v30, v32
	s_delay_alu instid0(VALU_DEP_1) | instskip(NEXT) | instid1(VALU_DEP_1)
	v_div_scale_f32 v19, null, v13, v13, v11
	v_rcp_f32_e32 v23, v19
	v_nop
	s_delay_alu instid0(TRANS32_DEP_1) | instskip(NEXT) | instid1(VALU_DEP_1)
	v_fma_f32 v33, -v19, v23, 1.0
	v_fmac_f32_e32 v23, v33, v23
	v_div_scale_f32 v33, vcc_lo, v11, v13, v11
	s_delay_alu instid0(VALU_DEP_1) | instskip(NEXT) | instid1(VALU_DEP_1)
	v_mul_f32_e32 v34, v33, v23
	v_fma_f32 v35, -v19, v34, v33
	s_delay_alu instid0(VALU_DEP_1) | instskip(NEXT) | instid1(VALU_DEP_1)
	v_fmac_f32_e32 v34, v35, v23
	v_fma_f32 v19, -v19, v34, v33
	s_delay_alu instid0(VALU_DEP_1) | instskip(NEXT) | instid1(VALU_DEP_1)
	v_div_fmas_f32 v19, v19, v23, v34
	v_div_fixup_f32 v11, v19, v13, v11
.LBB56_212:                             ;   in Loop: Header=BB56_5 Depth=1
	s_or_b32 exec_lo, exec_lo, s2
	v_sub_f32_e64 v19, 1.0, |v2|
	s_mov_b32 s2, exec_lo
                                        ; implicit-def: $vgpr13
	s_delay_alu instid0(VALU_DEP_1)
	v_cmpx_ngt_f32_e32 0, v19
	s_xor_b32 s2, exec_lo, s2
	s_cbranch_execz .LBB56_216
; %bb.213:                              ;   in Loop: Header=BB56_5 Depth=1
	v_mov_b32_e32 v13, v31
	s_mov_b32 s31, exec_lo
	v_cmpx_neq_f32_e32 0, v19
	s_cbranch_execz .LBB56_215
; %bb.214:                              ;   in Loop: Header=BB56_5 Depth=1
	v_mul_f32_e32 v13, v3, v3
	v_add_f32_e32 v19, v19, v12
	s_delay_alu instid0(VALU_DEP_1) | instskip(NEXT) | instid1(VALU_DEP_1)
	v_div_scale_f32 v23, null, v19, v19, v13
	v_rcp_f32_e32 v33, v23
	v_nop
	s_delay_alu instid0(TRANS32_DEP_1) | instskip(NEXT) | instid1(VALU_DEP_1)
	v_fma_f32 v34, -v23, v33, 1.0
	v_fmac_f32_e32 v33, v34, v33
	v_div_scale_f32 v34, vcc_lo, v13, v19, v13
	s_delay_alu instid0(VALU_DEP_1) | instskip(NEXT) | instid1(VALU_DEP_1)
	v_mul_f32_e32 v35, v34, v33
	v_fma_f32 v36, -v23, v35, v34
	s_delay_alu instid0(VALU_DEP_1) | instskip(NEXT) | instid1(VALU_DEP_1)
	v_fmac_f32_e32 v35, v36, v33
	v_fma_f32 v23, -v23, v35, v34
	s_delay_alu instid0(VALU_DEP_1) | instskip(NEXT) | instid1(VALU_DEP_1)
	v_div_fmas_f32 v23, v23, v33, v35
	v_div_fixup_f32 v13, v23, v19, v13
.LBB56_215:                             ;   in Loop: Header=BB56_5 Depth=1
	s_or_b32 exec_lo, exec_lo, s31
                                        ; implicit-def: $vgpr19
.LBB56_216:                             ;   in Loop: Header=BB56_5 Depth=1
	s_and_not1_saveexec_b32 s2, s2
; %bb.217:                              ;   in Loop: Header=BB56_5 Depth=1
	v_sub_f32_e32 v13, v12, v19
; %bb.218:                              ;   in Loop: Header=BB56_5 Depth=1
	s_or_b32 exec_lo, exec_lo, s2
	s_delay_alu instid0(VALU_DEP_1) | instskip(NEXT) | instid1(VALU_DEP_1)
	v_dual_mul_f32 v11, 0.5, v11 :: v_dual_mul_f32 v19, 0.5, v13
	v_pk_add_f32 v[34:35], v[10:11], v[18:19]
	s_delay_alu instid0(VALU_DEP_1) | instskip(NEXT) | instid1(VALU_DEP_1)
	v_mul_f32_e32 v11, v34, v35
	v_mul_f32_e32 v13, 0x4f800000, v11
	v_cmp_gt_f32_e32 vcc_lo, 0xf800000, v11
	s_delay_alu instid0(VALU_DEP_2) | instskip(NEXT) | instid1(VALU_DEP_1)
	v_cndmask_b32_e32 v11, v11, v13, vcc_lo
	v_sqrt_f32_e32 v13, v11
	v_nop
	s_delay_alu instid0(TRANS32_DEP_1) | instskip(NEXT) | instid1(VALU_DEP_1)
	v_dual_add_nc_u32 v19, -1, v13 :: v_dual_add_nc_u32 v23, 1, v13
	v_fma_f32 v33, -v19, v13, v11
	s_delay_alu instid0(VALU_DEP_2) | instskip(NEXT) | instid1(VALU_DEP_2)
	v_fma_f32 v34, -v23, v13, v11
	v_cmp_ge_f32_e64 s2, 0, v33
	s_delay_alu instid0(VALU_DEP_1) | instskip(NEXT) | instid1(VALU_DEP_3)
	v_cndmask_b32_e64 v13, v13, v19, s2
	v_cmp_lt_f32_e64 s2, 0, v34
	s_delay_alu instid0(VALU_DEP_1) | instskip(NEXT) | instid1(VALU_DEP_1)
	v_cndmask_b32_e64 v13, v13, v23, s2
	v_mul_f32_e32 v19, 0x37800000, v13
	s_delay_alu instid0(VALU_DEP_1) | instskip(SKIP_1) | instid1(VALU_DEP_2)
	v_cndmask_b32_e32 v13, v13, v19, vcc_lo
	v_cmp_class_f32_e64 vcc_lo, v11, 0x260
	v_cndmask_b32_e32 v11, v13, v11, vcc_lo
	s_delay_alu instid0(VALU_DEP_1) | instskip(NEXT) | instid1(VALU_DEP_1)
	v_add_f32_e32 v34, v35, v11
	v_add_f32_e32 v37, 1.0, v34
	s_delay_alu instid0(VALU_DEP_1) | instskip(SKIP_2) | instid1(VALU_DEP_2)
	v_cvt_f64_f32_e32 v[38:39], v37
	v_frexp_mant_f32_e32 v13, v37
	v_add_f32_e32 v35, -1.0, v37
	v_cmp_gt_f32_e32 vcc_lo, 0x3f2aaaab, v13
	s_delay_alu instid0(VALU_DEP_2) | instskip(SKIP_1) | instid1(VALU_DEP_2)
	v_mov_b32_e32 v36, v35
	v_frexp_exp_i32_f64_e32 v11, v[38:39]
	v_pk_add_f32 v[38:39], v[34:35], v[36:37] neg_lo:[0,1] neg_hi:[0,1]
	s_delay_alu instid0(VALU_DEP_2) | instskip(SKIP_1) | instid1(VALU_DEP_2)
	v_subrev_co_ci_u32_e64 v11, null, 0, v11, vcc_lo
	v_cmp_neq_f32_e32 vcc_lo, 0x7f800000, v34
	v_sub_nc_u32_e32 v13, 0, v11
	s_delay_alu instid0(VALU_DEP_1) | instskip(NEXT) | instid1(VALU_DEP_1)
	v_ldexp_f32 v19, v37, v13
	v_dual_add_f32 v33, 1.0, v19 :: v_dual_add_f32 v41, -1.0, v19
	s_delay_alu instid0(VALU_DEP_1) | instskip(NEXT) | instid1(VALU_DEP_1)
	v_dual_add_f32 v23, 1.0, v39 :: v_dual_add_f32 v35, -1.0, v33
	v_add_f32_e32 v23, v38, v23
	s_delay_alu instid0(VALU_DEP_1) | instskip(NEXT) | instid1(VALU_DEP_3)
	v_ldexp_f32 v13, v23, v13
	v_dual_sub_f32 v23, v19, v35 :: v_dual_add_f32 v35, 1.0, v41
	s_delay_alu instid0(VALU_DEP_1) | instskip(NEXT) | instid1(VALU_DEP_2)
	v_sub_f32_e32 v19, v19, v35
	v_add_f32_e32 v23, v13, v23
	s_delay_alu instid0(VALU_DEP_1) | instskip(NEXT) | instid1(VALU_DEP_1)
	v_add_f32_e32 v35, v33, v23
	v_sub_f32_e32 v33, v35, v33
	s_delay_alu instid0(VALU_DEP_1) | instskip(SKIP_1) | instid1(VALU_DEP_1)
	v_dual_sub_f32 v23, v23, v33 :: v_dual_add_f32 v13, v13, v19
	v_rcp_f32_e32 v19, v35
	v_add_f32_e32 v37, v41, v13
	s_delay_alu instid0(TRANS32_DEP_1) | instid1(VALU_DEP_1)
	v_dual_mul_f32 v42, v37, v19 :: v_dual_sub_f32 v33, v37, v41
	s_delay_alu instid0(VALU_DEP_1) | instskip(NEXT) | instid1(VALU_DEP_1)
	v_dual_mul_f32 v38, v35, v42 :: v_dual_sub_f32 v13, v13, v33
	v_fma_f32 v40, v42, v35, -v38
	s_delay_alu instid0(VALU_DEP_1) | instskip(NEXT) | instid1(VALU_DEP_1)
	v_fmac_f32_e32 v40, v42, v23
	v_add_f32_e32 v36, v38, v40
	s_delay_alu instid0(VALU_DEP_1) | instskip(NEXT) | instid1(VALU_DEP_1)
	v_dual_sub_f32 v39, v37, v36 :: v_dual_mov_b32 v41, v36
	v_pk_add_f32 v[36:37], v[36:37], v[38:39] neg_lo:[0,1] neg_hi:[0,1]
	s_delay_alu instid0(VALU_DEP_1) | instskip(NEXT) | instid1(VALU_DEP_1)
	v_pk_add_f32 v[36:37], v[36:37], v[40:41] neg_lo:[0,1] neg_hi:[0,1]
	v_add_f32_e32 v13, v13, v37
	s_delay_alu instid0(VALU_DEP_1) | instskip(NEXT) | instid1(VALU_DEP_1)
	v_add_f32_e32 v13, v36, v13
	v_add_f32_e32 v37, v39, v13
	s_delay_alu instid0(VALU_DEP_1) | instskip(NEXT) | instid1(VALU_DEP_1)
	v_mul_f32_e32 v33, v19, v37
	v_mul_f32_e32 v40, v35, v33
	s_delay_alu instid0(VALU_DEP_1) | instskip(NEXT) | instid1(VALU_DEP_1)
	v_dual_fma_f32 v38, v33, v35, -v40 :: v_dual_add_f32 v35, v42, v33
	v_dual_fmac_f32 v38, v33, v23 :: v_dual_sub_f32 v23, v39, v37
	s_delay_alu instid0(VALU_DEP_1) | instskip(NEXT) | instid1(VALU_DEP_1)
	v_dual_add_f32 v36, v40, v38 :: v_dual_add_f32 v13, v13, v23
	v_dual_sub_f32 v23, v35, v42 :: v_dual_sub_f32 v41, v37, v36
	s_delay_alu instid0(VALU_DEP_1) | instskip(NEXT) | instid1(VALU_DEP_2)
	v_dual_mov_b32 v39, v36 :: v_dual_sub_f32 v23, v33, v23
	v_pk_add_f32 v[36:37], v[36:37], v[40:41] neg_lo:[0,1] neg_hi:[0,1]
	s_delay_alu instid0(VALU_DEP_1) | instskip(NEXT) | instid1(VALU_DEP_1)
	v_pk_add_f32 v[36:37], v[36:37], v[38:39] neg_lo:[0,1] neg_hi:[0,1]
	v_add_f32_e32 v13, v13, v37
	s_delay_alu instid0(VALU_DEP_1) | instskip(SKIP_1) | instid1(VALU_DEP_2)
	v_add_f32_e32 v13, v36, v13
	v_cvt_f32_i32_e32 v36, v11
	v_add_f32_e32 v13, v41, v13
	s_delay_alu instid0(VALU_DEP_1) | instskip(NEXT) | instid1(VALU_DEP_1)
	v_mul_f32_e32 v13, v19, v13
	v_add_f32_e32 v13, v23, v13
	s_delay_alu instid0(VALU_DEP_1) | instskip(NEXT) | instid1(VALU_DEP_1)
	v_add_f32_e32 v19, v35, v13
	v_mul_f32_e32 v23, v19, v19
	v_sub_f32_e32 v11, v19, v35
	s_delay_alu instid0(VALU_DEP_2) | instskip(SKIP_1) | instid1(VALU_DEP_2)
	v_fmaak_f32 v33, s22, v23, 0x3ecc95a3
	v_mul_f32_e32 v37, v19, v23
	v_fmaak_f32 v23, v23, v33, 0x3f2aaada
	s_delay_alu instid0(VALU_DEP_1) | instskip(NEXT) | instid1(VALU_DEP_1)
	v_pk_mul_f32 v[38:39], v[36:37], v[22:23]
	v_fma_f32 v40, 0x3f317218, v36, -v38
	v_dual_mov_b32 v42, v38 :: v_dual_sub_f32 v11, v13, v11
	v_ldexp_f32 v41, v19, 1
	s_delay_alu instid0(VALU_DEP_3) | instskip(NEXT) | instid1(VALU_DEP_3)
	v_fmac_f32_e32 v40, 0xb102e308, v36
	v_ldexp_f32 v11, v11, 1
	s_delay_alu instid0(VALU_DEP_2) | instskip(NEXT) | instid1(VALU_DEP_1)
	v_pk_add_f32 v[36:37], v[38:39], v[40:41]
	v_dual_sub_f32 v13, v37, v41 :: v_dual_mov_b32 v41, v36
	s_delay_alu instid0(VALU_DEP_1) | instskip(SKIP_1) | instid1(VALU_DEP_2)
	v_dual_mov_b32 v50, v37 :: v_dual_sub_f32 v13, v39, v13
	v_pk_add_f32 v[38:39], v[36:37], v[38:39] neg_lo:[0,1] neg_hi:[0,1]
	v_add_f32_e32 v43, v11, v13
	s_delay_alu instid0(VALU_DEP_1) | instskip(NEXT) | instid1(VALU_DEP_1)
	v_pk_add_f32 v[44:45], v[36:37], v[42:43]
	v_mov_b32_e32 v39, v45
	s_delay_alu instid0(VALU_DEP_1) | instskip(SKIP_1) | instid1(VALU_DEP_2)
	v_pk_add_f32 v[46:47], v[40:41], v[38:39]
	v_pk_add_f32 v[38:39], v[40:41], v[38:39] neg_lo:[0,1] neg_hi:[0,1]
	v_dual_mov_b32 v42, v47 :: v_dual_mov_b32 v39, v47
	s_delay_alu instid0(VALU_DEP_1) | instskip(SKIP_1) | instid1(VALU_DEP_2)
	v_pk_add_f32 v[48:49], v[42:43], v[36:37] neg_lo:[0,1] neg_hi:[0,1]
	v_dual_mov_b32 v46, v45 :: v_dual_mov_b32 v37, v36
	v_dual_mov_b32 v36, v43 :: v_dual_mov_b32 v51, v48
	v_mov_b32_e32 v11, v48
	s_delay_alu instid0(VALU_DEP_2) | instskip(NEXT) | instid1(VALU_DEP_2)
	v_pk_add_f32 v[48:49], v[46:47], v[50:51] neg_lo:[0,1] neg_hi:[0,1]
	v_pk_add_f32 v[40:41], v[44:45], v[10:11] neg_lo:[0,1] neg_hi:[0,1]
	v_mov_b32_e32 v40, v38
	s_delay_alu instid0(VALU_DEP_3) | instskip(NEXT) | instid1(VALU_DEP_1)
	v_pk_add_f32 v[36:37], v[36:37], v[48:49] neg_lo:[0,1] neg_hi:[0,1]
	v_pk_add_f32 v[40:41], v[40:41], v[36:37]
	s_delay_alu instid0(VALU_DEP_1) | instskip(NEXT) | instid1(VALU_DEP_1)
	v_mov_b32_e32 v44, v41
	v_pk_add_f32 v[44:45], v[40:41], v[44:45]
	s_delay_alu instid0(VALU_DEP_1) | instskip(NEXT) | instid1(VALU_DEP_1)
	v_pk_add_f32 v[42:43], v[42:43], v[44:45]
	v_dual_mov_b32 v37, v44 :: v_dual_mov_b32 v41, v42
	s_delay_alu instid0(VALU_DEP_1) | instskip(NEXT) | instid1(VALU_DEP_1)
	v_pk_add_f32 v[46:47], v[40:41], v[38:39] neg_lo:[0,1] neg_hi:[0,1]
	v_sub_f32_e32 v11, v40, v46
	s_delay_alu instid0(VALU_DEP_2) | instskip(NEXT) | instid1(VALU_DEP_2)
	v_pk_add_f32 v[36:37], v[36:37], v[46:47] neg_lo:[0,1] neg_hi:[0,1]
	v_sub_f32_e32 v11, v38, v11
	s_delay_alu instid0(VALU_DEP_1) | instskip(NEXT) | instid1(VALU_DEP_1)
	v_add_f32_e32 v11, v36, v11
	v_add_f32_e32 v11, v11, v37
	s_delay_alu instid0(VALU_DEP_1) | instskip(NEXT) | instid1(VALU_DEP_1)
	v_add_f32_e32 v11, v42, v11
	v_cndmask_b32_e32 v11, 0x7f800000, v11, vcc_lo
	v_cmp_ngt_f32_e32 vcc_lo, -1.0, v34
	s_delay_alu instid0(VALU_DEP_2) | instskip(SKIP_1) | instid1(VALU_DEP_2)
	v_cndmask_b32_e32 v11, 0x7fc00000, v11, vcc_lo
	v_cmp_neq_f32_e32 vcc_lo, -1.0, v34
	v_cndmask_b32_e32 v11, 0xff800000, v11, vcc_lo
	v_cmp_gt_f32_e64 vcc_lo, 0x33800000, |v34|
	s_delay_alu instid0(VALU_DEP_2)
	v_cndmask_b32_e32 v19, v11, v34, vcc_lo
.LBB56_219:                             ;   in Loop: Header=BB56_5 Depth=1
	s_and_not1_saveexec_b32 s30, s30
	s_cbranch_execz .LBB56_225
; %bb.220:                              ;   in Loop: Header=BB56_5 Depth=1
	s_mov_b32 s31, exec_lo
                                        ; implicit-def: $vgpr19
	v_cmpx_nlt_f32_e64 |v2|, 1.0
	s_xor_b32 s31, exec_lo, s31
	s_cbranch_execz .LBB56_222
; %bb.221:                              ;   in Loop: Header=BB56_5 Depth=1
	v_mul_f32_e32 v11, v1, v30
	s_delay_alu instid0(VALU_DEP_1) | instskip(SKIP_1) | instid1(VALU_DEP_2)
	v_mul_f32_e32 v13, 0x4f800000, v11
	v_cmp_gt_f32_e32 vcc_lo, 0xf800000, v11
	v_cndmask_b32_e32 v11, v11, v13, vcc_lo
	s_delay_alu instid0(VALU_DEP_1) | instskip(SKIP_1) | instid1(TRANS32_DEP_1)
	v_sqrt_f32_e32 v13, v11
	v_nop
	v_dual_add_nc_u32 v19, -1, v13 :: v_dual_add_nc_u32 v23, 1, v13
	s_delay_alu instid0(VALU_DEP_1) | instskip(NEXT) | instid1(VALU_DEP_2)
	v_fma_f32 v33, -v19, v13, v11
	v_fma_f32 v34, -v23, v13, v11
	s_delay_alu instid0(VALU_DEP_2) | instskip(NEXT) | instid1(VALU_DEP_1)
	v_cmp_ge_f32_e64 s2, 0, v33
	v_cndmask_b32_e64 v13, v13, v19, s2
	s_delay_alu instid0(VALU_DEP_3) | instskip(NEXT) | instid1(VALU_DEP_1)
	v_cmp_lt_f32_e64 s2, 0, v34
	v_cndmask_b32_e64 v13, v13, v23, s2
	s_delay_alu instid0(VALU_DEP_1) | instskip(NEXT) | instid1(VALU_DEP_1)
	v_mul_f32_e32 v19, 0x37800000, v13
	v_cndmask_b32_e32 v13, v13, v19, vcc_lo
	v_cmp_class_f32_e64 vcc_lo, v11, 0x260
	s_delay_alu instid0(VALU_DEP_2) | instskip(NEXT) | instid1(VALU_DEP_1)
	v_cndmask_b32_e32 v11, v13, v11, vcc_lo
	v_add_f32_e32 v34, v1, v11
	s_delay_alu instid0(VALU_DEP_1) | instskip(NEXT) | instid1(VALU_DEP_1)
	v_add_f32_e32 v37, 1.0, v34
	v_cvt_f64_f32_e32 v[38:39], v37
	v_frexp_mant_f32_e32 v13, v37
	v_add_f32_e32 v35, -1.0, v37
	s_delay_alu instid0(VALU_DEP_2) | instskip(NEXT) | instid1(VALU_DEP_2)
	v_cmp_gt_f32_e32 vcc_lo, 0x3f2aaaab, v13
	v_mov_b32_e32 v36, v35
	v_frexp_exp_i32_f64_e32 v11, v[38:39]
	s_delay_alu instid0(VALU_DEP_2) | instskip(NEXT) | instid1(VALU_DEP_2)
	v_pk_add_f32 v[38:39], v[34:35], v[36:37] neg_lo:[0,1] neg_hi:[0,1]
	v_subrev_co_ci_u32_e64 v11, null, 0, v11, vcc_lo
	v_cmp_neq_f32_e32 vcc_lo, 0x7f800000, v34
	s_delay_alu instid0(VALU_DEP_2) | instskip(NEXT) | instid1(VALU_DEP_1)
	v_sub_nc_u32_e32 v13, 0, v11
	v_ldexp_f32 v19, v37, v13
	s_delay_alu instid0(VALU_DEP_1) | instskip(NEXT) | instid1(VALU_DEP_1)
	v_dual_add_f32 v33, 1.0, v19 :: v_dual_add_f32 v41, -1.0, v19
	v_dual_add_f32 v23, 1.0, v39 :: v_dual_add_f32 v35, -1.0, v33
	s_delay_alu instid0(VALU_DEP_1) | instskip(NEXT) | instid1(VALU_DEP_1)
	v_add_f32_e32 v23, v38, v23
	v_ldexp_f32 v13, v23, v13
	s_delay_alu instid0(VALU_DEP_3) | instskip(NEXT) | instid1(VALU_DEP_1)
	v_dual_sub_f32 v23, v19, v35 :: v_dual_add_f32 v35, 1.0, v41
	v_sub_f32_e32 v19, v19, v35
	s_delay_alu instid0(VALU_DEP_2) | instskip(NEXT) | instid1(VALU_DEP_1)
	v_add_f32_e32 v23, v13, v23
	v_add_f32_e32 v35, v33, v23
	s_delay_alu instid0(VALU_DEP_1) | instskip(NEXT) | instid1(VALU_DEP_1)
	v_sub_f32_e32 v33, v35, v33
	v_dual_sub_f32 v23, v23, v33 :: v_dual_add_f32 v13, v13, v19
	v_rcp_f32_e32 v19, v35
	s_delay_alu instid0(VALU_DEP_1)
	v_add_f32_e32 v37, v41, v13
	s_delay_alu instid0(TRANS32_DEP_1) | instid1(VALU_DEP_1)
	v_dual_mul_f32 v42, v37, v19 :: v_dual_sub_f32 v33, v37, v41
	s_delay_alu instid0(VALU_DEP_1) | instskip(NEXT) | instid1(VALU_DEP_1)
	v_dual_mul_f32 v38, v35, v42 :: v_dual_sub_f32 v13, v13, v33
	v_fma_f32 v40, v42, v35, -v38
	s_delay_alu instid0(VALU_DEP_1) | instskip(NEXT) | instid1(VALU_DEP_1)
	v_fmac_f32_e32 v40, v42, v23
	v_add_f32_e32 v36, v38, v40
	s_delay_alu instid0(VALU_DEP_1) | instskip(NEXT) | instid1(VALU_DEP_1)
	v_dual_sub_f32 v39, v37, v36 :: v_dual_mov_b32 v41, v36
	v_pk_add_f32 v[36:37], v[36:37], v[38:39] neg_lo:[0,1] neg_hi:[0,1]
	s_delay_alu instid0(VALU_DEP_1) | instskip(NEXT) | instid1(VALU_DEP_1)
	v_pk_add_f32 v[36:37], v[36:37], v[40:41] neg_lo:[0,1] neg_hi:[0,1]
	v_add_f32_e32 v13, v13, v37
	s_delay_alu instid0(VALU_DEP_1) | instskip(NEXT) | instid1(VALU_DEP_1)
	v_add_f32_e32 v13, v36, v13
	v_add_f32_e32 v37, v39, v13
	s_delay_alu instid0(VALU_DEP_1) | instskip(NEXT) | instid1(VALU_DEP_1)
	v_mul_f32_e32 v33, v19, v37
	v_mul_f32_e32 v40, v35, v33
	s_delay_alu instid0(VALU_DEP_1) | instskip(NEXT) | instid1(VALU_DEP_1)
	v_dual_fma_f32 v38, v33, v35, -v40 :: v_dual_add_f32 v35, v42, v33
	v_dual_fmac_f32 v38, v33, v23 :: v_dual_sub_f32 v23, v39, v37
	s_delay_alu instid0(VALU_DEP_1) | instskip(NEXT) | instid1(VALU_DEP_1)
	v_dual_add_f32 v36, v40, v38 :: v_dual_add_f32 v13, v13, v23
	v_dual_sub_f32 v23, v35, v42 :: v_dual_sub_f32 v41, v37, v36
	s_delay_alu instid0(VALU_DEP_1) | instskip(NEXT) | instid1(VALU_DEP_2)
	v_dual_mov_b32 v39, v36 :: v_dual_sub_f32 v23, v33, v23
	v_pk_add_f32 v[36:37], v[36:37], v[40:41] neg_lo:[0,1] neg_hi:[0,1]
	s_delay_alu instid0(VALU_DEP_1) | instskip(NEXT) | instid1(VALU_DEP_1)
	v_pk_add_f32 v[36:37], v[36:37], v[38:39] neg_lo:[0,1] neg_hi:[0,1]
	v_add_f32_e32 v13, v13, v37
	s_delay_alu instid0(VALU_DEP_1) | instskip(SKIP_1) | instid1(VALU_DEP_2)
	v_add_f32_e32 v13, v36, v13
	v_cvt_f32_i32_e32 v36, v11
	v_add_f32_e32 v13, v41, v13
	s_delay_alu instid0(VALU_DEP_1) | instskip(NEXT) | instid1(VALU_DEP_1)
	v_mul_f32_e32 v13, v19, v13
	v_add_f32_e32 v13, v23, v13
	s_delay_alu instid0(VALU_DEP_1) | instskip(NEXT) | instid1(VALU_DEP_1)
	v_add_f32_e32 v19, v35, v13
	v_mul_f32_e32 v23, v19, v19
	v_sub_f32_e32 v11, v19, v35
	s_delay_alu instid0(VALU_DEP_2) | instskip(SKIP_1) | instid1(VALU_DEP_2)
	v_fmaak_f32 v33, s22, v23, 0x3ecc95a3
	v_mul_f32_e32 v37, v19, v23
	v_fmaak_f32 v23, v23, v33, 0x3f2aaada
	s_delay_alu instid0(VALU_DEP_1) | instskip(NEXT) | instid1(VALU_DEP_1)
	v_pk_mul_f32 v[38:39], v[36:37], v[22:23]
	v_fma_f32 v40, 0x3f317218, v36, -v38
	v_dual_mov_b32 v42, v38 :: v_dual_sub_f32 v11, v13, v11
	v_ldexp_f32 v41, v19, 1
	s_delay_alu instid0(VALU_DEP_3) | instskip(NEXT) | instid1(VALU_DEP_3)
	v_fmac_f32_e32 v40, 0xb102e308, v36
	v_ldexp_f32 v11, v11, 1
	s_delay_alu instid0(VALU_DEP_2) | instskip(NEXT) | instid1(VALU_DEP_1)
	v_pk_add_f32 v[36:37], v[38:39], v[40:41]
	v_dual_sub_f32 v13, v37, v41 :: v_dual_mov_b32 v41, v36
	s_delay_alu instid0(VALU_DEP_1) | instskip(SKIP_1) | instid1(VALU_DEP_2)
	v_dual_mov_b32 v50, v37 :: v_dual_sub_f32 v13, v39, v13
	v_pk_add_f32 v[38:39], v[36:37], v[38:39] neg_lo:[0,1] neg_hi:[0,1]
	v_add_f32_e32 v43, v11, v13
	s_delay_alu instid0(VALU_DEP_1) | instskip(NEXT) | instid1(VALU_DEP_1)
	v_pk_add_f32 v[44:45], v[36:37], v[42:43]
	v_mov_b32_e32 v39, v45
	s_delay_alu instid0(VALU_DEP_1) | instskip(SKIP_1) | instid1(VALU_DEP_2)
	v_pk_add_f32 v[46:47], v[40:41], v[38:39]
	v_pk_add_f32 v[38:39], v[40:41], v[38:39] neg_lo:[0,1] neg_hi:[0,1]
	v_dual_mov_b32 v42, v47 :: v_dual_mov_b32 v39, v47
	s_delay_alu instid0(VALU_DEP_1) | instskip(SKIP_1) | instid1(VALU_DEP_2)
	v_pk_add_f32 v[48:49], v[42:43], v[36:37] neg_lo:[0,1] neg_hi:[0,1]
	v_dual_mov_b32 v46, v45 :: v_dual_mov_b32 v37, v36
	v_dual_mov_b32 v36, v43 :: v_dual_mov_b32 v51, v48
	v_mov_b32_e32 v11, v48
	s_delay_alu instid0(VALU_DEP_2) | instskip(NEXT) | instid1(VALU_DEP_2)
	v_pk_add_f32 v[48:49], v[46:47], v[50:51] neg_lo:[0,1] neg_hi:[0,1]
	v_pk_add_f32 v[40:41], v[44:45], v[10:11] neg_lo:[0,1] neg_hi:[0,1]
	v_mov_b32_e32 v40, v38
	s_delay_alu instid0(VALU_DEP_3) | instskip(NEXT) | instid1(VALU_DEP_1)
	v_pk_add_f32 v[36:37], v[36:37], v[48:49] neg_lo:[0,1] neg_hi:[0,1]
	v_pk_add_f32 v[40:41], v[40:41], v[36:37]
	s_delay_alu instid0(VALU_DEP_1) | instskip(NEXT) | instid1(VALU_DEP_1)
	v_mov_b32_e32 v44, v41
	v_pk_add_f32 v[44:45], v[40:41], v[44:45]
	s_delay_alu instid0(VALU_DEP_1) | instskip(NEXT) | instid1(VALU_DEP_1)
	v_pk_add_f32 v[42:43], v[42:43], v[44:45]
	v_dual_mov_b32 v37, v44 :: v_dual_mov_b32 v41, v42
	s_delay_alu instid0(VALU_DEP_1) | instskip(NEXT) | instid1(VALU_DEP_1)
	v_pk_add_f32 v[46:47], v[40:41], v[38:39] neg_lo:[0,1] neg_hi:[0,1]
	v_sub_f32_e32 v11, v40, v46
	s_delay_alu instid0(VALU_DEP_2) | instskip(NEXT) | instid1(VALU_DEP_2)
	v_pk_add_f32 v[36:37], v[36:37], v[46:47] neg_lo:[0,1] neg_hi:[0,1]
	v_sub_f32_e32 v11, v38, v11
	s_delay_alu instid0(VALU_DEP_1) | instskip(NEXT) | instid1(VALU_DEP_1)
	v_add_f32_e32 v11, v36, v11
	v_add_f32_e32 v11, v11, v37
	s_delay_alu instid0(VALU_DEP_1) | instskip(NEXT) | instid1(VALU_DEP_1)
	v_add_f32_e32 v11, v42, v11
	v_cndmask_b32_e32 v11, 0x7f800000, v11, vcc_lo
	v_cmp_ngt_f32_e32 vcc_lo, -1.0, v34
	s_delay_alu instid0(VALU_DEP_2) | instskip(SKIP_1) | instid1(VALU_DEP_2)
	v_cndmask_b32_e32 v11, 0x7fc00000, v11, vcc_lo
	v_cmp_neq_f32_e32 vcc_lo, -1.0, v34
	v_cndmask_b32_e32 v11, 0xff800000, v11, vcc_lo
	v_cmp_gt_f32_e64 vcc_lo, 0x33800000, |v34|
	s_delay_alu instid0(VALU_DEP_2)
	v_cndmask_b32_e32 v19, v11, v34, vcc_lo
.LBB56_222:                             ;   in Loop: Header=BB56_5 Depth=1
	s_and_not1_saveexec_b32 s31, s31
	s_cbranch_execz .LBB56_224
; %bb.223:                              ;   in Loop: Header=BB56_5 Depth=1
	v_sub_f32_e64 v11, 1.0, |v2|
	s_delay_alu instid0(VALU_DEP_1) | instskip(NEXT) | instid1(VALU_DEP_1)
	v_mul_f32_e32 v11, v11, v30
	v_mul_f32_e32 v13, 0x4f800000, v11
	v_cmp_gt_f32_e32 vcc_lo, 0xf800000, v11
	s_delay_alu instid0(VALU_DEP_2) | instskip(NEXT) | instid1(VALU_DEP_1)
	v_cndmask_b32_e32 v11, v11, v13, vcc_lo
	v_sqrt_f32_e32 v13, v11
	v_nop
	s_delay_alu instid0(TRANS32_DEP_1) | instskip(NEXT) | instid1(VALU_DEP_1)
	v_dual_add_nc_u32 v19, -1, v13 :: v_dual_add_nc_u32 v23, 1, v13
	v_fma_f32 v33, -v19, v13, v11
	s_delay_alu instid0(VALU_DEP_2) | instskip(NEXT) | instid1(VALU_DEP_2)
	v_fma_f32 v34, -v23, v13, v11
	v_cmp_ge_f32_e64 s2, 0, v33
	s_delay_alu instid0(VALU_DEP_1) | instskip(NEXT) | instid1(VALU_DEP_3)
	v_cndmask_b32_e64 v13, v13, v19, s2
	v_cmp_lt_f32_e64 s2, 0, v34
	s_delay_alu instid0(VALU_DEP_1) | instskip(NEXT) | instid1(VALU_DEP_1)
	v_cndmask_b32_e64 v13, v13, v23, s2
	v_mul_f32_e32 v19, 0x37800000, v13
	s_delay_alu instid0(VALU_DEP_1) | instskip(SKIP_2) | instid1(VALU_DEP_3)
	v_cndmask_b32_e32 v13, v13, v19, vcc_lo
	v_cmp_class_f32_e64 vcc_lo, v11, 0x260
	v_and_b32_e32 v19, 0x7fffffff, v3
	v_cndmask_b32_e32 v11, v13, v11, vcc_lo
	s_delay_alu instid0(VALU_DEP_1) | instskip(SKIP_1) | instid1(VALU_DEP_2)
	v_div_scale_f32 v13, null, v11, v11, v19
	v_div_scale_f32 v19, vcc_lo, v19, v11, v19
	v_rcp_f32_e32 v23, v13
	v_nop
	s_delay_alu instid0(TRANS32_DEP_1) | instskip(NEXT) | instid1(VALU_DEP_1)
	v_fma_f32 v33, -v13, v23, 1.0
	v_fmac_f32_e32 v23, v33, v23
	s_delay_alu instid0(VALU_DEP_1) | instskip(NEXT) | instid1(VALU_DEP_1)
	v_mul_f32_e32 v33, v19, v23
	v_fma_f32 v34, -v13, v33, v19
	s_delay_alu instid0(VALU_DEP_1) | instskip(NEXT) | instid1(VALU_DEP_1)
	v_fmac_f32_e32 v33, v34, v23
	v_fma_f32 v13, -v13, v33, v19
	s_delay_alu instid0(VALU_DEP_1) | instskip(NEXT) | instid1(VALU_DEP_1)
	v_div_fmas_f32 v13, v13, v23, v33
	v_div_fixup_f32 v19, v13, v11, |v3|
.LBB56_224:                             ;   in Loop: Header=BB56_5 Depth=1
	s_or_b32 exec_lo, exec_lo, s31
.LBB56_225:                             ;   in Loop: Header=BB56_5 Depth=1
	s_delay_alu instid0(SALU_CYCLE_1)
	s_or_b32 exec_lo, exec_lo, s30
.LBB56_226:                             ;   in Loop: Header=BB56_5 Depth=1
	s_and_not1_saveexec_b32 s29, s29
	s_cbranch_execz .LBB56_228
; %bb.227:                              ;   in Loop: Header=BB56_5 Depth=1
	v_mul_f32_e64 v11, 0x4f800000, |v3|
	v_cmp_gt_f32_e64 vcc_lo, 0xf800000, |v3|
	s_delay_alu instid0(VALU_DEP_1) | instskip(NEXT) | instid1(VALU_DEP_1)
	v_cndmask_b32_e64 v11, |v3|, v11, vcc_lo
	v_sqrt_f32_e32 v13, v11
	v_nop
	s_delay_alu instid0(TRANS32_DEP_1) | instskip(NEXT) | instid1(VALU_DEP_1)
	v_dual_add_nc_u32 v19, -1, v13 :: v_dual_add_nc_u32 v23, 1, v13
	v_fma_f32 v33, -v19, v13, v11
	s_delay_alu instid0(VALU_DEP_2) | instskip(NEXT) | instid1(VALU_DEP_2)
	v_fma_f32 v34, -v23, v13, v11
	v_cmp_ge_f32_e64 s2, 0, v33
	s_delay_alu instid0(VALU_DEP_1) | instskip(NEXT) | instid1(VALU_DEP_3)
	v_cndmask_b32_e64 v13, v13, v19, s2
	v_cmp_lt_f32_e64 s2, 0, v34
	s_delay_alu instid0(VALU_DEP_1) | instskip(NEXT) | instid1(VALU_DEP_1)
	v_cndmask_b32_e64 v13, v13, v23, s2
	v_mul_f32_e32 v19, 0x37800000, v13
	s_delay_alu instid0(VALU_DEP_1) | instskip(SKIP_1) | instid1(VALU_DEP_2)
	v_cndmask_b32_e32 v13, v13, v19, vcc_lo
	v_cmp_class_f32_e64 vcc_lo, v11, 0x260
	v_cndmask_b32_e32 v19, v13, v11, vcc_lo
.LBB56_228:                             ;   in Loop: Header=BB56_5 Depth=1
	s_or_b32 exec_lo, exec_lo, s29
.LBB56_229:                             ;   in Loop: Header=BB56_5 Depth=1
	s_delay_alu instid0(SALU_CYCLE_1) | instskip(NEXT) | instid1(SALU_CYCLE_1)
	s_or_b32 exec_lo, exec_lo, s3
	s_mov_b32 s29, exec_lo
                                        ; implicit-def: $sgpr2
                                        ; implicit-def: $vgpr13
                                        ; implicit-def: $vgpr23
	v_cmpx_ngt_f32_e64 0x21000000, |v2|
	s_xor_b32 s29, exec_lo, s29
	s_cbranch_execz .LBB56_253
; %bb.230:                              ;   in Loop: Header=BB56_5 Depth=1
	v_and_b32_e32 v13, 0x7fffffff, v2
	s_mov_b32 s2, 0
	s_mov_b32 s30, exec_lo
	s_delay_alu instid0(VALU_DEP_1) | instskip(NEXT) | instid1(VALU_DEP_1)
	v_div_scale_f32 v11, null, v10, v10, v13
	v_rcp_f32_e32 v23, v11
	v_nop
	s_delay_alu instid0(TRANS32_DEP_1) | instskip(NEXT) | instid1(VALU_DEP_1)
	v_fma_f32 v33, -v11, v23, 1.0
	v_fmac_f32_e32 v23, v33, v23
	v_div_scale_f32 v33, vcc_lo, v13, v10, v13
	s_delay_alu instid0(VALU_DEP_1) | instskip(NEXT) | instid1(VALU_DEP_1)
	v_mul_f32_e32 v34, v33, v23
	v_fma_f32 v35, -v11, v34, v33
	s_delay_alu instid0(VALU_DEP_1) | instskip(NEXT) | instid1(VALU_DEP_1)
	v_fmac_f32_e32 v34, v35, v23
	v_fma_f32 v11, -v11, v34, v33
	s_delay_alu instid0(VALU_DEP_1) | instskip(NEXT) | instid1(VALU_DEP_1)
	v_div_fmas_f32 v11, v11, v23, v34
	v_div_fixup_f32 v23, v11, v10, |v2|
	s_delay_alu instid0(VALU_DEP_1)
	v_cmpx_lt_f32_e32 0x3f244674, v23
	s_cbranch_execz .LBB56_252
; %bb.231:                              ;   in Loop: Header=BB56_5 Depth=1
	v_cmp_neq_f32_e64 s2, |v2|, 1.0
	v_cmp_ngt_f32_e64 s3, 0x30800000, |v3|
	s_or_b32 s2, s2, s3
	s_delay_alu instid0(SALU_CYCLE_1) | instskip(NEXT) | instid1(SALU_CYCLE_1)
	s_and_saveexec_b32 s3, s2
	s_xor_b32 s3, exec_lo, s3
	s_cbranch_execz .LBB56_249
; %bb.232:                              ;   in Loop: Header=BB56_5 Depth=1
	v_mul_f32_e64 v11, 0x34000000, |v1|
	s_mov_b32 s31, exec_lo
	s_delay_alu instid0(VALU_DEP_1)
	v_cmpx_ge_f32_e64 |v3|, v11
	s_xor_b32 s31, exec_lo, s31
	s_cbranch_execz .LBB56_242
; %bb.233:                              ;   in Loop: Header=BB56_5 Depth=1
	v_mov_b32_e32 v11, v31
	s_mov_b32 s2, exec_lo
	v_cmpx_neq_f32_e32 0, v30
	s_cbranch_execz .LBB56_235
; %bb.234:                              ;   in Loop: Header=BB56_5 Depth=1
	v_dual_mul_f32 v11, v3, v3 :: v_dual_add_f32 v30, v30, v32
	s_delay_alu instid0(VALU_DEP_1) | instskip(NEXT) | instid1(VALU_DEP_1)
	v_div_scale_f32 v32, null, v30, v30, v11
	v_rcp_f32_e32 v33, v32
	v_nop
	s_delay_alu instid0(TRANS32_DEP_1) | instskip(NEXT) | instid1(VALU_DEP_1)
	v_fma_f32 v34, -v32, v33, 1.0
	v_fmac_f32_e32 v33, v34, v33
	v_div_scale_f32 v34, vcc_lo, v11, v30, v11
	s_delay_alu instid0(VALU_DEP_1) | instskip(NEXT) | instid1(VALU_DEP_1)
	v_mul_f32_e32 v35, v34, v33
	v_fma_f32 v36, -v32, v35, v34
	s_delay_alu instid0(VALU_DEP_1) | instskip(NEXT) | instid1(VALU_DEP_1)
	v_fmac_f32_e32 v35, v36, v33
	v_fma_f32 v32, -v32, v35, v34
	s_delay_alu instid0(VALU_DEP_1) | instskip(NEXT) | instid1(VALU_DEP_1)
	v_div_fmas_f32 v32, v32, v33, v35
	v_div_fixup_f32 v11, v32, v30, v11
.LBB56_235:                             ;   in Loop: Header=BB56_5 Depth=1
	s_or_b32 exec_lo, exec_lo, s2
	s_delay_alu instid0(SALU_CYCLE_1)
	s_mov_b32 s2, exec_lo
	v_cmpx_ngt_f32_e32 0, v1
	s_xor_b32 s2, exec_lo, s2
	s_cbranch_execz .LBB56_239
; %bb.236:                              ;   in Loop: Header=BB56_5 Depth=1
	s_mov_b32 s33, exec_lo
	v_cmpx_neq_f32_e32 0, v1
	s_cbranch_execz .LBB56_238
; %bb.237:                              ;   in Loop: Header=BB56_5 Depth=1
	v_dual_mul_f32 v30, v3, v3 :: v_dual_add_f32 v1, v1, v12
	s_delay_alu instid0(VALU_DEP_1) | instskip(NEXT) | instid1(VALU_DEP_1)
	v_div_scale_f32 v12, null, v1, v1, v30
	v_rcp_f32_e32 v31, v12
	v_nop
	s_delay_alu instid0(TRANS32_DEP_1) | instskip(NEXT) | instid1(VALU_DEP_1)
	v_fma_f32 v32, -v12, v31, 1.0
	v_fmac_f32_e32 v31, v32, v31
	v_div_scale_f32 v32, vcc_lo, v30, v1, v30
	s_delay_alu instid0(VALU_DEP_1) | instskip(NEXT) | instid1(VALU_DEP_1)
	v_mul_f32_e32 v33, v32, v31
	v_fma_f32 v34, -v12, v33, v32
	s_delay_alu instid0(VALU_DEP_1) | instskip(NEXT) | instid1(VALU_DEP_1)
	v_fmac_f32_e32 v33, v34, v31
	v_fma_f32 v12, -v12, v33, v32
	s_delay_alu instid0(VALU_DEP_1) | instskip(NEXT) | instid1(VALU_DEP_1)
	v_div_fmas_f32 v12, v12, v31, v33
	v_div_fixup_f32 v31, v12, v1, v30
.LBB56_238:                             ;   in Loop: Header=BB56_5 Depth=1
	s_or_b32 exec_lo, exec_lo, s33
                                        ; implicit-def: $vgpr12
                                        ; implicit-def: $vgpr1
.LBB56_239:                             ;   in Loop: Header=BB56_5 Depth=1
	s_and_not1_saveexec_b32 s2, s2
; %bb.240:                              ;   in Loop: Header=BB56_5 Depth=1
	v_sub_f32_e32 v31, v12, v1
; %bb.241:                              ;   in Loop: Header=BB56_5 Depth=1
	s_or_b32 exec_lo, exec_lo, s2
	v_mul_f32_e32 v33, 0.5, v11
	s_delay_alu instid0(VALU_DEP_2) | instskip(SKIP_1) | instid1(VALU_DEP_1)
	v_mul_f32_e32 v11, 0.5, v31
	v_and_b32_e32 v32, 0x7fffffff, v2
	v_pk_add_f32 v[10:11], v[32:33], v[10:11]
	s_delay_alu instid0(VALU_DEP_1) | instskip(NEXT) | instid1(VALU_DEP_1)
	v_mul_f32_e32 v1, v10, v11
	v_mul_f32_e32 v10, 0x4f800000, v1
	v_cmp_gt_f32_e32 vcc_lo, 0xf800000, v1
	s_delay_alu instid0(VALU_DEP_2) | instskip(NEXT) | instid1(VALU_DEP_1)
	v_cndmask_b32_e32 v1, v1, v10, vcc_lo
	v_sqrt_f32_e32 v10, v1
	v_nop
	s_delay_alu instid0(TRANS32_DEP_1) | instskip(NEXT) | instid1(VALU_DEP_1)
	v_dual_add_nc_u32 v11, -1, v10 :: v_dual_add_nc_u32 v12, 1, v10
	v_fma_f32 v30, -v11, v10, v1
	s_delay_alu instid0(VALU_DEP_1) | instskip(NEXT) | instid1(VALU_DEP_3)
	v_cmp_ge_f32_e64 s2, 0, v30
	v_fma_f32 v31, -v12, v10, v1
                                        ; implicit-def: $vgpr30
	s_delay_alu instid0(VALU_DEP_2) | instskip(NEXT) | instid1(VALU_DEP_2)
	v_cndmask_b32_e64 v10, v10, v11, s2
	v_cmp_lt_f32_e64 s2, 0, v31
	s_delay_alu instid0(VALU_DEP_1) | instskip(NEXT) | instid1(VALU_DEP_1)
	v_cndmask_b32_e64 v10, v10, v12, s2
	v_mul_f32_e32 v11, 0x37800000, v10
	s_delay_alu instid0(VALU_DEP_1) | instskip(SKIP_1) | instid1(VALU_DEP_2)
	v_cndmask_b32_e32 v10, v10, v11, vcc_lo
	v_cmp_class_f32_e64 vcc_lo, v1, 0x260
	v_cndmask_b32_e32 v12, v10, v1, vcc_lo
                                        ; implicit-def: $vgpr1
.LBB56_242:                             ;   in Loop: Header=BB56_5 Depth=1
	s_and_not1_saveexec_b32 s31, s31
	s_cbranch_execz .LBB56_248
; %bb.243:                              ;   in Loop: Header=BB56_5 Depth=1
	s_mov_b32 s33, exec_lo
	v_cmpx_ngt_f32_e64 |v2|, 1.0
	s_xor_b32 s33, exec_lo, s33
	s_cbranch_execz .LBB56_245
; %bb.244:                              ;   in Loop: Header=BB56_5 Depth=1
	v_sub_f32_e64 v1, 1.0, |v2|
	s_delay_alu instid0(VALU_DEP_1) | instskip(NEXT) | instid1(VALU_DEP_1)
	v_mul_f32_e32 v1, v1, v30
	v_mul_f32_e32 v10, 0x4f800000, v1
	v_cmp_gt_f32_e32 vcc_lo, 0xf800000, v1
	s_delay_alu instid0(VALU_DEP_2) | instskip(NEXT) | instid1(VALU_DEP_1)
	v_cndmask_b32_e32 v1, v1, v10, vcc_lo
	v_sqrt_f32_e32 v10, v1
	v_nop
	s_delay_alu instid0(TRANS32_DEP_1) | instskip(NEXT) | instid1(VALU_DEP_1)
	v_dual_add_nc_u32 v11, -1, v10 :: v_dual_add_nc_u32 v12, 1, v10
	v_dual_fma_f32 v30, -v11, v10, v1 :: v_dual_fma_f32 v31, -v12, v10, v1
	s_delay_alu instid0(VALU_DEP_1) | instskip(NEXT) | instid1(VALU_DEP_1)
	v_cmp_ge_f32_e64 s2, 0, v30
                                        ; implicit-def: $vgpr30
	v_cndmask_b32_e64 v10, v10, v11, s2
	s_delay_alu instid0(VALU_DEP_3) | instskip(NEXT) | instid1(VALU_DEP_1)
	v_cmp_lt_f32_e64 s2, 0, v31
	v_cndmask_b32_e64 v10, v10, v12, s2
	s_delay_alu instid0(VALU_DEP_1) | instskip(NEXT) | instid1(VALU_DEP_1)
	v_mul_f32_e32 v11, 0x37800000, v10
	v_cndmask_b32_e32 v10, v10, v11, vcc_lo
	v_cmp_class_f32_e64 vcc_lo, v1, 0x260
	s_delay_alu instid0(VALU_DEP_2)
	v_cndmask_b32_e32 v12, v10, v1, vcc_lo
                                        ; implicit-def: $vgpr1
.LBB56_245:                             ;   in Loop: Header=BB56_5 Depth=1
	s_and_not1_saveexec_b32 s33, s33
	s_cbranch_execz .LBB56_247
; %bb.246:                              ;   in Loop: Header=BB56_5 Depth=1
	v_mul_f32_e32 v1, v30, v1
	s_delay_alu instid0(VALU_DEP_1) | instskip(SKIP_1) | instid1(VALU_DEP_2)
	v_mul_f32_e32 v10, 0x4f800000, v1
	v_cmp_gt_f32_e32 vcc_lo, 0xf800000, v1
	v_cndmask_b32_e32 v1, v1, v10, vcc_lo
	s_delay_alu instid0(VALU_DEP_1) | instskip(SKIP_1) | instid1(TRANS32_DEP_1)
	v_sqrt_f32_e32 v10, v1
	v_nop
	v_dual_add_nc_u32 v11, -1, v10 :: v_dual_add_nc_u32 v12, 1, v10
	s_delay_alu instid0(VALU_DEP_1) | instskip(NEXT) | instid1(VALU_DEP_1)
	v_dual_fma_f32 v13, -v11, v10, v1 :: v_dual_fma_f32 v30, -v12, v10, v1
	v_cmp_ge_f32_e64 s2, 0, v13
	s_delay_alu instid0(VALU_DEP_1) | instskip(NEXT) | instid1(VALU_DEP_3)
	v_cndmask_b32_e64 v10, v10, v11, s2
	v_cmp_lt_f32_e64 s2, 0, v30
	s_delay_alu instid0(VALU_DEP_1) | instskip(SKIP_1) | instid1(VALU_DEP_2)
	v_cndmask_b32_e64 v10, v10, v12, s2
	v_mul_f32_e64 v12, 0x57800000, |v3|
	v_mul_f32_e32 v11, 0x37800000, v10
	s_delay_alu instid0(VALU_DEP_1) | instskip(SKIP_1) | instid1(VALU_DEP_4)
	v_cndmask_b32_e32 v10, v10, v11, vcc_lo
	v_cmp_class_f32_e64 vcc_lo, v1, 0x260
	v_mul_f32_e64 v11, |v2|, v12
	s_delay_alu instid0(VALU_DEP_3) | instskip(NEXT) | instid1(VALU_DEP_1)
	v_cndmask_b32_e32 v1, v10, v1, vcc_lo
	v_div_scale_f32 v10, null, v1, v1, v11
	v_div_scale_f32 v30, vcc_lo, v11, v1, v11
	s_delay_alu instid0(VALU_DEP_2) | instskip(SKIP_1) | instid1(TRANS32_DEP_1)
	v_rcp_f32_e32 v12, v10
	v_nop
	v_fma_f32 v13, -v10, v12, 1.0
	s_delay_alu instid0(VALU_DEP_1) | instskip(NEXT) | instid1(VALU_DEP_1)
	v_fmac_f32_e32 v12, v13, v12
	v_mul_f32_e32 v13, v30, v12
	s_delay_alu instid0(VALU_DEP_1) | instskip(NEXT) | instid1(VALU_DEP_1)
	v_fma_f32 v31, -v10, v13, v30
	v_fmac_f32_e32 v13, v31, v12
	s_delay_alu instid0(VALU_DEP_1) | instskip(NEXT) | instid1(VALU_DEP_1)
	v_fma_f32 v10, -v10, v13, v30
	v_div_fmas_f32 v10, v10, v12, v13
	v_mul_f32_e64 v13, 0x57800000, |v2|
	s_delay_alu instid0(VALU_DEP_2)
	v_div_fixup_f32 v12, v10, v1, v11
.LBB56_247:                             ;   in Loop: Header=BB56_5 Depth=1
	s_or_b32 exec_lo, exec_lo, s33
.LBB56_248:                             ;   in Loop: Header=BB56_5 Depth=1
	s_delay_alu instid0(SALU_CYCLE_1)
	s_or_b32 exec_lo, exec_lo, s31
                                        ; implicit-def: $vgpr10
.LBB56_249:                             ;   in Loop: Header=BB56_5 Depth=1
	s_and_not1_saveexec_b32 s31, s3
	s_cbranch_execz .LBB56_251
; %bb.250:                              ;   in Loop: Header=BB56_5 Depth=1
	v_add_f32_e32 v1, 1.0, v10
	v_mul_f32_e64 v10, 0x4f800000, |v3|
	v_cmp_gt_f32_e64 vcc_lo, 0xf800000, |v3|
	s_delay_alu instid0(VALU_DEP_3) | instskip(NEXT) | instid1(VALU_DEP_2)
	v_mul_f32_e32 v1, 0.5, v1
	v_cndmask_b32_e64 v10, |v3|, v10, vcc_lo
	s_delay_alu instid0(VALU_DEP_2) | instskip(SKIP_1) | instid1(VALU_DEP_1)
	v_mul_f32_e32 v11, 0x4f800000, v1
	v_cmp_gt_f32_e64 s2, 0xf800000, v1
	v_cndmask_b32_e64 v1, v1, v11, s2
	s_delay_alu instid0(VALU_DEP_4) | instskip(SKIP_1) | instid1(TRANS32_DEP_1)
	v_sqrt_f32_e32 v11, v10
	v_nop
	v_add_nc_u32_e32 v31, 1, v11
	s_delay_alu instid0(VALU_DEP_3) | instskip(NEXT) | instid1(VALU_DEP_1)
	v_sqrt_f32_e32 v12, v1
	v_dual_add_nc_u32 v13, -1, v11 :: v_dual_fma_f32 v35, -v31, v11, v10
	s_delay_alu instid0(TRANS32_DEP_1) | instid1(VALU_DEP_1)
	v_dual_fma_f32 v32, -v13, v11, v10 :: v_dual_add_nc_u32 v33, 1, v12
	v_add_nc_u32_e32 v30, -1, v12
	s_delay_alu instid0(VALU_DEP_2) | instskip(NEXT) | instid1(VALU_DEP_1)
	v_cmp_ge_f32_e64 s3, 0, v32
	v_dual_fma_f32 v34, -v30, v12, v1 :: v_dual_cndmask_b32 v11, v11, v13, s3
	s_delay_alu instid0(VALU_DEP_4) | instskip(NEXT) | instid1(VALU_DEP_2)
	v_fma_f32 v13, -v33, v12, v1
	v_cmp_ge_f32_e64 s3, 0, v34
	s_delay_alu instid0(VALU_DEP_1) | instskip(SKIP_1) | instid1(VALU_DEP_1)
	v_cndmask_b32_e64 v12, v12, v30, s3
	v_cmp_lt_f32_e64 s3, 0, v35
	v_cndmask_b32_e64 v11, v11, v31, s3
	v_cmp_lt_f32_e64 s3, 0, v13
	s_delay_alu instid0(VALU_DEP_2) | instskip(NEXT) | instid1(VALU_DEP_1)
	v_mul_f32_e32 v13, 0x37800000, v11
	v_cndmask_b32_e32 v11, v11, v13, vcc_lo
	v_cmp_class_f32_e64 vcc_lo, v10, 0x260
	s_delay_alu instid0(VALU_DEP_4) | instskip(NEXT) | instid1(VALU_DEP_3)
	v_dual_cndmask_b32 v12, v12, v33, s3 :: v_dual_mov_b32 v13, 1.0
	v_cndmask_b32_e32 v10, v11, v10, vcc_lo
	s_delay_alu instid0(VALU_DEP_2) | instskip(SKIP_1) | instid1(VALU_DEP_2)
	v_mul_f32_e32 v30, 0x37800000, v12
	v_cmp_class_f32_e64 vcc_lo, v1, 0x260
	v_cndmask_b32_e64 v12, v12, v30, s2
	s_delay_alu instid0(VALU_DEP_1) | instskip(NEXT) | instid1(VALU_DEP_1)
	v_cndmask_b32_e32 v1, v12, v1, vcc_lo
	v_mul_f32_e32 v12, v10, v1
.LBB56_251:                             ;   in Loop: Header=BB56_5 Depth=1
	s_or_b32 exec_lo, exec_lo, s31
	s_delay_alu instid0(SALU_CYCLE_1)
	s_mov_b32 s2, exec_lo
.LBB56_252:                             ;   in Loop: Header=BB56_5 Depth=1
	s_or_b32 exec_lo, exec_lo, s30
                                        ; implicit-def: $vgpr10
.LBB56_253:                             ;   in Loop: Header=BB56_5 Depth=1
	s_and_not1_saveexec_b32 s3, s29
; %bb.254:                              ;   in Loop: Header=BB56_5 Depth=1
	v_and_b32_e32 v11, 0x7fffffff, v2
	s_or_b32 s2, s2, exec_lo
                                        ; implicit-def: $vgpr23
	s_delay_alu instid0(VALU_DEP_1)
	v_pk_mul_f32 v[12:13], v[10:11], s[20:21] op_sel_hi:[1,0]
; %bb.255:                              ;   in Loop: Header=BB56_5 Depth=1
	s_or_b32 exec_lo, exec_lo, s3
	s_xor_b32 s2, s2, -1
                                        ; implicit-def: $vgpr1
	s_delay_alu instid0(SALU_CYCLE_1) | instskip(NEXT) | instid1(SALU_CYCLE_1)
	s_and_saveexec_b32 s3, s2
	s_xor_b32 s2, exec_lo, s3
	s_cbranch_execz .LBB56_257
; %bb.256:                              ;   in Loop: Header=BB56_5 Depth=1
	v_fma_f32 v1, |v23|, -0.5, 0.5
	v_mul_f32_e32 v10, v23, v23
	v_cmp_ge_f32_e64 vcc_lo, |v23|, 0.5
                                        ; implicit-def: $vgpr13
	s_delay_alu instid0(VALU_DEP_2) | instskip(SKIP_1) | instid1(VALU_DEP_2)
	v_cndmask_b32_e32 v1, v10, v1, vcc_lo
	v_cmp_lt_f32_e64 vcc_lo, |v23|, 0.5
	v_sqrt_f32_e32 v11, v1
	v_fmaak_f32 v10, s23, v1, 0x3c5fc5da
	s_delay_alu instid0(VALU_DEP_1) | instskip(NEXT) | instid1(VALU_DEP_1)
	v_fmaak_f32 v10, v1, v10, 0x3d034c3c
	v_fmaak_f32 v10, v1, v10, 0x3d3641b1
	s_delay_alu instid0(VALU_DEP_1) | instskip(NEXT) | instid1(VALU_DEP_1)
	v_fmaak_f32 v10, v1, v10, 0x3d999bc8
	v_fmaak_f32 v10, v1, v10, 0x3e2aaaac
	s_delay_alu instid0(VALU_DEP_1) | instskip(NEXT) | instid1(VALU_DEP_1)
	v_mul_f32_e32 v1, v1, v10
	v_fmac_f32_e32 v11, v11, v1
	s_delay_alu instid0(VALU_DEP_1) | instskip(NEXT) | instid1(VALU_DEP_1)
	v_add_f32_e32 v10, v11, v11
	v_sub_f32_e32 v10, 0x3fc90fdb, v10
	v_fma_f32 v1, |v23|, v1, |v23|
	s_delay_alu instid0(VALU_DEP_1) | instskip(NEXT) | instid1(VALU_DEP_1)
	v_cndmask_b32_e32 v1, v10, v1, vcc_lo
	v_bfi_b32 v1, 0x7fffffff, v1, v23
.LBB56_257:                             ;   in Loop: Header=BB56_5 Depth=1
	s_and_not1_saveexec_b32 s3, s2
	s_cbranch_execz .LBB56_259
; %bb.258:                              ;   in Loop: Header=BB56_5 Depth=1
	v_max_num_f32_e32 v1, v13, v13
	v_max_num_f32_e64 v10, |v12|, |v12|
	v_cmp_gt_f32_e64 vcc_lo, v13, |v12|
	v_cmp_gt_i32_e64 s2, 0, v12
	v_cmp_class_f32_e64 s29, v12, 0x204
	s_delay_alu instid0(VALU_DEP_4) | instskip(NEXT) | instid1(VALU_DEP_1)
	v_dual_max_num_f32 v11, v10, v1 :: v_dual_min_num_f32 v1, v10, v1
	v_frexp_mant_f32_e32 v23, v11
	v_frexp_exp_i32_f32_e32 v10, v11
	s_delay_alu instid0(VALU_DEP_2)
	v_rcp_f32_e32 v11, v23
	v_nop
	v_frexp_exp_i32_f32_e32 v23, v1
	v_frexp_mant_f32_e32 v1, v1
	s_delay_alu instid0(TRANS32_DEP_1) | instid1(VALU_DEP_1)
	v_dual_mul_f32 v1, v1, v11 :: v_dual_sub_nc_u32 v10, v23, v10
	s_delay_alu instid0(VALU_DEP_1) | instskip(NEXT) | instid1(VALU_DEP_1)
	v_ldexp_f32 v1, v1, v10
	v_mul_f32_e32 v10, v1, v1
	s_delay_alu instid0(VALU_DEP_1) | instskip(NEXT) | instid1(VALU_DEP_1)
	v_fmaak_f32 v11, s24, v10, 0xbc7a590c
	v_fmaak_f32 v11, v10, v11, 0x3d29fb3f
	s_delay_alu instid0(VALU_DEP_1) | instskip(NEXT) | instid1(VALU_DEP_1)
	v_fmaak_f32 v11, v10, v11, 0xbd97d4d7
	v_fmaak_f32 v11, v10, v11, 0x3dd931b2
	;; [unrolled: 3-line block ×3, first 2 shown]
	s_delay_alu instid0(VALU_DEP_1) | instskip(NEXT) | instid1(VALU_DEP_1)
	v_fmaak_f32 v11, v10, v11, 0xbeaaaa62
	v_mul_f32_e32 v10, v10, v11
	s_delay_alu instid0(VALU_DEP_1) | instskip(NEXT) | instid1(VALU_DEP_1)
	v_fmac_f32_e32 v1, v1, v10
	v_sub_f32_e32 v10, 0x3fc90fdb, v1
	s_delay_alu instid0(VALU_DEP_1) | instskip(SKIP_1) | instid1(VALU_DEP_2)
	v_cndmask_b32_e32 v1, v1, v10, vcc_lo
	v_cmp_gt_f32_e32 vcc_lo, 0, v12
	v_sub_f32_e32 v10, 0x40490fdb, v1
	v_cndmask_b32_e32 v11, 0x3f490fdb, v29, vcc_lo
	s_delay_alu instid0(VALU_DEP_2) | instskip(SKIP_3) | instid1(VALU_DEP_2)
	v_cndmask_b32_e32 v1, v1, v10, vcc_lo
	v_cndmask_b32_e64 v10, 0, 0x40490fdb, s2
	v_cmp_eq_f32_e64 s2, 0, v13
	v_cmp_eq_f32_e32 vcc_lo, 0x7f800000, v13
	v_cndmask_b32_e64 v1, |v1|, v10, s2
	s_and_b32 vcc_lo, vcc_lo, s29
	s_delay_alu instid0(VALU_DEP_1) | instskip(SKIP_1) | instid1(VALU_DEP_2)
	v_cndmask_b32_e32 v1, v1, v11, vcc_lo
	v_cmp_o_f32_e32 vcc_lo, v12, v12
	v_cndmask_b32_e32 v1, 0x7fc00000, v1, vcc_lo
.LBB56_259:                             ;   in Loop: Header=BB56_5 Depth=1
	s_or_b32 exec_lo, exec_lo, s3
	s_delay_alu instid0(VALU_DEP_1)
	v_bfi_b32 v10, 0x7fffffff, v1, v2
	v_bfi_b32 v11, 0x7fffffff, v19, v3
.LBB56_260:                             ;   in Loop: Header=BB56_5 Depth=1
	s_or_b32 exec_lo, exec_lo, s28
.LBB56_261:                             ;   in Loop: Header=BB56_5 Depth=1
	s_delay_alu instid0(SALU_CYCLE_1)
	s_or_b32 exec_lo, exec_lo, s27
                                        ; implicit-def: $vgpr1
                                        ; implicit-def: $vgpr12
                                        ; implicit-def: $vgpr13
.LBB56_262:                             ;   in Loop: Header=BB56_5 Depth=1
	s_and_not1_saveexec_b32 s26, s26
	s_cbranch_execz .LBB56_284
; %bb.263:                              ;   in Loop: Header=BB56_5 Depth=1
                                        ; implicit-def: $sgpr27
                                        ; implicit-def: $vgpr10
                                        ; implicit-def: $vgpr11
	s_mov_b32 s2, exec_lo
	v_cmpx_lt_i32_e32 -1, v3
	s_xor_b32 s28, exec_lo, s2
	s_cbranch_execz .LBB56_273
; %bb.264:                              ;   in Loop: Header=BB56_5 Depth=1
	v_cmp_lt_f32_e64 s2, |v3|, |v2|
                                        ; implicit-def: $vgpr10
                                        ; implicit-def: $vgpr11
	s_mov_b32 s3, exec_lo
	v_cndmask_b32_e64 v19, |v3|, |v2|, s2
	s_delay_alu instid0(VALU_DEP_1)
	v_cmpx_nlt_f32_e32 0x7effffff, v19
	s_xor_b32 s27, exec_lo, s3
	s_cbranch_execz .LBB56_270
; %bb.265:                              ;   in Loop: Header=BB56_5 Depth=1
	v_cndmask_b32_e64 v23, |v2|, |v3|, s2
	v_cmp_nlt_f32_e32 vcc_lo, 0x5e000000, v19
                                        ; implicit-def: $vgpr10
                                        ; implicit-def: $vgpr11
	s_delay_alu instid0(VALU_DEP_2) | instskip(SKIP_1) | instid1(SALU_CYCLE_1)
	v_cmp_ngt_f32_e64 s3, 0x20000000, v23
	s_and_b32 s3, vcc_lo, s3
	s_and_saveexec_b32 s29, s3
	s_delay_alu instid0(SALU_CYCLE_1)
	s_xor_b32 s29, exec_lo, s29
	s_cbranch_execz .LBB56_267
; %bb.266:                              ;   in Loop: Header=BB56_5 Depth=1
	v_frexp_mant_f32_e32 v10, v13
	s_wait_dscnt 0x0
	v_min_num_f32_e32 v1, v12, v1
	v_frexp_exp_i32_f32_e32 v11, v13
	v_mul_f32_e32 v13, v23, v23
	v_rcp_f32_e32 v10, v10
	s_delay_alu instid0(VALU_DEP_3)
	v_frexp_exp_i32_f32_e32 v12, v1
	v_frexp_mant_f32_e32 v1, v1
	s_delay_alu instid0(TRANS32_DEP_1) | instid1(VALU_DEP_1)
	v_dual_sub_nc_u32 v11, v12, v11 :: v_dual_mul_f32 v1, v1, v10
	s_delay_alu instid0(VALU_DEP_1) | instskip(NEXT) | instid1(VALU_DEP_1)
	v_ldexp_f32 v11, v1, v11
	v_mul_f32_e32 v10, v11, v11
	s_delay_alu instid0(VALU_DEP_1) | instskip(NEXT) | instid1(VALU_DEP_1)
	v_dual_fmac_f32 v13, v19, v19 :: v_dual_fmaak_f32 v12, s24, v10, 0xbc7a590c
	v_cmp_gt_f32_e32 vcc_lo, 0x800000, v13
	v_cndmask_b32_e64 v1, 0, 32, vcc_lo
	s_delay_alu instid0(VALU_DEP_1) | instskip(NEXT) | instid1(VALU_DEP_1)
	v_ldexp_f32 v1, v13, v1
	v_log_f32_e32 v1, v1
	v_nop
	s_delay_alu instid0(TRANS32_DEP_1) | instskip(SKIP_1) | instid1(VALU_DEP_2)
	v_mul_f32_e32 v13, 0x3f317217, v1
	v_cmp_gt_f32_e64 s3, 0x7f800000, |v1|
	v_fma_f32 v13, 0x3f317217, v1, -v13
	s_delay_alu instid0(VALU_DEP_1) | instskip(NEXT) | instid1(VALU_DEP_1)
	v_fmac_f32_e32 v13, 0x3377d1cf, v1
	v_fmac_f32_e32 v13, 0x3f317217, v1
	s_delay_alu instid0(VALU_DEP_1) | instskip(SKIP_1) | instid1(VALU_DEP_1)
	v_cndmask_b32_e64 v1, v1, v13, s3
	v_cndmask_b32_e64 v13, 0, 0x41b17218, vcc_lo
	v_dual_fmaak_f32 v12, v10, v12, 0x3d29fb3f :: v_dual_sub_f32 v1, v1, v13
	s_delay_alu instid0(VALU_DEP_1) | instskip(NEXT) | instid1(VALU_DEP_1)
	v_fmaak_f32 v12, v10, v12, 0xbd97d4d7
                                        ; implicit-def: $vgpr13
	v_fmaak_f32 v12, v10, v12, 0x3dd931b2
	s_delay_alu instid0(VALU_DEP_1) | instskip(NEXT) | instid1(VALU_DEP_1)
	v_fmaak_f32 v12, v10, v12, 0xbe1160e6
	v_fmaak_f32 v12, v10, v12, 0x3e4cb8bf
	s_delay_alu instid0(VALU_DEP_1) | instskip(NEXT) | instid1(VALU_DEP_1)
	v_fmaak_f32 v12, v10, v12, 0xbeaaaa62
	v_dual_mul_f32 v12, v10, v12 :: v_dual_mul_f32 v10, 0.5, v1
                                        ; implicit-def: $vgpr1
	s_delay_alu instid0(VALU_DEP_1)
	v_fmac_f32_e32 v11, v11, v12
                                        ; implicit-def: $vgpr12
.LBB56_267:                             ;   in Loop: Header=BB56_5 Depth=1
	s_and_not1_saveexec_b32 s3, s29
	s_cbranch_execz .LBB56_269
; %bb.268:                              ;   in Loop: Header=BB56_5 Depth=1
	v_cvt_f64_f32_e32 v[10:11], v13
	v_frexp_mant_f32_e32 v23, v13
	v_cmp_neq_f32_e32 vcc_lo, 0x7f800000, v13
	s_delay_alu instid0(VALU_DEP_3) | instskip(NEXT) | instid1(VALU_DEP_1)
	v_frexp_exp_i32_f64_e32 v10, v[10:11]
	v_sub_nc_u32_e32 v11, 0, v10
	s_delay_alu instid0(VALU_DEP_1) | instskip(NEXT) | instid1(VALU_DEP_1)
	v_ldexp_f32 v19, |v2|, v11
	v_mul_f32_e32 v19, v19, v19
	v_ldexp_f32 v11, |v3|, v11
	s_wait_dscnt 0x0
	v_min_num_f32_e32 v1, v12, v1
	v_rcp_f32_e32 v12, v23
	s_delay_alu instid0(VALU_DEP_2) | instskip(SKIP_1) | instid1(VALU_DEP_3)
	v_fmac_f32_e32 v19, v11, v11
	v_frexp_exp_i32_f32_e32 v11, v13
	v_frexp_exp_i32_f32_e32 v23, v1
	v_frexp_mant_f32_e32 v1, v1
	s_delay_alu instid0(VALU_DEP_4)
	v_sqrt_f32_e32 v19, v19
	s_delay_alu instid0(TRANS32_DEP_2) | instid1(VALU_DEP_1)
	v_dual_sub_nc_u32 v11, v23, v11 :: v_dual_mul_f32 v1, v1, v12
	s_delay_alu instid0(TRANS32_DEP_1) | instskip(NEXT) | instid1(VALU_DEP_2)
	v_ldexp_f32 v10, v19, v10
	v_ldexp_f32 v11, v1, v11
	s_delay_alu instid0(VALU_DEP_1) | instskip(NEXT) | instid1(VALU_DEP_1)
	v_dual_cndmask_b32 v1, 0x7f800000, v10 :: v_dual_mul_f32 v10, v11, v11
	v_cmp_gt_f32_e32 vcc_lo, 0x800000, v1
	s_delay_alu instid0(VALU_DEP_2) | instskip(SKIP_2) | instid1(VALU_DEP_2)
	v_fmaak_f32 v13, s24, v10, 0xbc7a590c
	v_cndmask_b32_e64 v12, 0, 32, vcc_lo
	v_cndmask_b32_e64 v19, 0, 0x41b17218, vcc_lo
	v_ldexp_f32 v1, v1, v12
	s_delay_alu instid0(VALU_DEP_1) | instskip(SKIP_1) | instid1(TRANS32_DEP_1)
	v_log_f32_e32 v1, v1
	v_nop
	v_cmp_gt_f32_e64 vcc_lo, 0x7f800000, |v1|
	v_fmaak_f32 v12, v10, v13, 0x3d29fb3f
	v_mul_f32_e32 v13, 0x3f317217, v1
	s_delay_alu instid0(VALU_DEP_1) | instskip(NEXT) | instid1(VALU_DEP_1)
	v_fma_f32 v13, 0x3f317217, v1, -v13
	v_fmac_f32_e32 v13, 0x3377d1cf, v1
	s_delay_alu instid0(VALU_DEP_1) | instskip(NEXT) | instid1(VALU_DEP_1)
	v_fmac_f32_e32 v13, 0x3f317217, v1
	v_dual_cndmask_b32 v1, v1, v13 :: v_dual_fmaak_f32 v12, v10, v12, 0xbd97d4d7
	s_delay_alu instid0(VALU_DEP_1) | instskip(NEXT) | instid1(VALU_DEP_1)
	v_fmaak_f32 v12, v10, v12, 0x3dd931b2
	v_fmaak_f32 v12, v10, v12, 0xbe1160e6
	s_delay_alu instid0(VALU_DEP_1) | instskip(NEXT) | instid1(VALU_DEP_1)
	v_fmaak_f32 v12, v10, v12, 0x3e4cb8bf
	v_fmaak_f32 v12, v10, v12, 0xbeaaaa62
	s_delay_alu instid0(VALU_DEP_1) | instskip(NEXT) | instid1(VALU_DEP_1)
	v_dual_mul_f32 v12, v10, v12 :: v_dual_sub_f32 v10, v1, v19
	v_fmac_f32_e32 v11, v11, v12
.LBB56_269:                             ;   in Loop: Header=BB56_5 Depth=1
	s_or_b32 exec_lo, exec_lo, s3
                                        ; implicit-def: $vgpr12
                                        ; implicit-def: $vgpr1
                                        ; implicit-def: $vgpr13
.LBB56_270:                             ;   in Loop: Header=BB56_5 Depth=1
	s_and_not1_saveexec_b32 s27, s27
	s_cbranch_execz .LBB56_272
; %bb.271:                              ;   in Loop: Header=BB56_5 Depth=1
	v_div_scale_f32 v10, null, 0x402df854, 0x402df854, v3
	v_div_scale_f32 v11, null, 0x402df854, 0x402df854, v2
	v_div_scale_f32 v32, vcc_lo, v3, 0x402df854, v3
	s_delay_alu instid0(VALU_DEP_3) | instskip(NEXT) | instid1(VALU_DEP_2)
	v_rcp_f32_e32 v19, v10
	v_rcp_f32_e32 v23, v11
	s_wait_dscnt 0x0
	v_min_num_f32_e32 v1, v12, v1
	s_delay_alu instid0(TRANS32_DEP_2) | instskip(NEXT) | instid1(TRANS32_DEP_1)
	v_fma_f32 v30, -v10, v19, 1.0
	v_fma_f32 v31, -v11, v23, 1.0
	s_delay_alu instid0(VALU_DEP_2) | instskip(SKIP_1) | instid1(VALU_DEP_3)
	v_fmac_f32_e32 v19, v30, v19
	v_div_scale_f32 v30, s3, v2, 0x402df854, v2
	v_fmac_f32_e32 v23, v31, v23
	s_delay_alu instid0(VALU_DEP_1) | instskip(NEXT) | instid1(VALU_DEP_1)
	v_mul_f32_e32 v33, v30, v23
	v_fma_f32 v35, -v11, v33, v30
	s_delay_alu instid0(VALU_DEP_1) | instskip(NEXT) | instid1(VALU_DEP_1)
	v_fmac_f32_e32 v33, v35, v23
	v_dual_mul_f32 v31, v32, v19 :: v_dual_fma_f32 v11, -v11, v33, v30
	s_delay_alu instid0(VALU_DEP_1) | instskip(NEXT) | instid1(VALU_DEP_1)
	v_fma_f32 v34, -v10, v31, v32
	v_fmac_f32_e32 v31, v34, v19
	s_delay_alu instid0(VALU_DEP_1) | instskip(NEXT) | instid1(VALU_DEP_1)
	v_fma_f32 v10, -v10, v31, v32
	v_div_fmas_f32 v10, v10, v19, v31
	s_mov_b32 vcc_lo, s3
	v_div_fmas_f32 v11, v11, v23, v33
	s_delay_alu instid0(VALU_DEP_2) | instskip(NEXT) | instid1(VALU_DEP_2)
	v_div_fixup_f32 v19, v10, 0x402df854, v3
	v_div_fixup_f32 v23, v11, 0x402df854, v2
	s_delay_alu instid0(VALU_DEP_1) | instskip(NEXT) | instid1(VALU_DEP_1)
	v_max_num_f32_e64 v30, v19, |v23|
	v_cvt_f64_f32_e32 v[10:11], v30
	v_cmp_neq_f32_e32 vcc_lo, 0x7f800000, v30
	s_delay_alu instid0(VALU_DEP_2) | instskip(NEXT) | instid1(VALU_DEP_1)
	v_frexp_exp_i32_f64_e32 v10, v[10:11]
	v_sub_nc_u32_e32 v11, 0, v10
	s_delay_alu instid0(VALU_DEP_1) | instskip(SKIP_1) | instid1(VALU_DEP_2)
	v_ldexp_f32 v23, |v23|, v11
	v_ldexp_f32 v11, v19, v11
	v_mul_f32_e32 v19, v23, v23
	s_delay_alu instid0(VALU_DEP_1) | instskip(SKIP_2) | instid1(VALU_DEP_3)
	v_fmac_f32_e32 v19, v11, v11
	v_frexp_mant_f32_e32 v11, v13
	v_frexp_exp_i32_f32_e32 v13, v13
	v_sqrt_f32_e32 v12, v19
	s_delay_alu instid0(VALU_DEP_2) | instskip(SKIP_2) | instid1(TRANS32_DEP_2)
	v_rcp_f32_e32 v11, v11
	v_frexp_exp_i32_f32_e32 v19, v1
	v_frexp_mant_f32_e32 v1, v1
	v_ldexp_f32 v10, v12, v10
	s_delay_alu instid0(TRANS32_DEP_1) | instid1(VALU_DEP_2)
	v_dual_mul_f32 v1, v1, v11 :: v_dual_sub_nc_u32 v12, v19, v13
	s_delay_alu instid0(VALU_DEP_2) | instskip(NEXT) | instid1(VALU_DEP_2)
	v_cndmask_b32_e32 v10, 0x7f800000, v10, vcc_lo
	v_ldexp_f32 v11, v1, v12
	s_delay_alu instid0(VALU_DEP_2) | instskip(SKIP_2) | instid1(VALU_DEP_2)
	v_cmp_gt_f32_e32 vcc_lo, 0x800000, v10
	v_cndmask_b32_e64 v1, 0, 32, vcc_lo
	v_cndmask_b32_e64 v19, 0, 0x41b17218, vcc_lo
	v_ldexp_f32 v1, v10, v1
	s_delay_alu instid0(VALU_DEP_1) | instskip(SKIP_1) | instid1(TRANS32_DEP_1)
	v_log_f32_e32 v1, v1
	v_nop
	v_dual_mul_f32 v12, v11, v11 :: v_dual_mul_f32 v13, 0x3f317217, v1
	v_cmp_gt_f32_e64 vcc_lo, 0x7f800000, |v1|
	s_delay_alu instid0(VALU_DEP_2) | instskip(NEXT) | instid1(VALU_DEP_1)
	v_fma_f32 v13, 0x3f317217, v1, -v13
	v_fmac_f32_e32 v13, 0x3377d1cf, v1
	s_delay_alu instid0(VALU_DEP_1) | instskip(NEXT) | instid1(VALU_DEP_1)
	v_fmac_f32_e32 v13, 0x3f317217, v1
	v_cndmask_b32_e32 v1, v1, v13, vcc_lo
	s_delay_alu instid0(VALU_DEP_1) | instskip(NEXT) | instid1(VALU_DEP_1)
	v_dual_fmaak_f32 v10, s24, v12, 0xbc7a590c :: v_dual_sub_f32 v1, v1, v19
	v_fmaak_f32 v10, v12, v10, 0x3d29fb3f
	s_delay_alu instid0(VALU_DEP_1) | instskip(NEXT) | instid1(VALU_DEP_1)
	v_fmaak_f32 v10, v12, v10, 0xbd97d4d7
	v_fmaak_f32 v10, v12, v10, 0x3dd931b2
	s_delay_alu instid0(VALU_DEP_1) | instskip(NEXT) | instid1(VALU_DEP_1)
	v_fmaak_f32 v10, v12, v10, 0xbe1160e6
	;; [unrolled: 3-line block ×3, first 2 shown]
	v_dual_mul_f32 v12, v12, v10 :: v_dual_add_f32 v10, 1.0, v1
	s_delay_alu instid0(VALU_DEP_1)
	v_fmac_f32_e32 v11, v11, v12
.LBB56_272:                             ;   in Loop: Header=BB56_5 Depth=1
	s_or_b32 exec_lo, exec_lo, s27
	s_wait_dscnt 0x0
	s_delay_alu instid0(VALU_DEP_1) | instskip(SKIP_2) | instid1(VALU_DEP_3)
	v_sub_f32_e32 v1, 0x3fc90fdb, v11
	v_cmp_neq_f32_e32 vcc_lo, 0, v2
	v_cmp_class_f32_e64 s27, v3, 0x204
	v_cndmask_b32_e64 v1, v11, v1, s2
	s_delay_alu instid0(VALU_DEP_1)
	v_cndmask_b32_e32 v11, 0, v1, vcc_lo
                                        ; implicit-def: $vgpr1
.LBB56_273:                             ;   in Loop: Header=BB56_5 Depth=1
	s_and_not1_saveexec_b32 s28, s28
	s_cbranch_execz .LBB56_283
; %bb.274:                              ;   in Loop: Header=BB56_5 Depth=1
	v_cmp_gt_f32_e64 s2, |v2|, -v3
                                        ; implicit-def: $vgpr10
                                        ; implicit-def: $vgpr11
	s_mov_b32 s3, exec_lo
	v_cndmask_b32_e64 v12, -v3, |v2|, s2
	s_delay_alu instid0(VALU_DEP_1)
	v_cmpx_nlt_f32_e32 0x7effffff, v12
	s_xor_b32 s29, exec_lo, s3
	s_cbranch_execz .LBB56_280
; %bb.275:                              ;   in Loop: Header=BB56_5 Depth=1
	v_xor_b32_e32 v10, 0x80000000, v3
	v_cmp_nlt_f32_e32 vcc_lo, 0x5e000000, v12
                                        ; implicit-def: $vgpr11
	s_delay_alu instid0(VALU_DEP_2) | instskip(NEXT) | instid1(VALU_DEP_1)
	v_cndmask_b32_e64 v13, |v2|, v10, s2
                                        ; implicit-def: $vgpr10
	v_cmp_ngt_f32_e64 s3, 0x20000000, v13
	s_and_b32 s3, vcc_lo, s3
	s_delay_alu instid0(SALU_CYCLE_1) | instskip(NEXT) | instid1(SALU_CYCLE_1)
	s_and_saveexec_b32 s30, s3
	s_xor_b32 s30, exec_lo, s30
	s_cbranch_execz .LBB56_277
; %bb.276:                              ;   in Loop: Header=BB56_5 Depth=1
	v_dual_max_num_f32 v10, -v3, -v3 :: v_dual_mul_f32 v13, v13, v13
	s_wait_dscnt 0x0
	s_delay_alu instid0(VALU_DEP_1) | instskip(NEXT) | instid1(VALU_DEP_1)
	v_dual_max_num_f32 v11, v10, v1 :: v_dual_min_num_f32 v1, v10, v1
	v_frexp_mant_f32_e32 v19, v11
	v_frexp_exp_i32_f32_e32 v10, v11
	s_delay_alu instid0(VALU_DEP_2)
	v_rcp_f32_e32 v11, v19
	v_nop
	v_frexp_exp_i32_f32_e32 v19, v1
	v_frexp_mant_f32_e32 v1, v1
	s_delay_alu instid0(TRANS32_DEP_1) | instid1(VALU_DEP_1)
	v_dual_mul_f32 v1, v1, v11 :: v_dual_sub_nc_u32 v10, v19, v10
	s_delay_alu instid0(VALU_DEP_1) | instskip(NEXT) | instid1(VALU_DEP_1)
	v_ldexp_f32 v11, v1, v10
	v_dual_fmac_f32 v13, v12, v12 :: v_dual_mul_f32 v10, v11, v11
	s_delay_alu instid0(VALU_DEP_1) | instskip(SKIP_1) | instid1(VALU_DEP_1)
	v_cmp_gt_f32_e32 vcc_lo, 0x800000, v13
	v_cndmask_b32_e64 v1, 0, 32, vcc_lo
	v_ldexp_f32 v1, v13, v1
	s_delay_alu instid0(VALU_DEP_1) | instskip(SKIP_1) | instid1(TRANS32_DEP_1)
	v_log_f32_e32 v1, v1
	v_nop
	v_mul_f32_e32 v13, 0x3f317217, v1
	v_cmp_gt_f32_e64 s3, 0x7f800000, |v1|
	s_delay_alu instid0(VALU_DEP_2) | instskip(NEXT) | instid1(VALU_DEP_1)
	v_fma_f32 v13, 0x3f317217, v1, -v13
	v_fmac_f32_e32 v13, 0x3377d1cf, v1
	s_delay_alu instid0(VALU_DEP_1) | instskip(NEXT) | instid1(VALU_DEP_1)
	v_fmac_f32_e32 v13, 0x3f317217, v1
	v_cndmask_b32_e64 v1, v1, v13, s3
	v_cndmask_b32_e64 v13, 0, 0x41b17218, vcc_lo
	s_delay_alu instid0(VALU_DEP_1) | instskip(NEXT) | instid1(VALU_DEP_1)
	v_dual_fmaak_f32 v12, s24, v10, 0xbc7a590c :: v_dual_sub_f32 v1, v1, v13
	v_fmaak_f32 v12, v10, v12, 0x3d29fb3f
	s_delay_alu instid0(VALU_DEP_1) | instskip(NEXT) | instid1(VALU_DEP_1)
	v_fmaak_f32 v12, v10, v12, 0xbd97d4d7
	v_fmaak_f32 v12, v10, v12, 0x3dd931b2
	s_delay_alu instid0(VALU_DEP_1) | instskip(NEXT) | instid1(VALU_DEP_1)
	v_fmaak_f32 v12, v10, v12, 0xbe1160e6
	;; [unrolled: 3-line block ×3, first 2 shown]
	v_dual_mul_f32 v12, v10, v12 :: v_dual_mul_f32 v10, 0.5, v1
                                        ; implicit-def: $vgpr1
	s_delay_alu instid0(VALU_DEP_1)
	v_fmac_f32_e32 v11, v11, v12
.LBB56_277:                             ;   in Loop: Header=BB56_5 Depth=1
	s_and_not1_saveexec_b32 s3, s30
	s_cbranch_execz .LBB56_279
; %bb.278:                              ;   in Loop: Header=BB56_5 Depth=1
	v_max_num_f32_e64 v12, -v3, -v3
	s_wait_dscnt 0x0
	s_delay_alu instid0(VALU_DEP_1) | instskip(NEXT) | instid1(VALU_DEP_1)
	v_max_num_f32_e32 v13, v12, v1
	v_cvt_f64_f32_e32 v[10:11], v13
	s_delay_alu instid0(VALU_DEP_1) | instskip(NEXT) | instid1(VALU_DEP_1)
	v_frexp_exp_i32_f64_e32 v10, v[10:11]
	v_sub_nc_u32_e32 v11, 0, v10
	s_delay_alu instid0(VALU_DEP_1) | instskip(SKIP_1) | instid1(VALU_DEP_2)
	v_ldexp_f32 v19, |v2|, v11
	v_ldexp_f32 v11, -v3, v11
	v_dual_mul_f32 v19, v19, v19 :: v_dual_min_num_f32 v1, v12, v1
	v_frexp_mant_f32_e32 v12, v13
	v_cmp_neq_f32_e32 vcc_lo, 0x7f800000, v13
	s_delay_alu instid0(VALU_DEP_3) | instskip(SKIP_1) | instid1(VALU_DEP_4)
	v_fmac_f32_e32 v19, v11, v11
	v_frexp_exp_i32_f32_e32 v11, v13
	v_rcp_f32_e32 v12, v12
	v_frexp_exp_i32_f32_e32 v23, v1
	v_frexp_mant_f32_e32 v1, v1
	v_sqrt_f32_e32 v19, v19
	s_delay_alu instid0(TRANS32_DEP_2) | instid1(VALU_DEP_1)
	v_dual_sub_nc_u32 v11, v23, v11 :: v_dual_mul_f32 v1, v1, v12
	s_delay_alu instid0(TRANS32_DEP_1) | instskip(NEXT) | instid1(VALU_DEP_2)
	v_ldexp_f32 v10, v19, v10
	v_ldexp_f32 v11, v1, v11
	s_delay_alu instid0(VALU_DEP_1) | instskip(NEXT) | instid1(VALU_DEP_1)
	v_dual_cndmask_b32 v1, 0x7f800000, v10 :: v_dual_mul_f32 v10, v11, v11
	v_cmp_gt_f32_e32 vcc_lo, 0x800000, v1
	s_delay_alu instid0(VALU_DEP_2) | instskip(SKIP_2) | instid1(VALU_DEP_2)
	v_fmaak_f32 v13, s24, v10, 0xbc7a590c
	v_cndmask_b32_e64 v12, 0, 32, vcc_lo
	v_cndmask_b32_e64 v19, 0, 0x41b17218, vcc_lo
	v_ldexp_f32 v1, v1, v12
	s_delay_alu instid0(VALU_DEP_1) | instskip(SKIP_1) | instid1(TRANS32_DEP_1)
	v_log_f32_e32 v1, v1
	v_nop
	v_cmp_gt_f32_e64 vcc_lo, 0x7f800000, |v1|
	v_fmaak_f32 v12, v10, v13, 0x3d29fb3f
	v_mul_f32_e32 v13, 0x3f317217, v1
	s_delay_alu instid0(VALU_DEP_1) | instskip(NEXT) | instid1(VALU_DEP_1)
	v_fma_f32 v13, 0x3f317217, v1, -v13
	v_fmac_f32_e32 v13, 0x3377d1cf, v1
	s_delay_alu instid0(VALU_DEP_1) | instskip(NEXT) | instid1(VALU_DEP_1)
	v_fmac_f32_e32 v13, 0x3f317217, v1
	v_dual_cndmask_b32 v1, v1, v13 :: v_dual_fmaak_f32 v12, v10, v12, 0xbd97d4d7
	s_delay_alu instid0(VALU_DEP_1) | instskip(NEXT) | instid1(VALU_DEP_1)
	v_fmaak_f32 v12, v10, v12, 0x3dd931b2
	v_fmaak_f32 v12, v10, v12, 0xbe1160e6
	s_delay_alu instid0(VALU_DEP_1) | instskip(NEXT) | instid1(VALU_DEP_1)
	v_fmaak_f32 v12, v10, v12, 0x3e4cb8bf
	v_fmaak_f32 v12, v10, v12, 0xbeaaaa62
	s_delay_alu instid0(VALU_DEP_1) | instskip(NEXT) | instid1(VALU_DEP_1)
	v_dual_mul_f32 v12, v10, v12 :: v_dual_sub_f32 v10, v1, v19
	v_fmac_f32_e32 v11, v11, v12
.LBB56_279:                             ;   in Loop: Header=BB56_5 Depth=1
	s_or_b32 exec_lo, exec_lo, s3
                                        ; implicit-def: $vgpr1
.LBB56_280:                             ;   in Loop: Header=BB56_5 Depth=1
	s_and_not1_saveexec_b32 s29, s29
	s_cbranch_execz .LBB56_282
; %bb.281:                              ;   in Loop: Header=BB56_5 Depth=1
	v_div_scale_f32 v10, null, 0xc02df854, 0xc02df854, v3
	v_div_scale_f32 v11, null, 0xc02df854, 0xc02df854, v2
	v_div_scale_f32 v30, vcc_lo, v3, 0xc02df854, v3
	s_delay_alu instid0(VALU_DEP_3) | instskip(NEXT) | instid1(VALU_DEP_2)
	v_rcp_f32_e32 v12, v10
	v_rcp_f32_e32 v13, v11
	s_delay_alu instid0(TRANS32_DEP_2) | instskip(NEXT) | instid1(TRANS32_DEP_1)
	v_fma_f32 v19, -v10, v12, 1.0
	v_fma_f32 v23, -v11, v13, 1.0
	s_delay_alu instid0(VALU_DEP_1) | instskip(NEXT) | instid1(VALU_DEP_3)
	v_fmac_f32_e32 v13, v23, v13
	v_fmac_f32_e32 v12, v19, v12
	v_div_scale_f32 v19, s3, v2, 0xc02df854, v2
	s_delay_alu instid0(VALU_DEP_1) | instskip(NEXT) | instid1(VALU_DEP_1)
	v_dual_mul_f32 v31, v19, v13 :: v_dual_mul_f32 v23, v30, v12
	v_fma_f32 v33, -v11, v31, v19
	s_delay_alu instid0(VALU_DEP_1) | instskip(NEXT) | instid1(VALU_DEP_1)
	v_dual_fma_f32 v32, -v10, v23, v30 :: v_dual_fmac_f32 v31, v33, v13
	v_fmac_f32_e32 v23, v32, v12
	s_delay_alu instid0(VALU_DEP_2) | instskip(NEXT) | instid1(VALU_DEP_2)
	v_fma_f32 v11, -v11, v31, v19
	v_fma_f32 v10, -v10, v23, v30
	s_delay_alu instid0(VALU_DEP_1) | instskip(SKIP_3) | instid1(VALU_DEP_3)
	v_div_fmas_f32 v10, v10, v12, v23
	s_mov_b32 vcc_lo, s3
	v_max_num_f32_e64 v23, -v3, -v3
	v_div_fmas_f32 v11, v11, v13, v31
	v_div_fixup_f32 v12, v10, 0xc02df854, v3
	s_delay_alu instid0(VALU_DEP_2) | instskip(NEXT) | instid1(VALU_DEP_1)
	v_div_fixup_f32 v13, v11, 0xc02df854, v2
	v_max_num_f32_e64 v19, |v12|, |v13|
	s_delay_alu instid0(VALU_DEP_1) | instskip(SKIP_1) | instid1(VALU_DEP_2)
	v_cvt_f64_f32_e32 v[10:11], v19
	v_cmp_neq_f32_e32 vcc_lo, 0x7f800000, v19
	v_frexp_exp_i32_f64_e32 v10, v[10:11]
	s_delay_alu instid0(VALU_DEP_1) | instskip(NEXT) | instid1(VALU_DEP_1)
	v_sub_nc_u32_e32 v11, 0, v10
	v_ldexp_f32 v13, |v13|, v11
	v_ldexp_f32 v11, |v12|, v11
	s_delay_alu instid0(VALU_DEP_2) | instskip(SKIP_2) | instid1(VALU_DEP_1)
	v_mul_f32_e32 v12, v13, v13
	s_wait_dscnt 0x0
	v_dual_max_num_f32 v13, v23, v1 :: v_dual_min_num_f32 v1, v23, v1
	v_frexp_exp_i32_f32_e32 v23, v1
	v_frexp_mant_f32_e32 v1, v1
	v_fmac_f32_e32 v12, v11, v11
	s_delay_alu instid0(VALU_DEP_4) | instskip(SKIP_1) | instid1(VALU_DEP_2)
	v_frexp_mant_f32_e32 v11, v13
	v_frexp_exp_i32_f32_e32 v13, v13
	v_rcp_f32_e32 v11, v11
	v_nop
	s_delay_alu instid0(TRANS32_DEP_1) | instskip(SKIP_2) | instid1(TRANS32_DEP_1)
	v_mul_f32_e32 v1, v1, v11
	v_sqrt_f32_e32 v12, v12
	v_nop
	v_ldexp_f32 v10, v12, v10
	s_delay_alu instid0(VALU_DEP_1) | instskip(NEXT) | instid1(VALU_DEP_1)
	v_cndmask_b32_e32 v10, 0x7f800000, v10, vcc_lo
	v_cmp_gt_f32_e32 vcc_lo, 0x800000, v10
	v_cndmask_b32_e64 v19, 0, 0x41b17218, vcc_lo
	v_sub_nc_u32_e32 v12, v23, v13
	s_delay_alu instid0(VALU_DEP_1) | instskip(SKIP_1) | instid1(VALU_DEP_1)
	v_ldexp_f32 v11, v1, v12
	v_cndmask_b32_e64 v1, 0, 32, vcc_lo
	v_ldexp_f32 v1, v10, v1
	s_delay_alu instid0(VALU_DEP_1) | instskip(SKIP_1) | instid1(TRANS32_DEP_1)
	v_log_f32_e32 v1, v1
	v_nop
	v_dual_mul_f32 v12, v11, v11 :: v_dual_mul_f32 v13, 0x3f317217, v1
	s_delay_alu instid0(VALU_DEP_1) | instskip(SKIP_1) | instid1(VALU_DEP_3)
	v_fmaak_f32 v10, s24, v12, 0xbc7a590c
	v_cmp_gt_f32_e64 vcc_lo, 0x7f800000, |v1|
	v_fma_f32 v13, 0x3f317217, v1, -v13
	s_delay_alu instid0(VALU_DEP_3) | instskip(NEXT) | instid1(VALU_DEP_1)
	v_fmaak_f32 v10, v12, v10, 0x3d29fb3f
	v_fmaak_f32 v10, v12, v10, 0xbd97d4d7
	s_delay_alu instid0(VALU_DEP_1) | instskip(NEXT) | instid1(VALU_DEP_1)
	v_fmaak_f32 v10, v12, v10, 0x3dd931b2
	v_fmaak_f32 v10, v12, v10, 0xbe1160e6
	s_delay_alu instid0(VALU_DEP_1) | instskip(NEXT) | instid1(VALU_DEP_1)
	;; [unrolled: 3-line block ×3, first 2 shown]
	v_dual_fmac_f32 v13, 0x3377d1cf, v1 :: v_dual_mul_f32 v12, v12, v10
	v_fmac_f32_e32 v13, 0x3f317217, v1
	s_delay_alu instid0(VALU_DEP_1) | instskip(NEXT) | instid1(VALU_DEP_1)
	v_dual_fmac_f32 v11, v11, v12 :: v_dual_cndmask_b32 v1, v1, v13, vcc_lo
	v_sub_f32_e32 v1, v1, v19
	s_delay_alu instid0(VALU_DEP_1)
	v_add_f32_e32 v10, 1.0, v1
.LBB56_282:                             ;   in Loop: Header=BB56_5 Depth=1
	s_or_b32 exec_lo, exec_lo, s29
	s_wait_dscnt 0x0
	v_sub_f32_e32 v1, 0x3fc90fdb, v11
	v_cmp_eq_f32_e32 vcc_lo, 0xff800000, v3
	s_delay_alu instid0(VALU_DEP_2) | instskip(SKIP_4) | instid1(SALU_CYCLE_1)
	v_cndmask_b32_e64 v1, v11, v1, s2
	v_cmp_neq_f32_e64 s2, 0, v2
	s_and_b32 s3, vcc_lo, exec_lo
	v_cndmask_b32_e64 v11, 0, v1, s2
	s_and_not1_b32 s2, s27, exec_lo
	s_or_b32 s27, s2, s3
.LBB56_283:                             ;   in Loop: Header=BB56_5 Depth=1
	s_or_b32 exec_lo, exec_lo, s28
	v_cmp_class_f32_e64 s2, v2, 0x204
	s_and_b32 s2, s2, s27
	s_wait_dscnt 0x0
	v_cndmask_b32_e64 v1, v11, 0x3f490fdb, s2
	v_add_f32_e32 v11, 0x3f317218, v10
	s_delay_alu instid0(VALU_DEP_2) | instskip(NEXT) | instid1(VALU_DEP_2)
	v_bfi_b32 v10, 0x7fffffff, v1, v2
	v_bfi_b32 v11, 0x7fffffff, v11, v3
.LBB56_284:                             ;   in Loop: Header=BB56_5 Depth=1
	s_or_b32 exec_lo, exec_lo, s26
.LBB56_285:                             ;   in Loop: Header=BB56_5 Depth=1
	s_and_not1_saveexec_b32 s2, s18
	s_cbranch_execz .LBB56_299
; %bb.286:                              ;   in Loop: Header=BB56_5 Depth=1
	v_cmp_neq_f32_e64 s3, 0x7f800000, |v3|
                                        ; implicit-def: $vgpr11
	s_and_saveexec_b32 s18, s3
	s_delay_alu instid0(SALU_CYCLE_1)
	s_xor_b32 s3, exec_lo, s18
	s_cbranch_execz .LBB56_296
; %bb.287:                              ;   in Loop: Header=BB56_5 Depth=1
	v_cmp_neq_f32_e64 s18, 0x7f800000, |v2|
                                        ; implicit-def: $vgpr11
	s_and_saveexec_b32 s26, s18
	s_delay_alu instid0(SALU_CYCLE_1)
	s_xor_b32 s18, exec_lo, s26
	s_cbranch_execz .LBB56_293
; %bb.288:                              ;   in Loop: Header=BB56_5 Depth=1
	s_mov_b32 s26, exec_lo
                                        ; implicit-def: $vgpr11
	v_cmpx_neq_f32_e32 0, v2
	s_xor_b32 s26, exec_lo, s26
	s_cbranch_execz .LBB56_290
; %bb.289:                              ;   in Loop: Header=BB56_5 Depth=1
	s_wait_dscnt 0x0
	v_add_f32_e32 v1, 0, v3
	s_delay_alu instid0(VALU_DEP_1)
	v_add_f32_e32 v11, v2, v1
.LBB56_290:                             ;   in Loop: Header=BB56_5 Depth=1
	s_or_saveexec_b32 s26, s26
	s_delay_alu instid0(VALU_DEP_1)
	v_mov_b32_e32 v10, v11
	s_xor_b32 exec_lo, exec_lo, s26
; %bb.291:                              ;   in Loop: Header=BB56_5 Depth=1
	v_pk_add_f32 v[10:11], v[2:3], v[2:3]
	v_mov_b32_e32 v10, v2
; %bb.292:                              ;   in Loop: Header=BB56_5 Depth=1
	s_or_b32 exec_lo, exec_lo, s26
.LBB56_293:                             ;   in Loop: Header=BB56_5 Depth=1
	s_and_not1_saveexec_b32 s18, s18
; %bb.294:                              ;   in Loop: Header=BB56_5 Depth=1
	v_dual_add_f32 v10, v3, v3 :: v_dual_mov_b32 v11, v2
; %bb.295:                              ;   in Loop: Header=BB56_5 Depth=1
	s_or_b32 exec_lo, exec_lo, s18
.LBB56_296:                             ;   in Loop: Header=BB56_5 Depth=1
	s_and_not1_saveexec_b32 s3, s3
; %bb.297:                              ;   in Loop: Header=BB56_5 Depth=1
	v_dual_add_f32 v10, v2, v2 :: v_dual_mov_b32 v11, v3
; %bb.298:                              ;   in Loop: Header=BB56_5 Depth=1
	s_or_b32 exec_lo, exec_lo, s3
.LBB56_299:                             ;   in Loop: Header=BB56_5 Depth=1
	s_delay_alu instid0(SALU_CYCLE_1) | instskip(NEXT) | instid1(SALU_CYCLE_1)
	s_or_b32 exec_lo, exec_lo, s2
	s_mov_b32 s2, exec_lo
	v_cmpx_o_f32_e32 v5, v4
	s_xor_b32 s18, exec_lo, s2
	s_cbranch_execz .LBB56_383
; %bb.300:                              ;   in Loop: Header=BB56_5 Depth=1
	v_max_num_f32_e64 v2, |v5|, |v5|
	s_wait_dscnt 0x0
	v_max_num_f32_e64 v1, |v4|, |v4|
	s_mov_b32 s2, exec_lo
	s_delay_alu instid0(VALU_DEP_1) | instskip(NEXT) | instid1(VALU_DEP_1)
	v_max_num_f32_e32 v3, v1, v2
	v_cmpx_nlt_f32_e32 0x4b000000, v3
	s_xor_b32 s26, exec_lo, s2
	s_cbranch_execz .LBB56_360
; %bb.301:                              ;   in Loop: Header=BB56_5 Depth=1
	v_cmp_neq_f32_e32 vcc_lo, 0, v5
	v_cmp_neq_f32_e64 s2, 0, v4
	s_or_b32 s2, vcc_lo, s2
	s_delay_alu instid0(SALU_CYCLE_1)
	s_and_saveexec_b32 s27, s2
	s_cbranch_execz .LBB56_359
; %bb.302:                              ;   in Loop: Header=BB56_5 Depth=1
	flat_store_b32 v[16:17], v28 scope:SCOPE_SYS
	s_wait_storecnt 0x0
	flat_load_b32 v1, v[16:17] scope:SCOPE_SYS
	s_wait_loadcnt 0x0
	v_cmp_ngt_f32_e64 s2, 0x395db3d7, |v5|
	v_cmp_ngt_f32_e64 s3, 0x395db3d7, |v4|
	s_or_b32 s2, s3, s2
	s_wait_dscnt 0x0
	v_add_f32_e32 v1, 1.0, v1
	flat_store_b32 v[20:21], v1 scope:SCOPE_SYS
	s_wait_storecnt 0x0
	flat_load_b32 v1, v[20:21] scope:SCOPE_SYS
	s_wait_loadcnt 0x0
	s_wait_xcnt 0x0
	s_and_saveexec_b32 s28, s2
	s_cbranch_execz .LBB56_358
; %bb.303:                              ;   in Loop: Header=BB56_5 Depth=1
	v_add_f32_e64 v30, |v4|, 1.0
	s_wait_dscnt 0x0
	v_add_f32_e64 v1, |v4|, -1.0
	s_mov_b32 s2, exec_lo
	s_delay_alu instid0(VALU_DEP_2) | instskip(NEXT) | instid1(VALU_DEP_2)
	v_max_num_f32_e32 v19, v2, v30
	v_max_num_f32_e64 v23, v2, |v1|
	s_delay_alu instid0(VALU_DEP_2) | instskip(NEXT) | instid1(VALU_DEP_2)
	v_cvt_f64_f32_e32 v[2:3], v19
	v_cvt_f64_f32_e32 v[12:13], v23
	s_delay_alu instid0(VALU_DEP_2) | instskip(NEXT) | instid1(VALU_DEP_2)
	v_frexp_exp_i32_f64_e32 v2, v[2:3]
	v_frexp_exp_i32_f64_e32 v3, v[12:13]
	s_delay_alu instid0(VALU_DEP_1) | instskip(SKIP_1) | instid1(VALU_DEP_2)
	v_dual_sub_nc_u32 v12, 0, v2 :: v_dual_sub_nc_u32 v13, 0, v3
	v_cmp_neq_f32_e32 vcc_lo, 0x7f800000, v19
                                        ; implicit-def: $vgpr19
	v_ldexp_f32 v31, v30, v12
	s_delay_alu instid0(VALU_DEP_3) | instskip(SKIP_1) | instid1(VALU_DEP_3)
	v_ldexp_f32 v32, |v1|, v13
	v_ldexp_f32 v13, |v5|, v13
	v_mul_f32_e32 v31, v31, v31
	v_ldexp_f32 v12, |v5|, v12
	s_delay_alu instid0(VALU_DEP_4) | instskip(NEXT) | instid1(VALU_DEP_1)
	v_mul_f32_e32 v32, v32, v32
	v_dual_fmac_f32 v31, v12, v12 :: v_dual_fmac_f32 v32, v13, v13
	s_delay_alu instid0(VALU_DEP_1) | instskip(NEXT) | instid1(VALU_DEP_1)
	v_sqrt_f32_e32 v12, v31
	v_sqrt_f32_e32 v13, v32
	s_delay_alu instid0(TRANS32_DEP_2) | instskip(NEXT) | instid1(TRANS32_DEP_1)
	v_ldexp_f32 v2, v12, v2
	v_ldexp_f32 v3, v13, v3
	s_delay_alu instid0(VALU_DEP_2) | instskip(SKIP_1) | instid1(VALU_DEP_3)
	v_cndmask_b32_e32 v32, 0x7f800000, v2, vcc_lo
	v_cmp_neq_f32_e32 vcc_lo, 0x7f800000, v23
	v_cndmask_b32_e32 v12, 0x7f800000, v3, vcc_lo
	s_delay_alu instid0(VALU_DEP_1) | instskip(NEXT) | instid1(VALU_DEP_1)
	v_add_f32_e32 v2, v32, v12
	v_mul_f32_e32 v2, 0.5, v2
	s_delay_alu instid0(VALU_DEP_1) | instskip(SKIP_1) | instid1(VALU_DEP_1)
	v_cmp_ngt_f32_e32 vcc_lo, 1.0, v2
	v_cndmask_b32_e32 v2, 1.0, v2, vcc_lo
	v_cmpx_ngt_f32_e32 0x41200000, v2
	s_xor_b32 s3, exec_lo, s2
	s_cbranch_execz .LBB56_305
; %bb.304:                              ;   in Loop: Header=BB56_5 Depth=1
	v_fma_f32 v3, v2, v2, -1.0
	s_delay_alu instid0(VALU_DEP_1) | instskip(SKIP_1) | instid1(VALU_DEP_2)
	v_mul_f32_e32 v13, 0x4f800000, v3
	v_cmp_gt_f32_e32 vcc_lo, 0xf800000, v3
	v_cndmask_b32_e32 v3, v3, v13, vcc_lo
	s_delay_alu instid0(VALU_DEP_1) | instskip(SKIP_1) | instid1(TRANS32_DEP_1)
	v_sqrt_f32_e32 v13, v3
	v_nop
	v_dual_add_nc_u32 v19, -1, v13 :: v_dual_add_nc_u32 v23, 1, v13
	s_delay_alu instid0(VALU_DEP_1) | instskip(NEXT) | instid1(VALU_DEP_1)
	v_fma_f32 v31, -v19, v13, v3
	v_cmp_ge_f32_e64 s2, 0, v31
	s_delay_alu instid0(VALU_DEP_1) | instskip(NEXT) | instid1(VALU_DEP_1)
	v_dual_fma_f32 v33, -v23, v13, v3 :: v_dual_cndmask_b32 v13, v13, v19, s2
	v_cmp_lt_f32_e64 s2, 0, v33
	s_delay_alu instid0(VALU_DEP_1) | instskip(NEXT) | instid1(VALU_DEP_1)
	v_cndmask_b32_e64 v13, v13, v23, s2
	v_mul_f32_e32 v19, 0x37800000, v13
	s_delay_alu instid0(VALU_DEP_1) | instskip(SKIP_1) | instid1(VALU_DEP_2)
	v_cndmask_b32_e32 v13, v13, v19, vcc_lo
	v_cmp_class_f32_e64 vcc_lo, v3, 0x260
	v_cndmask_b32_e32 v3, v13, v3, vcc_lo
	s_delay_alu instid0(VALU_DEP_1) | instskip(NEXT) | instid1(VALU_DEP_1)
	v_add_f32_e32 v3, v2, v3
	v_cmp_gt_f32_e32 vcc_lo, 0x800000, v3
	s_delay_alu instid0(VALU_DEP_4) | instskip(NEXT) | instid1(VALU_DEP_1)
	v_cndmask_b32_e64 v13, 0, 32, vcc_lo
	v_ldexp_f32 v3, v3, v13
	s_delay_alu instid0(VALU_DEP_1) | instskip(SKIP_1) | instid1(TRANS32_DEP_1)
	v_log_f32_e32 v3, v3
	v_nop
	v_mul_f32_e32 v13, 0x3f317217, v3
	v_cmp_gt_f32_e64 s2, 0x7f800000, |v3|
	s_delay_alu instid0(VALU_DEP_2) | instskip(NEXT) | instid1(VALU_DEP_1)
	v_fma_f32 v13, 0x3f317217, v3, -v13
	v_fmac_f32_e32 v13, 0x3377d1cf, v3
	s_delay_alu instid0(VALU_DEP_1) | instskip(NEXT) | instid1(VALU_DEP_1)
	v_fmac_f32_e32 v13, 0x3f317217, v3
	v_cndmask_b32_e64 v3, v3, v13, s2
	v_cndmask_b32_e64 v13, 0, 0x41b17218, vcc_lo
	s_delay_alu instid0(VALU_DEP_1)
	v_sub_f32_e32 v19, v3, v13
.LBB56_305:                             ;   in Loop: Header=BB56_5 Depth=1
	s_or_saveexec_b32 s3, s3
	v_and_b32_e32 v31, 0x7fffffff, v5
	s_xor_b32 exec_lo, exec_lo, s3
	s_cbranch_execz .LBB56_327
; %bb.306:                              ;   in Loop: Header=BB56_5 Depth=1
	v_cmp_neq_f32_e64 s2, |v4|, 1.0
	v_cmp_ngt_f32_e64 s29, 0x25000000, |v5|
                                        ; implicit-def: $vgpr19
	s_or_b32 s2, s2, s29
	s_delay_alu instid0(SALU_CYCLE_1) | instskip(NEXT) | instid1(SALU_CYCLE_1)
	s_and_saveexec_b32 s29, s2
	s_xor_b32 s29, exec_lo, s29
	s_cbranch_execz .LBB56_324
; %bb.307:                              ;   in Loop: Header=BB56_5 Depth=1
	v_mul_f32_e64 v3, 0x34000000, |v1|
	s_mov_b32 s30, exec_lo
                                        ; implicit-def: $vgpr19
	s_delay_alu instid0(VALU_DEP_1)
	v_cmpx_ge_f32_e64 |v5|, v3
	s_xor_b32 s30, exec_lo, s30
	s_cbranch_execz .LBB56_317
; %bb.308:                              ;   in Loop: Header=BB56_5 Depth=1
	v_mov_b32_e32 v3, v31
	s_mov_b32 s2, exec_lo
	v_cmpx_neq_f32_e32 0, v30
	s_cbranch_execz .LBB56_310
; %bb.309:                              ;   in Loop: Header=BB56_5 Depth=1
	v_dual_mul_f32 v3, v5, v5 :: v_dual_add_f32 v13, v30, v32
	s_delay_alu instid0(VALU_DEP_1) | instskip(NEXT) | instid1(VALU_DEP_1)
	v_div_scale_f32 v19, null, v13, v13, v3
	v_rcp_f32_e32 v23, v19
	v_nop
	s_delay_alu instid0(TRANS32_DEP_1) | instskip(NEXT) | instid1(VALU_DEP_1)
	v_fma_f32 v33, -v19, v23, 1.0
	v_fmac_f32_e32 v23, v33, v23
	v_div_scale_f32 v33, vcc_lo, v3, v13, v3
	s_delay_alu instid0(VALU_DEP_1) | instskip(NEXT) | instid1(VALU_DEP_1)
	v_mul_f32_e32 v34, v33, v23
	v_fma_f32 v35, -v19, v34, v33
	s_delay_alu instid0(VALU_DEP_1) | instskip(NEXT) | instid1(VALU_DEP_1)
	v_fmac_f32_e32 v34, v35, v23
	v_fma_f32 v19, -v19, v34, v33
	s_delay_alu instid0(VALU_DEP_1) | instskip(NEXT) | instid1(VALU_DEP_1)
	v_div_fmas_f32 v19, v19, v23, v34
	v_div_fixup_f32 v3, v19, v13, v3
.LBB56_310:                             ;   in Loop: Header=BB56_5 Depth=1
	s_or_b32 exec_lo, exec_lo, s2
	v_sub_f32_e64 v19, 1.0, |v4|
	s_mov_b32 s2, exec_lo
                                        ; implicit-def: $vgpr13
	s_delay_alu instid0(VALU_DEP_1)
	v_cmpx_ngt_f32_e32 0, v19
	s_xor_b32 s2, exec_lo, s2
	s_cbranch_execz .LBB56_314
; %bb.311:                              ;   in Loop: Header=BB56_5 Depth=1
	v_mov_b32_e32 v13, v31
	s_mov_b32 s31, exec_lo
	v_cmpx_neq_f32_e32 0, v19
	s_cbranch_execz .LBB56_313
; %bb.312:                              ;   in Loop: Header=BB56_5 Depth=1
	v_dual_mul_f32 v13, v5, v5 :: v_dual_add_f32 v19, v19, v12
	s_delay_alu instid0(VALU_DEP_1) | instskip(NEXT) | instid1(VALU_DEP_1)
	v_div_scale_f32 v23, null, v19, v19, v13
	v_rcp_f32_e32 v33, v23
	v_nop
	s_delay_alu instid0(TRANS32_DEP_1) | instskip(NEXT) | instid1(VALU_DEP_1)
	v_fma_f32 v34, -v23, v33, 1.0
	v_fmac_f32_e32 v33, v34, v33
	v_div_scale_f32 v34, vcc_lo, v13, v19, v13
	s_delay_alu instid0(VALU_DEP_1) | instskip(NEXT) | instid1(VALU_DEP_1)
	v_mul_f32_e32 v35, v34, v33
	v_fma_f32 v36, -v23, v35, v34
	s_delay_alu instid0(VALU_DEP_1) | instskip(NEXT) | instid1(VALU_DEP_1)
	v_fmac_f32_e32 v35, v36, v33
	v_fma_f32 v23, -v23, v35, v34
	s_delay_alu instid0(VALU_DEP_1) | instskip(NEXT) | instid1(VALU_DEP_1)
	v_div_fmas_f32 v23, v23, v33, v35
	v_div_fixup_f32 v13, v23, v19, v13
.LBB56_313:                             ;   in Loop: Header=BB56_5 Depth=1
	s_or_b32 exec_lo, exec_lo, s31
                                        ; implicit-def: $vgpr19
.LBB56_314:                             ;   in Loop: Header=BB56_5 Depth=1
	s_and_not1_saveexec_b32 s2, s2
; %bb.315:                              ;   in Loop: Header=BB56_5 Depth=1
	v_sub_f32_e32 v13, v12, v19
; %bb.316:                              ;   in Loop: Header=BB56_5 Depth=1
	s_or_b32 exec_lo, exec_lo, s2
	s_delay_alu instid0(VALU_DEP_1) | instskip(NEXT) | instid1(VALU_DEP_1)
	v_dual_mul_f32 v3, 0.5, v3 :: v_dual_mul_f32 v19, 0.5, v13
	v_pk_add_f32 v[34:35], v[2:3], v[18:19]
	s_delay_alu instid0(VALU_DEP_1) | instskip(NEXT) | instid1(VALU_DEP_1)
	v_mul_f32_e32 v3, v34, v35
	v_mul_f32_e32 v13, 0x4f800000, v3
	v_cmp_gt_f32_e32 vcc_lo, 0xf800000, v3
	s_delay_alu instid0(VALU_DEP_2) | instskip(NEXT) | instid1(VALU_DEP_1)
	v_cndmask_b32_e32 v3, v3, v13, vcc_lo
	v_sqrt_f32_e32 v13, v3
	v_nop
	s_delay_alu instid0(TRANS32_DEP_1) | instskip(NEXT) | instid1(VALU_DEP_1)
	v_dual_add_nc_u32 v19, -1, v13 :: v_dual_add_nc_u32 v23, 1, v13
	v_fma_f32 v33, -v19, v13, v3
	s_delay_alu instid0(VALU_DEP_2) | instskip(NEXT) | instid1(VALU_DEP_2)
	v_fma_f32 v34, -v23, v13, v3
	v_cmp_ge_f32_e64 s2, 0, v33
	s_delay_alu instid0(VALU_DEP_1) | instskip(NEXT) | instid1(VALU_DEP_3)
	v_cndmask_b32_e64 v13, v13, v19, s2
	v_cmp_lt_f32_e64 s2, 0, v34
	s_delay_alu instid0(VALU_DEP_1) | instskip(NEXT) | instid1(VALU_DEP_1)
	v_cndmask_b32_e64 v13, v13, v23, s2
	v_mul_f32_e32 v19, 0x37800000, v13
	s_delay_alu instid0(VALU_DEP_1) | instskip(SKIP_1) | instid1(VALU_DEP_2)
	v_cndmask_b32_e32 v13, v13, v19, vcc_lo
	v_cmp_class_f32_e64 vcc_lo, v3, 0x260
	v_cndmask_b32_e32 v3, v13, v3, vcc_lo
	s_delay_alu instid0(VALU_DEP_1) | instskip(NEXT) | instid1(VALU_DEP_1)
	v_add_f32_e32 v34, v35, v3
	v_add_f32_e32 v37, 1.0, v34
	s_delay_alu instid0(VALU_DEP_1) | instskip(SKIP_2) | instid1(VALU_DEP_2)
	v_cvt_f64_f32_e32 v[38:39], v37
	v_frexp_mant_f32_e32 v13, v37
	v_add_f32_e32 v35, -1.0, v37
	v_cmp_gt_f32_e32 vcc_lo, 0x3f2aaaab, v13
	s_delay_alu instid0(VALU_DEP_2) | instskip(SKIP_1) | instid1(VALU_DEP_2)
	v_mov_b32_e32 v36, v35
	v_frexp_exp_i32_f64_e32 v3, v[38:39]
	v_pk_add_f32 v[38:39], v[34:35], v[36:37] neg_lo:[0,1] neg_hi:[0,1]
	s_delay_alu instid0(VALU_DEP_2) | instskip(SKIP_1) | instid1(VALU_DEP_2)
	v_subrev_co_ci_u32_e64 v3, null, 0, v3, vcc_lo
	v_cmp_neq_f32_e32 vcc_lo, 0x7f800000, v34
	v_sub_nc_u32_e32 v13, 0, v3
	s_delay_alu instid0(VALU_DEP_1) | instskip(NEXT) | instid1(VALU_DEP_1)
	v_ldexp_f32 v19, v37, v13
	v_dual_add_f32 v33, 1.0, v19 :: v_dual_add_f32 v41, -1.0, v19
	s_delay_alu instid0(VALU_DEP_1) | instskip(NEXT) | instid1(VALU_DEP_1)
	v_dual_add_f32 v23, 1.0, v39 :: v_dual_add_f32 v35, -1.0, v33
	v_add_f32_e32 v23, v38, v23
	s_delay_alu instid0(VALU_DEP_1) | instskip(NEXT) | instid1(VALU_DEP_3)
	v_ldexp_f32 v13, v23, v13
	v_dual_sub_f32 v23, v19, v35 :: v_dual_add_f32 v35, 1.0, v41
	s_delay_alu instid0(VALU_DEP_1) | instskip(NEXT) | instid1(VALU_DEP_2)
	v_sub_f32_e32 v19, v19, v35
	v_add_f32_e32 v23, v13, v23
	s_delay_alu instid0(VALU_DEP_1) | instskip(NEXT) | instid1(VALU_DEP_1)
	v_add_f32_e32 v35, v33, v23
	v_sub_f32_e32 v33, v35, v33
	s_delay_alu instid0(VALU_DEP_1) | instskip(SKIP_1) | instid1(VALU_DEP_1)
	v_dual_sub_f32 v23, v23, v33 :: v_dual_add_f32 v13, v13, v19
	v_rcp_f32_e32 v19, v35
	v_add_f32_e32 v37, v41, v13
	s_delay_alu instid0(TRANS32_DEP_1) | instid1(VALU_DEP_1)
	v_dual_mul_f32 v42, v37, v19 :: v_dual_sub_f32 v33, v37, v41
	s_delay_alu instid0(VALU_DEP_1) | instskip(NEXT) | instid1(VALU_DEP_1)
	v_dual_mul_f32 v38, v35, v42 :: v_dual_sub_f32 v13, v13, v33
	v_fma_f32 v40, v42, v35, -v38
	s_delay_alu instid0(VALU_DEP_1) | instskip(NEXT) | instid1(VALU_DEP_1)
	v_fmac_f32_e32 v40, v42, v23
	v_add_f32_e32 v36, v38, v40
	s_delay_alu instid0(VALU_DEP_1) | instskip(NEXT) | instid1(VALU_DEP_1)
	v_dual_sub_f32 v39, v37, v36 :: v_dual_mov_b32 v41, v36
	v_pk_add_f32 v[36:37], v[36:37], v[38:39] neg_lo:[0,1] neg_hi:[0,1]
	s_delay_alu instid0(VALU_DEP_1) | instskip(NEXT) | instid1(VALU_DEP_1)
	v_pk_add_f32 v[36:37], v[36:37], v[40:41] neg_lo:[0,1] neg_hi:[0,1]
	v_add_f32_e32 v13, v13, v37
	s_delay_alu instid0(VALU_DEP_1) | instskip(NEXT) | instid1(VALU_DEP_1)
	v_add_f32_e32 v13, v36, v13
	v_add_f32_e32 v37, v39, v13
	s_delay_alu instid0(VALU_DEP_1) | instskip(NEXT) | instid1(VALU_DEP_1)
	v_mul_f32_e32 v33, v19, v37
	v_mul_f32_e32 v40, v35, v33
	s_delay_alu instid0(VALU_DEP_1) | instskip(NEXT) | instid1(VALU_DEP_1)
	v_dual_fma_f32 v38, v33, v35, -v40 :: v_dual_add_f32 v35, v42, v33
	v_dual_fmac_f32 v38, v33, v23 :: v_dual_sub_f32 v23, v39, v37
	s_delay_alu instid0(VALU_DEP_1) | instskip(NEXT) | instid1(VALU_DEP_1)
	v_dual_add_f32 v36, v40, v38 :: v_dual_add_f32 v13, v13, v23
	v_dual_sub_f32 v23, v35, v42 :: v_dual_sub_f32 v41, v37, v36
	s_delay_alu instid0(VALU_DEP_1) | instskip(NEXT) | instid1(VALU_DEP_2)
	v_dual_mov_b32 v39, v36 :: v_dual_sub_f32 v23, v33, v23
	v_pk_add_f32 v[36:37], v[36:37], v[40:41] neg_lo:[0,1] neg_hi:[0,1]
	s_delay_alu instid0(VALU_DEP_1) | instskip(NEXT) | instid1(VALU_DEP_1)
	v_pk_add_f32 v[36:37], v[36:37], v[38:39] neg_lo:[0,1] neg_hi:[0,1]
	v_add_f32_e32 v13, v13, v37
	s_delay_alu instid0(VALU_DEP_1) | instskip(SKIP_1) | instid1(VALU_DEP_2)
	v_add_f32_e32 v13, v36, v13
	v_cvt_f32_i32_e32 v36, v3
	v_add_f32_e32 v13, v41, v13
	s_delay_alu instid0(VALU_DEP_1) | instskip(NEXT) | instid1(VALU_DEP_1)
	v_mul_f32_e32 v13, v19, v13
	v_add_f32_e32 v13, v23, v13
	s_delay_alu instid0(VALU_DEP_1) | instskip(NEXT) | instid1(VALU_DEP_1)
	v_add_f32_e32 v19, v35, v13
	v_mul_f32_e32 v23, v19, v19
	v_sub_f32_e32 v3, v19, v35
	s_delay_alu instid0(VALU_DEP_2) | instskip(SKIP_1) | instid1(VALU_DEP_2)
	v_fmaak_f32 v33, s22, v23, 0x3ecc95a3
	v_mul_f32_e32 v37, v19, v23
	v_fmaak_f32 v23, v23, v33, 0x3f2aaada
	s_delay_alu instid0(VALU_DEP_1) | instskip(NEXT) | instid1(VALU_DEP_1)
	v_pk_mul_f32 v[38:39], v[36:37], v[22:23]
	v_fma_f32 v40, 0x3f317218, v36, -v38
	v_dual_mov_b32 v42, v38 :: v_dual_sub_f32 v3, v13, v3
	v_ldexp_f32 v41, v19, 1
	s_delay_alu instid0(VALU_DEP_3) | instskip(NEXT) | instid1(VALU_DEP_3)
	v_fmac_f32_e32 v40, 0xb102e308, v36
	v_ldexp_f32 v3, v3, 1
	s_delay_alu instid0(VALU_DEP_2) | instskip(NEXT) | instid1(VALU_DEP_1)
	v_pk_add_f32 v[36:37], v[38:39], v[40:41]
	v_dual_sub_f32 v13, v37, v41 :: v_dual_mov_b32 v41, v36
	s_delay_alu instid0(VALU_DEP_1) | instskip(SKIP_1) | instid1(VALU_DEP_2)
	v_dual_mov_b32 v50, v37 :: v_dual_sub_f32 v13, v39, v13
	v_pk_add_f32 v[38:39], v[36:37], v[38:39] neg_lo:[0,1] neg_hi:[0,1]
	v_add_f32_e32 v43, v3, v13
	s_delay_alu instid0(VALU_DEP_1) | instskip(NEXT) | instid1(VALU_DEP_1)
	v_pk_add_f32 v[44:45], v[36:37], v[42:43]
	v_mov_b32_e32 v39, v45
	s_delay_alu instid0(VALU_DEP_1) | instskip(SKIP_1) | instid1(VALU_DEP_2)
	v_pk_add_f32 v[46:47], v[40:41], v[38:39]
	v_pk_add_f32 v[38:39], v[40:41], v[38:39] neg_lo:[0,1] neg_hi:[0,1]
	v_dual_mov_b32 v42, v47 :: v_dual_mov_b32 v39, v47
	s_delay_alu instid0(VALU_DEP_1) | instskip(SKIP_1) | instid1(VALU_DEP_2)
	v_pk_add_f32 v[48:49], v[42:43], v[36:37] neg_lo:[0,1] neg_hi:[0,1]
	v_dual_mov_b32 v46, v45 :: v_dual_mov_b32 v37, v36
	v_dual_mov_b32 v36, v43 :: v_dual_mov_b32 v51, v48
	v_mov_b32_e32 v3, v48
	s_delay_alu instid0(VALU_DEP_2) | instskip(NEXT) | instid1(VALU_DEP_2)
	v_pk_add_f32 v[48:49], v[46:47], v[50:51] neg_lo:[0,1] neg_hi:[0,1]
	v_pk_add_f32 v[40:41], v[44:45], v[2:3] neg_lo:[0,1] neg_hi:[0,1]
	v_mov_b32_e32 v40, v38
	s_delay_alu instid0(VALU_DEP_3) | instskip(NEXT) | instid1(VALU_DEP_1)
	v_pk_add_f32 v[36:37], v[36:37], v[48:49] neg_lo:[0,1] neg_hi:[0,1]
	v_pk_add_f32 v[40:41], v[40:41], v[36:37]
	s_delay_alu instid0(VALU_DEP_1) | instskip(NEXT) | instid1(VALU_DEP_1)
	v_mov_b32_e32 v44, v41
	v_pk_add_f32 v[44:45], v[40:41], v[44:45]
	s_delay_alu instid0(VALU_DEP_1) | instskip(NEXT) | instid1(VALU_DEP_1)
	v_pk_add_f32 v[42:43], v[42:43], v[44:45]
	v_dual_mov_b32 v37, v44 :: v_dual_mov_b32 v41, v42
	s_delay_alu instid0(VALU_DEP_1) | instskip(NEXT) | instid1(VALU_DEP_1)
	v_pk_add_f32 v[46:47], v[40:41], v[38:39] neg_lo:[0,1] neg_hi:[0,1]
	v_sub_f32_e32 v3, v40, v46
	s_delay_alu instid0(VALU_DEP_2) | instskip(NEXT) | instid1(VALU_DEP_2)
	v_pk_add_f32 v[36:37], v[36:37], v[46:47] neg_lo:[0,1] neg_hi:[0,1]
	v_sub_f32_e32 v3, v38, v3
	s_delay_alu instid0(VALU_DEP_1) | instskip(NEXT) | instid1(VALU_DEP_1)
	v_add_f32_e32 v3, v36, v3
	v_add_f32_e32 v3, v3, v37
	s_delay_alu instid0(VALU_DEP_1) | instskip(NEXT) | instid1(VALU_DEP_1)
	v_add_f32_e32 v3, v42, v3
	v_cndmask_b32_e32 v3, 0x7f800000, v3, vcc_lo
	v_cmp_ngt_f32_e32 vcc_lo, -1.0, v34
	s_delay_alu instid0(VALU_DEP_2) | instskip(SKIP_1) | instid1(VALU_DEP_2)
	v_cndmask_b32_e32 v3, 0x7fc00000, v3, vcc_lo
	v_cmp_neq_f32_e32 vcc_lo, -1.0, v34
	v_cndmask_b32_e32 v3, 0xff800000, v3, vcc_lo
	v_cmp_gt_f32_e64 vcc_lo, 0x33800000, |v34|
	s_delay_alu instid0(VALU_DEP_2)
	v_cndmask_b32_e32 v19, v3, v34, vcc_lo
.LBB56_317:                             ;   in Loop: Header=BB56_5 Depth=1
	s_and_not1_saveexec_b32 s30, s30
	s_cbranch_execz .LBB56_323
; %bb.318:                              ;   in Loop: Header=BB56_5 Depth=1
	s_mov_b32 s31, exec_lo
                                        ; implicit-def: $vgpr19
	v_cmpx_nlt_f32_e64 |v4|, 1.0
	s_xor_b32 s31, exec_lo, s31
	s_cbranch_execz .LBB56_320
; %bb.319:                              ;   in Loop: Header=BB56_5 Depth=1
	v_mul_f32_e32 v3, v1, v30
	s_delay_alu instid0(VALU_DEP_1) | instskip(SKIP_1) | instid1(VALU_DEP_2)
	v_mul_f32_e32 v13, 0x4f800000, v3
	v_cmp_gt_f32_e32 vcc_lo, 0xf800000, v3
	v_cndmask_b32_e32 v3, v3, v13, vcc_lo
	s_delay_alu instid0(VALU_DEP_1) | instskip(SKIP_1) | instid1(TRANS32_DEP_1)
	v_sqrt_f32_e32 v13, v3
	v_nop
	v_dual_add_nc_u32 v19, -1, v13 :: v_dual_add_nc_u32 v23, 1, v13
	s_delay_alu instid0(VALU_DEP_1) | instskip(NEXT) | instid1(VALU_DEP_2)
	v_fma_f32 v33, -v19, v13, v3
	v_fma_f32 v34, -v23, v13, v3
	s_delay_alu instid0(VALU_DEP_2) | instskip(NEXT) | instid1(VALU_DEP_1)
	v_cmp_ge_f32_e64 s2, 0, v33
	v_cndmask_b32_e64 v13, v13, v19, s2
	s_delay_alu instid0(VALU_DEP_3) | instskip(NEXT) | instid1(VALU_DEP_1)
	v_cmp_lt_f32_e64 s2, 0, v34
	v_cndmask_b32_e64 v13, v13, v23, s2
	s_delay_alu instid0(VALU_DEP_1) | instskip(NEXT) | instid1(VALU_DEP_1)
	v_mul_f32_e32 v19, 0x37800000, v13
	v_cndmask_b32_e32 v13, v13, v19, vcc_lo
	v_cmp_class_f32_e64 vcc_lo, v3, 0x260
	s_delay_alu instid0(VALU_DEP_2) | instskip(NEXT) | instid1(VALU_DEP_1)
	v_cndmask_b32_e32 v3, v13, v3, vcc_lo
	v_add_f32_e32 v34, v1, v3
	s_delay_alu instid0(VALU_DEP_1) | instskip(NEXT) | instid1(VALU_DEP_1)
	v_add_f32_e32 v37, 1.0, v34
	v_cvt_f64_f32_e32 v[38:39], v37
	v_frexp_mant_f32_e32 v13, v37
	v_add_f32_e32 v35, -1.0, v37
	s_delay_alu instid0(VALU_DEP_2) | instskip(NEXT) | instid1(VALU_DEP_2)
	v_cmp_gt_f32_e32 vcc_lo, 0x3f2aaaab, v13
	v_mov_b32_e32 v36, v35
	v_frexp_exp_i32_f64_e32 v3, v[38:39]
	s_delay_alu instid0(VALU_DEP_2) | instskip(NEXT) | instid1(VALU_DEP_2)
	v_pk_add_f32 v[38:39], v[34:35], v[36:37] neg_lo:[0,1] neg_hi:[0,1]
	v_subrev_co_ci_u32_e64 v3, null, 0, v3, vcc_lo
	v_cmp_neq_f32_e32 vcc_lo, 0x7f800000, v34
	s_delay_alu instid0(VALU_DEP_2) | instskip(NEXT) | instid1(VALU_DEP_1)
	v_sub_nc_u32_e32 v13, 0, v3
	v_ldexp_f32 v19, v37, v13
	s_delay_alu instid0(VALU_DEP_1) | instskip(NEXT) | instid1(VALU_DEP_1)
	v_dual_add_f32 v33, 1.0, v19 :: v_dual_add_f32 v41, -1.0, v19
	v_dual_add_f32 v23, 1.0, v39 :: v_dual_add_f32 v35, -1.0, v33
	s_delay_alu instid0(VALU_DEP_1) | instskip(NEXT) | instid1(VALU_DEP_1)
	v_add_f32_e32 v23, v38, v23
	v_ldexp_f32 v13, v23, v13
	s_delay_alu instid0(VALU_DEP_3) | instskip(NEXT) | instid1(VALU_DEP_1)
	v_dual_sub_f32 v23, v19, v35 :: v_dual_add_f32 v35, 1.0, v41
	v_sub_f32_e32 v19, v19, v35
	s_delay_alu instid0(VALU_DEP_2) | instskip(NEXT) | instid1(VALU_DEP_1)
	v_add_f32_e32 v23, v13, v23
	v_add_f32_e32 v35, v33, v23
	s_delay_alu instid0(VALU_DEP_1) | instskip(NEXT) | instid1(VALU_DEP_1)
	v_sub_f32_e32 v33, v35, v33
	v_dual_sub_f32 v23, v23, v33 :: v_dual_add_f32 v13, v13, v19
	v_rcp_f32_e32 v19, v35
	s_delay_alu instid0(VALU_DEP_1)
	v_add_f32_e32 v37, v41, v13
	s_delay_alu instid0(TRANS32_DEP_1) | instid1(VALU_DEP_1)
	v_dual_mul_f32 v42, v37, v19 :: v_dual_sub_f32 v33, v37, v41
	s_delay_alu instid0(VALU_DEP_1) | instskip(NEXT) | instid1(VALU_DEP_1)
	v_dual_mul_f32 v38, v35, v42 :: v_dual_sub_f32 v13, v13, v33
	v_fma_f32 v40, v42, v35, -v38
	s_delay_alu instid0(VALU_DEP_1) | instskip(NEXT) | instid1(VALU_DEP_1)
	v_fmac_f32_e32 v40, v42, v23
	v_add_f32_e32 v36, v38, v40
	s_delay_alu instid0(VALU_DEP_1) | instskip(NEXT) | instid1(VALU_DEP_1)
	v_dual_sub_f32 v39, v37, v36 :: v_dual_mov_b32 v41, v36
	v_pk_add_f32 v[36:37], v[36:37], v[38:39] neg_lo:[0,1] neg_hi:[0,1]
	s_delay_alu instid0(VALU_DEP_1) | instskip(NEXT) | instid1(VALU_DEP_1)
	v_pk_add_f32 v[36:37], v[36:37], v[40:41] neg_lo:[0,1] neg_hi:[0,1]
	v_add_f32_e32 v13, v13, v37
	s_delay_alu instid0(VALU_DEP_1) | instskip(NEXT) | instid1(VALU_DEP_1)
	v_add_f32_e32 v13, v36, v13
	v_add_f32_e32 v37, v39, v13
	s_delay_alu instid0(VALU_DEP_1) | instskip(NEXT) | instid1(VALU_DEP_1)
	v_mul_f32_e32 v33, v19, v37
	v_mul_f32_e32 v40, v35, v33
	s_delay_alu instid0(VALU_DEP_1) | instskip(NEXT) | instid1(VALU_DEP_1)
	v_dual_fma_f32 v38, v33, v35, -v40 :: v_dual_add_f32 v35, v42, v33
	v_dual_fmac_f32 v38, v33, v23 :: v_dual_sub_f32 v23, v39, v37
	s_delay_alu instid0(VALU_DEP_1) | instskip(NEXT) | instid1(VALU_DEP_1)
	v_dual_add_f32 v36, v40, v38 :: v_dual_add_f32 v13, v13, v23
	v_dual_sub_f32 v23, v35, v42 :: v_dual_sub_f32 v41, v37, v36
	s_delay_alu instid0(VALU_DEP_1) | instskip(NEXT) | instid1(VALU_DEP_2)
	v_dual_mov_b32 v39, v36 :: v_dual_sub_f32 v23, v33, v23
	v_pk_add_f32 v[36:37], v[36:37], v[40:41] neg_lo:[0,1] neg_hi:[0,1]
	s_delay_alu instid0(VALU_DEP_1) | instskip(NEXT) | instid1(VALU_DEP_1)
	v_pk_add_f32 v[36:37], v[36:37], v[38:39] neg_lo:[0,1] neg_hi:[0,1]
	v_add_f32_e32 v13, v13, v37
	s_delay_alu instid0(VALU_DEP_1) | instskip(SKIP_1) | instid1(VALU_DEP_2)
	v_add_f32_e32 v13, v36, v13
	v_cvt_f32_i32_e32 v36, v3
	v_add_f32_e32 v13, v41, v13
	s_delay_alu instid0(VALU_DEP_1) | instskip(NEXT) | instid1(VALU_DEP_1)
	v_mul_f32_e32 v13, v19, v13
	v_add_f32_e32 v13, v23, v13
	s_delay_alu instid0(VALU_DEP_1) | instskip(NEXT) | instid1(VALU_DEP_1)
	v_add_f32_e32 v19, v35, v13
	v_mul_f32_e32 v23, v19, v19
	v_sub_f32_e32 v3, v19, v35
	s_delay_alu instid0(VALU_DEP_2) | instskip(SKIP_1) | instid1(VALU_DEP_2)
	v_fmaak_f32 v33, s22, v23, 0x3ecc95a3
	v_mul_f32_e32 v37, v19, v23
	v_fmaak_f32 v23, v23, v33, 0x3f2aaada
	s_delay_alu instid0(VALU_DEP_1) | instskip(NEXT) | instid1(VALU_DEP_1)
	v_pk_mul_f32 v[38:39], v[36:37], v[22:23]
	v_fma_f32 v40, 0x3f317218, v36, -v38
	v_dual_mov_b32 v42, v38 :: v_dual_sub_f32 v3, v13, v3
	v_ldexp_f32 v41, v19, 1
	s_delay_alu instid0(VALU_DEP_3) | instskip(NEXT) | instid1(VALU_DEP_3)
	v_fmac_f32_e32 v40, 0xb102e308, v36
	v_ldexp_f32 v3, v3, 1
	s_delay_alu instid0(VALU_DEP_2) | instskip(NEXT) | instid1(VALU_DEP_1)
	v_pk_add_f32 v[36:37], v[38:39], v[40:41]
	v_dual_sub_f32 v13, v37, v41 :: v_dual_mov_b32 v41, v36
	s_delay_alu instid0(VALU_DEP_1) | instskip(SKIP_1) | instid1(VALU_DEP_2)
	v_dual_mov_b32 v50, v37 :: v_dual_sub_f32 v13, v39, v13
	v_pk_add_f32 v[38:39], v[36:37], v[38:39] neg_lo:[0,1] neg_hi:[0,1]
	v_add_f32_e32 v43, v3, v13
	s_delay_alu instid0(VALU_DEP_1) | instskip(NEXT) | instid1(VALU_DEP_1)
	v_pk_add_f32 v[44:45], v[36:37], v[42:43]
	v_mov_b32_e32 v39, v45
	s_delay_alu instid0(VALU_DEP_1) | instskip(SKIP_1) | instid1(VALU_DEP_2)
	v_pk_add_f32 v[46:47], v[40:41], v[38:39]
	v_pk_add_f32 v[38:39], v[40:41], v[38:39] neg_lo:[0,1] neg_hi:[0,1]
	v_dual_mov_b32 v42, v47 :: v_dual_mov_b32 v39, v47
	s_delay_alu instid0(VALU_DEP_1) | instskip(SKIP_1) | instid1(VALU_DEP_2)
	v_pk_add_f32 v[48:49], v[42:43], v[36:37] neg_lo:[0,1] neg_hi:[0,1]
	v_dual_mov_b32 v46, v45 :: v_dual_mov_b32 v37, v36
	v_dual_mov_b32 v36, v43 :: v_dual_mov_b32 v51, v48
	v_mov_b32_e32 v3, v48
	s_delay_alu instid0(VALU_DEP_2) | instskip(NEXT) | instid1(VALU_DEP_2)
	v_pk_add_f32 v[48:49], v[46:47], v[50:51] neg_lo:[0,1] neg_hi:[0,1]
	v_pk_add_f32 v[40:41], v[44:45], v[2:3] neg_lo:[0,1] neg_hi:[0,1]
	v_mov_b32_e32 v40, v38
	s_delay_alu instid0(VALU_DEP_3) | instskip(NEXT) | instid1(VALU_DEP_1)
	v_pk_add_f32 v[36:37], v[36:37], v[48:49] neg_lo:[0,1] neg_hi:[0,1]
	v_pk_add_f32 v[40:41], v[40:41], v[36:37]
	s_delay_alu instid0(VALU_DEP_1) | instskip(NEXT) | instid1(VALU_DEP_1)
	v_mov_b32_e32 v44, v41
	v_pk_add_f32 v[44:45], v[40:41], v[44:45]
	s_delay_alu instid0(VALU_DEP_1) | instskip(NEXT) | instid1(VALU_DEP_1)
	v_pk_add_f32 v[42:43], v[42:43], v[44:45]
	v_dual_mov_b32 v37, v44 :: v_dual_mov_b32 v41, v42
	s_delay_alu instid0(VALU_DEP_1) | instskip(NEXT) | instid1(VALU_DEP_1)
	v_pk_add_f32 v[46:47], v[40:41], v[38:39] neg_lo:[0,1] neg_hi:[0,1]
	v_sub_f32_e32 v3, v40, v46
	s_delay_alu instid0(VALU_DEP_2) | instskip(NEXT) | instid1(VALU_DEP_2)
	v_pk_add_f32 v[36:37], v[36:37], v[46:47] neg_lo:[0,1] neg_hi:[0,1]
	v_sub_f32_e32 v3, v38, v3
	s_delay_alu instid0(VALU_DEP_1) | instskip(NEXT) | instid1(VALU_DEP_1)
	v_add_f32_e32 v3, v36, v3
	v_add_f32_e32 v3, v3, v37
	s_delay_alu instid0(VALU_DEP_1) | instskip(NEXT) | instid1(VALU_DEP_1)
	v_add_f32_e32 v3, v42, v3
	v_cndmask_b32_e32 v3, 0x7f800000, v3, vcc_lo
	v_cmp_ngt_f32_e32 vcc_lo, -1.0, v34
	s_delay_alu instid0(VALU_DEP_2) | instskip(SKIP_1) | instid1(VALU_DEP_2)
	v_cndmask_b32_e32 v3, 0x7fc00000, v3, vcc_lo
	v_cmp_neq_f32_e32 vcc_lo, -1.0, v34
	v_cndmask_b32_e32 v3, 0xff800000, v3, vcc_lo
	v_cmp_gt_f32_e64 vcc_lo, 0x33800000, |v34|
	s_delay_alu instid0(VALU_DEP_2)
	v_cndmask_b32_e32 v19, v3, v34, vcc_lo
.LBB56_320:                             ;   in Loop: Header=BB56_5 Depth=1
	s_and_not1_saveexec_b32 s31, s31
	s_cbranch_execz .LBB56_322
; %bb.321:                              ;   in Loop: Header=BB56_5 Depth=1
	v_sub_f32_e64 v3, 1.0, |v4|
	s_delay_alu instid0(VALU_DEP_1) | instskip(NEXT) | instid1(VALU_DEP_1)
	v_mul_f32_e32 v3, v3, v30
	v_mul_f32_e32 v13, 0x4f800000, v3
	v_cmp_gt_f32_e32 vcc_lo, 0xf800000, v3
	s_delay_alu instid0(VALU_DEP_2) | instskip(NEXT) | instid1(VALU_DEP_1)
	v_cndmask_b32_e32 v3, v3, v13, vcc_lo
	v_sqrt_f32_e32 v13, v3
	v_nop
	s_delay_alu instid0(TRANS32_DEP_1) | instskip(NEXT) | instid1(VALU_DEP_1)
	v_dual_add_nc_u32 v19, -1, v13 :: v_dual_add_nc_u32 v23, 1, v13
	v_fma_f32 v33, -v19, v13, v3
	s_delay_alu instid0(VALU_DEP_2) | instskip(NEXT) | instid1(VALU_DEP_2)
	v_fma_f32 v34, -v23, v13, v3
	v_cmp_ge_f32_e64 s2, 0, v33
	s_delay_alu instid0(VALU_DEP_1) | instskip(NEXT) | instid1(VALU_DEP_3)
	v_cndmask_b32_e64 v13, v13, v19, s2
	v_cmp_lt_f32_e64 s2, 0, v34
	s_delay_alu instid0(VALU_DEP_1) | instskip(NEXT) | instid1(VALU_DEP_1)
	v_cndmask_b32_e64 v13, v13, v23, s2
	v_mul_f32_e32 v19, 0x37800000, v13
	s_delay_alu instid0(VALU_DEP_1) | instskip(SKIP_2) | instid1(VALU_DEP_3)
	v_cndmask_b32_e32 v13, v13, v19, vcc_lo
	v_cmp_class_f32_e64 vcc_lo, v3, 0x260
	v_and_b32_e32 v19, 0x7fffffff, v5
	v_cndmask_b32_e32 v3, v13, v3, vcc_lo
	s_delay_alu instid0(VALU_DEP_1) | instskip(SKIP_1) | instid1(VALU_DEP_2)
	v_div_scale_f32 v13, null, v3, v3, v19
	v_div_scale_f32 v19, vcc_lo, v19, v3, v19
	v_rcp_f32_e32 v23, v13
	v_nop
	s_delay_alu instid0(TRANS32_DEP_1) | instskip(NEXT) | instid1(VALU_DEP_1)
	v_fma_f32 v33, -v13, v23, 1.0
	v_fmac_f32_e32 v23, v33, v23
	s_delay_alu instid0(VALU_DEP_1) | instskip(NEXT) | instid1(VALU_DEP_1)
	v_mul_f32_e32 v33, v19, v23
	v_fma_f32 v34, -v13, v33, v19
	s_delay_alu instid0(VALU_DEP_1) | instskip(NEXT) | instid1(VALU_DEP_1)
	v_fmac_f32_e32 v33, v34, v23
	v_fma_f32 v13, -v13, v33, v19
	s_delay_alu instid0(VALU_DEP_1) | instskip(NEXT) | instid1(VALU_DEP_1)
	v_div_fmas_f32 v13, v13, v23, v33
	v_div_fixup_f32 v19, v13, v3, |v5|
.LBB56_322:                             ;   in Loop: Header=BB56_5 Depth=1
	s_or_b32 exec_lo, exec_lo, s31
.LBB56_323:                             ;   in Loop: Header=BB56_5 Depth=1
	s_delay_alu instid0(SALU_CYCLE_1)
	s_or_b32 exec_lo, exec_lo, s30
.LBB56_324:                             ;   in Loop: Header=BB56_5 Depth=1
	s_and_not1_saveexec_b32 s29, s29
	s_cbranch_execz .LBB56_326
; %bb.325:                              ;   in Loop: Header=BB56_5 Depth=1
	v_mul_f32_e64 v3, 0x4f800000, |v5|
	v_cmp_gt_f32_e64 vcc_lo, 0xf800000, |v5|
	s_delay_alu instid0(VALU_DEP_1) | instskip(NEXT) | instid1(VALU_DEP_1)
	v_cndmask_b32_e64 v3, |v5|, v3, vcc_lo
	v_sqrt_f32_e32 v13, v3
	v_nop
	s_delay_alu instid0(TRANS32_DEP_1) | instskip(NEXT) | instid1(VALU_DEP_1)
	v_dual_add_nc_u32 v19, -1, v13 :: v_dual_add_nc_u32 v23, 1, v13
	v_fma_f32 v33, -v19, v13, v3
	s_delay_alu instid0(VALU_DEP_2) | instskip(NEXT) | instid1(VALU_DEP_2)
	v_fma_f32 v34, -v23, v13, v3
	v_cmp_ge_f32_e64 s2, 0, v33
	s_delay_alu instid0(VALU_DEP_1) | instskip(NEXT) | instid1(VALU_DEP_3)
	v_cndmask_b32_e64 v13, v13, v19, s2
	v_cmp_lt_f32_e64 s2, 0, v34
	s_delay_alu instid0(VALU_DEP_1) | instskip(NEXT) | instid1(VALU_DEP_1)
	v_cndmask_b32_e64 v13, v13, v23, s2
	v_mul_f32_e32 v19, 0x37800000, v13
	s_delay_alu instid0(VALU_DEP_1) | instskip(SKIP_1) | instid1(VALU_DEP_2)
	v_cndmask_b32_e32 v13, v13, v19, vcc_lo
	v_cmp_class_f32_e64 vcc_lo, v3, 0x260
	v_cndmask_b32_e32 v19, v13, v3, vcc_lo
.LBB56_326:                             ;   in Loop: Header=BB56_5 Depth=1
	s_or_b32 exec_lo, exec_lo, s29
.LBB56_327:                             ;   in Loop: Header=BB56_5 Depth=1
	s_delay_alu instid0(SALU_CYCLE_1) | instskip(NEXT) | instid1(SALU_CYCLE_1)
	s_or_b32 exec_lo, exec_lo, s3
	s_mov_b32 s29, exec_lo
                                        ; implicit-def: $sgpr2
                                        ; implicit-def: $vgpr13
                                        ; implicit-def: $vgpr23
	v_cmpx_ngt_f32_e64 0x21000000, |v4|
	s_xor_b32 s29, exec_lo, s29
	s_cbranch_execz .LBB56_351
; %bb.328:                              ;   in Loop: Header=BB56_5 Depth=1
	v_and_b32_e32 v13, 0x7fffffff, v4
	s_mov_b32 s2, 0
	s_mov_b32 s30, exec_lo
	s_delay_alu instid0(VALU_DEP_1) | instskip(NEXT) | instid1(VALU_DEP_1)
	v_div_scale_f32 v3, null, v2, v2, v13
	v_rcp_f32_e32 v23, v3
	v_nop
	s_delay_alu instid0(TRANS32_DEP_1) | instskip(NEXT) | instid1(VALU_DEP_1)
	v_fma_f32 v33, -v3, v23, 1.0
	v_fmac_f32_e32 v23, v33, v23
	v_div_scale_f32 v33, vcc_lo, v13, v2, v13
	s_delay_alu instid0(VALU_DEP_1) | instskip(NEXT) | instid1(VALU_DEP_1)
	v_mul_f32_e32 v34, v33, v23
	v_fma_f32 v35, -v3, v34, v33
	s_delay_alu instid0(VALU_DEP_1) | instskip(NEXT) | instid1(VALU_DEP_1)
	v_fmac_f32_e32 v34, v35, v23
	v_fma_f32 v3, -v3, v34, v33
	s_delay_alu instid0(VALU_DEP_1) | instskip(NEXT) | instid1(VALU_DEP_1)
	v_div_fmas_f32 v3, v3, v23, v34
	v_div_fixup_f32 v23, v3, v2, |v4|
	s_delay_alu instid0(VALU_DEP_1)
	v_cmpx_lt_f32_e32 0x3f244674, v23
	s_cbranch_execz .LBB56_350
; %bb.329:                              ;   in Loop: Header=BB56_5 Depth=1
	v_cmp_neq_f32_e64 s2, |v4|, 1.0
	v_cmp_ngt_f32_e64 s3, 0x30800000, |v5|
	s_or_b32 s2, s2, s3
	s_delay_alu instid0(SALU_CYCLE_1) | instskip(NEXT) | instid1(SALU_CYCLE_1)
	s_and_saveexec_b32 s3, s2
	s_xor_b32 s3, exec_lo, s3
	s_cbranch_execz .LBB56_347
; %bb.330:                              ;   in Loop: Header=BB56_5 Depth=1
	v_mul_f32_e64 v3, 0x34000000, |v1|
	s_mov_b32 s31, exec_lo
	s_delay_alu instid0(VALU_DEP_1)
	v_cmpx_ge_f32_e64 |v5|, v3
	s_xor_b32 s31, exec_lo, s31
	s_cbranch_execz .LBB56_340
; %bb.331:                              ;   in Loop: Header=BB56_5 Depth=1
	v_mov_b32_e32 v3, v31
	s_mov_b32 s2, exec_lo
	v_cmpx_neq_f32_e32 0, v30
	s_cbranch_execz .LBB56_333
; %bb.332:                              ;   in Loop: Header=BB56_5 Depth=1
	v_dual_mul_f32 v3, v5, v5 :: v_dual_add_f32 v30, v30, v32
	s_delay_alu instid0(VALU_DEP_1) | instskip(NEXT) | instid1(VALU_DEP_1)
	v_div_scale_f32 v32, null, v30, v30, v3
	v_rcp_f32_e32 v33, v32
	v_nop
	s_delay_alu instid0(TRANS32_DEP_1) | instskip(NEXT) | instid1(VALU_DEP_1)
	v_fma_f32 v34, -v32, v33, 1.0
	v_fmac_f32_e32 v33, v34, v33
	v_div_scale_f32 v34, vcc_lo, v3, v30, v3
	s_delay_alu instid0(VALU_DEP_1) | instskip(NEXT) | instid1(VALU_DEP_1)
	v_mul_f32_e32 v35, v34, v33
	v_fma_f32 v36, -v32, v35, v34
	s_delay_alu instid0(VALU_DEP_1) | instskip(NEXT) | instid1(VALU_DEP_1)
	v_fmac_f32_e32 v35, v36, v33
	v_fma_f32 v32, -v32, v35, v34
	s_delay_alu instid0(VALU_DEP_1) | instskip(NEXT) | instid1(VALU_DEP_1)
	v_div_fmas_f32 v32, v32, v33, v35
	v_div_fixup_f32 v3, v32, v30, v3
.LBB56_333:                             ;   in Loop: Header=BB56_5 Depth=1
	s_or_b32 exec_lo, exec_lo, s2
	s_delay_alu instid0(SALU_CYCLE_1)
	s_mov_b32 s2, exec_lo
	v_cmpx_ngt_f32_e32 0, v1
	s_xor_b32 s2, exec_lo, s2
	s_cbranch_execz .LBB56_337
; %bb.334:                              ;   in Loop: Header=BB56_5 Depth=1
	s_mov_b32 s33, exec_lo
	v_cmpx_neq_f32_e32 0, v1
	s_cbranch_execz .LBB56_336
; %bb.335:                              ;   in Loop: Header=BB56_5 Depth=1
	v_mul_f32_e32 v30, v5, v5
	v_add_f32_e32 v1, v1, v12
	s_delay_alu instid0(VALU_DEP_1) | instskip(NEXT) | instid1(VALU_DEP_1)
	v_div_scale_f32 v12, null, v1, v1, v30
	v_rcp_f32_e32 v31, v12
	v_nop
	s_delay_alu instid0(TRANS32_DEP_1) | instskip(NEXT) | instid1(VALU_DEP_1)
	v_fma_f32 v32, -v12, v31, 1.0
	v_fmac_f32_e32 v31, v32, v31
	v_div_scale_f32 v32, vcc_lo, v30, v1, v30
	s_delay_alu instid0(VALU_DEP_1) | instskip(NEXT) | instid1(VALU_DEP_1)
	v_mul_f32_e32 v33, v32, v31
	v_fma_f32 v34, -v12, v33, v32
	s_delay_alu instid0(VALU_DEP_1) | instskip(NEXT) | instid1(VALU_DEP_1)
	v_fmac_f32_e32 v33, v34, v31
	v_fma_f32 v12, -v12, v33, v32
	s_delay_alu instid0(VALU_DEP_1) | instskip(NEXT) | instid1(VALU_DEP_1)
	v_div_fmas_f32 v12, v12, v31, v33
	v_div_fixup_f32 v31, v12, v1, v30
.LBB56_336:                             ;   in Loop: Header=BB56_5 Depth=1
	s_or_b32 exec_lo, exec_lo, s33
                                        ; implicit-def: $vgpr12
                                        ; implicit-def: $vgpr1
.LBB56_337:                             ;   in Loop: Header=BB56_5 Depth=1
	s_and_not1_saveexec_b32 s2, s2
; %bb.338:                              ;   in Loop: Header=BB56_5 Depth=1
	v_sub_f32_e32 v31, v12, v1
; %bb.339:                              ;   in Loop: Header=BB56_5 Depth=1
	s_or_b32 exec_lo, exec_lo, s2
	v_mul_f32_e32 v33, 0.5, v3
	s_delay_alu instid0(VALU_DEP_2) | instskip(SKIP_1) | instid1(VALU_DEP_1)
	v_mul_f32_e32 v3, 0.5, v31
	v_and_b32_e32 v32, 0x7fffffff, v4
	v_pk_add_f32 v[2:3], v[32:33], v[2:3]
	s_delay_alu instid0(VALU_DEP_1) | instskip(NEXT) | instid1(VALU_DEP_1)
	v_mul_f32_e32 v1, v2, v3
	v_mul_f32_e32 v2, 0x4f800000, v1
	v_cmp_gt_f32_e32 vcc_lo, 0xf800000, v1
	s_delay_alu instid0(VALU_DEP_2) | instskip(NEXT) | instid1(VALU_DEP_1)
	v_cndmask_b32_e32 v1, v1, v2, vcc_lo
	v_sqrt_f32_e32 v2, v1
	v_nop
	s_delay_alu instid0(TRANS32_DEP_1) | instskip(NEXT) | instid1(VALU_DEP_1)
	v_dual_add_nc_u32 v3, -1, v2 :: v_dual_add_nc_u32 v12, 1, v2
	v_fma_f32 v30, -v3, v2, v1
	s_delay_alu instid0(VALU_DEP_1) | instskip(NEXT) | instid1(VALU_DEP_3)
	v_cmp_ge_f32_e64 s2, 0, v30
	v_fma_f32 v31, -v12, v2, v1
                                        ; implicit-def: $vgpr30
	s_delay_alu instid0(VALU_DEP_2) | instskip(NEXT) | instid1(VALU_DEP_2)
	v_cndmask_b32_e64 v2, v2, v3, s2
	v_cmp_lt_f32_e64 s2, 0, v31
	s_delay_alu instid0(VALU_DEP_1) | instskip(NEXT) | instid1(VALU_DEP_1)
	v_cndmask_b32_e64 v2, v2, v12, s2
	v_mul_f32_e32 v3, 0x37800000, v2
	s_delay_alu instid0(VALU_DEP_1) | instskip(SKIP_1) | instid1(VALU_DEP_2)
	v_cndmask_b32_e32 v2, v2, v3, vcc_lo
	v_cmp_class_f32_e64 vcc_lo, v1, 0x260
	v_cndmask_b32_e32 v12, v2, v1, vcc_lo
                                        ; implicit-def: $vgpr1
.LBB56_340:                             ;   in Loop: Header=BB56_5 Depth=1
	s_and_not1_saveexec_b32 s31, s31
	s_cbranch_execz .LBB56_346
; %bb.341:                              ;   in Loop: Header=BB56_5 Depth=1
	s_mov_b32 s33, exec_lo
	v_cmpx_ngt_f32_e64 |v4|, 1.0
	s_xor_b32 s33, exec_lo, s33
	s_cbranch_execz .LBB56_343
; %bb.342:                              ;   in Loop: Header=BB56_5 Depth=1
	v_sub_f32_e64 v1, 1.0, |v4|
	s_delay_alu instid0(VALU_DEP_1) | instskip(NEXT) | instid1(VALU_DEP_1)
	v_mul_f32_e32 v1, v1, v30
	v_mul_f32_e32 v2, 0x4f800000, v1
	v_cmp_gt_f32_e32 vcc_lo, 0xf800000, v1
	s_delay_alu instid0(VALU_DEP_2) | instskip(NEXT) | instid1(VALU_DEP_1)
	v_cndmask_b32_e32 v1, v1, v2, vcc_lo
	v_sqrt_f32_e32 v2, v1
	v_nop
	s_delay_alu instid0(TRANS32_DEP_1) | instskip(NEXT) | instid1(VALU_DEP_1)
	v_dual_add_nc_u32 v3, -1, v2 :: v_dual_add_nc_u32 v12, 1, v2
	v_dual_fma_f32 v30, -v3, v2, v1 :: v_dual_fma_f32 v31, -v12, v2, v1
	s_delay_alu instid0(VALU_DEP_1) | instskip(NEXT) | instid1(VALU_DEP_1)
	v_cmp_ge_f32_e64 s2, 0, v30
                                        ; implicit-def: $vgpr30
	v_cndmask_b32_e64 v2, v2, v3, s2
	s_delay_alu instid0(VALU_DEP_3) | instskip(NEXT) | instid1(VALU_DEP_1)
	v_cmp_lt_f32_e64 s2, 0, v31
	v_cndmask_b32_e64 v2, v2, v12, s2
	s_delay_alu instid0(VALU_DEP_1) | instskip(NEXT) | instid1(VALU_DEP_1)
	v_mul_f32_e32 v3, 0x37800000, v2
	v_cndmask_b32_e32 v2, v2, v3, vcc_lo
	v_cmp_class_f32_e64 vcc_lo, v1, 0x260
	s_delay_alu instid0(VALU_DEP_2)
	v_cndmask_b32_e32 v12, v2, v1, vcc_lo
                                        ; implicit-def: $vgpr1
.LBB56_343:                             ;   in Loop: Header=BB56_5 Depth=1
	s_and_not1_saveexec_b32 s33, s33
	s_cbranch_execz .LBB56_345
; %bb.344:                              ;   in Loop: Header=BB56_5 Depth=1
	v_mul_f32_e32 v1, v30, v1
	s_delay_alu instid0(VALU_DEP_1) | instskip(SKIP_1) | instid1(VALU_DEP_2)
	v_mul_f32_e32 v2, 0x4f800000, v1
	v_cmp_gt_f32_e32 vcc_lo, 0xf800000, v1
	v_cndmask_b32_e32 v1, v1, v2, vcc_lo
	s_delay_alu instid0(VALU_DEP_1) | instskip(SKIP_1) | instid1(TRANS32_DEP_1)
	v_sqrt_f32_e32 v2, v1
	v_nop
	v_dual_add_nc_u32 v3, -1, v2 :: v_dual_add_nc_u32 v12, 1, v2
	s_delay_alu instid0(VALU_DEP_1) | instskip(NEXT) | instid1(VALU_DEP_1)
	v_dual_fma_f32 v13, -v3, v2, v1 :: v_dual_fma_f32 v30, -v12, v2, v1
	v_cmp_ge_f32_e64 s2, 0, v13
	s_delay_alu instid0(VALU_DEP_1) | instskip(NEXT) | instid1(VALU_DEP_3)
	v_cndmask_b32_e64 v2, v2, v3, s2
	v_cmp_lt_f32_e64 s2, 0, v30
	s_delay_alu instid0(VALU_DEP_1) | instskip(SKIP_1) | instid1(VALU_DEP_2)
	v_cndmask_b32_e64 v2, v2, v12, s2
	v_mul_f32_e64 v12, 0x57800000, |v5|
	v_mul_f32_e32 v3, 0x37800000, v2
	s_delay_alu instid0(VALU_DEP_1) | instskip(SKIP_1) | instid1(VALU_DEP_4)
	v_cndmask_b32_e32 v2, v2, v3, vcc_lo
	v_cmp_class_f32_e64 vcc_lo, v1, 0x260
	v_mul_f32_e64 v3, |v4|, v12
	s_delay_alu instid0(VALU_DEP_3) | instskip(NEXT) | instid1(VALU_DEP_1)
	v_cndmask_b32_e32 v1, v2, v1, vcc_lo
	v_div_scale_f32 v2, null, v1, v1, v3
	v_div_scale_f32 v30, vcc_lo, v3, v1, v3
	s_delay_alu instid0(VALU_DEP_2) | instskip(SKIP_1) | instid1(TRANS32_DEP_1)
	v_rcp_f32_e32 v12, v2
	v_nop
	v_fma_f32 v13, -v2, v12, 1.0
	s_delay_alu instid0(VALU_DEP_1) | instskip(NEXT) | instid1(VALU_DEP_1)
	v_fmac_f32_e32 v12, v13, v12
	v_mul_f32_e32 v13, v30, v12
	s_delay_alu instid0(VALU_DEP_1) | instskip(NEXT) | instid1(VALU_DEP_1)
	v_fma_f32 v31, -v2, v13, v30
	v_fmac_f32_e32 v13, v31, v12
	s_delay_alu instid0(VALU_DEP_1) | instskip(NEXT) | instid1(VALU_DEP_1)
	v_fma_f32 v2, -v2, v13, v30
	v_div_fmas_f32 v2, v2, v12, v13
	v_mul_f32_e64 v13, 0x57800000, |v4|
	s_delay_alu instid0(VALU_DEP_2)
	v_div_fixup_f32 v12, v2, v1, v3
.LBB56_345:                             ;   in Loop: Header=BB56_5 Depth=1
	s_or_b32 exec_lo, exec_lo, s33
.LBB56_346:                             ;   in Loop: Header=BB56_5 Depth=1
	s_delay_alu instid0(SALU_CYCLE_1)
	s_or_b32 exec_lo, exec_lo, s31
                                        ; implicit-def: $vgpr2
.LBB56_347:                             ;   in Loop: Header=BB56_5 Depth=1
	s_and_not1_saveexec_b32 s31, s3
	s_cbranch_execz .LBB56_349
; %bb.348:                              ;   in Loop: Header=BB56_5 Depth=1
	v_add_f32_e32 v1, 1.0, v2
	v_mul_f32_e64 v2, 0x4f800000, |v5|
	v_cmp_gt_f32_e64 vcc_lo, 0xf800000, |v5|
	s_delay_alu instid0(VALU_DEP_3) | instskip(NEXT) | instid1(VALU_DEP_2)
	v_mul_f32_e32 v1, 0.5, v1
	v_cndmask_b32_e64 v2, |v5|, v2, vcc_lo
	s_delay_alu instid0(VALU_DEP_2) | instskip(SKIP_1) | instid1(VALU_DEP_1)
	v_mul_f32_e32 v3, 0x4f800000, v1
	v_cmp_gt_f32_e64 s2, 0xf800000, v1
	v_cndmask_b32_e64 v1, v1, v3, s2
	s_delay_alu instid0(VALU_DEP_4) | instskip(SKIP_1) | instid1(TRANS32_DEP_1)
	v_sqrt_f32_e32 v3, v2
	v_nop
	v_add_nc_u32_e32 v31, 1, v3
	s_delay_alu instid0(VALU_DEP_3) | instskip(NEXT) | instid1(VALU_DEP_1)
	v_sqrt_f32_e32 v12, v1
	v_dual_add_nc_u32 v13, -1, v3 :: v_dual_fma_f32 v35, -v31, v3, v2
	s_delay_alu instid0(TRANS32_DEP_1) | instid1(VALU_DEP_1)
	v_dual_fma_f32 v32, -v13, v3, v2 :: v_dual_add_nc_u32 v33, 1, v12
	v_add_nc_u32_e32 v30, -1, v12
	s_delay_alu instid0(VALU_DEP_2) | instskip(NEXT) | instid1(VALU_DEP_1)
	v_cmp_ge_f32_e64 s3, 0, v32
	v_dual_fma_f32 v34, -v30, v12, v1 :: v_dual_cndmask_b32 v3, v3, v13, s3
	s_delay_alu instid0(VALU_DEP_4) | instskip(NEXT) | instid1(VALU_DEP_2)
	v_fma_f32 v13, -v33, v12, v1
	v_cmp_ge_f32_e64 s3, 0, v34
	s_delay_alu instid0(VALU_DEP_1) | instskip(SKIP_1) | instid1(VALU_DEP_1)
	v_cndmask_b32_e64 v12, v12, v30, s3
	v_cmp_lt_f32_e64 s3, 0, v35
	v_cndmask_b32_e64 v3, v3, v31, s3
	v_cmp_lt_f32_e64 s3, 0, v13
	s_delay_alu instid0(VALU_DEP_2) | instskip(NEXT) | instid1(VALU_DEP_1)
	v_mul_f32_e32 v13, 0x37800000, v3
	v_cndmask_b32_e32 v3, v3, v13, vcc_lo
	v_cmp_class_f32_e64 vcc_lo, v2, 0x260
	s_delay_alu instid0(VALU_DEP_4) | instskip(NEXT) | instid1(VALU_DEP_3)
	v_dual_cndmask_b32 v12, v12, v33, s3 :: v_dual_mov_b32 v13, 1.0
	v_cndmask_b32_e32 v2, v3, v2, vcc_lo
	s_delay_alu instid0(VALU_DEP_2) | instskip(SKIP_1) | instid1(VALU_DEP_2)
	v_mul_f32_e32 v30, 0x37800000, v12
	v_cmp_class_f32_e64 vcc_lo, v1, 0x260
	v_cndmask_b32_e64 v12, v12, v30, s2
	s_delay_alu instid0(VALU_DEP_1) | instskip(NEXT) | instid1(VALU_DEP_1)
	v_cndmask_b32_e32 v1, v12, v1, vcc_lo
	v_mul_f32_e32 v12, v2, v1
.LBB56_349:                             ;   in Loop: Header=BB56_5 Depth=1
	s_or_b32 exec_lo, exec_lo, s31
	s_delay_alu instid0(SALU_CYCLE_1)
	s_mov_b32 s2, exec_lo
.LBB56_350:                             ;   in Loop: Header=BB56_5 Depth=1
	s_or_b32 exec_lo, exec_lo, s30
                                        ; implicit-def: $vgpr2
.LBB56_351:                             ;   in Loop: Header=BB56_5 Depth=1
	s_and_not1_saveexec_b32 s3, s29
; %bb.352:                              ;   in Loop: Header=BB56_5 Depth=1
	v_and_b32_e32 v3, 0x7fffffff, v4
	s_or_b32 s2, s2, exec_lo
                                        ; implicit-def: $vgpr23
	s_delay_alu instid0(VALU_DEP_1)
	v_pk_mul_f32 v[12:13], v[2:3], s[20:21] op_sel_hi:[1,0]
; %bb.353:                              ;   in Loop: Header=BB56_5 Depth=1
	s_or_b32 exec_lo, exec_lo, s3
	s_xor_b32 s2, s2, -1
                                        ; implicit-def: $vgpr1
	s_delay_alu instid0(SALU_CYCLE_1) | instskip(NEXT) | instid1(SALU_CYCLE_1)
	s_and_saveexec_b32 s3, s2
	s_xor_b32 s2, exec_lo, s3
	s_cbranch_execz .LBB56_355
; %bb.354:                              ;   in Loop: Header=BB56_5 Depth=1
	v_fma_f32 v1, |v23|, -0.5, 0.5
	v_mul_f32_e32 v2, v23, v23
	v_cmp_ge_f32_e64 vcc_lo, |v23|, 0.5
                                        ; implicit-def: $vgpr13
	s_delay_alu instid0(VALU_DEP_2) | instskip(SKIP_1) | instid1(VALU_DEP_2)
	v_cndmask_b32_e32 v1, v2, v1, vcc_lo
	v_cmp_lt_f32_e64 vcc_lo, |v23|, 0.5
	v_sqrt_f32_e32 v3, v1
	v_fmaak_f32 v2, s23, v1, 0x3c5fc5da
	s_delay_alu instid0(VALU_DEP_1) | instskip(NEXT) | instid1(VALU_DEP_1)
	v_fmaak_f32 v2, v1, v2, 0x3d034c3c
	v_fmaak_f32 v2, v1, v2, 0x3d3641b1
	s_delay_alu instid0(VALU_DEP_1) | instskip(NEXT) | instid1(VALU_DEP_1)
	v_fmaak_f32 v2, v1, v2, 0x3d999bc8
	v_fmaak_f32 v2, v1, v2, 0x3e2aaaac
	s_delay_alu instid0(VALU_DEP_1) | instskip(NEXT) | instid1(VALU_DEP_1)
	v_mul_f32_e32 v1, v1, v2
	v_fmac_f32_e32 v3, v3, v1
	s_delay_alu instid0(VALU_DEP_1) | instskip(NEXT) | instid1(VALU_DEP_1)
	v_add_f32_e32 v2, v3, v3
	v_sub_f32_e32 v2, 0x3fc90fdb, v2
	v_fma_f32 v1, |v23|, v1, |v23|
	s_delay_alu instid0(VALU_DEP_1) | instskip(NEXT) | instid1(VALU_DEP_1)
	v_cndmask_b32_e32 v1, v2, v1, vcc_lo
	v_bfi_b32 v1, 0x7fffffff, v1, v23
.LBB56_355:                             ;   in Loop: Header=BB56_5 Depth=1
	s_and_not1_saveexec_b32 s3, s2
	s_cbranch_execz .LBB56_357
; %bb.356:                              ;   in Loop: Header=BB56_5 Depth=1
	v_max_num_f32_e32 v1, v13, v13
	v_max_num_f32_e64 v2, |v12|, |v12|
	v_cmp_gt_f32_e64 vcc_lo, v13, |v12|
	v_cmp_gt_i32_e64 s2, 0, v12
	v_cmp_class_f32_e64 s29, v12, 0x204
	s_delay_alu instid0(VALU_DEP_4) | instskip(NEXT) | instid1(VALU_DEP_1)
	v_dual_max_num_f32 v3, v2, v1 :: v_dual_min_num_f32 v1, v2, v1
	v_frexp_mant_f32_e32 v23, v3
	v_frexp_exp_i32_f32_e32 v2, v3
	s_delay_alu instid0(VALU_DEP_2)
	v_rcp_f32_e32 v3, v23
	v_nop
	v_frexp_exp_i32_f32_e32 v23, v1
	v_frexp_mant_f32_e32 v1, v1
	s_delay_alu instid0(TRANS32_DEP_1) | instid1(VALU_DEP_1)
	v_dual_mul_f32 v1, v1, v3 :: v_dual_sub_nc_u32 v2, v23, v2
	s_delay_alu instid0(VALU_DEP_1) | instskip(NEXT) | instid1(VALU_DEP_1)
	v_ldexp_f32 v1, v1, v2
	v_mul_f32_e32 v2, v1, v1
	s_delay_alu instid0(VALU_DEP_1) | instskip(NEXT) | instid1(VALU_DEP_1)
	v_fmaak_f32 v3, s24, v2, 0xbc7a590c
	v_fmaak_f32 v3, v2, v3, 0x3d29fb3f
	s_delay_alu instid0(VALU_DEP_1) | instskip(NEXT) | instid1(VALU_DEP_1)
	v_fmaak_f32 v3, v2, v3, 0xbd97d4d7
	v_fmaak_f32 v3, v2, v3, 0x3dd931b2
	;; [unrolled: 3-line block ×3, first 2 shown]
	s_delay_alu instid0(VALU_DEP_1) | instskip(NEXT) | instid1(VALU_DEP_1)
	v_fmaak_f32 v3, v2, v3, 0xbeaaaa62
	v_mul_f32_e32 v2, v2, v3
	s_delay_alu instid0(VALU_DEP_1) | instskip(NEXT) | instid1(VALU_DEP_1)
	v_fmac_f32_e32 v1, v1, v2
	v_sub_f32_e32 v2, 0x3fc90fdb, v1
	s_delay_alu instid0(VALU_DEP_1) | instskip(SKIP_1) | instid1(VALU_DEP_2)
	v_cndmask_b32_e32 v1, v1, v2, vcc_lo
	v_cmp_gt_f32_e32 vcc_lo, 0, v12
	v_sub_f32_e32 v2, 0x40490fdb, v1
	v_cndmask_b32_e32 v3, 0x3f490fdb, v29, vcc_lo
	s_delay_alu instid0(VALU_DEP_2) | instskip(SKIP_3) | instid1(VALU_DEP_2)
	v_cndmask_b32_e32 v1, v1, v2, vcc_lo
	v_cndmask_b32_e64 v2, 0, 0x40490fdb, s2
	v_cmp_eq_f32_e64 s2, 0, v13
	v_cmp_eq_f32_e32 vcc_lo, 0x7f800000, v13
	v_cndmask_b32_e64 v1, |v1|, v2, s2
	s_and_b32 vcc_lo, vcc_lo, s29
	s_delay_alu instid0(VALU_DEP_1) | instskip(SKIP_1) | instid1(VALU_DEP_2)
	v_cndmask_b32_e32 v1, v1, v3, vcc_lo
	v_cmp_o_f32_e32 vcc_lo, v12, v12
	v_cndmask_b32_e32 v1, 0x7fc00000, v1, vcc_lo
.LBB56_357:                             ;   in Loop: Header=BB56_5 Depth=1
	s_or_b32 exec_lo, exec_lo, s3
	s_delay_alu instid0(VALU_DEP_1)
	v_bfi_b32 v4, 0x7fffffff, v1, v4
	v_bfi_b32 v5, 0x7fffffff, v19, v5
.LBB56_358:                             ;   in Loop: Header=BB56_5 Depth=1
	s_or_b32 exec_lo, exec_lo, s28
.LBB56_359:                             ;   in Loop: Header=BB56_5 Depth=1
	s_delay_alu instid0(SALU_CYCLE_1) | instskip(NEXT) | instid1(VALU_DEP_1)
	s_or_b32 exec_lo, exec_lo, s27
	v_dual_mov_b32 v13, v5 :: v_dual_mov_b32 v12, v4
                                        ; implicit-def: $vgpr2_vgpr3_vgpr4_vgpr5
                                        ; implicit-def: $vgpr1
                                        ; implicit-def: $vgpr2
                                        ; implicit-def: $vgpr3
.LBB56_360:                             ;   in Loop: Header=BB56_5 Depth=1
	s_and_not1_saveexec_b32 s26, s26
	s_cbranch_execz .LBB56_382
; %bb.361:                              ;   in Loop: Header=BB56_5 Depth=1
                                        ; implicit-def: $sgpr27
                                        ; implicit-def: $vgpr12
                                        ; implicit-def: $vgpr13
	s_mov_b32 s2, exec_lo
	v_cmpx_lt_i32_e32 -1, v5
	s_xor_b32 s28, exec_lo, s2
	s_cbranch_execz .LBB56_371
; %bb.362:                              ;   in Loop: Header=BB56_5 Depth=1
	v_cmp_lt_f32_e64 s2, |v5|, |v4|
                                        ; implicit-def: $vgpr12
                                        ; implicit-def: $vgpr13
	s_mov_b32 s3, exec_lo
	v_cndmask_b32_e64 v19, |v5|, |v4|, s2
	s_delay_alu instid0(VALU_DEP_1)
	v_cmpx_nlt_f32_e32 0x7effffff, v19
	s_xor_b32 s27, exec_lo, s3
	s_cbranch_execz .LBB56_368
; %bb.363:                              ;   in Loop: Header=BB56_5 Depth=1
	v_cndmask_b32_e64 v23, |v4|, |v5|, s2
	v_cmp_nlt_f32_e32 vcc_lo, 0x5e000000, v19
                                        ; implicit-def: $vgpr12
                                        ; implicit-def: $vgpr13
	s_delay_alu instid0(VALU_DEP_2) | instskip(SKIP_1) | instid1(SALU_CYCLE_1)
	v_cmp_ngt_f32_e64 s3, 0x20000000, v23
	s_and_b32 s3, vcc_lo, s3
	s_and_saveexec_b32 s29, s3
	s_delay_alu instid0(SALU_CYCLE_1)
	s_xor_b32 s29, exec_lo, s29
	s_cbranch_execz .LBB56_365
; %bb.364:                              ;   in Loop: Header=BB56_5 Depth=1
	v_frexp_mant_f32_e32 v12, v3
	s_wait_dscnt 0x0
	v_dual_min_num_f32 v1, v2, v1 :: v_dual_mul_f32 v23, v23, v23
	v_frexp_exp_i32_f32_e32 v2, v3
	s_delay_alu instid0(VALU_DEP_3) | instskip(SKIP_1) | instid1(VALU_DEP_3)
	v_rcp_f32_e32 v3, v12
	v_nop
	v_frexp_exp_i32_f32_e32 v12, v1
	v_frexp_mant_f32_e32 v1, v1
	s_delay_alu instid0(TRANS32_DEP_1) | instid1(VALU_DEP_1)
	v_dual_mul_f32 v1, v1, v3 :: v_dual_sub_nc_u32 v2, v12, v2
	s_delay_alu instid0(VALU_DEP_1) | instskip(NEXT) | instid1(VALU_DEP_1)
	v_ldexp_f32 v13, v1, v2
	v_dual_fmac_f32 v23, v19, v19 :: v_dual_mul_f32 v2, v13, v13
	s_delay_alu instid0(VALU_DEP_1) | instskip(SKIP_1) | instid1(VALU_DEP_1)
	v_cmp_gt_f32_e32 vcc_lo, 0x800000, v23
	v_cndmask_b32_e64 v1, 0, 32, vcc_lo
	v_ldexp_f32 v1, v23, v1
	s_delay_alu instid0(VALU_DEP_1) | instskip(SKIP_1) | instid1(TRANS32_DEP_1)
	v_log_f32_e32 v1, v1
	v_nop
	v_mul_f32_e32 v12, 0x3f317217, v1
	v_cmp_gt_f32_e64 s3, 0x7f800000, |v1|
	s_delay_alu instid0(VALU_DEP_2) | instskip(NEXT) | instid1(VALU_DEP_1)
	v_fma_f32 v12, 0x3f317217, v1, -v12
	v_fmac_f32_e32 v12, 0x3377d1cf, v1
	s_delay_alu instid0(VALU_DEP_1) | instskip(NEXT) | instid1(VALU_DEP_1)
	v_fmac_f32_e32 v12, 0x3f317217, v1
	v_cndmask_b32_e64 v1, v1, v12, s3
	v_cndmask_b32_e64 v12, 0, 0x41b17218, vcc_lo
	s_delay_alu instid0(VALU_DEP_1) | instskip(NEXT) | instid1(VALU_DEP_1)
	v_sub_f32_e32 v1, v1, v12
	v_dual_fmaak_f32 v3, s24, v2, 0xbc7a590c :: v_dual_mul_f32 v12, 0.5, v1
	s_delay_alu instid0(VALU_DEP_1) | instskip(NEXT) | instid1(VALU_DEP_1)
	v_fmaak_f32 v3, v2, v3, 0x3d29fb3f
                                        ; implicit-def: $vgpr1
	v_fmaak_f32 v3, v2, v3, 0xbd97d4d7
	s_delay_alu instid0(VALU_DEP_1) | instskip(NEXT) | instid1(VALU_DEP_1)
	v_fmaak_f32 v3, v2, v3, 0x3dd931b2
	v_fmaak_f32 v3, v2, v3, 0xbe1160e6
	s_delay_alu instid0(VALU_DEP_1) | instskip(NEXT) | instid1(VALU_DEP_1)
	v_fmaak_f32 v3, v2, v3, 0x3e4cb8bf
	v_fmaak_f32 v3, v2, v3, 0xbeaaaa62
	s_delay_alu instid0(VALU_DEP_1) | instskip(NEXT) | instid1(VALU_DEP_1)
	v_mul_f32_e32 v2, v2, v3
                                        ; implicit-def: $vgpr3
	v_fmac_f32_e32 v13, v13, v2
                                        ; implicit-def: $vgpr2
.LBB56_365:                             ;   in Loop: Header=BB56_5 Depth=1
	s_and_not1_saveexec_b32 s3, s29
	s_cbranch_execz .LBB56_367
; %bb.366:                              ;   in Loop: Header=BB56_5 Depth=1
	v_cvt_f64_f32_e32 v[12:13], v3
	v_frexp_mant_f32_e32 v23, v3
	s_wait_dscnt 0x0
	v_min_num_f32_e32 v1, v2, v1
	v_frexp_exp_i32_f32_e32 v2, v3
	v_cmp_neq_f32_e32 vcc_lo, 0x7f800000, v3
	v_frexp_exp_i32_f64_e32 v12, v[12:13]
	s_delay_alu instid0(VALU_DEP_1) | instskip(NEXT) | instid1(VALU_DEP_1)
	v_sub_nc_u32_e32 v13, 0, v12
	v_ldexp_f32 v19, |v4|, v13
	s_delay_alu instid0(VALU_DEP_1) | instskip(SKIP_1) | instid1(VALU_DEP_1)
	v_mul_f32_e32 v19, v19, v19
	v_ldexp_f32 v13, |v5|, v13
	v_fmac_f32_e32 v19, v13, v13
	v_rcp_f32_e32 v13, v23
	v_nop
	v_frexp_exp_i32_f32_e32 v23, v1
	s_delay_alu instid0(VALU_DEP_1)
	v_sub_nc_u32_e32 v2, v23, v2
	v_frexp_mant_f32_e32 v1, v1
	s_delay_alu instid0(TRANS32_DEP_1) | instid1(VALU_DEP_1)
	v_mul_f32_e32 v1, v1, v13
	s_delay_alu instid0(VALU_DEP_1) | instskip(NEXT) | instid1(VALU_DEP_1)
	v_ldexp_f32 v13, v1, v2
	v_mul_f32_e32 v2, v13, v13
	v_sqrt_f32_e32 v19, v19
	v_nop
	s_delay_alu instid0(TRANS32_DEP_1) | instskip(NEXT) | instid1(VALU_DEP_1)
	v_ldexp_f32 v12, v19, v12
	v_cndmask_b32_e32 v1, 0x7f800000, v12, vcc_lo
	v_fmaak_f32 v12, s24, v2, 0xbc7a590c
	s_delay_alu instid0(VALU_DEP_2) | instskip(SKIP_2) | instid1(VALU_DEP_2)
	v_cmp_gt_f32_e32 vcc_lo, 0x800000, v1
	v_cndmask_b32_e64 v3, 0, 32, vcc_lo
	v_cndmask_b32_e64 v19, 0, 0x41b17218, vcc_lo
	v_ldexp_f32 v1, v1, v3
	v_fmaak_f32 v3, v2, v12, 0x3d29fb3f
	s_delay_alu instid0(VALU_DEP_2) | instskip(SKIP_1) | instid1(TRANS32_DEP_1)
	v_log_f32_e32 v1, v1
	v_nop
	v_mul_f32_e32 v12, 0x3f317217, v1
	v_cmp_gt_f32_e64 vcc_lo, 0x7f800000, |v1|
	s_delay_alu instid0(VALU_DEP_2) | instskip(NEXT) | instid1(VALU_DEP_1)
	v_fma_f32 v12, 0x3f317217, v1, -v12
	v_fmac_f32_e32 v12, 0x3377d1cf, v1
	s_delay_alu instid0(VALU_DEP_1) | instskip(NEXT) | instid1(VALU_DEP_1)
	v_fmac_f32_e32 v12, 0x3f317217, v1
	v_cndmask_b32_e32 v1, v1, v12, vcc_lo
	s_delay_alu instid0(VALU_DEP_1) | instskip(SKIP_1) | instid1(VALU_DEP_1)
	v_sub_f32_e32 v12, v1, v19
	v_fmaak_f32 v3, v2, v3, 0xbd97d4d7
	v_fmaak_f32 v3, v2, v3, 0x3dd931b2
	s_delay_alu instid0(VALU_DEP_1) | instskip(NEXT) | instid1(VALU_DEP_1)
	v_fmaak_f32 v3, v2, v3, 0xbe1160e6
	v_fmaak_f32 v3, v2, v3, 0x3e4cb8bf
	s_delay_alu instid0(VALU_DEP_1) | instskip(NEXT) | instid1(VALU_DEP_1)
	v_fmaak_f32 v3, v2, v3, 0xbeaaaa62
	v_mul_f32_e32 v2, v2, v3
	s_delay_alu instid0(VALU_DEP_1)
	v_fmac_f32_e32 v13, v13, v2
.LBB56_367:                             ;   in Loop: Header=BB56_5 Depth=1
	s_or_b32 exec_lo, exec_lo, s3
                                        ; implicit-def: $vgpr2
                                        ; implicit-def: $vgpr1
                                        ; implicit-def: $vgpr3
.LBB56_368:                             ;   in Loop: Header=BB56_5 Depth=1
	s_and_not1_saveexec_b32 s27, s27
	s_cbranch_execz .LBB56_370
; %bb.369:                              ;   in Loop: Header=BB56_5 Depth=1
	v_div_scale_f32 v12, null, 0x402df854, 0x402df854, v5
	v_div_scale_f32 v13, null, 0x402df854, 0x402df854, v4
	v_div_scale_f32 v32, vcc_lo, v5, 0x402df854, v5
	s_delay_alu instid0(VALU_DEP_3) | instskip(NEXT) | instid1(VALU_DEP_2)
	v_rcp_f32_e32 v19, v12
	v_rcp_f32_e32 v23, v13
	s_delay_alu instid0(TRANS32_DEP_2) | instskip(NEXT) | instid1(TRANS32_DEP_1)
	v_fma_f32 v30, -v12, v19, 1.0
	v_fma_f32 v31, -v13, v23, 1.0
	s_delay_alu instid0(VALU_DEP_2) | instskip(SKIP_1) | instid1(VALU_DEP_3)
	v_fmac_f32_e32 v19, v30, v19
	v_div_scale_f32 v30, s3, v4, 0x402df854, v4
	v_fmac_f32_e32 v23, v31, v23
	s_delay_alu instid0(VALU_DEP_1) | instskip(NEXT) | instid1(VALU_DEP_1)
	v_mul_f32_e32 v33, v30, v23
	v_dual_fma_f32 v35, -v13, v33, v30 :: v_dual_mul_f32 v31, v32, v19
	s_delay_alu instid0(VALU_DEP_1) | instskip(NEXT) | instid1(VALU_DEP_1)
	v_fmac_f32_e32 v33, v35, v23
	v_dual_fma_f32 v34, -v12, v31, v32 :: v_dual_fma_f32 v13, -v13, v33, v30
	s_delay_alu instid0(VALU_DEP_1) | instskip(NEXT) | instid1(VALU_DEP_1)
	v_fmac_f32_e32 v31, v34, v19
	v_fma_f32 v12, -v12, v31, v32
	s_delay_alu instid0(VALU_DEP_1) | instskip(SKIP_2) | instid1(VALU_DEP_2)
	v_div_fmas_f32 v12, v12, v19, v31
	s_mov_b32 vcc_lo, s3
	v_div_fmas_f32 v13, v13, v23, v33
	v_div_fixup_f32 v19, v12, 0x402df854, v5
	s_delay_alu instid0(VALU_DEP_2) | instskip(NEXT) | instid1(VALU_DEP_1)
	v_div_fixup_f32 v23, v13, 0x402df854, v4
	v_max_num_f32_e64 v30, v19, |v23|
	s_delay_alu instid0(VALU_DEP_1) | instskip(SKIP_1) | instid1(VALU_DEP_2)
	v_cvt_f64_f32_e32 v[12:13], v30
	v_cmp_neq_f32_e32 vcc_lo, 0x7f800000, v30
	v_frexp_exp_i32_f64_e32 v12, v[12:13]
	s_delay_alu instid0(VALU_DEP_1) | instskip(NEXT) | instid1(VALU_DEP_1)
	v_sub_nc_u32_e32 v13, 0, v12
	v_ldexp_f32 v23, |v23|, v13
	v_ldexp_f32 v13, v19, v13
	s_delay_alu instid0(VALU_DEP_2) | instskip(NEXT) | instid1(VALU_DEP_1)
	v_mul_f32_e32 v19, v23, v23
	v_fmac_f32_e32 v19, v13, v13
	v_frexp_mant_f32_e32 v13, v3
	v_frexp_exp_i32_f32_e32 v3, v3
	s_wait_dscnt 0x0
	v_min_num_f32_e32 v1, v2, v1
	v_sqrt_f32_e32 v2, v19
	v_rcp_f32_e32 v13, v13
	s_delay_alu instid0(VALU_DEP_1) | instskip(NEXT) | instid1(TRANS32_DEP_2)
	v_frexp_exp_i32_f32_e32 v19, v1
	v_ldexp_f32 v2, v2, v12
	s_delay_alu instid0(VALU_DEP_2)
	v_sub_nc_u32_e32 v3, v19, v3
	v_frexp_mant_f32_e32 v1, v1
	s_delay_alu instid0(TRANS32_DEP_1) | instid1(VALU_DEP_1)
	v_mul_f32_e32 v1, v1, v13
	s_delay_alu instid0(VALU_DEP_1) | instskip(NEXT) | instid1(VALU_DEP_1)
	v_ldexp_f32 v13, v1, v3
	v_dual_cndmask_b32 v2, 0x7f800000, v2 :: v_dual_mul_f32 v3, v13, v13
	s_delay_alu instid0(VALU_DEP_1) | instskip(SKIP_2) | instid1(VALU_DEP_2)
	v_cmp_gt_f32_e32 vcc_lo, 0x800000, v2
	v_cndmask_b32_e64 v1, 0, 32, vcc_lo
	v_cndmask_b32_e64 v19, 0, 0x41b17218, vcc_lo
	v_ldexp_f32 v1, v2, v1
	v_fmaak_f32 v2, s24, v3, 0xbc7a590c
	s_delay_alu instid0(VALU_DEP_2) | instskip(SKIP_1) | instid1(TRANS32_DEP_1)
	v_log_f32_e32 v1, v1
	v_nop
	v_mul_f32_e32 v12, 0x3f317217, v1
	v_cmp_gt_f32_e64 vcc_lo, 0x7f800000, |v1|
	s_delay_alu instid0(VALU_DEP_2) | instskip(NEXT) | instid1(VALU_DEP_1)
	v_fma_f32 v12, 0x3f317217, v1, -v12
	v_fmac_f32_e32 v12, 0x3377d1cf, v1
	s_delay_alu instid0(VALU_DEP_1) | instskip(NEXT) | instid1(VALU_DEP_1)
	v_fmac_f32_e32 v12, 0x3f317217, v1
	v_dual_fmaak_f32 v2, v3, v2, 0x3d29fb3f :: v_dual_cndmask_b32 v1, v1, v12
	s_delay_alu instid0(VALU_DEP_1) | instskip(NEXT) | instid1(VALU_DEP_1)
	v_dual_fmaak_f32 v2, v3, v2, 0xbd97d4d7 :: v_dual_sub_f32 v1, v1, v19
	v_fmaak_f32 v2, v3, v2, 0x3dd931b2
	s_delay_alu instid0(VALU_DEP_2) | instskip(NEXT) | instid1(VALU_DEP_2)
	v_add_f32_e32 v12, 1.0, v1
	v_fmaak_f32 v2, v3, v2, 0xbe1160e6
	s_delay_alu instid0(VALU_DEP_1) | instskip(NEXT) | instid1(VALU_DEP_1)
	v_fmaak_f32 v2, v3, v2, 0x3e4cb8bf
	v_fmaak_f32 v2, v3, v2, 0xbeaaaa62
	s_delay_alu instid0(VALU_DEP_1) | instskip(NEXT) | instid1(VALU_DEP_1)
	v_mul_f32_e32 v2, v3, v2
	v_fmac_f32_e32 v13, v13, v2
.LBB56_370:                             ;   in Loop: Header=BB56_5 Depth=1
	s_or_b32 exec_lo, exec_lo, s27
	s_wait_dscnt 0x0
	s_delay_alu instid0(VALU_DEP_1) | instskip(SKIP_2) | instid1(VALU_DEP_3)
	v_sub_f32_e32 v1, 0x3fc90fdb, v13
	v_cmp_neq_f32_e32 vcc_lo, 0, v4
	v_cmp_class_f32_e64 s27, v5, 0x204
	v_cndmask_b32_e64 v1, v13, v1, s2
	s_delay_alu instid0(VALU_DEP_1)
	v_cndmask_b32_e32 v13, 0, v1, vcc_lo
                                        ; implicit-def: $vgpr1
.LBB56_371:                             ;   in Loop: Header=BB56_5 Depth=1
	s_and_not1_saveexec_b32 s28, s28
	s_cbranch_execz .LBB56_381
; %bb.372:                              ;   in Loop: Header=BB56_5 Depth=1
	v_cmp_gt_f32_e64 s2, |v4|, -v5
                                        ; implicit-def: $vgpr12
                                        ; implicit-def: $vgpr2
	s_mov_b32 s3, exec_lo
	v_cndmask_b32_e64 v3, -v5, |v4|, s2
	s_delay_alu instid0(VALU_DEP_1)
	v_cmpx_nlt_f32_e32 0x7effffff, v3
	s_xor_b32 s29, exec_lo, s3
	s_cbranch_execz .LBB56_378
; %bb.373:                              ;   in Loop: Header=BB56_5 Depth=1
	v_xor_b32_e32 v2, 0x80000000, v5
	v_cmp_nlt_f32_e32 vcc_lo, 0x5e000000, v3
                                        ; implicit-def: $vgpr12
	s_delay_alu instid0(VALU_DEP_2) | instskip(NEXT) | instid1(VALU_DEP_1)
	v_cndmask_b32_e64 v13, |v4|, v2, s2
                                        ; implicit-def: $vgpr2
	v_cmp_ngt_f32_e64 s3, 0x20000000, v13
	s_and_b32 s3, vcc_lo, s3
	s_delay_alu instid0(SALU_CYCLE_1) | instskip(NEXT) | instid1(SALU_CYCLE_1)
	s_and_saveexec_b32 s30, s3
	s_xor_b32 s30, exec_lo, s30
	s_cbranch_execz .LBB56_375
; %bb.374:                              ;   in Loop: Header=BB56_5 Depth=1
	v_mul_f32_e32 v13, v13, v13
	s_delay_alu instid0(VALU_DEP_1) | instskip(SKIP_1) | instid1(VALU_DEP_1)
	v_dual_max_num_f32 v2, -v5, -v5 :: v_dual_fmac_f32 v13, v3, v3
	s_wait_dscnt 0x0
	v_dual_max_num_f32 v12, v2, v1 :: v_dual_min_num_f32 v1, v2, v1
	s_delay_alu instid0(VALU_DEP_2) | instskip(NEXT) | instid1(VALU_DEP_2)
	v_cmp_gt_f32_e32 vcc_lo, 0x800000, v13
	v_frexp_mant_f32_e32 v19, v12
	v_frexp_exp_i32_f32_e32 v2, v12
	s_delay_alu instid0(VALU_DEP_2)
	v_rcp_f32_e32 v12, v19
	v_nop
	v_frexp_exp_i32_f32_e32 v19, v1
	v_frexp_mant_f32_e32 v1, v1
	s_delay_alu instid0(TRANS32_DEP_1) | instid1(VALU_DEP_1)
	v_dual_mul_f32 v1, v1, v12 :: v_dual_sub_nc_u32 v2, v19, v2
	s_delay_alu instid0(VALU_DEP_1) | instskip(SKIP_1) | instid1(VALU_DEP_2)
	v_ldexp_f32 v2, v1, v2
	v_cndmask_b32_e64 v1, 0, 32, vcc_lo
	v_mul_f32_e32 v3, v2, v2
	s_delay_alu instid0(VALU_DEP_2) | instskip(NEXT) | instid1(VALU_DEP_1)
	v_ldexp_f32 v1, v13, v1
	v_log_f32_e32 v1, v1
	v_nop
	s_delay_alu instid0(TRANS32_DEP_1) | instskip(SKIP_1) | instid1(VALU_DEP_2)
	v_mul_f32_e32 v13, 0x3f317217, v1
	v_cmp_gt_f32_e64 s3, 0x7f800000, |v1|
	v_fma_f32 v13, 0x3f317217, v1, -v13
	s_delay_alu instid0(VALU_DEP_1) | instskip(NEXT) | instid1(VALU_DEP_1)
	v_fmac_f32_e32 v13, 0x3377d1cf, v1
	v_fmac_f32_e32 v13, 0x3f317217, v1
	s_delay_alu instid0(VALU_DEP_1) | instskip(SKIP_1) | instid1(VALU_DEP_1)
	v_cndmask_b32_e64 v1, v1, v13, s3
	v_cndmask_b32_e64 v13, 0, 0x41b17218, vcc_lo
	v_dual_fmaak_f32 v12, s24, v3, 0xbc7a590c :: v_dual_sub_f32 v1, v1, v13
	s_delay_alu instid0(VALU_DEP_1) | instskip(NEXT) | instid1(VALU_DEP_1)
	v_fmaak_f32 v12, v3, v12, 0x3d29fb3f
	v_fmaak_f32 v12, v3, v12, 0xbd97d4d7
	s_delay_alu instid0(VALU_DEP_1) | instskip(NEXT) | instid1(VALU_DEP_1)
	v_fmaak_f32 v12, v3, v12, 0x3dd931b2
	v_fmaak_f32 v12, v3, v12, 0xbe1160e6
	;; [unrolled: 3-line block ×3, first 2 shown]
	s_delay_alu instid0(VALU_DEP_1) | instskip(NEXT) | instid1(VALU_DEP_1)
	v_dual_mul_f32 v3, v3, v12 :: v_dual_mul_f32 v12, 0.5, v1
                                        ; implicit-def: $vgpr1
	v_fmac_f32_e32 v2, v2, v3
.LBB56_375:                             ;   in Loop: Header=BB56_5 Depth=1
	s_and_not1_saveexec_b32 s3, s30
	s_cbranch_execz .LBB56_377
; %bb.376:                              ;   in Loop: Header=BB56_5 Depth=1
	v_max_num_f32_e64 v12, -v5, -v5
	s_wait_dscnt 0x0
	s_delay_alu instid0(VALU_DEP_1) | instskip(NEXT) | instid1(VALU_DEP_1)
	v_max_num_f32_e32 v13, v12, v1
	v_cvt_f64_f32_e32 v[2:3], v13
	s_delay_alu instid0(VALU_DEP_1) | instskip(NEXT) | instid1(VALU_DEP_1)
	v_frexp_exp_i32_f64_e32 v2, v[2:3]
	v_sub_nc_u32_e32 v3, 0, v2
	s_delay_alu instid0(VALU_DEP_1) | instskip(SKIP_1) | instid1(VALU_DEP_2)
	v_ldexp_f32 v19, |v4|, v3
	v_ldexp_f32 v3, -v5, v3
	v_dual_mul_f32 v19, v19, v19 :: v_dual_min_num_f32 v1, v12, v1
	v_frexp_mant_f32_e32 v12, v13
	v_cmp_neq_f32_e32 vcc_lo, 0x7f800000, v13
	s_delay_alu instid0(VALU_DEP_3) | instskip(SKIP_1) | instid1(VALU_DEP_4)
	v_fmac_f32_e32 v19, v3, v3
	v_frexp_exp_i32_f32_e32 v3, v13
	v_rcp_f32_e32 v12, v12
	v_frexp_exp_i32_f32_e32 v23, v1
	v_frexp_mant_f32_e32 v1, v1
	v_sqrt_f32_e32 v19, v19
	s_delay_alu instid0(TRANS32_DEP_2) | instid1(VALU_DEP_1)
	v_dual_sub_nc_u32 v3, v23, v3 :: v_dual_mul_f32 v1, v1, v12
	s_delay_alu instid0(TRANS32_DEP_1) | instskip(NEXT) | instid1(VALU_DEP_2)
	v_ldexp_f32 v12, v19, v2
	v_ldexp_f32 v2, v1, v3
	s_delay_alu instid0(VALU_DEP_2) | instskip(NEXT) | instid1(VALU_DEP_1)
	v_cndmask_b32_e32 v1, 0x7f800000, v12, vcc_lo
	v_cmp_gt_f32_e32 vcc_lo, 0x800000, v1
	v_cndmask_b32_e64 v12, 0, 32, vcc_lo
	v_cndmask_b32_e64 v19, 0, 0x41b17218, vcc_lo
	s_delay_alu instid0(VALU_DEP_2) | instskip(NEXT) | instid1(VALU_DEP_1)
	v_ldexp_f32 v1, v1, v12
	v_log_f32_e32 v1, v1
	v_nop
	s_delay_alu instid0(TRANS32_DEP_1) | instskip(SKIP_1) | instid1(VALU_DEP_1)
	v_cmp_gt_f32_e64 vcc_lo, 0x7f800000, |v1|
	v_mul_f32_e32 v3, v2, v2
	v_fmaak_f32 v13, s24, v3, 0xbc7a590c
	s_delay_alu instid0(VALU_DEP_1) | instskip(SKIP_1) | instid1(VALU_DEP_1)
	v_fmaak_f32 v12, v3, v13, 0x3d29fb3f
	v_mul_f32_e32 v13, 0x3f317217, v1
	v_fma_f32 v13, 0x3f317217, v1, -v13
	s_delay_alu instid0(VALU_DEP_1) | instskip(NEXT) | instid1(VALU_DEP_1)
	v_fmac_f32_e32 v13, 0x3377d1cf, v1
	v_fmac_f32_e32 v13, 0x3f317217, v1
	s_delay_alu instid0(VALU_DEP_1) | instskip(NEXT) | instid1(VALU_DEP_1)
	v_dual_cndmask_b32 v1, v1, v13 :: v_dual_fmaak_f32 v12, v3, v12, 0xbd97d4d7
	v_fmaak_f32 v12, v3, v12, 0x3dd931b2
	s_delay_alu instid0(VALU_DEP_1) | instskip(NEXT) | instid1(VALU_DEP_1)
	v_fmaak_f32 v12, v3, v12, 0xbe1160e6
	v_fmaak_f32 v12, v3, v12, 0x3e4cb8bf
	s_delay_alu instid0(VALU_DEP_1) | instskip(NEXT) | instid1(VALU_DEP_1)
	v_fmaak_f32 v12, v3, v12, 0xbeaaaa62
	v_dual_mul_f32 v3, v3, v12 :: v_dual_sub_f32 v12, v1, v19
	s_delay_alu instid0(VALU_DEP_1)
	v_fmac_f32_e32 v2, v2, v3
.LBB56_377:                             ;   in Loop: Header=BB56_5 Depth=1
	s_or_b32 exec_lo, exec_lo, s3
                                        ; implicit-def: $vgpr1
.LBB56_378:                             ;   in Loop: Header=BB56_5 Depth=1
	s_and_not1_saveexec_b32 s29, s29
	s_cbranch_execz .LBB56_380
; %bb.379:                              ;   in Loop: Header=BB56_5 Depth=1
	v_div_scale_f32 v2, null, 0xc02df854, 0xc02df854, v5
	v_div_scale_f32 v3, null, 0xc02df854, 0xc02df854, v4
	v_div_scale_f32 v30, vcc_lo, v5, 0xc02df854, v5
	s_delay_alu instid0(VALU_DEP_3) | instskip(NEXT) | instid1(VALU_DEP_2)
	v_rcp_f32_e32 v12, v2
	v_rcp_f32_e32 v13, v3
	s_delay_alu instid0(TRANS32_DEP_2) | instskip(NEXT) | instid1(TRANS32_DEP_1)
	v_fma_f32 v19, -v2, v12, 1.0
	v_fma_f32 v23, -v3, v13, 1.0
	s_delay_alu instid0(VALU_DEP_1) | instskip(NEXT) | instid1(VALU_DEP_3)
	v_fmac_f32_e32 v13, v23, v13
	v_fmac_f32_e32 v12, v19, v12
	v_div_scale_f32 v19, s3, v4, 0xc02df854, v4
	s_delay_alu instid0(VALU_DEP_1) | instskip(NEXT) | instid1(VALU_DEP_1)
	v_dual_mul_f32 v31, v19, v13 :: v_dual_mul_f32 v23, v30, v12
	v_fma_f32 v33, -v3, v31, v19
	s_delay_alu instid0(VALU_DEP_1) | instskip(NEXT) | instid1(VALU_DEP_1)
	v_dual_fma_f32 v32, -v2, v23, v30 :: v_dual_fmac_f32 v31, v33, v13
	v_fmac_f32_e32 v23, v32, v12
	s_delay_alu instid0(VALU_DEP_2) | instskip(NEXT) | instid1(VALU_DEP_2)
	v_fma_f32 v3, -v3, v31, v19
	v_fma_f32 v2, -v2, v23, v30
	s_delay_alu instid0(VALU_DEP_1) | instskip(SKIP_3) | instid1(VALU_DEP_3)
	v_div_fmas_f32 v2, v2, v12, v23
	s_mov_b32 vcc_lo, s3
	v_max_num_f32_e64 v23, -v5, -v5
	v_div_fmas_f32 v3, v3, v13, v31
	v_div_fixup_f32 v12, v2, 0xc02df854, v5
	s_delay_alu instid0(VALU_DEP_2) | instskip(NEXT) | instid1(VALU_DEP_1)
	v_div_fixup_f32 v13, v3, 0xc02df854, v4
	v_max_num_f32_e64 v19, |v12|, |v13|
	s_delay_alu instid0(VALU_DEP_1) | instskip(SKIP_1) | instid1(VALU_DEP_2)
	v_cvt_f64_f32_e32 v[2:3], v19
	v_cmp_neq_f32_e32 vcc_lo, 0x7f800000, v19
	v_frexp_exp_i32_f64_e32 v2, v[2:3]
	s_delay_alu instid0(VALU_DEP_1) | instskip(NEXT) | instid1(VALU_DEP_1)
	v_sub_nc_u32_e32 v3, 0, v2
	v_ldexp_f32 v13, |v13|, v3
	v_ldexp_f32 v3, |v12|, v3
	s_delay_alu instid0(VALU_DEP_2) | instskip(SKIP_2) | instid1(VALU_DEP_1)
	v_mul_f32_e32 v12, v13, v13
	s_wait_dscnt 0x0
	v_dual_max_num_f32 v13, v23, v1 :: v_dual_min_num_f32 v1, v23, v1
	v_frexp_exp_i32_f32_e32 v23, v1
	v_frexp_mant_f32_e32 v1, v1
	v_fmac_f32_e32 v12, v3, v3
	s_delay_alu instid0(VALU_DEP_4) | instskip(SKIP_1) | instid1(VALU_DEP_2)
	v_frexp_mant_f32_e32 v3, v13
	v_frexp_exp_i32_f32_e32 v13, v13
	v_rcp_f32_e32 v3, v3
	v_nop
	s_delay_alu instid0(TRANS32_DEP_1) | instskip(SKIP_2) | instid1(TRANS32_DEP_1)
	v_mul_f32_e32 v1, v1, v3
	v_sqrt_f32_e32 v12, v12
	v_nop
	v_ldexp_f32 v2, v12, v2
	s_delay_alu instid0(VALU_DEP_1) | instskip(NEXT) | instid1(VALU_DEP_1)
	v_dual_cndmask_b32 v3, 0x7f800000, v2 :: v_dual_sub_nc_u32 v12, v23, v13
	v_ldexp_f32 v2, v1, v12
	s_delay_alu instid0(VALU_DEP_2) | instskip(SKIP_2) | instid1(VALU_DEP_2)
	v_cmp_gt_f32_e32 vcc_lo, 0x800000, v3
	v_cndmask_b32_e64 v1, 0, 32, vcc_lo
	v_cndmask_b32_e64 v19, 0, 0x41b17218, vcc_lo
	v_ldexp_f32 v1, v3, v1
	s_delay_alu instid0(VALU_DEP_1) | instskip(SKIP_1) | instid1(TRANS32_DEP_1)
	v_log_f32_e32 v1, v1
	v_nop
	v_dual_mul_f32 v12, v2, v2 :: v_dual_mul_f32 v13, 0x3f317217, v1
	v_cmp_gt_f32_e64 vcc_lo, 0x7f800000, |v1|
	s_delay_alu instid0(VALU_DEP_2) | instskip(NEXT) | instid1(VALU_DEP_1)
	v_fma_f32 v13, 0x3f317217, v1, -v13
	v_fmac_f32_e32 v13, 0x3377d1cf, v1
	s_delay_alu instid0(VALU_DEP_1) | instskip(NEXT) | instid1(VALU_DEP_1)
	v_fmac_f32_e32 v13, 0x3f317217, v1
	v_cndmask_b32_e32 v1, v1, v13, vcc_lo
	s_delay_alu instid0(VALU_DEP_1) | instskip(SKIP_1) | instid1(VALU_DEP_1)
	v_sub_f32_e32 v1, v1, v19
	v_fmaak_f32 v3, s24, v12, 0xbc7a590c
	v_fmaak_f32 v3, v12, v3, 0x3d29fb3f
	s_delay_alu instid0(VALU_DEP_1) | instskip(NEXT) | instid1(VALU_DEP_1)
	v_fmaak_f32 v3, v12, v3, 0xbd97d4d7
	v_fmaak_f32 v3, v12, v3, 0x3dd931b2
	s_delay_alu instid0(VALU_DEP_1) | instskip(NEXT) | instid1(VALU_DEP_1)
	;; [unrolled: 3-line block ×3, first 2 shown]
	v_fmaak_f32 v3, v12, v3, 0xbeaaaa62
	v_dual_mul_f32 v3, v12, v3 :: v_dual_add_f32 v12, 1.0, v1
	s_delay_alu instid0(VALU_DEP_1)
	v_fmac_f32_e32 v2, v2, v3
.LBB56_380:                             ;   in Loop: Header=BB56_5 Depth=1
	s_or_b32 exec_lo, exec_lo, s29
	s_wait_dscnt 0x0
	s_delay_alu instid0(VALU_DEP_1) | instskip(SKIP_1) | instid1(VALU_DEP_2)
	v_sub_f32_e32 v1, 0x3fc90fdb, v2
	v_cmp_eq_f32_e32 vcc_lo, 0xff800000, v5
	v_cndmask_b32_e64 v1, v2, v1, s2
	v_cmp_neq_f32_e64 s2, 0, v4
	s_and_b32 s3, vcc_lo, exec_lo
	v_cndmask_b32_e64 v13, 0, v1, s2
	s_and_not1_b32 s2, s27, exec_lo
	s_delay_alu instid0(SALU_CYCLE_1)
	s_or_b32 s27, s2, s3
.LBB56_381:                             ;   in Loop: Header=BB56_5 Depth=1
	s_or_b32 exec_lo, exec_lo, s28
	v_cmp_class_f32_e64 s2, v4, 0x204
	v_add_f32_e32 v2, 0x3f317218, v12
	s_and_b32 s2, s2, s27
	s_wait_dscnt 0x0
	v_cndmask_b32_e64 v1, v13, 0x3f490fdb, s2
	s_delay_alu instid0(VALU_DEP_2) | instskip(NEXT) | instid1(VALU_DEP_2)
	v_bfi_b32 v13, 0x7fffffff, v2, v5
	v_bfi_b32 v12, 0x7fffffff, v1, v4
.LBB56_382:                             ;   in Loop: Header=BB56_5 Depth=1
	s_or_b32 exec_lo, exec_lo, s26
                                        ; implicit-def: $vgpr4_vgpr5
.LBB56_383:                             ;   in Loop: Header=BB56_5 Depth=1
	s_and_not1_saveexec_b32 s2, s18
	s_cbranch_execz .LBB56_4
; %bb.384:                              ;   in Loop: Header=BB56_5 Depth=1
	v_cmp_neq_f32_e64 s3, 0x7f800000, |v5|
	s_and_saveexec_b32 s18, s3
	s_delay_alu instid0(SALU_CYCLE_1)
	s_xor_b32 s3, exec_lo, s18
	s_cbranch_execz .LBB56_394
; %bb.385:                              ;   in Loop: Header=BB56_5 Depth=1
	v_cmp_neq_f32_e64 s18, 0x7f800000, |v4|
	s_and_saveexec_b32 s26, s18
	s_delay_alu instid0(SALU_CYCLE_1)
	s_xor_b32 s18, exec_lo, s26
	s_cbranch_execz .LBB56_391
; %bb.386:                              ;   in Loop: Header=BB56_5 Depth=1
	s_mov_b32 s26, exec_lo
	v_cmpx_neq_f32_e32 0, v4
	s_xor_b32 s26, exec_lo, s26
	s_cbranch_execz .LBB56_388
; %bb.387:                              ;   in Loop: Header=BB56_5 Depth=1
	s_wait_dscnt 0x0
	v_add_f32_e32 v1, 0, v5
	s_delay_alu instid0(VALU_DEP_1)
	v_add_f32_e32 v13, v4, v1
                                        ; implicit-def: $vgpr4_vgpr5
.LBB56_388:                             ;   in Loop: Header=BB56_5 Depth=1
	s_or_saveexec_b32 s26, s26
	s_delay_alu instid0(VALU_DEP_1)
	v_mov_b32_e32 v12, v13
	s_xor_b32 exec_lo, exec_lo, s26
; %bb.389:                              ;   in Loop: Header=BB56_5 Depth=1
	v_pk_add_f32 v[12:13], v[4:5], v[4:5]
	v_mov_b32_e32 v12, v4
; %bb.390:                              ;   in Loop: Header=BB56_5 Depth=1
	s_or_b32 exec_lo, exec_lo, s26
                                        ; implicit-def: $vgpr4_vgpr5
.LBB56_391:                             ;   in Loop: Header=BB56_5 Depth=1
	s_and_not1_saveexec_b32 s18, s18
; %bb.392:                              ;   in Loop: Header=BB56_5 Depth=1
	v_dual_add_f32 v12, v5, v5 :: v_dual_mov_b32 v13, v4
; %bb.393:                              ;   in Loop: Header=BB56_5 Depth=1
	s_or_b32 exec_lo, exec_lo, s18
                                        ; implicit-def: $vgpr4_vgpr5
.LBB56_394:                             ;   in Loop: Header=BB56_5 Depth=1
	s_and_not1_saveexec_b32 s3, s3
	s_cbranch_execz .LBB56_3
; %bb.395:                              ;   in Loop: Header=BB56_5 Depth=1
	v_dual_add_f32 v12, v4, v4 :: v_dual_mov_b32 v13, v5
	s_branch .LBB56_3
.LBB56_396:
	s_or_b32 exec_lo, exec_lo, s21
	s_mov_b32 s2, 0
.LBB56_397:
	s_delay_alu instid0(SALU_CYCLE_1)
	s_and_not1_b32 vcc_lo, exec_lo, s2
	s_cbranch_vccnz .LBB56_809
; %bb.398:
	v_cmp_lt_i64_e64 s2, s[8:9], 1
	s_and_b32 vcc_lo, exec_lo, s2
	s_cbranch_vccnz .LBB56_809
; %bb.399:
	s_load_b32 s0, s[0:1], 0xc5c
	v_min_i64 v[2:3], 0x10000, s[8:9]
	v_min_u64 v[4:5], 0x10000, s[8:9]
	s_wait_dscnt 0x0
	v_dual_mov_b32 v1, 0 :: v_dual_mov_b32 v12, 0
	v_mbcnt_lo_u32_b32 v6, -1, 0
	v_lshlrev_b32_e32 v16, 3, v0
	s_wait_xcnt 0x0
	s_mov_b32 s1, 0
	v_dual_mov_b32 v17, v1 :: v_dual_mov_b32 v31, v1
	v_lshlrev_b32_e32 v13, 20, v6
	s_mov_b32 s17, s1
	s_mov_b32 s3, s1
	;; [unrolled: 1-line block ×3, first 2 shown]
	v_add_nc_u64_e32 v[8:9], s[4:5], v[16:17]
	v_add_nc_u64_e32 v[6:7], src_flat_scratch_base_lo, v[12:13]
	v_add_nc_u64_e32 v[10:11], s[12:13], v[16:17]
	v_mov_b32_e32 v48, 0xd800000
	v_dual_mov_b32 v32, 1.0 :: v_dual_mov_b32 v49, 0x4016cbe4
	s_wait_kmcnt 0x0
	s_and_b32 s0, s0, 0xffff
	v_mov_b32_e32 v34, 0x3f317218
	v_add_nc_u64_e32 v[14:15], s[0:1], v[0:1]
	v_mad_nc_u64_u32 v[20:21], s0, 24, v[16:17]
	s_lshl_b32 s16, s0, 4
	v_mov_b32_e32 v12, 4
	v_add_nc_u64_e32 v[24:25], s[16:17], v[16:17]
	s_lshl_b32 s2, s0, 1
	s_mul_i32 s14, s0, 3
	v_lshlrev_b32_e32 v30, 3, v14
	v_add_nc_u64_e32 v[12:13], src_flat_scratch_base_lo, v[12:13]
	v_add_nc_u64_e32 v[16:17], s[14:15], v[0:1]
	v_add_nc_u64_e32 v[26:27], s[2:3], v[0:1]
	;; [unrolled: 1-line block ×8, first 2 shown]
	s_mov_b32 s9, s1
	s_mov_b32 s11, s1
	s_lshl_b32 s8, s0, 2
	s_lshl_b32 s10, s0, 5
	s_mov_b64 s[12:13], 0
	s_mov_b32 s15, 0x3e9b6dac
	s_mov_b32 s14, 0x4b800000
	;; [unrolled: 1-line block ×4, first 2 shown]
	s_branch .LBB56_401
.LBB56_400:                             ;   in Loop: Header=BB56_401 Depth=1
	s_wait_xcnt 0x0
	s_or_b32 exec_lo, exec_lo, s0
	s_add_nc_u64 s[12:13], s[12:13], s[8:9]
	v_add_nc_u64_e32 v[8:9], s[10:11], v[8:9]
	v_cmp_ge_i64_e32 vcc_lo, s[12:13], v[2:3]
	v_add_nc_u64_e32 v[10:11], s[10:11], v[10:11]
	v_add_nc_u64_e32 v[18:19], s[10:11], v[18:19]
	;; [unrolled: 1-line block ×7, first 2 shown]
	s_cbranch_vccnz .LBB56_809
.LBB56_401:                             ; =>This Inner Loop Header: Depth=1
	v_add_nc_u64_e32 v[36:37], s[12:13], v[0:1]
	v_dual_mov_b32 v38, 0 :: v_dual_mov_b32 v39, 0
	s_delay_alu instid0(VALU_DEP_2)
	v_cmp_lt_u64_e64 s0, v[36:37], v[4:5]
	s_and_saveexec_b32 s1, s0
	s_cbranch_execz .LBB56_403
; %bb.402:                              ;   in Loop: Header=BB56_401 Depth=1
	v_add_nc_u64_e32 v[36:37], s[6:7], v[8:9]
	global_load_b64 v[38:39], v[36:37], off
.LBB56_403:                             ;   in Loop: Header=BB56_401 Depth=1
	s_wait_xcnt 0x0
	s_or_b32 exec_lo, exec_lo, s1
	v_add_nc_u64_e32 v[36:37], s[12:13], v[14:15]
	v_dual_mov_b32 v41, 0 :: v_dual_mov_b32 v40, 0
	s_delay_alu instid0(VALU_DEP_2)
	v_cmp_lt_u64_e64 s1, v[36:37], v[4:5]
	v_mov_b32_e32 v36, 0
	s_and_saveexec_b32 s2, s1
	s_cbranch_execz .LBB56_405
; %bb.404:                              ;   in Loop: Header=BB56_401 Depth=1
	v_add_nc_u64_e32 v[40:41], s[6:7], v[28:29]
	global_load_b64 v[40:41], v[40:41], off
.LBB56_405:                             ;   in Loop: Header=BB56_401 Depth=1
	s_wait_xcnt 0x0
	s_or_b32 exec_lo, exec_lo, s2
	v_add_nc_u64_e32 v[42:43], s[12:13], v[26:27]
	v_mov_b32_e32 v37, 0
	s_delay_alu instid0(VALU_DEP_2)
	v_cmp_lt_u64_e64 s2, v[42:43], v[4:5]
	s_and_saveexec_b32 s3, s2
	s_cbranch_execz .LBB56_407
; %bb.406:                              ;   in Loop: Header=BB56_401 Depth=1
	v_add_nc_u64_e32 v[36:37], s[6:7], v[22:23]
	global_load_b64 v[36:37], v[36:37], off
.LBB56_407:                             ;   in Loop: Header=BB56_401 Depth=1
	s_wait_xcnt 0x0
	s_or_b32 exec_lo, exec_lo, s3
	v_add_nc_u64_e32 v[42:43], s[12:13], v[16:17]
	s_delay_alu instid0(VALU_DEP_1)
	v_cmp_lt_u64_e64 s3, v[42:43], v[4:5]
	v_dual_mov_b32 v42, 0 :: v_dual_mov_b32 v43, 0
	s_and_saveexec_b32 s4, s3
	s_cbranch_execz .LBB56_409
; %bb.408:                              ;   in Loop: Header=BB56_401 Depth=1
	v_add_nc_u64_e32 v[42:43], s[6:7], v[18:19]
	global_load_b64 v[42:43], v[42:43], off
.LBB56_409:                             ;   in Loop: Header=BB56_401 Depth=1
	s_wait_xcnt 0x0
	s_or_b32 exec_lo, exec_lo, s4
	s_delay_alu instid0(SALU_CYCLE_1)
	s_mov_b32 s4, exec_lo
	s_wait_loadcnt 0x0
	v_cmpx_o_f32_e32 v39, v38
	s_xor_b32 s18, exec_lo, s4
	s_cbranch_execz .LBB56_493
; %bb.410:                              ;   in Loop: Header=BB56_401 Depth=1
	s_wait_dscnt 0x0
	v_max_num_f32_e64 v33, |v38|, |v38|
	v_max_num_f32_e64 v35, |v39|, |v39|
	s_mov_b32 s4, exec_lo
	s_delay_alu instid0(VALU_DEP_1) | instskip(NEXT) | instid1(VALU_DEP_1)
	v_max_num_f32_e32 v44, v35, v33
	v_cmpx_nlt_f32_e32 0x4b000000, v44
	s_xor_b32 s19, exec_lo, s4
	s_cbranch_execz .LBB56_470
; %bb.411:                              ;   in Loop: Header=BB56_401 Depth=1
	v_cmp_neq_f32_e32 vcc_lo, 0, v39
	v_cmp_neq_f32_e64 s4, 0, v38
	s_or_b32 s4, vcc_lo, s4
	s_delay_alu instid0(SALU_CYCLE_1)
	s_and_saveexec_b32 s20, s4
	s_cbranch_execz .LBB56_469
; %bb.412:                              ;   in Loop: Header=BB56_401 Depth=1
	flat_store_b32 v[6:7], v48 scope:SCOPE_SYS
	s_wait_storecnt 0x0
	flat_load_b32 v33, v[6:7] scope:SCOPE_SYS
	s_wait_loadcnt 0x0
	v_cmp_ngt_f32_e64 s4, 0x395db3d7, |v39|
	v_cmp_ngt_f32_e64 s5, 0x395db3d7, |v38|
	s_or_b32 s4, s4, s5
	s_wait_dscnt 0x0
	v_add_f32_e32 v33, 1.0, v33
	flat_store_b32 v[12:13], v33 scope:SCOPE_SYS
	s_wait_storecnt 0x0
	flat_load_b32 v33, v[12:13] scope:SCOPE_SYS
	s_wait_loadcnt 0x0
	s_wait_xcnt 0x0
	s_and_saveexec_b32 s21, s4
	s_cbranch_execz .LBB56_468
; %bb.413:                              ;   in Loop: Header=BB56_401 Depth=1
	v_add_f32_e64 v51, |v38|, 1.0
	v_add_f32_e64 v50, |v38|, -1.0
	s_mov_b32 s4, exec_lo
	s_wait_dscnt 0x0
	s_delay_alu instid0(VALU_DEP_2) | instskip(NEXT) | instid1(VALU_DEP_2)
	v_max_num_f32_e32 v33, v35, v51
	v_max_num_f32_e64 v35, v35, |v50|
	s_delay_alu instid0(VALU_DEP_2) | instskip(NEXT) | instid1(VALU_DEP_2)
	v_cvt_f64_f32_e32 v[44:45], v33
	v_cvt_f64_f32_e32 v[46:47], v35
	s_delay_alu instid0(VALU_DEP_2) | instskip(NEXT) | instid1(VALU_DEP_2)
	v_frexp_exp_i32_f64_e32 v44, v[44:45]
	v_frexp_exp_i32_f64_e32 v45, v[46:47]
	s_delay_alu instid0(VALU_DEP_2) | instskip(SKIP_1) | instid1(VALU_DEP_2)
	v_sub_nc_u32_e32 v46, 0, v44
	v_cmp_neq_f32_e32 vcc_lo, 0x7f800000, v33
	v_ldexp_f32 v52, v51, v46
	s_delay_alu instid0(VALU_DEP_4) | instskip(SKIP_1) | instid1(VALU_DEP_3)
	v_sub_nc_u32_e32 v47, 0, v45
	v_ldexp_f32 v46, |v39|, v46
	v_mul_f32_e32 v52, v52, v52
	s_delay_alu instid0(VALU_DEP_3) | instskip(SKIP_1) | instid1(VALU_DEP_2)
	v_ldexp_f32 v53, |v50|, v47
	v_ldexp_f32 v47, |v39|, v47
	v_dual_fmac_f32 v52, v46, v46 :: v_dual_mul_f32 v53, v53, v53
	s_delay_alu instid0(VALU_DEP_1) | instskip(NEXT) | instid1(VALU_DEP_1)
	v_sqrt_f32_e32 v46, v52
	v_fmac_f32_e32 v53, v47, v47
	s_delay_alu instid0(VALU_DEP_1) | instskip(NEXT) | instid1(TRANS32_DEP_2)
	v_sqrt_f32_e32 v47, v53
	v_ldexp_f32 v44, v46, v44
	s_delay_alu instid0(VALU_DEP_1) | instskip(NEXT) | instid1(TRANS32_DEP_1)
	v_cndmask_b32_e32 v53, 0x7f800000, v44, vcc_lo
	v_ldexp_f32 v45, v47, v45
	v_cmp_neq_f32_e32 vcc_lo, 0x7f800000, v35
	s_delay_alu instid0(VALU_DEP_2) | instskip(NEXT) | instid1(VALU_DEP_1)
	v_cndmask_b32_e32 v46, 0x7f800000, v45, vcc_lo
	v_add_f32_e32 v33, v53, v46
	s_delay_alu instid0(VALU_DEP_1) | instskip(NEXT) | instid1(VALU_DEP_1)
	v_mul_f32_e32 v33, 0.5, v33
	v_cmp_ngt_f32_e32 vcc_lo, 1.0, v33
	v_cndmask_b32_e32 v44, 1.0, v33, vcc_lo
                                        ; implicit-def: $vgpr33
	s_delay_alu instid0(VALU_DEP_1)
	v_cmpx_ngt_f32_e32 0x41200000, v44
	s_xor_b32 s5, exec_lo, s4
	s_cbranch_execz .LBB56_415
; %bb.414:                              ;   in Loop: Header=BB56_401 Depth=1
	v_fma_f32 v33, v44, v44, -1.0
	s_delay_alu instid0(VALU_DEP_1) | instskip(SKIP_1) | instid1(VALU_DEP_2)
	v_mul_f32_e32 v35, 0x4f800000, v33
	v_cmp_gt_f32_e32 vcc_lo, 0xf800000, v33
	v_cndmask_b32_e32 v33, v33, v35, vcc_lo
	s_delay_alu instid0(VALU_DEP_1) | instskip(SKIP_1) | instid1(TRANS32_DEP_1)
	v_sqrt_f32_e32 v35, v33
	v_nop
	v_dual_add_nc_u32 v45, -1, v35 :: v_dual_add_nc_u32 v47, 1, v35
	s_delay_alu instid0(VALU_DEP_1) | instskip(NEXT) | instid1(VALU_DEP_1)
	v_dual_fma_f32 v52, -v45, v35, v33 :: v_dual_fma_f32 v54, -v47, v35, v33
	v_cmp_ge_f32_e64 s4, 0, v52
	s_delay_alu instid0(VALU_DEP_1) | instskip(NEXT) | instid1(VALU_DEP_3)
	v_cndmask_b32_e64 v35, v35, v45, s4
	v_cmp_lt_f32_e64 s4, 0, v54
	s_delay_alu instid0(VALU_DEP_1) | instskip(NEXT) | instid1(VALU_DEP_1)
	v_cndmask_b32_e64 v35, v35, v47, s4
	v_mul_f32_e32 v45, 0x37800000, v35
	s_delay_alu instid0(VALU_DEP_1) | instskip(SKIP_1) | instid1(VALU_DEP_2)
	v_cndmask_b32_e32 v35, v35, v45, vcc_lo
	v_cmp_class_f32_e64 vcc_lo, v33, 0x260
	v_cndmask_b32_e32 v33, v35, v33, vcc_lo
	s_delay_alu instid0(VALU_DEP_1) | instskip(NEXT) | instid1(VALU_DEP_1)
	v_add_f32_e32 v33, v44, v33
	v_cmp_gt_f32_e32 vcc_lo, 0x800000, v33
	s_delay_alu instid0(VALU_DEP_4) | instskip(NEXT) | instid1(VALU_DEP_1)
	v_cndmask_b32_e64 v35, 0, 32, vcc_lo
	v_ldexp_f32 v33, v33, v35
	s_delay_alu instid0(VALU_DEP_1) | instskip(SKIP_1) | instid1(TRANS32_DEP_1)
	v_log_f32_e32 v33, v33
	v_nop
	v_mul_f32_e32 v35, 0x3f317217, v33
	v_cmp_gt_f32_e64 s4, 0x7f800000, |v33|
	s_delay_alu instid0(VALU_DEP_2) | instskip(NEXT) | instid1(VALU_DEP_1)
	v_fma_f32 v35, 0x3f317217, v33, -v35
	v_fmac_f32_e32 v35, 0x3377d1cf, v33
	s_delay_alu instid0(VALU_DEP_1) | instskip(NEXT) | instid1(VALU_DEP_1)
	v_fmac_f32_e32 v35, 0x3f317217, v33
	v_cndmask_b32_e64 v33, v33, v35, s4
	v_cndmask_b32_e64 v35, 0, 0x41b17218, vcc_lo
	s_delay_alu instid0(VALU_DEP_1)
	v_sub_f32_e32 v33, v33, v35
.LBB56_415:                             ;   in Loop: Header=BB56_401 Depth=1
	s_or_saveexec_b32 s5, s5
	v_and_b32_e32 v52, 0x7fffffff, v39
	s_xor_b32 exec_lo, exec_lo, s5
	s_cbranch_execz .LBB56_437
; %bb.416:                              ;   in Loop: Header=BB56_401 Depth=1
	v_cmp_neq_f32_e64 s4, |v38|, 1.0
	v_cmp_ngt_f32_e64 s22, 0x25000000, |v39|
                                        ; implicit-def: $vgpr33
	s_or_b32 s4, s22, s4
	s_delay_alu instid0(SALU_CYCLE_1) | instskip(NEXT) | instid1(SALU_CYCLE_1)
	s_and_saveexec_b32 s22, s4
	s_xor_b32 s22, exec_lo, s22
	s_cbranch_execz .LBB56_434
; %bb.417:                              ;   in Loop: Header=BB56_401 Depth=1
	v_mul_f32_e64 v33, 0x34000000, |v50|
	s_delay_alu instid0(VALU_DEP_1) | instskip(SKIP_1) | instid1(SALU_CYCLE_1)
	v_cmp_ge_f32_e64 s4, |v39|, v33
                                        ; implicit-def: $vgpr33
	s_and_saveexec_b32 s23, s4
	s_xor_b32 s23, exec_lo, s23
	s_cbranch_execz .LBB56_427
; %bb.418:                              ;   in Loop: Header=BB56_401 Depth=1
	v_mov_b32_e32 v33, v52
	s_mov_b32 s4, exec_lo
	v_cmpx_neq_f32_e32 0, v51
	s_cbranch_execz .LBB56_420
; %bb.419:                              ;   in Loop: Header=BB56_401 Depth=1
	v_mul_f32_e32 v33, v39, v39
	v_add_f32_e32 v35, v51, v53
	s_delay_alu instid0(VALU_DEP_1) | instskip(NEXT) | instid1(VALU_DEP_1)
	v_div_scale_f32 v45, null, v35, v35, v33
	v_rcp_f32_e32 v47, v45
	v_nop
	s_delay_alu instid0(TRANS32_DEP_1) | instskip(NEXT) | instid1(VALU_DEP_1)
	v_fma_f32 v54, -v45, v47, 1.0
	v_fmac_f32_e32 v47, v54, v47
	v_div_scale_f32 v54, vcc_lo, v33, v35, v33
	s_delay_alu instid0(VALU_DEP_1) | instskip(NEXT) | instid1(VALU_DEP_1)
	v_mul_f32_e32 v55, v54, v47
	v_fma_f32 v56, -v45, v55, v54
	s_delay_alu instid0(VALU_DEP_1) | instskip(NEXT) | instid1(VALU_DEP_1)
	v_fmac_f32_e32 v55, v56, v47
	v_fma_f32 v45, -v45, v55, v54
	s_delay_alu instid0(VALU_DEP_1) | instskip(NEXT) | instid1(VALU_DEP_1)
	v_div_fmas_f32 v45, v45, v47, v55
	v_div_fixup_f32 v33, v45, v35, v33
.LBB56_420:                             ;   in Loop: Header=BB56_401 Depth=1
	s_or_b32 exec_lo, exec_lo, s4
	v_sub_f32_e64 v45, 1.0, |v38|
	s_mov_b32 s4, exec_lo
                                        ; implicit-def: $vgpr35
	s_delay_alu instid0(VALU_DEP_1)
	v_cmpx_ngt_f32_e32 0, v45
	s_xor_b32 s4, exec_lo, s4
	s_cbranch_execz .LBB56_424
; %bb.421:                              ;   in Loop: Header=BB56_401 Depth=1
	v_mov_b32_e32 v35, v52
	s_mov_b32 s24, exec_lo
	v_cmpx_neq_f32_e32 0, v45
	s_cbranch_execz .LBB56_423
; %bb.422:                              ;   in Loop: Header=BB56_401 Depth=1
	v_dual_mul_f32 v35, v39, v39 :: v_dual_add_f32 v45, v45, v46
	s_delay_alu instid0(VALU_DEP_1) | instskip(NEXT) | instid1(VALU_DEP_1)
	v_div_scale_f32 v47, null, v45, v45, v35
	v_rcp_f32_e32 v54, v47
	v_nop
	s_delay_alu instid0(TRANS32_DEP_1) | instskip(NEXT) | instid1(VALU_DEP_1)
	v_fma_f32 v55, -v47, v54, 1.0
	v_fmac_f32_e32 v54, v55, v54
	v_div_scale_f32 v55, vcc_lo, v35, v45, v35
	s_delay_alu instid0(VALU_DEP_1) | instskip(NEXT) | instid1(VALU_DEP_1)
	v_mul_f32_e32 v56, v55, v54
	v_fma_f32 v57, -v47, v56, v55
	s_delay_alu instid0(VALU_DEP_1) | instskip(NEXT) | instid1(VALU_DEP_1)
	v_fmac_f32_e32 v56, v57, v54
	v_fma_f32 v47, -v47, v56, v55
	s_delay_alu instid0(VALU_DEP_1) | instskip(NEXT) | instid1(VALU_DEP_1)
	v_div_fmas_f32 v47, v47, v54, v56
	v_div_fixup_f32 v35, v47, v45, v35
.LBB56_423:                             ;   in Loop: Header=BB56_401 Depth=1
	s_or_b32 exec_lo, exec_lo, s24
                                        ; implicit-def: $vgpr45
.LBB56_424:                             ;   in Loop: Header=BB56_401 Depth=1
	s_and_not1_saveexec_b32 s4, s4
; %bb.425:                              ;   in Loop: Header=BB56_401 Depth=1
	v_sub_f32_e32 v35, v46, v45
; %bb.426:                              ;   in Loop: Header=BB56_401 Depth=1
	s_or_b32 exec_lo, exec_lo, s4
	s_delay_alu instid0(VALU_DEP_1) | instskip(NEXT) | instid1(VALU_DEP_1)
	v_dual_mul_f32 v45, 0.5, v33 :: v_dual_mul_f32 v33, 0.5, v35
	v_pk_add_f32 v[54:55], v[44:45], v[32:33]
	s_delay_alu instid0(VALU_DEP_1) | instskip(NEXT) | instid1(VALU_DEP_1)
	v_mul_f32_e32 v33, v54, v55
	v_mul_f32_e32 v35, 0x4f800000, v33
	v_cmp_gt_f32_e32 vcc_lo, 0xf800000, v33
	s_delay_alu instid0(VALU_DEP_2) | instskip(NEXT) | instid1(VALU_DEP_1)
	v_cndmask_b32_e32 v33, v33, v35, vcc_lo
	v_sqrt_f32_e32 v35, v33
	v_nop
	s_delay_alu instid0(TRANS32_DEP_1) | instskip(NEXT) | instid1(VALU_DEP_1)
	v_dual_add_nc_u32 v45, -1, v35 :: v_dual_add_nc_u32 v47, 1, v35
	v_dual_fma_f32 v54, -v45, v35, v33 :: v_dual_fma_f32 v56, -v47, v35, v33
	s_delay_alu instid0(VALU_DEP_1) | instskip(NEXT) | instid1(VALU_DEP_1)
	v_cmp_ge_f32_e64 s4, 0, v54
	v_cndmask_b32_e64 v35, v35, v45, s4
	s_delay_alu instid0(VALU_DEP_3) | instskip(NEXT) | instid1(VALU_DEP_1)
	v_cmp_lt_f32_e64 s4, 0, v56
	v_cndmask_b32_e64 v35, v35, v47, s4
	s_delay_alu instid0(VALU_DEP_1) | instskip(NEXT) | instid1(VALU_DEP_1)
	v_mul_f32_e32 v45, 0x37800000, v35
	v_cndmask_b32_e32 v35, v35, v45, vcc_lo
	v_cmp_class_f32_e64 vcc_lo, v33, 0x260
	s_delay_alu instid0(VALU_DEP_2) | instskip(NEXT) | instid1(VALU_DEP_1)
	v_cndmask_b32_e32 v33, v35, v33, vcc_lo
	v_add_f32_e32 v54, v55, v33
	s_delay_alu instid0(VALU_DEP_1) | instskip(NEXT) | instid1(VALU_DEP_1)
	v_add_f32_e32 v57, 1.0, v54
	v_cvt_f64_f32_e32 v[58:59], v57
	v_frexp_mant_f32_e32 v35, v57
	v_add_f32_e32 v55, -1.0, v57
	s_delay_alu instid0(VALU_DEP_2) | instskip(NEXT) | instid1(VALU_DEP_2)
	v_cmp_gt_f32_e32 vcc_lo, 0x3f2aaaab, v35
	v_mov_b32_e32 v56, v55
	v_frexp_exp_i32_f64_e32 v33, v[58:59]
	s_delay_alu instid0(VALU_DEP_2) | instskip(NEXT) | instid1(VALU_DEP_1)
	v_pk_add_f32 v[58:59], v[54:55], v[56:57] neg_lo:[0,1] neg_hi:[0,1]
	v_add_f32_e32 v47, 1.0, v59
	s_delay_alu instid0(VALU_DEP_1) | instskip(NEXT) | instid1(VALU_DEP_4)
	v_add_f32_e32 v47, v58, v47
	v_subrev_co_ci_u32_e64 v33, null, 0, v33, vcc_lo
	v_cmp_neq_f32_e32 vcc_lo, 0x7f800000, v54
	s_delay_alu instid0(VALU_DEP_2) | instskip(NEXT) | instid1(VALU_DEP_1)
	v_sub_nc_u32_e32 v35, 0, v33
	v_ldexp_f32 v45, v57, v35
	s_delay_alu instid0(VALU_DEP_1) | instskip(NEXT) | instid1(VALU_DEP_1)
	v_dual_add_f32 v55, 1.0, v45 :: v_dual_add_f32 v61, -1.0, v45
	v_add_f32_e32 v56, -1.0, v55
	v_ldexp_f32 v35, v47, v35
	s_delay_alu instid0(VALU_DEP_2) | instskip(NEXT) | instid1(VALU_DEP_1)
	v_dual_sub_f32 v47, v45, v56 :: v_dual_add_f32 v56, 1.0, v61
	v_dual_add_f32 v47, v35, v47 :: v_dual_sub_f32 v45, v45, v56
	s_delay_alu instid0(VALU_DEP_1) | instskip(NEXT) | instid1(VALU_DEP_1)
	v_add_f32_e32 v35, v35, v45
	v_add_f32_e32 v57, v61, v35
	s_delay_alu instid0(VALU_DEP_3) | instskip(NEXT) | instid1(VALU_DEP_1)
	v_add_f32_e32 v62, v55, v47
	v_rcp_f32_e32 v45, v62
	v_nop
	s_delay_alu instid0(TRANS32_DEP_1) | instskip(NEXT) | instid1(VALU_DEP_1)
	v_dual_mul_f32 v63, v57, v45 :: v_dual_sub_f32 v55, v62, v55
	v_mul_f32_e32 v58, v62, v63
	s_delay_alu instid0(VALU_DEP_2) | instskip(NEXT) | instid1(VALU_DEP_2)
	v_sub_f32_e32 v47, v47, v55
	v_dual_fma_f32 v60, v63, v62, -v58 :: v_dual_sub_f32 v55, v57, v61
	s_delay_alu instid0(VALU_DEP_1) | instskip(NEXT) | instid1(VALU_DEP_1)
	v_fmac_f32_e32 v60, v63, v47
	v_dual_sub_f32 v35, v35, v55 :: v_dual_add_f32 v56, v58, v60
	s_delay_alu instid0(VALU_DEP_1) | instskip(NEXT) | instid1(VALU_DEP_1)
	v_dual_sub_f32 v59, v57, v56 :: v_dual_mov_b32 v61, v56
	v_pk_add_f32 v[56:57], v[56:57], v[58:59] neg_lo:[0,1] neg_hi:[0,1]
	s_delay_alu instid0(VALU_DEP_1) | instskip(NEXT) | instid1(VALU_DEP_1)
	v_pk_add_f32 v[56:57], v[56:57], v[60:61] neg_lo:[0,1] neg_hi:[0,1]
	v_add_f32_e32 v35, v35, v57
	s_delay_alu instid0(VALU_DEP_1) | instskip(NEXT) | instid1(VALU_DEP_1)
	v_add_f32_e32 v35, v56, v35
	v_add_f32_e32 v57, v59, v35
	s_delay_alu instid0(VALU_DEP_1) | instskip(NEXT) | instid1(VALU_DEP_1)
	v_mul_f32_e32 v55, v45, v57
	v_mul_f32_e32 v60, v62, v55
	s_delay_alu instid0(VALU_DEP_1) | instskip(NEXT) | instid1(VALU_DEP_1)
	v_fma_f32 v58, v55, v62, -v60
	v_fmac_f32_e32 v58, v55, v47
	s_delay_alu instid0(VALU_DEP_1) | instskip(NEXT) | instid1(VALU_DEP_1)
	v_dual_add_f32 v56, v60, v58 :: v_dual_sub_f32 v47, v59, v57
	v_dual_sub_f32 v61, v57, v56 :: v_dual_mov_b32 v59, v56
	s_delay_alu instid0(VALU_DEP_2) | instskip(SKIP_1) | instid1(VALU_DEP_3)
	v_add_f32_e32 v35, v35, v47
	v_add_f32_e32 v47, v63, v55
	v_pk_add_f32 v[56:57], v[56:57], v[60:61] neg_lo:[0,1] neg_hi:[0,1]
	s_delay_alu instid0(VALU_DEP_1) | instskip(NEXT) | instid1(VALU_DEP_1)
	v_pk_add_f32 v[56:57], v[56:57], v[58:59] neg_lo:[0,1] neg_hi:[0,1]
	v_add_f32_e32 v35, v35, v57
	s_delay_alu instid0(VALU_DEP_1) | instskip(SKIP_1) | instid1(VALU_DEP_1)
	v_add_f32_e32 v35, v56, v35
	v_sub_f32_e32 v56, v47, v63
	v_dual_add_f32 v35, v61, v35 :: v_dual_sub_f32 v55, v55, v56
	v_cvt_f32_i32_e32 v56, v33
	s_delay_alu instid0(VALU_DEP_2) | instskip(NEXT) | instid1(VALU_DEP_1)
	v_mul_f32_e32 v35, v45, v35
	v_add_f32_e32 v45, v55, v35
	s_delay_alu instid0(VALU_DEP_1) | instskip(NEXT) | instid1(VALU_DEP_1)
	v_add_f32_e32 v55, v47, v45
	v_mul_f32_e32 v35, v55, v55
	v_ldexp_f32 v61, v55, 1
	v_sub_f32_e32 v33, v55, v47
	s_delay_alu instid0(VALU_DEP_1) | instskip(NEXT) | instid1(VALU_DEP_1)
	v_dual_fmaak_f32 v58, s15, v35, 0x3ecc95a3 :: v_dual_sub_f32 v33, v45, v33
	v_ldexp_f32 v33, v33, 1
	v_mul_f32_e32 v57, v55, v35
	s_delay_alu instid0(VALU_DEP_3) | instskip(NEXT) | instid1(VALU_DEP_1)
	v_fmaak_f32 v35, v35, v58, 0x3f2aaada
	v_pk_mul_f32 v[58:59], v[56:57], v[34:35]
	s_delay_alu instid0(VALU_DEP_1) | instskip(SKIP_1) | instid1(VALU_DEP_2)
	v_fma_f32 v60, 0x3f317218, v56, -v58
	v_mov_b32_e32 v62, v58
	v_fmac_f32_e32 v60, 0xb102e308, v56
	s_delay_alu instid0(VALU_DEP_1) | instskip(NEXT) | instid1(VALU_DEP_1)
	v_pk_add_f32 v[56:57], v[58:59], v[60:61]
	v_dual_sub_f32 v35, v57, v61 :: v_dual_mov_b32 v61, v56
	s_delay_alu instid0(VALU_DEP_1) | instskip(SKIP_1) | instid1(VALU_DEP_2)
	v_dual_mov_b32 v70, v57 :: v_dual_sub_f32 v35, v59, v35
	v_pk_add_f32 v[58:59], v[56:57], v[58:59] neg_lo:[0,1] neg_hi:[0,1]
	v_add_f32_e32 v63, v33, v35
	s_delay_alu instid0(VALU_DEP_1) | instskip(NEXT) | instid1(VALU_DEP_1)
	v_pk_add_f32 v[64:65], v[56:57], v[62:63]
	v_mov_b32_e32 v59, v65
	s_delay_alu instid0(VALU_DEP_1) | instskip(SKIP_2) | instid1(VALU_DEP_3)
	v_pk_add_f32 v[66:67], v[60:61], v[58:59]
	v_mov_b32_e32 v66, v65
	v_pk_add_f32 v[58:59], v[60:61], v[58:59] neg_lo:[0,1] neg_hi:[0,1]
	v_dual_mov_b32 v62, v67 :: v_dual_mov_b32 v59, v67
	s_delay_alu instid0(VALU_DEP_1) | instskip(SKIP_1) | instid1(VALU_DEP_2)
	v_pk_add_f32 v[68:69], v[62:63], v[56:57] neg_lo:[0,1] neg_hi:[0,1]
	v_dual_mov_b32 v57, v56 :: v_dual_mov_b32 v56, v63
	v_dual_mov_b32 v71, v68 :: v_dual_mov_b32 v33, v68
	s_delay_alu instid0(VALU_DEP_1) | instskip(NEXT) | instid1(VALU_DEP_2)
	v_pk_add_f32 v[68:69], v[66:67], v[70:71] neg_lo:[0,1] neg_hi:[0,1]
	v_pk_add_f32 v[60:61], v[64:65], v[32:33] neg_lo:[0,1] neg_hi:[0,1]
	v_mov_b32_e32 v60, v58
	s_delay_alu instid0(VALU_DEP_3) | instskip(NEXT) | instid1(VALU_DEP_1)
	v_pk_add_f32 v[56:57], v[56:57], v[68:69] neg_lo:[0,1] neg_hi:[0,1]
	v_pk_add_f32 v[60:61], v[60:61], v[56:57]
	s_delay_alu instid0(VALU_DEP_1) | instskip(NEXT) | instid1(VALU_DEP_1)
	v_mov_b32_e32 v64, v61
	v_pk_add_f32 v[64:65], v[60:61], v[64:65]
	s_delay_alu instid0(VALU_DEP_1) | instskip(NEXT) | instid1(VALU_DEP_1)
	v_pk_add_f32 v[62:63], v[62:63], v[64:65]
	v_dual_mov_b32 v57, v64 :: v_dual_mov_b32 v61, v62
	s_delay_alu instid0(VALU_DEP_1) | instskip(NEXT) | instid1(VALU_DEP_1)
	v_pk_add_f32 v[66:67], v[60:61], v[58:59] neg_lo:[0,1] neg_hi:[0,1]
	v_sub_f32_e32 v33, v60, v66
	s_delay_alu instid0(VALU_DEP_2) | instskip(NEXT) | instid1(VALU_DEP_2)
	v_pk_add_f32 v[56:57], v[56:57], v[66:67] neg_lo:[0,1] neg_hi:[0,1]
	v_sub_f32_e32 v33, v58, v33
	s_delay_alu instid0(VALU_DEP_1) | instskip(NEXT) | instid1(VALU_DEP_1)
	v_add_f32_e32 v33, v56, v33
	v_add_f32_e32 v33, v33, v57
	s_delay_alu instid0(VALU_DEP_1) | instskip(NEXT) | instid1(VALU_DEP_1)
	v_add_f32_e32 v33, v62, v33
	v_cndmask_b32_e32 v33, 0x7f800000, v33, vcc_lo
	v_cmp_ngt_f32_e32 vcc_lo, -1.0, v54
	s_delay_alu instid0(VALU_DEP_2) | instskip(SKIP_1) | instid1(VALU_DEP_2)
	v_cndmask_b32_e32 v33, 0x7fc00000, v33, vcc_lo
	v_cmp_neq_f32_e32 vcc_lo, -1.0, v54
	v_cndmask_b32_e32 v33, 0xff800000, v33, vcc_lo
	v_cmp_gt_f32_e64 vcc_lo, 0x33800000, |v54|
	s_delay_alu instid0(VALU_DEP_2)
	v_cndmask_b32_e32 v33, v33, v54, vcc_lo
.LBB56_427:                             ;   in Loop: Header=BB56_401 Depth=1
	s_and_not1_saveexec_b32 s23, s23
	s_cbranch_execz .LBB56_433
; %bb.428:                              ;   in Loop: Header=BB56_401 Depth=1
	s_mov_b32 s24, exec_lo
                                        ; implicit-def: $vgpr33
	v_cmpx_nlt_f32_e64 |v38|, 1.0
	s_xor_b32 s24, exec_lo, s24
	s_cbranch_execz .LBB56_430
; %bb.429:                              ;   in Loop: Header=BB56_401 Depth=1
	v_mul_f32_e32 v33, v50, v51
	s_delay_alu instid0(VALU_DEP_1) | instskip(SKIP_1) | instid1(VALU_DEP_2)
	v_mul_f32_e32 v35, 0x4f800000, v33
	v_cmp_gt_f32_e32 vcc_lo, 0xf800000, v33
	v_cndmask_b32_e32 v33, v33, v35, vcc_lo
	s_delay_alu instid0(VALU_DEP_1) | instskip(SKIP_1) | instid1(TRANS32_DEP_1)
	v_sqrt_f32_e32 v35, v33
	v_nop
	v_dual_add_nc_u32 v45, -1, v35 :: v_dual_add_nc_u32 v47, 1, v35
	s_delay_alu instid0(VALU_DEP_1) | instskip(NEXT) | instid1(VALU_DEP_1)
	v_dual_fma_f32 v54, -v45, v35, v33 :: v_dual_fma_f32 v55, -v47, v35, v33
	v_cmp_ge_f32_e64 s4, 0, v54
	s_delay_alu instid0(VALU_DEP_1) | instskip(NEXT) | instid1(VALU_DEP_3)
	v_cndmask_b32_e64 v35, v35, v45, s4
	v_cmp_lt_f32_e64 s4, 0, v55
	s_delay_alu instid0(VALU_DEP_1) | instskip(NEXT) | instid1(VALU_DEP_1)
	v_cndmask_b32_e64 v35, v35, v47, s4
	v_mul_f32_e32 v45, 0x37800000, v35
	s_delay_alu instid0(VALU_DEP_1) | instskip(SKIP_1) | instid1(VALU_DEP_2)
	v_cndmask_b32_e32 v35, v35, v45, vcc_lo
	v_cmp_class_f32_e64 vcc_lo, v33, 0x260
	v_cndmask_b32_e32 v33, v35, v33, vcc_lo
	s_delay_alu instid0(VALU_DEP_1) | instskip(NEXT) | instid1(VALU_DEP_1)
	v_add_f32_e32 v54, v50, v33
	v_add_f32_e32 v57, 1.0, v54
	s_delay_alu instid0(VALU_DEP_1) | instskip(SKIP_2) | instid1(VALU_DEP_2)
	v_cvt_f64_f32_e32 v[58:59], v57
	v_frexp_mant_f32_e32 v35, v57
	v_add_f32_e32 v55, -1.0, v57
	v_cmp_gt_f32_e32 vcc_lo, 0x3f2aaaab, v35
	s_delay_alu instid0(VALU_DEP_2) | instskip(SKIP_1) | instid1(VALU_DEP_2)
	v_mov_b32_e32 v56, v55
	v_frexp_exp_i32_f64_e32 v33, v[58:59]
	v_pk_add_f32 v[58:59], v[54:55], v[56:57] neg_lo:[0,1] neg_hi:[0,1]
	s_delay_alu instid0(VALU_DEP_1) | instskip(NEXT) | instid1(VALU_DEP_1)
	v_add_f32_e32 v47, 1.0, v59
	v_add_f32_e32 v47, v58, v47
	s_delay_alu instid0(VALU_DEP_4) | instskip(SKIP_1) | instid1(VALU_DEP_2)
	v_subrev_co_ci_u32_e64 v33, null, 0, v33, vcc_lo
	v_cmp_neq_f32_e32 vcc_lo, 0x7f800000, v54
	v_sub_nc_u32_e32 v35, 0, v33
	s_delay_alu instid0(VALU_DEP_1) | instskip(NEXT) | instid1(VALU_DEP_1)
	v_ldexp_f32 v45, v57, v35
	v_dual_add_f32 v55, 1.0, v45 :: v_dual_add_f32 v61, -1.0, v45
	s_delay_alu instid0(VALU_DEP_1) | instskip(SKIP_1) | instid1(VALU_DEP_2)
	v_add_f32_e32 v56, -1.0, v55
	v_ldexp_f32 v35, v47, v35
	v_dual_sub_f32 v47, v45, v56 :: v_dual_add_f32 v56, 1.0, v61
	s_delay_alu instid0(VALU_DEP_1) | instskip(NEXT) | instid1(VALU_DEP_1)
	v_dual_add_f32 v47, v35, v47 :: v_dual_sub_f32 v45, v45, v56
	v_add_f32_e32 v35, v35, v45
	s_delay_alu instid0(VALU_DEP_1) | instskip(NEXT) | instid1(VALU_DEP_3)
	v_add_f32_e32 v57, v61, v35
	v_add_f32_e32 v62, v55, v47
	s_delay_alu instid0(VALU_DEP_1) | instskip(SKIP_1) | instid1(TRANS32_DEP_1)
	v_rcp_f32_e32 v45, v62
	v_nop
	v_dual_mul_f32 v63, v57, v45 :: v_dual_sub_f32 v55, v62, v55
	s_delay_alu instid0(VALU_DEP_1) | instskip(NEXT) | instid1(VALU_DEP_2)
	v_mul_f32_e32 v58, v62, v63
	v_sub_f32_e32 v47, v47, v55
	s_delay_alu instid0(VALU_DEP_2) | instskip(NEXT) | instid1(VALU_DEP_1)
	v_dual_fma_f32 v60, v63, v62, -v58 :: v_dual_sub_f32 v55, v57, v61
	v_fmac_f32_e32 v60, v63, v47
	s_delay_alu instid0(VALU_DEP_1) | instskip(NEXT) | instid1(VALU_DEP_1)
	v_dual_sub_f32 v35, v35, v55 :: v_dual_add_f32 v56, v58, v60
	v_dual_sub_f32 v59, v57, v56 :: v_dual_mov_b32 v61, v56
	s_delay_alu instid0(VALU_DEP_1) | instskip(NEXT) | instid1(VALU_DEP_1)
	v_pk_add_f32 v[56:57], v[56:57], v[58:59] neg_lo:[0,1] neg_hi:[0,1]
	v_pk_add_f32 v[56:57], v[56:57], v[60:61] neg_lo:[0,1] neg_hi:[0,1]
	s_delay_alu instid0(VALU_DEP_1) | instskip(NEXT) | instid1(VALU_DEP_1)
	v_add_f32_e32 v35, v35, v57
	v_add_f32_e32 v35, v56, v35
	s_delay_alu instid0(VALU_DEP_1) | instskip(NEXT) | instid1(VALU_DEP_1)
	v_add_f32_e32 v57, v59, v35
	v_mul_f32_e32 v55, v45, v57
	s_delay_alu instid0(VALU_DEP_1) | instskip(NEXT) | instid1(VALU_DEP_1)
	v_mul_f32_e32 v60, v62, v55
	v_fma_f32 v58, v55, v62, -v60
	s_delay_alu instid0(VALU_DEP_1) | instskip(NEXT) | instid1(VALU_DEP_1)
	v_fmac_f32_e32 v58, v55, v47
	v_dual_add_f32 v56, v60, v58 :: v_dual_sub_f32 v47, v59, v57
	s_delay_alu instid0(VALU_DEP_1) | instskip(NEXT) | instid1(VALU_DEP_2)
	v_dual_sub_f32 v61, v57, v56 :: v_dual_mov_b32 v59, v56
	v_add_f32_e32 v35, v35, v47
	v_add_f32_e32 v47, v63, v55
	s_delay_alu instid0(VALU_DEP_3) | instskip(NEXT) | instid1(VALU_DEP_1)
	v_pk_add_f32 v[56:57], v[56:57], v[60:61] neg_lo:[0,1] neg_hi:[0,1]
	v_pk_add_f32 v[56:57], v[56:57], v[58:59] neg_lo:[0,1] neg_hi:[0,1]
	s_delay_alu instid0(VALU_DEP_1) | instskip(NEXT) | instid1(VALU_DEP_1)
	v_add_f32_e32 v35, v35, v57
	v_add_f32_e32 v35, v56, v35
	v_sub_f32_e32 v56, v47, v63
	s_delay_alu instid0(VALU_DEP_1) | instskip(SKIP_1) | instid1(VALU_DEP_2)
	v_dual_add_f32 v35, v61, v35 :: v_dual_sub_f32 v55, v55, v56
	v_cvt_f32_i32_e32 v56, v33
	v_mul_f32_e32 v35, v45, v35
	s_delay_alu instid0(VALU_DEP_1) | instskip(NEXT) | instid1(VALU_DEP_1)
	v_add_f32_e32 v45, v55, v35
	v_add_f32_e32 v55, v47, v45
	s_delay_alu instid0(VALU_DEP_1) | instskip(SKIP_2) | instid1(VALU_DEP_1)
	v_mul_f32_e32 v35, v55, v55
	v_ldexp_f32 v61, v55, 1
	v_sub_f32_e32 v33, v55, v47
	v_dual_fmaak_f32 v58, s15, v35, 0x3ecc95a3 :: v_dual_sub_f32 v33, v45, v33
	s_delay_alu instid0(VALU_DEP_1) | instskip(SKIP_1) | instid1(VALU_DEP_3)
	v_ldexp_f32 v33, v33, 1
	v_mul_f32_e32 v57, v55, v35
	v_fmaak_f32 v35, v35, v58, 0x3f2aaada
	s_delay_alu instid0(VALU_DEP_1) | instskip(NEXT) | instid1(VALU_DEP_1)
	v_pk_mul_f32 v[58:59], v[56:57], v[34:35]
	v_fma_f32 v60, 0x3f317218, v56, -v58
	v_mov_b32_e32 v62, v58
	s_delay_alu instid0(VALU_DEP_2) | instskip(NEXT) | instid1(VALU_DEP_1)
	v_fmac_f32_e32 v60, 0xb102e308, v56
	v_pk_add_f32 v[56:57], v[58:59], v[60:61]
	s_delay_alu instid0(VALU_DEP_1) | instskip(NEXT) | instid1(VALU_DEP_1)
	v_dual_sub_f32 v35, v57, v61 :: v_dual_mov_b32 v61, v56
	v_dual_mov_b32 v70, v57 :: v_dual_sub_f32 v35, v59, v35
	v_pk_add_f32 v[58:59], v[56:57], v[58:59] neg_lo:[0,1] neg_hi:[0,1]
	s_delay_alu instid0(VALU_DEP_2) | instskip(NEXT) | instid1(VALU_DEP_1)
	v_add_f32_e32 v63, v33, v35
	v_pk_add_f32 v[64:65], v[56:57], v[62:63]
	s_delay_alu instid0(VALU_DEP_1) | instskip(NEXT) | instid1(VALU_DEP_1)
	v_mov_b32_e32 v59, v65
	v_pk_add_f32 v[66:67], v[60:61], v[58:59]
	v_mov_b32_e32 v66, v65
	v_pk_add_f32 v[58:59], v[60:61], v[58:59] neg_lo:[0,1] neg_hi:[0,1]
	s_delay_alu instid0(VALU_DEP_3) | instskip(NEXT) | instid1(VALU_DEP_1)
	v_dual_mov_b32 v62, v67 :: v_dual_mov_b32 v59, v67
	v_pk_add_f32 v[68:69], v[62:63], v[56:57] neg_lo:[0,1] neg_hi:[0,1]
	v_dual_mov_b32 v57, v56 :: v_dual_mov_b32 v56, v63
	s_delay_alu instid0(VALU_DEP_2) | instskip(NEXT) | instid1(VALU_DEP_1)
	v_dual_mov_b32 v71, v68 :: v_dual_mov_b32 v33, v68
	v_pk_add_f32 v[68:69], v[66:67], v[70:71] neg_lo:[0,1] neg_hi:[0,1]
	s_delay_alu instid0(VALU_DEP_2) | instskip(SKIP_1) | instid1(VALU_DEP_3)
	v_pk_add_f32 v[60:61], v[64:65], v[32:33] neg_lo:[0,1] neg_hi:[0,1]
	v_mov_b32_e32 v60, v58
	v_pk_add_f32 v[56:57], v[56:57], v[68:69] neg_lo:[0,1] neg_hi:[0,1]
	s_delay_alu instid0(VALU_DEP_1) | instskip(NEXT) | instid1(VALU_DEP_1)
	v_pk_add_f32 v[60:61], v[60:61], v[56:57]
	v_mov_b32_e32 v64, v61
	s_delay_alu instid0(VALU_DEP_1) | instskip(NEXT) | instid1(VALU_DEP_1)
	v_pk_add_f32 v[64:65], v[60:61], v[64:65]
	v_pk_add_f32 v[62:63], v[62:63], v[64:65]
	s_delay_alu instid0(VALU_DEP_1) | instskip(NEXT) | instid1(VALU_DEP_1)
	v_dual_mov_b32 v57, v64 :: v_dual_mov_b32 v61, v62
	v_pk_add_f32 v[66:67], v[60:61], v[58:59] neg_lo:[0,1] neg_hi:[0,1]
	s_delay_alu instid0(VALU_DEP_1) | instskip(NEXT) | instid1(VALU_DEP_2)
	v_sub_f32_e32 v33, v60, v66
	v_pk_add_f32 v[56:57], v[56:57], v[66:67] neg_lo:[0,1] neg_hi:[0,1]
	s_delay_alu instid0(VALU_DEP_2) | instskip(NEXT) | instid1(VALU_DEP_1)
	v_sub_f32_e32 v33, v58, v33
	v_add_f32_e32 v33, v56, v33
	s_delay_alu instid0(VALU_DEP_1) | instskip(NEXT) | instid1(VALU_DEP_1)
	v_add_f32_e32 v33, v33, v57
	v_add_f32_e32 v33, v62, v33
	s_delay_alu instid0(VALU_DEP_1) | instskip(SKIP_1) | instid1(VALU_DEP_2)
	v_cndmask_b32_e32 v33, 0x7f800000, v33, vcc_lo
	v_cmp_ngt_f32_e32 vcc_lo, -1.0, v54
	v_cndmask_b32_e32 v33, 0x7fc00000, v33, vcc_lo
	v_cmp_neq_f32_e32 vcc_lo, -1.0, v54
	s_delay_alu instid0(VALU_DEP_2) | instskip(SKIP_1) | instid1(VALU_DEP_2)
	v_cndmask_b32_e32 v33, 0xff800000, v33, vcc_lo
	v_cmp_gt_f32_e64 vcc_lo, 0x33800000, |v54|
	v_cndmask_b32_e32 v33, v33, v54, vcc_lo
.LBB56_430:                             ;   in Loop: Header=BB56_401 Depth=1
	s_and_not1_saveexec_b32 s24, s24
	s_cbranch_execz .LBB56_432
; %bb.431:                              ;   in Loop: Header=BB56_401 Depth=1
	v_sub_f32_e64 v33, 1.0, |v38|
	s_delay_alu instid0(VALU_DEP_1) | instskip(NEXT) | instid1(VALU_DEP_1)
	v_mul_f32_e32 v33, v33, v51
	v_mul_f32_e32 v35, 0x4f800000, v33
	v_cmp_gt_f32_e32 vcc_lo, 0xf800000, v33
	s_delay_alu instid0(VALU_DEP_2) | instskip(NEXT) | instid1(VALU_DEP_1)
	v_cndmask_b32_e32 v33, v33, v35, vcc_lo
	v_sqrt_f32_e32 v35, v33
	v_nop
	s_delay_alu instid0(TRANS32_DEP_1) | instskip(NEXT) | instid1(VALU_DEP_1)
	v_dual_add_nc_u32 v45, -1, v35 :: v_dual_add_nc_u32 v47, 1, v35
	v_dual_fma_f32 v54, -v45, v35, v33 :: v_dual_fma_f32 v55, -v47, v35, v33
	s_delay_alu instid0(VALU_DEP_1) | instskip(NEXT) | instid1(VALU_DEP_1)
	v_cmp_ge_f32_e64 s4, 0, v54
	v_cndmask_b32_e64 v35, v35, v45, s4
	s_delay_alu instid0(VALU_DEP_3) | instskip(NEXT) | instid1(VALU_DEP_1)
	v_cmp_lt_f32_e64 s4, 0, v55
	v_cndmask_b32_e64 v35, v35, v47, s4
	s_delay_alu instid0(VALU_DEP_1) | instskip(NEXT) | instid1(VALU_DEP_1)
	v_mul_f32_e32 v45, 0x37800000, v35
	v_cndmask_b32_e32 v35, v35, v45, vcc_lo
	v_cmp_class_f32_e64 vcc_lo, v33, 0x260
	v_and_b32_e32 v45, 0x7fffffff, v39
	s_delay_alu instid0(VALU_DEP_3) | instskip(NEXT) | instid1(VALU_DEP_1)
	v_cndmask_b32_e32 v33, v35, v33, vcc_lo
	v_div_scale_f32 v35, null, v33, v33, v45
	v_div_scale_f32 v45, vcc_lo, v45, v33, v45
	s_delay_alu instid0(VALU_DEP_2) | instskip(SKIP_1) | instid1(TRANS32_DEP_1)
	v_rcp_f32_e32 v47, v35
	v_nop
	v_fma_f32 v54, -v35, v47, 1.0
	s_delay_alu instid0(VALU_DEP_1) | instskip(NEXT) | instid1(VALU_DEP_1)
	v_fmac_f32_e32 v47, v54, v47
	v_mul_f32_e32 v54, v45, v47
	s_delay_alu instid0(VALU_DEP_1) | instskip(NEXT) | instid1(VALU_DEP_1)
	v_fma_f32 v55, -v35, v54, v45
	v_fmac_f32_e32 v54, v55, v47
	s_delay_alu instid0(VALU_DEP_1) | instskip(NEXT) | instid1(VALU_DEP_1)
	v_fma_f32 v35, -v35, v54, v45
	v_div_fmas_f32 v35, v35, v47, v54
	s_delay_alu instid0(VALU_DEP_1)
	v_div_fixup_f32 v33, v35, v33, |v39|
.LBB56_432:                             ;   in Loop: Header=BB56_401 Depth=1
	s_or_b32 exec_lo, exec_lo, s24
.LBB56_433:                             ;   in Loop: Header=BB56_401 Depth=1
	s_delay_alu instid0(SALU_CYCLE_1)
	s_or_b32 exec_lo, exec_lo, s23
.LBB56_434:                             ;   in Loop: Header=BB56_401 Depth=1
	s_and_not1_saveexec_b32 s22, s22
	s_cbranch_execz .LBB56_436
; %bb.435:                              ;   in Loop: Header=BB56_401 Depth=1
	v_mul_f32_e64 v33, 0x4f800000, |v39|
	v_cmp_gt_f32_e64 vcc_lo, 0xf800000, |v39|
	s_delay_alu instid0(VALU_DEP_1) | instskip(NEXT) | instid1(VALU_DEP_1)
	v_cndmask_b32_e64 v33, |v39|, v33, vcc_lo
	v_sqrt_f32_e32 v35, v33
	v_nop
	s_delay_alu instid0(TRANS32_DEP_1) | instskip(NEXT) | instid1(VALU_DEP_1)
	v_dual_add_nc_u32 v45, -1, v35 :: v_dual_add_nc_u32 v47, 1, v35
	v_dual_fma_f32 v54, -v45, v35, v33 :: v_dual_fma_f32 v55, -v47, v35, v33
	s_delay_alu instid0(VALU_DEP_1) | instskip(NEXT) | instid1(VALU_DEP_1)
	v_cmp_ge_f32_e64 s4, 0, v54
	v_cndmask_b32_e64 v35, v35, v45, s4
	s_delay_alu instid0(VALU_DEP_3) | instskip(NEXT) | instid1(VALU_DEP_1)
	v_cmp_lt_f32_e64 s4, 0, v55
	v_cndmask_b32_e64 v35, v35, v47, s4
	s_delay_alu instid0(VALU_DEP_1) | instskip(NEXT) | instid1(VALU_DEP_1)
	v_mul_f32_e32 v45, 0x37800000, v35
	v_cndmask_b32_e32 v35, v35, v45, vcc_lo
	v_cmp_class_f32_e64 vcc_lo, v33, 0x260
	s_delay_alu instid0(VALU_DEP_2)
	v_cndmask_b32_e32 v33, v35, v33, vcc_lo
.LBB56_436:                             ;   in Loop: Header=BB56_401 Depth=1
	s_or_b32 exec_lo, exec_lo, s22
.LBB56_437:                             ;   in Loop: Header=BB56_401 Depth=1
	s_delay_alu instid0(SALU_CYCLE_1) | instskip(NEXT) | instid1(SALU_CYCLE_1)
	s_or_b32 exec_lo, exec_lo, s5
	s_mov_b32 s22, exec_lo
                                        ; implicit-def: $sgpr4
                                        ; implicit-def: $vgpr47
                                        ; implicit-def: $vgpr35
	v_cmpx_ngt_f32_e64 0x21000000, |v38|
	s_xor_b32 s22, exec_lo, s22
	s_cbranch_execz .LBB56_461
; %bb.438:                              ;   in Loop: Header=BB56_401 Depth=1
	v_and_b32_e32 v47, 0x7fffffff, v38
	s_mov_b32 s4, 0
	s_mov_b32 s23, exec_lo
	s_delay_alu instid0(VALU_DEP_1) | instskip(NEXT) | instid1(VALU_DEP_1)
	v_div_scale_f32 v35, null, v44, v44, v47
	v_rcp_f32_e32 v45, v35
	v_nop
	s_delay_alu instid0(TRANS32_DEP_1) | instskip(NEXT) | instid1(VALU_DEP_1)
	v_fma_f32 v54, -v35, v45, 1.0
	v_fmac_f32_e32 v45, v54, v45
	v_div_scale_f32 v54, vcc_lo, v47, v44, v47
	s_delay_alu instid0(VALU_DEP_1) | instskip(NEXT) | instid1(VALU_DEP_1)
	v_mul_f32_e32 v55, v54, v45
	v_fma_f32 v56, -v35, v55, v54
	s_delay_alu instid0(VALU_DEP_1) | instskip(NEXT) | instid1(VALU_DEP_1)
	v_fmac_f32_e32 v55, v56, v45
	v_fma_f32 v35, -v35, v55, v54
	s_delay_alu instid0(VALU_DEP_1) | instskip(NEXT) | instid1(VALU_DEP_1)
	v_div_fmas_f32 v35, v35, v45, v55
	v_div_fixup_f32 v35, v35, v44, |v38|
	s_delay_alu instid0(VALU_DEP_1)
	v_cmpx_lt_f32_e32 0x3f244674, v35
	s_cbranch_execz .LBB56_460
; %bb.439:                              ;   in Loop: Header=BB56_401 Depth=1
	v_cmp_neq_f32_e64 s4, |v38|, 1.0
	v_cmp_ngt_f32_e64 s5, 0x30800000, |v39|
	s_or_b32 s4, s5, s4
	s_delay_alu instid0(SALU_CYCLE_1) | instskip(NEXT) | instid1(SALU_CYCLE_1)
	s_and_saveexec_b32 s5, s4
	s_xor_b32 s5, exec_lo, s5
	s_cbranch_execz .LBB56_457
; %bb.440:                              ;   in Loop: Header=BB56_401 Depth=1
	v_mul_f32_e64 v45, 0x34000000, |v50|
	s_mov_b32 s24, exec_lo
	s_delay_alu instid0(VALU_DEP_1)
	v_cmpx_ge_f32_e64 |v39|, v45
	s_xor_b32 s24, exec_lo, s24
	s_cbranch_execz .LBB56_450
; %bb.441:                              ;   in Loop: Header=BB56_401 Depth=1
	v_mov_b32_e32 v45, v52
	s_mov_b32 s4, exec_lo
	v_cmpx_neq_f32_e32 0, v51
	s_cbranch_execz .LBB56_443
; %bb.442:                              ;   in Loop: Header=BB56_401 Depth=1
	v_mul_f32_e32 v45, v39, v39
	v_add_f32_e32 v51, v51, v53
	s_delay_alu instid0(VALU_DEP_1) | instskip(NEXT) | instid1(VALU_DEP_1)
	v_div_scale_f32 v53, null, v51, v51, v45
	v_rcp_f32_e32 v54, v53
	v_nop
	s_delay_alu instid0(TRANS32_DEP_1) | instskip(NEXT) | instid1(VALU_DEP_1)
	v_fma_f32 v55, -v53, v54, 1.0
	v_fmac_f32_e32 v54, v55, v54
	v_div_scale_f32 v55, vcc_lo, v45, v51, v45
	s_delay_alu instid0(VALU_DEP_1) | instskip(NEXT) | instid1(VALU_DEP_1)
	v_mul_f32_e32 v56, v55, v54
	v_fma_f32 v57, -v53, v56, v55
	s_delay_alu instid0(VALU_DEP_1) | instskip(NEXT) | instid1(VALU_DEP_1)
	v_fmac_f32_e32 v56, v57, v54
	v_fma_f32 v53, -v53, v56, v55
	s_delay_alu instid0(VALU_DEP_1) | instskip(NEXT) | instid1(VALU_DEP_1)
	v_div_fmas_f32 v53, v53, v54, v56
	v_div_fixup_f32 v45, v53, v51, v45
.LBB56_443:                             ;   in Loop: Header=BB56_401 Depth=1
	s_or_b32 exec_lo, exec_lo, s4
	s_delay_alu instid0(SALU_CYCLE_1)
	s_mov_b32 s4, exec_lo
	v_cmpx_ngt_f32_e32 0, v50
	s_xor_b32 s4, exec_lo, s4
	s_cbranch_execz .LBB56_447
; %bb.444:                              ;   in Loop: Header=BB56_401 Depth=1
	s_mov_b32 s25, exec_lo
	v_cmpx_neq_f32_e32 0, v50
	s_cbranch_execz .LBB56_446
; %bb.445:                              ;   in Loop: Header=BB56_401 Depth=1
	v_dual_mul_f32 v51, v39, v39 :: v_dual_add_f32 v46, v50, v46
	s_delay_alu instid0(VALU_DEP_1) | instskip(NEXT) | instid1(VALU_DEP_1)
	v_div_scale_f32 v50, null, v46, v46, v51
	v_rcp_f32_e32 v52, v50
	v_nop
	s_delay_alu instid0(TRANS32_DEP_1) | instskip(NEXT) | instid1(VALU_DEP_1)
	v_fma_f32 v53, -v50, v52, 1.0
	v_fmac_f32_e32 v52, v53, v52
	v_div_scale_f32 v53, vcc_lo, v51, v46, v51
	s_delay_alu instid0(VALU_DEP_1) | instskip(NEXT) | instid1(VALU_DEP_1)
	v_mul_f32_e32 v54, v53, v52
	v_fma_f32 v55, -v50, v54, v53
	s_delay_alu instid0(VALU_DEP_1) | instskip(NEXT) | instid1(VALU_DEP_1)
	v_fmac_f32_e32 v54, v55, v52
	v_fma_f32 v50, -v50, v54, v53
	s_delay_alu instid0(VALU_DEP_1) | instskip(NEXT) | instid1(VALU_DEP_1)
	v_div_fmas_f32 v50, v50, v52, v54
	v_div_fixup_f32 v52, v50, v46, v51
.LBB56_446:                             ;   in Loop: Header=BB56_401 Depth=1
	s_or_b32 exec_lo, exec_lo, s25
                                        ; implicit-def: $vgpr46
                                        ; implicit-def: $vgpr50
.LBB56_447:                             ;   in Loop: Header=BB56_401 Depth=1
	s_and_not1_saveexec_b32 s4, s4
; %bb.448:                              ;   in Loop: Header=BB56_401 Depth=1
	v_sub_f32_e32 v52, v46, v50
; %bb.449:                              ;   in Loop: Header=BB56_401 Depth=1
	s_or_b32 exec_lo, exec_lo, s4
	s_delay_alu instid0(VALU_DEP_1) | instskip(SKIP_1) | instid1(VALU_DEP_1)
	v_dual_mul_f32 v51, 0.5, v45 :: v_dual_mul_f32 v45, 0.5, v52
	v_and_b32_e32 v50, 0x7fffffff, v38
	v_pk_add_f32 v[44:45], v[50:51], v[44:45]
	s_delay_alu instid0(VALU_DEP_1) | instskip(NEXT) | instid1(VALU_DEP_1)
	v_mul_f32_e32 v44, v44, v45
	v_mul_f32_e32 v45, 0x4f800000, v44
	v_cmp_gt_f32_e32 vcc_lo, 0xf800000, v44
	s_delay_alu instid0(VALU_DEP_2) | instskip(NEXT) | instid1(VALU_DEP_1)
	v_cndmask_b32_e32 v44, v44, v45, vcc_lo
	v_sqrt_f32_e32 v45, v44
	v_nop
	s_delay_alu instid0(TRANS32_DEP_1) | instskip(NEXT) | instid1(VALU_DEP_1)
	v_dual_add_nc_u32 v46, -1, v45 :: v_dual_add_nc_u32 v50, 1, v45
	v_fma_f32 v51, -v46, v45, v44
	s_delay_alu instid0(VALU_DEP_2) | instskip(NEXT) | instid1(VALU_DEP_2)
	v_fma_f32 v52, -v50, v45, v44
	v_cmp_ge_f32_e64 s4, 0, v51
                                        ; implicit-def: $vgpr51
	s_delay_alu instid0(VALU_DEP_1) | instskip(NEXT) | instid1(VALU_DEP_3)
	v_cndmask_b32_e64 v45, v45, v46, s4
	v_cmp_lt_f32_e64 s4, 0, v52
	s_delay_alu instid0(VALU_DEP_1) | instskip(NEXT) | instid1(VALU_DEP_1)
	v_cndmask_b32_e64 v45, v45, v50, s4
                                        ; implicit-def: $vgpr50
	v_mul_f32_e32 v46, 0x37800000, v45
	s_delay_alu instid0(VALU_DEP_1) | instskip(SKIP_1) | instid1(VALU_DEP_2)
	v_cndmask_b32_e32 v45, v45, v46, vcc_lo
	v_cmp_class_f32_e64 vcc_lo, v44, 0x260
	v_cndmask_b32_e32 v46, v45, v44, vcc_lo
.LBB56_450:                             ;   in Loop: Header=BB56_401 Depth=1
	s_and_not1_saveexec_b32 s24, s24
	s_cbranch_execz .LBB56_456
; %bb.451:                              ;   in Loop: Header=BB56_401 Depth=1
	s_mov_b32 s25, exec_lo
	v_cmpx_ngt_f32_e64 |v38|, 1.0
	s_xor_b32 s25, exec_lo, s25
	s_cbranch_execz .LBB56_453
; %bb.452:                              ;   in Loop: Header=BB56_401 Depth=1
	v_sub_f32_e64 v44, 1.0, |v38|
	s_delay_alu instid0(VALU_DEP_1) | instskip(NEXT) | instid1(VALU_DEP_1)
	v_mul_f32_e32 v44, v44, v51
	v_mul_f32_e32 v45, 0x4f800000, v44
	v_cmp_gt_f32_e32 vcc_lo, 0xf800000, v44
	s_delay_alu instid0(VALU_DEP_2) | instskip(NEXT) | instid1(VALU_DEP_1)
	v_cndmask_b32_e32 v44, v44, v45, vcc_lo
	v_sqrt_f32_e32 v45, v44
	v_nop
	s_delay_alu instid0(TRANS32_DEP_1) | instskip(NEXT) | instid1(VALU_DEP_1)
	v_dual_add_nc_u32 v46, -1, v45 :: v_dual_add_nc_u32 v50, 1, v45
	v_fma_f32 v51, -v46, v45, v44
	s_delay_alu instid0(VALU_DEP_2) | instskip(NEXT) | instid1(VALU_DEP_2)
	v_fma_f32 v52, -v50, v45, v44
	v_cmp_ge_f32_e64 s4, 0, v51
                                        ; implicit-def: $vgpr51
	s_delay_alu instid0(VALU_DEP_1) | instskip(NEXT) | instid1(VALU_DEP_3)
	v_cndmask_b32_e64 v45, v45, v46, s4
	v_cmp_lt_f32_e64 s4, 0, v52
	s_delay_alu instid0(VALU_DEP_1) | instskip(NEXT) | instid1(VALU_DEP_1)
	v_cndmask_b32_e64 v45, v45, v50, s4
                                        ; implicit-def: $vgpr50
	v_mul_f32_e32 v46, 0x37800000, v45
	s_delay_alu instid0(VALU_DEP_1) | instskip(SKIP_1) | instid1(VALU_DEP_2)
	v_cndmask_b32_e32 v45, v45, v46, vcc_lo
	v_cmp_class_f32_e64 vcc_lo, v44, 0x260
	v_cndmask_b32_e32 v46, v45, v44, vcc_lo
.LBB56_453:                             ;   in Loop: Header=BB56_401 Depth=1
	s_and_not1_saveexec_b32 s25, s25
	s_cbranch_execz .LBB56_455
; %bb.454:                              ;   in Loop: Header=BB56_401 Depth=1
	v_mul_f32_e32 v44, v51, v50
	s_delay_alu instid0(VALU_DEP_1) | instskip(SKIP_1) | instid1(VALU_DEP_2)
	v_mul_f32_e32 v45, 0x4f800000, v44
	v_cmp_gt_f32_e32 vcc_lo, 0xf800000, v44
	v_cndmask_b32_e32 v44, v44, v45, vcc_lo
	s_delay_alu instid0(VALU_DEP_1) | instskip(SKIP_1) | instid1(TRANS32_DEP_1)
	v_sqrt_f32_e32 v45, v44
	v_nop
	v_dual_add_nc_u32 v46, -1, v45 :: v_dual_add_nc_u32 v47, 1, v45
	s_delay_alu instid0(VALU_DEP_1) | instskip(NEXT) | instid1(VALU_DEP_1)
	v_dual_fma_f32 v50, -v46, v45, v44 :: v_dual_fma_f32 v51, -v47, v45, v44
	v_cmp_ge_f32_e64 s4, 0, v50
	s_delay_alu instid0(VALU_DEP_1) | instskip(NEXT) | instid1(VALU_DEP_3)
	v_cndmask_b32_e64 v45, v45, v46, s4
	v_cmp_lt_f32_e64 s4, 0, v51
	s_delay_alu instid0(VALU_DEP_1) | instskip(SKIP_1) | instid1(VALU_DEP_2)
	v_cndmask_b32_e64 v45, v45, v47, s4
	v_mul_f32_e64 v47, 0x57800000, |v39|
	v_mul_f32_e32 v46, 0x37800000, v45
	s_delay_alu instid0(VALU_DEP_1) | instskip(SKIP_1) | instid1(VALU_DEP_4)
	v_cndmask_b32_e32 v45, v45, v46, vcc_lo
	v_cmp_class_f32_e64 vcc_lo, v44, 0x260
	v_mul_f32_e64 v46, |v38|, v47
	s_delay_alu instid0(VALU_DEP_3) | instskip(NEXT) | instid1(VALU_DEP_1)
	v_cndmask_b32_e32 v44, v45, v44, vcc_lo
	v_div_scale_f32 v45, null, v44, v44, v46
	v_div_scale_f32 v51, vcc_lo, v46, v44, v46
	s_delay_alu instid0(VALU_DEP_2) | instskip(SKIP_1) | instid1(TRANS32_DEP_1)
	v_rcp_f32_e32 v47, v45
	v_nop
	v_fma_f32 v50, -v45, v47, 1.0
	s_delay_alu instid0(VALU_DEP_1) | instskip(NEXT) | instid1(VALU_DEP_1)
	v_fmac_f32_e32 v47, v50, v47
	v_mul_f32_e32 v50, v51, v47
	s_delay_alu instid0(VALU_DEP_1) | instskip(NEXT) | instid1(VALU_DEP_1)
	v_fma_f32 v52, -v45, v50, v51
	v_fmac_f32_e32 v50, v52, v47
	s_delay_alu instid0(VALU_DEP_1) | instskip(NEXT) | instid1(VALU_DEP_1)
	v_fma_f32 v45, -v45, v50, v51
	v_div_fmas_f32 v45, v45, v47, v50
	v_mul_f32_e64 v47, 0x57800000, |v38|
	s_delay_alu instid0(VALU_DEP_2)
	v_div_fixup_f32 v46, v45, v44, v46
.LBB56_455:                             ;   in Loop: Header=BB56_401 Depth=1
	s_or_b32 exec_lo, exec_lo, s25
.LBB56_456:                             ;   in Loop: Header=BB56_401 Depth=1
	s_delay_alu instid0(SALU_CYCLE_1)
	s_or_b32 exec_lo, exec_lo, s24
                                        ; implicit-def: $vgpr44
.LBB56_457:                             ;   in Loop: Header=BB56_401 Depth=1
	s_and_not1_saveexec_b32 s24, s5
	s_cbranch_execz .LBB56_459
; %bb.458:                              ;   in Loop: Header=BB56_401 Depth=1
	v_add_f32_e32 v44, 1.0, v44
	v_mul_f32_e64 v45, 0x4f800000, |v39|
	v_cmp_gt_f32_e64 vcc_lo, 0xf800000, |v39|
	s_delay_alu instid0(VALU_DEP_3) | instskip(NEXT) | instid1(VALU_DEP_2)
	v_mul_f32_e32 v44, 0.5, v44
	v_cndmask_b32_e64 v45, |v39|, v45, vcc_lo
	s_delay_alu instid0(VALU_DEP_2) | instskip(SKIP_1) | instid1(VALU_DEP_1)
	v_mul_f32_e32 v46, 0x4f800000, v44
	v_cmp_gt_f32_e64 s4, 0xf800000, v44
	v_cndmask_b32_e64 v44, v44, v46, s4
	s_delay_alu instid0(VALU_DEP_4) | instskip(SKIP_1) | instid1(TRANS32_DEP_1)
	v_sqrt_f32_e32 v46, v45
	v_nop
	v_add_nc_u32_e32 v52, 1, v46
	s_delay_alu instid0(VALU_DEP_3) | instskip(NEXT) | instid1(VALU_DEP_1)
	v_sqrt_f32_e32 v47, v44
	v_dual_add_nc_u32 v50, -1, v46 :: v_dual_fma_f32 v56, -v52, v46, v45
	s_delay_alu instid0(TRANS32_DEP_1) | instid1(VALU_DEP_1)
	v_dual_fma_f32 v53, -v50, v46, v45 :: v_dual_add_nc_u32 v54, 1, v47
	v_add_nc_u32_e32 v51, -1, v47
	s_delay_alu instid0(VALU_DEP_2) | instskip(NEXT) | instid1(VALU_DEP_1)
	v_cmp_ge_f32_e64 s5, 0, v53
	v_dual_fma_f32 v55, -v51, v47, v44 :: v_dual_cndmask_b32 v46, v46, v50, s5
	s_delay_alu instid0(VALU_DEP_4) | instskip(NEXT) | instid1(VALU_DEP_2)
	v_fma_f32 v50, -v54, v47, v44
	v_cmp_ge_f32_e64 s5, 0, v55
	s_delay_alu instid0(VALU_DEP_1) | instskip(SKIP_1) | instid1(VALU_DEP_1)
	v_cndmask_b32_e64 v47, v47, v51, s5
	v_cmp_lt_f32_e64 s5, 0, v56
	v_cndmask_b32_e64 v46, v46, v52, s5
	v_cmp_lt_f32_e64 s5, 0, v50
	s_delay_alu instid0(VALU_DEP_1) | instskip(NEXT) | instid1(VALU_DEP_1)
	v_cndmask_b32_e64 v47, v47, v54, s5
	v_mul_f32_e32 v51, 0x37800000, v47
	s_delay_alu instid0(VALU_DEP_1) | instskip(SKIP_1) | instid1(VALU_DEP_1)
	v_cndmask_b32_e64 v47, v47, v51, s4
	v_mul_f32_e32 v50, 0x37800000, v46
	v_cndmask_b32_e32 v46, v46, v50, vcc_lo
	v_cmp_class_f32_e64 vcc_lo, v45, 0x260
	s_delay_alu instid0(VALU_DEP_2) | instskip(SKIP_2) | instid1(VALU_DEP_1)
	v_cndmask_b32_e32 v45, v46, v45, vcc_lo
	v_cmp_class_f32_e64 vcc_lo, v44, 0x260
	v_dual_cndmask_b32 v44, v47, v44 :: v_dual_mov_b32 v47, 1.0
	v_mul_f32_e32 v46, v45, v44
.LBB56_459:                             ;   in Loop: Header=BB56_401 Depth=1
	s_or_b32 exec_lo, exec_lo, s24
	s_delay_alu instid0(SALU_CYCLE_1)
	s_mov_b32 s4, exec_lo
.LBB56_460:                             ;   in Loop: Header=BB56_401 Depth=1
	s_or_b32 exec_lo, exec_lo, s23
                                        ; implicit-def: $vgpr44
.LBB56_461:                             ;   in Loop: Header=BB56_401 Depth=1
	s_and_not1_saveexec_b32 s5, s22
; %bb.462:                              ;   in Loop: Header=BB56_401 Depth=1
	v_and_b32_e32 v45, 0x7fffffff, v38
	s_or_b32 s4, s4, exec_lo
                                        ; implicit-def: $vgpr35
	s_delay_alu instid0(VALU_DEP_1)
	v_pk_mul_f32 v[46:47], v[44:45], s[14:15] op_sel_hi:[1,0]
; %bb.463:                              ;   in Loop: Header=BB56_401 Depth=1
	s_or_b32 exec_lo, exec_lo, s5
	s_xor_b32 s4, s4, -1
                                        ; implicit-def: $vgpr44
	s_delay_alu instid0(SALU_CYCLE_1) | instskip(NEXT) | instid1(SALU_CYCLE_1)
	s_and_saveexec_b32 s5, s4
	s_xor_b32 s4, exec_lo, s5
	s_cbranch_execz .LBB56_465
; %bb.464:                              ;   in Loop: Header=BB56_401 Depth=1
	v_fma_f32 v44, |v35|, -0.5, 0.5
	v_mul_f32_e32 v45, v35, v35
	v_cmp_ge_f32_e64 vcc_lo, |v35|, 0.5
	s_delay_alu instid0(VALU_DEP_2) | instskip(SKIP_1) | instid1(VALU_DEP_2)
	v_cndmask_b32_e32 v44, v45, v44, vcc_lo
	v_cmp_lt_f32_e64 vcc_lo, |v35|, 0.5
	v_fmaak_f32 v45, s16, v44, 0x3c5fc5da
	v_sqrt_f32_e32 v46, v44
	s_delay_alu instid0(VALU_DEP_1) | instskip(NEXT) | instid1(VALU_DEP_1)
	v_fmaak_f32 v45, v44, v45, 0x3d034c3c
	v_fmaak_f32 v45, v44, v45, 0x3d3641b1
	s_delay_alu instid0(VALU_DEP_1) | instskip(NEXT) | instid1(VALU_DEP_1)
	v_fmaak_f32 v45, v44, v45, 0x3d999bc8
	v_fmaak_f32 v45, v44, v45, 0x3e2aaaac
	s_delay_alu instid0(VALU_DEP_1)
	v_mul_f32_e32 v44, v44, v45
	s_delay_alu instid0(TRANS32_DEP_1) | instid1(VALU_DEP_1)
	v_fmac_f32_e32 v46, v46, v44
	s_delay_alu instid0(VALU_DEP_1) | instskip(NEXT) | instid1(VALU_DEP_1)
	v_add_f32_e32 v45, v46, v46
                                        ; implicit-def: $vgpr47
	v_sub_f32_e32 v45, 0x3fc90fdb, v45
	v_fma_f32 v44, |v35|, v44, |v35|
	s_delay_alu instid0(VALU_DEP_1) | instskip(NEXT) | instid1(VALU_DEP_1)
	v_cndmask_b32_e32 v44, v45, v44, vcc_lo
	v_bfi_b32 v44, 0x7fffffff, v44, v35
.LBB56_465:                             ;   in Loop: Header=BB56_401 Depth=1
	s_and_not1_saveexec_b32 s5, s4
	s_cbranch_execz .LBB56_467
; %bb.466:                              ;   in Loop: Header=BB56_401 Depth=1
	v_max_num_f32_e32 v35, v47, v47
	v_max_num_f32_e64 v44, |v46|, |v46|
	v_cmp_gt_f32_e64 vcc_lo, v47, |v46|
	v_cmp_gt_i32_e64 s4, 0, v46
	v_cmp_class_f32_e64 s22, v46, 0x204
	s_delay_alu instid0(VALU_DEP_4) | instskip(NEXT) | instid1(VALU_DEP_1)
	v_dual_max_num_f32 v45, v44, v35 :: v_dual_min_num_f32 v35, v44, v35
	v_frexp_mant_f32_e32 v50, v45
	v_frexp_exp_i32_f32_e32 v44, v45
	s_delay_alu instid0(VALU_DEP_2)
	v_rcp_f32_e32 v45, v50
	v_nop
	v_frexp_exp_i32_f32_e32 v50, v35
	v_frexp_mant_f32_e32 v35, v35
	s_delay_alu instid0(TRANS32_DEP_1) | instid1(VALU_DEP_1)
	v_dual_mul_f32 v35, v35, v45 :: v_dual_sub_nc_u32 v44, v50, v44
	s_delay_alu instid0(VALU_DEP_1) | instskip(NEXT) | instid1(VALU_DEP_1)
	v_ldexp_f32 v35, v35, v44
	v_mul_f32_e32 v44, v35, v35
	s_delay_alu instid0(VALU_DEP_1) | instskip(NEXT) | instid1(VALU_DEP_1)
	v_fmaak_f32 v45, s17, v44, 0xbc7a590c
	v_fmaak_f32 v45, v44, v45, 0x3d29fb3f
	s_delay_alu instid0(VALU_DEP_1) | instskip(NEXT) | instid1(VALU_DEP_1)
	v_fmaak_f32 v45, v44, v45, 0xbd97d4d7
	v_fmaak_f32 v45, v44, v45, 0x3dd931b2
	;; [unrolled: 3-line block ×3, first 2 shown]
	s_delay_alu instid0(VALU_DEP_1) | instskip(NEXT) | instid1(VALU_DEP_1)
	v_fmaak_f32 v45, v44, v45, 0xbeaaaa62
	v_mul_f32_e32 v44, v44, v45
	s_delay_alu instid0(VALU_DEP_1) | instskip(NEXT) | instid1(VALU_DEP_1)
	v_fmac_f32_e32 v35, v35, v44
	v_sub_f32_e32 v44, 0x3fc90fdb, v35
	s_delay_alu instid0(VALU_DEP_1) | instskip(SKIP_1) | instid1(VALU_DEP_2)
	v_cndmask_b32_e32 v35, v35, v44, vcc_lo
	v_cmp_gt_f32_e32 vcc_lo, 0, v46
	v_sub_f32_e32 v44, 0x40490fdb, v35
	v_cndmask_b32_e32 v45, 0x3f490fdb, v49, vcc_lo
	s_delay_alu instid0(VALU_DEP_2) | instskip(SKIP_3) | instid1(VALU_DEP_2)
	v_cndmask_b32_e32 v35, v35, v44, vcc_lo
	v_cndmask_b32_e64 v44, 0, 0x40490fdb, s4
	v_cmp_eq_f32_e64 s4, 0, v47
	v_cmp_eq_f32_e32 vcc_lo, 0x7f800000, v47
	v_cndmask_b32_e64 v35, |v35|, v44, s4
	s_and_b32 vcc_lo, vcc_lo, s22
	s_delay_alu instid0(VALU_DEP_1) | instskip(SKIP_1) | instid1(VALU_DEP_2)
	v_cndmask_b32_e32 v35, v35, v45, vcc_lo
	v_cmp_o_f32_e32 vcc_lo, v46, v46
	v_cndmask_b32_e32 v44, 0x7fc00000, v35, vcc_lo
.LBB56_467:                             ;   in Loop: Header=BB56_401 Depth=1
	s_or_b32 exec_lo, exec_lo, s5
	s_delay_alu instid0(VALU_DEP_1)
	v_bfi_b32 v38, 0x7fffffff, v44, v38
	v_bfi_b32 v39, 0x7fffffff, v33, v39
.LBB56_468:                             ;   in Loop: Header=BB56_401 Depth=1
	s_or_b32 exec_lo, exec_lo, s21
.LBB56_469:                             ;   in Loop: Header=BB56_401 Depth=1
	s_delay_alu instid0(SALU_CYCLE_1)
	s_or_b32 exec_lo, exec_lo, s20
                                        ; implicit-def: $vgpr33
                                        ; implicit-def: $vgpr35
                                        ; implicit-def: $vgpr44
.LBB56_470:                             ;   in Loop: Header=BB56_401 Depth=1
	s_and_not1_saveexec_b32 s19, s19
	s_cbranch_execz .LBB56_492
; %bb.471:                              ;   in Loop: Header=BB56_401 Depth=1
                                        ; implicit-def: $sgpr20
                                        ; implicit-def: $vgpr45
                                        ; implicit-def: $vgpr46
	s_mov_b32 s4, exec_lo
	v_cmpx_lt_i32_e32 -1, v39
	s_xor_b32 s21, exec_lo, s4
	s_cbranch_execz .LBB56_481
; %bb.472:                              ;   in Loop: Header=BB56_401 Depth=1
	v_cmp_lt_f32_e64 s4, |v39|, |v38|
                                        ; implicit-def: $vgpr45
                                        ; implicit-def: $vgpr46
	s_mov_b32 s5, exec_lo
	v_cndmask_b32_e64 v47, |v39|, |v38|, s4
	s_delay_alu instid0(VALU_DEP_1)
	v_cmpx_nlt_f32_e32 0x7effffff, v47
	s_xor_b32 s20, exec_lo, s5
	s_cbranch_execz .LBB56_478
; %bb.473:                              ;   in Loop: Header=BB56_401 Depth=1
	v_cndmask_b32_e64 v50, |v38|, |v39|, s4
	v_cmp_nlt_f32_e32 vcc_lo, 0x5e000000, v47
                                        ; implicit-def: $vgpr45
                                        ; implicit-def: $vgpr46
	s_delay_alu instid0(VALU_DEP_2) | instskip(SKIP_1) | instid1(SALU_CYCLE_1)
	v_cmp_ngt_f32_e64 s5, 0x20000000, v50
	s_and_b32 s5, vcc_lo, s5
	s_and_saveexec_b32 s22, s5
	s_delay_alu instid0(SALU_CYCLE_1)
	s_xor_b32 s22, exec_lo, s22
	s_cbranch_execz .LBB56_475
; %bb.474:                              ;   in Loop: Header=BB56_401 Depth=1
	v_frexp_mant_f32_e32 v45, v44
	s_wait_dscnt 0x0
	v_dual_min_num_f32 v33, v35, v33 :: v_dual_mul_f32 v50, v50, v50
	v_frexp_exp_i32_f32_e32 v35, v44
	s_delay_alu instid0(VALU_DEP_3) | instskip(SKIP_1) | instid1(VALU_DEP_3)
	v_rcp_f32_e32 v44, v45
	v_nop
	v_frexp_exp_i32_f32_e32 v45, v33
	v_frexp_mant_f32_e32 v33, v33
	v_fmac_f32_e32 v50, v47, v47
	s_delay_alu instid0(VALU_DEP_3)
	v_sub_nc_u32_e32 v35, v45, v35
	s_delay_alu instid0(TRANS32_DEP_1) | instid1(VALU_DEP_3)
	v_mul_f32_e32 v33, v33, v44
	s_delay_alu instid0(VALU_DEP_3) | instskip(NEXT) | instid1(VALU_DEP_2)
	v_cmp_gt_f32_e32 vcc_lo, 0x800000, v50
	v_ldexp_f32 v46, v33, v35
	v_cndmask_b32_e64 v33, 0, 32, vcc_lo
	s_delay_alu instid0(VALU_DEP_1) | instskip(NEXT) | instid1(VALU_DEP_1)
	v_ldexp_f32 v33, v50, v33
	v_log_f32_e32 v33, v33
	v_nop
	s_delay_alu instid0(TRANS32_DEP_1) | instskip(SKIP_1) | instid1(VALU_DEP_2)
	v_mul_f32_e32 v45, 0x3f317217, v33
	v_cmp_gt_f32_e64 s5, 0x7f800000, |v33|
	v_fma_f32 v45, 0x3f317217, v33, -v45
	s_delay_alu instid0(VALU_DEP_1) | instskip(NEXT) | instid1(VALU_DEP_1)
	v_fmac_f32_e32 v45, 0x3377d1cf, v33
	v_fmac_f32_e32 v45, 0x3f317217, v33
	s_delay_alu instid0(VALU_DEP_1) | instskip(SKIP_1) | instid1(VALU_DEP_1)
	v_dual_mul_f32 v35, v46, v46 :: v_dual_cndmask_b32 v33, v33, v45, s5
	v_cndmask_b32_e64 v45, 0, 0x41b17218, vcc_lo
	v_dual_fmaak_f32 v44, s17, v35, 0xbc7a590c :: v_dual_sub_f32 v33, v33, v45
	s_delay_alu instid0(VALU_DEP_1) | instskip(NEXT) | instid1(VALU_DEP_1)
	v_dual_fmaak_f32 v44, v35, v44, 0x3d29fb3f :: v_dual_mul_f32 v45, 0.5, v33
	v_fmaak_f32 v44, v35, v44, 0xbd97d4d7
                                        ; implicit-def: $vgpr33
	s_delay_alu instid0(VALU_DEP_1) | instskip(NEXT) | instid1(VALU_DEP_1)
	v_fmaak_f32 v44, v35, v44, 0x3dd931b2
	v_fmaak_f32 v44, v35, v44, 0xbe1160e6
	s_delay_alu instid0(VALU_DEP_1) | instskip(NEXT) | instid1(VALU_DEP_1)
	v_fmaak_f32 v44, v35, v44, 0x3e4cb8bf
	v_fmaak_f32 v44, v35, v44, 0xbeaaaa62
	s_delay_alu instid0(VALU_DEP_1) | instskip(NEXT) | instid1(VALU_DEP_1)
	v_mul_f32_e32 v35, v35, v44
                                        ; implicit-def: $vgpr44
	v_fmac_f32_e32 v46, v46, v35
                                        ; implicit-def: $vgpr35
.LBB56_475:                             ;   in Loop: Header=BB56_401 Depth=1
	s_and_not1_saveexec_b32 s5, s22
	s_cbranch_execz .LBB56_477
; %bb.476:                              ;   in Loop: Header=BB56_401 Depth=1
	v_cvt_f64_f32_e32 v[46:47], v44
	v_frexp_mant_f32_e32 v50, v44
	v_cmp_neq_f32_e32 vcc_lo, 0x7f800000, v44
	s_delay_alu instid0(VALU_DEP_3) | instskip(NEXT) | instid1(VALU_DEP_1)
	v_frexp_exp_i32_f64_e32 v45, v[46:47]
	v_sub_nc_u32_e32 v46, 0, v45
	s_delay_alu instid0(VALU_DEP_1) | instskip(NEXT) | instid1(VALU_DEP_1)
	v_ldexp_f32 v47, |v38|, v46
	v_mul_f32_e32 v47, v47, v47
	v_ldexp_f32 v46, |v39|, v46
	s_wait_dscnt 0x0
	v_min_num_f32_e32 v33, v35, v33
	v_frexp_exp_i32_f32_e32 v35, v44
	s_delay_alu instid0(VALU_DEP_3)
	v_fmac_f32_e32 v47, v46, v46
	v_rcp_f32_e32 v46, v50
	v_nop
	v_frexp_exp_i32_f32_e32 v50, v33
	v_frexp_mant_f32_e32 v33, v33
	v_sqrt_f32_e32 v47, v47
	s_delay_alu instid0(TRANS32_DEP_2) | instid1(VALU_DEP_1)
	v_dual_sub_nc_u32 v35, v50, v35 :: v_dual_mul_f32 v33, v33, v46
	s_delay_alu instid0(TRANS32_DEP_1) | instskip(NEXT) | instid1(VALU_DEP_2)
	v_ldexp_f32 v45, v47, v45
	v_ldexp_f32 v46, v33, v35
	s_delay_alu instid0(VALU_DEP_2) | instskip(NEXT) | instid1(VALU_DEP_1)
	v_cndmask_b32_e32 v33, 0x7f800000, v45, vcc_lo
	v_cmp_gt_f32_e32 vcc_lo, 0x800000, v33
	v_cndmask_b32_e64 v44, 0, 32, vcc_lo
	v_cndmask_b32_e64 v47, 0, 0x41b17218, vcc_lo
	s_delay_alu instid0(VALU_DEP_2) | instskip(NEXT) | instid1(VALU_DEP_1)
	v_ldexp_f32 v33, v33, v44
	v_log_f32_e32 v33, v33
	v_nop
	s_delay_alu instid0(TRANS32_DEP_1) | instskip(SKIP_1) | instid1(VALU_DEP_1)
	v_cmp_gt_f32_e64 vcc_lo, 0x7f800000, |v33|
	v_mul_f32_e32 v35, v46, v46
	v_fmaak_f32 v45, s17, v35, 0xbc7a590c
	s_delay_alu instid0(VALU_DEP_1) | instskip(SKIP_1) | instid1(VALU_DEP_1)
	v_fmaak_f32 v44, v35, v45, 0x3d29fb3f
	v_mul_f32_e32 v45, 0x3f317217, v33
	v_fma_f32 v45, 0x3f317217, v33, -v45
	s_delay_alu instid0(VALU_DEP_1) | instskip(NEXT) | instid1(VALU_DEP_1)
	v_fmac_f32_e32 v45, 0x3377d1cf, v33
	v_fmac_f32_e32 v45, 0x3f317217, v33
	s_delay_alu instid0(VALU_DEP_1) | instskip(NEXT) | instid1(VALU_DEP_1)
	v_cndmask_b32_e32 v33, v33, v45, vcc_lo
	v_dual_sub_f32 v45, v33, v47 :: v_dual_fmaak_f32 v44, v35, v44, 0xbd97d4d7
	s_delay_alu instid0(VALU_DEP_1) | instskip(NEXT) | instid1(VALU_DEP_1)
	v_fmaak_f32 v44, v35, v44, 0x3dd931b2
	v_fmaak_f32 v44, v35, v44, 0xbe1160e6
	s_delay_alu instid0(VALU_DEP_1) | instskip(NEXT) | instid1(VALU_DEP_1)
	v_fmaak_f32 v44, v35, v44, 0x3e4cb8bf
	v_fmaak_f32 v44, v35, v44, 0xbeaaaa62
	s_delay_alu instid0(VALU_DEP_1) | instskip(NEXT) | instid1(VALU_DEP_1)
	v_mul_f32_e32 v35, v35, v44
	v_fmac_f32_e32 v46, v46, v35
.LBB56_477:                             ;   in Loop: Header=BB56_401 Depth=1
	s_or_b32 exec_lo, exec_lo, s5
                                        ; implicit-def: $vgpr35
                                        ; implicit-def: $vgpr33
                                        ; implicit-def: $vgpr44
.LBB56_478:                             ;   in Loop: Header=BB56_401 Depth=1
	s_and_not1_saveexec_b32 s20, s20
	s_cbranch_execz .LBB56_480
; %bb.479:                              ;   in Loop: Header=BB56_401 Depth=1
	v_div_scale_f32 v45, null, 0x402df854, 0x402df854, v39
	v_div_scale_f32 v46, null, 0x402df854, 0x402df854, v38
	v_div_scale_f32 v53, vcc_lo, v39, 0x402df854, v39
	s_delay_alu instid0(VALU_DEP_3) | instskip(NEXT) | instid1(VALU_DEP_2)
	v_rcp_f32_e32 v47, v45
	v_rcp_f32_e32 v50, v46
	s_wait_dscnt 0x0
	v_min_num_f32_e32 v33, v35, v33
	s_delay_alu instid0(TRANS32_DEP_2) | instskip(NEXT) | instid1(TRANS32_DEP_1)
	v_fma_f32 v51, -v45, v47, 1.0
	v_fma_f32 v52, -v46, v50, 1.0
	s_delay_alu instid0(VALU_DEP_1) | instskip(SKIP_1) | instid1(VALU_DEP_1)
	v_dual_fmac_f32 v47, v51, v47 :: v_dual_fmac_f32 v50, v52, v50
	v_div_scale_f32 v51, s5, v38, 0x402df854, v38
	v_dual_mul_f32 v52, v53, v47 :: v_dual_mul_f32 v54, v51, v50
	s_delay_alu instid0(VALU_DEP_1) | instskip(NEXT) | instid1(VALU_DEP_1)
	v_dual_fma_f32 v55, -v45, v52, v53 :: v_dual_fma_f32 v56, -v46, v54, v51
	v_dual_fmac_f32 v52, v55, v47 :: v_dual_fmac_f32 v54, v56, v50
	s_delay_alu instid0(VALU_DEP_1) | instskip(NEXT) | instid1(VALU_DEP_1)
	v_dual_fma_f32 v45, -v45, v52, v53 :: v_dual_fma_f32 v46, -v46, v54, v51
	v_div_fmas_f32 v45, v45, v47, v52
	s_mov_b32 vcc_lo, s5
	s_delay_alu instid0(VALU_DEP_2) | instskip(NEXT) | instid1(VALU_DEP_2)
	v_div_fmas_f32 v46, v46, v50, v54
	v_div_fixup_f32 v45, v45, 0x402df854, v39
	s_delay_alu instid0(VALU_DEP_2) | instskip(NEXT) | instid1(VALU_DEP_1)
	v_div_fixup_f32 v50, v46, 0x402df854, v38
	v_max_num_f32_e64 v51, v45, |v50|
	s_delay_alu instid0(VALU_DEP_1) | instskip(SKIP_1) | instid1(VALU_DEP_2)
	v_cvt_f64_f32_e32 v[46:47], v51
	v_cmp_neq_f32_e32 vcc_lo, 0x7f800000, v51
	v_frexp_exp_i32_f64_e32 v46, v[46:47]
	s_delay_alu instid0(VALU_DEP_1) | instskip(NEXT) | instid1(VALU_DEP_1)
	v_sub_nc_u32_e32 v47, 0, v46
	v_ldexp_f32 v50, |v50|, v47
	v_ldexp_f32 v45, v45, v47
	s_delay_alu instid0(VALU_DEP_2) | instskip(NEXT) | instid1(VALU_DEP_1)
	v_mul_f32_e32 v47, v50, v50
	v_fmac_f32_e32 v47, v45, v45
	v_frexp_mant_f32_e32 v45, v44
	v_frexp_exp_i32_f32_e32 v44, v44
	s_delay_alu instid0(VALU_DEP_3) | instskip(NEXT) | instid1(VALU_DEP_2)
	v_sqrt_f32_e32 v35, v47
	v_rcp_f32_e32 v45, v45
	v_frexp_exp_i32_f32_e32 v47, v33
	v_frexp_mant_f32_e32 v33, v33
	s_delay_alu instid0(TRANS32_DEP_2)
	v_ldexp_f32 v35, v35, v46
	s_delay_alu instid0(TRANS32_DEP_1) | instid1(VALU_DEP_2)
	v_dual_mul_f32 v33, v33, v45 :: v_dual_sub_nc_u32 v44, v47, v44
	s_delay_alu instid0(VALU_DEP_2) | instskip(NEXT) | instid1(VALU_DEP_2)
	v_cndmask_b32_e32 v35, 0x7f800000, v35, vcc_lo
	v_ldexp_f32 v46, v33, v44
	s_delay_alu instid0(VALU_DEP_2) | instskip(NEXT) | instid1(VALU_DEP_2)
	v_cmp_gt_f32_e32 vcc_lo, 0x800000, v35
	v_mul_f32_e32 v44, v46, v46
	v_cndmask_b32_e64 v33, 0, 32, vcc_lo
	v_cndmask_b32_e64 v47, 0, 0x41b17218, vcc_lo
	s_delay_alu instid0(VALU_DEP_2) | instskip(NEXT) | instid1(VALU_DEP_4)
	v_ldexp_f32 v33, v35, v33
	v_fmaak_f32 v35, s17, v44, 0xbc7a590c
	s_delay_alu instid0(VALU_DEP_2) | instskip(NEXT) | instid1(VALU_DEP_1)
	v_log_f32_e32 v33, v33
	v_fmaak_f32 v35, v44, v35, 0x3d29fb3f
	s_delay_alu instid0(VALU_DEP_1) | instskip(NEXT) | instid1(TRANS32_DEP_1)
	v_fmaak_f32 v35, v44, v35, 0xbd97d4d7
	v_cmp_gt_f32_e64 vcc_lo, 0x7f800000, |v33|
	s_delay_alu instid0(VALU_DEP_2) | instskip(NEXT) | instid1(VALU_DEP_1)
	v_fmaak_f32 v35, v44, v35, 0x3dd931b2
	v_fmaak_f32 v35, v44, v35, 0xbe1160e6
	s_delay_alu instid0(VALU_DEP_1) | instskip(NEXT) | instid1(VALU_DEP_1)
	v_fmaak_f32 v35, v44, v35, 0x3e4cb8bf
	v_fmaak_f32 v35, v44, v35, 0xbeaaaa62
	s_delay_alu instid0(VALU_DEP_1) | instskip(NEXT) | instid1(VALU_DEP_1)
	v_mul_f32_e32 v35, v44, v35
	v_dual_mul_f32 v45, 0x3f317217, v33 :: v_dual_fmac_f32 v46, v46, v35
	s_delay_alu instid0(VALU_DEP_1) | instskip(NEXT) | instid1(VALU_DEP_1)
	v_fma_f32 v45, 0x3f317217, v33, -v45
	v_fmac_f32_e32 v45, 0x3377d1cf, v33
	s_delay_alu instid0(VALU_DEP_1) | instskip(NEXT) | instid1(VALU_DEP_1)
	v_fmac_f32_e32 v45, 0x3f317217, v33
	v_cndmask_b32_e32 v33, v33, v45, vcc_lo
	s_delay_alu instid0(VALU_DEP_1) | instskip(NEXT) | instid1(VALU_DEP_1)
	v_sub_f32_e32 v33, v33, v47
	v_add_f32_e32 v45, 1.0, v33
.LBB56_480:                             ;   in Loop: Header=BB56_401 Depth=1
	s_or_b32 exec_lo, exec_lo, s20
	s_wait_dscnt 0x0
	v_sub_f32_e32 v33, 0x3fc90fdb, v46
	v_cmp_neq_f32_e32 vcc_lo, 0, v38
	v_cmp_class_f32_e64 s20, v39, 0x204
	s_delay_alu instid0(VALU_DEP_3) | instskip(NEXT) | instid1(VALU_DEP_1)
	v_cndmask_b32_e64 v33, v46, v33, s4
	v_cndmask_b32_e32 v46, 0, v33, vcc_lo
                                        ; implicit-def: $vgpr33
.LBB56_481:                             ;   in Loop: Header=BB56_401 Depth=1
	s_and_not1_saveexec_b32 s21, s21
	s_cbranch_execz .LBB56_491
; %bb.482:                              ;   in Loop: Header=BB56_401 Depth=1
	v_cmp_gt_f32_e64 s4, |v38|, -v39
                                        ; implicit-def: $vgpr45
                                        ; implicit-def: $vgpr35
	s_mov_b32 s5, exec_lo
	v_cndmask_b32_e64 v44, -v39, |v38|, s4
	s_delay_alu instid0(VALU_DEP_1)
	v_cmpx_nlt_f32_e32 0x7effffff, v44
	s_xor_b32 s22, exec_lo, s5
	s_cbranch_execz .LBB56_488
; %bb.483:                              ;   in Loop: Header=BB56_401 Depth=1
	v_xor_b32_e32 v35, 0x80000000, v39
	v_cmp_nlt_f32_e32 vcc_lo, 0x5e000000, v44
                                        ; implicit-def: $vgpr45
	s_delay_alu instid0(VALU_DEP_2) | instskip(NEXT) | instid1(VALU_DEP_1)
	v_cndmask_b32_e64 v46, |v38|, v35, s4
                                        ; implicit-def: $vgpr35
	v_cmp_ngt_f32_e64 s5, 0x20000000, v46
	s_and_b32 s5, vcc_lo, s5
	s_delay_alu instid0(SALU_CYCLE_1) | instskip(NEXT) | instid1(SALU_CYCLE_1)
	s_and_saveexec_b32 s23, s5
	s_xor_b32 s23, exec_lo, s23
	s_cbranch_execz .LBB56_485
; %bb.484:                              ;   in Loop: Header=BB56_401 Depth=1
	v_dual_max_num_f32 v35, -v39, -v39 :: v_dual_mul_f32 v46, v46, v46
	s_wait_dscnt 0x0
	s_delay_alu instid0(VALU_DEP_1) | instskip(NEXT) | instid1(VALU_DEP_1)
	v_dual_max_num_f32 v45, v35, v33 :: v_dual_min_num_f32 v33, v35, v33
	v_frexp_mant_f32_e32 v47, v45
	v_frexp_exp_i32_f32_e32 v35, v45
	s_delay_alu instid0(VALU_DEP_2)
	v_rcp_f32_e32 v45, v47
	v_nop
	v_frexp_exp_i32_f32_e32 v47, v33
	v_frexp_mant_f32_e32 v33, v33
	s_delay_alu instid0(TRANS32_DEP_1) | instid1(VALU_DEP_1)
	v_dual_sub_nc_u32 v35, v47, v35 :: v_dual_mul_f32 v33, v33, v45
	s_delay_alu instid0(VALU_DEP_1) | instskip(NEXT) | instid1(VALU_DEP_1)
	v_ldexp_f32 v35, v33, v35
	v_dual_fmac_f32 v46, v44, v44 :: v_dual_mul_f32 v44, v35, v35
	s_delay_alu instid0(VALU_DEP_1) | instskip(NEXT) | instid1(VALU_DEP_2)
	v_cmp_gt_f32_e32 vcc_lo, 0x800000, v46
	v_fmaak_f32 v45, s17, v44, 0xbc7a590c
	v_cndmask_b32_e64 v33, 0, 32, vcc_lo
	s_delay_alu instid0(VALU_DEP_2) | instskip(NEXT) | instid1(VALU_DEP_2)
	v_fmaak_f32 v45, v44, v45, 0x3d29fb3f
	v_ldexp_f32 v33, v46, v33
	s_delay_alu instid0(VALU_DEP_2) | instskip(NEXT) | instid1(VALU_DEP_2)
	v_fmaak_f32 v45, v44, v45, 0xbd97d4d7
	v_log_f32_e32 v33, v33
	s_delay_alu instid0(VALU_DEP_1) | instskip(NEXT) | instid1(TRANS32_DEP_1)
	v_fmaak_f32 v45, v44, v45, 0x3dd931b2
	v_mul_f32_e32 v46, 0x3f317217, v33
	v_cmp_gt_f32_e64 s5, 0x7f800000, |v33|
	s_delay_alu instid0(VALU_DEP_3) | instskip(NEXT) | instid1(VALU_DEP_3)
	v_fmaak_f32 v45, v44, v45, 0xbe1160e6
	v_fma_f32 v46, 0x3f317217, v33, -v46
	s_delay_alu instid0(VALU_DEP_2) | instskip(NEXT) | instid1(VALU_DEP_1)
	v_fmaak_f32 v45, v44, v45, 0x3e4cb8bf
	v_fmaak_f32 v45, v44, v45, 0xbeaaaa62
	s_delay_alu instid0(VALU_DEP_1) | instskip(NEXT) | instid1(VALU_DEP_1)
	v_mul_f32_e32 v44, v44, v45
	v_dual_fmac_f32 v46, 0x3377d1cf, v33 :: v_dual_fmac_f32 v35, v35, v44
	s_delay_alu instid0(VALU_DEP_1) | instskip(NEXT) | instid1(VALU_DEP_1)
	v_fmac_f32_e32 v46, 0x3f317217, v33
	v_cndmask_b32_e64 v33, v33, v46, s5
	v_cndmask_b32_e64 v46, 0, 0x41b17218, vcc_lo
	s_delay_alu instid0(VALU_DEP_1) | instskip(NEXT) | instid1(VALU_DEP_1)
	v_sub_f32_e32 v33, v33, v46
	v_mul_f32_e32 v45, 0.5, v33
                                        ; implicit-def: $vgpr33
.LBB56_485:                             ;   in Loop: Header=BB56_401 Depth=1
	s_and_not1_saveexec_b32 s5, s23
	s_cbranch_execz .LBB56_487
; %bb.486:                              ;   in Loop: Header=BB56_401 Depth=1
	v_max_num_f32_e64 v35, -v39, -v39
	s_wait_dscnt 0x0
	s_delay_alu instid0(VALU_DEP_1) | instskip(NEXT) | instid1(VALU_DEP_1)
	v_max_num_f32_e32 v46, v35, v33
	v_cvt_f64_f32_e32 v[44:45], v46
	s_delay_alu instid0(VALU_DEP_1) | instskip(NEXT) | instid1(VALU_DEP_1)
	v_frexp_exp_i32_f64_e32 v44, v[44:45]
	v_dual_sub_nc_u32 v45, 0, v44 :: v_dual_min_num_f32 v33, v35, v33
	v_frexp_mant_f32_e32 v35, v46
	v_cmp_neq_f32_e32 vcc_lo, 0x7f800000, v46
	s_delay_alu instid0(VALU_DEP_3)
	v_ldexp_f32 v47, |v38|, v45
	v_ldexp_f32 v45, -v39, v45
	v_frexp_exp_i32_f32_e32 v50, v33
	v_rcp_f32_e32 v35, v35
	v_frexp_mant_f32_e32 v33, v33
	v_mul_f32_e32 v47, v47, v47
	s_delay_alu instid0(TRANS32_DEP_1) | instid1(VALU_DEP_2)
	v_mul_f32_e32 v33, v33, v35
	s_delay_alu instid0(VALU_DEP_2) | instskip(SKIP_1) | instid1(VALU_DEP_2)
	v_fmac_f32_e32 v47, v45, v45
	v_frexp_exp_i32_f32_e32 v45, v46
	v_sqrt_f32_e32 v47, v47
	s_delay_alu instid0(VALU_DEP_1) | instskip(NEXT) | instid1(VALU_DEP_1)
	v_sub_nc_u32_e32 v45, v50, v45
	v_ldexp_f32 v35, v33, v45
	s_delay_alu instid0(TRANS32_DEP_1) | instskip(NEXT) | instid1(VALU_DEP_1)
	v_ldexp_f32 v44, v47, v44
	v_dual_cndmask_b32 v33, 0x7f800000, v44 :: v_dual_mul_f32 v44, v35, v35
	s_delay_alu instid0(VALU_DEP_1) | instskip(NEXT) | instid1(VALU_DEP_2)
	v_cmp_gt_f32_e32 vcc_lo, 0x800000, v33
	v_fmaak_f32 v46, s17, v44, 0xbc7a590c
	v_cndmask_b32_e64 v45, 0, 32, vcc_lo
	v_cndmask_b32_e64 v47, 0, 0x41b17218, vcc_lo
	s_delay_alu instid0(VALU_DEP_2) | instskip(NEXT) | instid1(VALU_DEP_4)
	v_ldexp_f32 v33, v33, v45
	v_fmaak_f32 v45, v44, v46, 0x3d29fb3f
	s_delay_alu instid0(VALU_DEP_2) | instskip(NEXT) | instid1(VALU_DEP_1)
	v_log_f32_e32 v33, v33
	v_fmaak_f32 v45, v44, v45, 0xbd97d4d7
	s_delay_alu instid0(VALU_DEP_1) | instskip(NEXT) | instid1(TRANS32_DEP_1)
	v_fmaak_f32 v45, v44, v45, 0x3dd931b2
	v_mul_f32_e32 v46, 0x3f317217, v33
	v_cmp_gt_f32_e64 vcc_lo, 0x7f800000, |v33|
	s_delay_alu instid0(VALU_DEP_3) | instskip(NEXT) | instid1(VALU_DEP_3)
	v_fmaak_f32 v45, v44, v45, 0xbe1160e6
	v_fma_f32 v46, 0x3f317217, v33, -v46
	s_delay_alu instid0(VALU_DEP_2) | instskip(NEXT) | instid1(VALU_DEP_1)
	v_fmaak_f32 v45, v44, v45, 0x3e4cb8bf
	v_fmaak_f32 v45, v44, v45, 0xbeaaaa62
	s_delay_alu instid0(VALU_DEP_1) | instskip(NEXT) | instid1(VALU_DEP_1)
	v_mul_f32_e32 v44, v44, v45
	v_dual_fmac_f32 v46, 0x3377d1cf, v33 :: v_dual_fmac_f32 v35, v35, v44
	s_delay_alu instid0(VALU_DEP_1) | instskip(NEXT) | instid1(VALU_DEP_1)
	v_fmac_f32_e32 v46, 0x3f317217, v33
	v_cndmask_b32_e32 v33, v33, v46, vcc_lo
	s_delay_alu instid0(VALU_DEP_1)
	v_sub_f32_e32 v45, v33, v47
.LBB56_487:                             ;   in Loop: Header=BB56_401 Depth=1
	s_or_b32 exec_lo, exec_lo, s5
                                        ; implicit-def: $vgpr33
.LBB56_488:                             ;   in Loop: Header=BB56_401 Depth=1
	s_and_not1_saveexec_b32 s22, s22
	s_cbranch_execz .LBB56_490
; %bb.489:                              ;   in Loop: Header=BB56_401 Depth=1
	v_div_scale_f32 v35, null, 0xc02df854, 0xc02df854, v39
	v_div_scale_f32 v44, null, 0xc02df854, 0xc02df854, v38
	v_div_scale_f32 v51, vcc_lo, v39, 0xc02df854, v39
	s_delay_alu instid0(VALU_DEP_3) | instskip(NEXT) | instid1(VALU_DEP_2)
	v_rcp_f32_e32 v45, v35
	v_rcp_f32_e32 v46, v44
	s_delay_alu instid0(TRANS32_DEP_2) | instskip(NEXT) | instid1(TRANS32_DEP_1)
	v_fma_f32 v47, -v35, v45, 1.0
	v_fma_f32 v50, -v44, v46, 1.0
	s_delay_alu instid0(VALU_DEP_1) | instskip(SKIP_1) | instid1(VALU_DEP_1)
	v_dual_fmac_f32 v45, v47, v45 :: v_dual_fmac_f32 v46, v50, v46
	v_div_scale_f32 v47, s5, v38, 0xc02df854, v38
	v_mul_f32_e32 v52, v47, v46
	s_delay_alu instid0(VALU_DEP_1) | instskip(NEXT) | instid1(VALU_DEP_1)
	v_dual_mul_f32 v50, v51, v45 :: v_dual_fma_f32 v54, -v44, v52, v47
	v_fma_f32 v53, -v35, v50, v51
	s_delay_alu instid0(VALU_DEP_1) | instskip(NEXT) | instid1(VALU_DEP_1)
	v_dual_fmac_f32 v50, v53, v45 :: v_dual_fmac_f32 v52, v54, v46
	v_fma_f32 v35, -v35, v50, v51
	s_delay_alu instid0(VALU_DEP_2) | instskip(NEXT) | instid1(VALU_DEP_2)
	v_fma_f32 v44, -v44, v52, v47
	v_div_fmas_f32 v35, v35, v45, v50
	s_mov_b32 vcc_lo, s5
	v_max_num_f32_e64 v50, -v39, -v39
	s_delay_alu instid0(VALU_DEP_3) | instskip(NEXT) | instid1(VALU_DEP_3)
	v_div_fmas_f32 v44, v44, v46, v52
	v_div_fixup_f32 v35, v35, 0xc02df854, v39
	s_delay_alu instid0(VALU_DEP_2) | instskip(NEXT) | instid1(VALU_DEP_1)
	v_div_fixup_f32 v46, v44, 0xc02df854, v38
	v_max_num_f32_e64 v47, |v35|, |v46|
	s_delay_alu instid0(VALU_DEP_1) | instskip(SKIP_1) | instid1(VALU_DEP_2)
	v_cvt_f64_f32_e32 v[44:45], v47
	v_cmp_neq_f32_e32 vcc_lo, 0x7f800000, v47
	v_frexp_exp_i32_f64_e32 v44, v[44:45]
	s_delay_alu instid0(VALU_DEP_1) | instskip(NEXT) | instid1(VALU_DEP_1)
	v_sub_nc_u32_e32 v45, 0, v44
	v_ldexp_f32 v46, |v46|, v45
	v_ldexp_f32 v35, |v35|, v45
	s_delay_alu instid0(VALU_DEP_2) | instskip(SKIP_1) | instid1(VALU_DEP_1)
	v_mul_f32_e32 v45, v46, v46
	s_wait_dscnt 0x0
	v_dual_max_num_f32 v46, v50, v33 :: v_dual_fmac_f32 v45, v35, v35
	s_delay_alu instid0(VALU_DEP_1) | instskip(SKIP_2) | instid1(VALU_DEP_4)
	v_frexp_mant_f32_e32 v35, v46
	v_frexp_exp_i32_f32_e32 v46, v46
	v_min_num_f32_e32 v33, v50, v33
	v_sqrt_f32_e32 v45, v45
	s_delay_alu instid0(VALU_DEP_3) | instskip(NEXT) | instid1(VALU_DEP_1)
	v_rcp_f32_e32 v35, v35
	v_frexp_exp_i32_f32_e32 v50, v33
	s_delay_alu instid0(TRANS32_DEP_2) | instskip(NEXT) | instid1(VALU_DEP_2)
	v_ldexp_f32 v44, v45, v44
	v_sub_nc_u32_e32 v45, v50, v46
	v_frexp_mant_f32_e32 v33, v33
	s_delay_alu instid0(TRANS32_DEP_1) | instid1(VALU_DEP_1)
	v_mul_f32_e32 v33, v33, v35
	s_delay_alu instid0(VALU_DEP_1) | instskip(NEXT) | instid1(VALU_DEP_1)
	v_ldexp_f32 v35, v33, v45
	v_dual_cndmask_b32 v44, 0x7f800000, v44 :: v_dual_mul_f32 v45, v35, v35
	s_delay_alu instid0(VALU_DEP_1) | instskip(SKIP_2) | instid1(VALU_DEP_2)
	v_cmp_gt_f32_e32 vcc_lo, 0x800000, v44
	v_cndmask_b32_e64 v33, 0, 32, vcc_lo
	v_cndmask_b32_e64 v47, 0, 0x41b17218, vcc_lo
	v_ldexp_f32 v33, v44, v33
	s_delay_alu instid0(VALU_DEP_1) | instskip(SKIP_1) | instid1(TRANS32_DEP_1)
	v_log_f32_e32 v33, v33
	v_nop
	v_mul_f32_e32 v46, 0x3f317217, v33
	v_cmp_gt_f32_e64 vcc_lo, 0x7f800000, |v33|
	s_delay_alu instid0(VALU_DEP_2) | instskip(NEXT) | instid1(VALU_DEP_1)
	v_fma_f32 v46, 0x3f317217, v33, -v46
	v_fmac_f32_e32 v46, 0x3377d1cf, v33
	s_delay_alu instid0(VALU_DEP_1) | instskip(NEXT) | instid1(VALU_DEP_1)
	v_fmac_f32_e32 v46, 0x3f317217, v33
	v_cndmask_b32_e32 v33, v33, v46, vcc_lo
	s_delay_alu instid0(VALU_DEP_1) | instskip(NEXT) | instid1(VALU_DEP_1)
	v_dual_fmaak_f32 v44, s17, v45, 0xbc7a590c :: v_dual_sub_f32 v33, v33, v47
	v_fmaak_f32 v44, v45, v44, 0x3d29fb3f
	s_delay_alu instid0(VALU_DEP_1) | instskip(NEXT) | instid1(VALU_DEP_1)
	v_fmaak_f32 v44, v45, v44, 0xbd97d4d7
	v_fmaak_f32 v44, v45, v44, 0x3dd931b2
	s_delay_alu instid0(VALU_DEP_1) | instskip(NEXT) | instid1(VALU_DEP_1)
	v_fmaak_f32 v44, v45, v44, 0xbe1160e6
	v_fmaak_f32 v44, v45, v44, 0x3e4cb8bf
	s_delay_alu instid0(VALU_DEP_1) | instskip(NEXT) | instid1(VALU_DEP_1)
	v_fmaak_f32 v44, v45, v44, 0xbeaaaa62
	v_dual_mul_f32 v44, v45, v44 :: v_dual_add_f32 v45, 1.0, v33
	s_delay_alu instid0(VALU_DEP_1)
	v_fmac_f32_e32 v35, v35, v44
.LBB56_490:                             ;   in Loop: Header=BB56_401 Depth=1
	s_or_b32 exec_lo, exec_lo, s22
	s_wait_dscnt 0x0
	s_delay_alu instid0(VALU_DEP_1) | instskip(SKIP_1) | instid1(VALU_DEP_2)
	v_sub_f32_e32 v33, 0x3fc90fdb, v35
	v_cmp_eq_f32_e32 vcc_lo, 0xff800000, v39
	v_cndmask_b32_e64 v33, v35, v33, s4
	v_cmp_neq_f32_e64 s4, 0, v38
	s_and_b32 s5, vcc_lo, exec_lo
	v_cndmask_b32_e64 v46, 0, v33, s4
	s_and_not1_b32 s4, s20, exec_lo
	s_delay_alu instid0(SALU_CYCLE_1)
	s_or_b32 s20, s4, s5
.LBB56_491:                             ;   in Loop: Header=BB56_401 Depth=1
	s_or_b32 exec_lo, exec_lo, s21
	v_cmp_class_f32_e64 s4, v38, 0x204
	v_add_f32_e32 v35, 0x3f317218, v45
	s_and_b32 s4, s4, s20
	s_delay_alu instid0(VALU_DEP_1) | instskip(SKIP_2) | instid1(VALU_DEP_1)
	v_bfi_b32 v39, 0x7fffffff, v35, v39
	s_wait_dscnt 0x0
	v_cndmask_b32_e64 v33, v46, 0x3f490fdb, s4
	v_bfi_b32 v38, 0x7fffffff, v33, v38
.LBB56_492:                             ;   in Loop: Header=BB56_401 Depth=1
	s_or_b32 exec_lo, exec_lo, s19
.LBB56_493:                             ;   in Loop: Header=BB56_401 Depth=1
	s_and_not1_saveexec_b32 s4, s18
	s_cbranch_execz .LBB56_507
; %bb.494:                              ;   in Loop: Header=BB56_401 Depth=1
	v_cmp_neq_f32_e64 s5, 0x7f800000, |v39|
                                        ; implicit-def: $vgpr33
	s_and_saveexec_b32 s18, s5
	s_delay_alu instid0(SALU_CYCLE_1)
	s_xor_b32 s5, exec_lo, s18
	s_cbranch_execz .LBB56_504
; %bb.495:                              ;   in Loop: Header=BB56_401 Depth=1
	v_cmp_neq_f32_e64 s18, 0x7f800000, |v38|
                                        ; implicit-def: $vgpr33
	s_and_saveexec_b32 s19, s18
	s_delay_alu instid0(SALU_CYCLE_1)
	s_xor_b32 s18, exec_lo, s19
	s_cbranch_execz .LBB56_501
; %bb.496:                              ;   in Loop: Header=BB56_401 Depth=1
	s_mov_b32 s19, exec_lo
	v_cmpx_neq_f32_e32 0, v38
	s_xor_b32 s19, exec_lo, s19
	s_cbranch_execz .LBB56_498
; %bb.497:                              ;   in Loop: Header=BB56_401 Depth=1
	s_wait_dscnt 0x0
	v_add_f32_e32 v33, 0, v39
	s_delay_alu instid0(VALU_DEP_1)
	v_add_f32_e32 v39, v38, v33
.LBB56_498:                             ;   in Loop: Header=BB56_401 Depth=1
	s_or_saveexec_b32 s19, s19
	s_wait_dscnt 0x0
	s_delay_alu instid0(VALU_DEP_1)
	v_mov_b32_e32 v33, v39
	s_xor_b32 exec_lo, exec_lo, s19
; %bb.499:                              ;   in Loop: Header=BB56_401 Depth=1
	v_dual_add_f32 v39, v39, v39 :: v_dual_mov_b32 v33, v38
; %bb.500:                              ;   in Loop: Header=BB56_401 Depth=1
	s_or_b32 exec_lo, exec_lo, s19
.LBB56_501:                             ;   in Loop: Header=BB56_401 Depth=1
	s_and_not1_saveexec_b32 s18, s18
	s_cbranch_execz .LBB56_503
; %bb.502:                              ;   in Loop: Header=BB56_401 Depth=1
	s_wait_dscnt 0x0
	v_dual_add_f32 v33, v39, v39 :: v_dual_mov_b32 v39, v38
.LBB56_503:                             ;   in Loop: Header=BB56_401 Depth=1
	s_or_b32 exec_lo, exec_lo, s18
.LBB56_504:                             ;   in Loop: Header=BB56_401 Depth=1
	s_and_not1_saveexec_b32 s5, s5
	s_cbranch_execz .LBB56_506
; %bb.505:                              ;   in Loop: Header=BB56_401 Depth=1
	s_wait_dscnt 0x0
	v_add_f32_e32 v33, v38, v38
.LBB56_506:                             ;   in Loop: Header=BB56_401 Depth=1
	s_or_b32 exec_lo, exec_lo, s5
	s_wait_dscnt 0x0
	s_delay_alu instid0(VALU_DEP_1)
	v_mov_b32_e32 v38, v33
.LBB56_507:                             ;   in Loop: Header=BB56_401 Depth=1
	s_or_b32 exec_lo, exec_lo, s4
	s_delay_alu instid0(SALU_CYCLE_1)
	s_mov_b32 s4, exec_lo
	v_cmpx_o_f32_e32 v41, v40
	s_xor_b32 s18, exec_lo, s4
	s_cbranch_execz .LBB56_591
; %bb.508:                              ;   in Loop: Header=BB56_401 Depth=1
	s_wait_dscnt 0x0
	v_max_num_f32_e64 v33, |v40|, |v40|
	v_max_num_f32_e64 v35, |v41|, |v41|
	s_mov_b32 s4, exec_lo
	s_delay_alu instid0(VALU_DEP_1) | instskip(NEXT) | instid1(VALU_DEP_1)
	v_max_num_f32_e32 v44, v35, v33
	v_cmpx_nlt_f32_e32 0x4b000000, v44
	s_xor_b32 s19, exec_lo, s4
	s_cbranch_execz .LBB56_568
; %bb.509:                              ;   in Loop: Header=BB56_401 Depth=1
	v_cmp_neq_f32_e32 vcc_lo, 0, v41
	v_cmp_neq_f32_e64 s4, 0, v40
	s_or_b32 s4, vcc_lo, s4
	s_delay_alu instid0(SALU_CYCLE_1)
	s_and_saveexec_b32 s20, s4
	s_cbranch_execz .LBB56_567
; %bb.510:                              ;   in Loop: Header=BB56_401 Depth=1
	flat_store_b32 v[6:7], v48 scope:SCOPE_SYS
	s_wait_storecnt 0x0
	flat_load_b32 v33, v[6:7] scope:SCOPE_SYS
	s_wait_loadcnt 0x0
	v_cmp_ngt_f32_e64 s4, 0x395db3d7, |v41|
	v_cmp_ngt_f32_e64 s5, 0x395db3d7, |v40|
	s_or_b32 s4, s4, s5
	s_wait_dscnt 0x0
	v_add_f32_e32 v33, 1.0, v33
	flat_store_b32 v[12:13], v33 scope:SCOPE_SYS
	s_wait_storecnt 0x0
	flat_load_b32 v33, v[12:13] scope:SCOPE_SYS
	s_wait_loadcnt 0x0
	s_wait_xcnt 0x0
	s_and_saveexec_b32 s21, s4
	s_cbranch_execz .LBB56_566
; %bb.511:                              ;   in Loop: Header=BB56_401 Depth=1
	v_add_f32_e64 v51, |v40|, 1.0
	v_add_f32_e64 v50, |v40|, -1.0
	s_mov_b32 s4, exec_lo
	s_wait_dscnt 0x0
	s_delay_alu instid0(VALU_DEP_2) | instskip(NEXT) | instid1(VALU_DEP_2)
	v_max_num_f32_e32 v33, v35, v51
	v_max_num_f32_e64 v35, v35, |v50|
	s_delay_alu instid0(VALU_DEP_2) | instskip(NEXT) | instid1(VALU_DEP_2)
	v_cvt_f64_f32_e32 v[44:45], v33
	v_cvt_f64_f32_e32 v[46:47], v35
	s_delay_alu instid0(VALU_DEP_2) | instskip(NEXT) | instid1(VALU_DEP_2)
	v_frexp_exp_i32_f64_e32 v44, v[44:45]
	v_frexp_exp_i32_f64_e32 v45, v[46:47]
	s_delay_alu instid0(VALU_DEP_2) | instskip(SKIP_1) | instid1(VALU_DEP_2)
	v_sub_nc_u32_e32 v46, 0, v44
	v_cmp_neq_f32_e32 vcc_lo, 0x7f800000, v33
	v_ldexp_f32 v52, v51, v46
	s_delay_alu instid0(VALU_DEP_4) | instskip(SKIP_1) | instid1(VALU_DEP_3)
	v_sub_nc_u32_e32 v47, 0, v45
	v_ldexp_f32 v46, |v41|, v46
	v_mul_f32_e32 v52, v52, v52
	s_delay_alu instid0(VALU_DEP_3) | instskip(SKIP_1) | instid1(VALU_DEP_2)
	v_ldexp_f32 v53, |v50|, v47
	v_ldexp_f32 v47, |v41|, v47
	v_dual_fmac_f32 v52, v46, v46 :: v_dual_mul_f32 v53, v53, v53
	s_delay_alu instid0(VALU_DEP_1) | instskip(NEXT) | instid1(VALU_DEP_1)
	v_sqrt_f32_e32 v46, v52
	v_fmac_f32_e32 v53, v47, v47
	s_delay_alu instid0(VALU_DEP_1) | instskip(NEXT) | instid1(TRANS32_DEP_2)
	v_sqrt_f32_e32 v47, v53
	v_ldexp_f32 v44, v46, v44
	s_delay_alu instid0(VALU_DEP_1) | instskip(NEXT) | instid1(TRANS32_DEP_1)
	v_cndmask_b32_e32 v53, 0x7f800000, v44, vcc_lo
	v_ldexp_f32 v45, v47, v45
	v_cmp_neq_f32_e32 vcc_lo, 0x7f800000, v35
	s_delay_alu instid0(VALU_DEP_2) | instskip(NEXT) | instid1(VALU_DEP_1)
	v_cndmask_b32_e32 v46, 0x7f800000, v45, vcc_lo
	v_add_f32_e32 v33, v53, v46
	s_delay_alu instid0(VALU_DEP_1) | instskip(NEXT) | instid1(VALU_DEP_1)
	v_mul_f32_e32 v33, 0.5, v33
	v_cmp_ngt_f32_e32 vcc_lo, 1.0, v33
	v_cndmask_b32_e32 v44, 1.0, v33, vcc_lo
                                        ; implicit-def: $vgpr33
	s_delay_alu instid0(VALU_DEP_1)
	v_cmpx_ngt_f32_e32 0x41200000, v44
	s_xor_b32 s5, exec_lo, s4
	s_cbranch_execz .LBB56_513
; %bb.512:                              ;   in Loop: Header=BB56_401 Depth=1
	v_fma_f32 v33, v44, v44, -1.0
	s_delay_alu instid0(VALU_DEP_1) | instskip(SKIP_1) | instid1(VALU_DEP_2)
	v_mul_f32_e32 v35, 0x4f800000, v33
	v_cmp_gt_f32_e32 vcc_lo, 0xf800000, v33
	v_cndmask_b32_e32 v33, v33, v35, vcc_lo
	s_delay_alu instid0(VALU_DEP_1) | instskip(SKIP_1) | instid1(TRANS32_DEP_1)
	v_sqrt_f32_e32 v35, v33
	v_nop
	v_dual_add_nc_u32 v45, -1, v35 :: v_dual_add_nc_u32 v47, 1, v35
	s_delay_alu instid0(VALU_DEP_1) | instskip(NEXT) | instid1(VALU_DEP_1)
	v_dual_fma_f32 v52, -v45, v35, v33 :: v_dual_fma_f32 v54, -v47, v35, v33
	v_cmp_ge_f32_e64 s4, 0, v52
	s_delay_alu instid0(VALU_DEP_1) | instskip(NEXT) | instid1(VALU_DEP_3)
	v_cndmask_b32_e64 v35, v35, v45, s4
	v_cmp_lt_f32_e64 s4, 0, v54
	s_delay_alu instid0(VALU_DEP_1) | instskip(NEXT) | instid1(VALU_DEP_1)
	v_cndmask_b32_e64 v35, v35, v47, s4
	v_mul_f32_e32 v45, 0x37800000, v35
	s_delay_alu instid0(VALU_DEP_1) | instskip(SKIP_1) | instid1(VALU_DEP_2)
	v_cndmask_b32_e32 v35, v35, v45, vcc_lo
	v_cmp_class_f32_e64 vcc_lo, v33, 0x260
	v_cndmask_b32_e32 v33, v35, v33, vcc_lo
	s_delay_alu instid0(VALU_DEP_1) | instskip(NEXT) | instid1(VALU_DEP_1)
	v_add_f32_e32 v33, v44, v33
	v_cmp_gt_f32_e32 vcc_lo, 0x800000, v33
	s_delay_alu instid0(VALU_DEP_4) | instskip(NEXT) | instid1(VALU_DEP_1)
	v_cndmask_b32_e64 v35, 0, 32, vcc_lo
	v_ldexp_f32 v33, v33, v35
	s_delay_alu instid0(VALU_DEP_1) | instskip(SKIP_1) | instid1(TRANS32_DEP_1)
	v_log_f32_e32 v33, v33
	v_nop
	v_mul_f32_e32 v35, 0x3f317217, v33
	v_cmp_gt_f32_e64 s4, 0x7f800000, |v33|
	s_delay_alu instid0(VALU_DEP_2) | instskip(NEXT) | instid1(VALU_DEP_1)
	v_fma_f32 v35, 0x3f317217, v33, -v35
	v_fmac_f32_e32 v35, 0x3377d1cf, v33
	s_delay_alu instid0(VALU_DEP_1) | instskip(NEXT) | instid1(VALU_DEP_1)
	v_fmac_f32_e32 v35, 0x3f317217, v33
	v_cndmask_b32_e64 v33, v33, v35, s4
	v_cndmask_b32_e64 v35, 0, 0x41b17218, vcc_lo
	s_delay_alu instid0(VALU_DEP_1)
	v_sub_f32_e32 v33, v33, v35
.LBB56_513:                             ;   in Loop: Header=BB56_401 Depth=1
	s_or_saveexec_b32 s5, s5
	v_and_b32_e32 v52, 0x7fffffff, v41
	s_xor_b32 exec_lo, exec_lo, s5
	s_cbranch_execz .LBB56_535
; %bb.514:                              ;   in Loop: Header=BB56_401 Depth=1
	v_cmp_neq_f32_e64 s4, |v40|, 1.0
	v_cmp_ngt_f32_e64 s22, 0x25000000, |v41|
                                        ; implicit-def: $vgpr33
	s_or_b32 s4, s22, s4
	s_delay_alu instid0(SALU_CYCLE_1) | instskip(NEXT) | instid1(SALU_CYCLE_1)
	s_and_saveexec_b32 s22, s4
	s_xor_b32 s22, exec_lo, s22
	s_cbranch_execz .LBB56_532
; %bb.515:                              ;   in Loop: Header=BB56_401 Depth=1
	v_mul_f32_e64 v33, 0x34000000, |v50|
	s_delay_alu instid0(VALU_DEP_1) | instskip(SKIP_1) | instid1(SALU_CYCLE_1)
	v_cmp_ge_f32_e64 s4, |v41|, v33
                                        ; implicit-def: $vgpr33
	s_and_saveexec_b32 s23, s4
	s_xor_b32 s23, exec_lo, s23
	s_cbranch_execz .LBB56_525
; %bb.516:                              ;   in Loop: Header=BB56_401 Depth=1
	v_mov_b32_e32 v33, v52
	s_mov_b32 s4, exec_lo
	v_cmpx_neq_f32_e32 0, v51
	s_cbranch_execz .LBB56_518
; %bb.517:                              ;   in Loop: Header=BB56_401 Depth=1
	v_mul_f32_e32 v33, v41, v41
	v_add_f32_e32 v35, v51, v53
	s_delay_alu instid0(VALU_DEP_1) | instskip(NEXT) | instid1(VALU_DEP_1)
	v_div_scale_f32 v45, null, v35, v35, v33
	v_rcp_f32_e32 v47, v45
	v_nop
	s_delay_alu instid0(TRANS32_DEP_1) | instskip(NEXT) | instid1(VALU_DEP_1)
	v_fma_f32 v54, -v45, v47, 1.0
	v_fmac_f32_e32 v47, v54, v47
	v_div_scale_f32 v54, vcc_lo, v33, v35, v33
	s_delay_alu instid0(VALU_DEP_1) | instskip(NEXT) | instid1(VALU_DEP_1)
	v_mul_f32_e32 v55, v54, v47
	v_fma_f32 v56, -v45, v55, v54
	s_delay_alu instid0(VALU_DEP_1) | instskip(NEXT) | instid1(VALU_DEP_1)
	v_fmac_f32_e32 v55, v56, v47
	v_fma_f32 v45, -v45, v55, v54
	s_delay_alu instid0(VALU_DEP_1) | instskip(NEXT) | instid1(VALU_DEP_1)
	v_div_fmas_f32 v45, v45, v47, v55
	v_div_fixup_f32 v33, v45, v35, v33
.LBB56_518:                             ;   in Loop: Header=BB56_401 Depth=1
	s_or_b32 exec_lo, exec_lo, s4
	v_sub_f32_e64 v45, 1.0, |v40|
	s_mov_b32 s4, exec_lo
                                        ; implicit-def: $vgpr35
	s_delay_alu instid0(VALU_DEP_1)
	v_cmpx_ngt_f32_e32 0, v45
	s_xor_b32 s4, exec_lo, s4
	s_cbranch_execz .LBB56_522
; %bb.519:                              ;   in Loop: Header=BB56_401 Depth=1
	v_mov_b32_e32 v35, v52
	s_mov_b32 s24, exec_lo
	v_cmpx_neq_f32_e32 0, v45
	s_cbranch_execz .LBB56_521
; %bb.520:                              ;   in Loop: Header=BB56_401 Depth=1
	v_mul_f32_e32 v35, v41, v41
	v_add_f32_e32 v45, v45, v46
	s_delay_alu instid0(VALU_DEP_1) | instskip(NEXT) | instid1(VALU_DEP_1)
	v_div_scale_f32 v47, null, v45, v45, v35
	v_rcp_f32_e32 v54, v47
	v_nop
	s_delay_alu instid0(TRANS32_DEP_1) | instskip(NEXT) | instid1(VALU_DEP_1)
	v_fma_f32 v55, -v47, v54, 1.0
	v_fmac_f32_e32 v54, v55, v54
	v_div_scale_f32 v55, vcc_lo, v35, v45, v35
	s_delay_alu instid0(VALU_DEP_1) | instskip(NEXT) | instid1(VALU_DEP_1)
	v_mul_f32_e32 v56, v55, v54
	v_fma_f32 v57, -v47, v56, v55
	s_delay_alu instid0(VALU_DEP_1) | instskip(NEXT) | instid1(VALU_DEP_1)
	v_fmac_f32_e32 v56, v57, v54
	v_fma_f32 v47, -v47, v56, v55
	s_delay_alu instid0(VALU_DEP_1) | instskip(NEXT) | instid1(VALU_DEP_1)
	v_div_fmas_f32 v47, v47, v54, v56
	v_div_fixup_f32 v35, v47, v45, v35
.LBB56_521:                             ;   in Loop: Header=BB56_401 Depth=1
	s_or_b32 exec_lo, exec_lo, s24
                                        ; implicit-def: $vgpr45
.LBB56_522:                             ;   in Loop: Header=BB56_401 Depth=1
	s_and_not1_saveexec_b32 s4, s4
; %bb.523:                              ;   in Loop: Header=BB56_401 Depth=1
	v_sub_f32_e32 v35, v46, v45
; %bb.524:                              ;   in Loop: Header=BB56_401 Depth=1
	s_or_b32 exec_lo, exec_lo, s4
	s_delay_alu instid0(VALU_DEP_1) | instskip(NEXT) | instid1(VALU_DEP_1)
	v_dual_mul_f32 v45, 0.5, v33 :: v_dual_mul_f32 v33, 0.5, v35
	v_pk_add_f32 v[54:55], v[44:45], v[32:33]
	s_delay_alu instid0(VALU_DEP_1) | instskip(NEXT) | instid1(VALU_DEP_1)
	v_mul_f32_e32 v33, v54, v55
	v_mul_f32_e32 v35, 0x4f800000, v33
	v_cmp_gt_f32_e32 vcc_lo, 0xf800000, v33
	s_delay_alu instid0(VALU_DEP_2) | instskip(NEXT) | instid1(VALU_DEP_1)
	v_cndmask_b32_e32 v33, v33, v35, vcc_lo
	v_sqrt_f32_e32 v35, v33
	v_nop
	s_delay_alu instid0(TRANS32_DEP_1) | instskip(NEXT) | instid1(VALU_DEP_1)
	v_dual_add_nc_u32 v45, -1, v35 :: v_dual_add_nc_u32 v47, 1, v35
	v_dual_fma_f32 v54, -v45, v35, v33 :: v_dual_fma_f32 v56, -v47, v35, v33
	s_delay_alu instid0(VALU_DEP_1) | instskip(NEXT) | instid1(VALU_DEP_1)
	v_cmp_ge_f32_e64 s4, 0, v54
	v_cndmask_b32_e64 v35, v35, v45, s4
	s_delay_alu instid0(VALU_DEP_3) | instskip(NEXT) | instid1(VALU_DEP_1)
	v_cmp_lt_f32_e64 s4, 0, v56
	v_cndmask_b32_e64 v35, v35, v47, s4
	s_delay_alu instid0(VALU_DEP_1) | instskip(NEXT) | instid1(VALU_DEP_1)
	v_mul_f32_e32 v45, 0x37800000, v35
	v_cndmask_b32_e32 v35, v35, v45, vcc_lo
	v_cmp_class_f32_e64 vcc_lo, v33, 0x260
	s_delay_alu instid0(VALU_DEP_2) | instskip(NEXT) | instid1(VALU_DEP_1)
	v_cndmask_b32_e32 v33, v35, v33, vcc_lo
	v_add_f32_e32 v54, v55, v33
	s_delay_alu instid0(VALU_DEP_1) | instskip(NEXT) | instid1(VALU_DEP_1)
	v_add_f32_e32 v57, 1.0, v54
	v_cvt_f64_f32_e32 v[58:59], v57
	v_frexp_mant_f32_e32 v35, v57
	v_add_f32_e32 v55, -1.0, v57
	s_delay_alu instid0(VALU_DEP_2) | instskip(NEXT) | instid1(VALU_DEP_2)
	v_cmp_gt_f32_e32 vcc_lo, 0x3f2aaaab, v35
	v_mov_b32_e32 v56, v55
	v_frexp_exp_i32_f64_e32 v33, v[58:59]
	s_delay_alu instid0(VALU_DEP_2) | instskip(NEXT) | instid1(VALU_DEP_1)
	v_pk_add_f32 v[58:59], v[54:55], v[56:57] neg_lo:[0,1] neg_hi:[0,1]
	v_add_f32_e32 v47, 1.0, v59
	s_delay_alu instid0(VALU_DEP_1) | instskip(NEXT) | instid1(VALU_DEP_4)
	v_add_f32_e32 v47, v58, v47
	v_subrev_co_ci_u32_e64 v33, null, 0, v33, vcc_lo
	v_cmp_neq_f32_e32 vcc_lo, 0x7f800000, v54
	s_delay_alu instid0(VALU_DEP_2) | instskip(NEXT) | instid1(VALU_DEP_1)
	v_sub_nc_u32_e32 v35, 0, v33
	v_ldexp_f32 v45, v57, v35
	s_delay_alu instid0(VALU_DEP_1) | instskip(NEXT) | instid1(VALU_DEP_1)
	v_dual_add_f32 v55, 1.0, v45 :: v_dual_add_f32 v61, -1.0, v45
	v_add_f32_e32 v56, -1.0, v55
	v_ldexp_f32 v35, v47, v35
	s_delay_alu instid0(VALU_DEP_2) | instskip(NEXT) | instid1(VALU_DEP_1)
	v_dual_sub_f32 v47, v45, v56 :: v_dual_add_f32 v56, 1.0, v61
	v_dual_add_f32 v47, v35, v47 :: v_dual_sub_f32 v45, v45, v56
	s_delay_alu instid0(VALU_DEP_1) | instskip(NEXT) | instid1(VALU_DEP_1)
	v_add_f32_e32 v35, v35, v45
	v_add_f32_e32 v57, v61, v35
	s_delay_alu instid0(VALU_DEP_3) | instskip(NEXT) | instid1(VALU_DEP_1)
	v_add_f32_e32 v62, v55, v47
	v_rcp_f32_e32 v45, v62
	v_nop
	s_delay_alu instid0(TRANS32_DEP_1) | instskip(NEXT) | instid1(VALU_DEP_1)
	v_dual_mul_f32 v63, v57, v45 :: v_dual_sub_f32 v55, v62, v55
	v_mul_f32_e32 v58, v62, v63
	s_delay_alu instid0(VALU_DEP_2) | instskip(NEXT) | instid1(VALU_DEP_2)
	v_sub_f32_e32 v47, v47, v55
	v_dual_fma_f32 v60, v63, v62, -v58 :: v_dual_sub_f32 v55, v57, v61
	s_delay_alu instid0(VALU_DEP_1) | instskip(NEXT) | instid1(VALU_DEP_1)
	v_fmac_f32_e32 v60, v63, v47
	v_dual_sub_f32 v35, v35, v55 :: v_dual_add_f32 v56, v58, v60
	s_delay_alu instid0(VALU_DEP_1) | instskip(NEXT) | instid1(VALU_DEP_1)
	v_dual_sub_f32 v59, v57, v56 :: v_dual_mov_b32 v61, v56
	v_pk_add_f32 v[56:57], v[56:57], v[58:59] neg_lo:[0,1] neg_hi:[0,1]
	s_delay_alu instid0(VALU_DEP_1) | instskip(NEXT) | instid1(VALU_DEP_1)
	v_pk_add_f32 v[56:57], v[56:57], v[60:61] neg_lo:[0,1] neg_hi:[0,1]
	v_add_f32_e32 v35, v35, v57
	s_delay_alu instid0(VALU_DEP_1) | instskip(NEXT) | instid1(VALU_DEP_1)
	v_add_f32_e32 v35, v56, v35
	v_add_f32_e32 v57, v59, v35
	s_delay_alu instid0(VALU_DEP_1) | instskip(NEXT) | instid1(VALU_DEP_1)
	v_mul_f32_e32 v55, v45, v57
	v_mul_f32_e32 v60, v62, v55
	s_delay_alu instid0(VALU_DEP_1) | instskip(NEXT) | instid1(VALU_DEP_1)
	v_fma_f32 v58, v55, v62, -v60
	v_fmac_f32_e32 v58, v55, v47
	s_delay_alu instid0(VALU_DEP_1) | instskip(NEXT) | instid1(VALU_DEP_1)
	v_dual_add_f32 v56, v60, v58 :: v_dual_sub_f32 v47, v59, v57
	v_dual_sub_f32 v61, v57, v56 :: v_dual_mov_b32 v59, v56
	s_delay_alu instid0(VALU_DEP_2) | instskip(SKIP_1) | instid1(VALU_DEP_3)
	v_add_f32_e32 v35, v35, v47
	v_add_f32_e32 v47, v63, v55
	v_pk_add_f32 v[56:57], v[56:57], v[60:61] neg_lo:[0,1] neg_hi:[0,1]
	s_delay_alu instid0(VALU_DEP_1) | instskip(NEXT) | instid1(VALU_DEP_1)
	v_pk_add_f32 v[56:57], v[56:57], v[58:59] neg_lo:[0,1] neg_hi:[0,1]
	v_add_f32_e32 v35, v35, v57
	s_delay_alu instid0(VALU_DEP_1) | instskip(SKIP_1) | instid1(VALU_DEP_1)
	v_add_f32_e32 v35, v56, v35
	v_sub_f32_e32 v56, v47, v63
	v_dual_add_f32 v35, v61, v35 :: v_dual_sub_f32 v55, v55, v56
	v_cvt_f32_i32_e32 v56, v33
	s_delay_alu instid0(VALU_DEP_2) | instskip(NEXT) | instid1(VALU_DEP_1)
	v_mul_f32_e32 v35, v45, v35
	v_add_f32_e32 v45, v55, v35
	s_delay_alu instid0(VALU_DEP_1) | instskip(NEXT) | instid1(VALU_DEP_1)
	v_add_f32_e32 v55, v47, v45
	v_mul_f32_e32 v35, v55, v55
	v_ldexp_f32 v61, v55, 1
	v_sub_f32_e32 v33, v55, v47
	s_delay_alu instid0(VALU_DEP_1) | instskip(NEXT) | instid1(VALU_DEP_1)
	v_dual_fmaak_f32 v58, s15, v35, 0x3ecc95a3 :: v_dual_sub_f32 v33, v45, v33
	v_ldexp_f32 v33, v33, 1
	v_mul_f32_e32 v57, v55, v35
	s_delay_alu instid0(VALU_DEP_3) | instskip(NEXT) | instid1(VALU_DEP_1)
	v_fmaak_f32 v35, v35, v58, 0x3f2aaada
	v_pk_mul_f32 v[58:59], v[56:57], v[34:35]
	s_delay_alu instid0(VALU_DEP_1) | instskip(SKIP_1) | instid1(VALU_DEP_2)
	v_fma_f32 v60, 0x3f317218, v56, -v58
	v_mov_b32_e32 v62, v58
	v_fmac_f32_e32 v60, 0xb102e308, v56
	s_delay_alu instid0(VALU_DEP_1) | instskip(NEXT) | instid1(VALU_DEP_1)
	v_pk_add_f32 v[56:57], v[58:59], v[60:61]
	v_dual_sub_f32 v35, v57, v61 :: v_dual_mov_b32 v61, v56
	s_delay_alu instid0(VALU_DEP_1) | instskip(SKIP_1) | instid1(VALU_DEP_2)
	v_dual_mov_b32 v70, v57 :: v_dual_sub_f32 v35, v59, v35
	v_pk_add_f32 v[58:59], v[56:57], v[58:59] neg_lo:[0,1] neg_hi:[0,1]
	v_add_f32_e32 v63, v33, v35
	s_delay_alu instid0(VALU_DEP_1) | instskip(NEXT) | instid1(VALU_DEP_1)
	v_pk_add_f32 v[64:65], v[56:57], v[62:63]
	v_mov_b32_e32 v59, v65
	s_delay_alu instid0(VALU_DEP_1) | instskip(SKIP_2) | instid1(VALU_DEP_3)
	v_pk_add_f32 v[66:67], v[60:61], v[58:59]
	v_mov_b32_e32 v66, v65
	v_pk_add_f32 v[58:59], v[60:61], v[58:59] neg_lo:[0,1] neg_hi:[0,1]
	v_dual_mov_b32 v62, v67 :: v_dual_mov_b32 v59, v67
	s_delay_alu instid0(VALU_DEP_1) | instskip(SKIP_1) | instid1(VALU_DEP_2)
	v_pk_add_f32 v[68:69], v[62:63], v[56:57] neg_lo:[0,1] neg_hi:[0,1]
	v_dual_mov_b32 v57, v56 :: v_dual_mov_b32 v56, v63
	v_dual_mov_b32 v71, v68 :: v_dual_mov_b32 v33, v68
	s_delay_alu instid0(VALU_DEP_1) | instskip(NEXT) | instid1(VALU_DEP_2)
	v_pk_add_f32 v[68:69], v[66:67], v[70:71] neg_lo:[0,1] neg_hi:[0,1]
	v_pk_add_f32 v[60:61], v[64:65], v[32:33] neg_lo:[0,1] neg_hi:[0,1]
	v_mov_b32_e32 v60, v58
	s_delay_alu instid0(VALU_DEP_3) | instskip(NEXT) | instid1(VALU_DEP_1)
	v_pk_add_f32 v[56:57], v[56:57], v[68:69] neg_lo:[0,1] neg_hi:[0,1]
	v_pk_add_f32 v[60:61], v[60:61], v[56:57]
	s_delay_alu instid0(VALU_DEP_1) | instskip(NEXT) | instid1(VALU_DEP_1)
	v_mov_b32_e32 v64, v61
	v_pk_add_f32 v[64:65], v[60:61], v[64:65]
	s_delay_alu instid0(VALU_DEP_1) | instskip(NEXT) | instid1(VALU_DEP_1)
	v_pk_add_f32 v[62:63], v[62:63], v[64:65]
	v_dual_mov_b32 v57, v64 :: v_dual_mov_b32 v61, v62
	s_delay_alu instid0(VALU_DEP_1) | instskip(NEXT) | instid1(VALU_DEP_1)
	v_pk_add_f32 v[66:67], v[60:61], v[58:59] neg_lo:[0,1] neg_hi:[0,1]
	v_sub_f32_e32 v33, v60, v66
	s_delay_alu instid0(VALU_DEP_2) | instskip(NEXT) | instid1(VALU_DEP_2)
	v_pk_add_f32 v[56:57], v[56:57], v[66:67] neg_lo:[0,1] neg_hi:[0,1]
	v_sub_f32_e32 v33, v58, v33
	s_delay_alu instid0(VALU_DEP_1) | instskip(NEXT) | instid1(VALU_DEP_1)
	v_add_f32_e32 v33, v56, v33
	v_add_f32_e32 v33, v33, v57
	s_delay_alu instid0(VALU_DEP_1) | instskip(NEXT) | instid1(VALU_DEP_1)
	v_add_f32_e32 v33, v62, v33
	v_cndmask_b32_e32 v33, 0x7f800000, v33, vcc_lo
	v_cmp_ngt_f32_e32 vcc_lo, -1.0, v54
	s_delay_alu instid0(VALU_DEP_2) | instskip(SKIP_1) | instid1(VALU_DEP_2)
	v_cndmask_b32_e32 v33, 0x7fc00000, v33, vcc_lo
	v_cmp_neq_f32_e32 vcc_lo, -1.0, v54
	v_cndmask_b32_e32 v33, 0xff800000, v33, vcc_lo
	v_cmp_gt_f32_e64 vcc_lo, 0x33800000, |v54|
	s_delay_alu instid0(VALU_DEP_2)
	v_cndmask_b32_e32 v33, v33, v54, vcc_lo
.LBB56_525:                             ;   in Loop: Header=BB56_401 Depth=1
	s_and_not1_saveexec_b32 s23, s23
	s_cbranch_execz .LBB56_531
; %bb.526:                              ;   in Loop: Header=BB56_401 Depth=1
	s_mov_b32 s24, exec_lo
                                        ; implicit-def: $vgpr33
	v_cmpx_nlt_f32_e64 |v40|, 1.0
	s_xor_b32 s24, exec_lo, s24
	s_cbranch_execz .LBB56_528
; %bb.527:                              ;   in Loop: Header=BB56_401 Depth=1
	v_mul_f32_e32 v33, v50, v51
	s_delay_alu instid0(VALU_DEP_1) | instskip(SKIP_1) | instid1(VALU_DEP_2)
	v_mul_f32_e32 v35, 0x4f800000, v33
	v_cmp_gt_f32_e32 vcc_lo, 0xf800000, v33
	v_cndmask_b32_e32 v33, v33, v35, vcc_lo
	s_delay_alu instid0(VALU_DEP_1) | instskip(SKIP_1) | instid1(TRANS32_DEP_1)
	v_sqrt_f32_e32 v35, v33
	v_nop
	v_dual_add_nc_u32 v45, -1, v35 :: v_dual_add_nc_u32 v47, 1, v35
	s_delay_alu instid0(VALU_DEP_1) | instskip(NEXT) | instid1(VALU_DEP_1)
	v_dual_fma_f32 v54, -v45, v35, v33 :: v_dual_fma_f32 v55, -v47, v35, v33
	v_cmp_ge_f32_e64 s4, 0, v54
	s_delay_alu instid0(VALU_DEP_1) | instskip(NEXT) | instid1(VALU_DEP_3)
	v_cndmask_b32_e64 v35, v35, v45, s4
	v_cmp_lt_f32_e64 s4, 0, v55
	s_delay_alu instid0(VALU_DEP_1) | instskip(NEXT) | instid1(VALU_DEP_1)
	v_cndmask_b32_e64 v35, v35, v47, s4
	v_mul_f32_e32 v45, 0x37800000, v35
	s_delay_alu instid0(VALU_DEP_1) | instskip(SKIP_1) | instid1(VALU_DEP_2)
	v_cndmask_b32_e32 v35, v35, v45, vcc_lo
	v_cmp_class_f32_e64 vcc_lo, v33, 0x260
	v_cndmask_b32_e32 v33, v35, v33, vcc_lo
	s_delay_alu instid0(VALU_DEP_1) | instskip(NEXT) | instid1(VALU_DEP_1)
	v_add_f32_e32 v54, v50, v33
	v_add_f32_e32 v57, 1.0, v54
	s_delay_alu instid0(VALU_DEP_1) | instskip(SKIP_2) | instid1(VALU_DEP_2)
	v_cvt_f64_f32_e32 v[58:59], v57
	v_frexp_mant_f32_e32 v35, v57
	v_add_f32_e32 v55, -1.0, v57
	v_cmp_gt_f32_e32 vcc_lo, 0x3f2aaaab, v35
	s_delay_alu instid0(VALU_DEP_2) | instskip(SKIP_1) | instid1(VALU_DEP_2)
	v_mov_b32_e32 v56, v55
	v_frexp_exp_i32_f64_e32 v33, v[58:59]
	v_pk_add_f32 v[58:59], v[54:55], v[56:57] neg_lo:[0,1] neg_hi:[0,1]
	s_delay_alu instid0(VALU_DEP_1) | instskip(NEXT) | instid1(VALU_DEP_1)
	v_add_f32_e32 v47, 1.0, v59
	v_add_f32_e32 v47, v58, v47
	s_delay_alu instid0(VALU_DEP_4) | instskip(SKIP_1) | instid1(VALU_DEP_2)
	v_subrev_co_ci_u32_e64 v33, null, 0, v33, vcc_lo
	v_cmp_neq_f32_e32 vcc_lo, 0x7f800000, v54
	v_sub_nc_u32_e32 v35, 0, v33
	s_delay_alu instid0(VALU_DEP_1) | instskip(NEXT) | instid1(VALU_DEP_1)
	v_ldexp_f32 v45, v57, v35
	v_dual_add_f32 v55, 1.0, v45 :: v_dual_add_f32 v61, -1.0, v45
	s_delay_alu instid0(VALU_DEP_1) | instskip(SKIP_1) | instid1(VALU_DEP_2)
	v_add_f32_e32 v56, -1.0, v55
	v_ldexp_f32 v35, v47, v35
	v_dual_sub_f32 v47, v45, v56 :: v_dual_add_f32 v56, 1.0, v61
	s_delay_alu instid0(VALU_DEP_1) | instskip(NEXT) | instid1(VALU_DEP_1)
	v_dual_add_f32 v47, v35, v47 :: v_dual_sub_f32 v45, v45, v56
	v_add_f32_e32 v35, v35, v45
	s_delay_alu instid0(VALU_DEP_1) | instskip(NEXT) | instid1(VALU_DEP_3)
	v_add_f32_e32 v57, v61, v35
	v_add_f32_e32 v62, v55, v47
	s_delay_alu instid0(VALU_DEP_1) | instskip(SKIP_1) | instid1(TRANS32_DEP_1)
	v_rcp_f32_e32 v45, v62
	v_nop
	v_dual_mul_f32 v63, v57, v45 :: v_dual_sub_f32 v55, v62, v55
	s_delay_alu instid0(VALU_DEP_1) | instskip(NEXT) | instid1(VALU_DEP_2)
	v_mul_f32_e32 v58, v62, v63
	v_sub_f32_e32 v47, v47, v55
	s_delay_alu instid0(VALU_DEP_2) | instskip(NEXT) | instid1(VALU_DEP_1)
	v_dual_fma_f32 v60, v63, v62, -v58 :: v_dual_sub_f32 v55, v57, v61
	v_fmac_f32_e32 v60, v63, v47
	s_delay_alu instid0(VALU_DEP_1) | instskip(NEXT) | instid1(VALU_DEP_1)
	v_dual_sub_f32 v35, v35, v55 :: v_dual_add_f32 v56, v58, v60
	v_dual_sub_f32 v59, v57, v56 :: v_dual_mov_b32 v61, v56
	s_delay_alu instid0(VALU_DEP_1) | instskip(NEXT) | instid1(VALU_DEP_1)
	v_pk_add_f32 v[56:57], v[56:57], v[58:59] neg_lo:[0,1] neg_hi:[0,1]
	v_pk_add_f32 v[56:57], v[56:57], v[60:61] neg_lo:[0,1] neg_hi:[0,1]
	s_delay_alu instid0(VALU_DEP_1) | instskip(NEXT) | instid1(VALU_DEP_1)
	v_add_f32_e32 v35, v35, v57
	v_add_f32_e32 v35, v56, v35
	s_delay_alu instid0(VALU_DEP_1) | instskip(NEXT) | instid1(VALU_DEP_1)
	v_add_f32_e32 v57, v59, v35
	v_mul_f32_e32 v55, v45, v57
	s_delay_alu instid0(VALU_DEP_1) | instskip(NEXT) | instid1(VALU_DEP_1)
	v_mul_f32_e32 v60, v62, v55
	v_fma_f32 v58, v55, v62, -v60
	s_delay_alu instid0(VALU_DEP_1) | instskip(NEXT) | instid1(VALU_DEP_1)
	v_fmac_f32_e32 v58, v55, v47
	v_dual_add_f32 v56, v60, v58 :: v_dual_sub_f32 v47, v59, v57
	s_delay_alu instid0(VALU_DEP_1) | instskip(NEXT) | instid1(VALU_DEP_2)
	v_dual_sub_f32 v61, v57, v56 :: v_dual_mov_b32 v59, v56
	v_add_f32_e32 v35, v35, v47
	v_add_f32_e32 v47, v63, v55
	s_delay_alu instid0(VALU_DEP_3) | instskip(NEXT) | instid1(VALU_DEP_1)
	v_pk_add_f32 v[56:57], v[56:57], v[60:61] neg_lo:[0,1] neg_hi:[0,1]
	v_pk_add_f32 v[56:57], v[56:57], v[58:59] neg_lo:[0,1] neg_hi:[0,1]
	s_delay_alu instid0(VALU_DEP_1) | instskip(NEXT) | instid1(VALU_DEP_1)
	v_add_f32_e32 v35, v35, v57
	v_add_f32_e32 v35, v56, v35
	v_sub_f32_e32 v56, v47, v63
	s_delay_alu instid0(VALU_DEP_1) | instskip(SKIP_1) | instid1(VALU_DEP_2)
	v_dual_add_f32 v35, v61, v35 :: v_dual_sub_f32 v55, v55, v56
	v_cvt_f32_i32_e32 v56, v33
	v_mul_f32_e32 v35, v45, v35
	s_delay_alu instid0(VALU_DEP_1) | instskip(NEXT) | instid1(VALU_DEP_1)
	v_add_f32_e32 v45, v55, v35
	v_add_f32_e32 v55, v47, v45
	s_delay_alu instid0(VALU_DEP_1) | instskip(SKIP_2) | instid1(VALU_DEP_1)
	v_mul_f32_e32 v35, v55, v55
	v_ldexp_f32 v61, v55, 1
	v_sub_f32_e32 v33, v55, v47
	v_dual_fmaak_f32 v58, s15, v35, 0x3ecc95a3 :: v_dual_sub_f32 v33, v45, v33
	s_delay_alu instid0(VALU_DEP_1) | instskip(SKIP_1) | instid1(VALU_DEP_3)
	v_ldexp_f32 v33, v33, 1
	v_mul_f32_e32 v57, v55, v35
	v_fmaak_f32 v35, v35, v58, 0x3f2aaada
	s_delay_alu instid0(VALU_DEP_1) | instskip(NEXT) | instid1(VALU_DEP_1)
	v_pk_mul_f32 v[58:59], v[56:57], v[34:35]
	v_fma_f32 v60, 0x3f317218, v56, -v58
	v_mov_b32_e32 v62, v58
	s_delay_alu instid0(VALU_DEP_2) | instskip(NEXT) | instid1(VALU_DEP_1)
	v_fmac_f32_e32 v60, 0xb102e308, v56
	v_pk_add_f32 v[56:57], v[58:59], v[60:61]
	s_delay_alu instid0(VALU_DEP_1) | instskip(NEXT) | instid1(VALU_DEP_1)
	v_dual_sub_f32 v35, v57, v61 :: v_dual_mov_b32 v61, v56
	v_dual_mov_b32 v70, v57 :: v_dual_sub_f32 v35, v59, v35
	v_pk_add_f32 v[58:59], v[56:57], v[58:59] neg_lo:[0,1] neg_hi:[0,1]
	s_delay_alu instid0(VALU_DEP_2) | instskip(NEXT) | instid1(VALU_DEP_1)
	v_add_f32_e32 v63, v33, v35
	v_pk_add_f32 v[64:65], v[56:57], v[62:63]
	s_delay_alu instid0(VALU_DEP_1) | instskip(NEXT) | instid1(VALU_DEP_1)
	v_mov_b32_e32 v59, v65
	v_pk_add_f32 v[66:67], v[60:61], v[58:59]
	v_mov_b32_e32 v66, v65
	v_pk_add_f32 v[58:59], v[60:61], v[58:59] neg_lo:[0,1] neg_hi:[0,1]
	s_delay_alu instid0(VALU_DEP_3) | instskip(NEXT) | instid1(VALU_DEP_1)
	v_dual_mov_b32 v62, v67 :: v_dual_mov_b32 v59, v67
	v_pk_add_f32 v[68:69], v[62:63], v[56:57] neg_lo:[0,1] neg_hi:[0,1]
	v_dual_mov_b32 v57, v56 :: v_dual_mov_b32 v56, v63
	s_delay_alu instid0(VALU_DEP_2) | instskip(NEXT) | instid1(VALU_DEP_1)
	v_dual_mov_b32 v71, v68 :: v_dual_mov_b32 v33, v68
	v_pk_add_f32 v[68:69], v[66:67], v[70:71] neg_lo:[0,1] neg_hi:[0,1]
	s_delay_alu instid0(VALU_DEP_2) | instskip(SKIP_1) | instid1(VALU_DEP_3)
	v_pk_add_f32 v[60:61], v[64:65], v[32:33] neg_lo:[0,1] neg_hi:[0,1]
	v_mov_b32_e32 v60, v58
	v_pk_add_f32 v[56:57], v[56:57], v[68:69] neg_lo:[0,1] neg_hi:[0,1]
	s_delay_alu instid0(VALU_DEP_1) | instskip(NEXT) | instid1(VALU_DEP_1)
	v_pk_add_f32 v[60:61], v[60:61], v[56:57]
	v_mov_b32_e32 v64, v61
	s_delay_alu instid0(VALU_DEP_1) | instskip(NEXT) | instid1(VALU_DEP_1)
	v_pk_add_f32 v[64:65], v[60:61], v[64:65]
	v_pk_add_f32 v[62:63], v[62:63], v[64:65]
	s_delay_alu instid0(VALU_DEP_1) | instskip(NEXT) | instid1(VALU_DEP_1)
	v_dual_mov_b32 v57, v64 :: v_dual_mov_b32 v61, v62
	v_pk_add_f32 v[66:67], v[60:61], v[58:59] neg_lo:[0,1] neg_hi:[0,1]
	s_delay_alu instid0(VALU_DEP_1) | instskip(NEXT) | instid1(VALU_DEP_2)
	v_sub_f32_e32 v33, v60, v66
	v_pk_add_f32 v[56:57], v[56:57], v[66:67] neg_lo:[0,1] neg_hi:[0,1]
	s_delay_alu instid0(VALU_DEP_2) | instskip(NEXT) | instid1(VALU_DEP_1)
	v_sub_f32_e32 v33, v58, v33
	v_add_f32_e32 v33, v56, v33
	s_delay_alu instid0(VALU_DEP_1) | instskip(NEXT) | instid1(VALU_DEP_1)
	v_add_f32_e32 v33, v33, v57
	v_add_f32_e32 v33, v62, v33
	s_delay_alu instid0(VALU_DEP_1) | instskip(SKIP_1) | instid1(VALU_DEP_2)
	v_cndmask_b32_e32 v33, 0x7f800000, v33, vcc_lo
	v_cmp_ngt_f32_e32 vcc_lo, -1.0, v54
	v_cndmask_b32_e32 v33, 0x7fc00000, v33, vcc_lo
	v_cmp_neq_f32_e32 vcc_lo, -1.0, v54
	s_delay_alu instid0(VALU_DEP_2) | instskip(SKIP_1) | instid1(VALU_DEP_2)
	v_cndmask_b32_e32 v33, 0xff800000, v33, vcc_lo
	v_cmp_gt_f32_e64 vcc_lo, 0x33800000, |v54|
	v_cndmask_b32_e32 v33, v33, v54, vcc_lo
.LBB56_528:                             ;   in Loop: Header=BB56_401 Depth=1
	s_and_not1_saveexec_b32 s24, s24
	s_cbranch_execz .LBB56_530
; %bb.529:                              ;   in Loop: Header=BB56_401 Depth=1
	v_sub_f32_e64 v33, 1.0, |v40|
	s_delay_alu instid0(VALU_DEP_1) | instskip(NEXT) | instid1(VALU_DEP_1)
	v_mul_f32_e32 v33, v33, v51
	v_mul_f32_e32 v35, 0x4f800000, v33
	v_cmp_gt_f32_e32 vcc_lo, 0xf800000, v33
	s_delay_alu instid0(VALU_DEP_2) | instskip(NEXT) | instid1(VALU_DEP_1)
	v_cndmask_b32_e32 v33, v33, v35, vcc_lo
	v_sqrt_f32_e32 v35, v33
	v_nop
	s_delay_alu instid0(TRANS32_DEP_1) | instskip(NEXT) | instid1(VALU_DEP_1)
	v_dual_add_nc_u32 v45, -1, v35 :: v_dual_add_nc_u32 v47, 1, v35
	v_dual_fma_f32 v54, -v45, v35, v33 :: v_dual_fma_f32 v55, -v47, v35, v33
	s_delay_alu instid0(VALU_DEP_1) | instskip(NEXT) | instid1(VALU_DEP_1)
	v_cmp_ge_f32_e64 s4, 0, v54
	v_cndmask_b32_e64 v35, v35, v45, s4
	s_delay_alu instid0(VALU_DEP_3) | instskip(NEXT) | instid1(VALU_DEP_1)
	v_cmp_lt_f32_e64 s4, 0, v55
	v_cndmask_b32_e64 v35, v35, v47, s4
	s_delay_alu instid0(VALU_DEP_1) | instskip(NEXT) | instid1(VALU_DEP_1)
	v_mul_f32_e32 v45, 0x37800000, v35
	v_cndmask_b32_e32 v35, v35, v45, vcc_lo
	v_cmp_class_f32_e64 vcc_lo, v33, 0x260
	v_and_b32_e32 v45, 0x7fffffff, v41
	s_delay_alu instid0(VALU_DEP_3) | instskip(NEXT) | instid1(VALU_DEP_1)
	v_cndmask_b32_e32 v33, v35, v33, vcc_lo
	v_div_scale_f32 v35, null, v33, v33, v45
	v_div_scale_f32 v45, vcc_lo, v45, v33, v45
	s_delay_alu instid0(VALU_DEP_2) | instskip(SKIP_1) | instid1(TRANS32_DEP_1)
	v_rcp_f32_e32 v47, v35
	v_nop
	v_fma_f32 v54, -v35, v47, 1.0
	s_delay_alu instid0(VALU_DEP_1) | instskip(NEXT) | instid1(VALU_DEP_1)
	v_fmac_f32_e32 v47, v54, v47
	v_mul_f32_e32 v54, v45, v47
	s_delay_alu instid0(VALU_DEP_1) | instskip(NEXT) | instid1(VALU_DEP_1)
	v_fma_f32 v55, -v35, v54, v45
	v_fmac_f32_e32 v54, v55, v47
	s_delay_alu instid0(VALU_DEP_1) | instskip(NEXT) | instid1(VALU_DEP_1)
	v_fma_f32 v35, -v35, v54, v45
	v_div_fmas_f32 v35, v35, v47, v54
	s_delay_alu instid0(VALU_DEP_1)
	v_div_fixup_f32 v33, v35, v33, |v41|
.LBB56_530:                             ;   in Loop: Header=BB56_401 Depth=1
	s_or_b32 exec_lo, exec_lo, s24
.LBB56_531:                             ;   in Loop: Header=BB56_401 Depth=1
	s_delay_alu instid0(SALU_CYCLE_1)
	s_or_b32 exec_lo, exec_lo, s23
.LBB56_532:                             ;   in Loop: Header=BB56_401 Depth=1
	s_and_not1_saveexec_b32 s22, s22
	s_cbranch_execz .LBB56_534
; %bb.533:                              ;   in Loop: Header=BB56_401 Depth=1
	v_mul_f32_e64 v33, 0x4f800000, |v41|
	v_cmp_gt_f32_e64 vcc_lo, 0xf800000, |v41|
	s_delay_alu instid0(VALU_DEP_1) | instskip(NEXT) | instid1(VALU_DEP_1)
	v_cndmask_b32_e64 v33, |v41|, v33, vcc_lo
	v_sqrt_f32_e32 v35, v33
	v_nop
	s_delay_alu instid0(TRANS32_DEP_1) | instskip(NEXT) | instid1(VALU_DEP_1)
	v_dual_add_nc_u32 v45, -1, v35 :: v_dual_add_nc_u32 v47, 1, v35
	v_dual_fma_f32 v54, -v45, v35, v33 :: v_dual_fma_f32 v55, -v47, v35, v33
	s_delay_alu instid0(VALU_DEP_1) | instskip(NEXT) | instid1(VALU_DEP_1)
	v_cmp_ge_f32_e64 s4, 0, v54
	v_cndmask_b32_e64 v35, v35, v45, s4
	s_delay_alu instid0(VALU_DEP_3) | instskip(NEXT) | instid1(VALU_DEP_1)
	v_cmp_lt_f32_e64 s4, 0, v55
	v_cndmask_b32_e64 v35, v35, v47, s4
	s_delay_alu instid0(VALU_DEP_1) | instskip(NEXT) | instid1(VALU_DEP_1)
	v_mul_f32_e32 v45, 0x37800000, v35
	v_cndmask_b32_e32 v35, v35, v45, vcc_lo
	v_cmp_class_f32_e64 vcc_lo, v33, 0x260
	s_delay_alu instid0(VALU_DEP_2)
	v_cndmask_b32_e32 v33, v35, v33, vcc_lo
.LBB56_534:                             ;   in Loop: Header=BB56_401 Depth=1
	s_or_b32 exec_lo, exec_lo, s22
.LBB56_535:                             ;   in Loop: Header=BB56_401 Depth=1
	s_delay_alu instid0(SALU_CYCLE_1) | instskip(NEXT) | instid1(SALU_CYCLE_1)
	s_or_b32 exec_lo, exec_lo, s5
	s_mov_b32 s22, exec_lo
                                        ; implicit-def: $sgpr4
                                        ; implicit-def: $vgpr47
                                        ; implicit-def: $vgpr35
	v_cmpx_ngt_f32_e64 0x21000000, |v40|
	s_xor_b32 s22, exec_lo, s22
	s_cbranch_execz .LBB56_559
; %bb.536:                              ;   in Loop: Header=BB56_401 Depth=1
	v_and_b32_e32 v47, 0x7fffffff, v40
	s_mov_b32 s4, 0
	s_mov_b32 s23, exec_lo
	s_delay_alu instid0(VALU_DEP_1) | instskip(NEXT) | instid1(VALU_DEP_1)
	v_div_scale_f32 v35, null, v44, v44, v47
	v_rcp_f32_e32 v45, v35
	v_nop
	s_delay_alu instid0(TRANS32_DEP_1) | instskip(NEXT) | instid1(VALU_DEP_1)
	v_fma_f32 v54, -v35, v45, 1.0
	v_fmac_f32_e32 v45, v54, v45
	v_div_scale_f32 v54, vcc_lo, v47, v44, v47
	s_delay_alu instid0(VALU_DEP_1) | instskip(NEXT) | instid1(VALU_DEP_1)
	v_mul_f32_e32 v55, v54, v45
	v_fma_f32 v56, -v35, v55, v54
	s_delay_alu instid0(VALU_DEP_1) | instskip(NEXT) | instid1(VALU_DEP_1)
	v_fmac_f32_e32 v55, v56, v45
	v_fma_f32 v35, -v35, v55, v54
	s_delay_alu instid0(VALU_DEP_1) | instskip(NEXT) | instid1(VALU_DEP_1)
	v_div_fmas_f32 v35, v35, v45, v55
	v_div_fixup_f32 v35, v35, v44, |v40|
	s_delay_alu instid0(VALU_DEP_1)
	v_cmpx_lt_f32_e32 0x3f244674, v35
	s_cbranch_execz .LBB56_558
; %bb.537:                              ;   in Loop: Header=BB56_401 Depth=1
	v_cmp_neq_f32_e64 s4, |v40|, 1.0
	v_cmp_ngt_f32_e64 s5, 0x30800000, |v41|
	s_or_b32 s4, s5, s4
	s_delay_alu instid0(SALU_CYCLE_1) | instskip(NEXT) | instid1(SALU_CYCLE_1)
	s_and_saveexec_b32 s5, s4
	s_xor_b32 s5, exec_lo, s5
	s_cbranch_execz .LBB56_555
; %bb.538:                              ;   in Loop: Header=BB56_401 Depth=1
	v_mul_f32_e64 v45, 0x34000000, |v50|
	s_mov_b32 s24, exec_lo
	s_delay_alu instid0(VALU_DEP_1)
	v_cmpx_ge_f32_e64 |v41|, v45
	s_xor_b32 s24, exec_lo, s24
	s_cbranch_execz .LBB56_548
; %bb.539:                              ;   in Loop: Header=BB56_401 Depth=1
	v_mov_b32_e32 v45, v52
	s_mov_b32 s4, exec_lo
	v_cmpx_neq_f32_e32 0, v51
	s_cbranch_execz .LBB56_541
; %bb.540:                              ;   in Loop: Header=BB56_401 Depth=1
	v_mul_f32_e32 v45, v41, v41
	v_add_f32_e32 v51, v51, v53
	s_delay_alu instid0(VALU_DEP_1) | instskip(NEXT) | instid1(VALU_DEP_1)
	v_div_scale_f32 v53, null, v51, v51, v45
	v_rcp_f32_e32 v54, v53
	v_nop
	s_delay_alu instid0(TRANS32_DEP_1) | instskip(NEXT) | instid1(VALU_DEP_1)
	v_fma_f32 v55, -v53, v54, 1.0
	v_fmac_f32_e32 v54, v55, v54
	v_div_scale_f32 v55, vcc_lo, v45, v51, v45
	s_delay_alu instid0(VALU_DEP_1) | instskip(NEXT) | instid1(VALU_DEP_1)
	v_mul_f32_e32 v56, v55, v54
	v_fma_f32 v57, -v53, v56, v55
	s_delay_alu instid0(VALU_DEP_1) | instskip(NEXT) | instid1(VALU_DEP_1)
	v_fmac_f32_e32 v56, v57, v54
	v_fma_f32 v53, -v53, v56, v55
	s_delay_alu instid0(VALU_DEP_1) | instskip(NEXT) | instid1(VALU_DEP_1)
	v_div_fmas_f32 v53, v53, v54, v56
	v_div_fixup_f32 v45, v53, v51, v45
.LBB56_541:                             ;   in Loop: Header=BB56_401 Depth=1
	s_or_b32 exec_lo, exec_lo, s4
	s_delay_alu instid0(SALU_CYCLE_1)
	s_mov_b32 s4, exec_lo
	v_cmpx_ngt_f32_e32 0, v50
	s_xor_b32 s4, exec_lo, s4
	s_cbranch_execz .LBB56_545
; %bb.542:                              ;   in Loop: Header=BB56_401 Depth=1
	s_mov_b32 s25, exec_lo
	v_cmpx_neq_f32_e32 0, v50
	s_cbranch_execz .LBB56_544
; %bb.543:                              ;   in Loop: Header=BB56_401 Depth=1
	v_dual_mul_f32 v51, v41, v41 :: v_dual_add_f32 v46, v50, v46
	s_delay_alu instid0(VALU_DEP_1) | instskip(NEXT) | instid1(VALU_DEP_1)
	v_div_scale_f32 v50, null, v46, v46, v51
	v_rcp_f32_e32 v52, v50
	v_nop
	s_delay_alu instid0(TRANS32_DEP_1) | instskip(NEXT) | instid1(VALU_DEP_1)
	v_fma_f32 v53, -v50, v52, 1.0
	v_fmac_f32_e32 v52, v53, v52
	v_div_scale_f32 v53, vcc_lo, v51, v46, v51
	s_delay_alu instid0(VALU_DEP_1) | instskip(NEXT) | instid1(VALU_DEP_1)
	v_mul_f32_e32 v54, v53, v52
	v_fma_f32 v55, -v50, v54, v53
	s_delay_alu instid0(VALU_DEP_1) | instskip(NEXT) | instid1(VALU_DEP_1)
	v_fmac_f32_e32 v54, v55, v52
	v_fma_f32 v50, -v50, v54, v53
	s_delay_alu instid0(VALU_DEP_1) | instskip(NEXT) | instid1(VALU_DEP_1)
	v_div_fmas_f32 v50, v50, v52, v54
	v_div_fixup_f32 v52, v50, v46, v51
.LBB56_544:                             ;   in Loop: Header=BB56_401 Depth=1
	s_or_b32 exec_lo, exec_lo, s25
                                        ; implicit-def: $vgpr46
                                        ; implicit-def: $vgpr50
.LBB56_545:                             ;   in Loop: Header=BB56_401 Depth=1
	s_and_not1_saveexec_b32 s4, s4
; %bb.546:                              ;   in Loop: Header=BB56_401 Depth=1
	v_sub_f32_e32 v52, v46, v50
; %bb.547:                              ;   in Loop: Header=BB56_401 Depth=1
	s_or_b32 exec_lo, exec_lo, s4
	s_delay_alu instid0(VALU_DEP_1) | instskip(SKIP_1) | instid1(VALU_DEP_1)
	v_dual_mul_f32 v51, 0.5, v45 :: v_dual_mul_f32 v45, 0.5, v52
	v_and_b32_e32 v50, 0x7fffffff, v40
	v_pk_add_f32 v[44:45], v[50:51], v[44:45]
	s_delay_alu instid0(VALU_DEP_1) | instskip(NEXT) | instid1(VALU_DEP_1)
	v_mul_f32_e32 v44, v44, v45
	v_mul_f32_e32 v45, 0x4f800000, v44
	v_cmp_gt_f32_e32 vcc_lo, 0xf800000, v44
	s_delay_alu instid0(VALU_DEP_2) | instskip(NEXT) | instid1(VALU_DEP_1)
	v_cndmask_b32_e32 v44, v44, v45, vcc_lo
	v_sqrt_f32_e32 v45, v44
	v_nop
	s_delay_alu instid0(TRANS32_DEP_1) | instskip(NEXT) | instid1(VALU_DEP_1)
	v_dual_add_nc_u32 v46, -1, v45 :: v_dual_add_nc_u32 v50, 1, v45
	v_fma_f32 v51, -v46, v45, v44
	s_delay_alu instid0(VALU_DEP_2) | instskip(NEXT) | instid1(VALU_DEP_2)
	v_fma_f32 v52, -v50, v45, v44
	v_cmp_ge_f32_e64 s4, 0, v51
                                        ; implicit-def: $vgpr51
	s_delay_alu instid0(VALU_DEP_1) | instskip(NEXT) | instid1(VALU_DEP_3)
	v_cndmask_b32_e64 v45, v45, v46, s4
	v_cmp_lt_f32_e64 s4, 0, v52
	s_delay_alu instid0(VALU_DEP_1) | instskip(NEXT) | instid1(VALU_DEP_1)
	v_cndmask_b32_e64 v45, v45, v50, s4
                                        ; implicit-def: $vgpr50
	v_mul_f32_e32 v46, 0x37800000, v45
	s_delay_alu instid0(VALU_DEP_1) | instskip(SKIP_1) | instid1(VALU_DEP_2)
	v_cndmask_b32_e32 v45, v45, v46, vcc_lo
	v_cmp_class_f32_e64 vcc_lo, v44, 0x260
	v_cndmask_b32_e32 v46, v45, v44, vcc_lo
.LBB56_548:                             ;   in Loop: Header=BB56_401 Depth=1
	s_and_not1_saveexec_b32 s24, s24
	s_cbranch_execz .LBB56_554
; %bb.549:                              ;   in Loop: Header=BB56_401 Depth=1
	s_mov_b32 s25, exec_lo
	v_cmpx_ngt_f32_e64 |v40|, 1.0
	s_xor_b32 s25, exec_lo, s25
	s_cbranch_execz .LBB56_551
; %bb.550:                              ;   in Loop: Header=BB56_401 Depth=1
	v_sub_f32_e64 v44, 1.0, |v40|
	s_delay_alu instid0(VALU_DEP_1) | instskip(NEXT) | instid1(VALU_DEP_1)
	v_mul_f32_e32 v44, v44, v51
	v_mul_f32_e32 v45, 0x4f800000, v44
	v_cmp_gt_f32_e32 vcc_lo, 0xf800000, v44
	s_delay_alu instid0(VALU_DEP_2) | instskip(NEXT) | instid1(VALU_DEP_1)
	v_cndmask_b32_e32 v44, v44, v45, vcc_lo
	v_sqrt_f32_e32 v45, v44
	v_nop
	s_delay_alu instid0(TRANS32_DEP_1) | instskip(NEXT) | instid1(VALU_DEP_1)
	v_dual_add_nc_u32 v46, -1, v45 :: v_dual_add_nc_u32 v50, 1, v45
	v_fma_f32 v51, -v46, v45, v44
	s_delay_alu instid0(VALU_DEP_2) | instskip(NEXT) | instid1(VALU_DEP_2)
	v_fma_f32 v52, -v50, v45, v44
	v_cmp_ge_f32_e64 s4, 0, v51
                                        ; implicit-def: $vgpr51
	s_delay_alu instid0(VALU_DEP_1) | instskip(NEXT) | instid1(VALU_DEP_3)
	v_cndmask_b32_e64 v45, v45, v46, s4
	v_cmp_lt_f32_e64 s4, 0, v52
	s_delay_alu instid0(VALU_DEP_1) | instskip(NEXT) | instid1(VALU_DEP_1)
	v_cndmask_b32_e64 v45, v45, v50, s4
                                        ; implicit-def: $vgpr50
	v_mul_f32_e32 v46, 0x37800000, v45
	s_delay_alu instid0(VALU_DEP_1) | instskip(SKIP_1) | instid1(VALU_DEP_2)
	v_cndmask_b32_e32 v45, v45, v46, vcc_lo
	v_cmp_class_f32_e64 vcc_lo, v44, 0x260
	v_cndmask_b32_e32 v46, v45, v44, vcc_lo
.LBB56_551:                             ;   in Loop: Header=BB56_401 Depth=1
	s_and_not1_saveexec_b32 s25, s25
	s_cbranch_execz .LBB56_553
; %bb.552:                              ;   in Loop: Header=BB56_401 Depth=1
	v_mul_f32_e32 v44, v51, v50
	s_delay_alu instid0(VALU_DEP_1) | instskip(SKIP_1) | instid1(VALU_DEP_2)
	v_mul_f32_e32 v45, 0x4f800000, v44
	v_cmp_gt_f32_e32 vcc_lo, 0xf800000, v44
	v_cndmask_b32_e32 v44, v44, v45, vcc_lo
	s_delay_alu instid0(VALU_DEP_1) | instskip(SKIP_1) | instid1(TRANS32_DEP_1)
	v_sqrt_f32_e32 v45, v44
	v_nop
	v_dual_add_nc_u32 v46, -1, v45 :: v_dual_add_nc_u32 v47, 1, v45
	s_delay_alu instid0(VALU_DEP_1) | instskip(NEXT) | instid1(VALU_DEP_1)
	v_dual_fma_f32 v50, -v46, v45, v44 :: v_dual_fma_f32 v51, -v47, v45, v44
	v_cmp_ge_f32_e64 s4, 0, v50
	s_delay_alu instid0(VALU_DEP_1) | instskip(NEXT) | instid1(VALU_DEP_3)
	v_cndmask_b32_e64 v45, v45, v46, s4
	v_cmp_lt_f32_e64 s4, 0, v51
	s_delay_alu instid0(VALU_DEP_1) | instskip(SKIP_1) | instid1(VALU_DEP_2)
	v_cndmask_b32_e64 v45, v45, v47, s4
	v_mul_f32_e64 v47, 0x57800000, |v41|
	v_mul_f32_e32 v46, 0x37800000, v45
	s_delay_alu instid0(VALU_DEP_1) | instskip(SKIP_1) | instid1(VALU_DEP_4)
	v_cndmask_b32_e32 v45, v45, v46, vcc_lo
	v_cmp_class_f32_e64 vcc_lo, v44, 0x260
	v_mul_f32_e64 v46, |v40|, v47
	s_delay_alu instid0(VALU_DEP_3) | instskip(NEXT) | instid1(VALU_DEP_1)
	v_cndmask_b32_e32 v44, v45, v44, vcc_lo
	v_div_scale_f32 v45, null, v44, v44, v46
	v_div_scale_f32 v51, vcc_lo, v46, v44, v46
	s_delay_alu instid0(VALU_DEP_2) | instskip(SKIP_1) | instid1(TRANS32_DEP_1)
	v_rcp_f32_e32 v47, v45
	v_nop
	v_fma_f32 v50, -v45, v47, 1.0
	s_delay_alu instid0(VALU_DEP_1) | instskip(NEXT) | instid1(VALU_DEP_1)
	v_fmac_f32_e32 v47, v50, v47
	v_mul_f32_e32 v50, v51, v47
	s_delay_alu instid0(VALU_DEP_1) | instskip(NEXT) | instid1(VALU_DEP_1)
	v_fma_f32 v52, -v45, v50, v51
	v_fmac_f32_e32 v50, v52, v47
	s_delay_alu instid0(VALU_DEP_1) | instskip(NEXT) | instid1(VALU_DEP_1)
	v_fma_f32 v45, -v45, v50, v51
	v_div_fmas_f32 v45, v45, v47, v50
	v_mul_f32_e64 v47, 0x57800000, |v40|
	s_delay_alu instid0(VALU_DEP_2)
	v_div_fixup_f32 v46, v45, v44, v46
.LBB56_553:                             ;   in Loop: Header=BB56_401 Depth=1
	s_or_b32 exec_lo, exec_lo, s25
.LBB56_554:                             ;   in Loop: Header=BB56_401 Depth=1
	s_delay_alu instid0(SALU_CYCLE_1)
	s_or_b32 exec_lo, exec_lo, s24
                                        ; implicit-def: $vgpr44
.LBB56_555:                             ;   in Loop: Header=BB56_401 Depth=1
	s_and_not1_saveexec_b32 s24, s5
	s_cbranch_execz .LBB56_557
; %bb.556:                              ;   in Loop: Header=BB56_401 Depth=1
	v_add_f32_e32 v44, 1.0, v44
	v_mul_f32_e64 v45, 0x4f800000, |v41|
	v_cmp_gt_f32_e64 vcc_lo, 0xf800000, |v41|
	s_delay_alu instid0(VALU_DEP_3) | instskip(NEXT) | instid1(VALU_DEP_2)
	v_mul_f32_e32 v44, 0.5, v44
	v_cndmask_b32_e64 v45, |v41|, v45, vcc_lo
	s_delay_alu instid0(VALU_DEP_2) | instskip(SKIP_1) | instid1(VALU_DEP_1)
	v_mul_f32_e32 v46, 0x4f800000, v44
	v_cmp_gt_f32_e64 s4, 0xf800000, v44
	v_cndmask_b32_e64 v44, v44, v46, s4
	s_delay_alu instid0(VALU_DEP_4) | instskip(SKIP_1) | instid1(TRANS32_DEP_1)
	v_sqrt_f32_e32 v46, v45
	v_nop
	v_add_nc_u32_e32 v52, 1, v46
	s_delay_alu instid0(VALU_DEP_3) | instskip(NEXT) | instid1(VALU_DEP_1)
	v_sqrt_f32_e32 v47, v44
	v_dual_add_nc_u32 v50, -1, v46 :: v_dual_fma_f32 v56, -v52, v46, v45
	s_delay_alu instid0(TRANS32_DEP_1) | instid1(VALU_DEP_1)
	v_dual_fma_f32 v53, -v50, v46, v45 :: v_dual_add_nc_u32 v54, 1, v47
	v_add_nc_u32_e32 v51, -1, v47
	s_delay_alu instid0(VALU_DEP_2) | instskip(NEXT) | instid1(VALU_DEP_1)
	v_cmp_ge_f32_e64 s5, 0, v53
	v_dual_fma_f32 v55, -v51, v47, v44 :: v_dual_cndmask_b32 v46, v46, v50, s5
	s_delay_alu instid0(VALU_DEP_4) | instskip(NEXT) | instid1(VALU_DEP_2)
	v_fma_f32 v50, -v54, v47, v44
	v_cmp_ge_f32_e64 s5, 0, v55
	s_delay_alu instid0(VALU_DEP_1) | instskip(SKIP_1) | instid1(VALU_DEP_1)
	v_cndmask_b32_e64 v47, v47, v51, s5
	v_cmp_lt_f32_e64 s5, 0, v56
	v_cndmask_b32_e64 v46, v46, v52, s5
	v_cmp_lt_f32_e64 s5, 0, v50
	s_delay_alu instid0(VALU_DEP_1) | instskip(NEXT) | instid1(VALU_DEP_1)
	v_cndmask_b32_e64 v47, v47, v54, s5
	v_mul_f32_e32 v51, 0x37800000, v47
	s_delay_alu instid0(VALU_DEP_1) | instskip(SKIP_1) | instid1(VALU_DEP_1)
	v_cndmask_b32_e64 v47, v47, v51, s4
	v_mul_f32_e32 v50, 0x37800000, v46
	v_cndmask_b32_e32 v46, v46, v50, vcc_lo
	v_cmp_class_f32_e64 vcc_lo, v45, 0x260
	s_delay_alu instid0(VALU_DEP_2) | instskip(SKIP_2) | instid1(VALU_DEP_1)
	v_cndmask_b32_e32 v45, v46, v45, vcc_lo
	v_cmp_class_f32_e64 vcc_lo, v44, 0x260
	v_dual_cndmask_b32 v44, v47, v44 :: v_dual_mov_b32 v47, 1.0
	v_mul_f32_e32 v46, v45, v44
.LBB56_557:                             ;   in Loop: Header=BB56_401 Depth=1
	s_or_b32 exec_lo, exec_lo, s24
	s_delay_alu instid0(SALU_CYCLE_1)
	s_mov_b32 s4, exec_lo
.LBB56_558:                             ;   in Loop: Header=BB56_401 Depth=1
	s_or_b32 exec_lo, exec_lo, s23
                                        ; implicit-def: $vgpr44
.LBB56_559:                             ;   in Loop: Header=BB56_401 Depth=1
	s_and_not1_saveexec_b32 s5, s22
; %bb.560:                              ;   in Loop: Header=BB56_401 Depth=1
	v_and_b32_e32 v45, 0x7fffffff, v40
	s_or_b32 s4, s4, exec_lo
                                        ; implicit-def: $vgpr35
	s_delay_alu instid0(VALU_DEP_1)
	v_pk_mul_f32 v[46:47], v[44:45], s[14:15] op_sel_hi:[1,0]
; %bb.561:                              ;   in Loop: Header=BB56_401 Depth=1
	s_or_b32 exec_lo, exec_lo, s5
	s_xor_b32 s4, s4, -1
                                        ; implicit-def: $vgpr44
	s_delay_alu instid0(SALU_CYCLE_1) | instskip(NEXT) | instid1(SALU_CYCLE_1)
	s_and_saveexec_b32 s5, s4
	s_xor_b32 s4, exec_lo, s5
	s_cbranch_execz .LBB56_563
; %bb.562:                              ;   in Loop: Header=BB56_401 Depth=1
	v_fma_f32 v44, |v35|, -0.5, 0.5
	v_mul_f32_e32 v45, v35, v35
	v_cmp_ge_f32_e64 vcc_lo, |v35|, 0.5
	s_delay_alu instid0(VALU_DEP_2) | instskip(SKIP_1) | instid1(VALU_DEP_2)
	v_cndmask_b32_e32 v44, v45, v44, vcc_lo
	v_cmp_lt_f32_e64 vcc_lo, |v35|, 0.5
	v_fmaak_f32 v45, s16, v44, 0x3c5fc5da
	v_sqrt_f32_e32 v46, v44
	s_delay_alu instid0(VALU_DEP_1) | instskip(NEXT) | instid1(VALU_DEP_1)
	v_fmaak_f32 v45, v44, v45, 0x3d034c3c
	v_fmaak_f32 v45, v44, v45, 0x3d3641b1
	s_delay_alu instid0(VALU_DEP_1) | instskip(NEXT) | instid1(VALU_DEP_1)
	v_fmaak_f32 v45, v44, v45, 0x3d999bc8
	v_fmaak_f32 v45, v44, v45, 0x3e2aaaac
	s_delay_alu instid0(VALU_DEP_1)
	v_mul_f32_e32 v44, v44, v45
	s_delay_alu instid0(TRANS32_DEP_1) | instid1(VALU_DEP_1)
	v_fmac_f32_e32 v46, v46, v44
	s_delay_alu instid0(VALU_DEP_1) | instskip(NEXT) | instid1(VALU_DEP_1)
	v_add_f32_e32 v45, v46, v46
                                        ; implicit-def: $vgpr47
	v_sub_f32_e32 v45, 0x3fc90fdb, v45
	v_fma_f32 v44, |v35|, v44, |v35|
	s_delay_alu instid0(VALU_DEP_1) | instskip(NEXT) | instid1(VALU_DEP_1)
	v_cndmask_b32_e32 v44, v45, v44, vcc_lo
	v_bfi_b32 v44, 0x7fffffff, v44, v35
.LBB56_563:                             ;   in Loop: Header=BB56_401 Depth=1
	s_and_not1_saveexec_b32 s5, s4
	s_cbranch_execz .LBB56_565
; %bb.564:                              ;   in Loop: Header=BB56_401 Depth=1
	v_max_num_f32_e32 v35, v47, v47
	v_max_num_f32_e64 v44, |v46|, |v46|
	v_cmp_gt_f32_e64 vcc_lo, v47, |v46|
	v_cmp_gt_i32_e64 s4, 0, v46
	v_cmp_class_f32_e64 s22, v46, 0x204
	s_delay_alu instid0(VALU_DEP_4) | instskip(NEXT) | instid1(VALU_DEP_1)
	v_dual_max_num_f32 v45, v44, v35 :: v_dual_min_num_f32 v35, v44, v35
	v_frexp_mant_f32_e32 v50, v45
	v_frexp_exp_i32_f32_e32 v44, v45
	s_delay_alu instid0(VALU_DEP_2)
	v_rcp_f32_e32 v45, v50
	v_nop
	v_frexp_exp_i32_f32_e32 v50, v35
	v_frexp_mant_f32_e32 v35, v35
	s_delay_alu instid0(TRANS32_DEP_1) | instid1(VALU_DEP_1)
	v_dual_mul_f32 v35, v35, v45 :: v_dual_sub_nc_u32 v44, v50, v44
	s_delay_alu instid0(VALU_DEP_1) | instskip(NEXT) | instid1(VALU_DEP_1)
	v_ldexp_f32 v35, v35, v44
	v_mul_f32_e32 v44, v35, v35
	s_delay_alu instid0(VALU_DEP_1) | instskip(NEXT) | instid1(VALU_DEP_1)
	v_fmaak_f32 v45, s17, v44, 0xbc7a590c
	v_fmaak_f32 v45, v44, v45, 0x3d29fb3f
	s_delay_alu instid0(VALU_DEP_1) | instskip(NEXT) | instid1(VALU_DEP_1)
	v_fmaak_f32 v45, v44, v45, 0xbd97d4d7
	v_fmaak_f32 v45, v44, v45, 0x3dd931b2
	;; [unrolled: 3-line block ×3, first 2 shown]
	s_delay_alu instid0(VALU_DEP_1) | instskip(NEXT) | instid1(VALU_DEP_1)
	v_fmaak_f32 v45, v44, v45, 0xbeaaaa62
	v_mul_f32_e32 v44, v44, v45
	s_delay_alu instid0(VALU_DEP_1) | instskip(NEXT) | instid1(VALU_DEP_1)
	v_fmac_f32_e32 v35, v35, v44
	v_sub_f32_e32 v44, 0x3fc90fdb, v35
	s_delay_alu instid0(VALU_DEP_1) | instskip(SKIP_1) | instid1(VALU_DEP_2)
	v_cndmask_b32_e32 v35, v35, v44, vcc_lo
	v_cmp_gt_f32_e32 vcc_lo, 0, v46
	v_sub_f32_e32 v44, 0x40490fdb, v35
	v_cndmask_b32_e32 v45, 0x3f490fdb, v49, vcc_lo
	s_delay_alu instid0(VALU_DEP_2) | instskip(SKIP_3) | instid1(VALU_DEP_2)
	v_cndmask_b32_e32 v35, v35, v44, vcc_lo
	v_cndmask_b32_e64 v44, 0, 0x40490fdb, s4
	v_cmp_eq_f32_e64 s4, 0, v47
	v_cmp_eq_f32_e32 vcc_lo, 0x7f800000, v47
	v_cndmask_b32_e64 v35, |v35|, v44, s4
	s_and_b32 vcc_lo, vcc_lo, s22
	s_delay_alu instid0(VALU_DEP_1) | instskip(SKIP_1) | instid1(VALU_DEP_2)
	v_cndmask_b32_e32 v35, v35, v45, vcc_lo
	v_cmp_o_f32_e32 vcc_lo, v46, v46
	v_cndmask_b32_e32 v44, 0x7fc00000, v35, vcc_lo
.LBB56_565:                             ;   in Loop: Header=BB56_401 Depth=1
	s_or_b32 exec_lo, exec_lo, s5
	s_delay_alu instid0(VALU_DEP_1)
	v_bfi_b32 v40, 0x7fffffff, v44, v40
	v_bfi_b32 v41, 0x7fffffff, v33, v41
.LBB56_566:                             ;   in Loop: Header=BB56_401 Depth=1
	s_or_b32 exec_lo, exec_lo, s21
.LBB56_567:                             ;   in Loop: Header=BB56_401 Depth=1
	s_delay_alu instid0(SALU_CYCLE_1)
	s_or_b32 exec_lo, exec_lo, s20
                                        ; implicit-def: $vgpr33
                                        ; implicit-def: $vgpr35
                                        ; implicit-def: $vgpr44
.LBB56_568:                             ;   in Loop: Header=BB56_401 Depth=1
	s_and_not1_saveexec_b32 s19, s19
	s_cbranch_execz .LBB56_590
; %bb.569:                              ;   in Loop: Header=BB56_401 Depth=1
                                        ; implicit-def: $sgpr20
                                        ; implicit-def: $vgpr45
                                        ; implicit-def: $vgpr46
	s_mov_b32 s4, exec_lo
	v_cmpx_lt_i32_e32 -1, v41
	s_xor_b32 s21, exec_lo, s4
	s_cbranch_execz .LBB56_579
; %bb.570:                              ;   in Loop: Header=BB56_401 Depth=1
	v_cmp_lt_f32_e64 s4, |v41|, |v40|
                                        ; implicit-def: $vgpr45
                                        ; implicit-def: $vgpr46
	s_mov_b32 s5, exec_lo
	v_cndmask_b32_e64 v47, |v41|, |v40|, s4
	s_delay_alu instid0(VALU_DEP_1)
	v_cmpx_nlt_f32_e32 0x7effffff, v47
	s_xor_b32 s20, exec_lo, s5
	s_cbranch_execz .LBB56_576
; %bb.571:                              ;   in Loop: Header=BB56_401 Depth=1
	v_cndmask_b32_e64 v50, |v40|, |v41|, s4
	v_cmp_nlt_f32_e32 vcc_lo, 0x5e000000, v47
                                        ; implicit-def: $vgpr45
                                        ; implicit-def: $vgpr46
	s_delay_alu instid0(VALU_DEP_2) | instskip(SKIP_1) | instid1(SALU_CYCLE_1)
	v_cmp_ngt_f32_e64 s5, 0x20000000, v50
	s_and_b32 s5, vcc_lo, s5
	s_and_saveexec_b32 s22, s5
	s_delay_alu instid0(SALU_CYCLE_1)
	s_xor_b32 s22, exec_lo, s22
	s_cbranch_execz .LBB56_573
; %bb.572:                              ;   in Loop: Header=BB56_401 Depth=1
	v_frexp_mant_f32_e32 v45, v44
	s_wait_dscnt 0x0
	v_dual_min_num_f32 v33, v35, v33 :: v_dual_mul_f32 v50, v50, v50
	v_frexp_exp_i32_f32_e32 v35, v44
	s_delay_alu instid0(VALU_DEP_3) | instskip(SKIP_1) | instid1(VALU_DEP_3)
	v_rcp_f32_e32 v44, v45
	v_nop
	v_frexp_exp_i32_f32_e32 v45, v33
	v_frexp_mant_f32_e32 v33, v33
	v_fmac_f32_e32 v50, v47, v47
	s_delay_alu instid0(VALU_DEP_3)
	v_sub_nc_u32_e32 v35, v45, v35
	s_delay_alu instid0(TRANS32_DEP_1) | instid1(VALU_DEP_3)
	v_mul_f32_e32 v33, v33, v44
	s_delay_alu instid0(VALU_DEP_3) | instskip(NEXT) | instid1(VALU_DEP_2)
	v_cmp_gt_f32_e32 vcc_lo, 0x800000, v50
	v_ldexp_f32 v46, v33, v35
	v_cndmask_b32_e64 v33, 0, 32, vcc_lo
	s_delay_alu instid0(VALU_DEP_1) | instskip(NEXT) | instid1(VALU_DEP_1)
	v_ldexp_f32 v33, v50, v33
	v_log_f32_e32 v33, v33
	v_nop
	s_delay_alu instid0(TRANS32_DEP_1) | instskip(SKIP_1) | instid1(VALU_DEP_2)
	v_mul_f32_e32 v45, 0x3f317217, v33
	v_cmp_gt_f32_e64 s5, 0x7f800000, |v33|
	v_fma_f32 v45, 0x3f317217, v33, -v45
	s_delay_alu instid0(VALU_DEP_1) | instskip(NEXT) | instid1(VALU_DEP_1)
	v_fmac_f32_e32 v45, 0x3377d1cf, v33
	v_fmac_f32_e32 v45, 0x3f317217, v33
	s_delay_alu instid0(VALU_DEP_1) | instskip(SKIP_1) | instid1(VALU_DEP_1)
	v_dual_mul_f32 v35, v46, v46 :: v_dual_cndmask_b32 v33, v33, v45, s5
	v_cndmask_b32_e64 v45, 0, 0x41b17218, vcc_lo
	v_dual_fmaak_f32 v44, s17, v35, 0xbc7a590c :: v_dual_sub_f32 v33, v33, v45
	s_delay_alu instid0(VALU_DEP_1) | instskip(NEXT) | instid1(VALU_DEP_1)
	v_dual_fmaak_f32 v44, v35, v44, 0x3d29fb3f :: v_dual_mul_f32 v45, 0.5, v33
	v_fmaak_f32 v44, v35, v44, 0xbd97d4d7
                                        ; implicit-def: $vgpr33
	s_delay_alu instid0(VALU_DEP_1) | instskip(NEXT) | instid1(VALU_DEP_1)
	v_fmaak_f32 v44, v35, v44, 0x3dd931b2
	v_fmaak_f32 v44, v35, v44, 0xbe1160e6
	s_delay_alu instid0(VALU_DEP_1) | instskip(NEXT) | instid1(VALU_DEP_1)
	v_fmaak_f32 v44, v35, v44, 0x3e4cb8bf
	v_fmaak_f32 v44, v35, v44, 0xbeaaaa62
	s_delay_alu instid0(VALU_DEP_1) | instskip(NEXT) | instid1(VALU_DEP_1)
	v_mul_f32_e32 v35, v35, v44
                                        ; implicit-def: $vgpr44
	v_fmac_f32_e32 v46, v46, v35
                                        ; implicit-def: $vgpr35
.LBB56_573:                             ;   in Loop: Header=BB56_401 Depth=1
	s_and_not1_saveexec_b32 s5, s22
	s_cbranch_execz .LBB56_575
; %bb.574:                              ;   in Loop: Header=BB56_401 Depth=1
	v_cvt_f64_f32_e32 v[46:47], v44
	v_frexp_mant_f32_e32 v50, v44
	v_cmp_neq_f32_e32 vcc_lo, 0x7f800000, v44
	s_delay_alu instid0(VALU_DEP_3) | instskip(NEXT) | instid1(VALU_DEP_1)
	v_frexp_exp_i32_f64_e32 v45, v[46:47]
	v_sub_nc_u32_e32 v46, 0, v45
	s_delay_alu instid0(VALU_DEP_1) | instskip(NEXT) | instid1(VALU_DEP_1)
	v_ldexp_f32 v47, |v40|, v46
	v_mul_f32_e32 v47, v47, v47
	v_ldexp_f32 v46, |v41|, v46
	s_wait_dscnt 0x0
	v_min_num_f32_e32 v33, v35, v33
	v_frexp_exp_i32_f32_e32 v35, v44
	s_delay_alu instid0(VALU_DEP_3)
	v_fmac_f32_e32 v47, v46, v46
	v_rcp_f32_e32 v46, v50
	v_nop
	v_frexp_exp_i32_f32_e32 v50, v33
	v_frexp_mant_f32_e32 v33, v33
	v_sqrt_f32_e32 v47, v47
	s_delay_alu instid0(TRANS32_DEP_2) | instid1(VALU_DEP_1)
	v_dual_sub_nc_u32 v35, v50, v35 :: v_dual_mul_f32 v33, v33, v46
	s_delay_alu instid0(TRANS32_DEP_1) | instskip(NEXT) | instid1(VALU_DEP_2)
	v_ldexp_f32 v45, v47, v45
	v_ldexp_f32 v46, v33, v35
	s_delay_alu instid0(VALU_DEP_2) | instskip(NEXT) | instid1(VALU_DEP_1)
	v_cndmask_b32_e32 v33, 0x7f800000, v45, vcc_lo
	v_cmp_gt_f32_e32 vcc_lo, 0x800000, v33
	v_cndmask_b32_e64 v44, 0, 32, vcc_lo
	v_cndmask_b32_e64 v47, 0, 0x41b17218, vcc_lo
	s_delay_alu instid0(VALU_DEP_2) | instskip(NEXT) | instid1(VALU_DEP_1)
	v_ldexp_f32 v33, v33, v44
	v_log_f32_e32 v33, v33
	v_nop
	s_delay_alu instid0(TRANS32_DEP_1) | instskip(SKIP_1) | instid1(VALU_DEP_1)
	v_cmp_gt_f32_e64 vcc_lo, 0x7f800000, |v33|
	v_mul_f32_e32 v35, v46, v46
	v_fmaak_f32 v45, s17, v35, 0xbc7a590c
	s_delay_alu instid0(VALU_DEP_1) | instskip(SKIP_1) | instid1(VALU_DEP_1)
	v_fmaak_f32 v44, v35, v45, 0x3d29fb3f
	v_mul_f32_e32 v45, 0x3f317217, v33
	v_fma_f32 v45, 0x3f317217, v33, -v45
	s_delay_alu instid0(VALU_DEP_1) | instskip(NEXT) | instid1(VALU_DEP_1)
	v_fmac_f32_e32 v45, 0x3377d1cf, v33
	v_fmac_f32_e32 v45, 0x3f317217, v33
	s_delay_alu instid0(VALU_DEP_1) | instskip(NEXT) | instid1(VALU_DEP_1)
	v_cndmask_b32_e32 v33, v33, v45, vcc_lo
	v_dual_sub_f32 v45, v33, v47 :: v_dual_fmaak_f32 v44, v35, v44, 0xbd97d4d7
	s_delay_alu instid0(VALU_DEP_1) | instskip(NEXT) | instid1(VALU_DEP_1)
	v_fmaak_f32 v44, v35, v44, 0x3dd931b2
	v_fmaak_f32 v44, v35, v44, 0xbe1160e6
	s_delay_alu instid0(VALU_DEP_1) | instskip(NEXT) | instid1(VALU_DEP_1)
	v_fmaak_f32 v44, v35, v44, 0x3e4cb8bf
	v_fmaak_f32 v44, v35, v44, 0xbeaaaa62
	s_delay_alu instid0(VALU_DEP_1) | instskip(NEXT) | instid1(VALU_DEP_1)
	v_mul_f32_e32 v35, v35, v44
	v_fmac_f32_e32 v46, v46, v35
.LBB56_575:                             ;   in Loop: Header=BB56_401 Depth=1
	s_or_b32 exec_lo, exec_lo, s5
                                        ; implicit-def: $vgpr35
                                        ; implicit-def: $vgpr33
                                        ; implicit-def: $vgpr44
.LBB56_576:                             ;   in Loop: Header=BB56_401 Depth=1
	s_and_not1_saveexec_b32 s20, s20
	s_cbranch_execz .LBB56_578
; %bb.577:                              ;   in Loop: Header=BB56_401 Depth=1
	v_div_scale_f32 v45, null, 0x402df854, 0x402df854, v41
	v_div_scale_f32 v46, null, 0x402df854, 0x402df854, v40
	v_div_scale_f32 v53, vcc_lo, v41, 0x402df854, v41
	s_delay_alu instid0(VALU_DEP_3) | instskip(NEXT) | instid1(VALU_DEP_2)
	v_rcp_f32_e32 v47, v45
	v_rcp_f32_e32 v50, v46
	s_wait_dscnt 0x0
	v_min_num_f32_e32 v33, v35, v33
	s_delay_alu instid0(TRANS32_DEP_2) | instskip(NEXT) | instid1(TRANS32_DEP_1)
	v_fma_f32 v51, -v45, v47, 1.0
	v_fma_f32 v52, -v46, v50, 1.0
	s_delay_alu instid0(VALU_DEP_1) | instskip(SKIP_1) | instid1(VALU_DEP_1)
	v_dual_fmac_f32 v47, v51, v47 :: v_dual_fmac_f32 v50, v52, v50
	v_div_scale_f32 v51, s5, v40, 0x402df854, v40
	v_dual_mul_f32 v52, v53, v47 :: v_dual_mul_f32 v54, v51, v50
	s_delay_alu instid0(VALU_DEP_1) | instskip(NEXT) | instid1(VALU_DEP_1)
	v_dual_fma_f32 v55, -v45, v52, v53 :: v_dual_fma_f32 v56, -v46, v54, v51
	v_dual_fmac_f32 v52, v55, v47 :: v_dual_fmac_f32 v54, v56, v50
	s_delay_alu instid0(VALU_DEP_1) | instskip(NEXT) | instid1(VALU_DEP_1)
	v_dual_fma_f32 v45, -v45, v52, v53 :: v_dual_fma_f32 v46, -v46, v54, v51
	v_div_fmas_f32 v45, v45, v47, v52
	s_mov_b32 vcc_lo, s5
	s_delay_alu instid0(VALU_DEP_2) | instskip(NEXT) | instid1(VALU_DEP_2)
	v_div_fmas_f32 v46, v46, v50, v54
	v_div_fixup_f32 v45, v45, 0x402df854, v41
	s_delay_alu instid0(VALU_DEP_2) | instskip(NEXT) | instid1(VALU_DEP_1)
	v_div_fixup_f32 v50, v46, 0x402df854, v40
	v_max_num_f32_e64 v51, v45, |v50|
	s_delay_alu instid0(VALU_DEP_1) | instskip(SKIP_1) | instid1(VALU_DEP_2)
	v_cvt_f64_f32_e32 v[46:47], v51
	v_cmp_neq_f32_e32 vcc_lo, 0x7f800000, v51
	v_frexp_exp_i32_f64_e32 v46, v[46:47]
	s_delay_alu instid0(VALU_DEP_1) | instskip(NEXT) | instid1(VALU_DEP_1)
	v_sub_nc_u32_e32 v47, 0, v46
	v_ldexp_f32 v50, |v50|, v47
	v_ldexp_f32 v45, v45, v47
	s_delay_alu instid0(VALU_DEP_2) | instskip(NEXT) | instid1(VALU_DEP_1)
	v_mul_f32_e32 v47, v50, v50
	v_fmac_f32_e32 v47, v45, v45
	v_frexp_mant_f32_e32 v45, v44
	v_frexp_exp_i32_f32_e32 v44, v44
	s_delay_alu instid0(VALU_DEP_3) | instskip(NEXT) | instid1(VALU_DEP_2)
	v_sqrt_f32_e32 v35, v47
	v_rcp_f32_e32 v45, v45
	v_frexp_exp_i32_f32_e32 v47, v33
	v_frexp_mant_f32_e32 v33, v33
	s_delay_alu instid0(TRANS32_DEP_2)
	v_ldexp_f32 v35, v35, v46
	s_delay_alu instid0(TRANS32_DEP_1) | instid1(VALU_DEP_2)
	v_dual_mul_f32 v33, v33, v45 :: v_dual_sub_nc_u32 v44, v47, v44
	s_delay_alu instid0(VALU_DEP_2) | instskip(NEXT) | instid1(VALU_DEP_2)
	v_cndmask_b32_e32 v35, 0x7f800000, v35, vcc_lo
	v_ldexp_f32 v46, v33, v44
	s_delay_alu instid0(VALU_DEP_2) | instskip(NEXT) | instid1(VALU_DEP_2)
	v_cmp_gt_f32_e32 vcc_lo, 0x800000, v35
	v_mul_f32_e32 v44, v46, v46
	v_cndmask_b32_e64 v33, 0, 32, vcc_lo
	v_cndmask_b32_e64 v47, 0, 0x41b17218, vcc_lo
	s_delay_alu instid0(VALU_DEP_2) | instskip(NEXT) | instid1(VALU_DEP_4)
	v_ldexp_f32 v33, v35, v33
	v_fmaak_f32 v35, s17, v44, 0xbc7a590c
	s_delay_alu instid0(VALU_DEP_2) | instskip(NEXT) | instid1(VALU_DEP_1)
	v_log_f32_e32 v33, v33
	v_fmaak_f32 v35, v44, v35, 0x3d29fb3f
	s_delay_alu instid0(VALU_DEP_1) | instskip(NEXT) | instid1(TRANS32_DEP_1)
	v_fmaak_f32 v35, v44, v35, 0xbd97d4d7
	v_cmp_gt_f32_e64 vcc_lo, 0x7f800000, |v33|
	s_delay_alu instid0(VALU_DEP_2) | instskip(NEXT) | instid1(VALU_DEP_1)
	v_fmaak_f32 v35, v44, v35, 0x3dd931b2
	v_fmaak_f32 v35, v44, v35, 0xbe1160e6
	s_delay_alu instid0(VALU_DEP_1) | instskip(NEXT) | instid1(VALU_DEP_1)
	v_fmaak_f32 v35, v44, v35, 0x3e4cb8bf
	v_fmaak_f32 v35, v44, v35, 0xbeaaaa62
	s_delay_alu instid0(VALU_DEP_1) | instskip(NEXT) | instid1(VALU_DEP_1)
	v_mul_f32_e32 v35, v44, v35
	v_dual_mul_f32 v45, 0x3f317217, v33 :: v_dual_fmac_f32 v46, v46, v35
	s_delay_alu instid0(VALU_DEP_1) | instskip(NEXT) | instid1(VALU_DEP_1)
	v_fma_f32 v45, 0x3f317217, v33, -v45
	v_fmac_f32_e32 v45, 0x3377d1cf, v33
	s_delay_alu instid0(VALU_DEP_1) | instskip(NEXT) | instid1(VALU_DEP_1)
	v_fmac_f32_e32 v45, 0x3f317217, v33
	v_cndmask_b32_e32 v33, v33, v45, vcc_lo
	s_delay_alu instid0(VALU_DEP_1) | instskip(NEXT) | instid1(VALU_DEP_1)
	v_sub_f32_e32 v33, v33, v47
	v_add_f32_e32 v45, 1.0, v33
.LBB56_578:                             ;   in Loop: Header=BB56_401 Depth=1
	s_or_b32 exec_lo, exec_lo, s20
	s_wait_dscnt 0x0
	v_sub_f32_e32 v33, 0x3fc90fdb, v46
	v_cmp_neq_f32_e32 vcc_lo, 0, v40
	v_cmp_class_f32_e64 s20, v41, 0x204
	s_delay_alu instid0(VALU_DEP_3) | instskip(NEXT) | instid1(VALU_DEP_1)
	v_cndmask_b32_e64 v33, v46, v33, s4
	v_cndmask_b32_e32 v46, 0, v33, vcc_lo
                                        ; implicit-def: $vgpr33
.LBB56_579:                             ;   in Loop: Header=BB56_401 Depth=1
	s_and_not1_saveexec_b32 s21, s21
	s_cbranch_execz .LBB56_589
; %bb.580:                              ;   in Loop: Header=BB56_401 Depth=1
	v_cmp_gt_f32_e64 s4, |v40|, -v41
                                        ; implicit-def: $vgpr45
                                        ; implicit-def: $vgpr35
	s_mov_b32 s5, exec_lo
	v_cndmask_b32_e64 v44, -v41, |v40|, s4
	s_delay_alu instid0(VALU_DEP_1)
	v_cmpx_nlt_f32_e32 0x7effffff, v44
	s_xor_b32 s22, exec_lo, s5
	s_cbranch_execz .LBB56_586
; %bb.581:                              ;   in Loop: Header=BB56_401 Depth=1
	v_xor_b32_e32 v35, 0x80000000, v41
	v_cmp_nlt_f32_e32 vcc_lo, 0x5e000000, v44
                                        ; implicit-def: $vgpr45
	s_delay_alu instid0(VALU_DEP_2) | instskip(NEXT) | instid1(VALU_DEP_1)
	v_cndmask_b32_e64 v46, |v40|, v35, s4
                                        ; implicit-def: $vgpr35
	v_cmp_ngt_f32_e64 s5, 0x20000000, v46
	s_and_b32 s5, vcc_lo, s5
	s_delay_alu instid0(SALU_CYCLE_1) | instskip(NEXT) | instid1(SALU_CYCLE_1)
	s_and_saveexec_b32 s23, s5
	s_xor_b32 s23, exec_lo, s23
	s_cbranch_execz .LBB56_583
; %bb.582:                              ;   in Loop: Header=BB56_401 Depth=1
	v_dual_max_num_f32 v35, -v41, -v41 :: v_dual_mul_f32 v46, v46, v46
	s_wait_dscnt 0x0
	s_delay_alu instid0(VALU_DEP_1) | instskip(NEXT) | instid1(VALU_DEP_1)
	v_dual_max_num_f32 v45, v35, v33 :: v_dual_min_num_f32 v33, v35, v33
	v_frexp_mant_f32_e32 v47, v45
	v_frexp_exp_i32_f32_e32 v35, v45
	s_delay_alu instid0(VALU_DEP_2)
	v_rcp_f32_e32 v45, v47
	v_nop
	v_frexp_exp_i32_f32_e32 v47, v33
	v_frexp_mant_f32_e32 v33, v33
	s_delay_alu instid0(TRANS32_DEP_1) | instid1(VALU_DEP_1)
	v_dual_sub_nc_u32 v35, v47, v35 :: v_dual_mul_f32 v33, v33, v45
	s_delay_alu instid0(VALU_DEP_1) | instskip(NEXT) | instid1(VALU_DEP_1)
	v_ldexp_f32 v35, v33, v35
	v_dual_fmac_f32 v46, v44, v44 :: v_dual_mul_f32 v44, v35, v35
	s_delay_alu instid0(VALU_DEP_1) | instskip(NEXT) | instid1(VALU_DEP_2)
	v_cmp_gt_f32_e32 vcc_lo, 0x800000, v46
	v_fmaak_f32 v45, s17, v44, 0xbc7a590c
	v_cndmask_b32_e64 v33, 0, 32, vcc_lo
	s_delay_alu instid0(VALU_DEP_2) | instskip(NEXT) | instid1(VALU_DEP_2)
	v_fmaak_f32 v45, v44, v45, 0x3d29fb3f
	v_ldexp_f32 v33, v46, v33
	s_delay_alu instid0(VALU_DEP_2) | instskip(NEXT) | instid1(VALU_DEP_2)
	v_fmaak_f32 v45, v44, v45, 0xbd97d4d7
	v_log_f32_e32 v33, v33
	s_delay_alu instid0(VALU_DEP_1) | instskip(NEXT) | instid1(TRANS32_DEP_1)
	v_fmaak_f32 v45, v44, v45, 0x3dd931b2
	v_mul_f32_e32 v46, 0x3f317217, v33
	v_cmp_gt_f32_e64 s5, 0x7f800000, |v33|
	s_delay_alu instid0(VALU_DEP_3) | instskip(NEXT) | instid1(VALU_DEP_3)
	v_fmaak_f32 v45, v44, v45, 0xbe1160e6
	v_fma_f32 v46, 0x3f317217, v33, -v46
	s_delay_alu instid0(VALU_DEP_2) | instskip(NEXT) | instid1(VALU_DEP_1)
	v_fmaak_f32 v45, v44, v45, 0x3e4cb8bf
	v_fmaak_f32 v45, v44, v45, 0xbeaaaa62
	s_delay_alu instid0(VALU_DEP_1) | instskip(NEXT) | instid1(VALU_DEP_1)
	v_mul_f32_e32 v44, v44, v45
	v_dual_fmac_f32 v46, 0x3377d1cf, v33 :: v_dual_fmac_f32 v35, v35, v44
	s_delay_alu instid0(VALU_DEP_1) | instskip(NEXT) | instid1(VALU_DEP_1)
	v_fmac_f32_e32 v46, 0x3f317217, v33
	v_cndmask_b32_e64 v33, v33, v46, s5
	v_cndmask_b32_e64 v46, 0, 0x41b17218, vcc_lo
	s_delay_alu instid0(VALU_DEP_1) | instskip(NEXT) | instid1(VALU_DEP_1)
	v_sub_f32_e32 v33, v33, v46
	v_mul_f32_e32 v45, 0.5, v33
                                        ; implicit-def: $vgpr33
.LBB56_583:                             ;   in Loop: Header=BB56_401 Depth=1
	s_and_not1_saveexec_b32 s5, s23
	s_cbranch_execz .LBB56_585
; %bb.584:                              ;   in Loop: Header=BB56_401 Depth=1
	v_max_num_f32_e64 v35, -v41, -v41
	s_wait_dscnt 0x0
	s_delay_alu instid0(VALU_DEP_1) | instskip(NEXT) | instid1(VALU_DEP_1)
	v_max_num_f32_e32 v46, v35, v33
	v_cvt_f64_f32_e32 v[44:45], v46
	s_delay_alu instid0(VALU_DEP_1) | instskip(NEXT) | instid1(VALU_DEP_1)
	v_frexp_exp_i32_f64_e32 v44, v[44:45]
	v_dual_sub_nc_u32 v45, 0, v44 :: v_dual_min_num_f32 v33, v35, v33
	v_frexp_mant_f32_e32 v35, v46
	v_cmp_neq_f32_e32 vcc_lo, 0x7f800000, v46
	s_delay_alu instid0(VALU_DEP_3)
	v_ldexp_f32 v47, |v40|, v45
	v_ldexp_f32 v45, -v41, v45
	v_frexp_exp_i32_f32_e32 v50, v33
	v_rcp_f32_e32 v35, v35
	v_frexp_mant_f32_e32 v33, v33
	v_mul_f32_e32 v47, v47, v47
	s_delay_alu instid0(TRANS32_DEP_1) | instid1(VALU_DEP_2)
	v_mul_f32_e32 v33, v33, v35
	s_delay_alu instid0(VALU_DEP_2) | instskip(SKIP_1) | instid1(VALU_DEP_2)
	v_fmac_f32_e32 v47, v45, v45
	v_frexp_exp_i32_f32_e32 v45, v46
	v_sqrt_f32_e32 v47, v47
	s_delay_alu instid0(VALU_DEP_1) | instskip(NEXT) | instid1(VALU_DEP_1)
	v_sub_nc_u32_e32 v45, v50, v45
	v_ldexp_f32 v35, v33, v45
	s_delay_alu instid0(TRANS32_DEP_1) | instskip(NEXT) | instid1(VALU_DEP_1)
	v_ldexp_f32 v44, v47, v44
	v_dual_cndmask_b32 v33, 0x7f800000, v44 :: v_dual_mul_f32 v44, v35, v35
	s_delay_alu instid0(VALU_DEP_1) | instskip(NEXT) | instid1(VALU_DEP_2)
	v_cmp_gt_f32_e32 vcc_lo, 0x800000, v33
	v_fmaak_f32 v46, s17, v44, 0xbc7a590c
	v_cndmask_b32_e64 v45, 0, 32, vcc_lo
	v_cndmask_b32_e64 v47, 0, 0x41b17218, vcc_lo
	s_delay_alu instid0(VALU_DEP_2) | instskip(NEXT) | instid1(VALU_DEP_4)
	v_ldexp_f32 v33, v33, v45
	v_fmaak_f32 v45, v44, v46, 0x3d29fb3f
	s_delay_alu instid0(VALU_DEP_2) | instskip(NEXT) | instid1(VALU_DEP_1)
	v_log_f32_e32 v33, v33
	v_fmaak_f32 v45, v44, v45, 0xbd97d4d7
	s_delay_alu instid0(VALU_DEP_1) | instskip(NEXT) | instid1(TRANS32_DEP_1)
	v_fmaak_f32 v45, v44, v45, 0x3dd931b2
	v_mul_f32_e32 v46, 0x3f317217, v33
	v_cmp_gt_f32_e64 vcc_lo, 0x7f800000, |v33|
	s_delay_alu instid0(VALU_DEP_3) | instskip(NEXT) | instid1(VALU_DEP_3)
	v_fmaak_f32 v45, v44, v45, 0xbe1160e6
	v_fma_f32 v46, 0x3f317217, v33, -v46
	s_delay_alu instid0(VALU_DEP_2) | instskip(NEXT) | instid1(VALU_DEP_1)
	v_fmaak_f32 v45, v44, v45, 0x3e4cb8bf
	v_fmaak_f32 v45, v44, v45, 0xbeaaaa62
	s_delay_alu instid0(VALU_DEP_1) | instskip(NEXT) | instid1(VALU_DEP_1)
	v_mul_f32_e32 v44, v44, v45
	v_dual_fmac_f32 v46, 0x3377d1cf, v33 :: v_dual_fmac_f32 v35, v35, v44
	s_delay_alu instid0(VALU_DEP_1) | instskip(NEXT) | instid1(VALU_DEP_1)
	v_fmac_f32_e32 v46, 0x3f317217, v33
	v_cndmask_b32_e32 v33, v33, v46, vcc_lo
	s_delay_alu instid0(VALU_DEP_1)
	v_sub_f32_e32 v45, v33, v47
.LBB56_585:                             ;   in Loop: Header=BB56_401 Depth=1
	s_or_b32 exec_lo, exec_lo, s5
                                        ; implicit-def: $vgpr33
.LBB56_586:                             ;   in Loop: Header=BB56_401 Depth=1
	s_and_not1_saveexec_b32 s22, s22
	s_cbranch_execz .LBB56_588
; %bb.587:                              ;   in Loop: Header=BB56_401 Depth=1
	v_div_scale_f32 v35, null, 0xc02df854, 0xc02df854, v41
	v_div_scale_f32 v44, null, 0xc02df854, 0xc02df854, v40
	v_div_scale_f32 v51, vcc_lo, v41, 0xc02df854, v41
	s_delay_alu instid0(VALU_DEP_3) | instskip(NEXT) | instid1(VALU_DEP_2)
	v_rcp_f32_e32 v45, v35
	v_rcp_f32_e32 v46, v44
	s_delay_alu instid0(TRANS32_DEP_2) | instskip(NEXT) | instid1(TRANS32_DEP_1)
	v_fma_f32 v47, -v35, v45, 1.0
	v_fma_f32 v50, -v44, v46, 1.0
	s_delay_alu instid0(VALU_DEP_1) | instskip(SKIP_1) | instid1(VALU_DEP_1)
	v_dual_fmac_f32 v45, v47, v45 :: v_dual_fmac_f32 v46, v50, v46
	v_div_scale_f32 v47, s5, v40, 0xc02df854, v40
	v_mul_f32_e32 v52, v47, v46
	s_delay_alu instid0(VALU_DEP_1) | instskip(NEXT) | instid1(VALU_DEP_1)
	v_dual_mul_f32 v50, v51, v45 :: v_dual_fma_f32 v54, -v44, v52, v47
	v_fma_f32 v53, -v35, v50, v51
	s_delay_alu instid0(VALU_DEP_1) | instskip(NEXT) | instid1(VALU_DEP_1)
	v_dual_fmac_f32 v50, v53, v45 :: v_dual_fmac_f32 v52, v54, v46
	v_fma_f32 v35, -v35, v50, v51
	s_delay_alu instid0(VALU_DEP_2) | instskip(NEXT) | instid1(VALU_DEP_2)
	v_fma_f32 v44, -v44, v52, v47
	v_div_fmas_f32 v35, v35, v45, v50
	s_mov_b32 vcc_lo, s5
	v_max_num_f32_e64 v50, -v41, -v41
	s_delay_alu instid0(VALU_DEP_3) | instskip(NEXT) | instid1(VALU_DEP_3)
	v_div_fmas_f32 v44, v44, v46, v52
	v_div_fixup_f32 v35, v35, 0xc02df854, v41
	s_delay_alu instid0(VALU_DEP_2) | instskip(NEXT) | instid1(VALU_DEP_1)
	v_div_fixup_f32 v46, v44, 0xc02df854, v40
	v_max_num_f32_e64 v47, |v35|, |v46|
	s_delay_alu instid0(VALU_DEP_1) | instskip(SKIP_1) | instid1(VALU_DEP_2)
	v_cvt_f64_f32_e32 v[44:45], v47
	v_cmp_neq_f32_e32 vcc_lo, 0x7f800000, v47
	v_frexp_exp_i32_f64_e32 v44, v[44:45]
	s_delay_alu instid0(VALU_DEP_1) | instskip(NEXT) | instid1(VALU_DEP_1)
	v_sub_nc_u32_e32 v45, 0, v44
	v_ldexp_f32 v46, |v46|, v45
	v_ldexp_f32 v35, |v35|, v45
	s_delay_alu instid0(VALU_DEP_2) | instskip(SKIP_1) | instid1(VALU_DEP_1)
	v_mul_f32_e32 v45, v46, v46
	s_wait_dscnt 0x0
	v_dual_max_num_f32 v46, v50, v33 :: v_dual_fmac_f32 v45, v35, v35
	s_delay_alu instid0(VALU_DEP_1) | instskip(SKIP_2) | instid1(VALU_DEP_4)
	v_frexp_mant_f32_e32 v35, v46
	v_frexp_exp_i32_f32_e32 v46, v46
	v_min_num_f32_e32 v33, v50, v33
	v_sqrt_f32_e32 v45, v45
	s_delay_alu instid0(VALU_DEP_3) | instskip(NEXT) | instid1(VALU_DEP_1)
	v_rcp_f32_e32 v35, v35
	v_frexp_exp_i32_f32_e32 v50, v33
	s_delay_alu instid0(TRANS32_DEP_2) | instskip(NEXT) | instid1(VALU_DEP_2)
	v_ldexp_f32 v44, v45, v44
	v_sub_nc_u32_e32 v45, v50, v46
	v_frexp_mant_f32_e32 v33, v33
	s_delay_alu instid0(TRANS32_DEP_1) | instid1(VALU_DEP_1)
	v_mul_f32_e32 v33, v33, v35
	s_delay_alu instid0(VALU_DEP_1) | instskip(NEXT) | instid1(VALU_DEP_1)
	v_ldexp_f32 v35, v33, v45
	v_dual_cndmask_b32 v44, 0x7f800000, v44 :: v_dual_mul_f32 v45, v35, v35
	s_delay_alu instid0(VALU_DEP_1) | instskip(SKIP_2) | instid1(VALU_DEP_2)
	v_cmp_gt_f32_e32 vcc_lo, 0x800000, v44
	v_cndmask_b32_e64 v33, 0, 32, vcc_lo
	v_cndmask_b32_e64 v47, 0, 0x41b17218, vcc_lo
	v_ldexp_f32 v33, v44, v33
	s_delay_alu instid0(VALU_DEP_1) | instskip(SKIP_1) | instid1(TRANS32_DEP_1)
	v_log_f32_e32 v33, v33
	v_nop
	v_mul_f32_e32 v46, 0x3f317217, v33
	v_cmp_gt_f32_e64 vcc_lo, 0x7f800000, |v33|
	s_delay_alu instid0(VALU_DEP_2) | instskip(NEXT) | instid1(VALU_DEP_1)
	v_fma_f32 v46, 0x3f317217, v33, -v46
	v_fmac_f32_e32 v46, 0x3377d1cf, v33
	s_delay_alu instid0(VALU_DEP_1) | instskip(NEXT) | instid1(VALU_DEP_1)
	v_fmac_f32_e32 v46, 0x3f317217, v33
	v_cndmask_b32_e32 v33, v33, v46, vcc_lo
	s_delay_alu instid0(VALU_DEP_1) | instskip(NEXT) | instid1(VALU_DEP_1)
	v_dual_fmaak_f32 v44, s17, v45, 0xbc7a590c :: v_dual_sub_f32 v33, v33, v47
	v_fmaak_f32 v44, v45, v44, 0x3d29fb3f
	s_delay_alu instid0(VALU_DEP_1) | instskip(NEXT) | instid1(VALU_DEP_1)
	v_fmaak_f32 v44, v45, v44, 0xbd97d4d7
	v_fmaak_f32 v44, v45, v44, 0x3dd931b2
	s_delay_alu instid0(VALU_DEP_1) | instskip(NEXT) | instid1(VALU_DEP_1)
	v_fmaak_f32 v44, v45, v44, 0xbe1160e6
	;; [unrolled: 3-line block ×3, first 2 shown]
	v_dual_mul_f32 v44, v45, v44 :: v_dual_add_f32 v45, 1.0, v33
	s_delay_alu instid0(VALU_DEP_1)
	v_fmac_f32_e32 v35, v35, v44
.LBB56_588:                             ;   in Loop: Header=BB56_401 Depth=1
	s_or_b32 exec_lo, exec_lo, s22
	s_wait_dscnt 0x0
	s_delay_alu instid0(VALU_DEP_1) | instskip(SKIP_1) | instid1(VALU_DEP_2)
	v_sub_f32_e32 v33, 0x3fc90fdb, v35
	v_cmp_eq_f32_e32 vcc_lo, 0xff800000, v41
	v_cndmask_b32_e64 v33, v35, v33, s4
	v_cmp_neq_f32_e64 s4, 0, v40
	s_and_b32 s5, vcc_lo, exec_lo
	v_cndmask_b32_e64 v46, 0, v33, s4
	s_and_not1_b32 s4, s20, exec_lo
	s_delay_alu instid0(SALU_CYCLE_1)
	s_or_b32 s20, s4, s5
.LBB56_589:                             ;   in Loop: Header=BB56_401 Depth=1
	s_or_b32 exec_lo, exec_lo, s21
	v_cmp_class_f32_e64 s4, v40, 0x204
	v_add_f32_e32 v35, 0x3f317218, v45
	s_and_b32 s4, s4, s20
	s_delay_alu instid0(VALU_DEP_1) | instskip(SKIP_2) | instid1(VALU_DEP_1)
	v_bfi_b32 v41, 0x7fffffff, v35, v41
	s_wait_dscnt 0x0
	v_cndmask_b32_e64 v33, v46, 0x3f490fdb, s4
	v_bfi_b32 v40, 0x7fffffff, v33, v40
.LBB56_590:                             ;   in Loop: Header=BB56_401 Depth=1
	s_or_b32 exec_lo, exec_lo, s19
.LBB56_591:                             ;   in Loop: Header=BB56_401 Depth=1
	s_and_not1_saveexec_b32 s4, s18
	s_cbranch_execz .LBB56_605
; %bb.592:                              ;   in Loop: Header=BB56_401 Depth=1
	v_cmp_neq_f32_e64 s5, 0x7f800000, |v41|
                                        ; implicit-def: $vgpr33
	s_and_saveexec_b32 s18, s5
	s_delay_alu instid0(SALU_CYCLE_1)
	s_xor_b32 s5, exec_lo, s18
	s_cbranch_execz .LBB56_602
; %bb.593:                              ;   in Loop: Header=BB56_401 Depth=1
	v_cmp_neq_f32_e64 s18, 0x7f800000, |v40|
                                        ; implicit-def: $vgpr33
	s_and_saveexec_b32 s19, s18
	s_delay_alu instid0(SALU_CYCLE_1)
	s_xor_b32 s18, exec_lo, s19
	s_cbranch_execz .LBB56_599
; %bb.594:                              ;   in Loop: Header=BB56_401 Depth=1
	s_mov_b32 s19, exec_lo
	v_cmpx_neq_f32_e32 0, v40
	s_xor_b32 s19, exec_lo, s19
	s_cbranch_execz .LBB56_596
; %bb.595:                              ;   in Loop: Header=BB56_401 Depth=1
	s_wait_dscnt 0x0
	v_add_f32_e32 v33, 0, v41
	s_delay_alu instid0(VALU_DEP_1)
	v_add_f32_e32 v41, v40, v33
.LBB56_596:                             ;   in Loop: Header=BB56_401 Depth=1
	s_or_saveexec_b32 s19, s19
	s_wait_dscnt 0x0
	s_delay_alu instid0(VALU_DEP_1)
	v_mov_b32_e32 v33, v41
	s_xor_b32 exec_lo, exec_lo, s19
; %bb.597:                              ;   in Loop: Header=BB56_401 Depth=1
	v_dual_add_f32 v41, v41, v41 :: v_dual_mov_b32 v33, v40
; %bb.598:                              ;   in Loop: Header=BB56_401 Depth=1
	s_or_b32 exec_lo, exec_lo, s19
.LBB56_599:                             ;   in Loop: Header=BB56_401 Depth=1
	s_and_not1_saveexec_b32 s18, s18
	s_cbranch_execz .LBB56_601
; %bb.600:                              ;   in Loop: Header=BB56_401 Depth=1
	s_wait_dscnt 0x0
	v_dual_add_f32 v33, v41, v41 :: v_dual_mov_b32 v41, v40
.LBB56_601:                             ;   in Loop: Header=BB56_401 Depth=1
	s_or_b32 exec_lo, exec_lo, s18
.LBB56_602:                             ;   in Loop: Header=BB56_401 Depth=1
	s_and_not1_saveexec_b32 s5, s5
	s_cbranch_execz .LBB56_604
; %bb.603:                              ;   in Loop: Header=BB56_401 Depth=1
	s_wait_dscnt 0x0
	v_add_f32_e32 v33, v40, v40
.LBB56_604:                             ;   in Loop: Header=BB56_401 Depth=1
	s_or_b32 exec_lo, exec_lo, s5
	s_wait_dscnt 0x0
	s_delay_alu instid0(VALU_DEP_1)
	v_mov_b32_e32 v40, v33
.LBB56_605:                             ;   in Loop: Header=BB56_401 Depth=1
	s_or_b32 exec_lo, exec_lo, s4
	s_delay_alu instid0(SALU_CYCLE_1)
	s_mov_b32 s4, exec_lo
	v_cmpx_o_f32_e32 v37, v36
	s_xor_b32 s18, exec_lo, s4
	s_cbranch_execz .LBB56_689
; %bb.606:                              ;   in Loop: Header=BB56_401 Depth=1
	s_wait_dscnt 0x0
	v_max_num_f32_e64 v33, |v36|, |v36|
	v_max_num_f32_e64 v35, |v37|, |v37|
	s_mov_b32 s4, exec_lo
	s_delay_alu instid0(VALU_DEP_1) | instskip(NEXT) | instid1(VALU_DEP_1)
	v_max_num_f32_e32 v44, v35, v33
	v_cmpx_nlt_f32_e32 0x4b000000, v44
	s_xor_b32 s19, exec_lo, s4
	s_cbranch_execz .LBB56_666
; %bb.607:                              ;   in Loop: Header=BB56_401 Depth=1
	v_cmp_neq_f32_e32 vcc_lo, 0, v37
	v_cmp_neq_f32_e64 s4, 0, v36
	s_or_b32 s4, vcc_lo, s4
	s_delay_alu instid0(SALU_CYCLE_1)
	s_and_saveexec_b32 s20, s4
	s_cbranch_execz .LBB56_665
; %bb.608:                              ;   in Loop: Header=BB56_401 Depth=1
	flat_store_b32 v[6:7], v48 scope:SCOPE_SYS
	s_wait_storecnt 0x0
	flat_load_b32 v33, v[6:7] scope:SCOPE_SYS
	s_wait_loadcnt 0x0
	v_cmp_ngt_f32_e64 s4, 0x395db3d7, |v37|
	v_cmp_ngt_f32_e64 s5, 0x395db3d7, |v36|
	s_or_b32 s4, s4, s5
	s_wait_dscnt 0x0
	v_add_f32_e32 v33, 1.0, v33
	flat_store_b32 v[12:13], v33 scope:SCOPE_SYS
	s_wait_storecnt 0x0
	flat_load_b32 v33, v[12:13] scope:SCOPE_SYS
	s_wait_loadcnt 0x0
	s_wait_xcnt 0x0
	s_and_saveexec_b32 s21, s4
	s_cbranch_execz .LBB56_664
; %bb.609:                              ;   in Loop: Header=BB56_401 Depth=1
	v_add_f32_e64 v51, |v36|, 1.0
	v_add_f32_e64 v50, |v36|, -1.0
	s_mov_b32 s4, exec_lo
	s_wait_dscnt 0x0
	s_delay_alu instid0(VALU_DEP_2) | instskip(NEXT) | instid1(VALU_DEP_2)
	v_max_num_f32_e32 v33, v35, v51
	v_max_num_f32_e64 v35, v35, |v50|
	s_delay_alu instid0(VALU_DEP_2) | instskip(NEXT) | instid1(VALU_DEP_2)
	v_cvt_f64_f32_e32 v[44:45], v33
	v_cvt_f64_f32_e32 v[46:47], v35
	s_delay_alu instid0(VALU_DEP_2) | instskip(NEXT) | instid1(VALU_DEP_2)
	v_frexp_exp_i32_f64_e32 v44, v[44:45]
	v_frexp_exp_i32_f64_e32 v45, v[46:47]
	s_delay_alu instid0(VALU_DEP_2) | instskip(SKIP_1) | instid1(VALU_DEP_2)
	v_sub_nc_u32_e32 v46, 0, v44
	v_cmp_neq_f32_e32 vcc_lo, 0x7f800000, v33
	v_ldexp_f32 v52, v51, v46
	s_delay_alu instid0(VALU_DEP_4) | instskip(SKIP_1) | instid1(VALU_DEP_3)
	v_sub_nc_u32_e32 v47, 0, v45
	v_ldexp_f32 v46, |v37|, v46
	v_mul_f32_e32 v52, v52, v52
	s_delay_alu instid0(VALU_DEP_3) | instskip(SKIP_1) | instid1(VALU_DEP_2)
	v_ldexp_f32 v53, |v50|, v47
	v_ldexp_f32 v47, |v37|, v47
	v_dual_fmac_f32 v52, v46, v46 :: v_dual_mul_f32 v53, v53, v53
	s_delay_alu instid0(VALU_DEP_1) | instskip(NEXT) | instid1(VALU_DEP_1)
	v_sqrt_f32_e32 v46, v52
	v_fmac_f32_e32 v53, v47, v47
	s_delay_alu instid0(VALU_DEP_1) | instskip(NEXT) | instid1(TRANS32_DEP_2)
	v_sqrt_f32_e32 v47, v53
	v_ldexp_f32 v44, v46, v44
	s_delay_alu instid0(VALU_DEP_1) | instskip(NEXT) | instid1(TRANS32_DEP_1)
	v_cndmask_b32_e32 v53, 0x7f800000, v44, vcc_lo
	v_ldexp_f32 v45, v47, v45
	v_cmp_neq_f32_e32 vcc_lo, 0x7f800000, v35
	s_delay_alu instid0(VALU_DEP_2) | instskip(NEXT) | instid1(VALU_DEP_1)
	v_cndmask_b32_e32 v46, 0x7f800000, v45, vcc_lo
	v_add_f32_e32 v33, v53, v46
	s_delay_alu instid0(VALU_DEP_1) | instskip(NEXT) | instid1(VALU_DEP_1)
	v_mul_f32_e32 v33, 0.5, v33
	v_cmp_ngt_f32_e32 vcc_lo, 1.0, v33
	v_cndmask_b32_e32 v44, 1.0, v33, vcc_lo
                                        ; implicit-def: $vgpr33
	s_delay_alu instid0(VALU_DEP_1)
	v_cmpx_ngt_f32_e32 0x41200000, v44
	s_xor_b32 s5, exec_lo, s4
	s_cbranch_execz .LBB56_611
; %bb.610:                              ;   in Loop: Header=BB56_401 Depth=1
	v_fma_f32 v33, v44, v44, -1.0
	s_delay_alu instid0(VALU_DEP_1) | instskip(SKIP_1) | instid1(VALU_DEP_2)
	v_mul_f32_e32 v35, 0x4f800000, v33
	v_cmp_gt_f32_e32 vcc_lo, 0xf800000, v33
	v_cndmask_b32_e32 v33, v33, v35, vcc_lo
	s_delay_alu instid0(VALU_DEP_1) | instskip(SKIP_1) | instid1(TRANS32_DEP_1)
	v_sqrt_f32_e32 v35, v33
	v_nop
	v_dual_add_nc_u32 v45, -1, v35 :: v_dual_add_nc_u32 v47, 1, v35
	s_delay_alu instid0(VALU_DEP_1) | instskip(NEXT) | instid1(VALU_DEP_1)
	v_dual_fma_f32 v52, -v45, v35, v33 :: v_dual_fma_f32 v54, -v47, v35, v33
	v_cmp_ge_f32_e64 s4, 0, v52
	s_delay_alu instid0(VALU_DEP_1) | instskip(NEXT) | instid1(VALU_DEP_3)
	v_cndmask_b32_e64 v35, v35, v45, s4
	v_cmp_lt_f32_e64 s4, 0, v54
	s_delay_alu instid0(VALU_DEP_1) | instskip(NEXT) | instid1(VALU_DEP_1)
	v_cndmask_b32_e64 v35, v35, v47, s4
	v_mul_f32_e32 v45, 0x37800000, v35
	s_delay_alu instid0(VALU_DEP_1) | instskip(SKIP_1) | instid1(VALU_DEP_2)
	v_cndmask_b32_e32 v35, v35, v45, vcc_lo
	v_cmp_class_f32_e64 vcc_lo, v33, 0x260
	v_cndmask_b32_e32 v33, v35, v33, vcc_lo
	s_delay_alu instid0(VALU_DEP_1) | instskip(NEXT) | instid1(VALU_DEP_1)
	v_add_f32_e32 v33, v44, v33
	v_cmp_gt_f32_e32 vcc_lo, 0x800000, v33
	s_delay_alu instid0(VALU_DEP_4) | instskip(NEXT) | instid1(VALU_DEP_1)
	v_cndmask_b32_e64 v35, 0, 32, vcc_lo
	v_ldexp_f32 v33, v33, v35
	s_delay_alu instid0(VALU_DEP_1) | instskip(SKIP_1) | instid1(TRANS32_DEP_1)
	v_log_f32_e32 v33, v33
	v_nop
	v_mul_f32_e32 v35, 0x3f317217, v33
	v_cmp_gt_f32_e64 s4, 0x7f800000, |v33|
	s_delay_alu instid0(VALU_DEP_2) | instskip(NEXT) | instid1(VALU_DEP_1)
	v_fma_f32 v35, 0x3f317217, v33, -v35
	v_fmac_f32_e32 v35, 0x3377d1cf, v33
	s_delay_alu instid0(VALU_DEP_1) | instskip(NEXT) | instid1(VALU_DEP_1)
	v_fmac_f32_e32 v35, 0x3f317217, v33
	v_cndmask_b32_e64 v33, v33, v35, s4
	v_cndmask_b32_e64 v35, 0, 0x41b17218, vcc_lo
	s_delay_alu instid0(VALU_DEP_1)
	v_sub_f32_e32 v33, v33, v35
.LBB56_611:                             ;   in Loop: Header=BB56_401 Depth=1
	s_or_saveexec_b32 s5, s5
	v_and_b32_e32 v52, 0x7fffffff, v37
	s_xor_b32 exec_lo, exec_lo, s5
	s_cbranch_execz .LBB56_633
; %bb.612:                              ;   in Loop: Header=BB56_401 Depth=1
	v_cmp_neq_f32_e64 s4, |v36|, 1.0
	v_cmp_ngt_f32_e64 s22, 0x25000000, |v37|
                                        ; implicit-def: $vgpr33
	s_or_b32 s4, s22, s4
	s_delay_alu instid0(SALU_CYCLE_1) | instskip(NEXT) | instid1(SALU_CYCLE_1)
	s_and_saveexec_b32 s22, s4
	s_xor_b32 s22, exec_lo, s22
	s_cbranch_execz .LBB56_630
; %bb.613:                              ;   in Loop: Header=BB56_401 Depth=1
	v_mul_f32_e64 v33, 0x34000000, |v50|
	s_delay_alu instid0(VALU_DEP_1) | instskip(SKIP_1) | instid1(SALU_CYCLE_1)
	v_cmp_ge_f32_e64 s4, |v37|, v33
                                        ; implicit-def: $vgpr33
	s_and_saveexec_b32 s23, s4
	s_xor_b32 s23, exec_lo, s23
	s_cbranch_execz .LBB56_623
; %bb.614:                              ;   in Loop: Header=BB56_401 Depth=1
	v_mov_b32_e32 v33, v52
	s_mov_b32 s4, exec_lo
	v_cmpx_neq_f32_e32 0, v51
	s_cbranch_execz .LBB56_616
; %bb.615:                              ;   in Loop: Header=BB56_401 Depth=1
	v_mul_f32_e32 v33, v37, v37
	v_add_f32_e32 v35, v51, v53
	s_delay_alu instid0(VALU_DEP_1) | instskip(NEXT) | instid1(VALU_DEP_1)
	v_div_scale_f32 v45, null, v35, v35, v33
	v_rcp_f32_e32 v47, v45
	v_nop
	s_delay_alu instid0(TRANS32_DEP_1) | instskip(NEXT) | instid1(VALU_DEP_1)
	v_fma_f32 v54, -v45, v47, 1.0
	v_fmac_f32_e32 v47, v54, v47
	v_div_scale_f32 v54, vcc_lo, v33, v35, v33
	s_delay_alu instid0(VALU_DEP_1) | instskip(NEXT) | instid1(VALU_DEP_1)
	v_mul_f32_e32 v55, v54, v47
	v_fma_f32 v56, -v45, v55, v54
	s_delay_alu instid0(VALU_DEP_1) | instskip(NEXT) | instid1(VALU_DEP_1)
	v_fmac_f32_e32 v55, v56, v47
	v_fma_f32 v45, -v45, v55, v54
	s_delay_alu instid0(VALU_DEP_1) | instskip(NEXT) | instid1(VALU_DEP_1)
	v_div_fmas_f32 v45, v45, v47, v55
	v_div_fixup_f32 v33, v45, v35, v33
.LBB56_616:                             ;   in Loop: Header=BB56_401 Depth=1
	s_or_b32 exec_lo, exec_lo, s4
	v_sub_f32_e64 v45, 1.0, |v36|
	s_mov_b32 s4, exec_lo
                                        ; implicit-def: $vgpr35
	s_delay_alu instid0(VALU_DEP_1)
	v_cmpx_ngt_f32_e32 0, v45
	s_xor_b32 s4, exec_lo, s4
	s_cbranch_execz .LBB56_620
; %bb.617:                              ;   in Loop: Header=BB56_401 Depth=1
	v_mov_b32_e32 v35, v52
	s_mov_b32 s24, exec_lo
	v_cmpx_neq_f32_e32 0, v45
	s_cbranch_execz .LBB56_619
; %bb.618:                              ;   in Loop: Header=BB56_401 Depth=1
	v_mul_f32_e32 v35, v37, v37
	v_add_f32_e32 v45, v45, v46
	s_delay_alu instid0(VALU_DEP_1) | instskip(NEXT) | instid1(VALU_DEP_1)
	v_div_scale_f32 v47, null, v45, v45, v35
	v_rcp_f32_e32 v54, v47
	v_nop
	s_delay_alu instid0(TRANS32_DEP_1) | instskip(NEXT) | instid1(VALU_DEP_1)
	v_fma_f32 v55, -v47, v54, 1.0
	v_fmac_f32_e32 v54, v55, v54
	v_div_scale_f32 v55, vcc_lo, v35, v45, v35
	s_delay_alu instid0(VALU_DEP_1) | instskip(NEXT) | instid1(VALU_DEP_1)
	v_mul_f32_e32 v56, v55, v54
	v_fma_f32 v57, -v47, v56, v55
	s_delay_alu instid0(VALU_DEP_1) | instskip(NEXT) | instid1(VALU_DEP_1)
	v_fmac_f32_e32 v56, v57, v54
	v_fma_f32 v47, -v47, v56, v55
	s_delay_alu instid0(VALU_DEP_1) | instskip(NEXT) | instid1(VALU_DEP_1)
	v_div_fmas_f32 v47, v47, v54, v56
	v_div_fixup_f32 v35, v47, v45, v35
.LBB56_619:                             ;   in Loop: Header=BB56_401 Depth=1
	s_or_b32 exec_lo, exec_lo, s24
                                        ; implicit-def: $vgpr45
.LBB56_620:                             ;   in Loop: Header=BB56_401 Depth=1
	s_and_not1_saveexec_b32 s4, s4
; %bb.621:                              ;   in Loop: Header=BB56_401 Depth=1
	v_sub_f32_e32 v35, v46, v45
; %bb.622:                              ;   in Loop: Header=BB56_401 Depth=1
	s_or_b32 exec_lo, exec_lo, s4
	s_delay_alu instid0(VALU_DEP_1) | instskip(NEXT) | instid1(VALU_DEP_1)
	v_dual_mul_f32 v45, 0.5, v33 :: v_dual_mul_f32 v33, 0.5, v35
	v_pk_add_f32 v[54:55], v[44:45], v[32:33]
	s_delay_alu instid0(VALU_DEP_1) | instskip(NEXT) | instid1(VALU_DEP_1)
	v_mul_f32_e32 v33, v54, v55
	v_mul_f32_e32 v35, 0x4f800000, v33
	v_cmp_gt_f32_e32 vcc_lo, 0xf800000, v33
	s_delay_alu instid0(VALU_DEP_2) | instskip(NEXT) | instid1(VALU_DEP_1)
	v_cndmask_b32_e32 v33, v33, v35, vcc_lo
	v_sqrt_f32_e32 v35, v33
	v_nop
	s_delay_alu instid0(TRANS32_DEP_1) | instskip(NEXT) | instid1(VALU_DEP_1)
	v_dual_add_nc_u32 v45, -1, v35 :: v_dual_add_nc_u32 v47, 1, v35
	v_dual_fma_f32 v54, -v45, v35, v33 :: v_dual_fma_f32 v56, -v47, v35, v33
	s_delay_alu instid0(VALU_DEP_1) | instskip(NEXT) | instid1(VALU_DEP_1)
	v_cmp_ge_f32_e64 s4, 0, v54
	v_cndmask_b32_e64 v35, v35, v45, s4
	s_delay_alu instid0(VALU_DEP_3) | instskip(NEXT) | instid1(VALU_DEP_1)
	v_cmp_lt_f32_e64 s4, 0, v56
	v_cndmask_b32_e64 v35, v35, v47, s4
	s_delay_alu instid0(VALU_DEP_1) | instskip(NEXT) | instid1(VALU_DEP_1)
	v_mul_f32_e32 v45, 0x37800000, v35
	v_cndmask_b32_e32 v35, v35, v45, vcc_lo
	v_cmp_class_f32_e64 vcc_lo, v33, 0x260
	s_delay_alu instid0(VALU_DEP_2) | instskip(NEXT) | instid1(VALU_DEP_1)
	v_cndmask_b32_e32 v33, v35, v33, vcc_lo
	v_add_f32_e32 v54, v55, v33
	s_delay_alu instid0(VALU_DEP_1) | instskip(NEXT) | instid1(VALU_DEP_1)
	v_add_f32_e32 v57, 1.0, v54
	v_cvt_f64_f32_e32 v[58:59], v57
	v_frexp_mant_f32_e32 v35, v57
	v_add_f32_e32 v55, -1.0, v57
	s_delay_alu instid0(VALU_DEP_2) | instskip(NEXT) | instid1(VALU_DEP_2)
	v_cmp_gt_f32_e32 vcc_lo, 0x3f2aaaab, v35
	v_mov_b32_e32 v56, v55
	v_frexp_exp_i32_f64_e32 v33, v[58:59]
	s_delay_alu instid0(VALU_DEP_2) | instskip(NEXT) | instid1(VALU_DEP_1)
	v_pk_add_f32 v[58:59], v[54:55], v[56:57] neg_lo:[0,1] neg_hi:[0,1]
	v_add_f32_e32 v47, 1.0, v59
	s_delay_alu instid0(VALU_DEP_1) | instskip(NEXT) | instid1(VALU_DEP_4)
	v_add_f32_e32 v47, v58, v47
	v_subrev_co_ci_u32_e64 v33, null, 0, v33, vcc_lo
	v_cmp_neq_f32_e32 vcc_lo, 0x7f800000, v54
	s_delay_alu instid0(VALU_DEP_2) | instskip(NEXT) | instid1(VALU_DEP_1)
	v_sub_nc_u32_e32 v35, 0, v33
	v_ldexp_f32 v45, v57, v35
	s_delay_alu instid0(VALU_DEP_1) | instskip(NEXT) | instid1(VALU_DEP_1)
	v_dual_add_f32 v55, 1.0, v45 :: v_dual_add_f32 v61, -1.0, v45
	v_add_f32_e32 v56, -1.0, v55
	v_ldexp_f32 v35, v47, v35
	s_delay_alu instid0(VALU_DEP_2) | instskip(NEXT) | instid1(VALU_DEP_1)
	v_dual_sub_f32 v47, v45, v56 :: v_dual_add_f32 v56, 1.0, v61
	v_dual_add_f32 v47, v35, v47 :: v_dual_sub_f32 v45, v45, v56
	s_delay_alu instid0(VALU_DEP_1) | instskip(NEXT) | instid1(VALU_DEP_1)
	v_add_f32_e32 v35, v35, v45
	v_add_f32_e32 v57, v61, v35
	s_delay_alu instid0(VALU_DEP_3) | instskip(NEXT) | instid1(VALU_DEP_1)
	v_add_f32_e32 v62, v55, v47
	v_rcp_f32_e32 v45, v62
	v_nop
	s_delay_alu instid0(TRANS32_DEP_1) | instskip(NEXT) | instid1(VALU_DEP_1)
	v_dual_mul_f32 v63, v57, v45 :: v_dual_sub_f32 v55, v62, v55
	v_mul_f32_e32 v58, v62, v63
	s_delay_alu instid0(VALU_DEP_2) | instskip(NEXT) | instid1(VALU_DEP_2)
	v_sub_f32_e32 v47, v47, v55
	v_dual_fma_f32 v60, v63, v62, -v58 :: v_dual_sub_f32 v55, v57, v61
	s_delay_alu instid0(VALU_DEP_1) | instskip(NEXT) | instid1(VALU_DEP_1)
	v_fmac_f32_e32 v60, v63, v47
	v_dual_sub_f32 v35, v35, v55 :: v_dual_add_f32 v56, v58, v60
	s_delay_alu instid0(VALU_DEP_1) | instskip(NEXT) | instid1(VALU_DEP_1)
	v_dual_sub_f32 v59, v57, v56 :: v_dual_mov_b32 v61, v56
	v_pk_add_f32 v[56:57], v[56:57], v[58:59] neg_lo:[0,1] neg_hi:[0,1]
	s_delay_alu instid0(VALU_DEP_1) | instskip(NEXT) | instid1(VALU_DEP_1)
	v_pk_add_f32 v[56:57], v[56:57], v[60:61] neg_lo:[0,1] neg_hi:[0,1]
	v_add_f32_e32 v35, v35, v57
	s_delay_alu instid0(VALU_DEP_1) | instskip(NEXT) | instid1(VALU_DEP_1)
	v_add_f32_e32 v35, v56, v35
	v_add_f32_e32 v57, v59, v35
	s_delay_alu instid0(VALU_DEP_1) | instskip(NEXT) | instid1(VALU_DEP_1)
	v_mul_f32_e32 v55, v45, v57
	v_mul_f32_e32 v60, v62, v55
	s_delay_alu instid0(VALU_DEP_1) | instskip(NEXT) | instid1(VALU_DEP_1)
	v_fma_f32 v58, v55, v62, -v60
	v_fmac_f32_e32 v58, v55, v47
	s_delay_alu instid0(VALU_DEP_1) | instskip(NEXT) | instid1(VALU_DEP_1)
	v_dual_add_f32 v56, v60, v58 :: v_dual_sub_f32 v47, v59, v57
	v_dual_sub_f32 v61, v57, v56 :: v_dual_mov_b32 v59, v56
	s_delay_alu instid0(VALU_DEP_2) | instskip(SKIP_1) | instid1(VALU_DEP_3)
	v_add_f32_e32 v35, v35, v47
	v_add_f32_e32 v47, v63, v55
	v_pk_add_f32 v[56:57], v[56:57], v[60:61] neg_lo:[0,1] neg_hi:[0,1]
	s_delay_alu instid0(VALU_DEP_1) | instskip(NEXT) | instid1(VALU_DEP_1)
	v_pk_add_f32 v[56:57], v[56:57], v[58:59] neg_lo:[0,1] neg_hi:[0,1]
	v_add_f32_e32 v35, v35, v57
	s_delay_alu instid0(VALU_DEP_1) | instskip(SKIP_1) | instid1(VALU_DEP_1)
	v_add_f32_e32 v35, v56, v35
	v_sub_f32_e32 v56, v47, v63
	v_dual_add_f32 v35, v61, v35 :: v_dual_sub_f32 v55, v55, v56
	v_cvt_f32_i32_e32 v56, v33
	s_delay_alu instid0(VALU_DEP_2) | instskip(NEXT) | instid1(VALU_DEP_1)
	v_mul_f32_e32 v35, v45, v35
	v_add_f32_e32 v45, v55, v35
	s_delay_alu instid0(VALU_DEP_1) | instskip(NEXT) | instid1(VALU_DEP_1)
	v_add_f32_e32 v55, v47, v45
	v_mul_f32_e32 v35, v55, v55
	v_ldexp_f32 v61, v55, 1
	v_sub_f32_e32 v33, v55, v47
	s_delay_alu instid0(VALU_DEP_1) | instskip(NEXT) | instid1(VALU_DEP_1)
	v_dual_fmaak_f32 v58, s15, v35, 0x3ecc95a3 :: v_dual_sub_f32 v33, v45, v33
	v_ldexp_f32 v33, v33, 1
	v_mul_f32_e32 v57, v55, v35
	s_delay_alu instid0(VALU_DEP_3) | instskip(NEXT) | instid1(VALU_DEP_1)
	v_fmaak_f32 v35, v35, v58, 0x3f2aaada
	v_pk_mul_f32 v[58:59], v[56:57], v[34:35]
	s_delay_alu instid0(VALU_DEP_1) | instskip(SKIP_1) | instid1(VALU_DEP_2)
	v_fma_f32 v60, 0x3f317218, v56, -v58
	v_mov_b32_e32 v62, v58
	v_fmac_f32_e32 v60, 0xb102e308, v56
	s_delay_alu instid0(VALU_DEP_1) | instskip(NEXT) | instid1(VALU_DEP_1)
	v_pk_add_f32 v[56:57], v[58:59], v[60:61]
	v_dual_sub_f32 v35, v57, v61 :: v_dual_mov_b32 v61, v56
	s_delay_alu instid0(VALU_DEP_1) | instskip(SKIP_1) | instid1(VALU_DEP_2)
	v_dual_mov_b32 v70, v57 :: v_dual_sub_f32 v35, v59, v35
	v_pk_add_f32 v[58:59], v[56:57], v[58:59] neg_lo:[0,1] neg_hi:[0,1]
	v_add_f32_e32 v63, v33, v35
	s_delay_alu instid0(VALU_DEP_1) | instskip(NEXT) | instid1(VALU_DEP_1)
	v_pk_add_f32 v[64:65], v[56:57], v[62:63]
	v_mov_b32_e32 v59, v65
	s_delay_alu instid0(VALU_DEP_1) | instskip(SKIP_2) | instid1(VALU_DEP_3)
	v_pk_add_f32 v[66:67], v[60:61], v[58:59]
	v_mov_b32_e32 v66, v65
	v_pk_add_f32 v[58:59], v[60:61], v[58:59] neg_lo:[0,1] neg_hi:[0,1]
	v_dual_mov_b32 v62, v67 :: v_dual_mov_b32 v59, v67
	s_delay_alu instid0(VALU_DEP_1) | instskip(SKIP_1) | instid1(VALU_DEP_2)
	v_pk_add_f32 v[68:69], v[62:63], v[56:57] neg_lo:[0,1] neg_hi:[0,1]
	v_dual_mov_b32 v57, v56 :: v_dual_mov_b32 v56, v63
	v_dual_mov_b32 v71, v68 :: v_dual_mov_b32 v33, v68
	s_delay_alu instid0(VALU_DEP_1) | instskip(NEXT) | instid1(VALU_DEP_2)
	v_pk_add_f32 v[68:69], v[66:67], v[70:71] neg_lo:[0,1] neg_hi:[0,1]
	v_pk_add_f32 v[60:61], v[64:65], v[32:33] neg_lo:[0,1] neg_hi:[0,1]
	v_mov_b32_e32 v60, v58
	s_delay_alu instid0(VALU_DEP_3) | instskip(NEXT) | instid1(VALU_DEP_1)
	v_pk_add_f32 v[56:57], v[56:57], v[68:69] neg_lo:[0,1] neg_hi:[0,1]
	v_pk_add_f32 v[60:61], v[60:61], v[56:57]
	s_delay_alu instid0(VALU_DEP_1) | instskip(NEXT) | instid1(VALU_DEP_1)
	v_mov_b32_e32 v64, v61
	v_pk_add_f32 v[64:65], v[60:61], v[64:65]
	s_delay_alu instid0(VALU_DEP_1) | instskip(NEXT) | instid1(VALU_DEP_1)
	v_pk_add_f32 v[62:63], v[62:63], v[64:65]
	v_dual_mov_b32 v57, v64 :: v_dual_mov_b32 v61, v62
	s_delay_alu instid0(VALU_DEP_1) | instskip(NEXT) | instid1(VALU_DEP_1)
	v_pk_add_f32 v[66:67], v[60:61], v[58:59] neg_lo:[0,1] neg_hi:[0,1]
	v_sub_f32_e32 v33, v60, v66
	s_delay_alu instid0(VALU_DEP_2) | instskip(NEXT) | instid1(VALU_DEP_2)
	v_pk_add_f32 v[56:57], v[56:57], v[66:67] neg_lo:[0,1] neg_hi:[0,1]
	v_sub_f32_e32 v33, v58, v33
	s_delay_alu instid0(VALU_DEP_1) | instskip(NEXT) | instid1(VALU_DEP_1)
	v_add_f32_e32 v33, v56, v33
	v_add_f32_e32 v33, v33, v57
	s_delay_alu instid0(VALU_DEP_1) | instskip(NEXT) | instid1(VALU_DEP_1)
	v_add_f32_e32 v33, v62, v33
	v_cndmask_b32_e32 v33, 0x7f800000, v33, vcc_lo
	v_cmp_ngt_f32_e32 vcc_lo, -1.0, v54
	s_delay_alu instid0(VALU_DEP_2) | instskip(SKIP_1) | instid1(VALU_DEP_2)
	v_cndmask_b32_e32 v33, 0x7fc00000, v33, vcc_lo
	v_cmp_neq_f32_e32 vcc_lo, -1.0, v54
	v_cndmask_b32_e32 v33, 0xff800000, v33, vcc_lo
	v_cmp_gt_f32_e64 vcc_lo, 0x33800000, |v54|
	s_delay_alu instid0(VALU_DEP_2)
	v_cndmask_b32_e32 v33, v33, v54, vcc_lo
.LBB56_623:                             ;   in Loop: Header=BB56_401 Depth=1
	s_and_not1_saveexec_b32 s23, s23
	s_cbranch_execz .LBB56_629
; %bb.624:                              ;   in Loop: Header=BB56_401 Depth=1
	s_mov_b32 s24, exec_lo
                                        ; implicit-def: $vgpr33
	v_cmpx_nlt_f32_e64 |v36|, 1.0
	s_xor_b32 s24, exec_lo, s24
	s_cbranch_execz .LBB56_626
; %bb.625:                              ;   in Loop: Header=BB56_401 Depth=1
	v_mul_f32_e32 v33, v50, v51
	s_delay_alu instid0(VALU_DEP_1) | instskip(SKIP_1) | instid1(VALU_DEP_2)
	v_mul_f32_e32 v35, 0x4f800000, v33
	v_cmp_gt_f32_e32 vcc_lo, 0xf800000, v33
	v_cndmask_b32_e32 v33, v33, v35, vcc_lo
	s_delay_alu instid0(VALU_DEP_1) | instskip(SKIP_1) | instid1(TRANS32_DEP_1)
	v_sqrt_f32_e32 v35, v33
	v_nop
	v_dual_add_nc_u32 v45, -1, v35 :: v_dual_add_nc_u32 v47, 1, v35
	s_delay_alu instid0(VALU_DEP_1) | instskip(NEXT) | instid1(VALU_DEP_1)
	v_dual_fma_f32 v54, -v45, v35, v33 :: v_dual_fma_f32 v55, -v47, v35, v33
	v_cmp_ge_f32_e64 s4, 0, v54
	s_delay_alu instid0(VALU_DEP_1) | instskip(NEXT) | instid1(VALU_DEP_3)
	v_cndmask_b32_e64 v35, v35, v45, s4
	v_cmp_lt_f32_e64 s4, 0, v55
	s_delay_alu instid0(VALU_DEP_1) | instskip(NEXT) | instid1(VALU_DEP_1)
	v_cndmask_b32_e64 v35, v35, v47, s4
	v_mul_f32_e32 v45, 0x37800000, v35
	s_delay_alu instid0(VALU_DEP_1) | instskip(SKIP_1) | instid1(VALU_DEP_2)
	v_cndmask_b32_e32 v35, v35, v45, vcc_lo
	v_cmp_class_f32_e64 vcc_lo, v33, 0x260
	v_cndmask_b32_e32 v33, v35, v33, vcc_lo
	s_delay_alu instid0(VALU_DEP_1) | instskip(NEXT) | instid1(VALU_DEP_1)
	v_add_f32_e32 v54, v50, v33
	v_add_f32_e32 v57, 1.0, v54
	s_delay_alu instid0(VALU_DEP_1) | instskip(SKIP_2) | instid1(VALU_DEP_2)
	v_cvt_f64_f32_e32 v[58:59], v57
	v_frexp_mant_f32_e32 v35, v57
	v_add_f32_e32 v55, -1.0, v57
	v_cmp_gt_f32_e32 vcc_lo, 0x3f2aaaab, v35
	s_delay_alu instid0(VALU_DEP_2) | instskip(SKIP_1) | instid1(VALU_DEP_2)
	v_mov_b32_e32 v56, v55
	v_frexp_exp_i32_f64_e32 v33, v[58:59]
	v_pk_add_f32 v[58:59], v[54:55], v[56:57] neg_lo:[0,1] neg_hi:[0,1]
	s_delay_alu instid0(VALU_DEP_1) | instskip(NEXT) | instid1(VALU_DEP_1)
	v_add_f32_e32 v47, 1.0, v59
	v_add_f32_e32 v47, v58, v47
	s_delay_alu instid0(VALU_DEP_4) | instskip(SKIP_1) | instid1(VALU_DEP_2)
	v_subrev_co_ci_u32_e64 v33, null, 0, v33, vcc_lo
	v_cmp_neq_f32_e32 vcc_lo, 0x7f800000, v54
	v_sub_nc_u32_e32 v35, 0, v33
	s_delay_alu instid0(VALU_DEP_1) | instskip(NEXT) | instid1(VALU_DEP_1)
	v_ldexp_f32 v45, v57, v35
	v_dual_add_f32 v55, 1.0, v45 :: v_dual_add_f32 v61, -1.0, v45
	s_delay_alu instid0(VALU_DEP_1) | instskip(SKIP_1) | instid1(VALU_DEP_2)
	v_add_f32_e32 v56, -1.0, v55
	v_ldexp_f32 v35, v47, v35
	v_dual_sub_f32 v47, v45, v56 :: v_dual_add_f32 v56, 1.0, v61
	s_delay_alu instid0(VALU_DEP_1) | instskip(NEXT) | instid1(VALU_DEP_1)
	v_dual_add_f32 v47, v35, v47 :: v_dual_sub_f32 v45, v45, v56
	v_add_f32_e32 v35, v35, v45
	s_delay_alu instid0(VALU_DEP_1) | instskip(NEXT) | instid1(VALU_DEP_3)
	v_add_f32_e32 v57, v61, v35
	v_add_f32_e32 v62, v55, v47
	s_delay_alu instid0(VALU_DEP_1) | instskip(SKIP_1) | instid1(TRANS32_DEP_1)
	v_rcp_f32_e32 v45, v62
	v_nop
	v_dual_mul_f32 v63, v57, v45 :: v_dual_sub_f32 v55, v62, v55
	s_delay_alu instid0(VALU_DEP_1) | instskip(NEXT) | instid1(VALU_DEP_2)
	v_mul_f32_e32 v58, v62, v63
	v_sub_f32_e32 v47, v47, v55
	s_delay_alu instid0(VALU_DEP_2) | instskip(NEXT) | instid1(VALU_DEP_1)
	v_dual_fma_f32 v60, v63, v62, -v58 :: v_dual_sub_f32 v55, v57, v61
	v_fmac_f32_e32 v60, v63, v47
	s_delay_alu instid0(VALU_DEP_1) | instskip(NEXT) | instid1(VALU_DEP_1)
	v_dual_sub_f32 v35, v35, v55 :: v_dual_add_f32 v56, v58, v60
	v_dual_sub_f32 v59, v57, v56 :: v_dual_mov_b32 v61, v56
	s_delay_alu instid0(VALU_DEP_1) | instskip(NEXT) | instid1(VALU_DEP_1)
	v_pk_add_f32 v[56:57], v[56:57], v[58:59] neg_lo:[0,1] neg_hi:[0,1]
	v_pk_add_f32 v[56:57], v[56:57], v[60:61] neg_lo:[0,1] neg_hi:[0,1]
	s_delay_alu instid0(VALU_DEP_1) | instskip(NEXT) | instid1(VALU_DEP_1)
	v_add_f32_e32 v35, v35, v57
	v_add_f32_e32 v35, v56, v35
	s_delay_alu instid0(VALU_DEP_1) | instskip(NEXT) | instid1(VALU_DEP_1)
	v_add_f32_e32 v57, v59, v35
	v_mul_f32_e32 v55, v45, v57
	s_delay_alu instid0(VALU_DEP_1) | instskip(NEXT) | instid1(VALU_DEP_1)
	v_mul_f32_e32 v60, v62, v55
	v_fma_f32 v58, v55, v62, -v60
	s_delay_alu instid0(VALU_DEP_1) | instskip(NEXT) | instid1(VALU_DEP_1)
	v_fmac_f32_e32 v58, v55, v47
	v_dual_add_f32 v56, v60, v58 :: v_dual_sub_f32 v47, v59, v57
	s_delay_alu instid0(VALU_DEP_1) | instskip(NEXT) | instid1(VALU_DEP_2)
	v_dual_sub_f32 v61, v57, v56 :: v_dual_mov_b32 v59, v56
	v_add_f32_e32 v35, v35, v47
	v_add_f32_e32 v47, v63, v55
	s_delay_alu instid0(VALU_DEP_3) | instskip(NEXT) | instid1(VALU_DEP_1)
	v_pk_add_f32 v[56:57], v[56:57], v[60:61] neg_lo:[0,1] neg_hi:[0,1]
	v_pk_add_f32 v[56:57], v[56:57], v[58:59] neg_lo:[0,1] neg_hi:[0,1]
	s_delay_alu instid0(VALU_DEP_1) | instskip(NEXT) | instid1(VALU_DEP_1)
	v_add_f32_e32 v35, v35, v57
	v_add_f32_e32 v35, v56, v35
	v_sub_f32_e32 v56, v47, v63
	s_delay_alu instid0(VALU_DEP_1) | instskip(SKIP_1) | instid1(VALU_DEP_2)
	v_dual_add_f32 v35, v61, v35 :: v_dual_sub_f32 v55, v55, v56
	v_cvt_f32_i32_e32 v56, v33
	v_mul_f32_e32 v35, v45, v35
	s_delay_alu instid0(VALU_DEP_1) | instskip(NEXT) | instid1(VALU_DEP_1)
	v_add_f32_e32 v45, v55, v35
	v_add_f32_e32 v55, v47, v45
	s_delay_alu instid0(VALU_DEP_1) | instskip(SKIP_2) | instid1(VALU_DEP_1)
	v_mul_f32_e32 v35, v55, v55
	v_ldexp_f32 v61, v55, 1
	v_sub_f32_e32 v33, v55, v47
	v_dual_fmaak_f32 v58, s15, v35, 0x3ecc95a3 :: v_dual_sub_f32 v33, v45, v33
	s_delay_alu instid0(VALU_DEP_1) | instskip(SKIP_1) | instid1(VALU_DEP_3)
	v_ldexp_f32 v33, v33, 1
	v_mul_f32_e32 v57, v55, v35
	v_fmaak_f32 v35, v35, v58, 0x3f2aaada
	s_delay_alu instid0(VALU_DEP_1) | instskip(NEXT) | instid1(VALU_DEP_1)
	v_pk_mul_f32 v[58:59], v[56:57], v[34:35]
	v_fma_f32 v60, 0x3f317218, v56, -v58
	v_mov_b32_e32 v62, v58
	s_delay_alu instid0(VALU_DEP_2) | instskip(NEXT) | instid1(VALU_DEP_1)
	v_fmac_f32_e32 v60, 0xb102e308, v56
	v_pk_add_f32 v[56:57], v[58:59], v[60:61]
	s_delay_alu instid0(VALU_DEP_1) | instskip(NEXT) | instid1(VALU_DEP_1)
	v_dual_sub_f32 v35, v57, v61 :: v_dual_mov_b32 v61, v56
	v_dual_mov_b32 v70, v57 :: v_dual_sub_f32 v35, v59, v35
	v_pk_add_f32 v[58:59], v[56:57], v[58:59] neg_lo:[0,1] neg_hi:[0,1]
	s_delay_alu instid0(VALU_DEP_2) | instskip(NEXT) | instid1(VALU_DEP_1)
	v_add_f32_e32 v63, v33, v35
	v_pk_add_f32 v[64:65], v[56:57], v[62:63]
	s_delay_alu instid0(VALU_DEP_1) | instskip(NEXT) | instid1(VALU_DEP_1)
	v_mov_b32_e32 v59, v65
	v_pk_add_f32 v[66:67], v[60:61], v[58:59]
	v_mov_b32_e32 v66, v65
	v_pk_add_f32 v[58:59], v[60:61], v[58:59] neg_lo:[0,1] neg_hi:[0,1]
	s_delay_alu instid0(VALU_DEP_3) | instskip(NEXT) | instid1(VALU_DEP_1)
	v_dual_mov_b32 v62, v67 :: v_dual_mov_b32 v59, v67
	v_pk_add_f32 v[68:69], v[62:63], v[56:57] neg_lo:[0,1] neg_hi:[0,1]
	v_dual_mov_b32 v57, v56 :: v_dual_mov_b32 v56, v63
	s_delay_alu instid0(VALU_DEP_2) | instskip(NEXT) | instid1(VALU_DEP_1)
	v_dual_mov_b32 v71, v68 :: v_dual_mov_b32 v33, v68
	v_pk_add_f32 v[68:69], v[66:67], v[70:71] neg_lo:[0,1] neg_hi:[0,1]
	s_delay_alu instid0(VALU_DEP_2) | instskip(SKIP_1) | instid1(VALU_DEP_3)
	v_pk_add_f32 v[60:61], v[64:65], v[32:33] neg_lo:[0,1] neg_hi:[0,1]
	v_mov_b32_e32 v60, v58
	v_pk_add_f32 v[56:57], v[56:57], v[68:69] neg_lo:[0,1] neg_hi:[0,1]
	s_delay_alu instid0(VALU_DEP_1) | instskip(NEXT) | instid1(VALU_DEP_1)
	v_pk_add_f32 v[60:61], v[60:61], v[56:57]
	v_mov_b32_e32 v64, v61
	s_delay_alu instid0(VALU_DEP_1) | instskip(NEXT) | instid1(VALU_DEP_1)
	v_pk_add_f32 v[64:65], v[60:61], v[64:65]
	v_pk_add_f32 v[62:63], v[62:63], v[64:65]
	s_delay_alu instid0(VALU_DEP_1) | instskip(NEXT) | instid1(VALU_DEP_1)
	v_dual_mov_b32 v57, v64 :: v_dual_mov_b32 v61, v62
	v_pk_add_f32 v[66:67], v[60:61], v[58:59] neg_lo:[0,1] neg_hi:[0,1]
	s_delay_alu instid0(VALU_DEP_1) | instskip(NEXT) | instid1(VALU_DEP_2)
	v_sub_f32_e32 v33, v60, v66
	v_pk_add_f32 v[56:57], v[56:57], v[66:67] neg_lo:[0,1] neg_hi:[0,1]
	s_delay_alu instid0(VALU_DEP_2) | instskip(NEXT) | instid1(VALU_DEP_1)
	v_sub_f32_e32 v33, v58, v33
	v_add_f32_e32 v33, v56, v33
	s_delay_alu instid0(VALU_DEP_1) | instskip(NEXT) | instid1(VALU_DEP_1)
	v_add_f32_e32 v33, v33, v57
	v_add_f32_e32 v33, v62, v33
	s_delay_alu instid0(VALU_DEP_1) | instskip(SKIP_1) | instid1(VALU_DEP_2)
	v_cndmask_b32_e32 v33, 0x7f800000, v33, vcc_lo
	v_cmp_ngt_f32_e32 vcc_lo, -1.0, v54
	v_cndmask_b32_e32 v33, 0x7fc00000, v33, vcc_lo
	v_cmp_neq_f32_e32 vcc_lo, -1.0, v54
	s_delay_alu instid0(VALU_DEP_2) | instskip(SKIP_1) | instid1(VALU_DEP_2)
	v_cndmask_b32_e32 v33, 0xff800000, v33, vcc_lo
	v_cmp_gt_f32_e64 vcc_lo, 0x33800000, |v54|
	v_cndmask_b32_e32 v33, v33, v54, vcc_lo
.LBB56_626:                             ;   in Loop: Header=BB56_401 Depth=1
	s_and_not1_saveexec_b32 s24, s24
	s_cbranch_execz .LBB56_628
; %bb.627:                              ;   in Loop: Header=BB56_401 Depth=1
	v_sub_f32_e64 v33, 1.0, |v36|
	s_delay_alu instid0(VALU_DEP_1) | instskip(NEXT) | instid1(VALU_DEP_1)
	v_mul_f32_e32 v33, v33, v51
	v_mul_f32_e32 v35, 0x4f800000, v33
	v_cmp_gt_f32_e32 vcc_lo, 0xf800000, v33
	s_delay_alu instid0(VALU_DEP_2) | instskip(NEXT) | instid1(VALU_DEP_1)
	v_cndmask_b32_e32 v33, v33, v35, vcc_lo
	v_sqrt_f32_e32 v35, v33
	v_nop
	s_delay_alu instid0(TRANS32_DEP_1) | instskip(NEXT) | instid1(VALU_DEP_1)
	v_dual_add_nc_u32 v45, -1, v35 :: v_dual_add_nc_u32 v47, 1, v35
	v_dual_fma_f32 v54, -v45, v35, v33 :: v_dual_fma_f32 v55, -v47, v35, v33
	s_delay_alu instid0(VALU_DEP_1) | instskip(NEXT) | instid1(VALU_DEP_1)
	v_cmp_ge_f32_e64 s4, 0, v54
	v_cndmask_b32_e64 v35, v35, v45, s4
	s_delay_alu instid0(VALU_DEP_3) | instskip(NEXT) | instid1(VALU_DEP_1)
	v_cmp_lt_f32_e64 s4, 0, v55
	v_cndmask_b32_e64 v35, v35, v47, s4
	s_delay_alu instid0(VALU_DEP_1) | instskip(NEXT) | instid1(VALU_DEP_1)
	v_mul_f32_e32 v45, 0x37800000, v35
	v_cndmask_b32_e32 v35, v35, v45, vcc_lo
	v_cmp_class_f32_e64 vcc_lo, v33, 0x260
	v_and_b32_e32 v45, 0x7fffffff, v37
	s_delay_alu instid0(VALU_DEP_3) | instskip(NEXT) | instid1(VALU_DEP_1)
	v_cndmask_b32_e32 v33, v35, v33, vcc_lo
	v_div_scale_f32 v35, null, v33, v33, v45
	v_div_scale_f32 v45, vcc_lo, v45, v33, v45
	s_delay_alu instid0(VALU_DEP_2) | instskip(SKIP_1) | instid1(TRANS32_DEP_1)
	v_rcp_f32_e32 v47, v35
	v_nop
	v_fma_f32 v54, -v35, v47, 1.0
	s_delay_alu instid0(VALU_DEP_1) | instskip(NEXT) | instid1(VALU_DEP_1)
	v_fmac_f32_e32 v47, v54, v47
	v_mul_f32_e32 v54, v45, v47
	s_delay_alu instid0(VALU_DEP_1) | instskip(NEXT) | instid1(VALU_DEP_1)
	v_fma_f32 v55, -v35, v54, v45
	v_fmac_f32_e32 v54, v55, v47
	s_delay_alu instid0(VALU_DEP_1) | instskip(NEXT) | instid1(VALU_DEP_1)
	v_fma_f32 v35, -v35, v54, v45
	v_div_fmas_f32 v35, v35, v47, v54
	s_delay_alu instid0(VALU_DEP_1)
	v_div_fixup_f32 v33, v35, v33, |v37|
.LBB56_628:                             ;   in Loop: Header=BB56_401 Depth=1
	s_or_b32 exec_lo, exec_lo, s24
.LBB56_629:                             ;   in Loop: Header=BB56_401 Depth=1
	s_delay_alu instid0(SALU_CYCLE_1)
	s_or_b32 exec_lo, exec_lo, s23
.LBB56_630:                             ;   in Loop: Header=BB56_401 Depth=1
	s_and_not1_saveexec_b32 s22, s22
	s_cbranch_execz .LBB56_632
; %bb.631:                              ;   in Loop: Header=BB56_401 Depth=1
	v_mul_f32_e64 v33, 0x4f800000, |v37|
	v_cmp_gt_f32_e64 vcc_lo, 0xf800000, |v37|
	s_delay_alu instid0(VALU_DEP_1) | instskip(NEXT) | instid1(VALU_DEP_1)
	v_cndmask_b32_e64 v33, |v37|, v33, vcc_lo
	v_sqrt_f32_e32 v35, v33
	v_nop
	s_delay_alu instid0(TRANS32_DEP_1) | instskip(NEXT) | instid1(VALU_DEP_1)
	v_dual_add_nc_u32 v45, -1, v35 :: v_dual_add_nc_u32 v47, 1, v35
	v_dual_fma_f32 v54, -v45, v35, v33 :: v_dual_fma_f32 v55, -v47, v35, v33
	s_delay_alu instid0(VALU_DEP_1) | instskip(NEXT) | instid1(VALU_DEP_1)
	v_cmp_ge_f32_e64 s4, 0, v54
	v_cndmask_b32_e64 v35, v35, v45, s4
	s_delay_alu instid0(VALU_DEP_3) | instskip(NEXT) | instid1(VALU_DEP_1)
	v_cmp_lt_f32_e64 s4, 0, v55
	v_cndmask_b32_e64 v35, v35, v47, s4
	s_delay_alu instid0(VALU_DEP_1) | instskip(NEXT) | instid1(VALU_DEP_1)
	v_mul_f32_e32 v45, 0x37800000, v35
	v_cndmask_b32_e32 v35, v35, v45, vcc_lo
	v_cmp_class_f32_e64 vcc_lo, v33, 0x260
	s_delay_alu instid0(VALU_DEP_2)
	v_cndmask_b32_e32 v33, v35, v33, vcc_lo
.LBB56_632:                             ;   in Loop: Header=BB56_401 Depth=1
	s_or_b32 exec_lo, exec_lo, s22
.LBB56_633:                             ;   in Loop: Header=BB56_401 Depth=1
	s_delay_alu instid0(SALU_CYCLE_1) | instskip(NEXT) | instid1(SALU_CYCLE_1)
	s_or_b32 exec_lo, exec_lo, s5
	s_mov_b32 s22, exec_lo
                                        ; implicit-def: $sgpr4
                                        ; implicit-def: $vgpr47
                                        ; implicit-def: $vgpr35
	v_cmpx_ngt_f32_e64 0x21000000, |v36|
	s_xor_b32 s22, exec_lo, s22
	s_cbranch_execz .LBB56_657
; %bb.634:                              ;   in Loop: Header=BB56_401 Depth=1
	v_and_b32_e32 v47, 0x7fffffff, v36
	s_mov_b32 s4, 0
	s_mov_b32 s23, exec_lo
	s_delay_alu instid0(VALU_DEP_1) | instskip(NEXT) | instid1(VALU_DEP_1)
	v_div_scale_f32 v35, null, v44, v44, v47
	v_rcp_f32_e32 v45, v35
	v_nop
	s_delay_alu instid0(TRANS32_DEP_1) | instskip(NEXT) | instid1(VALU_DEP_1)
	v_fma_f32 v54, -v35, v45, 1.0
	v_fmac_f32_e32 v45, v54, v45
	v_div_scale_f32 v54, vcc_lo, v47, v44, v47
	s_delay_alu instid0(VALU_DEP_1) | instskip(NEXT) | instid1(VALU_DEP_1)
	v_mul_f32_e32 v55, v54, v45
	v_fma_f32 v56, -v35, v55, v54
	s_delay_alu instid0(VALU_DEP_1) | instskip(NEXT) | instid1(VALU_DEP_1)
	v_fmac_f32_e32 v55, v56, v45
	v_fma_f32 v35, -v35, v55, v54
	s_delay_alu instid0(VALU_DEP_1) | instskip(NEXT) | instid1(VALU_DEP_1)
	v_div_fmas_f32 v35, v35, v45, v55
	v_div_fixup_f32 v35, v35, v44, |v36|
	s_delay_alu instid0(VALU_DEP_1)
	v_cmpx_lt_f32_e32 0x3f244674, v35
	s_cbranch_execz .LBB56_656
; %bb.635:                              ;   in Loop: Header=BB56_401 Depth=1
	v_cmp_neq_f32_e64 s4, |v36|, 1.0
	v_cmp_ngt_f32_e64 s5, 0x30800000, |v37|
	s_or_b32 s4, s5, s4
	s_delay_alu instid0(SALU_CYCLE_1) | instskip(NEXT) | instid1(SALU_CYCLE_1)
	s_and_saveexec_b32 s5, s4
	s_xor_b32 s5, exec_lo, s5
	s_cbranch_execz .LBB56_653
; %bb.636:                              ;   in Loop: Header=BB56_401 Depth=1
	v_mul_f32_e64 v45, 0x34000000, |v50|
	s_mov_b32 s24, exec_lo
	s_delay_alu instid0(VALU_DEP_1)
	v_cmpx_ge_f32_e64 |v37|, v45
	s_xor_b32 s24, exec_lo, s24
	s_cbranch_execz .LBB56_646
; %bb.637:                              ;   in Loop: Header=BB56_401 Depth=1
	v_mov_b32_e32 v45, v52
	s_mov_b32 s4, exec_lo
	v_cmpx_neq_f32_e32 0, v51
	s_cbranch_execz .LBB56_639
; %bb.638:                              ;   in Loop: Header=BB56_401 Depth=1
	v_mul_f32_e32 v45, v37, v37
	v_add_f32_e32 v51, v51, v53
	s_delay_alu instid0(VALU_DEP_1) | instskip(NEXT) | instid1(VALU_DEP_1)
	v_div_scale_f32 v53, null, v51, v51, v45
	v_rcp_f32_e32 v54, v53
	v_nop
	s_delay_alu instid0(TRANS32_DEP_1) | instskip(NEXT) | instid1(VALU_DEP_1)
	v_fma_f32 v55, -v53, v54, 1.0
	v_fmac_f32_e32 v54, v55, v54
	v_div_scale_f32 v55, vcc_lo, v45, v51, v45
	s_delay_alu instid0(VALU_DEP_1) | instskip(NEXT) | instid1(VALU_DEP_1)
	v_mul_f32_e32 v56, v55, v54
	v_fma_f32 v57, -v53, v56, v55
	s_delay_alu instid0(VALU_DEP_1) | instskip(NEXT) | instid1(VALU_DEP_1)
	v_fmac_f32_e32 v56, v57, v54
	v_fma_f32 v53, -v53, v56, v55
	s_delay_alu instid0(VALU_DEP_1) | instskip(NEXT) | instid1(VALU_DEP_1)
	v_div_fmas_f32 v53, v53, v54, v56
	v_div_fixup_f32 v45, v53, v51, v45
.LBB56_639:                             ;   in Loop: Header=BB56_401 Depth=1
	s_or_b32 exec_lo, exec_lo, s4
	s_delay_alu instid0(SALU_CYCLE_1)
	s_mov_b32 s4, exec_lo
	v_cmpx_ngt_f32_e32 0, v50
	s_xor_b32 s4, exec_lo, s4
	s_cbranch_execz .LBB56_643
; %bb.640:                              ;   in Loop: Header=BB56_401 Depth=1
	s_mov_b32 s25, exec_lo
	v_cmpx_neq_f32_e32 0, v50
	s_cbranch_execz .LBB56_642
; %bb.641:                              ;   in Loop: Header=BB56_401 Depth=1
	v_dual_mul_f32 v51, v37, v37 :: v_dual_add_f32 v46, v50, v46
	s_delay_alu instid0(VALU_DEP_1) | instskip(NEXT) | instid1(VALU_DEP_1)
	v_div_scale_f32 v50, null, v46, v46, v51
	v_rcp_f32_e32 v52, v50
	v_nop
	s_delay_alu instid0(TRANS32_DEP_1) | instskip(NEXT) | instid1(VALU_DEP_1)
	v_fma_f32 v53, -v50, v52, 1.0
	v_fmac_f32_e32 v52, v53, v52
	v_div_scale_f32 v53, vcc_lo, v51, v46, v51
	s_delay_alu instid0(VALU_DEP_1) | instskip(NEXT) | instid1(VALU_DEP_1)
	v_mul_f32_e32 v54, v53, v52
	v_fma_f32 v55, -v50, v54, v53
	s_delay_alu instid0(VALU_DEP_1) | instskip(NEXT) | instid1(VALU_DEP_1)
	v_fmac_f32_e32 v54, v55, v52
	v_fma_f32 v50, -v50, v54, v53
	s_delay_alu instid0(VALU_DEP_1) | instskip(NEXT) | instid1(VALU_DEP_1)
	v_div_fmas_f32 v50, v50, v52, v54
	v_div_fixup_f32 v52, v50, v46, v51
.LBB56_642:                             ;   in Loop: Header=BB56_401 Depth=1
	s_or_b32 exec_lo, exec_lo, s25
                                        ; implicit-def: $vgpr46
                                        ; implicit-def: $vgpr50
.LBB56_643:                             ;   in Loop: Header=BB56_401 Depth=1
	s_and_not1_saveexec_b32 s4, s4
; %bb.644:                              ;   in Loop: Header=BB56_401 Depth=1
	v_sub_f32_e32 v52, v46, v50
; %bb.645:                              ;   in Loop: Header=BB56_401 Depth=1
	s_or_b32 exec_lo, exec_lo, s4
	s_delay_alu instid0(VALU_DEP_1) | instskip(SKIP_1) | instid1(VALU_DEP_1)
	v_dual_mul_f32 v51, 0.5, v45 :: v_dual_mul_f32 v45, 0.5, v52
	v_and_b32_e32 v50, 0x7fffffff, v36
	v_pk_add_f32 v[44:45], v[50:51], v[44:45]
	s_delay_alu instid0(VALU_DEP_1) | instskip(NEXT) | instid1(VALU_DEP_1)
	v_mul_f32_e32 v44, v44, v45
	v_mul_f32_e32 v45, 0x4f800000, v44
	v_cmp_gt_f32_e32 vcc_lo, 0xf800000, v44
	s_delay_alu instid0(VALU_DEP_2) | instskip(NEXT) | instid1(VALU_DEP_1)
	v_cndmask_b32_e32 v44, v44, v45, vcc_lo
	v_sqrt_f32_e32 v45, v44
	v_nop
	s_delay_alu instid0(TRANS32_DEP_1) | instskip(NEXT) | instid1(VALU_DEP_1)
	v_dual_add_nc_u32 v46, -1, v45 :: v_dual_add_nc_u32 v50, 1, v45
	v_fma_f32 v51, -v46, v45, v44
	s_delay_alu instid0(VALU_DEP_2) | instskip(NEXT) | instid1(VALU_DEP_2)
	v_fma_f32 v52, -v50, v45, v44
	v_cmp_ge_f32_e64 s4, 0, v51
                                        ; implicit-def: $vgpr51
	s_delay_alu instid0(VALU_DEP_1) | instskip(NEXT) | instid1(VALU_DEP_3)
	v_cndmask_b32_e64 v45, v45, v46, s4
	v_cmp_lt_f32_e64 s4, 0, v52
	s_delay_alu instid0(VALU_DEP_1) | instskip(NEXT) | instid1(VALU_DEP_1)
	v_cndmask_b32_e64 v45, v45, v50, s4
                                        ; implicit-def: $vgpr50
	v_mul_f32_e32 v46, 0x37800000, v45
	s_delay_alu instid0(VALU_DEP_1) | instskip(SKIP_1) | instid1(VALU_DEP_2)
	v_cndmask_b32_e32 v45, v45, v46, vcc_lo
	v_cmp_class_f32_e64 vcc_lo, v44, 0x260
	v_cndmask_b32_e32 v46, v45, v44, vcc_lo
.LBB56_646:                             ;   in Loop: Header=BB56_401 Depth=1
	s_and_not1_saveexec_b32 s24, s24
	s_cbranch_execz .LBB56_652
; %bb.647:                              ;   in Loop: Header=BB56_401 Depth=1
	s_mov_b32 s25, exec_lo
	v_cmpx_ngt_f32_e64 |v36|, 1.0
	s_xor_b32 s25, exec_lo, s25
	s_cbranch_execz .LBB56_649
; %bb.648:                              ;   in Loop: Header=BB56_401 Depth=1
	v_sub_f32_e64 v44, 1.0, |v36|
	s_delay_alu instid0(VALU_DEP_1) | instskip(NEXT) | instid1(VALU_DEP_1)
	v_mul_f32_e32 v44, v44, v51
	v_mul_f32_e32 v45, 0x4f800000, v44
	v_cmp_gt_f32_e32 vcc_lo, 0xf800000, v44
	s_delay_alu instid0(VALU_DEP_2) | instskip(NEXT) | instid1(VALU_DEP_1)
	v_cndmask_b32_e32 v44, v44, v45, vcc_lo
	v_sqrt_f32_e32 v45, v44
	v_nop
	s_delay_alu instid0(TRANS32_DEP_1) | instskip(NEXT) | instid1(VALU_DEP_1)
	v_dual_add_nc_u32 v46, -1, v45 :: v_dual_add_nc_u32 v50, 1, v45
	v_fma_f32 v51, -v46, v45, v44
	s_delay_alu instid0(VALU_DEP_2) | instskip(NEXT) | instid1(VALU_DEP_2)
	v_fma_f32 v52, -v50, v45, v44
	v_cmp_ge_f32_e64 s4, 0, v51
                                        ; implicit-def: $vgpr51
	s_delay_alu instid0(VALU_DEP_1) | instskip(NEXT) | instid1(VALU_DEP_3)
	v_cndmask_b32_e64 v45, v45, v46, s4
	v_cmp_lt_f32_e64 s4, 0, v52
	s_delay_alu instid0(VALU_DEP_1) | instskip(NEXT) | instid1(VALU_DEP_1)
	v_cndmask_b32_e64 v45, v45, v50, s4
                                        ; implicit-def: $vgpr50
	v_mul_f32_e32 v46, 0x37800000, v45
	s_delay_alu instid0(VALU_DEP_1) | instskip(SKIP_1) | instid1(VALU_DEP_2)
	v_cndmask_b32_e32 v45, v45, v46, vcc_lo
	v_cmp_class_f32_e64 vcc_lo, v44, 0x260
	v_cndmask_b32_e32 v46, v45, v44, vcc_lo
.LBB56_649:                             ;   in Loop: Header=BB56_401 Depth=1
	s_and_not1_saveexec_b32 s25, s25
	s_cbranch_execz .LBB56_651
; %bb.650:                              ;   in Loop: Header=BB56_401 Depth=1
	v_mul_f32_e32 v44, v51, v50
	s_delay_alu instid0(VALU_DEP_1) | instskip(SKIP_1) | instid1(VALU_DEP_2)
	v_mul_f32_e32 v45, 0x4f800000, v44
	v_cmp_gt_f32_e32 vcc_lo, 0xf800000, v44
	v_cndmask_b32_e32 v44, v44, v45, vcc_lo
	s_delay_alu instid0(VALU_DEP_1) | instskip(SKIP_1) | instid1(TRANS32_DEP_1)
	v_sqrt_f32_e32 v45, v44
	v_nop
	v_dual_add_nc_u32 v46, -1, v45 :: v_dual_add_nc_u32 v47, 1, v45
	s_delay_alu instid0(VALU_DEP_1) | instskip(NEXT) | instid1(VALU_DEP_1)
	v_dual_fma_f32 v50, -v46, v45, v44 :: v_dual_fma_f32 v51, -v47, v45, v44
	v_cmp_ge_f32_e64 s4, 0, v50
	s_delay_alu instid0(VALU_DEP_1) | instskip(NEXT) | instid1(VALU_DEP_3)
	v_cndmask_b32_e64 v45, v45, v46, s4
	v_cmp_lt_f32_e64 s4, 0, v51
	s_delay_alu instid0(VALU_DEP_1) | instskip(SKIP_1) | instid1(VALU_DEP_2)
	v_cndmask_b32_e64 v45, v45, v47, s4
	v_mul_f32_e64 v47, 0x57800000, |v37|
	v_mul_f32_e32 v46, 0x37800000, v45
	s_delay_alu instid0(VALU_DEP_1) | instskip(SKIP_1) | instid1(VALU_DEP_4)
	v_cndmask_b32_e32 v45, v45, v46, vcc_lo
	v_cmp_class_f32_e64 vcc_lo, v44, 0x260
	v_mul_f32_e64 v46, |v36|, v47
	s_delay_alu instid0(VALU_DEP_3) | instskip(NEXT) | instid1(VALU_DEP_1)
	v_cndmask_b32_e32 v44, v45, v44, vcc_lo
	v_div_scale_f32 v45, null, v44, v44, v46
	v_div_scale_f32 v51, vcc_lo, v46, v44, v46
	s_delay_alu instid0(VALU_DEP_2) | instskip(SKIP_1) | instid1(TRANS32_DEP_1)
	v_rcp_f32_e32 v47, v45
	v_nop
	v_fma_f32 v50, -v45, v47, 1.0
	s_delay_alu instid0(VALU_DEP_1) | instskip(NEXT) | instid1(VALU_DEP_1)
	v_fmac_f32_e32 v47, v50, v47
	v_mul_f32_e32 v50, v51, v47
	s_delay_alu instid0(VALU_DEP_1) | instskip(NEXT) | instid1(VALU_DEP_1)
	v_fma_f32 v52, -v45, v50, v51
	v_fmac_f32_e32 v50, v52, v47
	s_delay_alu instid0(VALU_DEP_1) | instskip(NEXT) | instid1(VALU_DEP_1)
	v_fma_f32 v45, -v45, v50, v51
	v_div_fmas_f32 v45, v45, v47, v50
	v_mul_f32_e64 v47, 0x57800000, |v36|
	s_delay_alu instid0(VALU_DEP_2)
	v_div_fixup_f32 v46, v45, v44, v46
.LBB56_651:                             ;   in Loop: Header=BB56_401 Depth=1
	s_or_b32 exec_lo, exec_lo, s25
.LBB56_652:                             ;   in Loop: Header=BB56_401 Depth=1
	s_delay_alu instid0(SALU_CYCLE_1)
	s_or_b32 exec_lo, exec_lo, s24
                                        ; implicit-def: $vgpr44
.LBB56_653:                             ;   in Loop: Header=BB56_401 Depth=1
	s_and_not1_saveexec_b32 s24, s5
	s_cbranch_execz .LBB56_655
; %bb.654:                              ;   in Loop: Header=BB56_401 Depth=1
	v_add_f32_e32 v44, 1.0, v44
	v_mul_f32_e64 v45, 0x4f800000, |v37|
	v_cmp_gt_f32_e64 vcc_lo, 0xf800000, |v37|
	s_delay_alu instid0(VALU_DEP_3) | instskip(NEXT) | instid1(VALU_DEP_2)
	v_mul_f32_e32 v44, 0.5, v44
	v_cndmask_b32_e64 v45, |v37|, v45, vcc_lo
	s_delay_alu instid0(VALU_DEP_2) | instskip(SKIP_1) | instid1(VALU_DEP_1)
	v_mul_f32_e32 v46, 0x4f800000, v44
	v_cmp_gt_f32_e64 s4, 0xf800000, v44
	v_cndmask_b32_e64 v44, v44, v46, s4
	s_delay_alu instid0(VALU_DEP_4) | instskip(SKIP_1) | instid1(TRANS32_DEP_1)
	v_sqrt_f32_e32 v46, v45
	v_nop
	v_add_nc_u32_e32 v52, 1, v46
	s_delay_alu instid0(VALU_DEP_3) | instskip(NEXT) | instid1(VALU_DEP_1)
	v_sqrt_f32_e32 v47, v44
	v_dual_add_nc_u32 v50, -1, v46 :: v_dual_fma_f32 v56, -v52, v46, v45
	s_delay_alu instid0(TRANS32_DEP_1) | instid1(VALU_DEP_1)
	v_dual_fma_f32 v53, -v50, v46, v45 :: v_dual_add_nc_u32 v54, 1, v47
	v_add_nc_u32_e32 v51, -1, v47
	s_delay_alu instid0(VALU_DEP_2) | instskip(NEXT) | instid1(VALU_DEP_1)
	v_cmp_ge_f32_e64 s5, 0, v53
	v_dual_fma_f32 v55, -v51, v47, v44 :: v_dual_cndmask_b32 v46, v46, v50, s5
	s_delay_alu instid0(VALU_DEP_4) | instskip(NEXT) | instid1(VALU_DEP_2)
	v_fma_f32 v50, -v54, v47, v44
	v_cmp_ge_f32_e64 s5, 0, v55
	s_delay_alu instid0(VALU_DEP_1) | instskip(SKIP_1) | instid1(VALU_DEP_1)
	v_cndmask_b32_e64 v47, v47, v51, s5
	v_cmp_lt_f32_e64 s5, 0, v56
	v_cndmask_b32_e64 v46, v46, v52, s5
	v_cmp_lt_f32_e64 s5, 0, v50
	s_delay_alu instid0(VALU_DEP_1) | instskip(NEXT) | instid1(VALU_DEP_1)
	v_cndmask_b32_e64 v47, v47, v54, s5
	v_mul_f32_e32 v51, 0x37800000, v47
	s_delay_alu instid0(VALU_DEP_1) | instskip(SKIP_1) | instid1(VALU_DEP_1)
	v_cndmask_b32_e64 v47, v47, v51, s4
	v_mul_f32_e32 v50, 0x37800000, v46
	v_cndmask_b32_e32 v46, v46, v50, vcc_lo
	v_cmp_class_f32_e64 vcc_lo, v45, 0x260
	s_delay_alu instid0(VALU_DEP_2) | instskip(SKIP_2) | instid1(VALU_DEP_1)
	v_cndmask_b32_e32 v45, v46, v45, vcc_lo
	v_cmp_class_f32_e64 vcc_lo, v44, 0x260
	v_dual_cndmask_b32 v44, v47, v44 :: v_dual_mov_b32 v47, 1.0
	v_mul_f32_e32 v46, v45, v44
.LBB56_655:                             ;   in Loop: Header=BB56_401 Depth=1
	s_or_b32 exec_lo, exec_lo, s24
	s_delay_alu instid0(SALU_CYCLE_1)
	s_mov_b32 s4, exec_lo
.LBB56_656:                             ;   in Loop: Header=BB56_401 Depth=1
	s_or_b32 exec_lo, exec_lo, s23
                                        ; implicit-def: $vgpr44
.LBB56_657:                             ;   in Loop: Header=BB56_401 Depth=1
	s_and_not1_saveexec_b32 s5, s22
; %bb.658:                              ;   in Loop: Header=BB56_401 Depth=1
	v_and_b32_e32 v45, 0x7fffffff, v36
	s_or_b32 s4, s4, exec_lo
                                        ; implicit-def: $vgpr35
	s_delay_alu instid0(VALU_DEP_1)
	v_pk_mul_f32 v[46:47], v[44:45], s[14:15] op_sel_hi:[1,0]
; %bb.659:                              ;   in Loop: Header=BB56_401 Depth=1
	s_or_b32 exec_lo, exec_lo, s5
	s_xor_b32 s4, s4, -1
                                        ; implicit-def: $vgpr44
	s_delay_alu instid0(SALU_CYCLE_1) | instskip(NEXT) | instid1(SALU_CYCLE_1)
	s_and_saveexec_b32 s5, s4
	s_xor_b32 s4, exec_lo, s5
	s_cbranch_execz .LBB56_661
; %bb.660:                              ;   in Loop: Header=BB56_401 Depth=1
	v_fma_f32 v44, |v35|, -0.5, 0.5
	v_mul_f32_e32 v45, v35, v35
	v_cmp_ge_f32_e64 vcc_lo, |v35|, 0.5
	s_delay_alu instid0(VALU_DEP_2) | instskip(SKIP_1) | instid1(VALU_DEP_2)
	v_cndmask_b32_e32 v44, v45, v44, vcc_lo
	v_cmp_lt_f32_e64 vcc_lo, |v35|, 0.5
	v_fmaak_f32 v45, s16, v44, 0x3c5fc5da
	v_sqrt_f32_e32 v46, v44
	s_delay_alu instid0(VALU_DEP_1) | instskip(NEXT) | instid1(VALU_DEP_1)
	v_fmaak_f32 v45, v44, v45, 0x3d034c3c
	v_fmaak_f32 v45, v44, v45, 0x3d3641b1
	s_delay_alu instid0(VALU_DEP_1) | instskip(NEXT) | instid1(VALU_DEP_1)
	v_fmaak_f32 v45, v44, v45, 0x3d999bc8
	v_fmaak_f32 v45, v44, v45, 0x3e2aaaac
	s_delay_alu instid0(VALU_DEP_1)
	v_mul_f32_e32 v44, v44, v45
	s_delay_alu instid0(TRANS32_DEP_1) | instid1(VALU_DEP_1)
	v_fmac_f32_e32 v46, v46, v44
	s_delay_alu instid0(VALU_DEP_1) | instskip(NEXT) | instid1(VALU_DEP_1)
	v_add_f32_e32 v45, v46, v46
                                        ; implicit-def: $vgpr47
	v_sub_f32_e32 v45, 0x3fc90fdb, v45
	v_fma_f32 v44, |v35|, v44, |v35|
	s_delay_alu instid0(VALU_DEP_1) | instskip(NEXT) | instid1(VALU_DEP_1)
	v_cndmask_b32_e32 v44, v45, v44, vcc_lo
	v_bfi_b32 v44, 0x7fffffff, v44, v35
.LBB56_661:                             ;   in Loop: Header=BB56_401 Depth=1
	s_and_not1_saveexec_b32 s5, s4
	s_cbranch_execz .LBB56_663
; %bb.662:                              ;   in Loop: Header=BB56_401 Depth=1
	v_max_num_f32_e32 v35, v47, v47
	v_max_num_f32_e64 v44, |v46|, |v46|
	v_cmp_gt_f32_e64 vcc_lo, v47, |v46|
	v_cmp_gt_i32_e64 s4, 0, v46
	v_cmp_class_f32_e64 s22, v46, 0x204
	s_delay_alu instid0(VALU_DEP_4) | instskip(NEXT) | instid1(VALU_DEP_1)
	v_dual_max_num_f32 v45, v44, v35 :: v_dual_min_num_f32 v35, v44, v35
	v_frexp_mant_f32_e32 v50, v45
	v_frexp_exp_i32_f32_e32 v44, v45
	s_delay_alu instid0(VALU_DEP_2)
	v_rcp_f32_e32 v45, v50
	v_nop
	v_frexp_exp_i32_f32_e32 v50, v35
	v_frexp_mant_f32_e32 v35, v35
	s_delay_alu instid0(TRANS32_DEP_1) | instid1(VALU_DEP_1)
	v_dual_mul_f32 v35, v35, v45 :: v_dual_sub_nc_u32 v44, v50, v44
	s_delay_alu instid0(VALU_DEP_1) | instskip(NEXT) | instid1(VALU_DEP_1)
	v_ldexp_f32 v35, v35, v44
	v_mul_f32_e32 v44, v35, v35
	s_delay_alu instid0(VALU_DEP_1) | instskip(NEXT) | instid1(VALU_DEP_1)
	v_fmaak_f32 v45, s17, v44, 0xbc7a590c
	v_fmaak_f32 v45, v44, v45, 0x3d29fb3f
	s_delay_alu instid0(VALU_DEP_1) | instskip(NEXT) | instid1(VALU_DEP_1)
	v_fmaak_f32 v45, v44, v45, 0xbd97d4d7
	v_fmaak_f32 v45, v44, v45, 0x3dd931b2
	;; [unrolled: 3-line block ×3, first 2 shown]
	s_delay_alu instid0(VALU_DEP_1) | instskip(NEXT) | instid1(VALU_DEP_1)
	v_fmaak_f32 v45, v44, v45, 0xbeaaaa62
	v_mul_f32_e32 v44, v44, v45
	s_delay_alu instid0(VALU_DEP_1) | instskip(NEXT) | instid1(VALU_DEP_1)
	v_fmac_f32_e32 v35, v35, v44
	v_sub_f32_e32 v44, 0x3fc90fdb, v35
	s_delay_alu instid0(VALU_DEP_1) | instskip(SKIP_1) | instid1(VALU_DEP_2)
	v_cndmask_b32_e32 v35, v35, v44, vcc_lo
	v_cmp_gt_f32_e32 vcc_lo, 0, v46
	v_sub_f32_e32 v44, 0x40490fdb, v35
	v_cndmask_b32_e32 v45, 0x3f490fdb, v49, vcc_lo
	s_delay_alu instid0(VALU_DEP_2) | instskip(SKIP_3) | instid1(VALU_DEP_2)
	v_cndmask_b32_e32 v35, v35, v44, vcc_lo
	v_cndmask_b32_e64 v44, 0, 0x40490fdb, s4
	v_cmp_eq_f32_e64 s4, 0, v47
	v_cmp_eq_f32_e32 vcc_lo, 0x7f800000, v47
	v_cndmask_b32_e64 v35, |v35|, v44, s4
	s_and_b32 vcc_lo, vcc_lo, s22
	s_delay_alu instid0(VALU_DEP_1) | instskip(SKIP_1) | instid1(VALU_DEP_2)
	v_cndmask_b32_e32 v35, v35, v45, vcc_lo
	v_cmp_o_f32_e32 vcc_lo, v46, v46
	v_cndmask_b32_e32 v44, 0x7fc00000, v35, vcc_lo
.LBB56_663:                             ;   in Loop: Header=BB56_401 Depth=1
	s_or_b32 exec_lo, exec_lo, s5
	s_delay_alu instid0(VALU_DEP_1)
	v_bfi_b32 v36, 0x7fffffff, v44, v36
	v_bfi_b32 v37, 0x7fffffff, v33, v37
.LBB56_664:                             ;   in Loop: Header=BB56_401 Depth=1
	s_or_b32 exec_lo, exec_lo, s21
.LBB56_665:                             ;   in Loop: Header=BB56_401 Depth=1
	s_delay_alu instid0(SALU_CYCLE_1)
	s_or_b32 exec_lo, exec_lo, s20
                                        ; implicit-def: $vgpr33
                                        ; implicit-def: $vgpr35
                                        ; implicit-def: $vgpr44
.LBB56_666:                             ;   in Loop: Header=BB56_401 Depth=1
	s_and_not1_saveexec_b32 s19, s19
	s_cbranch_execz .LBB56_688
; %bb.667:                              ;   in Loop: Header=BB56_401 Depth=1
                                        ; implicit-def: $sgpr20
                                        ; implicit-def: $vgpr45
                                        ; implicit-def: $vgpr46
	s_mov_b32 s4, exec_lo
	v_cmpx_lt_i32_e32 -1, v37
	s_xor_b32 s21, exec_lo, s4
	s_cbranch_execz .LBB56_677
; %bb.668:                              ;   in Loop: Header=BB56_401 Depth=1
	v_cmp_lt_f32_e64 s4, |v37|, |v36|
                                        ; implicit-def: $vgpr45
                                        ; implicit-def: $vgpr46
	s_mov_b32 s5, exec_lo
	v_cndmask_b32_e64 v47, |v37|, |v36|, s4
	s_delay_alu instid0(VALU_DEP_1)
	v_cmpx_nlt_f32_e32 0x7effffff, v47
	s_xor_b32 s20, exec_lo, s5
	s_cbranch_execz .LBB56_674
; %bb.669:                              ;   in Loop: Header=BB56_401 Depth=1
	v_cndmask_b32_e64 v50, |v36|, |v37|, s4
	v_cmp_nlt_f32_e32 vcc_lo, 0x5e000000, v47
                                        ; implicit-def: $vgpr45
                                        ; implicit-def: $vgpr46
	s_delay_alu instid0(VALU_DEP_2) | instskip(SKIP_1) | instid1(SALU_CYCLE_1)
	v_cmp_ngt_f32_e64 s5, 0x20000000, v50
	s_and_b32 s5, vcc_lo, s5
	s_and_saveexec_b32 s22, s5
	s_delay_alu instid0(SALU_CYCLE_1)
	s_xor_b32 s22, exec_lo, s22
	s_cbranch_execz .LBB56_671
; %bb.670:                              ;   in Loop: Header=BB56_401 Depth=1
	v_frexp_mant_f32_e32 v45, v44
	s_wait_dscnt 0x0
	v_dual_min_num_f32 v33, v35, v33 :: v_dual_mul_f32 v50, v50, v50
	v_frexp_exp_i32_f32_e32 v35, v44
	s_delay_alu instid0(VALU_DEP_3) | instskip(SKIP_1) | instid1(VALU_DEP_3)
	v_rcp_f32_e32 v44, v45
	v_nop
	v_frexp_exp_i32_f32_e32 v45, v33
	v_frexp_mant_f32_e32 v33, v33
	v_fmac_f32_e32 v50, v47, v47
	s_delay_alu instid0(VALU_DEP_3)
	v_sub_nc_u32_e32 v35, v45, v35
	s_delay_alu instid0(TRANS32_DEP_1) | instid1(VALU_DEP_3)
	v_mul_f32_e32 v33, v33, v44
	s_delay_alu instid0(VALU_DEP_3) | instskip(NEXT) | instid1(VALU_DEP_2)
	v_cmp_gt_f32_e32 vcc_lo, 0x800000, v50
	v_ldexp_f32 v46, v33, v35
	v_cndmask_b32_e64 v33, 0, 32, vcc_lo
	s_delay_alu instid0(VALU_DEP_1) | instskip(NEXT) | instid1(VALU_DEP_1)
	v_ldexp_f32 v33, v50, v33
	v_log_f32_e32 v33, v33
	v_nop
	s_delay_alu instid0(TRANS32_DEP_1) | instskip(SKIP_1) | instid1(VALU_DEP_2)
	v_mul_f32_e32 v45, 0x3f317217, v33
	v_cmp_gt_f32_e64 s5, 0x7f800000, |v33|
	v_fma_f32 v45, 0x3f317217, v33, -v45
	s_delay_alu instid0(VALU_DEP_1) | instskip(NEXT) | instid1(VALU_DEP_1)
	v_fmac_f32_e32 v45, 0x3377d1cf, v33
	v_fmac_f32_e32 v45, 0x3f317217, v33
	s_delay_alu instid0(VALU_DEP_1) | instskip(SKIP_1) | instid1(VALU_DEP_1)
	v_dual_mul_f32 v35, v46, v46 :: v_dual_cndmask_b32 v33, v33, v45, s5
	v_cndmask_b32_e64 v45, 0, 0x41b17218, vcc_lo
	v_dual_fmaak_f32 v44, s17, v35, 0xbc7a590c :: v_dual_sub_f32 v33, v33, v45
	s_delay_alu instid0(VALU_DEP_1) | instskip(NEXT) | instid1(VALU_DEP_1)
	v_dual_fmaak_f32 v44, v35, v44, 0x3d29fb3f :: v_dual_mul_f32 v45, 0.5, v33
	v_fmaak_f32 v44, v35, v44, 0xbd97d4d7
                                        ; implicit-def: $vgpr33
	s_delay_alu instid0(VALU_DEP_1) | instskip(NEXT) | instid1(VALU_DEP_1)
	v_fmaak_f32 v44, v35, v44, 0x3dd931b2
	v_fmaak_f32 v44, v35, v44, 0xbe1160e6
	s_delay_alu instid0(VALU_DEP_1) | instskip(NEXT) | instid1(VALU_DEP_1)
	v_fmaak_f32 v44, v35, v44, 0x3e4cb8bf
	v_fmaak_f32 v44, v35, v44, 0xbeaaaa62
	s_delay_alu instid0(VALU_DEP_1) | instskip(NEXT) | instid1(VALU_DEP_1)
	v_mul_f32_e32 v35, v35, v44
                                        ; implicit-def: $vgpr44
	v_fmac_f32_e32 v46, v46, v35
                                        ; implicit-def: $vgpr35
.LBB56_671:                             ;   in Loop: Header=BB56_401 Depth=1
	s_and_not1_saveexec_b32 s5, s22
	s_cbranch_execz .LBB56_673
; %bb.672:                              ;   in Loop: Header=BB56_401 Depth=1
	v_cvt_f64_f32_e32 v[46:47], v44
	v_frexp_mant_f32_e32 v50, v44
	v_cmp_neq_f32_e32 vcc_lo, 0x7f800000, v44
	s_delay_alu instid0(VALU_DEP_3) | instskip(NEXT) | instid1(VALU_DEP_1)
	v_frexp_exp_i32_f64_e32 v45, v[46:47]
	v_sub_nc_u32_e32 v46, 0, v45
	s_delay_alu instid0(VALU_DEP_1) | instskip(NEXT) | instid1(VALU_DEP_1)
	v_ldexp_f32 v47, |v36|, v46
	v_mul_f32_e32 v47, v47, v47
	v_ldexp_f32 v46, |v37|, v46
	s_wait_dscnt 0x0
	v_min_num_f32_e32 v33, v35, v33
	v_frexp_exp_i32_f32_e32 v35, v44
	s_delay_alu instid0(VALU_DEP_3)
	v_fmac_f32_e32 v47, v46, v46
	v_rcp_f32_e32 v46, v50
	v_nop
	v_frexp_exp_i32_f32_e32 v50, v33
	v_frexp_mant_f32_e32 v33, v33
	v_sqrt_f32_e32 v47, v47
	s_delay_alu instid0(TRANS32_DEP_2) | instid1(VALU_DEP_1)
	v_dual_sub_nc_u32 v35, v50, v35 :: v_dual_mul_f32 v33, v33, v46
	s_delay_alu instid0(TRANS32_DEP_1) | instskip(NEXT) | instid1(VALU_DEP_2)
	v_ldexp_f32 v45, v47, v45
	v_ldexp_f32 v46, v33, v35
	s_delay_alu instid0(VALU_DEP_2) | instskip(NEXT) | instid1(VALU_DEP_1)
	v_cndmask_b32_e32 v33, 0x7f800000, v45, vcc_lo
	v_cmp_gt_f32_e32 vcc_lo, 0x800000, v33
	v_cndmask_b32_e64 v44, 0, 32, vcc_lo
	v_cndmask_b32_e64 v47, 0, 0x41b17218, vcc_lo
	s_delay_alu instid0(VALU_DEP_2) | instskip(NEXT) | instid1(VALU_DEP_1)
	v_ldexp_f32 v33, v33, v44
	v_log_f32_e32 v33, v33
	v_nop
	s_delay_alu instid0(TRANS32_DEP_1) | instskip(SKIP_1) | instid1(VALU_DEP_1)
	v_cmp_gt_f32_e64 vcc_lo, 0x7f800000, |v33|
	v_mul_f32_e32 v35, v46, v46
	v_fmaak_f32 v45, s17, v35, 0xbc7a590c
	s_delay_alu instid0(VALU_DEP_1) | instskip(SKIP_1) | instid1(VALU_DEP_1)
	v_fmaak_f32 v44, v35, v45, 0x3d29fb3f
	v_mul_f32_e32 v45, 0x3f317217, v33
	v_fma_f32 v45, 0x3f317217, v33, -v45
	s_delay_alu instid0(VALU_DEP_1) | instskip(NEXT) | instid1(VALU_DEP_1)
	v_fmac_f32_e32 v45, 0x3377d1cf, v33
	v_fmac_f32_e32 v45, 0x3f317217, v33
	s_delay_alu instid0(VALU_DEP_1) | instskip(NEXT) | instid1(VALU_DEP_1)
	v_cndmask_b32_e32 v33, v33, v45, vcc_lo
	v_dual_sub_f32 v45, v33, v47 :: v_dual_fmaak_f32 v44, v35, v44, 0xbd97d4d7
	s_delay_alu instid0(VALU_DEP_1) | instskip(NEXT) | instid1(VALU_DEP_1)
	v_fmaak_f32 v44, v35, v44, 0x3dd931b2
	v_fmaak_f32 v44, v35, v44, 0xbe1160e6
	s_delay_alu instid0(VALU_DEP_1) | instskip(NEXT) | instid1(VALU_DEP_1)
	v_fmaak_f32 v44, v35, v44, 0x3e4cb8bf
	v_fmaak_f32 v44, v35, v44, 0xbeaaaa62
	s_delay_alu instid0(VALU_DEP_1) | instskip(NEXT) | instid1(VALU_DEP_1)
	v_mul_f32_e32 v35, v35, v44
	v_fmac_f32_e32 v46, v46, v35
.LBB56_673:                             ;   in Loop: Header=BB56_401 Depth=1
	s_or_b32 exec_lo, exec_lo, s5
                                        ; implicit-def: $vgpr35
                                        ; implicit-def: $vgpr33
                                        ; implicit-def: $vgpr44
.LBB56_674:                             ;   in Loop: Header=BB56_401 Depth=1
	s_and_not1_saveexec_b32 s20, s20
	s_cbranch_execz .LBB56_676
; %bb.675:                              ;   in Loop: Header=BB56_401 Depth=1
	v_div_scale_f32 v45, null, 0x402df854, 0x402df854, v37
	v_div_scale_f32 v46, null, 0x402df854, 0x402df854, v36
	v_div_scale_f32 v53, vcc_lo, v37, 0x402df854, v37
	s_delay_alu instid0(VALU_DEP_3) | instskip(NEXT) | instid1(VALU_DEP_2)
	v_rcp_f32_e32 v47, v45
	v_rcp_f32_e32 v50, v46
	s_wait_dscnt 0x0
	v_min_num_f32_e32 v33, v35, v33
	s_delay_alu instid0(TRANS32_DEP_2) | instskip(NEXT) | instid1(TRANS32_DEP_1)
	v_fma_f32 v51, -v45, v47, 1.0
	v_fma_f32 v52, -v46, v50, 1.0
	s_delay_alu instid0(VALU_DEP_1) | instskip(SKIP_1) | instid1(VALU_DEP_1)
	v_dual_fmac_f32 v47, v51, v47 :: v_dual_fmac_f32 v50, v52, v50
	v_div_scale_f32 v51, s5, v36, 0x402df854, v36
	v_dual_mul_f32 v52, v53, v47 :: v_dual_mul_f32 v54, v51, v50
	s_delay_alu instid0(VALU_DEP_1) | instskip(NEXT) | instid1(VALU_DEP_1)
	v_dual_fma_f32 v55, -v45, v52, v53 :: v_dual_fma_f32 v56, -v46, v54, v51
	v_dual_fmac_f32 v52, v55, v47 :: v_dual_fmac_f32 v54, v56, v50
	s_delay_alu instid0(VALU_DEP_1) | instskip(NEXT) | instid1(VALU_DEP_1)
	v_dual_fma_f32 v45, -v45, v52, v53 :: v_dual_fma_f32 v46, -v46, v54, v51
	v_div_fmas_f32 v45, v45, v47, v52
	s_mov_b32 vcc_lo, s5
	s_delay_alu instid0(VALU_DEP_2) | instskip(NEXT) | instid1(VALU_DEP_2)
	v_div_fmas_f32 v46, v46, v50, v54
	v_div_fixup_f32 v45, v45, 0x402df854, v37
	s_delay_alu instid0(VALU_DEP_2) | instskip(NEXT) | instid1(VALU_DEP_1)
	v_div_fixup_f32 v50, v46, 0x402df854, v36
	v_max_num_f32_e64 v51, v45, |v50|
	s_delay_alu instid0(VALU_DEP_1) | instskip(SKIP_1) | instid1(VALU_DEP_2)
	v_cvt_f64_f32_e32 v[46:47], v51
	v_cmp_neq_f32_e32 vcc_lo, 0x7f800000, v51
	v_frexp_exp_i32_f64_e32 v46, v[46:47]
	s_delay_alu instid0(VALU_DEP_1) | instskip(NEXT) | instid1(VALU_DEP_1)
	v_sub_nc_u32_e32 v47, 0, v46
	v_ldexp_f32 v50, |v50|, v47
	v_ldexp_f32 v45, v45, v47
	s_delay_alu instid0(VALU_DEP_2) | instskip(NEXT) | instid1(VALU_DEP_1)
	v_mul_f32_e32 v47, v50, v50
	v_fmac_f32_e32 v47, v45, v45
	v_frexp_mant_f32_e32 v45, v44
	v_frexp_exp_i32_f32_e32 v44, v44
	s_delay_alu instid0(VALU_DEP_3) | instskip(NEXT) | instid1(VALU_DEP_2)
	v_sqrt_f32_e32 v35, v47
	v_rcp_f32_e32 v45, v45
	v_frexp_exp_i32_f32_e32 v47, v33
	v_frexp_mant_f32_e32 v33, v33
	s_delay_alu instid0(TRANS32_DEP_2)
	v_ldexp_f32 v35, v35, v46
	s_delay_alu instid0(TRANS32_DEP_1) | instid1(VALU_DEP_2)
	v_dual_mul_f32 v33, v33, v45 :: v_dual_sub_nc_u32 v44, v47, v44
	s_delay_alu instid0(VALU_DEP_2) | instskip(NEXT) | instid1(VALU_DEP_2)
	v_cndmask_b32_e32 v35, 0x7f800000, v35, vcc_lo
	v_ldexp_f32 v46, v33, v44
	s_delay_alu instid0(VALU_DEP_2) | instskip(NEXT) | instid1(VALU_DEP_2)
	v_cmp_gt_f32_e32 vcc_lo, 0x800000, v35
	v_mul_f32_e32 v44, v46, v46
	v_cndmask_b32_e64 v33, 0, 32, vcc_lo
	v_cndmask_b32_e64 v47, 0, 0x41b17218, vcc_lo
	s_delay_alu instid0(VALU_DEP_2) | instskip(NEXT) | instid1(VALU_DEP_4)
	v_ldexp_f32 v33, v35, v33
	v_fmaak_f32 v35, s17, v44, 0xbc7a590c
	s_delay_alu instid0(VALU_DEP_2) | instskip(NEXT) | instid1(VALU_DEP_1)
	v_log_f32_e32 v33, v33
	v_fmaak_f32 v35, v44, v35, 0x3d29fb3f
	s_delay_alu instid0(VALU_DEP_1) | instskip(NEXT) | instid1(TRANS32_DEP_1)
	v_fmaak_f32 v35, v44, v35, 0xbd97d4d7
	v_cmp_gt_f32_e64 vcc_lo, 0x7f800000, |v33|
	s_delay_alu instid0(VALU_DEP_2) | instskip(NEXT) | instid1(VALU_DEP_1)
	v_fmaak_f32 v35, v44, v35, 0x3dd931b2
	v_fmaak_f32 v35, v44, v35, 0xbe1160e6
	s_delay_alu instid0(VALU_DEP_1) | instskip(NEXT) | instid1(VALU_DEP_1)
	v_fmaak_f32 v35, v44, v35, 0x3e4cb8bf
	v_fmaak_f32 v35, v44, v35, 0xbeaaaa62
	s_delay_alu instid0(VALU_DEP_1) | instskip(NEXT) | instid1(VALU_DEP_1)
	v_mul_f32_e32 v35, v44, v35
	v_dual_mul_f32 v45, 0x3f317217, v33 :: v_dual_fmac_f32 v46, v46, v35
	s_delay_alu instid0(VALU_DEP_1) | instskip(NEXT) | instid1(VALU_DEP_1)
	v_fma_f32 v45, 0x3f317217, v33, -v45
	v_fmac_f32_e32 v45, 0x3377d1cf, v33
	s_delay_alu instid0(VALU_DEP_1) | instskip(NEXT) | instid1(VALU_DEP_1)
	v_fmac_f32_e32 v45, 0x3f317217, v33
	v_cndmask_b32_e32 v33, v33, v45, vcc_lo
	s_delay_alu instid0(VALU_DEP_1) | instskip(NEXT) | instid1(VALU_DEP_1)
	v_sub_f32_e32 v33, v33, v47
	v_add_f32_e32 v45, 1.0, v33
.LBB56_676:                             ;   in Loop: Header=BB56_401 Depth=1
	s_or_b32 exec_lo, exec_lo, s20
	s_wait_dscnt 0x0
	v_sub_f32_e32 v33, 0x3fc90fdb, v46
	v_cmp_neq_f32_e32 vcc_lo, 0, v36
	v_cmp_class_f32_e64 s20, v37, 0x204
	s_delay_alu instid0(VALU_DEP_3) | instskip(NEXT) | instid1(VALU_DEP_1)
	v_cndmask_b32_e64 v33, v46, v33, s4
	v_cndmask_b32_e32 v46, 0, v33, vcc_lo
                                        ; implicit-def: $vgpr33
.LBB56_677:                             ;   in Loop: Header=BB56_401 Depth=1
	s_and_not1_saveexec_b32 s21, s21
	s_cbranch_execz .LBB56_687
; %bb.678:                              ;   in Loop: Header=BB56_401 Depth=1
	v_cmp_gt_f32_e64 s4, |v36|, -v37
                                        ; implicit-def: $vgpr45
                                        ; implicit-def: $vgpr35
	s_mov_b32 s5, exec_lo
	v_cndmask_b32_e64 v44, -v37, |v36|, s4
	s_delay_alu instid0(VALU_DEP_1)
	v_cmpx_nlt_f32_e32 0x7effffff, v44
	s_xor_b32 s22, exec_lo, s5
	s_cbranch_execz .LBB56_684
; %bb.679:                              ;   in Loop: Header=BB56_401 Depth=1
	v_xor_b32_e32 v35, 0x80000000, v37
	v_cmp_nlt_f32_e32 vcc_lo, 0x5e000000, v44
                                        ; implicit-def: $vgpr45
	s_delay_alu instid0(VALU_DEP_2) | instskip(NEXT) | instid1(VALU_DEP_1)
	v_cndmask_b32_e64 v46, |v36|, v35, s4
                                        ; implicit-def: $vgpr35
	v_cmp_ngt_f32_e64 s5, 0x20000000, v46
	s_and_b32 s5, vcc_lo, s5
	s_delay_alu instid0(SALU_CYCLE_1) | instskip(NEXT) | instid1(SALU_CYCLE_1)
	s_and_saveexec_b32 s23, s5
	s_xor_b32 s23, exec_lo, s23
	s_cbranch_execz .LBB56_681
; %bb.680:                              ;   in Loop: Header=BB56_401 Depth=1
	v_dual_max_num_f32 v35, -v37, -v37 :: v_dual_mul_f32 v46, v46, v46
	s_wait_dscnt 0x0
	s_delay_alu instid0(VALU_DEP_1) | instskip(NEXT) | instid1(VALU_DEP_1)
	v_dual_max_num_f32 v45, v35, v33 :: v_dual_min_num_f32 v33, v35, v33
	v_frexp_mant_f32_e32 v47, v45
	v_frexp_exp_i32_f32_e32 v35, v45
	s_delay_alu instid0(VALU_DEP_2)
	v_rcp_f32_e32 v45, v47
	v_nop
	v_frexp_exp_i32_f32_e32 v47, v33
	v_frexp_mant_f32_e32 v33, v33
	s_delay_alu instid0(TRANS32_DEP_1) | instid1(VALU_DEP_1)
	v_dual_sub_nc_u32 v35, v47, v35 :: v_dual_mul_f32 v33, v33, v45
	s_delay_alu instid0(VALU_DEP_1) | instskip(NEXT) | instid1(VALU_DEP_1)
	v_ldexp_f32 v35, v33, v35
	v_dual_fmac_f32 v46, v44, v44 :: v_dual_mul_f32 v44, v35, v35
	s_delay_alu instid0(VALU_DEP_1) | instskip(NEXT) | instid1(VALU_DEP_2)
	v_cmp_gt_f32_e32 vcc_lo, 0x800000, v46
	v_fmaak_f32 v45, s17, v44, 0xbc7a590c
	v_cndmask_b32_e64 v33, 0, 32, vcc_lo
	s_delay_alu instid0(VALU_DEP_2) | instskip(NEXT) | instid1(VALU_DEP_2)
	v_fmaak_f32 v45, v44, v45, 0x3d29fb3f
	v_ldexp_f32 v33, v46, v33
	s_delay_alu instid0(VALU_DEP_2) | instskip(NEXT) | instid1(VALU_DEP_2)
	v_fmaak_f32 v45, v44, v45, 0xbd97d4d7
	v_log_f32_e32 v33, v33
	s_delay_alu instid0(VALU_DEP_1) | instskip(NEXT) | instid1(TRANS32_DEP_1)
	v_fmaak_f32 v45, v44, v45, 0x3dd931b2
	v_mul_f32_e32 v46, 0x3f317217, v33
	v_cmp_gt_f32_e64 s5, 0x7f800000, |v33|
	s_delay_alu instid0(VALU_DEP_3) | instskip(NEXT) | instid1(VALU_DEP_3)
	v_fmaak_f32 v45, v44, v45, 0xbe1160e6
	v_fma_f32 v46, 0x3f317217, v33, -v46
	s_delay_alu instid0(VALU_DEP_2) | instskip(NEXT) | instid1(VALU_DEP_1)
	v_fmaak_f32 v45, v44, v45, 0x3e4cb8bf
	v_fmaak_f32 v45, v44, v45, 0xbeaaaa62
	s_delay_alu instid0(VALU_DEP_1) | instskip(NEXT) | instid1(VALU_DEP_1)
	v_mul_f32_e32 v44, v44, v45
	v_dual_fmac_f32 v46, 0x3377d1cf, v33 :: v_dual_fmac_f32 v35, v35, v44
	s_delay_alu instid0(VALU_DEP_1) | instskip(NEXT) | instid1(VALU_DEP_1)
	v_fmac_f32_e32 v46, 0x3f317217, v33
	v_cndmask_b32_e64 v33, v33, v46, s5
	v_cndmask_b32_e64 v46, 0, 0x41b17218, vcc_lo
	s_delay_alu instid0(VALU_DEP_1) | instskip(NEXT) | instid1(VALU_DEP_1)
	v_sub_f32_e32 v33, v33, v46
	v_mul_f32_e32 v45, 0.5, v33
                                        ; implicit-def: $vgpr33
.LBB56_681:                             ;   in Loop: Header=BB56_401 Depth=1
	s_and_not1_saveexec_b32 s5, s23
	s_cbranch_execz .LBB56_683
; %bb.682:                              ;   in Loop: Header=BB56_401 Depth=1
	v_max_num_f32_e64 v35, -v37, -v37
	s_wait_dscnt 0x0
	s_delay_alu instid0(VALU_DEP_1) | instskip(NEXT) | instid1(VALU_DEP_1)
	v_max_num_f32_e32 v46, v35, v33
	v_cvt_f64_f32_e32 v[44:45], v46
	s_delay_alu instid0(VALU_DEP_1) | instskip(NEXT) | instid1(VALU_DEP_1)
	v_frexp_exp_i32_f64_e32 v44, v[44:45]
	v_dual_sub_nc_u32 v45, 0, v44 :: v_dual_min_num_f32 v33, v35, v33
	v_frexp_mant_f32_e32 v35, v46
	v_cmp_neq_f32_e32 vcc_lo, 0x7f800000, v46
	s_delay_alu instid0(VALU_DEP_3)
	v_ldexp_f32 v47, |v36|, v45
	v_ldexp_f32 v45, -v37, v45
	v_frexp_exp_i32_f32_e32 v50, v33
	v_rcp_f32_e32 v35, v35
	v_frexp_mant_f32_e32 v33, v33
	v_mul_f32_e32 v47, v47, v47
	s_delay_alu instid0(TRANS32_DEP_1) | instid1(VALU_DEP_2)
	v_mul_f32_e32 v33, v33, v35
	s_delay_alu instid0(VALU_DEP_2) | instskip(SKIP_1) | instid1(VALU_DEP_2)
	v_fmac_f32_e32 v47, v45, v45
	v_frexp_exp_i32_f32_e32 v45, v46
	v_sqrt_f32_e32 v47, v47
	s_delay_alu instid0(VALU_DEP_1) | instskip(NEXT) | instid1(VALU_DEP_1)
	v_sub_nc_u32_e32 v45, v50, v45
	v_ldexp_f32 v35, v33, v45
	s_delay_alu instid0(TRANS32_DEP_1) | instskip(NEXT) | instid1(VALU_DEP_1)
	v_ldexp_f32 v44, v47, v44
	v_dual_cndmask_b32 v33, 0x7f800000, v44 :: v_dual_mul_f32 v44, v35, v35
	s_delay_alu instid0(VALU_DEP_1) | instskip(NEXT) | instid1(VALU_DEP_2)
	v_cmp_gt_f32_e32 vcc_lo, 0x800000, v33
	v_fmaak_f32 v46, s17, v44, 0xbc7a590c
	v_cndmask_b32_e64 v45, 0, 32, vcc_lo
	v_cndmask_b32_e64 v47, 0, 0x41b17218, vcc_lo
	s_delay_alu instid0(VALU_DEP_2) | instskip(NEXT) | instid1(VALU_DEP_4)
	v_ldexp_f32 v33, v33, v45
	v_fmaak_f32 v45, v44, v46, 0x3d29fb3f
	s_delay_alu instid0(VALU_DEP_2) | instskip(NEXT) | instid1(VALU_DEP_1)
	v_log_f32_e32 v33, v33
	v_fmaak_f32 v45, v44, v45, 0xbd97d4d7
	s_delay_alu instid0(VALU_DEP_1) | instskip(NEXT) | instid1(TRANS32_DEP_1)
	v_fmaak_f32 v45, v44, v45, 0x3dd931b2
	v_mul_f32_e32 v46, 0x3f317217, v33
	v_cmp_gt_f32_e64 vcc_lo, 0x7f800000, |v33|
	s_delay_alu instid0(VALU_DEP_3) | instskip(NEXT) | instid1(VALU_DEP_3)
	v_fmaak_f32 v45, v44, v45, 0xbe1160e6
	v_fma_f32 v46, 0x3f317217, v33, -v46
	s_delay_alu instid0(VALU_DEP_2) | instskip(NEXT) | instid1(VALU_DEP_1)
	v_fmaak_f32 v45, v44, v45, 0x3e4cb8bf
	v_fmaak_f32 v45, v44, v45, 0xbeaaaa62
	s_delay_alu instid0(VALU_DEP_1) | instskip(NEXT) | instid1(VALU_DEP_1)
	v_mul_f32_e32 v44, v44, v45
	v_dual_fmac_f32 v46, 0x3377d1cf, v33 :: v_dual_fmac_f32 v35, v35, v44
	s_delay_alu instid0(VALU_DEP_1) | instskip(NEXT) | instid1(VALU_DEP_1)
	v_fmac_f32_e32 v46, 0x3f317217, v33
	v_cndmask_b32_e32 v33, v33, v46, vcc_lo
	s_delay_alu instid0(VALU_DEP_1)
	v_sub_f32_e32 v45, v33, v47
.LBB56_683:                             ;   in Loop: Header=BB56_401 Depth=1
	s_or_b32 exec_lo, exec_lo, s5
                                        ; implicit-def: $vgpr33
.LBB56_684:                             ;   in Loop: Header=BB56_401 Depth=1
	s_and_not1_saveexec_b32 s22, s22
	s_cbranch_execz .LBB56_686
; %bb.685:                              ;   in Loop: Header=BB56_401 Depth=1
	v_div_scale_f32 v35, null, 0xc02df854, 0xc02df854, v37
	v_div_scale_f32 v44, null, 0xc02df854, 0xc02df854, v36
	v_div_scale_f32 v51, vcc_lo, v37, 0xc02df854, v37
	s_delay_alu instid0(VALU_DEP_3) | instskip(NEXT) | instid1(VALU_DEP_2)
	v_rcp_f32_e32 v45, v35
	v_rcp_f32_e32 v46, v44
	s_delay_alu instid0(TRANS32_DEP_2) | instskip(NEXT) | instid1(TRANS32_DEP_1)
	v_fma_f32 v47, -v35, v45, 1.0
	v_fma_f32 v50, -v44, v46, 1.0
	s_delay_alu instid0(VALU_DEP_1) | instskip(SKIP_1) | instid1(VALU_DEP_1)
	v_dual_fmac_f32 v45, v47, v45 :: v_dual_fmac_f32 v46, v50, v46
	v_div_scale_f32 v47, s5, v36, 0xc02df854, v36
	v_mul_f32_e32 v52, v47, v46
	s_delay_alu instid0(VALU_DEP_1) | instskip(NEXT) | instid1(VALU_DEP_1)
	v_dual_mul_f32 v50, v51, v45 :: v_dual_fma_f32 v54, -v44, v52, v47
	v_fma_f32 v53, -v35, v50, v51
	s_delay_alu instid0(VALU_DEP_1) | instskip(NEXT) | instid1(VALU_DEP_1)
	v_dual_fmac_f32 v50, v53, v45 :: v_dual_fmac_f32 v52, v54, v46
	v_fma_f32 v35, -v35, v50, v51
	s_delay_alu instid0(VALU_DEP_2) | instskip(NEXT) | instid1(VALU_DEP_2)
	v_fma_f32 v44, -v44, v52, v47
	v_div_fmas_f32 v35, v35, v45, v50
	s_mov_b32 vcc_lo, s5
	v_max_num_f32_e64 v50, -v37, -v37
	s_delay_alu instid0(VALU_DEP_3) | instskip(NEXT) | instid1(VALU_DEP_3)
	v_div_fmas_f32 v44, v44, v46, v52
	v_div_fixup_f32 v35, v35, 0xc02df854, v37
	s_delay_alu instid0(VALU_DEP_2) | instskip(NEXT) | instid1(VALU_DEP_1)
	v_div_fixup_f32 v46, v44, 0xc02df854, v36
	v_max_num_f32_e64 v47, |v35|, |v46|
	s_delay_alu instid0(VALU_DEP_1) | instskip(SKIP_1) | instid1(VALU_DEP_2)
	v_cvt_f64_f32_e32 v[44:45], v47
	v_cmp_neq_f32_e32 vcc_lo, 0x7f800000, v47
	v_frexp_exp_i32_f64_e32 v44, v[44:45]
	s_delay_alu instid0(VALU_DEP_1) | instskip(NEXT) | instid1(VALU_DEP_1)
	v_sub_nc_u32_e32 v45, 0, v44
	v_ldexp_f32 v46, |v46|, v45
	v_ldexp_f32 v35, |v35|, v45
	s_delay_alu instid0(VALU_DEP_2) | instskip(SKIP_1) | instid1(VALU_DEP_1)
	v_mul_f32_e32 v45, v46, v46
	s_wait_dscnt 0x0
	v_dual_max_num_f32 v46, v50, v33 :: v_dual_fmac_f32 v45, v35, v35
	s_delay_alu instid0(VALU_DEP_1) | instskip(SKIP_2) | instid1(VALU_DEP_4)
	v_frexp_mant_f32_e32 v35, v46
	v_frexp_exp_i32_f32_e32 v46, v46
	v_min_num_f32_e32 v33, v50, v33
	v_sqrt_f32_e32 v45, v45
	s_delay_alu instid0(VALU_DEP_3) | instskip(NEXT) | instid1(VALU_DEP_1)
	v_rcp_f32_e32 v35, v35
	v_frexp_exp_i32_f32_e32 v50, v33
	s_delay_alu instid0(TRANS32_DEP_2) | instskip(NEXT) | instid1(VALU_DEP_2)
	v_ldexp_f32 v44, v45, v44
	v_sub_nc_u32_e32 v45, v50, v46
	v_frexp_mant_f32_e32 v33, v33
	s_delay_alu instid0(TRANS32_DEP_1) | instid1(VALU_DEP_1)
	v_mul_f32_e32 v33, v33, v35
	s_delay_alu instid0(VALU_DEP_1) | instskip(NEXT) | instid1(VALU_DEP_1)
	v_ldexp_f32 v35, v33, v45
	v_dual_cndmask_b32 v44, 0x7f800000, v44 :: v_dual_mul_f32 v45, v35, v35
	s_delay_alu instid0(VALU_DEP_1) | instskip(SKIP_2) | instid1(VALU_DEP_2)
	v_cmp_gt_f32_e32 vcc_lo, 0x800000, v44
	v_cndmask_b32_e64 v33, 0, 32, vcc_lo
	v_cndmask_b32_e64 v47, 0, 0x41b17218, vcc_lo
	v_ldexp_f32 v33, v44, v33
	s_delay_alu instid0(VALU_DEP_1) | instskip(SKIP_1) | instid1(TRANS32_DEP_1)
	v_log_f32_e32 v33, v33
	v_nop
	v_mul_f32_e32 v46, 0x3f317217, v33
	v_cmp_gt_f32_e64 vcc_lo, 0x7f800000, |v33|
	s_delay_alu instid0(VALU_DEP_2) | instskip(NEXT) | instid1(VALU_DEP_1)
	v_fma_f32 v46, 0x3f317217, v33, -v46
	v_fmac_f32_e32 v46, 0x3377d1cf, v33
	s_delay_alu instid0(VALU_DEP_1) | instskip(NEXT) | instid1(VALU_DEP_1)
	v_fmac_f32_e32 v46, 0x3f317217, v33
	v_cndmask_b32_e32 v33, v33, v46, vcc_lo
	s_delay_alu instid0(VALU_DEP_1) | instskip(NEXT) | instid1(VALU_DEP_1)
	v_dual_fmaak_f32 v44, s17, v45, 0xbc7a590c :: v_dual_sub_f32 v33, v33, v47
	v_fmaak_f32 v44, v45, v44, 0x3d29fb3f
	s_delay_alu instid0(VALU_DEP_1) | instskip(NEXT) | instid1(VALU_DEP_1)
	v_fmaak_f32 v44, v45, v44, 0xbd97d4d7
	v_fmaak_f32 v44, v45, v44, 0x3dd931b2
	s_delay_alu instid0(VALU_DEP_1) | instskip(NEXT) | instid1(VALU_DEP_1)
	v_fmaak_f32 v44, v45, v44, 0xbe1160e6
	;; [unrolled: 3-line block ×3, first 2 shown]
	v_dual_mul_f32 v44, v45, v44 :: v_dual_add_f32 v45, 1.0, v33
	s_delay_alu instid0(VALU_DEP_1)
	v_fmac_f32_e32 v35, v35, v44
.LBB56_686:                             ;   in Loop: Header=BB56_401 Depth=1
	s_or_b32 exec_lo, exec_lo, s22
	s_wait_dscnt 0x0
	s_delay_alu instid0(VALU_DEP_1) | instskip(SKIP_1) | instid1(VALU_DEP_2)
	v_sub_f32_e32 v33, 0x3fc90fdb, v35
	v_cmp_eq_f32_e32 vcc_lo, 0xff800000, v37
	v_cndmask_b32_e64 v33, v35, v33, s4
	v_cmp_neq_f32_e64 s4, 0, v36
	s_and_b32 s5, vcc_lo, exec_lo
	v_cndmask_b32_e64 v46, 0, v33, s4
	s_and_not1_b32 s4, s20, exec_lo
	s_delay_alu instid0(SALU_CYCLE_1)
	s_or_b32 s20, s4, s5
.LBB56_687:                             ;   in Loop: Header=BB56_401 Depth=1
	s_or_b32 exec_lo, exec_lo, s21
	v_cmp_class_f32_e64 s4, v36, 0x204
	v_add_f32_e32 v35, 0x3f317218, v45
	s_and_b32 s4, s4, s20
	s_delay_alu instid0(VALU_DEP_1) | instskip(SKIP_2) | instid1(VALU_DEP_1)
	v_bfi_b32 v37, 0x7fffffff, v35, v37
	s_wait_dscnt 0x0
	v_cndmask_b32_e64 v33, v46, 0x3f490fdb, s4
	v_bfi_b32 v36, 0x7fffffff, v33, v36
.LBB56_688:                             ;   in Loop: Header=BB56_401 Depth=1
	s_or_b32 exec_lo, exec_lo, s19
.LBB56_689:                             ;   in Loop: Header=BB56_401 Depth=1
	s_and_not1_saveexec_b32 s4, s18
	s_cbranch_execz .LBB56_703
; %bb.690:                              ;   in Loop: Header=BB56_401 Depth=1
	v_cmp_neq_f32_e64 s5, 0x7f800000, |v37|
                                        ; implicit-def: $vgpr33
	s_and_saveexec_b32 s18, s5
	s_delay_alu instid0(SALU_CYCLE_1)
	s_xor_b32 s5, exec_lo, s18
	s_cbranch_execz .LBB56_700
; %bb.691:                              ;   in Loop: Header=BB56_401 Depth=1
	v_cmp_neq_f32_e64 s18, 0x7f800000, |v36|
                                        ; implicit-def: $vgpr33
	s_and_saveexec_b32 s19, s18
	s_delay_alu instid0(SALU_CYCLE_1)
	s_xor_b32 s18, exec_lo, s19
	s_cbranch_execz .LBB56_697
; %bb.692:                              ;   in Loop: Header=BB56_401 Depth=1
	s_mov_b32 s19, exec_lo
	v_cmpx_neq_f32_e32 0, v36
	s_xor_b32 s19, exec_lo, s19
	s_cbranch_execz .LBB56_694
; %bb.693:                              ;   in Loop: Header=BB56_401 Depth=1
	s_wait_dscnt 0x0
	v_add_f32_e32 v33, 0, v37
	s_delay_alu instid0(VALU_DEP_1)
	v_add_f32_e32 v37, v36, v33
.LBB56_694:                             ;   in Loop: Header=BB56_401 Depth=1
	s_or_saveexec_b32 s19, s19
	s_wait_dscnt 0x0
	s_delay_alu instid0(VALU_DEP_1)
	v_mov_b32_e32 v33, v37
	s_xor_b32 exec_lo, exec_lo, s19
; %bb.695:                              ;   in Loop: Header=BB56_401 Depth=1
	v_dual_add_f32 v37, v37, v37 :: v_dual_mov_b32 v33, v36
; %bb.696:                              ;   in Loop: Header=BB56_401 Depth=1
	s_or_b32 exec_lo, exec_lo, s19
.LBB56_697:                             ;   in Loop: Header=BB56_401 Depth=1
	s_and_not1_saveexec_b32 s18, s18
	s_cbranch_execz .LBB56_699
; %bb.698:                              ;   in Loop: Header=BB56_401 Depth=1
	s_wait_dscnt 0x0
	v_dual_add_f32 v33, v37, v37 :: v_dual_mov_b32 v37, v36
.LBB56_699:                             ;   in Loop: Header=BB56_401 Depth=1
	s_or_b32 exec_lo, exec_lo, s18
.LBB56_700:                             ;   in Loop: Header=BB56_401 Depth=1
	s_and_not1_saveexec_b32 s5, s5
	s_cbranch_execz .LBB56_702
; %bb.701:                              ;   in Loop: Header=BB56_401 Depth=1
	s_wait_dscnt 0x0
	v_add_f32_e32 v33, v36, v36
.LBB56_702:                             ;   in Loop: Header=BB56_401 Depth=1
	s_or_b32 exec_lo, exec_lo, s5
	s_wait_dscnt 0x0
	s_delay_alu instid0(VALU_DEP_1)
	v_mov_b32_e32 v36, v33
.LBB56_703:                             ;   in Loop: Header=BB56_401 Depth=1
	s_or_b32 exec_lo, exec_lo, s4
	s_delay_alu instid0(SALU_CYCLE_1)
	s_mov_b32 s4, exec_lo
	v_cmpx_o_f32_e32 v43, v42
	s_xor_b32 s18, exec_lo, s4
	s_cbranch_execnz .LBB56_709
; %bb.704:                              ;   in Loop: Header=BB56_401 Depth=1
	s_and_not1_saveexec_b32 s4, s18
	s_cbranch_execnz .LBB56_792
.LBB56_705:                             ;   in Loop: Header=BB56_401 Depth=1
	s_or_b32 exec_lo, exec_lo, s4
	s_and_saveexec_b32 s4, s0
	s_delay_alu instid0(SALU_CYCLE_1)
	s_xor_b32 s0, exec_lo, s4
	s_cbranch_execnz .LBB56_805
.LBB56_706:                             ;   in Loop: Header=BB56_401 Depth=1
	s_or_b32 exec_lo, exec_lo, s0
	s_and_saveexec_b32 s0, s1
	s_cbranch_execnz .LBB56_806
.LBB56_707:                             ;   in Loop: Header=BB56_401 Depth=1
	s_or_b32 exec_lo, exec_lo, s0
	s_and_saveexec_b32 s0, s2
	s_cbranch_execnz .LBB56_807
.LBB56_708:                             ;   in Loop: Header=BB56_401 Depth=1
	s_or_b32 exec_lo, exec_lo, s0
	s_and_saveexec_b32 s0, s3
	s_cbranch_execz .LBB56_400
	s_branch .LBB56_808
.LBB56_709:                             ;   in Loop: Header=BB56_401 Depth=1
	s_wait_dscnt 0x0
	v_max_num_f32_e64 v33, |v42|, |v42|
	v_max_num_f32_e64 v35, |v43|, |v43|
	s_mov_b32 s4, exec_lo
	s_delay_alu instid0(VALU_DEP_1) | instskip(NEXT) | instid1(VALU_DEP_1)
	v_max_num_f32_e32 v44, v35, v33
	v_cmpx_nlt_f32_e32 0x4b000000, v44
	s_xor_b32 s19, exec_lo, s4
	s_cbranch_execz .LBB56_769
; %bb.710:                              ;   in Loop: Header=BB56_401 Depth=1
	v_cmp_neq_f32_e32 vcc_lo, 0, v43
	v_cmp_neq_f32_e64 s4, 0, v42
	s_or_b32 s4, vcc_lo, s4
	s_delay_alu instid0(SALU_CYCLE_1)
	s_and_saveexec_b32 s20, s4
	s_cbranch_execz .LBB56_768
; %bb.711:                              ;   in Loop: Header=BB56_401 Depth=1
	flat_store_b32 v[6:7], v48 scope:SCOPE_SYS
	s_wait_storecnt 0x0
	flat_load_b32 v33, v[6:7] scope:SCOPE_SYS
	s_wait_loadcnt 0x0
	v_cmp_ngt_f32_e64 s4, 0x395db3d7, |v43|
	v_cmp_ngt_f32_e64 s5, 0x395db3d7, |v42|
	s_or_b32 s4, s4, s5
	s_wait_dscnt 0x0
	v_add_f32_e32 v33, 1.0, v33
	flat_store_b32 v[12:13], v33 scope:SCOPE_SYS
	s_wait_storecnt 0x0
	flat_load_b32 v33, v[12:13] scope:SCOPE_SYS
	s_wait_loadcnt 0x0
	s_wait_xcnt 0x0
	s_and_saveexec_b32 s21, s4
	s_cbranch_execz .LBB56_767
; %bb.712:                              ;   in Loop: Header=BB56_401 Depth=1
	v_add_f32_e64 v51, |v42|, 1.0
	v_add_f32_e64 v50, |v42|, -1.0
	s_mov_b32 s4, exec_lo
	s_wait_dscnt 0x0
	s_delay_alu instid0(VALU_DEP_2) | instskip(NEXT) | instid1(VALU_DEP_2)
	v_max_num_f32_e32 v33, v35, v51
	v_max_num_f32_e64 v35, v35, |v50|
	s_delay_alu instid0(VALU_DEP_2) | instskip(NEXT) | instid1(VALU_DEP_2)
	v_cvt_f64_f32_e32 v[44:45], v33
	v_cvt_f64_f32_e32 v[46:47], v35
	s_delay_alu instid0(VALU_DEP_2) | instskip(NEXT) | instid1(VALU_DEP_2)
	v_frexp_exp_i32_f64_e32 v44, v[44:45]
	v_frexp_exp_i32_f64_e32 v45, v[46:47]
	s_delay_alu instid0(VALU_DEP_2) | instskip(SKIP_1) | instid1(VALU_DEP_2)
	v_sub_nc_u32_e32 v46, 0, v44
	v_cmp_neq_f32_e32 vcc_lo, 0x7f800000, v33
	v_ldexp_f32 v52, v51, v46
	s_delay_alu instid0(VALU_DEP_4) | instskip(SKIP_1) | instid1(VALU_DEP_3)
	v_sub_nc_u32_e32 v47, 0, v45
	v_ldexp_f32 v46, |v43|, v46
	v_mul_f32_e32 v52, v52, v52
	s_delay_alu instid0(VALU_DEP_3) | instskip(SKIP_1) | instid1(VALU_DEP_2)
	v_ldexp_f32 v53, |v50|, v47
	v_ldexp_f32 v47, |v43|, v47
	v_dual_fmac_f32 v52, v46, v46 :: v_dual_mul_f32 v53, v53, v53
	s_delay_alu instid0(VALU_DEP_1) | instskip(NEXT) | instid1(VALU_DEP_1)
	v_sqrt_f32_e32 v46, v52
	v_fmac_f32_e32 v53, v47, v47
	s_delay_alu instid0(VALU_DEP_1) | instskip(NEXT) | instid1(TRANS32_DEP_2)
	v_sqrt_f32_e32 v47, v53
	v_ldexp_f32 v44, v46, v44
	s_delay_alu instid0(VALU_DEP_1) | instskip(NEXT) | instid1(TRANS32_DEP_1)
	v_cndmask_b32_e32 v53, 0x7f800000, v44, vcc_lo
	v_ldexp_f32 v45, v47, v45
	v_cmp_neq_f32_e32 vcc_lo, 0x7f800000, v35
	s_delay_alu instid0(VALU_DEP_2) | instskip(NEXT) | instid1(VALU_DEP_1)
	v_cndmask_b32_e32 v46, 0x7f800000, v45, vcc_lo
	v_add_f32_e32 v33, v53, v46
	s_delay_alu instid0(VALU_DEP_1) | instskip(NEXT) | instid1(VALU_DEP_1)
	v_mul_f32_e32 v33, 0.5, v33
	v_cmp_ngt_f32_e32 vcc_lo, 1.0, v33
	v_cndmask_b32_e32 v44, 1.0, v33, vcc_lo
                                        ; implicit-def: $vgpr33
	s_delay_alu instid0(VALU_DEP_1)
	v_cmpx_ngt_f32_e32 0x41200000, v44
	s_xor_b32 s5, exec_lo, s4
	s_cbranch_execz .LBB56_714
; %bb.713:                              ;   in Loop: Header=BB56_401 Depth=1
	v_fma_f32 v33, v44, v44, -1.0
	s_delay_alu instid0(VALU_DEP_1) | instskip(SKIP_1) | instid1(VALU_DEP_2)
	v_mul_f32_e32 v35, 0x4f800000, v33
	v_cmp_gt_f32_e32 vcc_lo, 0xf800000, v33
	v_cndmask_b32_e32 v33, v33, v35, vcc_lo
	s_delay_alu instid0(VALU_DEP_1) | instskip(SKIP_1) | instid1(TRANS32_DEP_1)
	v_sqrt_f32_e32 v35, v33
	v_nop
	v_dual_add_nc_u32 v45, -1, v35 :: v_dual_add_nc_u32 v47, 1, v35
	s_delay_alu instid0(VALU_DEP_1) | instskip(NEXT) | instid1(VALU_DEP_1)
	v_dual_fma_f32 v52, -v45, v35, v33 :: v_dual_fma_f32 v54, -v47, v35, v33
	v_cmp_ge_f32_e64 s4, 0, v52
	s_delay_alu instid0(VALU_DEP_1) | instskip(NEXT) | instid1(VALU_DEP_3)
	v_cndmask_b32_e64 v35, v35, v45, s4
	v_cmp_lt_f32_e64 s4, 0, v54
	s_delay_alu instid0(VALU_DEP_1) | instskip(NEXT) | instid1(VALU_DEP_1)
	v_cndmask_b32_e64 v35, v35, v47, s4
	v_mul_f32_e32 v45, 0x37800000, v35
	s_delay_alu instid0(VALU_DEP_1) | instskip(SKIP_1) | instid1(VALU_DEP_2)
	v_cndmask_b32_e32 v35, v35, v45, vcc_lo
	v_cmp_class_f32_e64 vcc_lo, v33, 0x260
	v_cndmask_b32_e32 v33, v35, v33, vcc_lo
	s_delay_alu instid0(VALU_DEP_1) | instskip(NEXT) | instid1(VALU_DEP_1)
	v_add_f32_e32 v33, v44, v33
	v_cmp_gt_f32_e32 vcc_lo, 0x800000, v33
	s_delay_alu instid0(VALU_DEP_4) | instskip(NEXT) | instid1(VALU_DEP_1)
	v_cndmask_b32_e64 v35, 0, 32, vcc_lo
	v_ldexp_f32 v33, v33, v35
	s_delay_alu instid0(VALU_DEP_1) | instskip(SKIP_1) | instid1(TRANS32_DEP_1)
	v_log_f32_e32 v33, v33
	v_nop
	v_mul_f32_e32 v35, 0x3f317217, v33
	v_cmp_gt_f32_e64 s4, 0x7f800000, |v33|
	s_delay_alu instid0(VALU_DEP_2) | instskip(NEXT) | instid1(VALU_DEP_1)
	v_fma_f32 v35, 0x3f317217, v33, -v35
	v_fmac_f32_e32 v35, 0x3377d1cf, v33
	s_delay_alu instid0(VALU_DEP_1) | instskip(NEXT) | instid1(VALU_DEP_1)
	v_fmac_f32_e32 v35, 0x3f317217, v33
	v_cndmask_b32_e64 v33, v33, v35, s4
	v_cndmask_b32_e64 v35, 0, 0x41b17218, vcc_lo
	s_delay_alu instid0(VALU_DEP_1)
	v_sub_f32_e32 v33, v33, v35
.LBB56_714:                             ;   in Loop: Header=BB56_401 Depth=1
	s_or_saveexec_b32 s5, s5
	v_and_b32_e32 v52, 0x7fffffff, v43
	s_xor_b32 exec_lo, exec_lo, s5
	s_cbranch_execz .LBB56_736
; %bb.715:                              ;   in Loop: Header=BB56_401 Depth=1
	v_cmp_neq_f32_e64 s4, |v42|, 1.0
	v_cmp_ngt_f32_e64 s22, 0x25000000, |v43|
                                        ; implicit-def: $vgpr33
	s_or_b32 s4, s22, s4
	s_delay_alu instid0(SALU_CYCLE_1) | instskip(NEXT) | instid1(SALU_CYCLE_1)
	s_and_saveexec_b32 s22, s4
	s_xor_b32 s22, exec_lo, s22
	s_cbranch_execz .LBB56_733
; %bb.716:                              ;   in Loop: Header=BB56_401 Depth=1
	v_mul_f32_e64 v33, 0x34000000, |v50|
	s_delay_alu instid0(VALU_DEP_1) | instskip(SKIP_1) | instid1(SALU_CYCLE_1)
	v_cmp_ge_f32_e64 s4, |v43|, v33
                                        ; implicit-def: $vgpr33
	s_and_saveexec_b32 s23, s4
	s_xor_b32 s23, exec_lo, s23
	s_cbranch_execz .LBB56_726
; %bb.717:                              ;   in Loop: Header=BB56_401 Depth=1
	v_mov_b32_e32 v33, v52
	s_mov_b32 s4, exec_lo
	v_cmpx_neq_f32_e32 0, v51
	s_cbranch_execz .LBB56_719
; %bb.718:                              ;   in Loop: Header=BB56_401 Depth=1
	v_mul_f32_e32 v33, v43, v43
	v_add_f32_e32 v35, v51, v53
	s_delay_alu instid0(VALU_DEP_1) | instskip(NEXT) | instid1(VALU_DEP_1)
	v_div_scale_f32 v45, null, v35, v35, v33
	v_rcp_f32_e32 v47, v45
	v_nop
	s_delay_alu instid0(TRANS32_DEP_1) | instskip(NEXT) | instid1(VALU_DEP_1)
	v_fma_f32 v54, -v45, v47, 1.0
	v_fmac_f32_e32 v47, v54, v47
	v_div_scale_f32 v54, vcc_lo, v33, v35, v33
	s_delay_alu instid0(VALU_DEP_1) | instskip(NEXT) | instid1(VALU_DEP_1)
	v_mul_f32_e32 v55, v54, v47
	v_fma_f32 v56, -v45, v55, v54
	s_delay_alu instid0(VALU_DEP_1) | instskip(NEXT) | instid1(VALU_DEP_1)
	v_fmac_f32_e32 v55, v56, v47
	v_fma_f32 v45, -v45, v55, v54
	s_delay_alu instid0(VALU_DEP_1) | instskip(NEXT) | instid1(VALU_DEP_1)
	v_div_fmas_f32 v45, v45, v47, v55
	v_div_fixup_f32 v33, v45, v35, v33
.LBB56_719:                             ;   in Loop: Header=BB56_401 Depth=1
	s_or_b32 exec_lo, exec_lo, s4
	v_sub_f32_e64 v45, 1.0, |v42|
	s_mov_b32 s4, exec_lo
                                        ; implicit-def: $vgpr35
	s_delay_alu instid0(VALU_DEP_1)
	v_cmpx_ngt_f32_e32 0, v45
	s_xor_b32 s4, exec_lo, s4
	s_cbranch_execz .LBB56_723
; %bb.720:                              ;   in Loop: Header=BB56_401 Depth=1
	v_mov_b32_e32 v35, v52
	s_mov_b32 s24, exec_lo
	v_cmpx_neq_f32_e32 0, v45
	s_cbranch_execz .LBB56_722
; %bb.721:                              ;   in Loop: Header=BB56_401 Depth=1
	v_dual_mul_f32 v35, v43, v43 :: v_dual_add_f32 v45, v45, v46
	s_delay_alu instid0(VALU_DEP_1) | instskip(NEXT) | instid1(VALU_DEP_1)
	v_div_scale_f32 v47, null, v45, v45, v35
	v_rcp_f32_e32 v54, v47
	v_nop
	s_delay_alu instid0(TRANS32_DEP_1) | instskip(NEXT) | instid1(VALU_DEP_1)
	v_fma_f32 v55, -v47, v54, 1.0
	v_fmac_f32_e32 v54, v55, v54
	v_div_scale_f32 v55, vcc_lo, v35, v45, v35
	s_delay_alu instid0(VALU_DEP_1) | instskip(NEXT) | instid1(VALU_DEP_1)
	v_mul_f32_e32 v56, v55, v54
	v_fma_f32 v57, -v47, v56, v55
	s_delay_alu instid0(VALU_DEP_1) | instskip(NEXT) | instid1(VALU_DEP_1)
	v_fmac_f32_e32 v56, v57, v54
	v_fma_f32 v47, -v47, v56, v55
	s_delay_alu instid0(VALU_DEP_1) | instskip(NEXT) | instid1(VALU_DEP_1)
	v_div_fmas_f32 v47, v47, v54, v56
	v_div_fixup_f32 v35, v47, v45, v35
.LBB56_722:                             ;   in Loop: Header=BB56_401 Depth=1
	s_or_b32 exec_lo, exec_lo, s24
                                        ; implicit-def: $vgpr45
.LBB56_723:                             ;   in Loop: Header=BB56_401 Depth=1
	s_and_not1_saveexec_b32 s4, s4
; %bb.724:                              ;   in Loop: Header=BB56_401 Depth=1
	v_sub_f32_e32 v35, v46, v45
; %bb.725:                              ;   in Loop: Header=BB56_401 Depth=1
	s_or_b32 exec_lo, exec_lo, s4
	s_delay_alu instid0(VALU_DEP_1) | instskip(NEXT) | instid1(VALU_DEP_1)
	v_dual_mul_f32 v45, 0.5, v33 :: v_dual_mul_f32 v33, 0.5, v35
	v_pk_add_f32 v[54:55], v[44:45], v[32:33]
	s_delay_alu instid0(VALU_DEP_1) | instskip(NEXT) | instid1(VALU_DEP_1)
	v_mul_f32_e32 v33, v54, v55
	v_mul_f32_e32 v35, 0x4f800000, v33
	v_cmp_gt_f32_e32 vcc_lo, 0xf800000, v33
	s_delay_alu instid0(VALU_DEP_2) | instskip(NEXT) | instid1(VALU_DEP_1)
	v_cndmask_b32_e32 v33, v33, v35, vcc_lo
	v_sqrt_f32_e32 v35, v33
	v_nop
	s_delay_alu instid0(TRANS32_DEP_1) | instskip(NEXT) | instid1(VALU_DEP_1)
	v_dual_add_nc_u32 v45, -1, v35 :: v_dual_add_nc_u32 v47, 1, v35
	v_dual_fma_f32 v54, -v45, v35, v33 :: v_dual_fma_f32 v56, -v47, v35, v33
	s_delay_alu instid0(VALU_DEP_1) | instskip(NEXT) | instid1(VALU_DEP_1)
	v_cmp_ge_f32_e64 s4, 0, v54
	v_cndmask_b32_e64 v35, v35, v45, s4
	s_delay_alu instid0(VALU_DEP_3) | instskip(NEXT) | instid1(VALU_DEP_1)
	v_cmp_lt_f32_e64 s4, 0, v56
	v_cndmask_b32_e64 v35, v35, v47, s4
	s_delay_alu instid0(VALU_DEP_1) | instskip(NEXT) | instid1(VALU_DEP_1)
	v_mul_f32_e32 v45, 0x37800000, v35
	v_cndmask_b32_e32 v35, v35, v45, vcc_lo
	v_cmp_class_f32_e64 vcc_lo, v33, 0x260
	s_delay_alu instid0(VALU_DEP_2) | instskip(NEXT) | instid1(VALU_DEP_1)
	v_cndmask_b32_e32 v33, v35, v33, vcc_lo
	v_add_f32_e32 v54, v55, v33
	s_delay_alu instid0(VALU_DEP_1) | instskip(NEXT) | instid1(VALU_DEP_1)
	v_add_f32_e32 v57, 1.0, v54
	v_cvt_f64_f32_e32 v[58:59], v57
	v_frexp_mant_f32_e32 v35, v57
	v_add_f32_e32 v55, -1.0, v57
	s_delay_alu instid0(VALU_DEP_2) | instskip(NEXT) | instid1(VALU_DEP_2)
	v_cmp_gt_f32_e32 vcc_lo, 0x3f2aaaab, v35
	v_mov_b32_e32 v56, v55
	v_frexp_exp_i32_f64_e32 v33, v[58:59]
	s_delay_alu instid0(VALU_DEP_2) | instskip(NEXT) | instid1(VALU_DEP_1)
	v_pk_add_f32 v[58:59], v[54:55], v[56:57] neg_lo:[0,1] neg_hi:[0,1]
	v_add_f32_e32 v47, 1.0, v59
	s_delay_alu instid0(VALU_DEP_1) | instskip(NEXT) | instid1(VALU_DEP_4)
	v_add_f32_e32 v47, v58, v47
	v_subrev_co_ci_u32_e64 v33, null, 0, v33, vcc_lo
	v_cmp_neq_f32_e32 vcc_lo, 0x7f800000, v54
	s_delay_alu instid0(VALU_DEP_2) | instskip(NEXT) | instid1(VALU_DEP_1)
	v_sub_nc_u32_e32 v35, 0, v33
	v_ldexp_f32 v45, v57, v35
	s_delay_alu instid0(VALU_DEP_1) | instskip(NEXT) | instid1(VALU_DEP_1)
	v_dual_add_f32 v55, 1.0, v45 :: v_dual_add_f32 v61, -1.0, v45
	v_add_f32_e32 v56, -1.0, v55
	v_ldexp_f32 v35, v47, v35
	s_delay_alu instid0(VALU_DEP_2) | instskip(NEXT) | instid1(VALU_DEP_1)
	v_dual_sub_f32 v47, v45, v56 :: v_dual_add_f32 v56, 1.0, v61
	v_dual_add_f32 v47, v35, v47 :: v_dual_sub_f32 v45, v45, v56
	s_delay_alu instid0(VALU_DEP_1) | instskip(NEXT) | instid1(VALU_DEP_1)
	v_add_f32_e32 v35, v35, v45
	v_add_f32_e32 v57, v61, v35
	s_delay_alu instid0(VALU_DEP_3) | instskip(NEXT) | instid1(VALU_DEP_1)
	v_add_f32_e32 v62, v55, v47
	v_rcp_f32_e32 v45, v62
	v_nop
	s_delay_alu instid0(TRANS32_DEP_1) | instskip(NEXT) | instid1(VALU_DEP_1)
	v_dual_mul_f32 v63, v57, v45 :: v_dual_sub_f32 v55, v62, v55
	v_mul_f32_e32 v58, v62, v63
	s_delay_alu instid0(VALU_DEP_2) | instskip(NEXT) | instid1(VALU_DEP_2)
	v_sub_f32_e32 v47, v47, v55
	v_dual_fma_f32 v60, v63, v62, -v58 :: v_dual_sub_f32 v55, v57, v61
	s_delay_alu instid0(VALU_DEP_1) | instskip(NEXT) | instid1(VALU_DEP_1)
	v_fmac_f32_e32 v60, v63, v47
	v_dual_sub_f32 v35, v35, v55 :: v_dual_add_f32 v56, v58, v60
	s_delay_alu instid0(VALU_DEP_1) | instskip(NEXT) | instid1(VALU_DEP_1)
	v_dual_sub_f32 v59, v57, v56 :: v_dual_mov_b32 v61, v56
	v_pk_add_f32 v[56:57], v[56:57], v[58:59] neg_lo:[0,1] neg_hi:[0,1]
	s_delay_alu instid0(VALU_DEP_1) | instskip(NEXT) | instid1(VALU_DEP_1)
	v_pk_add_f32 v[56:57], v[56:57], v[60:61] neg_lo:[0,1] neg_hi:[0,1]
	v_add_f32_e32 v35, v35, v57
	s_delay_alu instid0(VALU_DEP_1) | instskip(NEXT) | instid1(VALU_DEP_1)
	v_add_f32_e32 v35, v56, v35
	v_add_f32_e32 v57, v59, v35
	s_delay_alu instid0(VALU_DEP_1) | instskip(NEXT) | instid1(VALU_DEP_1)
	v_mul_f32_e32 v55, v45, v57
	v_mul_f32_e32 v60, v62, v55
	s_delay_alu instid0(VALU_DEP_1) | instskip(NEXT) | instid1(VALU_DEP_1)
	v_fma_f32 v58, v55, v62, -v60
	v_fmac_f32_e32 v58, v55, v47
	s_delay_alu instid0(VALU_DEP_1) | instskip(NEXT) | instid1(VALU_DEP_1)
	v_dual_add_f32 v56, v60, v58 :: v_dual_sub_f32 v47, v59, v57
	v_dual_sub_f32 v61, v57, v56 :: v_dual_mov_b32 v59, v56
	s_delay_alu instid0(VALU_DEP_2) | instskip(SKIP_1) | instid1(VALU_DEP_3)
	v_add_f32_e32 v35, v35, v47
	v_add_f32_e32 v47, v63, v55
	v_pk_add_f32 v[56:57], v[56:57], v[60:61] neg_lo:[0,1] neg_hi:[0,1]
	s_delay_alu instid0(VALU_DEP_1) | instskip(NEXT) | instid1(VALU_DEP_1)
	v_pk_add_f32 v[56:57], v[56:57], v[58:59] neg_lo:[0,1] neg_hi:[0,1]
	v_add_f32_e32 v35, v35, v57
	s_delay_alu instid0(VALU_DEP_1) | instskip(SKIP_1) | instid1(VALU_DEP_1)
	v_add_f32_e32 v35, v56, v35
	v_sub_f32_e32 v56, v47, v63
	v_dual_add_f32 v35, v61, v35 :: v_dual_sub_f32 v55, v55, v56
	v_cvt_f32_i32_e32 v56, v33
	s_delay_alu instid0(VALU_DEP_2) | instskip(NEXT) | instid1(VALU_DEP_1)
	v_mul_f32_e32 v35, v45, v35
	v_add_f32_e32 v45, v55, v35
	s_delay_alu instid0(VALU_DEP_1) | instskip(NEXT) | instid1(VALU_DEP_1)
	v_add_f32_e32 v55, v47, v45
	v_mul_f32_e32 v35, v55, v55
	v_ldexp_f32 v61, v55, 1
	v_sub_f32_e32 v33, v55, v47
	s_delay_alu instid0(VALU_DEP_1) | instskip(NEXT) | instid1(VALU_DEP_1)
	v_dual_fmaak_f32 v58, s15, v35, 0x3ecc95a3 :: v_dual_sub_f32 v33, v45, v33
	v_ldexp_f32 v33, v33, 1
	v_mul_f32_e32 v57, v55, v35
	s_delay_alu instid0(VALU_DEP_3) | instskip(NEXT) | instid1(VALU_DEP_1)
	v_fmaak_f32 v35, v35, v58, 0x3f2aaada
	v_pk_mul_f32 v[58:59], v[56:57], v[34:35]
	s_delay_alu instid0(VALU_DEP_1) | instskip(SKIP_1) | instid1(VALU_DEP_2)
	v_fma_f32 v60, 0x3f317218, v56, -v58
	v_mov_b32_e32 v62, v58
	v_fmac_f32_e32 v60, 0xb102e308, v56
	s_delay_alu instid0(VALU_DEP_1) | instskip(NEXT) | instid1(VALU_DEP_1)
	v_pk_add_f32 v[56:57], v[58:59], v[60:61]
	v_dual_sub_f32 v35, v57, v61 :: v_dual_mov_b32 v61, v56
	s_delay_alu instid0(VALU_DEP_1) | instskip(SKIP_1) | instid1(VALU_DEP_2)
	v_dual_mov_b32 v70, v57 :: v_dual_sub_f32 v35, v59, v35
	v_pk_add_f32 v[58:59], v[56:57], v[58:59] neg_lo:[0,1] neg_hi:[0,1]
	v_add_f32_e32 v63, v33, v35
	s_delay_alu instid0(VALU_DEP_1) | instskip(NEXT) | instid1(VALU_DEP_1)
	v_pk_add_f32 v[64:65], v[56:57], v[62:63]
	v_mov_b32_e32 v59, v65
	s_delay_alu instid0(VALU_DEP_1) | instskip(SKIP_2) | instid1(VALU_DEP_3)
	v_pk_add_f32 v[66:67], v[60:61], v[58:59]
	v_mov_b32_e32 v66, v65
	v_pk_add_f32 v[58:59], v[60:61], v[58:59] neg_lo:[0,1] neg_hi:[0,1]
	v_dual_mov_b32 v62, v67 :: v_dual_mov_b32 v59, v67
	s_delay_alu instid0(VALU_DEP_1) | instskip(SKIP_1) | instid1(VALU_DEP_2)
	v_pk_add_f32 v[68:69], v[62:63], v[56:57] neg_lo:[0,1] neg_hi:[0,1]
	v_dual_mov_b32 v57, v56 :: v_dual_mov_b32 v56, v63
	v_dual_mov_b32 v71, v68 :: v_dual_mov_b32 v33, v68
	s_delay_alu instid0(VALU_DEP_1) | instskip(NEXT) | instid1(VALU_DEP_2)
	v_pk_add_f32 v[68:69], v[66:67], v[70:71] neg_lo:[0,1] neg_hi:[0,1]
	v_pk_add_f32 v[60:61], v[64:65], v[32:33] neg_lo:[0,1] neg_hi:[0,1]
	v_mov_b32_e32 v60, v58
	s_delay_alu instid0(VALU_DEP_3) | instskip(NEXT) | instid1(VALU_DEP_1)
	v_pk_add_f32 v[56:57], v[56:57], v[68:69] neg_lo:[0,1] neg_hi:[0,1]
	v_pk_add_f32 v[60:61], v[60:61], v[56:57]
	s_delay_alu instid0(VALU_DEP_1) | instskip(NEXT) | instid1(VALU_DEP_1)
	v_mov_b32_e32 v64, v61
	v_pk_add_f32 v[64:65], v[60:61], v[64:65]
	s_delay_alu instid0(VALU_DEP_1) | instskip(NEXT) | instid1(VALU_DEP_1)
	v_pk_add_f32 v[62:63], v[62:63], v[64:65]
	v_dual_mov_b32 v57, v64 :: v_dual_mov_b32 v61, v62
	s_delay_alu instid0(VALU_DEP_1) | instskip(NEXT) | instid1(VALU_DEP_1)
	v_pk_add_f32 v[66:67], v[60:61], v[58:59] neg_lo:[0,1] neg_hi:[0,1]
	v_sub_f32_e32 v33, v60, v66
	s_delay_alu instid0(VALU_DEP_2) | instskip(NEXT) | instid1(VALU_DEP_2)
	v_pk_add_f32 v[56:57], v[56:57], v[66:67] neg_lo:[0,1] neg_hi:[0,1]
	v_sub_f32_e32 v33, v58, v33
	s_delay_alu instid0(VALU_DEP_1) | instskip(NEXT) | instid1(VALU_DEP_1)
	v_add_f32_e32 v33, v56, v33
	v_add_f32_e32 v33, v33, v57
	s_delay_alu instid0(VALU_DEP_1) | instskip(NEXT) | instid1(VALU_DEP_1)
	v_add_f32_e32 v33, v62, v33
	v_cndmask_b32_e32 v33, 0x7f800000, v33, vcc_lo
	v_cmp_ngt_f32_e32 vcc_lo, -1.0, v54
	s_delay_alu instid0(VALU_DEP_2) | instskip(SKIP_1) | instid1(VALU_DEP_2)
	v_cndmask_b32_e32 v33, 0x7fc00000, v33, vcc_lo
	v_cmp_neq_f32_e32 vcc_lo, -1.0, v54
	v_cndmask_b32_e32 v33, 0xff800000, v33, vcc_lo
	v_cmp_gt_f32_e64 vcc_lo, 0x33800000, |v54|
	s_delay_alu instid0(VALU_DEP_2)
	v_cndmask_b32_e32 v33, v33, v54, vcc_lo
.LBB56_726:                             ;   in Loop: Header=BB56_401 Depth=1
	s_and_not1_saveexec_b32 s23, s23
	s_cbranch_execz .LBB56_732
; %bb.727:                              ;   in Loop: Header=BB56_401 Depth=1
	s_mov_b32 s24, exec_lo
                                        ; implicit-def: $vgpr33
	v_cmpx_nlt_f32_e64 |v42|, 1.0
	s_xor_b32 s24, exec_lo, s24
	s_cbranch_execz .LBB56_729
; %bb.728:                              ;   in Loop: Header=BB56_401 Depth=1
	v_mul_f32_e32 v33, v50, v51
	s_delay_alu instid0(VALU_DEP_1) | instskip(SKIP_1) | instid1(VALU_DEP_2)
	v_mul_f32_e32 v35, 0x4f800000, v33
	v_cmp_gt_f32_e32 vcc_lo, 0xf800000, v33
	v_cndmask_b32_e32 v33, v33, v35, vcc_lo
	s_delay_alu instid0(VALU_DEP_1) | instskip(SKIP_1) | instid1(TRANS32_DEP_1)
	v_sqrt_f32_e32 v35, v33
	v_nop
	v_dual_add_nc_u32 v45, -1, v35 :: v_dual_add_nc_u32 v47, 1, v35
	s_delay_alu instid0(VALU_DEP_1) | instskip(NEXT) | instid1(VALU_DEP_1)
	v_dual_fma_f32 v54, -v45, v35, v33 :: v_dual_fma_f32 v55, -v47, v35, v33
	v_cmp_ge_f32_e64 s4, 0, v54
	s_delay_alu instid0(VALU_DEP_1) | instskip(NEXT) | instid1(VALU_DEP_3)
	v_cndmask_b32_e64 v35, v35, v45, s4
	v_cmp_lt_f32_e64 s4, 0, v55
	s_delay_alu instid0(VALU_DEP_1) | instskip(NEXT) | instid1(VALU_DEP_1)
	v_cndmask_b32_e64 v35, v35, v47, s4
	v_mul_f32_e32 v45, 0x37800000, v35
	s_delay_alu instid0(VALU_DEP_1) | instskip(SKIP_1) | instid1(VALU_DEP_2)
	v_cndmask_b32_e32 v35, v35, v45, vcc_lo
	v_cmp_class_f32_e64 vcc_lo, v33, 0x260
	v_cndmask_b32_e32 v33, v35, v33, vcc_lo
	s_delay_alu instid0(VALU_DEP_1) | instskip(NEXT) | instid1(VALU_DEP_1)
	v_add_f32_e32 v54, v50, v33
	v_add_f32_e32 v57, 1.0, v54
	s_delay_alu instid0(VALU_DEP_1) | instskip(SKIP_2) | instid1(VALU_DEP_2)
	v_cvt_f64_f32_e32 v[58:59], v57
	v_frexp_mant_f32_e32 v35, v57
	v_add_f32_e32 v55, -1.0, v57
	v_cmp_gt_f32_e32 vcc_lo, 0x3f2aaaab, v35
	s_delay_alu instid0(VALU_DEP_2) | instskip(SKIP_1) | instid1(VALU_DEP_2)
	v_mov_b32_e32 v56, v55
	v_frexp_exp_i32_f64_e32 v33, v[58:59]
	v_pk_add_f32 v[58:59], v[54:55], v[56:57] neg_lo:[0,1] neg_hi:[0,1]
	s_delay_alu instid0(VALU_DEP_1) | instskip(NEXT) | instid1(VALU_DEP_1)
	v_add_f32_e32 v47, 1.0, v59
	v_add_f32_e32 v47, v58, v47
	s_delay_alu instid0(VALU_DEP_4) | instskip(SKIP_1) | instid1(VALU_DEP_2)
	v_subrev_co_ci_u32_e64 v33, null, 0, v33, vcc_lo
	v_cmp_neq_f32_e32 vcc_lo, 0x7f800000, v54
	v_sub_nc_u32_e32 v35, 0, v33
	s_delay_alu instid0(VALU_DEP_1) | instskip(NEXT) | instid1(VALU_DEP_1)
	v_ldexp_f32 v45, v57, v35
	v_dual_add_f32 v55, 1.0, v45 :: v_dual_add_f32 v61, -1.0, v45
	s_delay_alu instid0(VALU_DEP_1) | instskip(SKIP_1) | instid1(VALU_DEP_2)
	v_add_f32_e32 v56, -1.0, v55
	v_ldexp_f32 v35, v47, v35
	v_dual_sub_f32 v47, v45, v56 :: v_dual_add_f32 v56, 1.0, v61
	s_delay_alu instid0(VALU_DEP_1) | instskip(NEXT) | instid1(VALU_DEP_1)
	v_dual_add_f32 v47, v35, v47 :: v_dual_sub_f32 v45, v45, v56
	v_add_f32_e32 v35, v35, v45
	s_delay_alu instid0(VALU_DEP_1) | instskip(NEXT) | instid1(VALU_DEP_3)
	v_add_f32_e32 v57, v61, v35
	v_add_f32_e32 v62, v55, v47
	s_delay_alu instid0(VALU_DEP_1) | instskip(SKIP_1) | instid1(TRANS32_DEP_1)
	v_rcp_f32_e32 v45, v62
	v_nop
	v_dual_mul_f32 v63, v57, v45 :: v_dual_sub_f32 v55, v62, v55
	s_delay_alu instid0(VALU_DEP_1) | instskip(NEXT) | instid1(VALU_DEP_2)
	v_mul_f32_e32 v58, v62, v63
	v_sub_f32_e32 v47, v47, v55
	s_delay_alu instid0(VALU_DEP_2) | instskip(NEXT) | instid1(VALU_DEP_1)
	v_dual_fma_f32 v60, v63, v62, -v58 :: v_dual_sub_f32 v55, v57, v61
	v_fmac_f32_e32 v60, v63, v47
	s_delay_alu instid0(VALU_DEP_1) | instskip(NEXT) | instid1(VALU_DEP_1)
	v_dual_sub_f32 v35, v35, v55 :: v_dual_add_f32 v56, v58, v60
	v_dual_sub_f32 v59, v57, v56 :: v_dual_mov_b32 v61, v56
	s_delay_alu instid0(VALU_DEP_1) | instskip(NEXT) | instid1(VALU_DEP_1)
	v_pk_add_f32 v[56:57], v[56:57], v[58:59] neg_lo:[0,1] neg_hi:[0,1]
	v_pk_add_f32 v[56:57], v[56:57], v[60:61] neg_lo:[0,1] neg_hi:[0,1]
	s_delay_alu instid0(VALU_DEP_1) | instskip(NEXT) | instid1(VALU_DEP_1)
	v_add_f32_e32 v35, v35, v57
	v_add_f32_e32 v35, v56, v35
	s_delay_alu instid0(VALU_DEP_1) | instskip(NEXT) | instid1(VALU_DEP_1)
	v_add_f32_e32 v57, v59, v35
	v_mul_f32_e32 v55, v45, v57
	s_delay_alu instid0(VALU_DEP_1) | instskip(NEXT) | instid1(VALU_DEP_1)
	v_mul_f32_e32 v60, v62, v55
	v_fma_f32 v58, v55, v62, -v60
	s_delay_alu instid0(VALU_DEP_1) | instskip(NEXT) | instid1(VALU_DEP_1)
	v_fmac_f32_e32 v58, v55, v47
	v_dual_add_f32 v56, v60, v58 :: v_dual_sub_f32 v47, v59, v57
	s_delay_alu instid0(VALU_DEP_1) | instskip(NEXT) | instid1(VALU_DEP_2)
	v_dual_sub_f32 v61, v57, v56 :: v_dual_mov_b32 v59, v56
	v_add_f32_e32 v35, v35, v47
	v_add_f32_e32 v47, v63, v55
	s_delay_alu instid0(VALU_DEP_3) | instskip(NEXT) | instid1(VALU_DEP_1)
	v_pk_add_f32 v[56:57], v[56:57], v[60:61] neg_lo:[0,1] neg_hi:[0,1]
	v_pk_add_f32 v[56:57], v[56:57], v[58:59] neg_lo:[0,1] neg_hi:[0,1]
	s_delay_alu instid0(VALU_DEP_1) | instskip(NEXT) | instid1(VALU_DEP_1)
	v_add_f32_e32 v35, v35, v57
	v_add_f32_e32 v35, v56, v35
	v_sub_f32_e32 v56, v47, v63
	s_delay_alu instid0(VALU_DEP_1) | instskip(SKIP_1) | instid1(VALU_DEP_2)
	v_dual_add_f32 v35, v61, v35 :: v_dual_sub_f32 v55, v55, v56
	v_cvt_f32_i32_e32 v56, v33
	v_mul_f32_e32 v35, v45, v35
	s_delay_alu instid0(VALU_DEP_1) | instskip(NEXT) | instid1(VALU_DEP_1)
	v_add_f32_e32 v45, v55, v35
	v_add_f32_e32 v55, v47, v45
	s_delay_alu instid0(VALU_DEP_1) | instskip(SKIP_2) | instid1(VALU_DEP_1)
	v_mul_f32_e32 v35, v55, v55
	v_ldexp_f32 v61, v55, 1
	v_sub_f32_e32 v33, v55, v47
	v_dual_fmaak_f32 v58, s15, v35, 0x3ecc95a3 :: v_dual_sub_f32 v33, v45, v33
	s_delay_alu instid0(VALU_DEP_1) | instskip(SKIP_1) | instid1(VALU_DEP_3)
	v_ldexp_f32 v33, v33, 1
	v_mul_f32_e32 v57, v55, v35
	v_fmaak_f32 v35, v35, v58, 0x3f2aaada
	s_delay_alu instid0(VALU_DEP_1) | instskip(NEXT) | instid1(VALU_DEP_1)
	v_pk_mul_f32 v[58:59], v[56:57], v[34:35]
	v_fma_f32 v60, 0x3f317218, v56, -v58
	v_mov_b32_e32 v62, v58
	s_delay_alu instid0(VALU_DEP_2) | instskip(NEXT) | instid1(VALU_DEP_1)
	v_fmac_f32_e32 v60, 0xb102e308, v56
	v_pk_add_f32 v[56:57], v[58:59], v[60:61]
	s_delay_alu instid0(VALU_DEP_1) | instskip(NEXT) | instid1(VALU_DEP_1)
	v_dual_sub_f32 v35, v57, v61 :: v_dual_mov_b32 v61, v56
	v_dual_mov_b32 v70, v57 :: v_dual_sub_f32 v35, v59, v35
	v_pk_add_f32 v[58:59], v[56:57], v[58:59] neg_lo:[0,1] neg_hi:[0,1]
	s_delay_alu instid0(VALU_DEP_2) | instskip(NEXT) | instid1(VALU_DEP_1)
	v_add_f32_e32 v63, v33, v35
	v_pk_add_f32 v[64:65], v[56:57], v[62:63]
	s_delay_alu instid0(VALU_DEP_1) | instskip(NEXT) | instid1(VALU_DEP_1)
	v_mov_b32_e32 v59, v65
	v_pk_add_f32 v[66:67], v[60:61], v[58:59]
	v_mov_b32_e32 v66, v65
	v_pk_add_f32 v[58:59], v[60:61], v[58:59] neg_lo:[0,1] neg_hi:[0,1]
	s_delay_alu instid0(VALU_DEP_3) | instskip(NEXT) | instid1(VALU_DEP_1)
	v_dual_mov_b32 v62, v67 :: v_dual_mov_b32 v59, v67
	v_pk_add_f32 v[68:69], v[62:63], v[56:57] neg_lo:[0,1] neg_hi:[0,1]
	v_dual_mov_b32 v57, v56 :: v_dual_mov_b32 v56, v63
	s_delay_alu instid0(VALU_DEP_2) | instskip(NEXT) | instid1(VALU_DEP_1)
	v_dual_mov_b32 v71, v68 :: v_dual_mov_b32 v33, v68
	v_pk_add_f32 v[68:69], v[66:67], v[70:71] neg_lo:[0,1] neg_hi:[0,1]
	s_delay_alu instid0(VALU_DEP_2) | instskip(SKIP_1) | instid1(VALU_DEP_3)
	v_pk_add_f32 v[60:61], v[64:65], v[32:33] neg_lo:[0,1] neg_hi:[0,1]
	v_mov_b32_e32 v60, v58
	v_pk_add_f32 v[56:57], v[56:57], v[68:69] neg_lo:[0,1] neg_hi:[0,1]
	s_delay_alu instid0(VALU_DEP_1) | instskip(NEXT) | instid1(VALU_DEP_1)
	v_pk_add_f32 v[60:61], v[60:61], v[56:57]
	v_mov_b32_e32 v64, v61
	s_delay_alu instid0(VALU_DEP_1) | instskip(NEXT) | instid1(VALU_DEP_1)
	v_pk_add_f32 v[64:65], v[60:61], v[64:65]
	v_pk_add_f32 v[62:63], v[62:63], v[64:65]
	s_delay_alu instid0(VALU_DEP_1) | instskip(NEXT) | instid1(VALU_DEP_1)
	v_dual_mov_b32 v57, v64 :: v_dual_mov_b32 v61, v62
	v_pk_add_f32 v[66:67], v[60:61], v[58:59] neg_lo:[0,1] neg_hi:[0,1]
	s_delay_alu instid0(VALU_DEP_1) | instskip(NEXT) | instid1(VALU_DEP_2)
	v_sub_f32_e32 v33, v60, v66
	v_pk_add_f32 v[56:57], v[56:57], v[66:67] neg_lo:[0,1] neg_hi:[0,1]
	s_delay_alu instid0(VALU_DEP_2) | instskip(NEXT) | instid1(VALU_DEP_1)
	v_sub_f32_e32 v33, v58, v33
	v_add_f32_e32 v33, v56, v33
	s_delay_alu instid0(VALU_DEP_1) | instskip(NEXT) | instid1(VALU_DEP_1)
	v_add_f32_e32 v33, v33, v57
	v_add_f32_e32 v33, v62, v33
	s_delay_alu instid0(VALU_DEP_1) | instskip(SKIP_1) | instid1(VALU_DEP_2)
	v_cndmask_b32_e32 v33, 0x7f800000, v33, vcc_lo
	v_cmp_ngt_f32_e32 vcc_lo, -1.0, v54
	v_cndmask_b32_e32 v33, 0x7fc00000, v33, vcc_lo
	v_cmp_neq_f32_e32 vcc_lo, -1.0, v54
	s_delay_alu instid0(VALU_DEP_2) | instskip(SKIP_1) | instid1(VALU_DEP_2)
	v_cndmask_b32_e32 v33, 0xff800000, v33, vcc_lo
	v_cmp_gt_f32_e64 vcc_lo, 0x33800000, |v54|
	v_cndmask_b32_e32 v33, v33, v54, vcc_lo
.LBB56_729:                             ;   in Loop: Header=BB56_401 Depth=1
	s_and_not1_saveexec_b32 s24, s24
	s_cbranch_execz .LBB56_731
; %bb.730:                              ;   in Loop: Header=BB56_401 Depth=1
	v_sub_f32_e64 v33, 1.0, |v42|
	s_delay_alu instid0(VALU_DEP_1) | instskip(NEXT) | instid1(VALU_DEP_1)
	v_mul_f32_e32 v33, v33, v51
	v_mul_f32_e32 v35, 0x4f800000, v33
	v_cmp_gt_f32_e32 vcc_lo, 0xf800000, v33
	s_delay_alu instid0(VALU_DEP_2) | instskip(NEXT) | instid1(VALU_DEP_1)
	v_cndmask_b32_e32 v33, v33, v35, vcc_lo
	v_sqrt_f32_e32 v35, v33
	v_nop
	s_delay_alu instid0(TRANS32_DEP_1) | instskip(NEXT) | instid1(VALU_DEP_1)
	v_dual_add_nc_u32 v45, -1, v35 :: v_dual_add_nc_u32 v47, 1, v35
	v_dual_fma_f32 v54, -v45, v35, v33 :: v_dual_fma_f32 v55, -v47, v35, v33
	s_delay_alu instid0(VALU_DEP_1) | instskip(NEXT) | instid1(VALU_DEP_1)
	v_cmp_ge_f32_e64 s4, 0, v54
	v_cndmask_b32_e64 v35, v35, v45, s4
	s_delay_alu instid0(VALU_DEP_3) | instskip(NEXT) | instid1(VALU_DEP_1)
	v_cmp_lt_f32_e64 s4, 0, v55
	v_cndmask_b32_e64 v35, v35, v47, s4
	s_delay_alu instid0(VALU_DEP_1) | instskip(NEXT) | instid1(VALU_DEP_1)
	v_mul_f32_e32 v45, 0x37800000, v35
	v_cndmask_b32_e32 v35, v35, v45, vcc_lo
	v_cmp_class_f32_e64 vcc_lo, v33, 0x260
	v_and_b32_e32 v45, 0x7fffffff, v43
	s_delay_alu instid0(VALU_DEP_3) | instskip(NEXT) | instid1(VALU_DEP_1)
	v_cndmask_b32_e32 v33, v35, v33, vcc_lo
	v_div_scale_f32 v35, null, v33, v33, v45
	v_div_scale_f32 v45, vcc_lo, v45, v33, v45
	s_delay_alu instid0(VALU_DEP_2) | instskip(SKIP_1) | instid1(TRANS32_DEP_1)
	v_rcp_f32_e32 v47, v35
	v_nop
	v_fma_f32 v54, -v35, v47, 1.0
	s_delay_alu instid0(VALU_DEP_1) | instskip(NEXT) | instid1(VALU_DEP_1)
	v_fmac_f32_e32 v47, v54, v47
	v_mul_f32_e32 v54, v45, v47
	s_delay_alu instid0(VALU_DEP_1) | instskip(NEXT) | instid1(VALU_DEP_1)
	v_fma_f32 v55, -v35, v54, v45
	v_fmac_f32_e32 v54, v55, v47
	s_delay_alu instid0(VALU_DEP_1) | instskip(NEXT) | instid1(VALU_DEP_1)
	v_fma_f32 v35, -v35, v54, v45
	v_div_fmas_f32 v35, v35, v47, v54
	s_delay_alu instid0(VALU_DEP_1)
	v_div_fixup_f32 v33, v35, v33, |v43|
.LBB56_731:                             ;   in Loop: Header=BB56_401 Depth=1
	s_or_b32 exec_lo, exec_lo, s24
.LBB56_732:                             ;   in Loop: Header=BB56_401 Depth=1
	s_delay_alu instid0(SALU_CYCLE_1)
	s_or_b32 exec_lo, exec_lo, s23
.LBB56_733:                             ;   in Loop: Header=BB56_401 Depth=1
	s_and_not1_saveexec_b32 s22, s22
	s_cbranch_execz .LBB56_735
; %bb.734:                              ;   in Loop: Header=BB56_401 Depth=1
	v_mul_f32_e64 v33, 0x4f800000, |v43|
	v_cmp_gt_f32_e64 vcc_lo, 0xf800000, |v43|
	s_delay_alu instid0(VALU_DEP_1) | instskip(NEXT) | instid1(VALU_DEP_1)
	v_cndmask_b32_e64 v33, |v43|, v33, vcc_lo
	v_sqrt_f32_e32 v35, v33
	v_nop
	s_delay_alu instid0(TRANS32_DEP_1) | instskip(NEXT) | instid1(VALU_DEP_1)
	v_dual_add_nc_u32 v45, -1, v35 :: v_dual_add_nc_u32 v47, 1, v35
	v_dual_fma_f32 v54, -v45, v35, v33 :: v_dual_fma_f32 v55, -v47, v35, v33
	s_delay_alu instid0(VALU_DEP_1) | instskip(NEXT) | instid1(VALU_DEP_1)
	v_cmp_ge_f32_e64 s4, 0, v54
	v_cndmask_b32_e64 v35, v35, v45, s4
	s_delay_alu instid0(VALU_DEP_3) | instskip(NEXT) | instid1(VALU_DEP_1)
	v_cmp_lt_f32_e64 s4, 0, v55
	v_cndmask_b32_e64 v35, v35, v47, s4
	s_delay_alu instid0(VALU_DEP_1) | instskip(NEXT) | instid1(VALU_DEP_1)
	v_mul_f32_e32 v45, 0x37800000, v35
	v_cndmask_b32_e32 v35, v35, v45, vcc_lo
	v_cmp_class_f32_e64 vcc_lo, v33, 0x260
	s_delay_alu instid0(VALU_DEP_2)
	v_cndmask_b32_e32 v33, v35, v33, vcc_lo
.LBB56_735:                             ;   in Loop: Header=BB56_401 Depth=1
	s_or_b32 exec_lo, exec_lo, s22
.LBB56_736:                             ;   in Loop: Header=BB56_401 Depth=1
	s_delay_alu instid0(SALU_CYCLE_1) | instskip(NEXT) | instid1(SALU_CYCLE_1)
	s_or_b32 exec_lo, exec_lo, s5
	s_mov_b32 s22, exec_lo
                                        ; implicit-def: $sgpr4
                                        ; implicit-def: $vgpr47
                                        ; implicit-def: $vgpr35
	v_cmpx_ngt_f32_e64 0x21000000, |v42|
	s_xor_b32 s22, exec_lo, s22
	s_cbranch_execz .LBB56_760
; %bb.737:                              ;   in Loop: Header=BB56_401 Depth=1
	v_and_b32_e32 v47, 0x7fffffff, v42
	s_mov_b32 s4, 0
	s_mov_b32 s23, exec_lo
	s_delay_alu instid0(VALU_DEP_1) | instskip(NEXT) | instid1(VALU_DEP_1)
	v_div_scale_f32 v35, null, v44, v44, v47
	v_rcp_f32_e32 v45, v35
	v_nop
	s_delay_alu instid0(TRANS32_DEP_1) | instskip(NEXT) | instid1(VALU_DEP_1)
	v_fma_f32 v54, -v35, v45, 1.0
	v_fmac_f32_e32 v45, v54, v45
	v_div_scale_f32 v54, vcc_lo, v47, v44, v47
	s_delay_alu instid0(VALU_DEP_1) | instskip(NEXT) | instid1(VALU_DEP_1)
	v_mul_f32_e32 v55, v54, v45
	v_fma_f32 v56, -v35, v55, v54
	s_delay_alu instid0(VALU_DEP_1) | instskip(NEXT) | instid1(VALU_DEP_1)
	v_fmac_f32_e32 v55, v56, v45
	v_fma_f32 v35, -v35, v55, v54
	s_delay_alu instid0(VALU_DEP_1) | instskip(NEXT) | instid1(VALU_DEP_1)
	v_div_fmas_f32 v35, v35, v45, v55
	v_div_fixup_f32 v35, v35, v44, |v42|
	s_delay_alu instid0(VALU_DEP_1)
	v_cmpx_lt_f32_e32 0x3f244674, v35
	s_cbranch_execz .LBB56_759
; %bb.738:                              ;   in Loop: Header=BB56_401 Depth=1
	v_cmp_neq_f32_e64 s4, |v42|, 1.0
	v_cmp_ngt_f32_e64 s5, 0x30800000, |v43|
	s_or_b32 s4, s5, s4
	s_delay_alu instid0(SALU_CYCLE_1) | instskip(NEXT) | instid1(SALU_CYCLE_1)
	s_and_saveexec_b32 s5, s4
	s_xor_b32 s5, exec_lo, s5
	s_cbranch_execz .LBB56_756
; %bb.739:                              ;   in Loop: Header=BB56_401 Depth=1
	v_mul_f32_e64 v45, 0x34000000, |v50|
	s_mov_b32 s24, exec_lo
	s_delay_alu instid0(VALU_DEP_1)
	v_cmpx_ge_f32_e64 |v43|, v45
	s_xor_b32 s24, exec_lo, s24
	s_cbranch_execz .LBB56_749
; %bb.740:                              ;   in Loop: Header=BB56_401 Depth=1
	v_mov_b32_e32 v45, v52
	s_mov_b32 s4, exec_lo
	v_cmpx_neq_f32_e32 0, v51
	s_cbranch_execz .LBB56_742
; %bb.741:                              ;   in Loop: Header=BB56_401 Depth=1
	v_mul_f32_e32 v45, v43, v43
	v_add_f32_e32 v51, v51, v53
	s_delay_alu instid0(VALU_DEP_1) | instskip(NEXT) | instid1(VALU_DEP_1)
	v_div_scale_f32 v53, null, v51, v51, v45
	v_rcp_f32_e32 v54, v53
	v_nop
	s_delay_alu instid0(TRANS32_DEP_1) | instskip(NEXT) | instid1(VALU_DEP_1)
	v_fma_f32 v55, -v53, v54, 1.0
	v_fmac_f32_e32 v54, v55, v54
	v_div_scale_f32 v55, vcc_lo, v45, v51, v45
	s_delay_alu instid0(VALU_DEP_1) | instskip(NEXT) | instid1(VALU_DEP_1)
	v_mul_f32_e32 v56, v55, v54
	v_fma_f32 v57, -v53, v56, v55
	s_delay_alu instid0(VALU_DEP_1) | instskip(NEXT) | instid1(VALU_DEP_1)
	v_fmac_f32_e32 v56, v57, v54
	v_fma_f32 v53, -v53, v56, v55
	s_delay_alu instid0(VALU_DEP_1) | instskip(NEXT) | instid1(VALU_DEP_1)
	v_div_fmas_f32 v53, v53, v54, v56
	v_div_fixup_f32 v45, v53, v51, v45
.LBB56_742:                             ;   in Loop: Header=BB56_401 Depth=1
	s_or_b32 exec_lo, exec_lo, s4
	s_delay_alu instid0(SALU_CYCLE_1)
	s_mov_b32 s4, exec_lo
	v_cmpx_ngt_f32_e32 0, v50
	s_xor_b32 s4, exec_lo, s4
	s_cbranch_execz .LBB56_746
; %bb.743:                              ;   in Loop: Header=BB56_401 Depth=1
	s_mov_b32 s25, exec_lo
	v_cmpx_neq_f32_e32 0, v50
	s_cbranch_execz .LBB56_745
; %bb.744:                              ;   in Loop: Header=BB56_401 Depth=1
	v_dual_mul_f32 v51, v43, v43 :: v_dual_add_f32 v46, v50, v46
	s_delay_alu instid0(VALU_DEP_1) | instskip(NEXT) | instid1(VALU_DEP_1)
	v_div_scale_f32 v50, null, v46, v46, v51
	v_rcp_f32_e32 v52, v50
	v_nop
	s_delay_alu instid0(TRANS32_DEP_1) | instskip(NEXT) | instid1(VALU_DEP_1)
	v_fma_f32 v53, -v50, v52, 1.0
	v_fmac_f32_e32 v52, v53, v52
	v_div_scale_f32 v53, vcc_lo, v51, v46, v51
	s_delay_alu instid0(VALU_DEP_1) | instskip(NEXT) | instid1(VALU_DEP_1)
	v_mul_f32_e32 v54, v53, v52
	v_fma_f32 v55, -v50, v54, v53
	s_delay_alu instid0(VALU_DEP_1) | instskip(NEXT) | instid1(VALU_DEP_1)
	v_fmac_f32_e32 v54, v55, v52
	v_fma_f32 v50, -v50, v54, v53
	s_delay_alu instid0(VALU_DEP_1) | instskip(NEXT) | instid1(VALU_DEP_1)
	v_div_fmas_f32 v50, v50, v52, v54
	v_div_fixup_f32 v52, v50, v46, v51
.LBB56_745:                             ;   in Loop: Header=BB56_401 Depth=1
	s_or_b32 exec_lo, exec_lo, s25
                                        ; implicit-def: $vgpr46
                                        ; implicit-def: $vgpr50
.LBB56_746:                             ;   in Loop: Header=BB56_401 Depth=1
	s_and_not1_saveexec_b32 s4, s4
; %bb.747:                              ;   in Loop: Header=BB56_401 Depth=1
	v_sub_f32_e32 v52, v46, v50
; %bb.748:                              ;   in Loop: Header=BB56_401 Depth=1
	s_or_b32 exec_lo, exec_lo, s4
	s_delay_alu instid0(VALU_DEP_1) | instskip(SKIP_1) | instid1(VALU_DEP_1)
	v_dual_mul_f32 v51, 0.5, v45 :: v_dual_mul_f32 v45, 0.5, v52
	v_and_b32_e32 v50, 0x7fffffff, v42
	v_pk_add_f32 v[44:45], v[50:51], v[44:45]
	s_delay_alu instid0(VALU_DEP_1) | instskip(NEXT) | instid1(VALU_DEP_1)
	v_mul_f32_e32 v44, v44, v45
	v_mul_f32_e32 v45, 0x4f800000, v44
	v_cmp_gt_f32_e32 vcc_lo, 0xf800000, v44
	s_delay_alu instid0(VALU_DEP_2) | instskip(NEXT) | instid1(VALU_DEP_1)
	v_cndmask_b32_e32 v44, v44, v45, vcc_lo
	v_sqrt_f32_e32 v45, v44
	v_nop
	s_delay_alu instid0(TRANS32_DEP_1) | instskip(NEXT) | instid1(VALU_DEP_1)
	v_dual_add_nc_u32 v46, -1, v45 :: v_dual_add_nc_u32 v50, 1, v45
	v_fma_f32 v51, -v46, v45, v44
	s_delay_alu instid0(VALU_DEP_2) | instskip(NEXT) | instid1(VALU_DEP_2)
	v_fma_f32 v52, -v50, v45, v44
	v_cmp_ge_f32_e64 s4, 0, v51
                                        ; implicit-def: $vgpr51
	s_delay_alu instid0(VALU_DEP_1) | instskip(NEXT) | instid1(VALU_DEP_3)
	v_cndmask_b32_e64 v45, v45, v46, s4
	v_cmp_lt_f32_e64 s4, 0, v52
	s_delay_alu instid0(VALU_DEP_1) | instskip(NEXT) | instid1(VALU_DEP_1)
	v_cndmask_b32_e64 v45, v45, v50, s4
                                        ; implicit-def: $vgpr50
	v_mul_f32_e32 v46, 0x37800000, v45
	s_delay_alu instid0(VALU_DEP_1) | instskip(SKIP_1) | instid1(VALU_DEP_2)
	v_cndmask_b32_e32 v45, v45, v46, vcc_lo
	v_cmp_class_f32_e64 vcc_lo, v44, 0x260
	v_cndmask_b32_e32 v46, v45, v44, vcc_lo
.LBB56_749:                             ;   in Loop: Header=BB56_401 Depth=1
	s_and_not1_saveexec_b32 s24, s24
	s_cbranch_execz .LBB56_755
; %bb.750:                              ;   in Loop: Header=BB56_401 Depth=1
	s_mov_b32 s25, exec_lo
	v_cmpx_ngt_f32_e64 |v42|, 1.0
	s_xor_b32 s25, exec_lo, s25
	s_cbranch_execz .LBB56_752
; %bb.751:                              ;   in Loop: Header=BB56_401 Depth=1
	v_sub_f32_e64 v44, 1.0, |v42|
	s_delay_alu instid0(VALU_DEP_1) | instskip(NEXT) | instid1(VALU_DEP_1)
	v_mul_f32_e32 v44, v44, v51
	v_mul_f32_e32 v45, 0x4f800000, v44
	v_cmp_gt_f32_e32 vcc_lo, 0xf800000, v44
	s_delay_alu instid0(VALU_DEP_2) | instskip(NEXT) | instid1(VALU_DEP_1)
	v_cndmask_b32_e32 v44, v44, v45, vcc_lo
	v_sqrt_f32_e32 v45, v44
	v_nop
	s_delay_alu instid0(TRANS32_DEP_1) | instskip(NEXT) | instid1(VALU_DEP_1)
	v_dual_add_nc_u32 v46, -1, v45 :: v_dual_add_nc_u32 v50, 1, v45
	v_fma_f32 v51, -v46, v45, v44
	s_delay_alu instid0(VALU_DEP_2) | instskip(NEXT) | instid1(VALU_DEP_2)
	v_fma_f32 v52, -v50, v45, v44
	v_cmp_ge_f32_e64 s4, 0, v51
                                        ; implicit-def: $vgpr51
	s_delay_alu instid0(VALU_DEP_1) | instskip(NEXT) | instid1(VALU_DEP_3)
	v_cndmask_b32_e64 v45, v45, v46, s4
	v_cmp_lt_f32_e64 s4, 0, v52
	s_delay_alu instid0(VALU_DEP_1) | instskip(NEXT) | instid1(VALU_DEP_1)
	v_cndmask_b32_e64 v45, v45, v50, s4
                                        ; implicit-def: $vgpr50
	v_mul_f32_e32 v46, 0x37800000, v45
	s_delay_alu instid0(VALU_DEP_1) | instskip(SKIP_1) | instid1(VALU_DEP_2)
	v_cndmask_b32_e32 v45, v45, v46, vcc_lo
	v_cmp_class_f32_e64 vcc_lo, v44, 0x260
	v_cndmask_b32_e32 v46, v45, v44, vcc_lo
.LBB56_752:                             ;   in Loop: Header=BB56_401 Depth=1
	s_and_not1_saveexec_b32 s25, s25
	s_cbranch_execz .LBB56_754
; %bb.753:                              ;   in Loop: Header=BB56_401 Depth=1
	v_mul_f32_e32 v44, v51, v50
	s_delay_alu instid0(VALU_DEP_1) | instskip(SKIP_1) | instid1(VALU_DEP_2)
	v_mul_f32_e32 v45, 0x4f800000, v44
	v_cmp_gt_f32_e32 vcc_lo, 0xf800000, v44
	v_cndmask_b32_e32 v44, v44, v45, vcc_lo
	s_delay_alu instid0(VALU_DEP_1) | instskip(SKIP_1) | instid1(TRANS32_DEP_1)
	v_sqrt_f32_e32 v45, v44
	v_nop
	v_dual_add_nc_u32 v46, -1, v45 :: v_dual_add_nc_u32 v47, 1, v45
	s_delay_alu instid0(VALU_DEP_1) | instskip(NEXT) | instid1(VALU_DEP_1)
	v_dual_fma_f32 v50, -v46, v45, v44 :: v_dual_fma_f32 v51, -v47, v45, v44
	v_cmp_ge_f32_e64 s4, 0, v50
	s_delay_alu instid0(VALU_DEP_1) | instskip(NEXT) | instid1(VALU_DEP_3)
	v_cndmask_b32_e64 v45, v45, v46, s4
	v_cmp_lt_f32_e64 s4, 0, v51
	s_delay_alu instid0(VALU_DEP_1) | instskip(SKIP_1) | instid1(VALU_DEP_2)
	v_cndmask_b32_e64 v45, v45, v47, s4
	v_mul_f32_e64 v47, 0x57800000, |v43|
	v_mul_f32_e32 v46, 0x37800000, v45
	s_delay_alu instid0(VALU_DEP_1) | instskip(SKIP_1) | instid1(VALU_DEP_4)
	v_cndmask_b32_e32 v45, v45, v46, vcc_lo
	v_cmp_class_f32_e64 vcc_lo, v44, 0x260
	v_mul_f32_e64 v46, |v42|, v47
	s_delay_alu instid0(VALU_DEP_3) | instskip(NEXT) | instid1(VALU_DEP_1)
	v_cndmask_b32_e32 v44, v45, v44, vcc_lo
	v_div_scale_f32 v45, null, v44, v44, v46
	v_div_scale_f32 v51, vcc_lo, v46, v44, v46
	s_delay_alu instid0(VALU_DEP_2) | instskip(SKIP_1) | instid1(TRANS32_DEP_1)
	v_rcp_f32_e32 v47, v45
	v_nop
	v_fma_f32 v50, -v45, v47, 1.0
	s_delay_alu instid0(VALU_DEP_1) | instskip(NEXT) | instid1(VALU_DEP_1)
	v_fmac_f32_e32 v47, v50, v47
	v_mul_f32_e32 v50, v51, v47
	s_delay_alu instid0(VALU_DEP_1) | instskip(NEXT) | instid1(VALU_DEP_1)
	v_fma_f32 v52, -v45, v50, v51
	v_fmac_f32_e32 v50, v52, v47
	s_delay_alu instid0(VALU_DEP_1) | instskip(NEXT) | instid1(VALU_DEP_1)
	v_fma_f32 v45, -v45, v50, v51
	v_div_fmas_f32 v45, v45, v47, v50
	v_mul_f32_e64 v47, 0x57800000, |v42|
	s_delay_alu instid0(VALU_DEP_2)
	v_div_fixup_f32 v46, v45, v44, v46
.LBB56_754:                             ;   in Loop: Header=BB56_401 Depth=1
	s_or_b32 exec_lo, exec_lo, s25
.LBB56_755:                             ;   in Loop: Header=BB56_401 Depth=1
	s_delay_alu instid0(SALU_CYCLE_1)
	s_or_b32 exec_lo, exec_lo, s24
                                        ; implicit-def: $vgpr44
.LBB56_756:                             ;   in Loop: Header=BB56_401 Depth=1
	s_and_not1_saveexec_b32 s24, s5
	s_cbranch_execz .LBB56_758
; %bb.757:                              ;   in Loop: Header=BB56_401 Depth=1
	v_add_f32_e32 v44, 1.0, v44
	v_mul_f32_e64 v45, 0x4f800000, |v43|
	v_cmp_gt_f32_e64 vcc_lo, 0xf800000, |v43|
	s_delay_alu instid0(VALU_DEP_3) | instskip(NEXT) | instid1(VALU_DEP_2)
	v_mul_f32_e32 v44, 0.5, v44
	v_cndmask_b32_e64 v45, |v43|, v45, vcc_lo
	s_delay_alu instid0(VALU_DEP_2) | instskip(SKIP_1) | instid1(VALU_DEP_1)
	v_mul_f32_e32 v46, 0x4f800000, v44
	v_cmp_gt_f32_e64 s4, 0xf800000, v44
	v_cndmask_b32_e64 v44, v44, v46, s4
	s_delay_alu instid0(VALU_DEP_4) | instskip(SKIP_1) | instid1(TRANS32_DEP_1)
	v_sqrt_f32_e32 v46, v45
	v_nop
	v_add_nc_u32_e32 v52, 1, v46
	s_delay_alu instid0(VALU_DEP_3) | instskip(NEXT) | instid1(VALU_DEP_1)
	v_sqrt_f32_e32 v47, v44
	v_dual_add_nc_u32 v50, -1, v46 :: v_dual_fma_f32 v56, -v52, v46, v45
	s_delay_alu instid0(TRANS32_DEP_1) | instid1(VALU_DEP_1)
	v_dual_fma_f32 v53, -v50, v46, v45 :: v_dual_add_nc_u32 v54, 1, v47
	v_add_nc_u32_e32 v51, -1, v47
	s_delay_alu instid0(VALU_DEP_2) | instskip(NEXT) | instid1(VALU_DEP_1)
	v_cmp_ge_f32_e64 s5, 0, v53
	v_dual_fma_f32 v55, -v51, v47, v44 :: v_dual_cndmask_b32 v46, v46, v50, s5
	s_delay_alu instid0(VALU_DEP_4) | instskip(NEXT) | instid1(VALU_DEP_2)
	v_fma_f32 v50, -v54, v47, v44
	v_cmp_ge_f32_e64 s5, 0, v55
	s_delay_alu instid0(VALU_DEP_1) | instskip(SKIP_1) | instid1(VALU_DEP_1)
	v_cndmask_b32_e64 v47, v47, v51, s5
	v_cmp_lt_f32_e64 s5, 0, v56
	v_cndmask_b32_e64 v46, v46, v52, s5
	v_cmp_lt_f32_e64 s5, 0, v50
	s_delay_alu instid0(VALU_DEP_1) | instskip(NEXT) | instid1(VALU_DEP_1)
	v_cndmask_b32_e64 v47, v47, v54, s5
	v_mul_f32_e32 v51, 0x37800000, v47
	s_delay_alu instid0(VALU_DEP_1) | instskip(SKIP_1) | instid1(VALU_DEP_1)
	v_cndmask_b32_e64 v47, v47, v51, s4
	v_mul_f32_e32 v50, 0x37800000, v46
	v_cndmask_b32_e32 v46, v46, v50, vcc_lo
	v_cmp_class_f32_e64 vcc_lo, v45, 0x260
	s_delay_alu instid0(VALU_DEP_2) | instskip(SKIP_2) | instid1(VALU_DEP_1)
	v_cndmask_b32_e32 v45, v46, v45, vcc_lo
	v_cmp_class_f32_e64 vcc_lo, v44, 0x260
	v_dual_cndmask_b32 v44, v47, v44 :: v_dual_mov_b32 v47, 1.0
	v_mul_f32_e32 v46, v45, v44
.LBB56_758:                             ;   in Loop: Header=BB56_401 Depth=1
	s_or_b32 exec_lo, exec_lo, s24
	s_delay_alu instid0(SALU_CYCLE_1)
	s_mov_b32 s4, exec_lo
.LBB56_759:                             ;   in Loop: Header=BB56_401 Depth=1
	s_or_b32 exec_lo, exec_lo, s23
                                        ; implicit-def: $vgpr44
.LBB56_760:                             ;   in Loop: Header=BB56_401 Depth=1
	s_and_not1_saveexec_b32 s5, s22
; %bb.761:                              ;   in Loop: Header=BB56_401 Depth=1
	v_and_b32_e32 v45, 0x7fffffff, v42
	s_or_b32 s4, s4, exec_lo
                                        ; implicit-def: $vgpr35
	s_delay_alu instid0(VALU_DEP_1)
	v_pk_mul_f32 v[46:47], v[44:45], s[14:15] op_sel_hi:[1,0]
; %bb.762:                              ;   in Loop: Header=BB56_401 Depth=1
	s_or_b32 exec_lo, exec_lo, s5
	s_xor_b32 s4, s4, -1
                                        ; implicit-def: $vgpr44
	s_delay_alu instid0(SALU_CYCLE_1) | instskip(NEXT) | instid1(SALU_CYCLE_1)
	s_and_saveexec_b32 s5, s4
	s_xor_b32 s4, exec_lo, s5
	s_cbranch_execz .LBB56_764
; %bb.763:                              ;   in Loop: Header=BB56_401 Depth=1
	v_fma_f32 v44, |v35|, -0.5, 0.5
	v_mul_f32_e32 v45, v35, v35
	v_cmp_ge_f32_e64 vcc_lo, |v35|, 0.5
	s_delay_alu instid0(VALU_DEP_2) | instskip(SKIP_1) | instid1(VALU_DEP_2)
	v_cndmask_b32_e32 v44, v45, v44, vcc_lo
	v_cmp_lt_f32_e64 vcc_lo, |v35|, 0.5
	v_fmaak_f32 v45, s16, v44, 0x3c5fc5da
	v_sqrt_f32_e32 v46, v44
	s_delay_alu instid0(VALU_DEP_1) | instskip(NEXT) | instid1(VALU_DEP_1)
	v_fmaak_f32 v45, v44, v45, 0x3d034c3c
	v_fmaak_f32 v45, v44, v45, 0x3d3641b1
	s_delay_alu instid0(VALU_DEP_1) | instskip(NEXT) | instid1(VALU_DEP_1)
	v_fmaak_f32 v45, v44, v45, 0x3d999bc8
	v_fmaak_f32 v45, v44, v45, 0x3e2aaaac
	s_delay_alu instid0(VALU_DEP_1)
	v_mul_f32_e32 v44, v44, v45
	s_delay_alu instid0(TRANS32_DEP_1) | instid1(VALU_DEP_1)
	v_fmac_f32_e32 v46, v46, v44
	s_delay_alu instid0(VALU_DEP_1) | instskip(NEXT) | instid1(VALU_DEP_1)
	v_add_f32_e32 v45, v46, v46
                                        ; implicit-def: $vgpr47
	v_sub_f32_e32 v45, 0x3fc90fdb, v45
	v_fma_f32 v44, |v35|, v44, |v35|
	s_delay_alu instid0(VALU_DEP_1) | instskip(NEXT) | instid1(VALU_DEP_1)
	v_cndmask_b32_e32 v44, v45, v44, vcc_lo
	v_bfi_b32 v44, 0x7fffffff, v44, v35
.LBB56_764:                             ;   in Loop: Header=BB56_401 Depth=1
	s_and_not1_saveexec_b32 s5, s4
	s_cbranch_execz .LBB56_766
; %bb.765:                              ;   in Loop: Header=BB56_401 Depth=1
	v_max_num_f32_e32 v35, v47, v47
	v_max_num_f32_e64 v44, |v46|, |v46|
	v_cmp_gt_f32_e64 vcc_lo, v47, |v46|
	v_cmp_gt_i32_e64 s4, 0, v46
	v_cmp_class_f32_e64 s22, v46, 0x204
	s_delay_alu instid0(VALU_DEP_4) | instskip(NEXT) | instid1(VALU_DEP_1)
	v_dual_max_num_f32 v45, v44, v35 :: v_dual_min_num_f32 v35, v44, v35
	v_frexp_mant_f32_e32 v50, v45
	v_frexp_exp_i32_f32_e32 v44, v45
	s_delay_alu instid0(VALU_DEP_2)
	v_rcp_f32_e32 v45, v50
	v_nop
	v_frexp_exp_i32_f32_e32 v50, v35
	v_frexp_mant_f32_e32 v35, v35
	s_delay_alu instid0(TRANS32_DEP_1) | instid1(VALU_DEP_1)
	v_dual_mul_f32 v35, v35, v45 :: v_dual_sub_nc_u32 v44, v50, v44
	s_delay_alu instid0(VALU_DEP_1) | instskip(NEXT) | instid1(VALU_DEP_1)
	v_ldexp_f32 v35, v35, v44
	v_mul_f32_e32 v44, v35, v35
	s_delay_alu instid0(VALU_DEP_1) | instskip(NEXT) | instid1(VALU_DEP_1)
	v_fmaak_f32 v45, s17, v44, 0xbc7a590c
	v_fmaak_f32 v45, v44, v45, 0x3d29fb3f
	s_delay_alu instid0(VALU_DEP_1) | instskip(NEXT) | instid1(VALU_DEP_1)
	v_fmaak_f32 v45, v44, v45, 0xbd97d4d7
	v_fmaak_f32 v45, v44, v45, 0x3dd931b2
	;; [unrolled: 3-line block ×3, first 2 shown]
	s_delay_alu instid0(VALU_DEP_1) | instskip(NEXT) | instid1(VALU_DEP_1)
	v_fmaak_f32 v45, v44, v45, 0xbeaaaa62
	v_mul_f32_e32 v44, v44, v45
	s_delay_alu instid0(VALU_DEP_1) | instskip(NEXT) | instid1(VALU_DEP_1)
	v_fmac_f32_e32 v35, v35, v44
	v_sub_f32_e32 v44, 0x3fc90fdb, v35
	s_delay_alu instid0(VALU_DEP_1) | instskip(SKIP_1) | instid1(VALU_DEP_2)
	v_cndmask_b32_e32 v35, v35, v44, vcc_lo
	v_cmp_gt_f32_e32 vcc_lo, 0, v46
	v_sub_f32_e32 v44, 0x40490fdb, v35
	v_cndmask_b32_e32 v45, 0x3f490fdb, v49, vcc_lo
	s_delay_alu instid0(VALU_DEP_2) | instskip(SKIP_3) | instid1(VALU_DEP_2)
	v_cndmask_b32_e32 v35, v35, v44, vcc_lo
	v_cndmask_b32_e64 v44, 0, 0x40490fdb, s4
	v_cmp_eq_f32_e64 s4, 0, v47
	v_cmp_eq_f32_e32 vcc_lo, 0x7f800000, v47
	v_cndmask_b32_e64 v35, |v35|, v44, s4
	s_and_b32 vcc_lo, vcc_lo, s22
	s_delay_alu instid0(VALU_DEP_1) | instskip(SKIP_1) | instid1(VALU_DEP_2)
	v_cndmask_b32_e32 v35, v35, v45, vcc_lo
	v_cmp_o_f32_e32 vcc_lo, v46, v46
	v_cndmask_b32_e32 v44, 0x7fc00000, v35, vcc_lo
.LBB56_766:                             ;   in Loop: Header=BB56_401 Depth=1
	s_or_b32 exec_lo, exec_lo, s5
	s_delay_alu instid0(VALU_DEP_1)
	v_bfi_b32 v42, 0x7fffffff, v44, v42
	v_bfi_b32 v43, 0x7fffffff, v33, v43
.LBB56_767:                             ;   in Loop: Header=BB56_401 Depth=1
	s_or_b32 exec_lo, exec_lo, s21
.LBB56_768:                             ;   in Loop: Header=BB56_401 Depth=1
	s_delay_alu instid0(SALU_CYCLE_1)
	s_or_b32 exec_lo, exec_lo, s20
                                        ; implicit-def: $vgpr33
                                        ; implicit-def: $vgpr35
                                        ; implicit-def: $vgpr44
.LBB56_769:                             ;   in Loop: Header=BB56_401 Depth=1
	s_and_not1_saveexec_b32 s19, s19
	s_cbranch_execz .LBB56_791
; %bb.770:                              ;   in Loop: Header=BB56_401 Depth=1
                                        ; implicit-def: $sgpr20
                                        ; implicit-def: $vgpr45
                                        ; implicit-def: $vgpr46
	s_mov_b32 s4, exec_lo
	v_cmpx_lt_i32_e32 -1, v43
	s_xor_b32 s21, exec_lo, s4
	s_cbranch_execz .LBB56_780
; %bb.771:                              ;   in Loop: Header=BB56_401 Depth=1
	v_cmp_lt_f32_e64 s4, |v43|, |v42|
                                        ; implicit-def: $vgpr45
                                        ; implicit-def: $vgpr46
	s_mov_b32 s5, exec_lo
	v_cndmask_b32_e64 v47, |v43|, |v42|, s4
	s_delay_alu instid0(VALU_DEP_1)
	v_cmpx_nlt_f32_e32 0x7effffff, v47
	s_xor_b32 s20, exec_lo, s5
	s_cbranch_execz .LBB56_777
; %bb.772:                              ;   in Loop: Header=BB56_401 Depth=1
	v_cndmask_b32_e64 v50, |v42|, |v43|, s4
	v_cmp_nlt_f32_e32 vcc_lo, 0x5e000000, v47
                                        ; implicit-def: $vgpr45
                                        ; implicit-def: $vgpr46
	s_delay_alu instid0(VALU_DEP_2) | instskip(SKIP_1) | instid1(SALU_CYCLE_1)
	v_cmp_ngt_f32_e64 s5, 0x20000000, v50
	s_and_b32 s5, vcc_lo, s5
	s_and_saveexec_b32 s22, s5
	s_delay_alu instid0(SALU_CYCLE_1)
	s_xor_b32 s22, exec_lo, s22
	s_cbranch_execz .LBB56_774
; %bb.773:                              ;   in Loop: Header=BB56_401 Depth=1
	v_frexp_mant_f32_e32 v45, v44
	s_wait_dscnt 0x0
	v_dual_min_num_f32 v33, v35, v33 :: v_dual_mul_f32 v50, v50, v50
	v_frexp_exp_i32_f32_e32 v35, v44
	s_delay_alu instid0(VALU_DEP_3) | instskip(SKIP_1) | instid1(VALU_DEP_3)
	v_rcp_f32_e32 v44, v45
	v_nop
	v_frexp_exp_i32_f32_e32 v45, v33
	v_frexp_mant_f32_e32 v33, v33
	v_fmac_f32_e32 v50, v47, v47
	s_delay_alu instid0(VALU_DEP_3)
	v_sub_nc_u32_e32 v35, v45, v35
	s_delay_alu instid0(TRANS32_DEP_1) | instid1(VALU_DEP_3)
	v_mul_f32_e32 v33, v33, v44
	s_delay_alu instid0(VALU_DEP_3) | instskip(NEXT) | instid1(VALU_DEP_2)
	v_cmp_gt_f32_e32 vcc_lo, 0x800000, v50
	v_ldexp_f32 v46, v33, v35
	v_cndmask_b32_e64 v33, 0, 32, vcc_lo
	s_delay_alu instid0(VALU_DEP_1) | instskip(NEXT) | instid1(VALU_DEP_1)
	v_ldexp_f32 v33, v50, v33
	v_log_f32_e32 v33, v33
	v_nop
	s_delay_alu instid0(TRANS32_DEP_1) | instskip(SKIP_1) | instid1(VALU_DEP_2)
	v_mul_f32_e32 v45, 0x3f317217, v33
	v_cmp_gt_f32_e64 s5, 0x7f800000, |v33|
	v_fma_f32 v45, 0x3f317217, v33, -v45
	s_delay_alu instid0(VALU_DEP_1) | instskip(NEXT) | instid1(VALU_DEP_1)
	v_fmac_f32_e32 v45, 0x3377d1cf, v33
	v_fmac_f32_e32 v45, 0x3f317217, v33
	s_delay_alu instid0(VALU_DEP_1) | instskip(SKIP_1) | instid1(VALU_DEP_1)
	v_dual_mul_f32 v35, v46, v46 :: v_dual_cndmask_b32 v33, v33, v45, s5
	v_cndmask_b32_e64 v45, 0, 0x41b17218, vcc_lo
	v_dual_fmaak_f32 v44, s17, v35, 0xbc7a590c :: v_dual_sub_f32 v33, v33, v45
	s_delay_alu instid0(VALU_DEP_1) | instskip(NEXT) | instid1(VALU_DEP_1)
	v_dual_fmaak_f32 v44, v35, v44, 0x3d29fb3f :: v_dual_mul_f32 v45, 0.5, v33
	v_fmaak_f32 v44, v35, v44, 0xbd97d4d7
                                        ; implicit-def: $vgpr33
	s_delay_alu instid0(VALU_DEP_1) | instskip(NEXT) | instid1(VALU_DEP_1)
	v_fmaak_f32 v44, v35, v44, 0x3dd931b2
	v_fmaak_f32 v44, v35, v44, 0xbe1160e6
	s_delay_alu instid0(VALU_DEP_1) | instskip(NEXT) | instid1(VALU_DEP_1)
	v_fmaak_f32 v44, v35, v44, 0x3e4cb8bf
	v_fmaak_f32 v44, v35, v44, 0xbeaaaa62
	s_delay_alu instid0(VALU_DEP_1) | instskip(NEXT) | instid1(VALU_DEP_1)
	v_mul_f32_e32 v35, v35, v44
                                        ; implicit-def: $vgpr44
	v_fmac_f32_e32 v46, v46, v35
                                        ; implicit-def: $vgpr35
.LBB56_774:                             ;   in Loop: Header=BB56_401 Depth=1
	s_and_not1_saveexec_b32 s5, s22
	s_cbranch_execz .LBB56_776
; %bb.775:                              ;   in Loop: Header=BB56_401 Depth=1
	v_cvt_f64_f32_e32 v[46:47], v44
	v_frexp_mant_f32_e32 v50, v44
	v_cmp_neq_f32_e32 vcc_lo, 0x7f800000, v44
	s_delay_alu instid0(VALU_DEP_3) | instskip(NEXT) | instid1(VALU_DEP_1)
	v_frexp_exp_i32_f64_e32 v45, v[46:47]
	v_sub_nc_u32_e32 v46, 0, v45
	s_delay_alu instid0(VALU_DEP_1) | instskip(NEXT) | instid1(VALU_DEP_1)
	v_ldexp_f32 v47, |v42|, v46
	v_mul_f32_e32 v47, v47, v47
	v_ldexp_f32 v46, |v43|, v46
	s_wait_dscnt 0x0
	v_min_num_f32_e32 v33, v35, v33
	v_frexp_exp_i32_f32_e32 v35, v44
	s_delay_alu instid0(VALU_DEP_3)
	v_fmac_f32_e32 v47, v46, v46
	v_rcp_f32_e32 v46, v50
	v_nop
	v_frexp_exp_i32_f32_e32 v50, v33
	v_frexp_mant_f32_e32 v33, v33
	v_sqrt_f32_e32 v47, v47
	s_delay_alu instid0(TRANS32_DEP_2) | instid1(VALU_DEP_1)
	v_dual_sub_nc_u32 v35, v50, v35 :: v_dual_mul_f32 v33, v33, v46
	s_delay_alu instid0(TRANS32_DEP_1) | instskip(NEXT) | instid1(VALU_DEP_2)
	v_ldexp_f32 v45, v47, v45
	v_ldexp_f32 v46, v33, v35
	s_delay_alu instid0(VALU_DEP_2) | instskip(NEXT) | instid1(VALU_DEP_1)
	v_cndmask_b32_e32 v33, 0x7f800000, v45, vcc_lo
	v_cmp_gt_f32_e32 vcc_lo, 0x800000, v33
	v_cndmask_b32_e64 v44, 0, 32, vcc_lo
	v_cndmask_b32_e64 v47, 0, 0x41b17218, vcc_lo
	s_delay_alu instid0(VALU_DEP_2) | instskip(NEXT) | instid1(VALU_DEP_1)
	v_ldexp_f32 v33, v33, v44
	v_log_f32_e32 v33, v33
	v_nop
	s_delay_alu instid0(TRANS32_DEP_1) | instskip(SKIP_1) | instid1(VALU_DEP_1)
	v_cmp_gt_f32_e64 vcc_lo, 0x7f800000, |v33|
	v_mul_f32_e32 v35, v46, v46
	v_fmaak_f32 v45, s17, v35, 0xbc7a590c
	s_delay_alu instid0(VALU_DEP_1) | instskip(SKIP_1) | instid1(VALU_DEP_1)
	v_fmaak_f32 v44, v35, v45, 0x3d29fb3f
	v_mul_f32_e32 v45, 0x3f317217, v33
	v_fma_f32 v45, 0x3f317217, v33, -v45
	s_delay_alu instid0(VALU_DEP_1) | instskip(NEXT) | instid1(VALU_DEP_1)
	v_fmac_f32_e32 v45, 0x3377d1cf, v33
	v_fmac_f32_e32 v45, 0x3f317217, v33
	s_delay_alu instid0(VALU_DEP_1) | instskip(NEXT) | instid1(VALU_DEP_1)
	v_cndmask_b32_e32 v33, v33, v45, vcc_lo
	v_dual_sub_f32 v45, v33, v47 :: v_dual_fmaak_f32 v44, v35, v44, 0xbd97d4d7
	s_delay_alu instid0(VALU_DEP_1) | instskip(NEXT) | instid1(VALU_DEP_1)
	v_fmaak_f32 v44, v35, v44, 0x3dd931b2
	v_fmaak_f32 v44, v35, v44, 0xbe1160e6
	s_delay_alu instid0(VALU_DEP_1) | instskip(NEXT) | instid1(VALU_DEP_1)
	v_fmaak_f32 v44, v35, v44, 0x3e4cb8bf
	v_fmaak_f32 v44, v35, v44, 0xbeaaaa62
	s_delay_alu instid0(VALU_DEP_1) | instskip(NEXT) | instid1(VALU_DEP_1)
	v_mul_f32_e32 v35, v35, v44
	v_fmac_f32_e32 v46, v46, v35
.LBB56_776:                             ;   in Loop: Header=BB56_401 Depth=1
	s_or_b32 exec_lo, exec_lo, s5
                                        ; implicit-def: $vgpr35
                                        ; implicit-def: $vgpr33
                                        ; implicit-def: $vgpr44
.LBB56_777:                             ;   in Loop: Header=BB56_401 Depth=1
	s_and_not1_saveexec_b32 s20, s20
	s_cbranch_execz .LBB56_779
; %bb.778:                              ;   in Loop: Header=BB56_401 Depth=1
	v_div_scale_f32 v45, null, 0x402df854, 0x402df854, v43
	v_div_scale_f32 v46, null, 0x402df854, 0x402df854, v42
	v_div_scale_f32 v53, vcc_lo, v43, 0x402df854, v43
	s_delay_alu instid0(VALU_DEP_3) | instskip(NEXT) | instid1(VALU_DEP_2)
	v_rcp_f32_e32 v47, v45
	v_rcp_f32_e32 v50, v46
	s_wait_dscnt 0x0
	v_min_num_f32_e32 v33, v35, v33
	s_delay_alu instid0(TRANS32_DEP_2) | instskip(NEXT) | instid1(TRANS32_DEP_1)
	v_fma_f32 v51, -v45, v47, 1.0
	v_fma_f32 v52, -v46, v50, 1.0
	s_delay_alu instid0(VALU_DEP_1) | instskip(SKIP_1) | instid1(VALU_DEP_1)
	v_dual_fmac_f32 v47, v51, v47 :: v_dual_fmac_f32 v50, v52, v50
	v_div_scale_f32 v51, s5, v42, 0x402df854, v42
	v_dual_mul_f32 v52, v53, v47 :: v_dual_mul_f32 v54, v51, v50
	s_delay_alu instid0(VALU_DEP_1) | instskip(NEXT) | instid1(VALU_DEP_1)
	v_dual_fma_f32 v55, -v45, v52, v53 :: v_dual_fma_f32 v56, -v46, v54, v51
	v_dual_fmac_f32 v52, v55, v47 :: v_dual_fmac_f32 v54, v56, v50
	s_delay_alu instid0(VALU_DEP_1) | instskip(NEXT) | instid1(VALU_DEP_1)
	v_dual_fma_f32 v45, -v45, v52, v53 :: v_dual_fma_f32 v46, -v46, v54, v51
	v_div_fmas_f32 v45, v45, v47, v52
	s_mov_b32 vcc_lo, s5
	s_delay_alu instid0(VALU_DEP_2) | instskip(NEXT) | instid1(VALU_DEP_2)
	v_div_fmas_f32 v46, v46, v50, v54
	v_div_fixup_f32 v45, v45, 0x402df854, v43
	s_delay_alu instid0(VALU_DEP_2) | instskip(NEXT) | instid1(VALU_DEP_1)
	v_div_fixup_f32 v50, v46, 0x402df854, v42
	v_max_num_f32_e64 v51, v45, |v50|
	s_delay_alu instid0(VALU_DEP_1) | instskip(SKIP_1) | instid1(VALU_DEP_2)
	v_cvt_f64_f32_e32 v[46:47], v51
	v_cmp_neq_f32_e32 vcc_lo, 0x7f800000, v51
	v_frexp_exp_i32_f64_e32 v46, v[46:47]
	s_delay_alu instid0(VALU_DEP_1) | instskip(NEXT) | instid1(VALU_DEP_1)
	v_sub_nc_u32_e32 v47, 0, v46
	v_ldexp_f32 v50, |v50|, v47
	v_ldexp_f32 v45, v45, v47
	s_delay_alu instid0(VALU_DEP_2) | instskip(NEXT) | instid1(VALU_DEP_1)
	v_mul_f32_e32 v47, v50, v50
	v_fmac_f32_e32 v47, v45, v45
	v_frexp_mant_f32_e32 v45, v44
	v_frexp_exp_i32_f32_e32 v44, v44
	s_delay_alu instid0(VALU_DEP_3) | instskip(NEXT) | instid1(VALU_DEP_2)
	v_sqrt_f32_e32 v35, v47
	v_rcp_f32_e32 v45, v45
	v_frexp_exp_i32_f32_e32 v47, v33
	v_frexp_mant_f32_e32 v33, v33
	s_delay_alu instid0(TRANS32_DEP_2)
	v_ldexp_f32 v35, v35, v46
	s_delay_alu instid0(TRANS32_DEP_1) | instid1(VALU_DEP_2)
	v_dual_mul_f32 v33, v33, v45 :: v_dual_sub_nc_u32 v44, v47, v44
	s_delay_alu instid0(VALU_DEP_2) | instskip(NEXT) | instid1(VALU_DEP_2)
	v_cndmask_b32_e32 v35, 0x7f800000, v35, vcc_lo
	v_ldexp_f32 v46, v33, v44
	s_delay_alu instid0(VALU_DEP_2) | instskip(NEXT) | instid1(VALU_DEP_2)
	v_cmp_gt_f32_e32 vcc_lo, 0x800000, v35
	v_mul_f32_e32 v44, v46, v46
	v_cndmask_b32_e64 v33, 0, 32, vcc_lo
	v_cndmask_b32_e64 v47, 0, 0x41b17218, vcc_lo
	s_delay_alu instid0(VALU_DEP_2) | instskip(NEXT) | instid1(VALU_DEP_4)
	v_ldexp_f32 v33, v35, v33
	v_fmaak_f32 v35, s17, v44, 0xbc7a590c
	s_delay_alu instid0(VALU_DEP_2) | instskip(NEXT) | instid1(VALU_DEP_1)
	v_log_f32_e32 v33, v33
	v_fmaak_f32 v35, v44, v35, 0x3d29fb3f
	s_delay_alu instid0(VALU_DEP_1) | instskip(NEXT) | instid1(TRANS32_DEP_1)
	v_fmaak_f32 v35, v44, v35, 0xbd97d4d7
	v_cmp_gt_f32_e64 vcc_lo, 0x7f800000, |v33|
	s_delay_alu instid0(VALU_DEP_2) | instskip(NEXT) | instid1(VALU_DEP_1)
	v_fmaak_f32 v35, v44, v35, 0x3dd931b2
	v_fmaak_f32 v35, v44, v35, 0xbe1160e6
	s_delay_alu instid0(VALU_DEP_1) | instskip(NEXT) | instid1(VALU_DEP_1)
	v_fmaak_f32 v35, v44, v35, 0x3e4cb8bf
	v_fmaak_f32 v35, v44, v35, 0xbeaaaa62
	s_delay_alu instid0(VALU_DEP_1) | instskip(NEXT) | instid1(VALU_DEP_1)
	v_mul_f32_e32 v35, v44, v35
	v_dual_mul_f32 v45, 0x3f317217, v33 :: v_dual_fmac_f32 v46, v46, v35
	s_delay_alu instid0(VALU_DEP_1) | instskip(NEXT) | instid1(VALU_DEP_1)
	v_fma_f32 v45, 0x3f317217, v33, -v45
	v_fmac_f32_e32 v45, 0x3377d1cf, v33
	s_delay_alu instid0(VALU_DEP_1) | instskip(NEXT) | instid1(VALU_DEP_1)
	v_fmac_f32_e32 v45, 0x3f317217, v33
	v_cndmask_b32_e32 v33, v33, v45, vcc_lo
	s_delay_alu instid0(VALU_DEP_1) | instskip(NEXT) | instid1(VALU_DEP_1)
	v_sub_f32_e32 v33, v33, v47
	v_add_f32_e32 v45, 1.0, v33
.LBB56_779:                             ;   in Loop: Header=BB56_401 Depth=1
	s_or_b32 exec_lo, exec_lo, s20
	s_wait_dscnt 0x0
	v_sub_f32_e32 v33, 0x3fc90fdb, v46
	v_cmp_neq_f32_e32 vcc_lo, 0, v42
	v_cmp_class_f32_e64 s20, v43, 0x204
	s_delay_alu instid0(VALU_DEP_3) | instskip(NEXT) | instid1(VALU_DEP_1)
	v_cndmask_b32_e64 v33, v46, v33, s4
	v_cndmask_b32_e32 v46, 0, v33, vcc_lo
                                        ; implicit-def: $vgpr33
.LBB56_780:                             ;   in Loop: Header=BB56_401 Depth=1
	s_and_not1_saveexec_b32 s21, s21
	s_cbranch_execz .LBB56_790
; %bb.781:                              ;   in Loop: Header=BB56_401 Depth=1
	v_cmp_gt_f32_e64 s4, |v42|, -v43
                                        ; implicit-def: $vgpr45
                                        ; implicit-def: $vgpr35
	s_mov_b32 s5, exec_lo
	v_cndmask_b32_e64 v44, -v43, |v42|, s4
	s_delay_alu instid0(VALU_DEP_1)
	v_cmpx_nlt_f32_e32 0x7effffff, v44
	s_xor_b32 s22, exec_lo, s5
	s_cbranch_execz .LBB56_787
; %bb.782:                              ;   in Loop: Header=BB56_401 Depth=1
	v_xor_b32_e32 v35, 0x80000000, v43
	v_cmp_nlt_f32_e32 vcc_lo, 0x5e000000, v44
                                        ; implicit-def: $vgpr45
	s_delay_alu instid0(VALU_DEP_2) | instskip(NEXT) | instid1(VALU_DEP_1)
	v_cndmask_b32_e64 v46, |v42|, v35, s4
                                        ; implicit-def: $vgpr35
	v_cmp_ngt_f32_e64 s5, 0x20000000, v46
	s_and_b32 s5, vcc_lo, s5
	s_delay_alu instid0(SALU_CYCLE_1) | instskip(NEXT) | instid1(SALU_CYCLE_1)
	s_and_saveexec_b32 s23, s5
	s_xor_b32 s23, exec_lo, s23
	s_cbranch_execz .LBB56_784
; %bb.783:                              ;   in Loop: Header=BB56_401 Depth=1
	v_dual_max_num_f32 v35, -v43, -v43 :: v_dual_mul_f32 v46, v46, v46
	s_wait_dscnt 0x0
	s_delay_alu instid0(VALU_DEP_1) | instskip(NEXT) | instid1(VALU_DEP_1)
	v_dual_max_num_f32 v45, v35, v33 :: v_dual_min_num_f32 v33, v35, v33
	v_frexp_mant_f32_e32 v47, v45
	v_frexp_exp_i32_f32_e32 v35, v45
	s_delay_alu instid0(VALU_DEP_2)
	v_rcp_f32_e32 v45, v47
	v_nop
	v_frexp_exp_i32_f32_e32 v47, v33
	v_frexp_mant_f32_e32 v33, v33
	s_delay_alu instid0(TRANS32_DEP_1) | instid1(VALU_DEP_1)
	v_dual_sub_nc_u32 v35, v47, v35 :: v_dual_mul_f32 v33, v33, v45
	s_delay_alu instid0(VALU_DEP_1) | instskip(NEXT) | instid1(VALU_DEP_1)
	v_ldexp_f32 v35, v33, v35
	v_dual_fmac_f32 v46, v44, v44 :: v_dual_mul_f32 v44, v35, v35
	s_delay_alu instid0(VALU_DEP_1) | instskip(NEXT) | instid1(VALU_DEP_2)
	v_cmp_gt_f32_e32 vcc_lo, 0x800000, v46
	v_fmaak_f32 v45, s17, v44, 0xbc7a590c
	v_cndmask_b32_e64 v33, 0, 32, vcc_lo
	s_delay_alu instid0(VALU_DEP_2) | instskip(NEXT) | instid1(VALU_DEP_2)
	v_fmaak_f32 v45, v44, v45, 0x3d29fb3f
	v_ldexp_f32 v33, v46, v33
	s_delay_alu instid0(VALU_DEP_2) | instskip(NEXT) | instid1(VALU_DEP_2)
	v_fmaak_f32 v45, v44, v45, 0xbd97d4d7
	v_log_f32_e32 v33, v33
	s_delay_alu instid0(VALU_DEP_1) | instskip(NEXT) | instid1(TRANS32_DEP_1)
	v_fmaak_f32 v45, v44, v45, 0x3dd931b2
	v_mul_f32_e32 v46, 0x3f317217, v33
	v_cmp_gt_f32_e64 s5, 0x7f800000, |v33|
	s_delay_alu instid0(VALU_DEP_3) | instskip(NEXT) | instid1(VALU_DEP_3)
	v_fmaak_f32 v45, v44, v45, 0xbe1160e6
	v_fma_f32 v46, 0x3f317217, v33, -v46
	s_delay_alu instid0(VALU_DEP_2) | instskip(NEXT) | instid1(VALU_DEP_1)
	v_fmaak_f32 v45, v44, v45, 0x3e4cb8bf
	v_fmaak_f32 v45, v44, v45, 0xbeaaaa62
	s_delay_alu instid0(VALU_DEP_1) | instskip(NEXT) | instid1(VALU_DEP_1)
	v_mul_f32_e32 v44, v44, v45
	v_dual_fmac_f32 v46, 0x3377d1cf, v33 :: v_dual_fmac_f32 v35, v35, v44
	s_delay_alu instid0(VALU_DEP_1) | instskip(NEXT) | instid1(VALU_DEP_1)
	v_fmac_f32_e32 v46, 0x3f317217, v33
	v_cndmask_b32_e64 v33, v33, v46, s5
	v_cndmask_b32_e64 v46, 0, 0x41b17218, vcc_lo
	s_delay_alu instid0(VALU_DEP_1) | instskip(NEXT) | instid1(VALU_DEP_1)
	v_sub_f32_e32 v33, v33, v46
	v_mul_f32_e32 v45, 0.5, v33
                                        ; implicit-def: $vgpr33
.LBB56_784:                             ;   in Loop: Header=BB56_401 Depth=1
	s_and_not1_saveexec_b32 s5, s23
	s_cbranch_execz .LBB56_786
; %bb.785:                              ;   in Loop: Header=BB56_401 Depth=1
	v_max_num_f32_e64 v35, -v43, -v43
	s_wait_dscnt 0x0
	s_delay_alu instid0(VALU_DEP_1) | instskip(NEXT) | instid1(VALU_DEP_1)
	v_max_num_f32_e32 v46, v35, v33
	v_cvt_f64_f32_e32 v[44:45], v46
	s_delay_alu instid0(VALU_DEP_1) | instskip(NEXT) | instid1(VALU_DEP_1)
	v_frexp_exp_i32_f64_e32 v44, v[44:45]
	v_dual_sub_nc_u32 v45, 0, v44 :: v_dual_min_num_f32 v33, v35, v33
	v_frexp_mant_f32_e32 v35, v46
	v_cmp_neq_f32_e32 vcc_lo, 0x7f800000, v46
	s_delay_alu instid0(VALU_DEP_3)
	v_ldexp_f32 v47, |v42|, v45
	v_ldexp_f32 v45, -v43, v45
	v_frexp_exp_i32_f32_e32 v50, v33
	v_rcp_f32_e32 v35, v35
	v_frexp_mant_f32_e32 v33, v33
	v_mul_f32_e32 v47, v47, v47
	s_delay_alu instid0(TRANS32_DEP_1) | instid1(VALU_DEP_2)
	v_mul_f32_e32 v33, v33, v35
	s_delay_alu instid0(VALU_DEP_2) | instskip(SKIP_1) | instid1(VALU_DEP_2)
	v_fmac_f32_e32 v47, v45, v45
	v_frexp_exp_i32_f32_e32 v45, v46
	v_sqrt_f32_e32 v47, v47
	s_delay_alu instid0(VALU_DEP_1) | instskip(NEXT) | instid1(VALU_DEP_1)
	v_sub_nc_u32_e32 v45, v50, v45
	v_ldexp_f32 v35, v33, v45
	s_delay_alu instid0(TRANS32_DEP_1) | instskip(NEXT) | instid1(VALU_DEP_1)
	v_ldexp_f32 v44, v47, v44
	v_dual_cndmask_b32 v33, 0x7f800000, v44 :: v_dual_mul_f32 v44, v35, v35
	s_delay_alu instid0(VALU_DEP_1) | instskip(NEXT) | instid1(VALU_DEP_2)
	v_cmp_gt_f32_e32 vcc_lo, 0x800000, v33
	v_fmaak_f32 v46, s17, v44, 0xbc7a590c
	v_cndmask_b32_e64 v45, 0, 32, vcc_lo
	v_cndmask_b32_e64 v47, 0, 0x41b17218, vcc_lo
	s_delay_alu instid0(VALU_DEP_2) | instskip(NEXT) | instid1(VALU_DEP_4)
	v_ldexp_f32 v33, v33, v45
	v_fmaak_f32 v45, v44, v46, 0x3d29fb3f
	s_delay_alu instid0(VALU_DEP_2) | instskip(NEXT) | instid1(VALU_DEP_1)
	v_log_f32_e32 v33, v33
	v_fmaak_f32 v45, v44, v45, 0xbd97d4d7
	s_delay_alu instid0(VALU_DEP_1) | instskip(NEXT) | instid1(TRANS32_DEP_1)
	v_fmaak_f32 v45, v44, v45, 0x3dd931b2
	v_mul_f32_e32 v46, 0x3f317217, v33
	v_cmp_gt_f32_e64 vcc_lo, 0x7f800000, |v33|
	s_delay_alu instid0(VALU_DEP_3) | instskip(NEXT) | instid1(VALU_DEP_3)
	v_fmaak_f32 v45, v44, v45, 0xbe1160e6
	v_fma_f32 v46, 0x3f317217, v33, -v46
	s_delay_alu instid0(VALU_DEP_2) | instskip(NEXT) | instid1(VALU_DEP_1)
	v_fmaak_f32 v45, v44, v45, 0x3e4cb8bf
	v_fmaak_f32 v45, v44, v45, 0xbeaaaa62
	s_delay_alu instid0(VALU_DEP_1) | instskip(NEXT) | instid1(VALU_DEP_1)
	v_mul_f32_e32 v44, v44, v45
	v_dual_fmac_f32 v46, 0x3377d1cf, v33 :: v_dual_fmac_f32 v35, v35, v44
	s_delay_alu instid0(VALU_DEP_1) | instskip(NEXT) | instid1(VALU_DEP_1)
	v_fmac_f32_e32 v46, 0x3f317217, v33
	v_cndmask_b32_e32 v33, v33, v46, vcc_lo
	s_delay_alu instid0(VALU_DEP_1)
	v_sub_f32_e32 v45, v33, v47
.LBB56_786:                             ;   in Loop: Header=BB56_401 Depth=1
	s_or_b32 exec_lo, exec_lo, s5
                                        ; implicit-def: $vgpr33
.LBB56_787:                             ;   in Loop: Header=BB56_401 Depth=1
	s_and_not1_saveexec_b32 s22, s22
	s_cbranch_execz .LBB56_789
; %bb.788:                              ;   in Loop: Header=BB56_401 Depth=1
	v_div_scale_f32 v35, null, 0xc02df854, 0xc02df854, v43
	v_div_scale_f32 v44, null, 0xc02df854, 0xc02df854, v42
	v_div_scale_f32 v51, vcc_lo, v43, 0xc02df854, v43
	s_delay_alu instid0(VALU_DEP_3) | instskip(NEXT) | instid1(VALU_DEP_2)
	v_rcp_f32_e32 v45, v35
	v_rcp_f32_e32 v46, v44
	s_delay_alu instid0(TRANS32_DEP_2) | instskip(NEXT) | instid1(TRANS32_DEP_1)
	v_fma_f32 v47, -v35, v45, 1.0
	v_fma_f32 v50, -v44, v46, 1.0
	s_delay_alu instid0(VALU_DEP_1) | instskip(SKIP_1) | instid1(VALU_DEP_1)
	v_dual_fmac_f32 v45, v47, v45 :: v_dual_fmac_f32 v46, v50, v46
	v_div_scale_f32 v47, s5, v42, 0xc02df854, v42
	v_mul_f32_e32 v52, v47, v46
	s_delay_alu instid0(VALU_DEP_1) | instskip(NEXT) | instid1(VALU_DEP_1)
	v_dual_mul_f32 v50, v51, v45 :: v_dual_fma_f32 v54, -v44, v52, v47
	v_fma_f32 v53, -v35, v50, v51
	s_delay_alu instid0(VALU_DEP_1) | instskip(NEXT) | instid1(VALU_DEP_1)
	v_dual_fmac_f32 v50, v53, v45 :: v_dual_fmac_f32 v52, v54, v46
	v_fma_f32 v35, -v35, v50, v51
	s_delay_alu instid0(VALU_DEP_2) | instskip(NEXT) | instid1(VALU_DEP_2)
	v_fma_f32 v44, -v44, v52, v47
	v_div_fmas_f32 v35, v35, v45, v50
	s_mov_b32 vcc_lo, s5
	v_max_num_f32_e64 v50, -v43, -v43
	s_delay_alu instid0(VALU_DEP_3) | instskip(NEXT) | instid1(VALU_DEP_3)
	v_div_fmas_f32 v44, v44, v46, v52
	v_div_fixup_f32 v35, v35, 0xc02df854, v43
	s_delay_alu instid0(VALU_DEP_2) | instskip(NEXT) | instid1(VALU_DEP_1)
	v_div_fixup_f32 v46, v44, 0xc02df854, v42
	v_max_num_f32_e64 v47, |v35|, |v46|
	s_delay_alu instid0(VALU_DEP_1) | instskip(SKIP_1) | instid1(VALU_DEP_2)
	v_cvt_f64_f32_e32 v[44:45], v47
	v_cmp_neq_f32_e32 vcc_lo, 0x7f800000, v47
	v_frexp_exp_i32_f64_e32 v44, v[44:45]
	s_delay_alu instid0(VALU_DEP_1) | instskip(NEXT) | instid1(VALU_DEP_1)
	v_sub_nc_u32_e32 v45, 0, v44
	v_ldexp_f32 v46, |v46|, v45
	v_ldexp_f32 v35, |v35|, v45
	s_delay_alu instid0(VALU_DEP_2) | instskip(SKIP_1) | instid1(VALU_DEP_1)
	v_mul_f32_e32 v45, v46, v46
	s_wait_dscnt 0x0
	v_dual_max_num_f32 v46, v50, v33 :: v_dual_fmac_f32 v45, v35, v35
	s_delay_alu instid0(VALU_DEP_1) | instskip(SKIP_2) | instid1(VALU_DEP_4)
	v_frexp_mant_f32_e32 v35, v46
	v_frexp_exp_i32_f32_e32 v46, v46
	v_min_num_f32_e32 v33, v50, v33
	v_sqrt_f32_e32 v45, v45
	s_delay_alu instid0(VALU_DEP_3) | instskip(NEXT) | instid1(VALU_DEP_1)
	v_rcp_f32_e32 v35, v35
	v_frexp_exp_i32_f32_e32 v50, v33
	s_delay_alu instid0(TRANS32_DEP_2) | instskip(NEXT) | instid1(VALU_DEP_2)
	v_ldexp_f32 v44, v45, v44
	v_sub_nc_u32_e32 v45, v50, v46
	v_frexp_mant_f32_e32 v33, v33
	s_delay_alu instid0(TRANS32_DEP_1) | instid1(VALU_DEP_1)
	v_mul_f32_e32 v33, v33, v35
	s_delay_alu instid0(VALU_DEP_1) | instskip(NEXT) | instid1(VALU_DEP_1)
	v_ldexp_f32 v35, v33, v45
	v_dual_cndmask_b32 v44, 0x7f800000, v44 :: v_dual_mul_f32 v45, v35, v35
	s_delay_alu instid0(VALU_DEP_1) | instskip(SKIP_2) | instid1(VALU_DEP_2)
	v_cmp_gt_f32_e32 vcc_lo, 0x800000, v44
	v_cndmask_b32_e64 v33, 0, 32, vcc_lo
	v_cndmask_b32_e64 v47, 0, 0x41b17218, vcc_lo
	v_ldexp_f32 v33, v44, v33
	s_delay_alu instid0(VALU_DEP_1) | instskip(SKIP_1) | instid1(TRANS32_DEP_1)
	v_log_f32_e32 v33, v33
	v_nop
	v_mul_f32_e32 v46, 0x3f317217, v33
	v_cmp_gt_f32_e64 vcc_lo, 0x7f800000, |v33|
	s_delay_alu instid0(VALU_DEP_2) | instskip(NEXT) | instid1(VALU_DEP_1)
	v_fma_f32 v46, 0x3f317217, v33, -v46
	v_fmac_f32_e32 v46, 0x3377d1cf, v33
	s_delay_alu instid0(VALU_DEP_1) | instskip(NEXT) | instid1(VALU_DEP_1)
	v_fmac_f32_e32 v46, 0x3f317217, v33
	v_cndmask_b32_e32 v33, v33, v46, vcc_lo
	s_delay_alu instid0(VALU_DEP_1) | instskip(NEXT) | instid1(VALU_DEP_1)
	v_dual_fmaak_f32 v44, s17, v45, 0xbc7a590c :: v_dual_sub_f32 v33, v33, v47
	v_fmaak_f32 v44, v45, v44, 0x3d29fb3f
	s_delay_alu instid0(VALU_DEP_1) | instskip(NEXT) | instid1(VALU_DEP_1)
	v_fmaak_f32 v44, v45, v44, 0xbd97d4d7
	v_fmaak_f32 v44, v45, v44, 0x3dd931b2
	s_delay_alu instid0(VALU_DEP_1) | instskip(NEXT) | instid1(VALU_DEP_1)
	v_fmaak_f32 v44, v45, v44, 0xbe1160e6
	v_fmaak_f32 v44, v45, v44, 0x3e4cb8bf
	s_delay_alu instid0(VALU_DEP_1) | instskip(NEXT) | instid1(VALU_DEP_1)
	v_fmaak_f32 v44, v45, v44, 0xbeaaaa62
	v_dual_mul_f32 v44, v45, v44 :: v_dual_add_f32 v45, 1.0, v33
	s_delay_alu instid0(VALU_DEP_1)
	v_fmac_f32_e32 v35, v35, v44
.LBB56_789:                             ;   in Loop: Header=BB56_401 Depth=1
	s_or_b32 exec_lo, exec_lo, s22
	s_wait_dscnt 0x0
	s_delay_alu instid0(VALU_DEP_1) | instskip(SKIP_1) | instid1(VALU_DEP_2)
	v_sub_f32_e32 v33, 0x3fc90fdb, v35
	v_cmp_eq_f32_e32 vcc_lo, 0xff800000, v43
	v_cndmask_b32_e64 v33, v35, v33, s4
	v_cmp_neq_f32_e64 s4, 0, v42
	s_and_b32 s5, vcc_lo, exec_lo
	v_cndmask_b32_e64 v46, 0, v33, s4
	s_and_not1_b32 s4, s20, exec_lo
	s_delay_alu instid0(SALU_CYCLE_1)
	s_or_b32 s20, s4, s5
.LBB56_790:                             ;   in Loop: Header=BB56_401 Depth=1
	s_or_b32 exec_lo, exec_lo, s21
	v_cmp_class_f32_e64 s4, v42, 0x204
	v_add_f32_e32 v35, 0x3f317218, v45
	s_and_b32 s4, s4, s20
	s_delay_alu instid0(VALU_DEP_1) | instskip(SKIP_2) | instid1(VALU_DEP_1)
	v_bfi_b32 v43, 0x7fffffff, v35, v43
	s_wait_dscnt 0x0
	v_cndmask_b32_e64 v33, v46, 0x3f490fdb, s4
	v_bfi_b32 v42, 0x7fffffff, v33, v42
.LBB56_791:                             ;   in Loop: Header=BB56_401 Depth=1
	s_or_b32 exec_lo, exec_lo, s19
	s_and_not1_saveexec_b32 s4, s18
	s_cbranch_execz .LBB56_705
.LBB56_792:                             ;   in Loop: Header=BB56_401 Depth=1
	v_cmp_neq_f32_e64 s5, 0x7f800000, |v43|
                                        ; implicit-def: $vgpr33
	s_and_saveexec_b32 s18, s5
	s_delay_alu instid0(SALU_CYCLE_1)
	s_xor_b32 s5, exec_lo, s18
	s_cbranch_execz .LBB56_802
; %bb.793:                              ;   in Loop: Header=BB56_401 Depth=1
	v_cmp_neq_f32_e64 s18, 0x7f800000, |v42|
                                        ; implicit-def: $vgpr33
	s_and_saveexec_b32 s19, s18
	s_delay_alu instid0(SALU_CYCLE_1)
	s_xor_b32 s18, exec_lo, s19
	s_cbranch_execz .LBB56_799
; %bb.794:                              ;   in Loop: Header=BB56_401 Depth=1
	s_mov_b32 s19, exec_lo
	v_cmpx_neq_f32_e32 0, v42
	s_xor_b32 s19, exec_lo, s19
	s_cbranch_execz .LBB56_796
; %bb.795:                              ;   in Loop: Header=BB56_401 Depth=1
	s_wait_dscnt 0x0
	v_add_f32_e32 v33, 0, v43
	s_delay_alu instid0(VALU_DEP_1)
	v_add_f32_e32 v43, v42, v33
.LBB56_796:                             ;   in Loop: Header=BB56_401 Depth=1
	s_or_saveexec_b32 s19, s19
	s_wait_dscnt 0x0
	s_delay_alu instid0(VALU_DEP_1)
	v_mov_b32_e32 v33, v43
	s_xor_b32 exec_lo, exec_lo, s19
; %bb.797:                              ;   in Loop: Header=BB56_401 Depth=1
	v_dual_add_f32 v43, v43, v43 :: v_dual_mov_b32 v33, v42
; %bb.798:                              ;   in Loop: Header=BB56_401 Depth=1
	s_or_b32 exec_lo, exec_lo, s19
.LBB56_799:                             ;   in Loop: Header=BB56_401 Depth=1
	s_and_not1_saveexec_b32 s18, s18
	s_cbranch_execz .LBB56_801
; %bb.800:                              ;   in Loop: Header=BB56_401 Depth=1
	s_wait_dscnt 0x0
	v_dual_add_f32 v33, v43, v43 :: v_dual_mov_b32 v43, v42
.LBB56_801:                             ;   in Loop: Header=BB56_401 Depth=1
	s_or_b32 exec_lo, exec_lo, s18
.LBB56_802:                             ;   in Loop: Header=BB56_401 Depth=1
	s_and_not1_saveexec_b32 s5, s5
	s_cbranch_execz .LBB56_804
; %bb.803:                              ;   in Loop: Header=BB56_401 Depth=1
	s_wait_dscnt 0x0
	v_add_f32_e32 v33, v42, v42
.LBB56_804:                             ;   in Loop: Header=BB56_401 Depth=1
	s_or_b32 exec_lo, exec_lo, s5
	s_wait_dscnt 0x0
	s_delay_alu instid0(VALU_DEP_1) | instskip(SKIP_2) | instid1(SALU_CYCLE_1)
	v_mov_b32_e32 v42, v33
	s_or_b32 exec_lo, exec_lo, s4
	s_and_saveexec_b32 s4, s0
	s_xor_b32 s0, exec_lo, s4
	s_cbranch_execz .LBB56_706
.LBB56_805:                             ;   in Loop: Header=BB56_401 Depth=1
	v_add_nc_u64_e32 v[44:45], s[6:7], v[10:11]
	global_store_b64 v[44:45], v[38:39], off
	s_wait_xcnt 0x0
	s_or_b32 exec_lo, exec_lo, s0
	s_and_saveexec_b32 s0, s1
	s_cbranch_execz .LBB56_707
.LBB56_806:                             ;   in Loop: Header=BB56_401 Depth=1
	v_add_nc_u64_e32 v[38:39], s[6:7], v[30:31]
	global_store_b64 v[38:39], v[40:41], off
	s_wait_xcnt 0x0
	s_or_b32 exec_lo, exec_lo, s0
	s_and_saveexec_b32 s0, s2
	s_cbranch_execz .LBB56_708
.LBB56_807:                             ;   in Loop: Header=BB56_401 Depth=1
	v_add_nc_u64_e32 v[38:39], s[6:7], v[24:25]
	global_store_b64 v[38:39], v[36:37], off
	s_wait_xcnt 0x0
	s_or_b32 exec_lo, exec_lo, s0
	s_and_saveexec_b32 s0, s3
	s_cbranch_execz .LBB56_400
.LBB56_808:                             ;   in Loop: Header=BB56_401 Depth=1
	v_add_nc_u64_e32 v[36:37], s[6:7], v[20:21]
	global_store_b64 v[36:37], v[42:43], off
	s_branch .LBB56_400
.LBB56_809:
	s_sendmsg sendmsg(MSG_DEALLOC_VGPRS)
	s_endpgm
	.section	.rodata,"a",@progbits
	.p2align	6, 0x0
	.amdhsa_kernel _ZN2at6native12_GLOBAL__N_125multi_tensor_apply_kernelINS1_18TensorListMetadataILi2EEENS1_14UnaryOpFunctorIN3c107complexIfEELi2ELi1ELi1EEEJNS0_4AsinIS8_EEEEEvT_T0_DpT1_
		.amdhsa_group_segment_fixed_size 0
		.amdhsa_private_segment_fixed_size 12
		.amdhsa_kernarg_size 3408
		.amdhsa_user_sgpr_count 2
		.amdhsa_user_sgpr_dispatch_ptr 0
		.amdhsa_user_sgpr_queue_ptr 0
		.amdhsa_user_sgpr_kernarg_segment_ptr 1
		.amdhsa_user_sgpr_dispatch_id 0
		.amdhsa_user_sgpr_kernarg_preload_length 0
		.amdhsa_user_sgpr_kernarg_preload_offset 0
		.amdhsa_user_sgpr_private_segment_size 0
		.amdhsa_wavefront_size32 1
		.amdhsa_uses_dynamic_stack 0
		.amdhsa_enable_private_segment 1
		.amdhsa_system_sgpr_workgroup_id_x 1
		.amdhsa_system_sgpr_workgroup_id_y 0
		.amdhsa_system_sgpr_workgroup_id_z 0
		.amdhsa_system_sgpr_workgroup_info 0
		.amdhsa_system_vgpr_workitem_id 0
		.amdhsa_next_free_vgpr 72
		.amdhsa_next_free_sgpr 34
		.amdhsa_named_barrier_count 0
		.amdhsa_reserve_vcc 1
		.amdhsa_float_round_mode_32 0
		.amdhsa_float_round_mode_16_64 0
		.amdhsa_float_denorm_mode_32 3
		.amdhsa_float_denorm_mode_16_64 3
		.amdhsa_fp16_overflow 0
		.amdhsa_memory_ordered 1
		.amdhsa_forward_progress 1
		.amdhsa_inst_pref_size 255
		.amdhsa_round_robin_scheduling 0
		.amdhsa_exception_fp_ieee_invalid_op 0
		.amdhsa_exception_fp_denorm_src 0
		.amdhsa_exception_fp_ieee_div_zero 0
		.amdhsa_exception_fp_ieee_overflow 0
		.amdhsa_exception_fp_ieee_underflow 0
		.amdhsa_exception_fp_ieee_inexact 0
		.amdhsa_exception_int_div_zero 0
	.end_amdhsa_kernel
	.section	.text._ZN2at6native12_GLOBAL__N_125multi_tensor_apply_kernelINS1_18TensorListMetadataILi2EEENS1_14UnaryOpFunctorIN3c107complexIfEELi2ELi1ELi1EEEJNS0_4AsinIS8_EEEEEvT_T0_DpT1_,"axG",@progbits,_ZN2at6native12_GLOBAL__N_125multi_tensor_apply_kernelINS1_18TensorListMetadataILi2EEENS1_14UnaryOpFunctorIN3c107complexIfEELi2ELi1ELi1EEEJNS0_4AsinIS8_EEEEEvT_T0_DpT1_,comdat
.Lfunc_end56:
	.size	_ZN2at6native12_GLOBAL__N_125multi_tensor_apply_kernelINS1_18TensorListMetadataILi2EEENS1_14UnaryOpFunctorIN3c107complexIfEELi2ELi1ELi1EEEJNS0_4AsinIS8_EEEEEvT_T0_DpT1_, .Lfunc_end56-_ZN2at6native12_GLOBAL__N_125multi_tensor_apply_kernelINS1_18TensorListMetadataILi2EEENS1_14UnaryOpFunctorIN3c107complexIfEELi2ELi1ELi1EEEJNS0_4AsinIS8_EEEEEvT_T0_DpT1_
                                        ; -- End function
	.set _ZN2at6native12_GLOBAL__N_125multi_tensor_apply_kernelINS1_18TensorListMetadataILi2EEENS1_14UnaryOpFunctorIN3c107complexIfEELi2ELi1ELi1EEEJNS0_4AsinIS8_EEEEEvT_T0_DpT1_.num_vgpr, 72
	.set _ZN2at6native12_GLOBAL__N_125multi_tensor_apply_kernelINS1_18TensorListMetadataILi2EEENS1_14UnaryOpFunctorIN3c107complexIfEELi2ELi1ELi1EEEJNS0_4AsinIS8_EEEEEvT_T0_DpT1_.num_agpr, 0
	.set _ZN2at6native12_GLOBAL__N_125multi_tensor_apply_kernelINS1_18TensorListMetadataILi2EEENS1_14UnaryOpFunctorIN3c107complexIfEELi2ELi1ELi1EEEJNS0_4AsinIS8_EEEEEvT_T0_DpT1_.numbered_sgpr, 34
	.set _ZN2at6native12_GLOBAL__N_125multi_tensor_apply_kernelINS1_18TensorListMetadataILi2EEENS1_14UnaryOpFunctorIN3c107complexIfEELi2ELi1ELi1EEEJNS0_4AsinIS8_EEEEEvT_T0_DpT1_.num_named_barrier, 0
	.set _ZN2at6native12_GLOBAL__N_125multi_tensor_apply_kernelINS1_18TensorListMetadataILi2EEENS1_14UnaryOpFunctorIN3c107complexIfEELi2ELi1ELi1EEEJNS0_4AsinIS8_EEEEEvT_T0_DpT1_.private_seg_size, 12
	.set _ZN2at6native12_GLOBAL__N_125multi_tensor_apply_kernelINS1_18TensorListMetadataILi2EEENS1_14UnaryOpFunctorIN3c107complexIfEELi2ELi1ELi1EEEJNS0_4AsinIS8_EEEEEvT_T0_DpT1_.uses_vcc, 1
	.set _ZN2at6native12_GLOBAL__N_125multi_tensor_apply_kernelINS1_18TensorListMetadataILi2EEENS1_14UnaryOpFunctorIN3c107complexIfEELi2ELi1ELi1EEEJNS0_4AsinIS8_EEEEEvT_T0_DpT1_.uses_flat_scratch, 0
	.set _ZN2at6native12_GLOBAL__N_125multi_tensor_apply_kernelINS1_18TensorListMetadataILi2EEENS1_14UnaryOpFunctorIN3c107complexIfEELi2ELi1ELi1EEEJNS0_4AsinIS8_EEEEEvT_T0_DpT1_.has_dyn_sized_stack, 0
	.set _ZN2at6native12_GLOBAL__N_125multi_tensor_apply_kernelINS1_18TensorListMetadataILi2EEENS1_14UnaryOpFunctorIN3c107complexIfEELi2ELi1ELi1EEEJNS0_4AsinIS8_EEEEEvT_T0_DpT1_.has_recursion, 0
	.set _ZN2at6native12_GLOBAL__N_125multi_tensor_apply_kernelINS1_18TensorListMetadataILi2EEENS1_14UnaryOpFunctorIN3c107complexIfEELi2ELi1ELi1EEEJNS0_4AsinIS8_EEEEEvT_T0_DpT1_.has_indirect_call, 0
	.section	.AMDGPU.csdata,"",@progbits
; Kernel info:
; codeLenInByte = 70600
; TotalNumSgprs: 36
; NumVgprs: 72
; ScratchSize: 12
; MemoryBound: 1
; FloatMode: 240
; IeeeMode: 1
; LDSByteSize: 0 bytes/workgroup (compile time only)
; SGPRBlocks: 0
; VGPRBlocks: 4
; NumSGPRsForWavesPerEU: 36
; NumVGPRsForWavesPerEU: 72
; NamedBarCnt: 0
; Occupancy: 12
; WaveLimiterHint : 0
; COMPUTE_PGM_RSRC2:SCRATCH_EN: 1
; COMPUTE_PGM_RSRC2:USER_SGPR: 2
; COMPUTE_PGM_RSRC2:TRAP_HANDLER: 0
; COMPUTE_PGM_RSRC2:TGID_X_EN: 1
; COMPUTE_PGM_RSRC2:TGID_Y_EN: 0
; COMPUTE_PGM_RSRC2:TGID_Z_EN: 0
; COMPUTE_PGM_RSRC2:TIDIG_COMP_CNT: 0
	.section	.text._ZN2at6native12_GLOBAL__N_125multi_tensor_apply_kernelINS1_18TensorListMetadataILi2EEENS1_14UnaryOpFunctorIN3c104HalfELi2ELi1ELi1EEEJNS0_4AsinIfEEEEEvT_T0_DpT1_,"axG",@progbits,_ZN2at6native12_GLOBAL__N_125multi_tensor_apply_kernelINS1_18TensorListMetadataILi2EEENS1_14UnaryOpFunctorIN3c104HalfELi2ELi1ELi1EEEJNS0_4AsinIfEEEEEvT_T0_DpT1_,comdat
	.globl	_ZN2at6native12_GLOBAL__N_125multi_tensor_apply_kernelINS1_18TensorListMetadataILi2EEENS1_14UnaryOpFunctorIN3c104HalfELi2ELi1ELi1EEEJNS0_4AsinIfEEEEEvT_T0_DpT1_ ; -- Begin function _ZN2at6native12_GLOBAL__N_125multi_tensor_apply_kernelINS1_18TensorListMetadataILi2EEENS1_14UnaryOpFunctorIN3c104HalfELi2ELi1ELi1EEEJNS0_4AsinIfEEEEEvT_T0_DpT1_
	.p2align	8
	.type	_ZN2at6native12_GLOBAL__N_125multi_tensor_apply_kernelINS1_18TensorListMetadataILi2EEENS1_14UnaryOpFunctorIN3c104HalfELi2ELi1ELi1EEEJNS0_4AsinIfEEEEEvT_T0_DpT1_,@function
_ZN2at6native12_GLOBAL__N_125multi_tensor_apply_kernelINS1_18TensorListMetadataILi2EEENS1_14UnaryOpFunctorIN3c104HalfELi2ELi1ELi1EEEJNS0_4AsinIfEEEEEvT_T0_DpT1_: ; @_ZN2at6native12_GLOBAL__N_125multi_tensor_apply_kernelINS1_18TensorListMetadataILi2EEENS1_14UnaryOpFunctorIN3c104HalfELi2ELi1ELi1EEEJNS0_4AsinIfEEEEEvT_T0_DpT1_
; %bb.0:
	s_bfe_u32 s2, ttmp6, 0x4000c
	s_and_b32 s3, ttmp6, 15
	s_add_co_i32 s2, s2, 1
	s_getreg_b32 s4, hwreg(HW_REG_IB_STS2, 6, 4)
	s_mul_i32 s2, ttmp9, s2
	s_delay_alu instid0(SALU_CYCLE_1)
	s_add_co_i32 s3, s3, s2
	s_cmp_eq_u32 s4, 0
	s_cselect_b32 s2, ttmp9, s3
	s_mov_b32 s3, 0
	s_load_u8 s13, s[0:1], s2 offset:0x600
	s_add_nc_u64 s[4:5], s[0:1], s[2:3]
	s_mul_u64 s[6:7], s[2:3], 3
	s_delay_alu instid0(SALU_CYCLE_1)
	s_add_nc_u64 s[4:5], s[4:5], s[6:7]
	s_load_b32 s12, s[4:5], 0x740
	s_wait_kmcnt 0x0
	s_clause 0x2
	s_load_b64 s[8:9], s[0:1], s13 offset:0x0 scale_offset
	s_load_b64 s[10:11], s[0:1], s13 offset:0x200 scale_offset
	;; [unrolled: 1-line block ×3, first 2 shown]
	s_mov_b32 s5, s3
	s_wait_xcnt 0x0
	s_ashr_i32 s13, s12, 31
	s_delay_alu instid0(SALU_CYCLE_1)
	s_lshl_b64 s[6:7], s[12:13], 17
	s_wait_kmcnt 0x0
	s_and_b64 s[18:19], s[10:11], 7
	s_add_nc_u64 s[16:17], s[8:9], s[6:7]
	s_and_b32 s4, s14, 3
	s_and_b32 s2, s16, 7
	s_or_b64 s[4:5], s[18:19], s[4:5]
	s_lshl_b64 s[12:13], s[12:13], 16
	s_or_b64 s[2:3], s[4:5], s[2:3]
	s_sub_nc_u64 s[12:13], s[14:15], s[12:13]
	s_cmp_eq_u64 s[2:3], 0
	s_mov_b32 s2, -1
	s_cbranch_scc0 .LBB57_5
; %bb.1:
	v_min_i64 v[2:3], 0x10000, s[12:13]
	v_dual_mov_b32 v5, 0 :: v_dual_lshlrev_b32 v4, 2, v0
	s_mov_b32 s5, exec_lo
	s_delay_alu instid0(VALU_DEP_1)
	v_cmpx_lt_i64_e64 v[4:5], v[2:3]
	s_cbranch_execz .LBB57_4
; %bb.2:
	s_load_b32 s2, s[0:1], 0xc5c
	v_dual_mov_b32 v1, v5 :: v_dual_lshlrev_b32 v4, 3, v0
	s_mov_b32 s15, 0
	s_mov_b32 s16, 0x3c5fc5da
	;; [unrolled: 1-line block ×3, first 2 shown]
	s_delay_alu instid0(VALU_DEP_1)
	v_mov_b64_e32 v[6:7], v[0:1]
	v_add_nc_u64_e32 v[4:5], s[6:7], v[4:5]
	s_mov_b32 s20, 0x3d034c3c
	s_mov_b32 s22, 0x3d3641b1
	;; [unrolled: 1-line block ×6, first 2 shown]
	s_wait_kmcnt 0x0
	s_and_b32 s14, s2, 0xffff
	s_delay_alu instid0(SALU_CYCLE_1)
	s_lshl_b32 s28, s14, 3
.LBB57_3:                               ; =>This Inner Loop Header: Depth=1
	v_add_nc_u64_e32 v[8:9], s[8:9], v[4:5]
	v_add_nc_u64_e32 v[6:7], s[14:15], v[6:7]
	global_load_b64 v[8:9], v[8:9], off
	v_lshlrev_b64_e32 v[10:11], 2, v[6:7]
	s_wait_loadcnt 0x0
	v_dual_lshrrev_b32 v1, 16, v8 :: v_dual_lshrrev_b32 v17, 16, v9
	v_cvt_f32_f16_e32 v12, v8
	v_cvt_f32_f16_e32 v14, v9
	v_dual_lshlrev_b32 v30, 16, v8 :: v_dual_lshlrev_b32 v31, 16, v9
	s_delay_alu instid0(VALU_DEP_4)
	v_cvt_f32_f16_e32 v13, v1
	v_cvt_f32_f16_e32 v15, v17
	s_wait_xcnt 0x0
	v_and_b32_e32 v8, 0x7fffffff, v14
	v_and_b32_e32 v16, 0x7fffffff, v12
	v_cmp_ge_f32_e64 s2, |v14|, 0.5
	v_pk_mul_f32 v[18:19], v[12:13], v[12:13]
	v_and_b32_e32 v9, 0x7fffffff, v15
	v_cmp_ge_f32_e64 vcc_lo, |v13|, 0.5
	v_lshlrev_b32_e32 v32, 16, v17
	v_and_b32_e32 v17, 0x7fffffff, v13
	v_pk_mul_f32 v[20:21], v[14:15], v[14:15]
	v_pk_fma_f32 v[24:25], v[8:9], -0.5, 0.5 op_sel_hi:[1,0,0]
	v_cmp_ge_f32_e64 s3, |v15|, 0.5
	v_cmp_ge_f32_e64 s4, |v12|, 0.5
	v_pk_fma_f32 v[22:23], v[16:17], -0.5, 0.5 op_sel_hi:[1,0,0]
	s_delay_alu instid0(VALU_DEP_4) | instskip(NEXT) | instid1(VALU_DEP_4)
	v_dual_lshlrev_b32 v1, 16, v1 :: v_dual_cndmask_b32 v20, v20, v24, s2
	v_cndmask_b32_e64 v21, v21, v25, s3
	v_cmp_lt_f32_e64 s2, |v15|, 0.5
	s_delay_alu instid0(VALU_DEP_4) | instskip(NEXT) | instid1(VALU_DEP_4)
	v_dual_cndmask_b32 v18, v18, v22, s4 :: v_dual_cndmask_b32 v19, v19, v23, vcc_lo
	v_sqrt_f32_e32 v28, v20
	s_delay_alu instid0(VALU_DEP_3) | instskip(SKIP_1) | instid1(VALU_DEP_2)
	v_pk_fma_f32 v[26:27], v[20:21], s[18:19], s[16:17] op_sel_hi:[1,0,0]
	v_sqrt_f32_e32 v29, v21
	v_sqrt_f32_e32 v22, v18
	v_pk_fma_f32 v[24:25], v[18:19], s[18:19], s[16:17] op_sel_hi:[1,0,0]
	v_sqrt_f32_e32 v23, v19
	v_pk_fma_f32 v[26:27], v[20:21], v[26:27], s[20:21] op_sel_hi:[1,1,0]
	v_cmp_lt_f32_e64 vcc_lo, |v12|, 0.5
	v_cmp_lt_f32_e64 s3, |v14|, 0.5
	v_pk_fma_f32 v[24:25], v[18:19], v[24:25], s[20:21] op_sel_hi:[1,1,0]
	v_cmp_lt_f32_e64 s4, |v13|, 0.5
	v_pk_fma_f32 v[26:27], v[20:21], v[26:27], s[22:23] op_sel_hi:[1,1,0]
	s_delay_alu instid0(VALU_DEP_3) | instskip(NEXT) | instid1(VALU_DEP_2)
	v_pk_fma_f32 v[24:25], v[18:19], v[24:25], s[22:23] op_sel_hi:[1,1,0]
	v_pk_fma_f32 v[26:27], v[20:21], v[26:27], s[24:25] op_sel_hi:[1,1,0]
	s_delay_alu instid0(VALU_DEP_2) | instskip(NEXT) | instid1(VALU_DEP_2)
	v_pk_fma_f32 v[24:25], v[18:19], v[24:25], s[24:25] op_sel_hi:[1,1,0]
	v_pk_fma_f32 v[26:27], v[20:21], v[26:27], s[26:27] op_sel_hi:[1,1,0]
	s_delay_alu instid0(VALU_DEP_2) | instskip(NEXT) | instid1(VALU_DEP_2)
	v_pk_fma_f32 v[24:25], v[18:19], v[24:25], s[26:27] op_sel_hi:[1,1,0]
	v_pk_mul_f32 v[20:21], v[20:21], v[26:27]
	s_delay_alu instid0(VALU_DEP_2) | instskip(NEXT) | instid1(VALU_DEP_2)
	v_pk_mul_f32 v[18:19], v[18:19], v[24:25]
	v_pk_fma_f32 v[24:25], v[28:29], v[20:21], v[28:29]
	v_pk_fma_f32 v[8:9], v[8:9], v[20:21], v[8:9]
	s_delay_alu instid0(VALU_DEP_3) | instskip(SKIP_1) | instid1(VALU_DEP_4)
	v_pk_fma_f32 v[22:23], v[22:23], v[18:19], v[22:23]
	v_pk_fma_f32 v[16:17], v[16:17], v[18:19], v[16:17]
	v_pk_add_f32 v[20:21], v[24:25], v[24:25]
	s_delay_alu instid0(VALU_DEP_3) | instskip(NEXT) | instid1(VALU_DEP_2)
	v_pk_add_f32 v[18:19], v[22:23], v[22:23]
	v_dual_sub_f32 v21, 0x3fc90fdb, v21 :: v_dual_sub_f32 v20, 0x3fc90fdb, v20
	s_delay_alu instid0(VALU_DEP_2) | instskip(NEXT) | instid1(VALU_DEP_2)
	v_dual_sub_f32 v19, 0x3fc90fdb, v19 :: v_dual_sub_f32 v18, 0x3fc90fdb, v18
	v_dual_cndmask_b32 v9, v21, v9, s2 :: v_dual_cndmask_b32 v8, v20, v8, s3
	s_delay_alu instid0(VALU_DEP_2) | instskip(SKIP_1) | instid1(VALU_DEP_3)
	v_dual_cndmask_b32 v12, v19, v17, s4 :: v_dual_cndmask_b32 v13, v18, v16, vcc_lo
	v_cmp_ge_i64_e32 vcc_lo, v[10:11], v[2:3]
	v_bfi_b32 v14, 0x7fffffff, v8, v31
	s_delay_alu instid0(VALU_DEP_3)
	v_bfi_b32 v1, 0x7fffffff, v12, v1
	v_bfi_b32 v12, 0x7fffffff, v9, v32
	;; [unrolled: 1-line block ×3, first 2 shown]
	v_add_nc_u64_e32 v[8:9], s[10:11], v[4:5]
	v_add_nc_u64_e32 v[4:5], s[28:29], v[4:5]
	s_or_b32 s17, vcc_lo, s17
	v_cvt_pk_f16_f32 v11, v14, v12
	v_cvt_pk_f16_f32 v10, v13, v1
	global_store_b64 v[8:9], v[10:11], off
	s_wait_xcnt 0x0
	s_and_not1_b32 exec_lo, exec_lo, s17
	s_cbranch_execnz .LBB57_3
.LBB57_4:
	s_or_b32 exec_lo, exec_lo, s5
	s_mov_b32 s2, 0
.LBB57_5:
	s_delay_alu instid0(SALU_CYCLE_1)
	s_and_not1_b32 vcc_lo, exec_lo, s2
	s_cbranch_vccnz .LBB57_25
; %bb.6:
	v_cmp_lt_i64_e64 s2, s[12:13], 1
	s_and_b32 vcc_lo, exec_lo, s2
	s_cbranch_vccnz .LBB57_25
; %bb.7:
	s_load_b32 s0, s[0:1], 0xc5c
	v_min_i64 v[2:3], 0x10000, s[12:13]
	v_min_u64 v[4:5], 0x10000, s[12:13]
	v_dual_mov_b32 v1, 0 :: v_dual_lshlrev_b32 v10, 1, v0
	s_wait_xcnt 0x0
	s_mov_b32 s1, 0
	s_delay_alu instid0(SALU_CYCLE_1) | instskip(NEXT) | instid1(VALU_DEP_1)
	s_mov_b32 s5, s1
	v_dual_mov_b32 v11, v1 :: v_dual_mov_b32 v27, v1
	s_mov_b32 s3, s1
	s_mov_b32 s13, s1
	s_delay_alu instid0(VALU_DEP_1) | instskip(SKIP_2) | instid1(SALU_CYCLE_1)
	v_add_nc_u64_e32 v[6:7], s[8:9], v[10:11]
	s_wait_kmcnt 0x0
	s_and_b32 s0, s0, 0xffff
	v_add_nc_u64_e32 v[8:9], s[0:1], v[0:1]
	v_mad_nc_u64_u32 v[22:23], s0, 6, v[10:11]
	s_lshl_b32 s4, s0, 2
	s_mul_i32 s12, s0, 3
	v_add_nc_u64_e32 v[18:19], s[4:5], v[10:11]
	s_lshl_b32 s2, s0, 1
	v_add_nc_u64_e32 v[10:11], s[10:11], v[10:11]
	v_lshlrev_b32_e32 v26, 1, v8
	v_add_nc_u64_e32 v[12:13], s[12:13], v[0:1]
	v_add_nc_u64_e32 v[14:15], s[2:3], v[0:1]
	s_mov_b32 s3, 0x3d1c21a7
	v_add_nc_u64_e32 v[16:17], s[8:9], v[18:19]
	v_add_nc_u64_e32 v[18:19], s[10:11], v[18:19]
	;; [unrolled: 1-line block ×6, first 2 shown]
	s_lshl_b32 s8, s0, 3
	s_mov_b32 s9, s1
	s_mov_b64 s[10:11], 0
	s_branch .LBB57_9
.LBB57_8:                               ;   in Loop: Header=BB57_9 Depth=1
	s_wait_xcnt 0x0
	s_or_b32 exec_lo, exec_lo, s0
	s_add_nc_u64 s[10:11], s[10:11], s[4:5]
	v_add_nc_u64_e32 v[6:7], s[8:9], v[6:7]
	v_cmp_ge_i64_e32 vcc_lo, s[10:11], v[2:3]
	v_add_nc_u64_e32 v[10:11], s[8:9], v[10:11]
	v_add_nc_u64_e32 v[20:21], s[8:9], v[20:21]
	;; [unrolled: 1-line block ×7, first 2 shown]
	s_cbranch_vccnz .LBB57_25
.LBB57_9:                               ; =>This Inner Loop Header: Depth=1
	v_add_nc_u64_e32 v[28:29], s[10:11], v[0:1]
	v_mov_b32_e32 v31, 0
	s_delay_alu instid0(VALU_DEP_2)
	v_cmp_lt_u64_e64 s2, v[28:29], v[4:5]
	s_and_saveexec_b32 s0, s2
	s_cbranch_execz .LBB57_11
; %bb.10:                               ;   in Loop: Header=BB57_9 Depth=1
	v_add_nc_u64_e32 v[28:29], s[6:7], v[6:7]
	global_load_u16 v28, v[28:29], off
	s_wait_loadcnt 0x0
	v_cvt_f32_f16_e32 v31, v28
.LBB57_11:                              ;   in Loop: Header=BB57_9 Depth=1
	s_wait_xcnt 0x0
	s_or_b32 exec_lo, exec_lo, s0
	v_add_nc_u64_e32 v[28:29], s[10:11], v[8:9]
	v_mov_b32_e32 v30, 0
	s_delay_alu instid0(VALU_DEP_2)
	v_cmp_lt_u64_e64 s1, v[28:29], v[4:5]
	v_mov_b32_e32 v29, 0
	s_and_saveexec_b32 s0, s1
	s_cbranch_execz .LBB57_13
; %bb.12:                               ;   in Loop: Header=BB57_9 Depth=1
	v_add_nc_u64_e32 v[32:33], s[6:7], v[24:25]
	global_load_u16 v28, v[32:33], off
	s_wait_loadcnt 0x0
	v_cvt_f32_f16_e32 v30, v28
.LBB57_13:                              ;   in Loop: Header=BB57_9 Depth=1
	s_wait_xcnt 0x0
	s_or_b32 exec_lo, exec_lo, s0
	v_add_nc_u64_e32 v[32:33], s[10:11], v[14:15]
	s_delay_alu instid0(VALU_DEP_1)
	v_cmp_lt_u64_e64 s0, v[32:33], v[4:5]
	s_and_saveexec_b32 s12, s0
	s_cbranch_execz .LBB57_15
; %bb.14:                               ;   in Loop: Header=BB57_9 Depth=1
	v_add_nc_u64_e32 v[28:29], s[6:7], v[16:17]
	global_load_u16 v28, v[28:29], off
	s_wait_loadcnt 0x0
	v_cvt_f32_f16_e32 v29, v28
.LBB57_15:                              ;   in Loop: Header=BB57_9 Depth=1
	s_or_b32 exec_lo, exec_lo, s12
	v_add_nc_u64_e32 v[32:33], s[10:11], v[12:13]
	v_mov_b32_e32 v28, 0
	s_delay_alu instid0(VALU_DEP_2)
	v_cmp_lt_u64_e32 vcc_lo, v[32:33], v[4:5]
	s_and_saveexec_b32 s12, vcc_lo
	s_cbranch_execnz .LBB57_20
; %bb.16:                               ;   in Loop: Header=BB57_9 Depth=1
	s_or_b32 exec_lo, exec_lo, s12
	s_and_saveexec_b32 s12, s2
	s_cbranch_execnz .LBB57_21
.LBB57_17:                              ;   in Loop: Header=BB57_9 Depth=1
	s_or_b32 exec_lo, exec_lo, s12
	s_and_saveexec_b32 s2, s1
	s_cbranch_execnz .LBB57_22
.LBB57_18:                              ;   in Loop: Header=BB57_9 Depth=1
	s_or_b32 exec_lo, exec_lo, s2
	s_and_saveexec_b32 s1, s0
	s_cbranch_execnz .LBB57_23
.LBB57_19:                              ;   in Loop: Header=BB57_9 Depth=1
	s_or_b32 exec_lo, exec_lo, s1
	s_and_saveexec_b32 s0, vcc_lo
	s_cbranch_execz .LBB57_8
	s_branch .LBB57_24
.LBB57_20:                              ;   in Loop: Header=BB57_9 Depth=1
	v_add_nc_u64_e32 v[32:33], s[6:7], v[20:21]
	global_load_u16 v28, v[32:33], off
	s_wait_loadcnt 0x0
	v_cvt_f32_f16_e32 v28, v28
	s_wait_xcnt 0x0
	s_or_b32 exec_lo, exec_lo, s12
	s_and_saveexec_b32 s12, s2
	s_cbranch_execz .LBB57_17
.LBB57_21:                              ;   in Loop: Header=BB57_9 Depth=1
	v_fma_f32 v32, |v31|, -0.5, 0.5
	v_mul_f32_e32 v33, v31, v31
	v_cmp_ge_f32_e64 s2, |v31|, 0.5
	s_delay_alu instid0(VALU_DEP_1) | instskip(SKIP_1) | instid1(VALU_DEP_2)
	v_cndmask_b32_e64 v32, v33, v32, s2
	v_cmp_lt_f32_e64 s2, |v31|, 0.5
	v_fmaak_f32 v33, s3, v32, 0x3c5fc5da
	v_sqrt_f32_e32 v34, v32
	s_delay_alu instid0(VALU_DEP_1) | instskip(NEXT) | instid1(VALU_DEP_1)
	v_fmaak_f32 v33, v32, v33, 0x3d034c3c
	v_fmaak_f32 v33, v32, v33, 0x3d3641b1
	s_delay_alu instid0(VALU_DEP_1) | instskip(NEXT) | instid1(VALU_DEP_1)
	v_fmaak_f32 v33, v32, v33, 0x3d999bc8
	v_fmaak_f32 v33, v32, v33, 0x3e2aaaac
	s_delay_alu instid0(VALU_DEP_1)
	v_mul_f32_e32 v32, v32, v33
	s_delay_alu instid0(TRANS32_DEP_1) | instid1(VALU_DEP_1)
	v_fmac_f32_e32 v34, v34, v32
	s_delay_alu instid0(VALU_DEP_1) | instskip(NEXT) | instid1(VALU_DEP_1)
	v_add_f32_e32 v33, v34, v34
	v_sub_f32_e32 v33, 0x3fc90fdb, v33
	v_fma_f32 v32, |v31|, v32, |v31|
	s_delay_alu instid0(VALU_DEP_1) | instskip(NEXT) | instid1(VALU_DEP_1)
	v_dual_lshrrev_b32 v31, 16, v31 :: v_dual_cndmask_b32 v32, v33, v32, s2
	v_cvt_f16_f32_e32 v34, v32
	v_add_nc_u64_e32 v[32:33], s[6:7], v[10:11]
	s_delay_alu instid0(VALU_DEP_2)
	v_bfi_b32 v31, 0x7fff, v34, v31
	global_store_b16 v[32:33], v31, off
	s_wait_xcnt 0x0
	s_or_b32 exec_lo, exec_lo, s12
	s_and_saveexec_b32 s2, s1
	s_cbranch_execz .LBB57_18
.LBB57_22:                              ;   in Loop: Header=BB57_9 Depth=1
	v_fma_f32 v31, |v30|, -0.5, 0.5
	v_mul_f32_e32 v32, v30, v30
	v_cmp_ge_f32_e64 s1, |v30|, 0.5
	s_delay_alu instid0(VALU_DEP_1) | instskip(SKIP_1) | instid1(VALU_DEP_2)
	v_cndmask_b32_e64 v31, v32, v31, s1
	v_cmp_lt_f32_e64 s1, |v30|, 0.5
	v_fmaak_f32 v32, s3, v31, 0x3c5fc5da
	v_sqrt_f32_e32 v33, v31
	s_delay_alu instid0(VALU_DEP_1) | instskip(NEXT) | instid1(VALU_DEP_1)
	v_fmaak_f32 v32, v31, v32, 0x3d034c3c
	v_fmaak_f32 v32, v31, v32, 0x3d3641b1
	s_delay_alu instid0(VALU_DEP_1) | instskip(NEXT) | instid1(VALU_DEP_1)
	v_fmaak_f32 v32, v31, v32, 0x3d999bc8
	v_fmaak_f32 v32, v31, v32, 0x3e2aaaac
	s_delay_alu instid0(VALU_DEP_1)
	v_mul_f32_e32 v31, v31, v32
	s_delay_alu instid0(TRANS32_DEP_1) | instid1(VALU_DEP_1)
	v_fmac_f32_e32 v33, v33, v31
	s_delay_alu instid0(VALU_DEP_1) | instskip(NEXT) | instid1(VALU_DEP_1)
	v_dual_add_f32 v32, v33, v33 :: v_dual_lshrrev_b32 v33, 16, v30
	v_sub_f32_e32 v32, 0x3fc90fdb, v32
	v_fma_f32 v31, |v30|, v31, |v30|
	s_delay_alu instid0(VALU_DEP_1) | instskip(NEXT) | instid1(VALU_DEP_1)
	v_cndmask_b32_e64 v31, v32, v31, s1
	v_cvt_f16_f32_e32 v32, v31
	v_add_nc_u64_e32 v[30:31], s[6:7], v[26:27]
	s_delay_alu instid0(VALU_DEP_2)
	v_bfi_b32 v32, 0x7fff, v32, v33
	global_store_b16 v[30:31], v32, off
	s_wait_xcnt 0x0
	s_or_b32 exec_lo, exec_lo, s2
	s_and_saveexec_b32 s1, s0
	s_cbranch_execz .LBB57_19
.LBB57_23:                              ;   in Loop: Header=BB57_9 Depth=1
	v_fma_f32 v30, |v29|, -0.5, 0.5
	v_mul_f32_e32 v31, v29, v29
	v_cmp_ge_f32_e64 s0, |v29|, 0.5
	s_delay_alu instid0(VALU_DEP_1) | instskip(SKIP_1) | instid1(VALU_DEP_2)
	v_cndmask_b32_e64 v30, v31, v30, s0
	v_cmp_lt_f32_e64 s0, |v29|, 0.5
	v_fmaak_f32 v31, s3, v30, 0x3c5fc5da
	v_sqrt_f32_e32 v32, v30
	s_delay_alu instid0(VALU_DEP_1) | instskip(NEXT) | instid1(VALU_DEP_1)
	v_fmaak_f32 v31, v30, v31, 0x3d034c3c
	v_fmaak_f32 v31, v30, v31, 0x3d3641b1
	s_delay_alu instid0(VALU_DEP_1) | instskip(NEXT) | instid1(VALU_DEP_1)
	v_fmaak_f32 v31, v30, v31, 0x3d999bc8
	v_fmaak_f32 v31, v30, v31, 0x3e2aaaac
	s_delay_alu instid0(VALU_DEP_1)
	v_mul_f32_e32 v30, v30, v31
	s_delay_alu instid0(TRANS32_DEP_1) | instid1(VALU_DEP_1)
	v_fmac_f32_e32 v32, v32, v30
	s_delay_alu instid0(VALU_DEP_1) | instskip(NEXT) | instid1(VALU_DEP_1)
	v_add_f32_e32 v31, v32, v32
	v_sub_f32_e32 v31, 0x3fc90fdb, v31
	v_fma_f32 v30, |v29|, v30, |v29|
	s_delay_alu instid0(VALU_DEP_1) | instskip(NEXT) | instid1(VALU_DEP_1)
	v_dual_lshrrev_b32 v29, 16, v29 :: v_dual_cndmask_b32 v30, v31, v30, s0
	v_cvt_f16_f32_e32 v32, v30
	v_add_nc_u64_e32 v[30:31], s[6:7], v[18:19]
	s_delay_alu instid0(VALU_DEP_2)
	v_bfi_b32 v29, 0x7fff, v32, v29
	global_store_b16 v[30:31], v29, off
	s_wait_xcnt 0x0
	s_or_b32 exec_lo, exec_lo, s1
	s_and_saveexec_b32 s0, vcc_lo
	s_cbranch_execz .LBB57_8
.LBB57_24:                              ;   in Loop: Header=BB57_9 Depth=1
	v_fma_f32 v29, |v28|, -0.5, 0.5
	v_mul_f32_e32 v30, v28, v28
	v_cmp_ge_f32_e64 vcc_lo, |v28|, 0.5
	s_delay_alu instid0(VALU_DEP_2) | instskip(SKIP_1) | instid1(VALU_DEP_2)
	v_cndmask_b32_e32 v29, v30, v29, vcc_lo
	v_cmp_lt_f32_e64 vcc_lo, |v28|, 0.5
	v_fmaak_f32 v30, s3, v29, 0x3c5fc5da
	v_sqrt_f32_e32 v31, v29
	s_delay_alu instid0(VALU_DEP_1) | instskip(NEXT) | instid1(VALU_DEP_1)
	v_fmaak_f32 v30, v29, v30, 0x3d034c3c
	v_fmaak_f32 v30, v29, v30, 0x3d3641b1
	s_delay_alu instid0(VALU_DEP_1) | instskip(NEXT) | instid1(VALU_DEP_1)
	v_fmaak_f32 v30, v29, v30, 0x3d999bc8
	v_fmaak_f32 v30, v29, v30, 0x3e2aaaac
	s_delay_alu instid0(VALU_DEP_1)
	v_mul_f32_e32 v29, v29, v30
	s_delay_alu instid0(TRANS32_DEP_1) | instid1(VALU_DEP_1)
	v_fmac_f32_e32 v31, v31, v29
	s_delay_alu instid0(VALU_DEP_1) | instskip(NEXT) | instid1(VALU_DEP_1)
	v_dual_add_f32 v30, v31, v31 :: v_dual_lshrrev_b32 v31, 16, v28
	v_sub_f32_e32 v30, 0x3fc90fdb, v30
	v_fma_f32 v29, |v28|, v29, |v28|
	s_delay_alu instid0(VALU_DEP_1) | instskip(NEXT) | instid1(VALU_DEP_1)
	v_cndmask_b32_e32 v29, v30, v29, vcc_lo
	v_cvt_f16_f32_e32 v30, v29
	v_add_nc_u64_e32 v[28:29], s[6:7], v[22:23]
	s_delay_alu instid0(VALU_DEP_2)
	v_bfi_b32 v30, 0x7fff, v30, v31
	global_store_b16 v[28:29], v30, off
	s_branch .LBB57_8
.LBB57_25:
	s_endpgm
	.section	.rodata,"a",@progbits
	.p2align	6, 0x0
	.amdhsa_kernel _ZN2at6native12_GLOBAL__N_125multi_tensor_apply_kernelINS1_18TensorListMetadataILi2EEENS1_14UnaryOpFunctorIN3c104HalfELi2ELi1ELi1EEEJNS0_4AsinIfEEEEEvT_T0_DpT1_
		.amdhsa_group_segment_fixed_size 0
		.amdhsa_private_segment_fixed_size 0
		.amdhsa_kernarg_size 3408
		.amdhsa_user_sgpr_count 2
		.amdhsa_user_sgpr_dispatch_ptr 0
		.amdhsa_user_sgpr_queue_ptr 0
		.amdhsa_user_sgpr_kernarg_segment_ptr 1
		.amdhsa_user_sgpr_dispatch_id 0
		.amdhsa_user_sgpr_kernarg_preload_length 0
		.amdhsa_user_sgpr_kernarg_preload_offset 0
		.amdhsa_user_sgpr_private_segment_size 0
		.amdhsa_wavefront_size32 1
		.amdhsa_uses_dynamic_stack 0
		.amdhsa_enable_private_segment 0
		.amdhsa_system_sgpr_workgroup_id_x 1
		.amdhsa_system_sgpr_workgroup_id_y 0
		.amdhsa_system_sgpr_workgroup_id_z 0
		.amdhsa_system_sgpr_workgroup_info 0
		.amdhsa_system_vgpr_workitem_id 0
		.amdhsa_next_free_vgpr 35
		.amdhsa_next_free_sgpr 30
		.amdhsa_named_barrier_count 0
		.amdhsa_reserve_vcc 1
		.amdhsa_float_round_mode_32 0
		.amdhsa_float_round_mode_16_64 0
		.amdhsa_float_denorm_mode_32 3
		.amdhsa_float_denorm_mode_16_64 3
		.amdhsa_fp16_overflow 0
		.amdhsa_memory_ordered 1
		.amdhsa_forward_progress 1
		.amdhsa_inst_pref_size 18
		.amdhsa_round_robin_scheduling 0
		.amdhsa_exception_fp_ieee_invalid_op 0
		.amdhsa_exception_fp_denorm_src 0
		.amdhsa_exception_fp_ieee_div_zero 0
		.amdhsa_exception_fp_ieee_overflow 0
		.amdhsa_exception_fp_ieee_underflow 0
		.amdhsa_exception_fp_ieee_inexact 0
		.amdhsa_exception_int_div_zero 0
	.end_amdhsa_kernel
	.section	.text._ZN2at6native12_GLOBAL__N_125multi_tensor_apply_kernelINS1_18TensorListMetadataILi2EEENS1_14UnaryOpFunctorIN3c104HalfELi2ELi1ELi1EEEJNS0_4AsinIfEEEEEvT_T0_DpT1_,"axG",@progbits,_ZN2at6native12_GLOBAL__N_125multi_tensor_apply_kernelINS1_18TensorListMetadataILi2EEENS1_14UnaryOpFunctorIN3c104HalfELi2ELi1ELi1EEEJNS0_4AsinIfEEEEEvT_T0_DpT1_,comdat
.Lfunc_end57:
	.size	_ZN2at6native12_GLOBAL__N_125multi_tensor_apply_kernelINS1_18TensorListMetadataILi2EEENS1_14UnaryOpFunctorIN3c104HalfELi2ELi1ELi1EEEJNS0_4AsinIfEEEEEvT_T0_DpT1_, .Lfunc_end57-_ZN2at6native12_GLOBAL__N_125multi_tensor_apply_kernelINS1_18TensorListMetadataILi2EEENS1_14UnaryOpFunctorIN3c104HalfELi2ELi1ELi1EEEJNS0_4AsinIfEEEEEvT_T0_DpT1_
                                        ; -- End function
	.set _ZN2at6native12_GLOBAL__N_125multi_tensor_apply_kernelINS1_18TensorListMetadataILi2EEENS1_14UnaryOpFunctorIN3c104HalfELi2ELi1ELi1EEEJNS0_4AsinIfEEEEEvT_T0_DpT1_.num_vgpr, 35
	.set _ZN2at6native12_GLOBAL__N_125multi_tensor_apply_kernelINS1_18TensorListMetadataILi2EEENS1_14UnaryOpFunctorIN3c104HalfELi2ELi1ELi1EEEJNS0_4AsinIfEEEEEvT_T0_DpT1_.num_agpr, 0
	.set _ZN2at6native12_GLOBAL__N_125multi_tensor_apply_kernelINS1_18TensorListMetadataILi2EEENS1_14UnaryOpFunctorIN3c104HalfELi2ELi1ELi1EEEJNS0_4AsinIfEEEEEvT_T0_DpT1_.numbered_sgpr, 30
	.set _ZN2at6native12_GLOBAL__N_125multi_tensor_apply_kernelINS1_18TensorListMetadataILi2EEENS1_14UnaryOpFunctorIN3c104HalfELi2ELi1ELi1EEEJNS0_4AsinIfEEEEEvT_T0_DpT1_.num_named_barrier, 0
	.set _ZN2at6native12_GLOBAL__N_125multi_tensor_apply_kernelINS1_18TensorListMetadataILi2EEENS1_14UnaryOpFunctorIN3c104HalfELi2ELi1ELi1EEEJNS0_4AsinIfEEEEEvT_T0_DpT1_.private_seg_size, 0
	.set _ZN2at6native12_GLOBAL__N_125multi_tensor_apply_kernelINS1_18TensorListMetadataILi2EEENS1_14UnaryOpFunctorIN3c104HalfELi2ELi1ELi1EEEJNS0_4AsinIfEEEEEvT_T0_DpT1_.uses_vcc, 1
	.set _ZN2at6native12_GLOBAL__N_125multi_tensor_apply_kernelINS1_18TensorListMetadataILi2EEENS1_14UnaryOpFunctorIN3c104HalfELi2ELi1ELi1EEEJNS0_4AsinIfEEEEEvT_T0_DpT1_.uses_flat_scratch, 0
	.set _ZN2at6native12_GLOBAL__N_125multi_tensor_apply_kernelINS1_18TensorListMetadataILi2EEENS1_14UnaryOpFunctorIN3c104HalfELi2ELi1ELi1EEEJNS0_4AsinIfEEEEEvT_T0_DpT1_.has_dyn_sized_stack, 0
	.set _ZN2at6native12_GLOBAL__N_125multi_tensor_apply_kernelINS1_18TensorListMetadataILi2EEENS1_14UnaryOpFunctorIN3c104HalfELi2ELi1ELi1EEEJNS0_4AsinIfEEEEEvT_T0_DpT1_.has_recursion, 0
	.set _ZN2at6native12_GLOBAL__N_125multi_tensor_apply_kernelINS1_18TensorListMetadataILi2EEENS1_14UnaryOpFunctorIN3c104HalfELi2ELi1ELi1EEEJNS0_4AsinIfEEEEEvT_T0_DpT1_.has_indirect_call, 0
	.section	.AMDGPU.csdata,"",@progbits
; Kernel info:
; codeLenInByte = 2276
; TotalNumSgprs: 32
; NumVgprs: 35
; ScratchSize: 0
; MemoryBound: 0
; FloatMode: 240
; IeeeMode: 1
; LDSByteSize: 0 bytes/workgroup (compile time only)
; SGPRBlocks: 0
; VGPRBlocks: 2
; NumSGPRsForWavesPerEU: 32
; NumVGPRsForWavesPerEU: 35
; NamedBarCnt: 0
; Occupancy: 16
; WaveLimiterHint : 0
; COMPUTE_PGM_RSRC2:SCRATCH_EN: 0
; COMPUTE_PGM_RSRC2:USER_SGPR: 2
; COMPUTE_PGM_RSRC2:TRAP_HANDLER: 0
; COMPUTE_PGM_RSRC2:TGID_X_EN: 1
; COMPUTE_PGM_RSRC2:TGID_Y_EN: 0
; COMPUTE_PGM_RSRC2:TGID_Z_EN: 0
; COMPUTE_PGM_RSRC2:TIDIG_COMP_CNT: 0
	.section	.text._ZN2at6native12_GLOBAL__N_125multi_tensor_apply_kernelINS1_18TensorListMetadataILi2EEENS1_14UnaryOpFunctorIN3c108BFloat16ELi2ELi1ELi1EEEJNS0_4AsinIfEEEEEvT_T0_DpT1_,"axG",@progbits,_ZN2at6native12_GLOBAL__N_125multi_tensor_apply_kernelINS1_18TensorListMetadataILi2EEENS1_14UnaryOpFunctorIN3c108BFloat16ELi2ELi1ELi1EEEJNS0_4AsinIfEEEEEvT_T0_DpT1_,comdat
	.globl	_ZN2at6native12_GLOBAL__N_125multi_tensor_apply_kernelINS1_18TensorListMetadataILi2EEENS1_14UnaryOpFunctorIN3c108BFloat16ELi2ELi1ELi1EEEJNS0_4AsinIfEEEEEvT_T0_DpT1_ ; -- Begin function _ZN2at6native12_GLOBAL__N_125multi_tensor_apply_kernelINS1_18TensorListMetadataILi2EEENS1_14UnaryOpFunctorIN3c108BFloat16ELi2ELi1ELi1EEEJNS0_4AsinIfEEEEEvT_T0_DpT1_
	.p2align	8
	.type	_ZN2at6native12_GLOBAL__N_125multi_tensor_apply_kernelINS1_18TensorListMetadataILi2EEENS1_14UnaryOpFunctorIN3c108BFloat16ELi2ELi1ELi1EEEJNS0_4AsinIfEEEEEvT_T0_DpT1_,@function
_ZN2at6native12_GLOBAL__N_125multi_tensor_apply_kernelINS1_18TensorListMetadataILi2EEENS1_14UnaryOpFunctorIN3c108BFloat16ELi2ELi1ELi1EEEJNS0_4AsinIfEEEEEvT_T0_DpT1_: ; @_ZN2at6native12_GLOBAL__N_125multi_tensor_apply_kernelINS1_18TensorListMetadataILi2EEENS1_14UnaryOpFunctorIN3c108BFloat16ELi2ELi1ELi1EEEJNS0_4AsinIfEEEEEvT_T0_DpT1_
; %bb.0:
	s_bfe_u32 s2, ttmp6, 0x4000c
	s_and_b32 s3, ttmp6, 15
	s_add_co_i32 s2, s2, 1
	s_getreg_b32 s4, hwreg(HW_REG_IB_STS2, 6, 4)
	s_mul_i32 s2, ttmp9, s2
	s_delay_alu instid0(SALU_CYCLE_1)
	s_add_co_i32 s3, s3, s2
	s_cmp_eq_u32 s4, 0
	s_cselect_b32 s2, ttmp9, s3
	s_mov_b32 s3, 0
	s_load_u8 s11, s[0:1], s2 offset:0x600
	s_add_nc_u64 s[4:5], s[0:1], s[2:3]
	s_mul_u64 s[6:7], s[2:3], 3
	s_mov_b32 s15, s3
	s_add_nc_u64 s[4:5], s[4:5], s[6:7]
	s_load_b32 s10, s[4:5], 0x740
	s_wait_kmcnt 0x0
	s_clause 0x2
	s_load_b64 s[6:7], s[0:1], s11 offset:0x0 scale_offset
	s_load_b64 s[8:9], s[0:1], s11 offset:0x200 scale_offset
	;; [unrolled: 1-line block ×3, first 2 shown]
	s_wait_xcnt 0x0
	s_ashr_i32 s11, s10, 31
	s_delay_alu instid0(SALU_CYCLE_1)
	s_lshl_b64 s[4:5], s[10:11], 17
	s_wait_kmcnt 0x0
	s_and_b64 s[18:19], s[8:9], 7
	s_add_nc_u64 s[16:17], s[6:7], s[4:5]
	s_and_b32 s14, s12, 3
	s_and_b32 s2, s16, 7
	s_or_b64 s[14:15], s[18:19], s[14:15]
	s_lshl_b64 s[10:11], s[10:11], 16
	s_or_b64 s[2:3], s[14:15], s[2:3]
	s_sub_nc_u64 s[10:11], s[12:13], s[10:11]
	s_cmp_eq_u64 s[2:3], 0
	s_mov_b32 s2, -1
	s_cbranch_scc0 .LBB58_5
; %bb.1:
	v_min_i64 v[2:3], 0x10000, s[10:11]
	v_dual_mov_b32 v5, 0 :: v_dual_lshlrev_b32 v4, 2, v0
	s_mov_b32 s15, exec_lo
	s_delay_alu instid0(VALU_DEP_1)
	v_cmpx_lt_i64_e64 v[4:5], v[2:3]
	s_cbranch_execz .LBB58_4
; %bb.2:
	s_load_b32 s2, s[0:1], 0xc5c
	v_dual_mov_b32 v1, v5 :: v_dual_lshlrev_b32 v4, 3, v0
	s_mov_b32 s13, 0
	s_mov_b32 s14, 0x3c5fc5da
	;; [unrolled: 1-line block ×3, first 2 shown]
	s_delay_alu instid0(VALU_DEP_1)
	v_mov_b64_e32 v[6:7], v[0:1]
	v_add_nc_u64_e32 v[4:5], s[4:5], v[4:5]
	s_mov_b32 s18, 0x3d034c3c
	s_mov_b32 s20, 0x3d3641b1
	;; [unrolled: 1-line block ×6, first 2 shown]
	s_wait_kmcnt 0x0
	s_and_b32 s12, s2, 0xffff
	s_delay_alu instid0(SALU_CYCLE_1)
	s_lshl_b32 s26, s12, 3
.LBB58_3:                               ; =>This Inner Loop Header: Depth=1
	v_add_nc_u64_e32 v[8:9], s[6:7], v[4:5]
	v_add_nc_u64_e32 v[6:7], s[12:13], v[6:7]
	global_load_b64 v[8:9], v[8:9], off
	v_lshlrev_b64_e32 v[10:11], 2, v[6:7]
	s_wait_loadcnt 0x0
	v_and_b32_e32 v13, 0xffff0000, v8
	v_alignbit_b32 v1, v9, v8, 16
	s_wait_xcnt 0x0
	v_and_b32_e32 v9, 0xffff0000, v9
	s_delay_alu instid0(VALU_DEP_3)
	v_cmp_ge_f32_e64 s2, |v13|, 0.5
	v_lshlrev_b32_e32 v12, 16, v8
	v_and_b32_e32 v15, 0x7fffffff, v13
	v_and_b32_e32 v8, 0xffff0000, v1
	;; [unrolled: 1-line block ×3, first 2 shown]
	v_cmp_lt_f32_e64 s3, |v9|, 0.5
	v_and_b32_e32 v14, 0x7fffffff, v12
	v_pk_mul_f32 v[18:19], v[12:13], v[12:13]
	v_and_b32_e32 v16, 0x7fffffff, v8
	v_pk_mul_f32 v[22:23], v[8:9], v[8:9]
	s_delay_alu instid0(VALU_DEP_4) | instskip(NEXT) | instid1(VALU_DEP_3)
	v_pk_fma_f32 v[20:21], v[14:15], -0.5, 0.5 op_sel_hi:[1,0,0]
	v_pk_fma_f32 v[24:25], v[16:17], -0.5, 0.5 op_sel_hi:[1,0,0]
	s_delay_alu instid0(VALU_DEP_2)
	v_cndmask_b32_e64 v19, v19, v21, s2
	v_cmp_ge_f32_e64 vcc_lo, |v12|, 0.5
	v_cmp_ge_f32_e64 s2, |v8|, 0.5
	v_cndmask_b32_e32 v18, v18, v20, vcc_lo
	v_cmp_ge_f32_e64 vcc_lo, |v9|, 0.5
	v_cndmask_b32_e32 v21, v23, v25, vcc_lo
	v_cmp_lt_f32_e64 vcc_lo, |v12|, 0.5
	v_cndmask_b32_e64 v20, v22, v24, s2
	v_pk_fma_f32 v[22:23], v[18:19], s[16:17], s[14:15] op_sel_hi:[1,0,0]
	v_sqrt_f32_e32 v24, v18
	v_sqrt_f32_e32 v25, v19
	;; [unrolled: 1-line block ×3, first 2 shown]
	v_cmp_lt_f32_e64 s2, |v13|, 0.5
	v_pk_fma_f32 v[22:23], v[18:19], v[22:23], s[18:19] op_sel_hi:[1,1,0]
	s_delay_alu instid0(VALU_DEP_1) | instskip(NEXT) | instid1(VALU_DEP_1)
	v_pk_fma_f32 v[22:23], v[18:19], v[22:23], s[20:21] op_sel_hi:[1,1,0]
	v_pk_fma_f32 v[22:23], v[18:19], v[22:23], s[22:23] op_sel_hi:[1,1,0]
	s_delay_alu instid0(VALU_DEP_1) | instskip(NEXT) | instid1(VALU_DEP_1)
	v_pk_fma_f32 v[22:23], v[18:19], v[22:23], s[24:25] op_sel_hi:[1,1,0]
	v_pk_mul_f32 v[18:19], v[18:19], v[22:23]
	s_delay_alu instid0(VALU_DEP_1) | instskip(SKIP_1) | instid1(VALU_DEP_2)
	v_pk_fma_f32 v[22:23], v[24:25], v[18:19], v[24:25]
	v_pk_fma_f32 v[14:15], v[14:15], v[18:19], v[14:15]
	v_pk_add_f32 v[22:23], v[22:23], v[22:23]
	s_delay_alu instid0(VALU_DEP_1) | instskip(NEXT) | instid1(VALU_DEP_1)
	v_sub_f32_e32 v1, 0x3fc90fdb, v22
	v_cndmask_b32_e32 v1, v1, v14, vcc_lo
	v_pk_fma_f32 v[26:27], v[20:21], s[16:17], s[14:15] op_sel_hi:[1,0,0]
	v_sqrt_f32_e32 v28, v20
	v_cmp_lt_f32_e64 vcc_lo, |v8|, 0.5
	s_delay_alu instid0(VALU_DEP_3) | instskip(NEXT) | instid1(VALU_DEP_3)
	v_bfi_b32 v1, 0x7fffffff, v1, v12
	v_pk_fma_f32 v[26:27], v[20:21], v[26:27], s[18:19] op_sel_hi:[1,1,0]
	s_delay_alu instid0(VALU_DEP_1) | instskip(NEXT) | instid1(VALU_DEP_1)
	v_pk_fma_f32 v[26:27], v[20:21], v[26:27], s[20:21] op_sel_hi:[1,1,0]
	v_pk_fma_f32 v[26:27], v[20:21], v[26:27], s[22:23] op_sel_hi:[1,1,0]
	s_delay_alu instid0(VALU_DEP_1) | instskip(NEXT) | instid1(VALU_DEP_1)
	v_pk_fma_f32 v[26:27], v[20:21], v[26:27], s[24:25] op_sel_hi:[1,1,0]
	v_pk_mul_f32 v[20:21], v[20:21], v[26:27]
	s_delay_alu instid0(VALU_DEP_1) | instskip(SKIP_2) | instid1(VALU_DEP_3)
	v_pk_fma_f32 v[18:19], v[28:29], v[20:21], v[28:29]
	v_pk_fma_f32 v[16:17], v[16:17], v[20:21], v[16:17]
	v_sub_f32_e32 v20, 0x3fc90fdb, v23
	v_pk_add_f32 v[18:19], v[18:19], v[18:19]
	s_delay_alu instid0(VALU_DEP_1) | instskip(NEXT) | instid1(VALU_DEP_1)
	v_dual_sub_f32 v18, 0x3fc90fdb, v18 :: v_dual_sub_f32 v19, 0x3fc90fdb, v19
	v_dual_cndmask_b32 v15, v20, v15, s2 :: v_dual_cndmask_b32 v14, v18, v16, vcc_lo
	v_cmp_o_f32_e32 vcc_lo, v1, v1
	s_delay_alu instid0(VALU_DEP_2) | instskip(NEXT) | instid1(VALU_DEP_3)
	v_bfi_b32 v13, 0x7fffffff, v15, v13
	v_bfi_b32 v8, 0x7fffffff, v14, v8
	s_delay_alu instid0(VALU_DEP_2) | instskip(SKIP_2) | instid1(VALU_DEP_3)
	v_lshrrev_b32_e32 v14, 16, v13
	v_cndmask_b32_e64 v12, v19, v17, s3
	v_cmp_o_f32_e64 s2, v13, v13
	v_and_b32_e32 v14, 1, v14
	s_delay_alu instid0(VALU_DEP_3) | instskip(SKIP_1) | instid1(VALU_DEP_3)
	v_bfi_b32 v9, 0x7fffffff, v12, v9
	v_dual_lshrrev_b32 v12, 16, v8 :: v_dual_lshrrev_b32 v15, 16, v1
	v_add3_u32 v14, v13, v14, 0x7fff
	s_delay_alu instid0(VALU_DEP_2) | instskip(NEXT) | instid1(VALU_DEP_3)
	v_dual_lshrrev_b32 v16, 16, v9 :: v_dual_bitop2_b32 v12, 1, v12 bitop3:0x40
	v_and_b32_e32 v15, 1, v15
	s_delay_alu instid0(VALU_DEP_3) | instskip(NEXT) | instid1(VALU_DEP_3)
	v_and_b32_e32 v14, 0xffff0000, v14
	v_add3_u32 v12, v8, v12, 0x7fff
	s_delay_alu instid0(VALU_DEP_3) | instskip(SKIP_1) | instid1(VALU_DEP_4)
	v_add3_u32 v15, v1, v15, 0x7fff
	v_and_b32_e32 v16, 1, v16
	v_cndmask_b32_e64 v14, 0x7fc00000, v14, s2
	s_delay_alu instid0(VALU_DEP_3) | instskip(NEXT) | instid1(VALU_DEP_3)
	v_lshrrev_b32_e32 v15, 16, v15
	v_add3_u32 v16, v9, v16, 0x7fff
	s_delay_alu instid0(VALU_DEP_2) | instskip(NEXT) | instid1(VALU_DEP_2)
	v_dual_cndmask_b32 v13, 0x7fc0, v15 :: v_dual_lshrrev_b32 v12, 16, v12
	v_and_b32_e32 v1, 0xffff0000, v16
	v_cmp_o_f32_e32 vcc_lo, v9, v9
	s_delay_alu instid0(VALU_DEP_3) | instskip(NEXT) | instid1(VALU_DEP_3)
	v_and_b32_e32 v12, 0xffff, v12
	v_cndmask_b32_e32 v1, 0x7fc00000, v1, vcc_lo
	v_cmp_o_f32_e32 vcc_lo, v8, v8
	v_add_nc_u64_e32 v[8:9], s[8:9], v[4:5]
	v_add_nc_u64_e32 v[4:5], s[26:27], v[4:5]
	v_cndmask_b32_e32 v12, 0x7fc0, v12, vcc_lo
	v_cmp_ge_i64_e32 vcc_lo, v[10:11], v[2:3]
	v_or3_b32 v10, v13, 0, v14
	s_delay_alu instid0(VALU_DEP_3)
	v_or3_b32 v11, 0, v12, v1
	s_or_b32 s17, vcc_lo, s17
	global_store_b64 v[8:9], v[10:11], off
	s_wait_xcnt 0x0
	s_and_not1_b32 exec_lo, exec_lo, s17
	s_cbranch_execnz .LBB58_3
.LBB58_4:
	s_or_b32 exec_lo, exec_lo, s15
	s_mov_b32 s2, 0
.LBB58_5:
	s_delay_alu instid0(SALU_CYCLE_1)
	s_and_not1_b32 vcc_lo, exec_lo, s2
	s_cbranch_vccnz .LBB58_25
; %bb.6:
	v_cmp_lt_i64_e64 s2, s[10:11], 1
	s_and_b32 vcc_lo, exec_lo, s2
	s_cbranch_vccnz .LBB58_25
; %bb.7:
	s_load_b32 s0, s[0:1], 0xc5c
	v_min_i64 v[2:3], 0x10000, s[10:11]
	v_min_u64 v[4:5], 0x10000, s[10:11]
	v_dual_mov_b32 v1, 0 :: v_dual_lshlrev_b32 v12, 1, v0
	s_wait_xcnt 0x0
	s_mov_b32 s1, 0
	s_mov_b64 s[10:11], 0
	s_mov_b32 s15, s1
	v_dual_mov_b32 v13, v1 :: v_dual_mov_b32 v27, v1
	s_mov_b32 s3, s1
	s_mov_b32 s19, s1
	;; [unrolled: 1-line block ×3, first 2 shown]
	s_delay_alu instid0(VALU_DEP_1)
	v_add_nc_u64_e32 v[6:7], s[6:7], v[12:13]
	v_add_nc_u64_e32 v[8:9], s[8:9], v[12:13]
	s_mov_b32 s17, s1
	s_mov_b32 s20, 0x3d3641b1
	;; [unrolled: 1-line block ×4, first 2 shown]
	s_wait_kmcnt 0x0
	s_and_b32 s0, s0, 0xffff
	s_delay_alu instid0(SALU_CYCLE_1)
	v_add_nc_u64_e32 v[10:11], s[0:1], v[0:1]
	v_mad_nc_u64_u32 v[22:23], s0, 6, v[12:13]
	s_lshl_b32 s14, s0, 2
	s_lshl_b32 s2, s0, 1
	v_add_nc_u64_e32 v[18:19], s[14:15], v[12:13]
	s_mul_i32 s18, s0, 3
	v_add_nc_u64_e32 v[14:15], s[2:3], v[0:1]
	v_lshlrev_b32_e32 v26, 1, v10
	v_add_nc_u64_e32 v[12:13], s[18:19], v[0:1]
	s_lshl_b32 s16, s0, 3
	s_mov_b32 s18, 0x3d034c3c
	v_add_nc_u64_e32 v[16:17], s[6:7], v[18:19]
	v_add_nc_u64_e32 v[18:19], s[8:9], v[18:19]
	;; [unrolled: 1-line block ×6, first 2 shown]
	s_mov_b32 s6, 0x3fc90fdb
	s_mov_b32 s8, 0x3c5fc5da
	s_branch .LBB58_9
.LBB58_8:                               ;   in Loop: Header=BB58_9 Depth=1
	s_wait_xcnt 0x0
	s_or_b32 exec_lo, exec_lo, s2
	s_add_nc_u64 s[10:11], s[10:11], s[14:15]
	v_add_nc_u64_e32 v[6:7], s[16:17], v[6:7]
	v_cmp_ge_i64_e32 vcc_lo, s[10:11], v[2:3]
	v_add_nc_u64_e32 v[8:9], s[16:17], v[8:9]
	v_add_nc_u64_e32 v[20:21], s[16:17], v[20:21]
	;; [unrolled: 1-line block ×7, first 2 shown]
	s_cbranch_vccnz .LBB58_25
.LBB58_9:                               ; =>This Inner Loop Header: Depth=1
	v_add_nc_u64_e32 v[28:29], s[10:11], v[0:1]
	v_mov_b32_e32 v31, 0
	s_delay_alu instid0(VALU_DEP_2)
	v_cmp_lt_u64_e64 s2, v[28:29], v[4:5]
	s_and_saveexec_b32 s0, s2
	s_cbranch_execz .LBB58_11
; %bb.10:                               ;   in Loop: Header=BB58_9 Depth=1
	v_add_nc_u64_e32 v[28:29], s[4:5], v[6:7]
	global_load_u16 v28, v[28:29], off
	s_wait_loadcnt 0x0
	v_lshlrev_b32_e32 v31, 16, v28
.LBB58_11:                              ;   in Loop: Header=BB58_9 Depth=1
	s_wait_xcnt 0x0
	s_or_b32 exec_lo, exec_lo, s0
	v_add_nc_u64_e32 v[28:29], s[10:11], v[10:11]
	v_mov_b32_e32 v30, 0
	s_delay_alu instid0(VALU_DEP_2)
	v_cmp_lt_u64_e64 s1, v[28:29], v[4:5]
	v_mov_b32_e32 v29, 0
	s_and_saveexec_b32 s0, s1
	s_cbranch_execz .LBB58_13
; %bb.12:                               ;   in Loop: Header=BB58_9 Depth=1
	v_add_nc_u64_e32 v[32:33], s[4:5], v[24:25]
	global_load_u16 v28, v[32:33], off
	s_wait_loadcnt 0x0
	v_lshlrev_b32_e32 v30, 16, v28
.LBB58_13:                              ;   in Loop: Header=BB58_9 Depth=1
	s_wait_xcnt 0x0
	s_or_b32 exec_lo, exec_lo, s0
	v_add_nc_u64_e32 v[32:33], s[10:11], v[14:15]
	s_delay_alu instid0(VALU_DEP_1)
	v_cmp_lt_u64_e32 vcc_lo, v[32:33], v[4:5]
	s_and_saveexec_b32 s0, vcc_lo
	s_cbranch_execz .LBB58_15
; %bb.14:                               ;   in Loop: Header=BB58_9 Depth=1
	v_add_nc_u64_e32 v[28:29], s[4:5], v[16:17]
	global_load_u16 v28, v[28:29], off
	s_wait_loadcnt 0x0
	v_lshlrev_b32_e32 v29, 16, v28
.LBB58_15:                              ;   in Loop: Header=BB58_9 Depth=1
	s_or_b32 exec_lo, exec_lo, s0
	v_add_nc_u64_e32 v[32:33], s[10:11], v[12:13]
	v_mov_b32_e32 v28, 0
	s_delay_alu instid0(VALU_DEP_2)
	v_cmp_lt_u64_e64 s0, v[32:33], v[4:5]
	s_and_saveexec_b32 s3, s0
	s_cbranch_execnz .LBB58_23
; %bb.16:                               ;   in Loop: Header=BB58_9 Depth=1
	s_or_b32 exec_lo, exec_lo, s3
	s_and_saveexec_b32 s3, s2
	s_cbranch_execnz .LBB58_24
.LBB58_17:                              ;   in Loop: Header=BB58_9 Depth=1
	s_or_b32 exec_lo, exec_lo, s3
	s_and_saveexec_b32 s2, s1
	s_cbranch_execz .LBB58_19
.LBB58_18:                              ;   in Loop: Header=BB58_9 Depth=1
	v_fma_f32 v31, |v30|, -0.5, 0.5
	v_mul_f32_e32 v32, v30, v30
	v_cmp_ge_f32_e64 s1, |v30|, 0.5
	s_delay_alu instid0(VALU_DEP_1) | instskip(SKIP_1) | instid1(VALU_DEP_2)
	v_cndmask_b32_e64 v31, v32, v31, s1
	v_cmp_lt_f32_e64 s1, |v30|, 0.5
	v_fmaak_f32 v32, s12, v31, 0x3c5fc5da
	v_sqrt_f32_e32 v33, v31
	s_delay_alu instid0(VALU_DEP_1) | instskip(NEXT) | instid1(VALU_DEP_1)
	v_fmaak_f32 v32, v31, v32, 0x3d034c3c
	v_fmaak_f32 v32, v31, v32, 0x3d3641b1
	s_delay_alu instid0(VALU_DEP_1) | instskip(NEXT) | instid1(VALU_DEP_1)
	v_fmaak_f32 v32, v31, v32, 0x3d999bc8
	v_fmaak_f32 v32, v31, v32, 0x3e2aaaac
	s_delay_alu instid0(VALU_DEP_1)
	v_mul_f32_e32 v31, v31, v32
	s_delay_alu instid0(TRANS32_DEP_1) | instid1(VALU_DEP_1)
	v_fmac_f32_e32 v33, v33, v31
	s_delay_alu instid0(VALU_DEP_1) | instskip(NEXT) | instid1(VALU_DEP_1)
	v_add_f32_e32 v32, v33, v33
	v_sub_f32_e32 v32, 0x3fc90fdb, v32
	v_fma_f32 v31, |v30|, v31, |v30|
	s_delay_alu instid0(VALU_DEP_1) | instskip(NEXT) | instid1(VALU_DEP_1)
	v_cndmask_b32_e64 v31, v32, v31, s1
	v_bfi_b32 v32, 0x7fffffff, v31, v30
	s_delay_alu instid0(VALU_DEP_1) | instskip(SKIP_1) | instid1(VALU_DEP_2)
	v_bfe_u32 v30, v32, 16, 1
	v_cmp_o_f32_e64 s1, v32, v32
	v_add3_u32 v30, v32, v30, 0x7fff
	s_delay_alu instid0(VALU_DEP_1) | instskip(SKIP_1) | instid1(VALU_DEP_2)
	v_lshrrev_b32_e32 v33, 16, v30
	v_add_nc_u64_e32 v[30:31], s[4:5], v[26:27]
	v_cndmask_b32_e64 v32, 0x7fc0, v33, s1
	global_store_b16 v[30:31], v32, off
.LBB58_19:                              ;   in Loop: Header=BB58_9 Depth=1
	s_wait_xcnt 0x0
	s_or_b32 exec_lo, exec_lo, s2
	v_and_b32_e32 v31, 0x7fffffff, v29
	v_and_b32_e32 v30, 0x7fffffff, v28
	v_pk_mul_f32 v[32:33], v[28:29], v[28:29]
	v_cmp_ge_f32_e64 s1, |v29|, 0.5
	s_delay_alu instid0(VALU_DEP_3) | instskip(NEXT) | instid1(VALU_DEP_1)
	v_pk_fma_f32 v[34:35], v[30:31], -0.5, 0.5 op_sel_hi:[1,0,0]
	v_cndmask_b32_e64 v33, v33, v35, s1
	v_cmp_ge_f32_e64 s1, |v28|, 0.5
	s_delay_alu instid0(VALU_DEP_1) | instskip(NEXT) | instid1(VALU_DEP_3)
	v_cndmask_b32_e64 v32, v32, v34, s1
	v_sqrt_f32_e32 v37, v33
	v_cmp_lt_f32_e64 s1, |v29|, 0.5
	s_delay_alu instid0(VALU_DEP_2) | instskip(SKIP_1) | instid1(VALU_DEP_1)
	v_pk_fma_f32 v[34:35], v[32:33], s[12:13], s[8:9] op_sel_hi:[1,0,0]
	v_sqrt_f32_e32 v36, v32
	v_pk_fma_f32 v[34:35], v[32:33], v[34:35], s[18:19] op_sel_hi:[1,1,0]
	s_delay_alu instid0(VALU_DEP_1) | instskip(NEXT) | instid1(VALU_DEP_1)
	v_pk_fma_f32 v[34:35], v[32:33], v[34:35], s[20:21] op_sel_hi:[1,1,0]
	v_pk_fma_f32 v[34:35], v[32:33], v[34:35], s[22:23] op_sel_hi:[1,1,0]
	s_delay_alu instid0(VALU_DEP_1) | instskip(NEXT) | instid1(VALU_DEP_1)
	v_pk_fma_f32 v[34:35], v[32:33], v[34:35], s[24:25] op_sel_hi:[1,1,0]
	v_pk_mul_f32 v[32:33], v[32:33], v[34:35]
	s_delay_alu instid0(TRANS32_DEP_1) | instid1(VALU_DEP_1)
	v_pk_fma_f32 v[34:35], v[36:37], v[32:33], v[36:37]
	v_pk_fma_f32 v[30:31], v[30:31], v[32:33], v[30:31]
	s_delay_alu instid0(VALU_DEP_2) | instskip(NEXT) | instid1(VALU_DEP_1)
	v_pk_add_f32 v[34:35], v[34:35], v[34:35]
	v_pk_add_f32 v[32:33], v[34:35], s[6:7] op_sel_hi:[1,0] neg_lo:[1,0] neg_hi:[1,0]
	s_delay_alu instid0(VALU_DEP_1) | instskip(SKIP_1) | instid1(VALU_DEP_1)
	v_cndmask_b32_e64 v31, v33, v31, s1
	v_cmp_lt_f32_e64 s1, |v28|, 0.5
	v_cndmask_b32_e64 v30, v32, v30, s1
	s_delay_alu instid0(VALU_DEP_3) | instskip(NEXT) | instid1(VALU_DEP_2)
	v_bfi_b32 v29, 0x7fffffff, v31, v29
	v_bfi_b32 v28, 0x7fffffff, v30, v28
	s_delay_alu instid0(VALU_DEP_2) | instskip(NEXT) | instid1(VALU_DEP_2)
	v_cmp_u_f32_e64 s2, v29, v29
	v_cmp_u_f32_e64 s1, v28, v28
	s_and_saveexec_b32 s3, vcc_lo
	s_cbranch_execz .LBB58_21
; %bb.20:                               ;   in Loop: Header=BB58_9 Depth=1
	v_bfe_u32 v30, v29, 16, 1
	s_delay_alu instid0(VALU_DEP_1) | instskip(SKIP_1) | instid1(VALU_DEP_2)
	v_add3_u32 v29, v29, v30, 0x7fff
	v_add_nc_u64_e32 v[30:31], s[4:5], v[18:19]
	v_lshrrev_b32_e32 v29, 16, v29
	s_delay_alu instid0(VALU_DEP_1)
	v_cndmask_b32_e64 v29, v29, 0x7fc0, s2
	global_store_b16 v[30:31], v29, off
.LBB58_21:                              ;   in Loop: Header=BB58_9 Depth=1
	s_wait_xcnt 0x0
	s_or_b32 exec_lo, exec_lo, s3
	s_and_saveexec_b32 s2, s0
	s_cbranch_execz .LBB58_8
; %bb.22:                               ;   in Loop: Header=BB58_9 Depth=1
	v_bfe_u32 v29, v28, 16, 1
	s_delay_alu instid0(VALU_DEP_1) | instskip(NEXT) | instid1(VALU_DEP_1)
	v_add3_u32 v28, v28, v29, 0x7fff
	v_lshrrev_b32_e32 v30, 16, v28
	v_add_nc_u64_e32 v[28:29], s[4:5], v[22:23]
	s_delay_alu instid0(VALU_DEP_2)
	v_cndmask_b32_e64 v30, v30, 0x7fc0, s1
	global_store_b16 v[28:29], v30, off
	s_branch .LBB58_8
.LBB58_23:                              ;   in Loop: Header=BB58_9 Depth=1
	v_add_nc_u64_e32 v[32:33], s[4:5], v[20:21]
	global_load_u16 v28, v[32:33], off
	s_wait_loadcnt 0x0
	v_lshlrev_b32_e32 v28, 16, v28
	s_wait_xcnt 0x0
	s_or_b32 exec_lo, exec_lo, s3
	s_and_saveexec_b32 s3, s2
	s_cbranch_execz .LBB58_17
.LBB58_24:                              ;   in Loop: Header=BB58_9 Depth=1
	v_fma_f32 v32, |v31|, -0.5, 0.5
	v_mul_f32_e32 v33, v31, v31
	v_cmp_ge_f32_e64 s2, |v31|, 0.5
	s_delay_alu instid0(VALU_DEP_1) | instskip(SKIP_1) | instid1(VALU_DEP_2)
	v_cndmask_b32_e64 v32, v33, v32, s2
	v_cmp_lt_f32_e64 s2, |v31|, 0.5
	v_fmaak_f32 v33, s12, v32, 0x3c5fc5da
	v_sqrt_f32_e32 v34, v32
	s_delay_alu instid0(VALU_DEP_1) | instskip(NEXT) | instid1(VALU_DEP_1)
	v_fmaak_f32 v33, v32, v33, 0x3d034c3c
	v_fmaak_f32 v33, v32, v33, 0x3d3641b1
	s_delay_alu instid0(VALU_DEP_1) | instskip(NEXT) | instid1(VALU_DEP_1)
	v_fmaak_f32 v33, v32, v33, 0x3d999bc8
	v_fmaak_f32 v33, v32, v33, 0x3e2aaaac
	s_delay_alu instid0(VALU_DEP_1)
	v_mul_f32_e32 v32, v32, v33
	s_delay_alu instid0(TRANS32_DEP_1) | instid1(VALU_DEP_1)
	v_fmac_f32_e32 v34, v34, v32
	s_delay_alu instid0(VALU_DEP_1) | instskip(NEXT) | instid1(VALU_DEP_1)
	v_add_f32_e32 v33, v34, v34
	v_sub_f32_e32 v33, 0x3fc90fdb, v33
	v_fma_f32 v32, |v31|, v32, |v31|
	s_delay_alu instid0(VALU_DEP_1) | instskip(NEXT) | instid1(VALU_DEP_1)
	v_cndmask_b32_e64 v32, v33, v32, s2
	v_bfi_b32 v31, 0x7fffffff, v32, v31
	s_delay_alu instid0(VALU_DEP_1) | instskip(SKIP_1) | instid1(VALU_DEP_2)
	v_bfe_u32 v32, v31, 16, 1
	v_cmp_o_f32_e64 s2, v31, v31
	v_add3_u32 v32, v31, v32, 0x7fff
	s_delay_alu instid0(VALU_DEP_1) | instskip(SKIP_1) | instid1(VALU_DEP_2)
	v_lshrrev_b32_e32 v34, 16, v32
	v_add_nc_u64_e32 v[32:33], s[4:5], v[8:9]
	v_cndmask_b32_e64 v31, 0x7fc0, v34, s2
	global_store_b16 v[32:33], v31, off
	s_wait_xcnt 0x0
	s_or_b32 exec_lo, exec_lo, s3
	s_and_saveexec_b32 s2, s1
	s_cbranch_execnz .LBB58_18
	s_branch .LBB58_19
.LBB58_25:
	s_endpgm
	.section	.rodata,"a",@progbits
	.p2align	6, 0x0
	.amdhsa_kernel _ZN2at6native12_GLOBAL__N_125multi_tensor_apply_kernelINS1_18TensorListMetadataILi2EEENS1_14UnaryOpFunctorIN3c108BFloat16ELi2ELi1ELi1EEEJNS0_4AsinIfEEEEEvT_T0_DpT1_
		.amdhsa_group_segment_fixed_size 0
		.amdhsa_private_segment_fixed_size 0
		.amdhsa_kernarg_size 3408
		.amdhsa_user_sgpr_count 2
		.amdhsa_user_sgpr_dispatch_ptr 0
		.amdhsa_user_sgpr_queue_ptr 0
		.amdhsa_user_sgpr_kernarg_segment_ptr 1
		.amdhsa_user_sgpr_dispatch_id 0
		.amdhsa_user_sgpr_kernarg_preload_length 0
		.amdhsa_user_sgpr_kernarg_preload_offset 0
		.amdhsa_user_sgpr_private_segment_size 0
		.amdhsa_wavefront_size32 1
		.amdhsa_uses_dynamic_stack 0
		.amdhsa_enable_private_segment 0
		.amdhsa_system_sgpr_workgroup_id_x 1
		.amdhsa_system_sgpr_workgroup_id_y 0
		.amdhsa_system_sgpr_workgroup_id_z 0
		.amdhsa_system_sgpr_workgroup_info 0
		.amdhsa_system_vgpr_workitem_id 0
		.amdhsa_next_free_vgpr 38
		.amdhsa_next_free_sgpr 28
		.amdhsa_named_barrier_count 0
		.amdhsa_reserve_vcc 1
		.amdhsa_float_round_mode_32 0
		.amdhsa_float_round_mode_16_64 0
		.amdhsa_float_denorm_mode_32 3
		.amdhsa_float_denorm_mode_16_64 3
		.amdhsa_fp16_overflow 0
		.amdhsa_memory_ordered 1
		.amdhsa_forward_progress 1
		.amdhsa_inst_pref_size 21
		.amdhsa_round_robin_scheduling 0
		.amdhsa_exception_fp_ieee_invalid_op 0
		.amdhsa_exception_fp_denorm_src 0
		.amdhsa_exception_fp_ieee_div_zero 0
		.amdhsa_exception_fp_ieee_overflow 0
		.amdhsa_exception_fp_ieee_underflow 0
		.amdhsa_exception_fp_ieee_inexact 0
		.amdhsa_exception_int_div_zero 0
	.end_amdhsa_kernel
	.section	.text._ZN2at6native12_GLOBAL__N_125multi_tensor_apply_kernelINS1_18TensorListMetadataILi2EEENS1_14UnaryOpFunctorIN3c108BFloat16ELi2ELi1ELi1EEEJNS0_4AsinIfEEEEEvT_T0_DpT1_,"axG",@progbits,_ZN2at6native12_GLOBAL__N_125multi_tensor_apply_kernelINS1_18TensorListMetadataILi2EEENS1_14UnaryOpFunctorIN3c108BFloat16ELi2ELi1ELi1EEEJNS0_4AsinIfEEEEEvT_T0_DpT1_,comdat
.Lfunc_end58:
	.size	_ZN2at6native12_GLOBAL__N_125multi_tensor_apply_kernelINS1_18TensorListMetadataILi2EEENS1_14UnaryOpFunctorIN3c108BFloat16ELi2ELi1ELi1EEEJNS0_4AsinIfEEEEEvT_T0_DpT1_, .Lfunc_end58-_ZN2at6native12_GLOBAL__N_125multi_tensor_apply_kernelINS1_18TensorListMetadataILi2EEENS1_14UnaryOpFunctorIN3c108BFloat16ELi2ELi1ELi1EEEJNS0_4AsinIfEEEEEvT_T0_DpT1_
                                        ; -- End function
	.set _ZN2at6native12_GLOBAL__N_125multi_tensor_apply_kernelINS1_18TensorListMetadataILi2EEENS1_14UnaryOpFunctorIN3c108BFloat16ELi2ELi1ELi1EEEJNS0_4AsinIfEEEEEvT_T0_DpT1_.num_vgpr, 38
	.set _ZN2at6native12_GLOBAL__N_125multi_tensor_apply_kernelINS1_18TensorListMetadataILi2EEENS1_14UnaryOpFunctorIN3c108BFloat16ELi2ELi1ELi1EEEJNS0_4AsinIfEEEEEvT_T0_DpT1_.num_agpr, 0
	.set _ZN2at6native12_GLOBAL__N_125multi_tensor_apply_kernelINS1_18TensorListMetadataILi2EEENS1_14UnaryOpFunctorIN3c108BFloat16ELi2ELi1ELi1EEEJNS0_4AsinIfEEEEEvT_T0_DpT1_.numbered_sgpr, 28
	.set _ZN2at6native12_GLOBAL__N_125multi_tensor_apply_kernelINS1_18TensorListMetadataILi2EEENS1_14UnaryOpFunctorIN3c108BFloat16ELi2ELi1ELi1EEEJNS0_4AsinIfEEEEEvT_T0_DpT1_.num_named_barrier, 0
	.set _ZN2at6native12_GLOBAL__N_125multi_tensor_apply_kernelINS1_18TensorListMetadataILi2EEENS1_14UnaryOpFunctorIN3c108BFloat16ELi2ELi1ELi1EEEJNS0_4AsinIfEEEEEvT_T0_DpT1_.private_seg_size, 0
	.set _ZN2at6native12_GLOBAL__N_125multi_tensor_apply_kernelINS1_18TensorListMetadataILi2EEENS1_14UnaryOpFunctorIN3c108BFloat16ELi2ELi1ELi1EEEJNS0_4AsinIfEEEEEvT_T0_DpT1_.uses_vcc, 1
	.set _ZN2at6native12_GLOBAL__N_125multi_tensor_apply_kernelINS1_18TensorListMetadataILi2EEENS1_14UnaryOpFunctorIN3c108BFloat16ELi2ELi1ELi1EEEJNS0_4AsinIfEEEEEvT_T0_DpT1_.uses_flat_scratch, 0
	.set _ZN2at6native12_GLOBAL__N_125multi_tensor_apply_kernelINS1_18TensorListMetadataILi2EEENS1_14UnaryOpFunctorIN3c108BFloat16ELi2ELi1ELi1EEEJNS0_4AsinIfEEEEEvT_T0_DpT1_.has_dyn_sized_stack, 0
	.set _ZN2at6native12_GLOBAL__N_125multi_tensor_apply_kernelINS1_18TensorListMetadataILi2EEENS1_14UnaryOpFunctorIN3c108BFloat16ELi2ELi1ELi1EEEJNS0_4AsinIfEEEEEvT_T0_DpT1_.has_recursion, 0
	.set _ZN2at6native12_GLOBAL__N_125multi_tensor_apply_kernelINS1_18TensorListMetadataILi2EEENS1_14UnaryOpFunctorIN3c108BFloat16ELi2ELi1ELi1EEEJNS0_4AsinIfEEEEEvT_T0_DpT1_.has_indirect_call, 0
	.section	.AMDGPU.csdata,"",@progbits
; Kernel info:
; codeLenInByte = 2600
; TotalNumSgprs: 30
; NumVgprs: 38
; ScratchSize: 0
; MemoryBound: 0
; FloatMode: 240
; IeeeMode: 1
; LDSByteSize: 0 bytes/workgroup (compile time only)
; SGPRBlocks: 0
; VGPRBlocks: 2
; NumSGPRsForWavesPerEU: 30
; NumVGPRsForWavesPerEU: 38
; NamedBarCnt: 0
; Occupancy: 16
; WaveLimiterHint : 0
; COMPUTE_PGM_RSRC2:SCRATCH_EN: 0
; COMPUTE_PGM_RSRC2:USER_SGPR: 2
; COMPUTE_PGM_RSRC2:TRAP_HANDLER: 0
; COMPUTE_PGM_RSRC2:TGID_X_EN: 1
; COMPUTE_PGM_RSRC2:TGID_Y_EN: 0
; COMPUTE_PGM_RSRC2:TGID_Z_EN: 0
; COMPUTE_PGM_RSRC2:TIDIG_COMP_CNT: 0
	.section	.text._ZN2at6native12_GLOBAL__N_125multi_tensor_apply_kernelINS1_18TensorListMetadataILi1EEENS1_14UnaryOpFunctorIdLi1ELi1ELi0EEEJNS0_4AsinIdEEEEEvT_T0_DpT1_,"axG",@progbits,_ZN2at6native12_GLOBAL__N_125multi_tensor_apply_kernelINS1_18TensorListMetadataILi1EEENS1_14UnaryOpFunctorIdLi1ELi1ELi0EEEJNS0_4AsinIdEEEEEvT_T0_DpT1_,comdat
	.globl	_ZN2at6native12_GLOBAL__N_125multi_tensor_apply_kernelINS1_18TensorListMetadataILi1EEENS1_14UnaryOpFunctorIdLi1ELi1ELi0EEEJNS0_4AsinIdEEEEEvT_T0_DpT1_ ; -- Begin function _ZN2at6native12_GLOBAL__N_125multi_tensor_apply_kernelINS1_18TensorListMetadataILi1EEENS1_14UnaryOpFunctorIdLi1ELi1ELi0EEEJNS0_4AsinIdEEEEEvT_T0_DpT1_
	.p2align	8
	.type	_ZN2at6native12_GLOBAL__N_125multi_tensor_apply_kernelINS1_18TensorListMetadataILi1EEENS1_14UnaryOpFunctorIdLi1ELi1ELi0EEEJNS0_4AsinIdEEEEEvT_T0_DpT1_,@function
_ZN2at6native12_GLOBAL__N_125multi_tensor_apply_kernelINS1_18TensorListMetadataILi1EEENS1_14UnaryOpFunctorIdLi1ELi1ELi0EEEJNS0_4AsinIdEEEEEvT_T0_DpT1_: ; @_ZN2at6native12_GLOBAL__N_125multi_tensor_apply_kernelINS1_18TensorListMetadataILi1EEENS1_14UnaryOpFunctorIdLi1ELi1ELi0EEEJNS0_4AsinIdEEEEEvT_T0_DpT1_
; %bb.0:
	s_bfe_u32 s2, ttmp6, 0x4000c
	s_and_b32 s3, ttmp6, 15
	s_add_co_i32 s2, s2, 1
	s_getreg_b32 s4, hwreg(HW_REG_IB_STS2, 6, 4)
	s_mul_i32 s2, ttmp9, s2
	s_delay_alu instid0(SALU_CYCLE_1)
	s_add_co_i32 s3, s3, s2
	s_cmp_eq_u32 s4, 0
	s_cselect_b32 s2, ttmp9, s3
	s_mov_b32 s3, 0
	s_load_u8 s8, s[0:1], s2 offset:0x6e0
	s_add_nc_u64 s[4:5], s[0:1], s[2:3]
	s_mul_u64 s[6:7], s[2:3], 3
	s_delay_alu instid0(SALU_CYCLE_1)
	s_add_nc_u64 s[4:5], s[4:5], s[6:7]
	s_load_b32 s10, s[4:5], 0x820
	s_wait_kmcnt 0x0
	s_clause 0x1
	s_load_b64 s[6:7], s[0:1], s8 offset:0x0 scale_offset
	s_load_b64 s[12:13], s[0:1], s8 offset:0x370 scale_offset
	s_ashr_i32 s11, s10, 31
	s_wait_kmcnt 0x0
	s_and_b64 s[4:5], s[6:7], 31
	s_and_b32 s2, s12, 3
	s_lshl_b64 s[8:9], s[10:11], 19
	s_or_b64 s[2:3], s[4:5], s[2:3]
	s_lshl_b64 s[4:5], s[10:11], 16
	s_cmp_eq_u64 s[2:3], 0
	s_sub_nc_u64 s[10:11], s[12:13], s[4:5]
	s_cbranch_scc1 .LBB59_29
; %bb.1:
	v_cmp_lt_i64_e64 s2, s[10:11], 1
	s_and_b32 vcc_lo, exec_lo, s2
	s_cbranch_vccnz .LBB59_28
; %bb.2:
	s_load_b32 s4, s[0:1], 0xd3c
	v_min_i64 v[2:3], 0x10000, s[10:11]
	v_min_u64 v[4:5], 0x10000, s[10:11]
	v_dual_mov_b32 v1, 0 :: v_dual_lshlrev_b32 v10, 3, v0
	s_mov_b32 s21, 0
	s_add_nc_u64 s[2:3], s[6:7], s[8:9]
	s_mov_b32 s5, s21
	s_delay_alu instid0(VALU_DEP_1) | instskip(SKIP_3) | instid1(VALU_DEP_2)
	v_dual_mov_b32 v11, v1 :: v_dual_mov_b32 v17, v1
	s_mov_b32 s17, s21
	v_mov_b64_e32 v[6:7], 0xbf90a5a378a05eaf
	s_mov_b32 s13, s21
	v_add_nc_u64_e32 v[10:11], s[2:3], v[10:11]
	s_mov_b32 s15, s21
	s_mov_b64 s[22:23], 0
                                        ; implicit-def: $vgpr18_vgpr19
                                        ; implicit-def: $vgpr18_vgpr19
	;; [unrolled: 1-line block ×10, first 2 shown]
	s_wait_kmcnt 0x0
	s_and_b32 s20, s4, 0xffff
	s_delay_alu instid0(SALU_CYCLE_1)
	v_add_nc_u64_e32 v[8:9], s[20:21], v[0:1]
	s_lshl_b32 s4, s20, 1
	s_mul_i32 s16, s20, 3
	v_add_nc_u64_e32 v[14:15], s[4:5], v[0:1]
	v_add_nc_u64_e32 v[12:13], s[16:17], v[0:1]
	s_lshl_b32 s12, s20, 2
	s_lshl_b32 s14, s20, 5
	v_lshlrev_b32_e32 v16, 3, v8
	s_mov_b64 s[16:17], 0x3fe921fb54442d18
	s_mul_u64 s[18:19], s[20:21], 24
	s_lshl_b32 s20, s20, 4
	s_delay_alu instid0(VALU_DEP_1)
	v_add_nc_u64_e32 v[16:17], s[2:3], v[16:17]
	s_branch .LBB59_4
.LBB59_3:                               ;   in Loop: Header=BB59_4 Depth=1
	s_wait_xcnt 0x0
	s_or_b32 exec_lo, exec_lo, s2
	s_add_nc_u64 s[22:23], s[22:23], s[12:13]
	v_add_nc_u64_e32 v[10:11], s[14:15], v[10:11]
	v_cmp_ge_i64_e32 vcc_lo, s[22:23], v[2:3]
	v_add_nc_u64_e32 v[16:17], s[14:15], v[16:17]
	s_cbranch_vccnz .LBB59_28
.LBB59_4:                               ; =>This Inner Loop Header: Depth=1
	v_add_nc_u64_e32 v[20:21], s[22:23], v[0:1]
	v_mov_b64_e32 v[18:19], 0
	v_mov_b64_e32 v[22:23], 0
	s_delay_alu instid0(VALU_DEP_3)
	v_cmp_lt_u64_e32 vcc_lo, v[20:21], v[4:5]
	s_and_saveexec_b32 s2, vcc_lo
	s_cbranch_execz .LBB59_6
; %bb.5:                                ;   in Loop: Header=BB59_4 Depth=1
	global_load_b64 v[22:23], v[10:11], off
.LBB59_6:                               ;   in Loop: Header=BB59_4 Depth=1
	s_wait_xcnt 0x0
	s_or_b32 exec_lo, exec_lo, s2
	v_add_nc_u64_e32 v[20:21], s[22:23], v[8:9]
	s_delay_alu instid0(VALU_DEP_1)
	v_cmp_lt_u64_e64 s2, v[20:21], v[4:5]
	s_and_saveexec_b32 s3, s2
	s_cbranch_execz .LBB59_8
; %bb.7:                                ;   in Loop: Header=BB59_4 Depth=1
	global_load_b64 v[18:19], v[16:17], off
.LBB59_8:                               ;   in Loop: Header=BB59_4 Depth=1
	s_wait_xcnt 0x0
	s_or_b32 exec_lo, exec_lo, s3
	v_add_nc_u64_e32 v[26:27], s[22:23], v[14:15]
	v_mov_b64_e32 v[20:21], 0
	v_add_nc_u64_e32 v[24:25], s[20:21], v[10:11]
	v_mov_b64_e32 v[28:29], 0
	s_delay_alu instid0(VALU_DEP_4)
	v_cmp_lt_u64_e64 s3, v[26:27], v[4:5]
	s_and_saveexec_b32 s4, s3
	s_cbranch_execz .LBB59_10
; %bb.9:                                ;   in Loop: Header=BB59_4 Depth=1
	global_load_b64 v[28:29], v[24:25], off
.LBB59_10:                              ;   in Loop: Header=BB59_4 Depth=1
	s_wait_xcnt 0x0
	s_or_b32 exec_lo, exec_lo, s4
	v_add_nc_u64_e32 v[26:27], s[22:23], v[12:13]
	s_delay_alu instid0(VALU_DEP_1)
	v_cmp_lt_u64_e64 s4, v[26:27], v[4:5]
	v_add_nc_u64_e32 v[26:27], s[18:19], v[10:11]
	s_and_saveexec_b32 s5, s4
	s_cbranch_execz .LBB59_12
; %bb.11:                               ;   in Loop: Header=BB59_4 Depth=1
	global_load_b64 v[20:21], v[26:27], off
.LBB59_12:                              ;   in Loop: Header=BB59_4 Depth=1
	s_wait_xcnt 0x0
	s_or_b32 exec_lo, exec_lo, s5
	s_wait_loadcnt 0x0
	v_fma_f64 v[34:35], |v[22:23]|, -0.5, 0.5
	v_mul_f64_e32 v[30:31], v[22:23], v[22:23]
	v_cmp_ge_f64_e64 s5, |v[22:23]|, 0.5
	s_delay_alu instid0(VALU_DEP_1) | instskip(NEXT) | instid1(VALU_DEP_1)
	v_dual_cndmask_b32 v31, v31, v35, s5 :: v_dual_cndmask_b32 v30, v30, v34, s5
	v_fmamk_f64 v[32:33], v[30:31], 0x3fa059859fea6a70, v[6:7]
	s_delay_alu instid0(VALU_DEP_1) | instskip(NEXT) | instid1(VALU_DEP_1)
	v_fmaak_f64 v[32:33], v[30:31], v[32:33], 0x3f94052137024d6a
	v_fmaak_f64 v[32:33], v[30:31], v[32:33], 0x3f7ab3a098a70509
	s_delay_alu instid0(VALU_DEP_1) | instskip(NEXT) | instid1(VALU_DEP_1)
	v_fmaak_f64 v[32:33], v[30:31], v[32:33], 0x3f88ed60a300c8d2
	v_fmaak_f64 v[32:33], v[30:31], v[32:33], 0x3f8c6fa84b77012b
	;; [unrolled: 3-line block ×5, first 2 shown]
	s_delay_alu instid0(VALU_DEP_1) | instskip(NEXT) | instid1(VALU_DEP_1)
	v_mul_f64_e32 v[32:33], v[30:31], v[32:33]
	v_fma_f64 v[30:31], |v[22:23]|, v[32:33], |v[22:23]|
	s_and_saveexec_b32 s24, s5
	s_cbranch_execz .LBB59_14
; %bb.13:                               ;   in Loop: Header=BB59_4 Depth=1
	v_rsq_f64_e32 v[30:31], v[34:35]
	v_cmp_eq_f64_e64 s5, 0, v[34:35]
	s_delay_alu instid0(TRANS32_DEP_1) | instskip(SKIP_1) | instid1(VALU_DEP_1)
	v_mul_f64_e32 v[36:37], v[34:35], v[30:31]
	v_mul_f64_e32 v[30:31], 0.5, v[30:31]
	v_fma_f64 v[38:39], -v[30:31], v[36:37], 0.5
	s_delay_alu instid0(VALU_DEP_1) | instskip(SKIP_1) | instid1(VALU_DEP_2)
	v_fmac_f64_e32 v[36:37], v[36:37], v[38:39]
	v_fmac_f64_e32 v[30:31], v[30:31], v[38:39]
	v_fma_f64 v[38:39], -v[36:37], v[36:37], v[34:35]
	s_delay_alu instid0(VALU_DEP_1) | instskip(NEXT) | instid1(VALU_DEP_1)
	v_fmac_f64_e32 v[36:37], v[38:39], v[30:31]
	v_dual_cndmask_b32 v31, v37, v35, s5 :: v_dual_cndmask_b32 v30, v36, v34, s5
	s_delay_alu instid0(VALU_DEP_1) | instskip(SKIP_1) | instid1(VALU_DEP_2)
	v_add_f64_e32 v[36:37], v[30:31], v[30:31]
	v_mul_f64_e32 v[38:39], v[30:31], v[30:31]
	v_rcp_f64_e32 v[40:41], v[36:37]
	s_delay_alu instid0(VALU_DEP_1) | instskip(SKIP_1) | instid1(VALU_DEP_2)
	v_add_f64_e64 v[42:43], v[34:35], -v[38:39]
	v_fma_f64 v[46:47], v[30:31], v[30:31], -v[38:39]
	v_add_f64_e64 v[34:35], v[34:35], -v[42:43]
	s_delay_alu instid0(TRANS32_DEP_1) | instskip(NEXT) | instid1(VALU_DEP_2)
	v_fma_f64 v[44:45], -v[36:37], v[40:41], 1.0
	v_add_f64_e64 v[34:35], v[34:35], -v[38:39]
	s_delay_alu instid0(VALU_DEP_2) | instskip(NEXT) | instid1(VALU_DEP_2)
	v_fmac_f64_e32 v[40:41], v[44:45], v[40:41]
	v_add_f64_e64 v[34:35], v[34:35], -v[46:47]
	s_delay_alu instid0(VALU_DEP_2) | instskip(NEXT) | instid1(VALU_DEP_2)
	v_fma_f64 v[38:39], -v[36:37], v[40:41], 1.0
	v_add_f64_e32 v[34:35], v[42:43], v[34:35]
	s_delay_alu instid0(VALU_DEP_2) | instskip(NEXT) | instid1(VALU_DEP_1)
	v_fmac_f64_e32 v[40:41], v[38:39], v[40:41]
	v_mul_f64_e32 v[38:39], v[34:35], v[40:41]
	s_delay_alu instid0(VALU_DEP_1) | instskip(NEXT) | instid1(VALU_DEP_1)
	v_fma_f64 v[34:35], -v[36:37], v[38:39], v[34:35]
	v_fmac_f64_e32 v[38:39], v[34:35], v[40:41]
	s_delay_alu instid0(VALU_DEP_1) | instskip(NEXT) | instid1(VALU_DEP_2)
	v_cndmask_b32_e64 v35, v39, 0, s5
	v_cndmask_b32_e64 v34, v38, 0, s5
	v_cmp_neq_f64_e64 s5, |v[22:23]|, 1.0
	s_delay_alu instid0(VALU_DEP_2) | instskip(NEXT) | instid1(VALU_DEP_1)
	v_add_f64_e32 v[36:37], v[30:31], v[34:35]
	v_add_f64_e64 v[30:31], v[36:37], -v[30:31]
	v_mul_f64_e32 v[38:39], v[32:33], v[36:37]
	s_delay_alu instid0(VALU_DEP_2) | instskip(NEXT) | instid1(VALU_DEP_2)
	v_add_f64_e64 v[30:31], v[34:35], -v[30:31]
	v_fma_f64 v[34:35], v[36:37], v[32:33], -v[38:39]
	s_delay_alu instid0(VALU_DEP_1) | instskip(NEXT) | instid1(VALU_DEP_1)
	v_fmac_f64_e32 v[34:35], v[30:31], v[32:33]
	v_add_f64_e32 v[32:33], v[38:39], v[34:35]
	s_delay_alu instid0(VALU_DEP_1) | instskip(SKIP_1) | instid1(VALU_DEP_2)
	v_add_f64_e32 v[40:41], v[36:37], v[32:33]
	v_add_f64_e64 v[38:39], v[32:33], -v[38:39]
	v_add_f64_e64 v[36:37], v[40:41], -v[36:37]
	s_delay_alu instid0(VALU_DEP_2) | instskip(NEXT) | instid1(VALU_DEP_2)
	v_add_f64_e64 v[34:35], v[34:35], -v[38:39]
	v_add_f64_e64 v[32:33], v[32:33], -v[36:37]
	s_delay_alu instid0(VALU_DEP_2) | instskip(NEXT) | instid1(VALU_DEP_1)
	v_add_f64_e32 v[30:31], v[30:31], v[34:35]
	v_add_f64_e32 v[30:31], v[30:31], v[32:33]
	s_delay_alu instid0(VALU_DEP_1) | instskip(NEXT) | instid1(VALU_DEP_1)
	v_add_f64_e32 v[32:33], v[40:41], v[30:31]
	v_add_f64_e64 v[34:35], -v[32:33], s[16:17]
	v_add_f64_e64 v[38:39], v[32:33], -v[40:41]
	s_delay_alu instid0(VALU_DEP_2) | instskip(NEXT) | instid1(VALU_DEP_2)
	v_add_f64_e64 v[36:37], -v[34:35], s[16:17]
	v_add_f64_e64 v[30:31], v[38:39], -v[30:31]
	s_delay_alu instid0(VALU_DEP_2) | instskip(NEXT) | instid1(VALU_DEP_1)
	v_add_f64_e64 v[32:33], v[36:37], -v[32:33]
	v_add_f64_e32 v[32:33], 0x3c81a62633145c07, v[32:33]
	s_delay_alu instid0(VALU_DEP_1) | instskip(NEXT) | instid1(VALU_DEP_1)
	v_add_f64_e32 v[30:31], v[30:31], v[32:33]
	v_add_f64_e32 v[30:31], v[34:35], v[30:31]
	s_delay_alu instid0(VALU_DEP_1) | instskip(NEXT) | instid1(VALU_DEP_1)
	v_add_f64_e32 v[30:31], v[30:31], v[30:31]
	v_cndmask_b32_e64 v31, 0x3ff921fb, v31, s5
	s_delay_alu instid0(VALU_DEP_2)
	v_cndmask_b32_e64 v30, 0x54442d18, v30, s5
.LBB59_14:                              ;   in Loop: Header=BB59_4 Depth=1
	s_or_b32 exec_lo, exec_lo, s24
	v_fma_f64 v[36:37], |v[18:19]|, -0.5, 0.5
	v_mul_f64_e32 v[32:33], v[18:19], v[18:19]
	v_cmp_ge_f64_e64 s5, |v[18:19]|, 0.5
	s_delay_alu instid0(VALU_DEP_1) | instskip(NEXT) | instid1(VALU_DEP_1)
	v_dual_cndmask_b32 v33, v33, v37, s5 :: v_dual_cndmask_b32 v32, v32, v36, s5
	v_fmamk_f64 v[34:35], v[32:33], 0x3fa059859fea6a70, v[6:7]
	s_delay_alu instid0(VALU_DEP_1) | instskip(NEXT) | instid1(VALU_DEP_1)
	v_fmaak_f64 v[34:35], v[32:33], v[34:35], 0x3f94052137024d6a
	v_fmaak_f64 v[34:35], v[32:33], v[34:35], 0x3f7ab3a098a70509
	s_delay_alu instid0(VALU_DEP_1) | instskip(NEXT) | instid1(VALU_DEP_1)
	v_fmaak_f64 v[34:35], v[32:33], v[34:35], 0x3f88ed60a300c8d2
	v_fmaak_f64 v[34:35], v[32:33], v[34:35], 0x3f8c6fa84b77012b
	;; [unrolled: 3-line block ×5, first 2 shown]
	s_delay_alu instid0(VALU_DEP_1) | instskip(NEXT) | instid1(VALU_DEP_1)
	v_mul_f64_e32 v[34:35], v[32:33], v[34:35]
	v_fma_f64 v[32:33], |v[18:19]|, v[34:35], |v[18:19]|
	s_and_saveexec_b32 s24, s5
	s_cbranch_execz .LBB59_16
; %bb.15:                               ;   in Loop: Header=BB59_4 Depth=1
	v_rsq_f64_e32 v[32:33], v[36:37]
	v_cmp_eq_f64_e64 s5, 0, v[36:37]
	s_delay_alu instid0(TRANS32_DEP_1) | instskip(SKIP_1) | instid1(VALU_DEP_1)
	v_mul_f64_e32 v[38:39], v[36:37], v[32:33]
	v_mul_f64_e32 v[32:33], 0.5, v[32:33]
	v_fma_f64 v[40:41], -v[32:33], v[38:39], 0.5
	s_delay_alu instid0(VALU_DEP_1) | instskip(SKIP_1) | instid1(VALU_DEP_2)
	v_fmac_f64_e32 v[38:39], v[38:39], v[40:41]
	v_fmac_f64_e32 v[32:33], v[32:33], v[40:41]
	v_fma_f64 v[40:41], -v[38:39], v[38:39], v[36:37]
	s_delay_alu instid0(VALU_DEP_1) | instskip(NEXT) | instid1(VALU_DEP_1)
	v_fmac_f64_e32 v[38:39], v[40:41], v[32:33]
	v_dual_cndmask_b32 v33, v39, v37, s5 :: v_dual_cndmask_b32 v32, v38, v36, s5
	s_delay_alu instid0(VALU_DEP_1) | instskip(SKIP_1) | instid1(VALU_DEP_2)
	v_add_f64_e32 v[38:39], v[32:33], v[32:33]
	v_mul_f64_e32 v[40:41], v[32:33], v[32:33]
	v_rcp_f64_e32 v[42:43], v[38:39]
	s_delay_alu instid0(VALU_DEP_1) | instskip(SKIP_1) | instid1(VALU_DEP_2)
	v_add_f64_e64 v[44:45], v[36:37], -v[40:41]
	v_fma_f64 v[48:49], v[32:33], v[32:33], -v[40:41]
	v_add_f64_e64 v[36:37], v[36:37], -v[44:45]
	s_delay_alu instid0(TRANS32_DEP_1) | instskip(NEXT) | instid1(VALU_DEP_2)
	v_fma_f64 v[46:47], -v[38:39], v[42:43], 1.0
	v_add_f64_e64 v[36:37], v[36:37], -v[40:41]
	s_delay_alu instid0(VALU_DEP_2) | instskip(NEXT) | instid1(VALU_DEP_2)
	v_fmac_f64_e32 v[42:43], v[46:47], v[42:43]
	v_add_f64_e64 v[36:37], v[36:37], -v[48:49]
	s_delay_alu instid0(VALU_DEP_2) | instskip(NEXT) | instid1(VALU_DEP_2)
	v_fma_f64 v[40:41], -v[38:39], v[42:43], 1.0
	v_add_f64_e32 v[36:37], v[44:45], v[36:37]
	s_delay_alu instid0(VALU_DEP_2) | instskip(NEXT) | instid1(VALU_DEP_1)
	v_fmac_f64_e32 v[42:43], v[40:41], v[42:43]
	v_mul_f64_e32 v[40:41], v[36:37], v[42:43]
	s_delay_alu instid0(VALU_DEP_1) | instskip(NEXT) | instid1(VALU_DEP_1)
	v_fma_f64 v[36:37], -v[38:39], v[40:41], v[36:37]
	v_fmac_f64_e32 v[40:41], v[36:37], v[42:43]
	s_delay_alu instid0(VALU_DEP_1) | instskip(NEXT) | instid1(VALU_DEP_2)
	v_cndmask_b32_e64 v37, v41, 0, s5
	v_cndmask_b32_e64 v36, v40, 0, s5
	v_cmp_neq_f64_e64 s5, |v[18:19]|, 1.0
	s_delay_alu instid0(VALU_DEP_2) | instskip(NEXT) | instid1(VALU_DEP_1)
	v_add_f64_e32 v[38:39], v[32:33], v[36:37]
	v_add_f64_e64 v[32:33], v[38:39], -v[32:33]
	v_mul_f64_e32 v[40:41], v[34:35], v[38:39]
	s_delay_alu instid0(VALU_DEP_2) | instskip(NEXT) | instid1(VALU_DEP_2)
	v_add_f64_e64 v[32:33], v[36:37], -v[32:33]
	v_fma_f64 v[36:37], v[38:39], v[34:35], -v[40:41]
	s_delay_alu instid0(VALU_DEP_1) | instskip(NEXT) | instid1(VALU_DEP_1)
	v_fmac_f64_e32 v[36:37], v[32:33], v[34:35]
	v_add_f64_e32 v[34:35], v[40:41], v[36:37]
	s_delay_alu instid0(VALU_DEP_1) | instskip(SKIP_1) | instid1(VALU_DEP_2)
	v_add_f64_e32 v[42:43], v[38:39], v[34:35]
	v_add_f64_e64 v[40:41], v[34:35], -v[40:41]
	v_add_f64_e64 v[38:39], v[42:43], -v[38:39]
	s_delay_alu instid0(VALU_DEP_2) | instskip(NEXT) | instid1(VALU_DEP_2)
	v_add_f64_e64 v[36:37], v[36:37], -v[40:41]
	v_add_f64_e64 v[34:35], v[34:35], -v[38:39]
	s_delay_alu instid0(VALU_DEP_2) | instskip(NEXT) | instid1(VALU_DEP_1)
	v_add_f64_e32 v[32:33], v[32:33], v[36:37]
	v_add_f64_e32 v[32:33], v[32:33], v[34:35]
	s_delay_alu instid0(VALU_DEP_1) | instskip(NEXT) | instid1(VALU_DEP_1)
	v_add_f64_e32 v[34:35], v[42:43], v[32:33]
	v_add_f64_e64 v[36:37], -v[34:35], s[16:17]
	v_add_f64_e64 v[40:41], v[34:35], -v[42:43]
	s_delay_alu instid0(VALU_DEP_2) | instskip(NEXT) | instid1(VALU_DEP_2)
	v_add_f64_e64 v[38:39], -v[36:37], s[16:17]
	v_add_f64_e64 v[32:33], v[40:41], -v[32:33]
	s_delay_alu instid0(VALU_DEP_2) | instskip(NEXT) | instid1(VALU_DEP_1)
	v_add_f64_e64 v[34:35], v[38:39], -v[34:35]
	v_add_f64_e32 v[34:35], 0x3c81a62633145c07, v[34:35]
	s_delay_alu instid0(VALU_DEP_1) | instskip(NEXT) | instid1(VALU_DEP_1)
	v_add_f64_e32 v[32:33], v[32:33], v[34:35]
	v_add_f64_e32 v[32:33], v[36:37], v[32:33]
	s_delay_alu instid0(VALU_DEP_1) | instskip(NEXT) | instid1(VALU_DEP_1)
	v_add_f64_e32 v[32:33], v[32:33], v[32:33]
	v_cndmask_b32_e64 v33, 0x3ff921fb, v33, s5
	s_delay_alu instid0(VALU_DEP_2)
	v_cndmask_b32_e64 v32, 0x54442d18, v32, s5
.LBB59_16:                              ;   in Loop: Header=BB59_4 Depth=1
	s_or_b32 exec_lo, exec_lo, s24
	v_fma_f64 v[38:39], |v[28:29]|, -0.5, 0.5
	v_mul_f64_e32 v[34:35], v[28:29], v[28:29]
	v_cmp_ge_f64_e64 s5, |v[28:29]|, 0.5
	s_delay_alu instid0(VALU_DEP_1) | instskip(NEXT) | instid1(VALU_DEP_1)
	v_dual_cndmask_b32 v35, v35, v39, s5 :: v_dual_cndmask_b32 v34, v34, v38, s5
	v_fmamk_f64 v[36:37], v[34:35], 0x3fa059859fea6a70, v[6:7]
	s_delay_alu instid0(VALU_DEP_1) | instskip(NEXT) | instid1(VALU_DEP_1)
	v_fmaak_f64 v[36:37], v[34:35], v[36:37], 0x3f94052137024d6a
	v_fmaak_f64 v[36:37], v[34:35], v[36:37], 0x3f7ab3a098a70509
	s_delay_alu instid0(VALU_DEP_1) | instskip(NEXT) | instid1(VALU_DEP_1)
	v_fmaak_f64 v[36:37], v[34:35], v[36:37], 0x3f88ed60a300c8d2
	v_fmaak_f64 v[36:37], v[34:35], v[36:37], 0x3f8c6fa84b77012b
	;; [unrolled: 3-line block ×5, first 2 shown]
	s_delay_alu instid0(VALU_DEP_1) | instskip(NEXT) | instid1(VALU_DEP_1)
	v_mul_f64_e32 v[36:37], v[34:35], v[36:37]
	v_fma_f64 v[34:35], |v[28:29]|, v[36:37], |v[28:29]|
	s_and_saveexec_b32 s24, s5
	s_cbranch_execz .LBB59_18
; %bb.17:                               ;   in Loop: Header=BB59_4 Depth=1
	v_rsq_f64_e32 v[34:35], v[38:39]
	v_cmp_eq_f64_e64 s5, 0, v[38:39]
	s_delay_alu instid0(TRANS32_DEP_1) | instskip(SKIP_1) | instid1(VALU_DEP_1)
	v_mul_f64_e32 v[40:41], v[38:39], v[34:35]
	v_mul_f64_e32 v[34:35], 0.5, v[34:35]
	v_fma_f64 v[42:43], -v[34:35], v[40:41], 0.5
	s_delay_alu instid0(VALU_DEP_1) | instskip(SKIP_1) | instid1(VALU_DEP_2)
	v_fmac_f64_e32 v[40:41], v[40:41], v[42:43]
	v_fmac_f64_e32 v[34:35], v[34:35], v[42:43]
	v_fma_f64 v[42:43], -v[40:41], v[40:41], v[38:39]
	s_delay_alu instid0(VALU_DEP_1) | instskip(NEXT) | instid1(VALU_DEP_1)
	v_fmac_f64_e32 v[40:41], v[42:43], v[34:35]
	v_dual_cndmask_b32 v35, v41, v39, s5 :: v_dual_cndmask_b32 v34, v40, v38, s5
	s_delay_alu instid0(VALU_DEP_1) | instskip(SKIP_1) | instid1(VALU_DEP_2)
	v_add_f64_e32 v[40:41], v[34:35], v[34:35]
	v_mul_f64_e32 v[42:43], v[34:35], v[34:35]
	v_rcp_f64_e32 v[44:45], v[40:41]
	s_delay_alu instid0(VALU_DEP_1) | instskip(SKIP_1) | instid1(VALU_DEP_2)
	v_add_f64_e64 v[46:47], v[38:39], -v[42:43]
	v_fma_f64 v[50:51], v[34:35], v[34:35], -v[42:43]
	v_add_f64_e64 v[38:39], v[38:39], -v[46:47]
	s_delay_alu instid0(TRANS32_DEP_1) | instskip(NEXT) | instid1(VALU_DEP_2)
	v_fma_f64 v[48:49], -v[40:41], v[44:45], 1.0
	v_add_f64_e64 v[38:39], v[38:39], -v[42:43]
	s_delay_alu instid0(VALU_DEP_2) | instskip(NEXT) | instid1(VALU_DEP_2)
	v_fmac_f64_e32 v[44:45], v[48:49], v[44:45]
	v_add_f64_e64 v[38:39], v[38:39], -v[50:51]
	s_delay_alu instid0(VALU_DEP_2) | instskip(NEXT) | instid1(VALU_DEP_2)
	v_fma_f64 v[42:43], -v[40:41], v[44:45], 1.0
	v_add_f64_e32 v[38:39], v[46:47], v[38:39]
	s_delay_alu instid0(VALU_DEP_2) | instskip(NEXT) | instid1(VALU_DEP_1)
	v_fmac_f64_e32 v[44:45], v[42:43], v[44:45]
	v_mul_f64_e32 v[42:43], v[38:39], v[44:45]
	s_delay_alu instid0(VALU_DEP_1) | instskip(NEXT) | instid1(VALU_DEP_1)
	v_fma_f64 v[38:39], -v[40:41], v[42:43], v[38:39]
	v_fmac_f64_e32 v[42:43], v[38:39], v[44:45]
	s_delay_alu instid0(VALU_DEP_1) | instskip(NEXT) | instid1(VALU_DEP_2)
	v_cndmask_b32_e64 v39, v43, 0, s5
	v_cndmask_b32_e64 v38, v42, 0, s5
	v_cmp_neq_f64_e64 s5, |v[28:29]|, 1.0
	s_delay_alu instid0(VALU_DEP_2) | instskip(NEXT) | instid1(VALU_DEP_1)
	v_add_f64_e32 v[40:41], v[34:35], v[38:39]
	v_add_f64_e64 v[34:35], v[40:41], -v[34:35]
	v_mul_f64_e32 v[42:43], v[36:37], v[40:41]
	s_delay_alu instid0(VALU_DEP_2) | instskip(NEXT) | instid1(VALU_DEP_2)
	v_add_f64_e64 v[34:35], v[38:39], -v[34:35]
	v_fma_f64 v[38:39], v[40:41], v[36:37], -v[42:43]
	s_delay_alu instid0(VALU_DEP_1) | instskip(NEXT) | instid1(VALU_DEP_1)
	v_fmac_f64_e32 v[38:39], v[34:35], v[36:37]
	v_add_f64_e32 v[36:37], v[42:43], v[38:39]
	s_delay_alu instid0(VALU_DEP_1) | instskip(SKIP_1) | instid1(VALU_DEP_2)
	v_add_f64_e32 v[44:45], v[40:41], v[36:37]
	v_add_f64_e64 v[42:43], v[36:37], -v[42:43]
	v_add_f64_e64 v[40:41], v[44:45], -v[40:41]
	s_delay_alu instid0(VALU_DEP_2) | instskip(NEXT) | instid1(VALU_DEP_2)
	v_add_f64_e64 v[38:39], v[38:39], -v[42:43]
	v_add_f64_e64 v[36:37], v[36:37], -v[40:41]
	s_delay_alu instid0(VALU_DEP_2) | instskip(NEXT) | instid1(VALU_DEP_1)
	v_add_f64_e32 v[34:35], v[34:35], v[38:39]
	v_add_f64_e32 v[34:35], v[34:35], v[36:37]
	s_delay_alu instid0(VALU_DEP_1) | instskip(NEXT) | instid1(VALU_DEP_1)
	v_add_f64_e32 v[36:37], v[44:45], v[34:35]
	v_add_f64_e64 v[38:39], -v[36:37], s[16:17]
	v_add_f64_e64 v[42:43], v[36:37], -v[44:45]
	s_delay_alu instid0(VALU_DEP_2) | instskip(NEXT) | instid1(VALU_DEP_2)
	v_add_f64_e64 v[40:41], -v[38:39], s[16:17]
	v_add_f64_e64 v[34:35], v[42:43], -v[34:35]
	s_delay_alu instid0(VALU_DEP_2) | instskip(NEXT) | instid1(VALU_DEP_1)
	v_add_f64_e64 v[36:37], v[40:41], -v[36:37]
	v_add_f64_e32 v[36:37], 0x3c81a62633145c07, v[36:37]
	s_delay_alu instid0(VALU_DEP_1) | instskip(NEXT) | instid1(VALU_DEP_1)
	v_add_f64_e32 v[34:35], v[34:35], v[36:37]
	v_add_f64_e32 v[34:35], v[38:39], v[34:35]
	s_delay_alu instid0(VALU_DEP_1) | instskip(NEXT) | instid1(VALU_DEP_1)
	v_add_f64_e32 v[34:35], v[34:35], v[34:35]
	v_cndmask_b32_e64 v35, 0x3ff921fb, v35, s5
	s_delay_alu instid0(VALU_DEP_2)
	v_cndmask_b32_e64 v34, 0x54442d18, v34, s5
.LBB59_18:                              ;   in Loop: Header=BB59_4 Depth=1
	s_or_b32 exec_lo, exec_lo, s24
	v_fma_f64 v[40:41], |v[20:21]|, -0.5, 0.5
	v_mul_f64_e32 v[36:37], v[20:21], v[20:21]
	v_cmp_ge_f64_e64 s5, |v[20:21]|, 0.5
	s_delay_alu instid0(VALU_DEP_1) | instskip(NEXT) | instid1(VALU_DEP_1)
	v_dual_cndmask_b32 v37, v37, v41, s5 :: v_dual_cndmask_b32 v36, v36, v40, s5
	v_fmamk_f64 v[38:39], v[36:37], 0x3fa059859fea6a70, v[6:7]
	s_delay_alu instid0(VALU_DEP_1) | instskip(NEXT) | instid1(VALU_DEP_1)
	v_fmaak_f64 v[38:39], v[36:37], v[38:39], 0x3f94052137024d6a
	v_fmaak_f64 v[38:39], v[36:37], v[38:39], 0x3f7ab3a098a70509
	s_delay_alu instid0(VALU_DEP_1) | instskip(NEXT) | instid1(VALU_DEP_1)
	v_fmaak_f64 v[38:39], v[36:37], v[38:39], 0x3f88ed60a300c8d2
	v_fmaak_f64 v[38:39], v[36:37], v[38:39], 0x3f8c6fa84b77012b
	;; [unrolled: 3-line block ×5, first 2 shown]
	s_delay_alu instid0(VALU_DEP_1) | instskip(NEXT) | instid1(VALU_DEP_1)
	v_mul_f64_e32 v[36:37], v[36:37], v[38:39]
	v_fma_f64 v[38:39], |v[20:21]|, v[36:37], |v[20:21]|
	s_and_saveexec_b32 s24, s5
	s_cbranch_execnz .LBB59_23
; %bb.19:                               ;   in Loop: Header=BB59_4 Depth=1
	s_or_b32 exec_lo, exec_lo, s24
	s_and_saveexec_b32 s5, vcc_lo
	s_delay_alu instid0(SALU_CYCLE_1)
	s_xor_b32 s5, exec_lo, s5
	s_cbranch_execnz .LBB59_24
.LBB59_20:                              ;   in Loop: Header=BB59_4 Depth=1
	s_or_b32 exec_lo, exec_lo, s5
	s_and_saveexec_b32 s5, s2
	s_cbranch_execnz .LBB59_25
.LBB59_21:                              ;   in Loop: Header=BB59_4 Depth=1
	s_or_b32 exec_lo, exec_lo, s5
	s_and_saveexec_b32 s2, s3
	s_cbranch_execnz .LBB59_26
.LBB59_22:                              ;   in Loop: Header=BB59_4 Depth=1
	s_or_b32 exec_lo, exec_lo, s2
	s_and_saveexec_b32 s2, s4
	s_cbranch_execz .LBB59_3
	s_branch .LBB59_27
.LBB59_23:                              ;   in Loop: Header=BB59_4 Depth=1
	v_rsq_f64_e32 v[38:39], v[40:41]
	v_cmp_eq_f64_e64 s5, 0, v[40:41]
	s_delay_alu instid0(TRANS32_DEP_1) | instskip(SKIP_1) | instid1(VALU_DEP_1)
	v_mul_f64_e32 v[42:43], v[40:41], v[38:39]
	v_mul_f64_e32 v[38:39], 0.5, v[38:39]
	v_fma_f64 v[44:45], -v[38:39], v[42:43], 0.5
	s_delay_alu instid0(VALU_DEP_1) | instskip(SKIP_1) | instid1(VALU_DEP_2)
	v_fmac_f64_e32 v[42:43], v[42:43], v[44:45]
	v_fmac_f64_e32 v[38:39], v[38:39], v[44:45]
	v_fma_f64 v[44:45], -v[42:43], v[42:43], v[40:41]
	s_delay_alu instid0(VALU_DEP_1) | instskip(NEXT) | instid1(VALU_DEP_1)
	v_fmac_f64_e32 v[42:43], v[44:45], v[38:39]
	v_dual_cndmask_b32 v39, v43, v41, s5 :: v_dual_cndmask_b32 v38, v42, v40, s5
	s_delay_alu instid0(VALU_DEP_1) | instskip(SKIP_1) | instid1(VALU_DEP_2)
	v_add_f64_e32 v[42:43], v[38:39], v[38:39]
	v_mul_f64_e32 v[44:45], v[38:39], v[38:39]
	v_rcp_f64_e32 v[46:47], v[42:43]
	s_delay_alu instid0(VALU_DEP_1) | instskip(SKIP_1) | instid1(VALU_DEP_2)
	v_add_f64_e64 v[48:49], v[40:41], -v[44:45]
	v_fma_f64 v[52:53], v[38:39], v[38:39], -v[44:45]
	v_add_f64_e64 v[40:41], v[40:41], -v[48:49]
	s_delay_alu instid0(TRANS32_DEP_1) | instskip(NEXT) | instid1(VALU_DEP_2)
	v_fma_f64 v[50:51], -v[42:43], v[46:47], 1.0
	v_add_f64_e64 v[40:41], v[40:41], -v[44:45]
	s_delay_alu instid0(VALU_DEP_2) | instskip(NEXT) | instid1(VALU_DEP_2)
	v_fmac_f64_e32 v[46:47], v[50:51], v[46:47]
	v_add_f64_e64 v[40:41], v[40:41], -v[52:53]
	s_delay_alu instid0(VALU_DEP_2) | instskip(NEXT) | instid1(VALU_DEP_2)
	v_fma_f64 v[44:45], -v[42:43], v[46:47], 1.0
	v_add_f64_e32 v[40:41], v[48:49], v[40:41]
	s_delay_alu instid0(VALU_DEP_2) | instskip(NEXT) | instid1(VALU_DEP_1)
	v_fmac_f64_e32 v[46:47], v[44:45], v[46:47]
	v_mul_f64_e32 v[44:45], v[40:41], v[46:47]
	s_delay_alu instid0(VALU_DEP_1) | instskip(NEXT) | instid1(VALU_DEP_1)
	v_fma_f64 v[40:41], -v[42:43], v[44:45], v[40:41]
	v_fmac_f64_e32 v[44:45], v[40:41], v[46:47]
	s_delay_alu instid0(VALU_DEP_1) | instskip(NEXT) | instid1(VALU_DEP_2)
	v_cndmask_b32_e64 v41, v45, 0, s5
	v_cndmask_b32_e64 v40, v44, 0, s5
	v_cmp_neq_f64_e64 s5, |v[20:21]|, 1.0
	s_delay_alu instid0(VALU_DEP_2) | instskip(NEXT) | instid1(VALU_DEP_1)
	v_add_f64_e32 v[42:43], v[38:39], v[40:41]
	v_add_f64_e64 v[38:39], v[42:43], -v[38:39]
	v_mul_f64_e32 v[44:45], v[36:37], v[42:43]
	s_delay_alu instid0(VALU_DEP_2) | instskip(NEXT) | instid1(VALU_DEP_2)
	v_add_f64_e64 v[38:39], v[40:41], -v[38:39]
	v_fma_f64 v[40:41], v[42:43], v[36:37], -v[44:45]
	s_delay_alu instid0(VALU_DEP_1) | instskip(NEXT) | instid1(VALU_DEP_1)
	v_fmac_f64_e32 v[40:41], v[38:39], v[36:37]
	v_add_f64_e32 v[36:37], v[44:45], v[40:41]
	s_delay_alu instid0(VALU_DEP_1) | instskip(SKIP_1) | instid1(VALU_DEP_2)
	v_add_f64_e32 v[46:47], v[42:43], v[36:37]
	v_add_f64_e64 v[44:45], v[36:37], -v[44:45]
	v_add_f64_e64 v[42:43], v[46:47], -v[42:43]
	s_delay_alu instid0(VALU_DEP_2) | instskip(NEXT) | instid1(VALU_DEP_2)
	v_add_f64_e64 v[40:41], v[40:41], -v[44:45]
	v_add_f64_e64 v[36:37], v[36:37], -v[42:43]
	s_delay_alu instid0(VALU_DEP_2) | instskip(NEXT) | instid1(VALU_DEP_1)
	v_add_f64_e32 v[38:39], v[38:39], v[40:41]
	v_add_f64_e32 v[36:37], v[38:39], v[36:37]
	s_delay_alu instid0(VALU_DEP_1) | instskip(NEXT) | instid1(VALU_DEP_1)
	v_add_f64_e32 v[38:39], v[46:47], v[36:37]
	v_add_f64_e64 v[40:41], -v[38:39], s[16:17]
	v_add_f64_e64 v[44:45], v[38:39], -v[46:47]
	s_delay_alu instid0(VALU_DEP_2) | instskip(NEXT) | instid1(VALU_DEP_2)
	v_add_f64_e64 v[42:43], -v[40:41], s[16:17]
	v_add_f64_e64 v[36:37], v[44:45], -v[36:37]
	s_delay_alu instid0(VALU_DEP_2) | instskip(NEXT) | instid1(VALU_DEP_1)
	v_add_f64_e64 v[38:39], v[42:43], -v[38:39]
	v_add_f64_e32 v[38:39], 0x3c81a62633145c07, v[38:39]
	s_delay_alu instid0(VALU_DEP_1) | instskip(NEXT) | instid1(VALU_DEP_1)
	v_add_f64_e32 v[36:37], v[36:37], v[38:39]
	v_add_f64_e32 v[36:37], v[40:41], v[36:37]
	s_delay_alu instid0(VALU_DEP_1) | instskip(NEXT) | instid1(VALU_DEP_1)
	v_add_f64_e32 v[36:37], v[36:37], v[36:37]
	v_cndmask_b32_e64 v39, 0x3ff921fb, v37, s5
	s_delay_alu instid0(VALU_DEP_2) | instskip(SKIP_2) | instid1(SALU_CYCLE_1)
	v_cndmask_b32_e64 v38, 0x54442d18, v36, s5
	s_or_b32 exec_lo, exec_lo, s24
	s_and_saveexec_b32 s5, vcc_lo
	s_xor_b32 s5, exec_lo, s5
	s_cbranch_execz .LBB59_20
.LBB59_24:                              ;   in Loop: Header=BB59_4 Depth=1
	v_bfi_b32 v31, 0x7fffffff, v31, v23
	global_store_b64 v[10:11], v[30:31], off
	s_wait_xcnt 0x0
	s_or_b32 exec_lo, exec_lo, s5
	s_and_saveexec_b32 s5, s2
	s_cbranch_execz .LBB59_21
.LBB59_25:                              ;   in Loop: Header=BB59_4 Depth=1
	v_bfi_b32 v33, 0x7fffffff, v33, v19
	global_store_b64 v[16:17], v[32:33], off
	s_wait_xcnt 0x0
	s_or_b32 exec_lo, exec_lo, s5
	s_and_saveexec_b32 s2, s3
	s_cbranch_execz .LBB59_22
.LBB59_26:                              ;   in Loop: Header=BB59_4 Depth=1
	v_bfi_b32 v35, 0x7fffffff, v35, v29
	global_store_b64 v[24:25], v[34:35], off
	s_wait_xcnt 0x0
	s_or_b32 exec_lo, exec_lo, s2
	s_and_saveexec_b32 s2, s4
	s_cbranch_execz .LBB59_3
.LBB59_27:                              ;   in Loop: Header=BB59_4 Depth=1
	s_delay_alu instid0(VALU_DEP_1)
	v_bfi_b32 v39, 0x7fffffff, v39, v21
	global_store_b64 v[26:27], v[38:39], off
	s_branch .LBB59_3
.LBB59_28:
	s_cbranch_execz .LBB59_30
	s_branch .LBB59_41
.LBB59_29:
.LBB59_30:
	v_min_i64 v[18:19], 0x10000, s[10:11]
	v_dual_mov_b32 v3, 0 :: v_dual_lshlrev_b32 v2, 2, v0
	s_mov_b32 s2, exec_lo
	s_delay_alu instid0(VALU_DEP_1)
	v_cmpx_lt_i64_e64 v[2:3], v[18:19]
	s_cbranch_execz .LBB59_41
; %bb.31:
	s_load_b32 s2, s[0:1], 0xd3c
	v_dual_mov_b32 v1, v3 :: v_dual_lshlrev_b32 v2, 5, v0
	s_wait_xcnt 0x0
	s_add_nc_u64 s[0:1], s[6:7], s[8:9]
	v_mov_b64_e32 v[20:21], 0xbf90a5a378a05eaf
	s_mov_b32 s3, 0
	v_add_nc_u64_e32 v[4:5], s[0:1], v[2:3]
	s_mov_b64 s[0:1], 0x3fe921fb54442d18
	s_mov_b32 s5, s3
	s_mov_b32 s6, s3
                                        ; implicit-def: $vgpr2_vgpr3
                                        ; implicit-def: $vgpr2_vgpr3
	;; [unrolled: 1-line block ×10, first 2 shown]
	s_delay_alu instid0(VALU_DEP_1) | instskip(SKIP_2) | instid1(SALU_CYCLE_1)
	v_add_nc_u64_e32 v[22:23], 16, v[4:5]
	s_wait_kmcnt 0x0
	s_and_b32 s2, s2, 0xffff
	s_lshl_b32 s4, s2, 5
	s_branch .LBB59_33
.LBB59_32:                              ;   in Loop: Header=BB59_33 Depth=1
	s_or_b32 exec_lo, exec_lo, s7
	v_add_nc_u64_e32 v[0:1], s[2:3], v[0:1]
	v_bfi_b32 v13, 0x7fffffff, v13, v9
	v_bfi_b32 v11, 0x7fffffff, v11, v7
	;; [unrolled: 1-line block ×4, first 2 shown]
	s_clause 0x1
	global_store_b128 v[22:23], v[10:13], off offset:-16
	global_store_b128 v[22:23], v[14:17], off
	v_lshlrev_b64_e32 v[24:25], 2, v[0:1]
	s_wait_xcnt 0x0
	v_add_nc_u64_e32 v[22:23], s[4:5], v[22:23]
	s_delay_alu instid0(VALU_DEP_2) | instskip(SKIP_1) | instid1(SALU_CYCLE_1)
	v_cmp_ge_i64_e32 vcc_lo, v[24:25], v[18:19]
	s_or_b32 s6, vcc_lo, s6
	s_and_not1_b32 exec_lo, exec_lo, s6
	s_cbranch_execz .LBB59_41
.LBB59_33:                              ; =>This Inner Loop Header: Depth=1
	s_clause 0x1
	global_load_b128 v[6:9], v[22:23], off offset:-16
	global_load_b128 v[2:5], v[22:23], off
	s_wait_loadcnt 0x1
	v_fma_f64 v[14:15], |v[6:7]|, -0.5, 0.5
	v_mul_f64_e32 v[10:11], v[6:7], v[6:7]
	v_cmp_ge_f64_e64 vcc_lo, |v[6:7]|, 0.5
	s_delay_alu instid0(VALU_DEP_2) | instskip(NEXT) | instid1(VALU_DEP_1)
	v_dual_cndmask_b32 v11, v11, v15 :: v_dual_cndmask_b32 v10, v10, v14
	v_fmamk_f64 v[12:13], v[10:11], 0x3fa059859fea6a70, v[20:21]
	s_delay_alu instid0(VALU_DEP_1) | instskip(NEXT) | instid1(VALU_DEP_1)
	v_fmaak_f64 v[12:13], v[10:11], v[12:13], 0x3f94052137024d6a
	v_fmaak_f64 v[12:13], v[10:11], v[12:13], 0x3f7ab3a098a70509
	s_delay_alu instid0(VALU_DEP_1) | instskip(NEXT) | instid1(VALU_DEP_1)
	v_fmaak_f64 v[12:13], v[10:11], v[12:13], 0x3f88ed60a300c8d2
	v_fmaak_f64 v[12:13], v[10:11], v[12:13], 0x3f8c6fa84b77012b
	;; [unrolled: 3-line block ×5, first 2 shown]
	s_delay_alu instid0(VALU_DEP_1) | instskip(NEXT) | instid1(VALU_DEP_1)
	v_mul_f64_e32 v[12:13], v[10:11], v[12:13]
	v_fma_f64 v[10:11], |v[6:7]|, v[12:13], |v[6:7]|
	s_wait_xcnt 0x0
	s_and_saveexec_b32 s7, vcc_lo
	s_cbranch_execz .LBB59_35
; %bb.34:                               ;   in Loop: Header=BB59_33 Depth=1
	v_rsq_f64_e32 v[10:11], v[14:15]
	v_cmp_eq_f64_e32 vcc_lo, 0, v[14:15]
	s_delay_alu instid0(TRANS32_DEP_1) | instskip(SKIP_1) | instid1(VALU_DEP_1)
	v_mul_f64_e32 v[16:17], v[14:15], v[10:11]
	v_mul_f64_e32 v[10:11], 0.5, v[10:11]
	v_fma_f64 v[24:25], -v[10:11], v[16:17], 0.5
	s_delay_alu instid0(VALU_DEP_1) | instskip(SKIP_1) | instid1(VALU_DEP_2)
	v_fmac_f64_e32 v[16:17], v[16:17], v[24:25]
	v_fmac_f64_e32 v[10:11], v[10:11], v[24:25]
	v_fma_f64 v[24:25], -v[16:17], v[16:17], v[14:15]
	s_delay_alu instid0(VALU_DEP_1) | instskip(NEXT) | instid1(VALU_DEP_1)
	v_fmac_f64_e32 v[16:17], v[24:25], v[10:11]
	v_dual_cndmask_b32 v11, v17, v15 :: v_dual_cndmask_b32 v10, v16, v14
	s_delay_alu instid0(VALU_DEP_1) | instskip(SKIP_1) | instid1(VALU_DEP_2)
	v_add_f64_e32 v[16:17], v[10:11], v[10:11]
	v_mul_f64_e32 v[24:25], v[10:11], v[10:11]
	v_rcp_f64_e32 v[26:27], v[16:17]
	s_delay_alu instid0(VALU_DEP_1) | instskip(SKIP_1) | instid1(VALU_DEP_2)
	v_add_f64_e64 v[28:29], v[14:15], -v[24:25]
	v_fma_f64 v[32:33], v[10:11], v[10:11], -v[24:25]
	v_add_f64_e64 v[14:15], v[14:15], -v[28:29]
	s_delay_alu instid0(TRANS32_DEP_1) | instskip(NEXT) | instid1(VALU_DEP_2)
	v_fma_f64 v[30:31], -v[16:17], v[26:27], 1.0
	v_add_f64_e64 v[14:15], v[14:15], -v[24:25]
	s_delay_alu instid0(VALU_DEP_2) | instskip(NEXT) | instid1(VALU_DEP_2)
	v_fmac_f64_e32 v[26:27], v[30:31], v[26:27]
	v_add_f64_e64 v[14:15], v[14:15], -v[32:33]
	s_delay_alu instid0(VALU_DEP_2) | instskip(NEXT) | instid1(VALU_DEP_2)
	v_fma_f64 v[24:25], -v[16:17], v[26:27], 1.0
	v_add_f64_e32 v[14:15], v[28:29], v[14:15]
	s_delay_alu instid0(VALU_DEP_2) | instskip(NEXT) | instid1(VALU_DEP_1)
	v_fmac_f64_e32 v[26:27], v[24:25], v[26:27]
	v_mul_f64_e32 v[24:25], v[14:15], v[26:27]
	s_delay_alu instid0(VALU_DEP_1) | instskip(NEXT) | instid1(VALU_DEP_1)
	v_fma_f64 v[14:15], -v[16:17], v[24:25], v[14:15]
	v_fmac_f64_e32 v[24:25], v[14:15], v[26:27]
	s_delay_alu instid0(VALU_DEP_1) | instskip(NEXT) | instid1(VALU_DEP_2)
	v_cndmask_b32_e64 v15, v25, 0, vcc_lo
	v_cndmask_b32_e64 v14, v24, 0, vcc_lo
	v_cmp_neq_f64_e64 vcc_lo, |v[6:7]|, 1.0
	s_delay_alu instid0(VALU_DEP_2) | instskip(NEXT) | instid1(VALU_DEP_1)
	v_add_f64_e32 v[16:17], v[10:11], v[14:15]
	v_add_f64_e64 v[10:11], v[16:17], -v[10:11]
	v_mul_f64_e32 v[24:25], v[12:13], v[16:17]
	s_delay_alu instid0(VALU_DEP_2) | instskip(NEXT) | instid1(VALU_DEP_2)
	v_add_f64_e64 v[10:11], v[14:15], -v[10:11]
	v_fma_f64 v[14:15], v[16:17], v[12:13], -v[24:25]
	s_delay_alu instid0(VALU_DEP_1) | instskip(NEXT) | instid1(VALU_DEP_1)
	v_fmac_f64_e32 v[14:15], v[10:11], v[12:13]
	v_add_f64_e32 v[12:13], v[24:25], v[14:15]
	s_delay_alu instid0(VALU_DEP_1) | instskip(SKIP_1) | instid1(VALU_DEP_2)
	v_add_f64_e32 v[26:27], v[16:17], v[12:13]
	v_add_f64_e64 v[24:25], v[12:13], -v[24:25]
	v_add_f64_e64 v[16:17], v[26:27], -v[16:17]
	s_delay_alu instid0(VALU_DEP_2) | instskip(NEXT) | instid1(VALU_DEP_2)
	v_add_f64_e64 v[14:15], v[14:15], -v[24:25]
	v_add_f64_e64 v[12:13], v[12:13], -v[16:17]
	s_delay_alu instid0(VALU_DEP_2) | instskip(NEXT) | instid1(VALU_DEP_1)
	v_add_f64_e32 v[10:11], v[10:11], v[14:15]
	v_add_f64_e32 v[10:11], v[10:11], v[12:13]
	s_delay_alu instid0(VALU_DEP_1) | instskip(NEXT) | instid1(VALU_DEP_1)
	v_add_f64_e32 v[12:13], v[26:27], v[10:11]
	v_add_f64_e64 v[14:15], -v[12:13], s[0:1]
	v_add_f64_e64 v[24:25], v[12:13], -v[26:27]
	s_delay_alu instid0(VALU_DEP_2) | instskip(NEXT) | instid1(VALU_DEP_2)
	v_add_f64_e64 v[16:17], -v[14:15], s[0:1]
	v_add_f64_e64 v[10:11], v[24:25], -v[10:11]
	s_delay_alu instid0(VALU_DEP_2) | instskip(NEXT) | instid1(VALU_DEP_1)
	v_add_f64_e64 v[12:13], v[16:17], -v[12:13]
	v_add_f64_e32 v[12:13], 0x3c81a62633145c07, v[12:13]
	s_delay_alu instid0(VALU_DEP_1) | instskip(NEXT) | instid1(VALU_DEP_1)
	v_add_f64_e32 v[10:11], v[10:11], v[12:13]
	v_add_f64_e32 v[10:11], v[14:15], v[10:11]
	s_delay_alu instid0(VALU_DEP_1) | instskip(NEXT) | instid1(VALU_DEP_1)
	v_add_f64_e32 v[10:11], v[10:11], v[10:11]
	v_cndmask_b32_e32 v11, 0x3ff921fb, v11, vcc_lo
	s_delay_alu instid0(VALU_DEP_2)
	v_cndmask_b32_e32 v10, 0x54442d18, v10, vcc_lo
.LBB59_35:                              ;   in Loop: Header=BB59_33 Depth=1
	s_or_b32 exec_lo, exec_lo, s7
	v_fma_f64 v[16:17], |v[8:9]|, -0.5, 0.5
	v_mul_f64_e32 v[12:13], v[8:9], v[8:9]
	v_cmp_ge_f64_e64 vcc_lo, |v[8:9]|, 0.5
	s_delay_alu instid0(VALU_DEP_2) | instskip(NEXT) | instid1(VALU_DEP_1)
	v_dual_cndmask_b32 v13, v13, v17 :: v_dual_cndmask_b32 v12, v12, v16
	v_fmamk_f64 v[14:15], v[12:13], 0x3fa059859fea6a70, v[20:21]
	s_delay_alu instid0(VALU_DEP_1) | instskip(NEXT) | instid1(VALU_DEP_1)
	v_fmaak_f64 v[14:15], v[12:13], v[14:15], 0x3f94052137024d6a
	v_fmaak_f64 v[14:15], v[12:13], v[14:15], 0x3f7ab3a098a70509
	s_delay_alu instid0(VALU_DEP_1) | instskip(NEXT) | instid1(VALU_DEP_1)
	v_fmaak_f64 v[14:15], v[12:13], v[14:15], 0x3f88ed60a300c8d2
	v_fmaak_f64 v[14:15], v[12:13], v[14:15], 0x3f8c6fa84b77012b
	;; [unrolled: 3-line block ×5, first 2 shown]
	s_delay_alu instid0(VALU_DEP_1) | instskip(NEXT) | instid1(VALU_DEP_1)
	v_mul_f64_e32 v[14:15], v[12:13], v[14:15]
	v_fma_f64 v[12:13], |v[8:9]|, v[14:15], |v[8:9]|
	s_and_saveexec_b32 s7, vcc_lo
	s_cbranch_execz .LBB59_37
; %bb.36:                               ;   in Loop: Header=BB59_33 Depth=1
	v_rsq_f64_e32 v[12:13], v[16:17]
	v_cmp_eq_f64_e32 vcc_lo, 0, v[16:17]
	s_delay_alu instid0(TRANS32_DEP_1) | instskip(SKIP_1) | instid1(VALU_DEP_1)
	v_mul_f64_e32 v[24:25], v[16:17], v[12:13]
	v_mul_f64_e32 v[12:13], 0.5, v[12:13]
	v_fma_f64 v[26:27], -v[12:13], v[24:25], 0.5
	s_delay_alu instid0(VALU_DEP_1) | instskip(SKIP_1) | instid1(VALU_DEP_2)
	v_fmac_f64_e32 v[24:25], v[24:25], v[26:27]
	v_fmac_f64_e32 v[12:13], v[12:13], v[26:27]
	v_fma_f64 v[26:27], -v[24:25], v[24:25], v[16:17]
	s_delay_alu instid0(VALU_DEP_1) | instskip(NEXT) | instid1(VALU_DEP_1)
	v_fmac_f64_e32 v[24:25], v[26:27], v[12:13]
	v_dual_cndmask_b32 v13, v25, v17 :: v_dual_cndmask_b32 v12, v24, v16
	s_delay_alu instid0(VALU_DEP_1) | instskip(SKIP_1) | instid1(VALU_DEP_2)
	v_add_f64_e32 v[24:25], v[12:13], v[12:13]
	v_mul_f64_e32 v[26:27], v[12:13], v[12:13]
	v_rcp_f64_e32 v[28:29], v[24:25]
	s_delay_alu instid0(VALU_DEP_1) | instskip(SKIP_1) | instid1(VALU_DEP_2)
	v_add_f64_e64 v[30:31], v[16:17], -v[26:27]
	v_fma_f64 v[34:35], v[12:13], v[12:13], -v[26:27]
	v_add_f64_e64 v[16:17], v[16:17], -v[30:31]
	s_delay_alu instid0(TRANS32_DEP_1) | instskip(NEXT) | instid1(VALU_DEP_2)
	v_fma_f64 v[32:33], -v[24:25], v[28:29], 1.0
	v_add_f64_e64 v[16:17], v[16:17], -v[26:27]
	s_delay_alu instid0(VALU_DEP_2) | instskip(NEXT) | instid1(VALU_DEP_2)
	v_fmac_f64_e32 v[28:29], v[32:33], v[28:29]
	v_add_f64_e64 v[16:17], v[16:17], -v[34:35]
	s_delay_alu instid0(VALU_DEP_2) | instskip(NEXT) | instid1(VALU_DEP_2)
	v_fma_f64 v[26:27], -v[24:25], v[28:29], 1.0
	v_add_f64_e32 v[16:17], v[30:31], v[16:17]
	s_delay_alu instid0(VALU_DEP_2) | instskip(NEXT) | instid1(VALU_DEP_1)
	v_fmac_f64_e32 v[28:29], v[26:27], v[28:29]
	v_mul_f64_e32 v[26:27], v[16:17], v[28:29]
	s_delay_alu instid0(VALU_DEP_1) | instskip(NEXT) | instid1(VALU_DEP_1)
	v_fma_f64 v[16:17], -v[24:25], v[26:27], v[16:17]
	v_fmac_f64_e32 v[26:27], v[16:17], v[28:29]
	s_delay_alu instid0(VALU_DEP_1) | instskip(NEXT) | instid1(VALU_DEP_2)
	v_cndmask_b32_e64 v17, v27, 0, vcc_lo
	v_cndmask_b32_e64 v16, v26, 0, vcc_lo
	v_cmp_neq_f64_e64 vcc_lo, |v[8:9]|, 1.0
	s_delay_alu instid0(VALU_DEP_2) | instskip(NEXT) | instid1(VALU_DEP_1)
	v_add_f64_e32 v[24:25], v[12:13], v[16:17]
	v_add_f64_e64 v[12:13], v[24:25], -v[12:13]
	v_mul_f64_e32 v[26:27], v[14:15], v[24:25]
	s_delay_alu instid0(VALU_DEP_2) | instskip(NEXT) | instid1(VALU_DEP_2)
	v_add_f64_e64 v[12:13], v[16:17], -v[12:13]
	v_fma_f64 v[16:17], v[24:25], v[14:15], -v[26:27]
	s_delay_alu instid0(VALU_DEP_1) | instskip(NEXT) | instid1(VALU_DEP_1)
	v_fmac_f64_e32 v[16:17], v[12:13], v[14:15]
	v_add_f64_e32 v[14:15], v[26:27], v[16:17]
	s_delay_alu instid0(VALU_DEP_1) | instskip(SKIP_1) | instid1(VALU_DEP_2)
	v_add_f64_e32 v[28:29], v[24:25], v[14:15]
	v_add_f64_e64 v[26:27], v[14:15], -v[26:27]
	v_add_f64_e64 v[24:25], v[28:29], -v[24:25]
	s_delay_alu instid0(VALU_DEP_2) | instskip(NEXT) | instid1(VALU_DEP_2)
	v_add_f64_e64 v[16:17], v[16:17], -v[26:27]
	v_add_f64_e64 v[14:15], v[14:15], -v[24:25]
	s_delay_alu instid0(VALU_DEP_2) | instskip(NEXT) | instid1(VALU_DEP_1)
	v_add_f64_e32 v[12:13], v[12:13], v[16:17]
	v_add_f64_e32 v[12:13], v[12:13], v[14:15]
	s_delay_alu instid0(VALU_DEP_1) | instskip(NEXT) | instid1(VALU_DEP_1)
	v_add_f64_e32 v[14:15], v[28:29], v[12:13]
	v_add_f64_e64 v[16:17], -v[14:15], s[0:1]
	v_add_f64_e64 v[26:27], v[14:15], -v[28:29]
	s_delay_alu instid0(VALU_DEP_2) | instskip(NEXT) | instid1(VALU_DEP_2)
	v_add_f64_e64 v[24:25], -v[16:17], s[0:1]
	v_add_f64_e64 v[12:13], v[26:27], -v[12:13]
	s_delay_alu instid0(VALU_DEP_2) | instskip(NEXT) | instid1(VALU_DEP_1)
	v_add_f64_e64 v[14:15], v[24:25], -v[14:15]
	v_add_f64_e32 v[14:15], 0x3c81a62633145c07, v[14:15]
	s_delay_alu instid0(VALU_DEP_1) | instskip(NEXT) | instid1(VALU_DEP_1)
	v_add_f64_e32 v[12:13], v[12:13], v[14:15]
	v_add_f64_e32 v[12:13], v[16:17], v[12:13]
	s_delay_alu instid0(VALU_DEP_1) | instskip(NEXT) | instid1(VALU_DEP_1)
	v_add_f64_e32 v[12:13], v[12:13], v[12:13]
	v_cndmask_b32_e32 v13, 0x3ff921fb, v13, vcc_lo
	s_delay_alu instid0(VALU_DEP_2)
	v_cndmask_b32_e32 v12, 0x54442d18, v12, vcc_lo
.LBB59_37:                              ;   in Loop: Header=BB59_33 Depth=1
	s_or_b32 exec_lo, exec_lo, s7
	s_wait_loadcnt 0x0
	v_fma_f64 v[24:25], |v[2:3]|, -0.5, 0.5
	v_mul_f64_e32 v[14:15], v[2:3], v[2:3]
	v_cmp_ge_f64_e64 vcc_lo, |v[2:3]|, 0.5
	s_delay_alu instid0(VALU_DEP_2) | instskip(NEXT) | instid1(VALU_DEP_1)
	v_dual_cndmask_b32 v15, v15, v25 :: v_dual_cndmask_b32 v14, v14, v24
	v_fmamk_f64 v[16:17], v[14:15], 0x3fa059859fea6a70, v[20:21]
	s_delay_alu instid0(VALU_DEP_1) | instskip(NEXT) | instid1(VALU_DEP_1)
	v_fmaak_f64 v[16:17], v[14:15], v[16:17], 0x3f94052137024d6a
	v_fmaak_f64 v[16:17], v[14:15], v[16:17], 0x3f7ab3a098a70509
	s_delay_alu instid0(VALU_DEP_1) | instskip(NEXT) | instid1(VALU_DEP_1)
	v_fmaak_f64 v[16:17], v[14:15], v[16:17], 0x3f88ed60a300c8d2
	v_fmaak_f64 v[16:17], v[14:15], v[16:17], 0x3f8c6fa84b77012b
	;; [unrolled: 3-line block ×5, first 2 shown]
	s_delay_alu instid0(VALU_DEP_1) | instskip(NEXT) | instid1(VALU_DEP_1)
	v_mul_f64_e32 v[16:17], v[14:15], v[16:17]
	v_fma_f64 v[14:15], |v[2:3]|, v[16:17], |v[2:3]|
	s_and_saveexec_b32 s7, vcc_lo
	s_cbranch_execz .LBB59_39
; %bb.38:                               ;   in Loop: Header=BB59_33 Depth=1
	v_rsq_f64_e32 v[14:15], v[24:25]
	v_cmp_eq_f64_e32 vcc_lo, 0, v[24:25]
	s_delay_alu instid0(TRANS32_DEP_1) | instskip(SKIP_1) | instid1(VALU_DEP_1)
	v_mul_f64_e32 v[26:27], v[24:25], v[14:15]
	v_mul_f64_e32 v[14:15], 0.5, v[14:15]
	v_fma_f64 v[28:29], -v[14:15], v[26:27], 0.5
	s_delay_alu instid0(VALU_DEP_1) | instskip(SKIP_1) | instid1(VALU_DEP_2)
	v_fmac_f64_e32 v[26:27], v[26:27], v[28:29]
	v_fmac_f64_e32 v[14:15], v[14:15], v[28:29]
	v_fma_f64 v[28:29], -v[26:27], v[26:27], v[24:25]
	s_delay_alu instid0(VALU_DEP_1) | instskip(NEXT) | instid1(VALU_DEP_1)
	v_fmac_f64_e32 v[26:27], v[28:29], v[14:15]
	v_dual_cndmask_b32 v15, v27, v25 :: v_dual_cndmask_b32 v14, v26, v24
	s_delay_alu instid0(VALU_DEP_1) | instskip(SKIP_1) | instid1(VALU_DEP_2)
	v_add_f64_e32 v[26:27], v[14:15], v[14:15]
	v_mul_f64_e32 v[28:29], v[14:15], v[14:15]
	v_rcp_f64_e32 v[30:31], v[26:27]
	s_delay_alu instid0(VALU_DEP_1) | instskip(SKIP_1) | instid1(VALU_DEP_2)
	v_add_f64_e64 v[32:33], v[24:25], -v[28:29]
	v_fma_f64 v[36:37], v[14:15], v[14:15], -v[28:29]
	v_add_f64_e64 v[24:25], v[24:25], -v[32:33]
	s_delay_alu instid0(TRANS32_DEP_1) | instskip(NEXT) | instid1(VALU_DEP_2)
	v_fma_f64 v[34:35], -v[26:27], v[30:31], 1.0
	v_add_f64_e64 v[24:25], v[24:25], -v[28:29]
	s_delay_alu instid0(VALU_DEP_2) | instskip(NEXT) | instid1(VALU_DEP_2)
	v_fmac_f64_e32 v[30:31], v[34:35], v[30:31]
	v_add_f64_e64 v[24:25], v[24:25], -v[36:37]
	s_delay_alu instid0(VALU_DEP_2) | instskip(NEXT) | instid1(VALU_DEP_2)
	v_fma_f64 v[28:29], -v[26:27], v[30:31], 1.0
	v_add_f64_e32 v[24:25], v[32:33], v[24:25]
	s_delay_alu instid0(VALU_DEP_2) | instskip(NEXT) | instid1(VALU_DEP_1)
	v_fmac_f64_e32 v[30:31], v[28:29], v[30:31]
	v_mul_f64_e32 v[28:29], v[24:25], v[30:31]
	s_delay_alu instid0(VALU_DEP_1) | instskip(NEXT) | instid1(VALU_DEP_1)
	v_fma_f64 v[24:25], -v[26:27], v[28:29], v[24:25]
	v_fmac_f64_e32 v[28:29], v[24:25], v[30:31]
	s_delay_alu instid0(VALU_DEP_1) | instskip(NEXT) | instid1(VALU_DEP_2)
	v_cndmask_b32_e64 v25, v29, 0, vcc_lo
	v_cndmask_b32_e64 v24, v28, 0, vcc_lo
	v_cmp_neq_f64_e64 vcc_lo, |v[2:3]|, 1.0
	s_delay_alu instid0(VALU_DEP_2) | instskip(NEXT) | instid1(VALU_DEP_1)
	v_add_f64_e32 v[26:27], v[14:15], v[24:25]
	v_add_f64_e64 v[14:15], v[26:27], -v[14:15]
	v_mul_f64_e32 v[28:29], v[16:17], v[26:27]
	s_delay_alu instid0(VALU_DEP_2) | instskip(NEXT) | instid1(VALU_DEP_2)
	v_add_f64_e64 v[14:15], v[24:25], -v[14:15]
	v_fma_f64 v[24:25], v[26:27], v[16:17], -v[28:29]
	s_delay_alu instid0(VALU_DEP_1) | instskip(NEXT) | instid1(VALU_DEP_1)
	v_fmac_f64_e32 v[24:25], v[14:15], v[16:17]
	v_add_f64_e32 v[16:17], v[28:29], v[24:25]
	s_delay_alu instid0(VALU_DEP_1) | instskip(SKIP_1) | instid1(VALU_DEP_2)
	v_add_f64_e32 v[30:31], v[26:27], v[16:17]
	v_add_f64_e64 v[28:29], v[16:17], -v[28:29]
	v_add_f64_e64 v[26:27], v[30:31], -v[26:27]
	s_delay_alu instid0(VALU_DEP_2) | instskip(NEXT) | instid1(VALU_DEP_2)
	v_add_f64_e64 v[24:25], v[24:25], -v[28:29]
	v_add_f64_e64 v[16:17], v[16:17], -v[26:27]
	s_delay_alu instid0(VALU_DEP_2) | instskip(NEXT) | instid1(VALU_DEP_1)
	v_add_f64_e32 v[14:15], v[14:15], v[24:25]
	v_add_f64_e32 v[14:15], v[14:15], v[16:17]
	s_delay_alu instid0(VALU_DEP_1) | instskip(NEXT) | instid1(VALU_DEP_1)
	v_add_f64_e32 v[16:17], v[30:31], v[14:15]
	v_add_f64_e64 v[24:25], -v[16:17], s[0:1]
	v_add_f64_e64 v[28:29], v[16:17], -v[30:31]
	s_delay_alu instid0(VALU_DEP_2) | instskip(NEXT) | instid1(VALU_DEP_2)
	v_add_f64_e64 v[26:27], -v[24:25], s[0:1]
	v_add_f64_e64 v[14:15], v[28:29], -v[14:15]
	s_delay_alu instid0(VALU_DEP_2) | instskip(NEXT) | instid1(VALU_DEP_1)
	v_add_f64_e64 v[16:17], v[26:27], -v[16:17]
	v_add_f64_e32 v[16:17], 0x3c81a62633145c07, v[16:17]
	s_delay_alu instid0(VALU_DEP_1) | instskip(NEXT) | instid1(VALU_DEP_1)
	v_add_f64_e32 v[14:15], v[14:15], v[16:17]
	v_add_f64_e32 v[14:15], v[24:25], v[14:15]
	s_delay_alu instid0(VALU_DEP_1) | instskip(NEXT) | instid1(VALU_DEP_1)
	v_add_f64_e32 v[14:15], v[14:15], v[14:15]
	v_cndmask_b32_e32 v15, 0x3ff921fb, v15, vcc_lo
	s_delay_alu instid0(VALU_DEP_2)
	v_cndmask_b32_e32 v14, 0x54442d18, v14, vcc_lo
.LBB59_39:                              ;   in Loop: Header=BB59_33 Depth=1
	s_or_b32 exec_lo, exec_lo, s7
	v_fma_f64 v[26:27], |v[4:5]|, -0.5, 0.5
	v_mul_f64_e32 v[16:17], v[4:5], v[4:5]
	v_cmp_ge_f64_e64 vcc_lo, |v[4:5]|, 0.5
	s_delay_alu instid0(VALU_DEP_2) | instskip(NEXT) | instid1(VALU_DEP_1)
	v_dual_cndmask_b32 v17, v17, v27 :: v_dual_cndmask_b32 v16, v16, v26
	v_fmamk_f64 v[24:25], v[16:17], 0x3fa059859fea6a70, v[20:21]
	s_delay_alu instid0(VALU_DEP_1) | instskip(NEXT) | instid1(VALU_DEP_1)
	v_fmaak_f64 v[24:25], v[16:17], v[24:25], 0x3f94052137024d6a
	v_fmaak_f64 v[24:25], v[16:17], v[24:25], 0x3f7ab3a098a70509
	s_delay_alu instid0(VALU_DEP_1) | instskip(NEXT) | instid1(VALU_DEP_1)
	v_fmaak_f64 v[24:25], v[16:17], v[24:25], 0x3f88ed60a300c8d2
	v_fmaak_f64 v[24:25], v[16:17], v[24:25], 0x3f8c6fa84b77012b
	s_delay_alu instid0(VALU_DEP_1) | instskip(NEXT) | instid1(VALU_DEP_1)
	v_fmaak_f64 v[24:25], v[16:17], v[24:25], 0x3f91c6c111dccb70
	v_fmaak_f64 v[24:25], v[16:17], v[24:25], 0x3f96e89f0a0adacf
	s_delay_alu instid0(VALU_DEP_1) | instskip(NEXT) | instid1(VALU_DEP_1)
	v_fmaak_f64 v[24:25], v[16:17], v[24:25], 0x3f9f1c72c668963f
	v_fmaak_f64 v[24:25], v[16:17], v[24:25], 0x3fa6db6db41ce4bd
	s_delay_alu instid0(VALU_DEP_1) | instskip(NEXT) | instid1(VALU_DEP_1)
	v_fmaak_f64 v[24:25], v[16:17], v[24:25], 0x3fb333333336fd5b
	v_fmaak_f64 v[24:25], v[16:17], v[24:25], 0x3fc5555555555380
	s_delay_alu instid0(VALU_DEP_1) | instskip(NEXT) | instid1(VALU_DEP_1)
	v_mul_f64_e32 v[24:25], v[16:17], v[24:25]
	v_fma_f64 v[16:17], |v[4:5]|, v[24:25], |v[4:5]|
	s_and_saveexec_b32 s7, vcc_lo
	s_cbranch_execz .LBB59_32
; %bb.40:                               ;   in Loop: Header=BB59_33 Depth=1
	v_rsq_f64_e32 v[16:17], v[26:27]
	v_cmp_eq_f64_e32 vcc_lo, 0, v[26:27]
	s_delay_alu instid0(TRANS32_DEP_1) | instskip(SKIP_1) | instid1(VALU_DEP_1)
	v_mul_f64_e32 v[28:29], v[26:27], v[16:17]
	v_mul_f64_e32 v[16:17], 0.5, v[16:17]
	v_fma_f64 v[30:31], -v[16:17], v[28:29], 0.5
	s_delay_alu instid0(VALU_DEP_1) | instskip(SKIP_1) | instid1(VALU_DEP_2)
	v_fmac_f64_e32 v[28:29], v[28:29], v[30:31]
	v_fmac_f64_e32 v[16:17], v[16:17], v[30:31]
	v_fma_f64 v[30:31], -v[28:29], v[28:29], v[26:27]
	s_delay_alu instid0(VALU_DEP_1) | instskip(NEXT) | instid1(VALU_DEP_1)
	v_fmac_f64_e32 v[28:29], v[30:31], v[16:17]
	v_dual_cndmask_b32 v17, v29, v27 :: v_dual_cndmask_b32 v16, v28, v26
	s_delay_alu instid0(VALU_DEP_1) | instskip(SKIP_1) | instid1(VALU_DEP_2)
	v_add_f64_e32 v[28:29], v[16:17], v[16:17]
	v_mul_f64_e32 v[30:31], v[16:17], v[16:17]
	v_rcp_f64_e32 v[32:33], v[28:29]
	s_delay_alu instid0(VALU_DEP_1) | instskip(SKIP_1) | instid1(VALU_DEP_2)
	v_add_f64_e64 v[34:35], v[26:27], -v[30:31]
	v_fma_f64 v[38:39], v[16:17], v[16:17], -v[30:31]
	v_add_f64_e64 v[26:27], v[26:27], -v[34:35]
	s_delay_alu instid0(TRANS32_DEP_1) | instskip(NEXT) | instid1(VALU_DEP_2)
	v_fma_f64 v[36:37], -v[28:29], v[32:33], 1.0
	v_add_f64_e64 v[26:27], v[26:27], -v[30:31]
	s_delay_alu instid0(VALU_DEP_2) | instskip(NEXT) | instid1(VALU_DEP_2)
	v_fmac_f64_e32 v[32:33], v[36:37], v[32:33]
	v_add_f64_e64 v[26:27], v[26:27], -v[38:39]
	s_delay_alu instid0(VALU_DEP_2) | instskip(NEXT) | instid1(VALU_DEP_2)
	v_fma_f64 v[30:31], -v[28:29], v[32:33], 1.0
	v_add_f64_e32 v[26:27], v[34:35], v[26:27]
	s_delay_alu instid0(VALU_DEP_2) | instskip(NEXT) | instid1(VALU_DEP_1)
	v_fmac_f64_e32 v[32:33], v[30:31], v[32:33]
	v_mul_f64_e32 v[30:31], v[26:27], v[32:33]
	s_delay_alu instid0(VALU_DEP_1) | instskip(NEXT) | instid1(VALU_DEP_1)
	v_fma_f64 v[26:27], -v[28:29], v[30:31], v[26:27]
	v_fmac_f64_e32 v[30:31], v[26:27], v[32:33]
	s_delay_alu instid0(VALU_DEP_1) | instskip(NEXT) | instid1(VALU_DEP_2)
	v_cndmask_b32_e64 v27, v31, 0, vcc_lo
	v_cndmask_b32_e64 v26, v30, 0, vcc_lo
	v_cmp_neq_f64_e64 vcc_lo, |v[4:5]|, 1.0
	s_delay_alu instid0(VALU_DEP_2) | instskip(NEXT) | instid1(VALU_DEP_1)
	v_add_f64_e32 v[28:29], v[16:17], v[26:27]
	v_add_f64_e64 v[16:17], v[28:29], -v[16:17]
	v_mul_f64_e32 v[30:31], v[24:25], v[28:29]
	s_delay_alu instid0(VALU_DEP_2) | instskip(NEXT) | instid1(VALU_DEP_2)
	v_add_f64_e64 v[16:17], v[26:27], -v[16:17]
	v_fma_f64 v[26:27], v[28:29], v[24:25], -v[30:31]
	s_delay_alu instid0(VALU_DEP_1) | instskip(NEXT) | instid1(VALU_DEP_1)
	v_fmac_f64_e32 v[26:27], v[16:17], v[24:25]
	v_add_f64_e32 v[24:25], v[30:31], v[26:27]
	s_delay_alu instid0(VALU_DEP_1) | instskip(SKIP_1) | instid1(VALU_DEP_2)
	v_add_f64_e32 v[32:33], v[28:29], v[24:25]
	v_add_f64_e64 v[30:31], v[24:25], -v[30:31]
	v_add_f64_e64 v[28:29], v[32:33], -v[28:29]
	s_delay_alu instid0(VALU_DEP_2) | instskip(NEXT) | instid1(VALU_DEP_2)
	v_add_f64_e64 v[26:27], v[26:27], -v[30:31]
	v_add_f64_e64 v[24:25], v[24:25], -v[28:29]
	s_delay_alu instid0(VALU_DEP_2) | instskip(NEXT) | instid1(VALU_DEP_1)
	v_add_f64_e32 v[16:17], v[16:17], v[26:27]
	v_add_f64_e32 v[16:17], v[16:17], v[24:25]
	s_delay_alu instid0(VALU_DEP_1) | instskip(NEXT) | instid1(VALU_DEP_1)
	v_add_f64_e32 v[24:25], v[32:33], v[16:17]
	v_add_f64_e64 v[26:27], -v[24:25], s[0:1]
	v_add_f64_e64 v[30:31], v[24:25], -v[32:33]
	s_delay_alu instid0(VALU_DEP_2) | instskip(NEXT) | instid1(VALU_DEP_2)
	v_add_f64_e64 v[28:29], -v[26:27], s[0:1]
	v_add_f64_e64 v[16:17], v[30:31], -v[16:17]
	s_delay_alu instid0(VALU_DEP_2) | instskip(NEXT) | instid1(VALU_DEP_1)
	v_add_f64_e64 v[24:25], v[28:29], -v[24:25]
	v_add_f64_e32 v[24:25], 0x3c81a62633145c07, v[24:25]
	s_delay_alu instid0(VALU_DEP_1) | instskip(NEXT) | instid1(VALU_DEP_1)
	v_add_f64_e32 v[16:17], v[16:17], v[24:25]
	v_add_f64_e32 v[16:17], v[26:27], v[16:17]
	s_delay_alu instid0(VALU_DEP_1) | instskip(NEXT) | instid1(VALU_DEP_1)
	v_add_f64_e32 v[16:17], v[16:17], v[16:17]
	v_cndmask_b32_e32 v17, 0x3ff921fb, v17, vcc_lo
	s_delay_alu instid0(VALU_DEP_2)
	v_cndmask_b32_e32 v16, 0x54442d18, v16, vcc_lo
	s_branch .LBB59_32
.LBB59_41:
	s_endpgm
	.section	.rodata,"a",@progbits
	.p2align	6, 0x0
	.amdhsa_kernel _ZN2at6native12_GLOBAL__N_125multi_tensor_apply_kernelINS1_18TensorListMetadataILi1EEENS1_14UnaryOpFunctorIdLi1ELi1ELi0EEEJNS0_4AsinIdEEEEEvT_T0_DpT1_
		.amdhsa_group_segment_fixed_size 0
		.amdhsa_private_segment_fixed_size 0
		.amdhsa_kernarg_size 3632
		.amdhsa_user_sgpr_count 2
		.amdhsa_user_sgpr_dispatch_ptr 0
		.amdhsa_user_sgpr_queue_ptr 0
		.amdhsa_user_sgpr_kernarg_segment_ptr 1
		.amdhsa_user_sgpr_dispatch_id 0
		.amdhsa_user_sgpr_kernarg_preload_length 0
		.amdhsa_user_sgpr_kernarg_preload_offset 0
		.amdhsa_user_sgpr_private_segment_size 0
		.amdhsa_wavefront_size32 1
		.amdhsa_uses_dynamic_stack 0
		.amdhsa_enable_private_segment 0
		.amdhsa_system_sgpr_workgroup_id_x 1
		.amdhsa_system_sgpr_workgroup_id_y 0
		.amdhsa_system_sgpr_workgroup_id_z 0
		.amdhsa_system_sgpr_workgroup_info 0
		.amdhsa_system_vgpr_workitem_id 0
		.amdhsa_next_free_vgpr 54
		.amdhsa_next_free_sgpr 25
		.amdhsa_named_barrier_count 0
		.amdhsa_reserve_vcc 1
		.amdhsa_float_round_mode_32 0
		.amdhsa_float_round_mode_16_64 0
		.amdhsa_float_denorm_mode_32 3
		.amdhsa_float_denorm_mode_16_64 3
		.amdhsa_fp16_overflow 0
		.amdhsa_memory_ordered 1
		.amdhsa_forward_progress 1
		.amdhsa_inst_pref_size 50
		.amdhsa_round_robin_scheduling 0
		.amdhsa_exception_fp_ieee_invalid_op 0
		.amdhsa_exception_fp_denorm_src 0
		.amdhsa_exception_fp_ieee_div_zero 0
		.amdhsa_exception_fp_ieee_overflow 0
		.amdhsa_exception_fp_ieee_underflow 0
		.amdhsa_exception_fp_ieee_inexact 0
		.amdhsa_exception_int_div_zero 0
	.end_amdhsa_kernel
	.section	.text._ZN2at6native12_GLOBAL__N_125multi_tensor_apply_kernelINS1_18TensorListMetadataILi1EEENS1_14UnaryOpFunctorIdLi1ELi1ELi0EEEJNS0_4AsinIdEEEEEvT_T0_DpT1_,"axG",@progbits,_ZN2at6native12_GLOBAL__N_125multi_tensor_apply_kernelINS1_18TensorListMetadataILi1EEENS1_14UnaryOpFunctorIdLi1ELi1ELi0EEEJNS0_4AsinIdEEEEEvT_T0_DpT1_,comdat
.Lfunc_end59:
	.size	_ZN2at6native12_GLOBAL__N_125multi_tensor_apply_kernelINS1_18TensorListMetadataILi1EEENS1_14UnaryOpFunctorIdLi1ELi1ELi0EEEJNS0_4AsinIdEEEEEvT_T0_DpT1_, .Lfunc_end59-_ZN2at6native12_GLOBAL__N_125multi_tensor_apply_kernelINS1_18TensorListMetadataILi1EEENS1_14UnaryOpFunctorIdLi1ELi1ELi0EEEJNS0_4AsinIdEEEEEvT_T0_DpT1_
                                        ; -- End function
	.set _ZN2at6native12_GLOBAL__N_125multi_tensor_apply_kernelINS1_18TensorListMetadataILi1EEENS1_14UnaryOpFunctorIdLi1ELi1ELi0EEEJNS0_4AsinIdEEEEEvT_T0_DpT1_.num_vgpr, 54
	.set _ZN2at6native12_GLOBAL__N_125multi_tensor_apply_kernelINS1_18TensorListMetadataILi1EEENS1_14UnaryOpFunctorIdLi1ELi1ELi0EEEJNS0_4AsinIdEEEEEvT_T0_DpT1_.num_agpr, 0
	.set _ZN2at6native12_GLOBAL__N_125multi_tensor_apply_kernelINS1_18TensorListMetadataILi1EEENS1_14UnaryOpFunctorIdLi1ELi1ELi0EEEJNS0_4AsinIdEEEEEvT_T0_DpT1_.numbered_sgpr, 25
	.set _ZN2at6native12_GLOBAL__N_125multi_tensor_apply_kernelINS1_18TensorListMetadataILi1EEENS1_14UnaryOpFunctorIdLi1ELi1ELi0EEEJNS0_4AsinIdEEEEEvT_T0_DpT1_.num_named_barrier, 0
	.set _ZN2at6native12_GLOBAL__N_125multi_tensor_apply_kernelINS1_18TensorListMetadataILi1EEENS1_14UnaryOpFunctorIdLi1ELi1ELi0EEEJNS0_4AsinIdEEEEEvT_T0_DpT1_.private_seg_size, 0
	.set _ZN2at6native12_GLOBAL__N_125multi_tensor_apply_kernelINS1_18TensorListMetadataILi1EEENS1_14UnaryOpFunctorIdLi1ELi1ELi0EEEJNS0_4AsinIdEEEEEvT_T0_DpT1_.uses_vcc, 1
	.set _ZN2at6native12_GLOBAL__N_125multi_tensor_apply_kernelINS1_18TensorListMetadataILi1EEENS1_14UnaryOpFunctorIdLi1ELi1ELi0EEEJNS0_4AsinIdEEEEEvT_T0_DpT1_.uses_flat_scratch, 0
	.set _ZN2at6native12_GLOBAL__N_125multi_tensor_apply_kernelINS1_18TensorListMetadataILi1EEENS1_14UnaryOpFunctorIdLi1ELi1ELi0EEEJNS0_4AsinIdEEEEEvT_T0_DpT1_.has_dyn_sized_stack, 0
	.set _ZN2at6native12_GLOBAL__N_125multi_tensor_apply_kernelINS1_18TensorListMetadataILi1EEENS1_14UnaryOpFunctorIdLi1ELi1ELi0EEEJNS0_4AsinIdEEEEEvT_T0_DpT1_.has_recursion, 0
	.set _ZN2at6native12_GLOBAL__N_125multi_tensor_apply_kernelINS1_18TensorListMetadataILi1EEENS1_14UnaryOpFunctorIdLi1ELi1ELi0EEEJNS0_4AsinIdEEEEEvT_T0_DpT1_.has_indirect_call, 0
	.section	.AMDGPU.csdata,"",@progbits
; Kernel info:
; codeLenInByte = 6320
; TotalNumSgprs: 27
; NumVgprs: 54
; ScratchSize: 0
; MemoryBound: 0
; FloatMode: 240
; IeeeMode: 1
; LDSByteSize: 0 bytes/workgroup (compile time only)
; SGPRBlocks: 0
; VGPRBlocks: 3
; NumSGPRsForWavesPerEU: 27
; NumVGPRsForWavesPerEU: 54
; NamedBarCnt: 0
; Occupancy: 16
; WaveLimiterHint : 0
; COMPUTE_PGM_RSRC2:SCRATCH_EN: 0
; COMPUTE_PGM_RSRC2:USER_SGPR: 2
; COMPUTE_PGM_RSRC2:TRAP_HANDLER: 0
; COMPUTE_PGM_RSRC2:TGID_X_EN: 1
; COMPUTE_PGM_RSRC2:TGID_Y_EN: 0
; COMPUTE_PGM_RSRC2:TGID_Z_EN: 0
; COMPUTE_PGM_RSRC2:TIDIG_COMP_CNT: 0
	.section	.text._ZN2at6native12_GLOBAL__N_125multi_tensor_apply_kernelINS1_18TensorListMetadataILi1EEENS1_14UnaryOpFunctorIfLi1ELi1ELi0EEEJNS0_4AsinIfEEEEEvT_T0_DpT1_,"axG",@progbits,_ZN2at6native12_GLOBAL__N_125multi_tensor_apply_kernelINS1_18TensorListMetadataILi1EEENS1_14UnaryOpFunctorIfLi1ELi1ELi0EEEJNS0_4AsinIfEEEEEvT_T0_DpT1_,comdat
	.globl	_ZN2at6native12_GLOBAL__N_125multi_tensor_apply_kernelINS1_18TensorListMetadataILi1EEENS1_14UnaryOpFunctorIfLi1ELi1ELi0EEEJNS0_4AsinIfEEEEEvT_T0_DpT1_ ; -- Begin function _ZN2at6native12_GLOBAL__N_125multi_tensor_apply_kernelINS1_18TensorListMetadataILi1EEENS1_14UnaryOpFunctorIfLi1ELi1ELi0EEEJNS0_4AsinIfEEEEEvT_T0_DpT1_
	.p2align	8
	.type	_ZN2at6native12_GLOBAL__N_125multi_tensor_apply_kernelINS1_18TensorListMetadataILi1EEENS1_14UnaryOpFunctorIfLi1ELi1ELi0EEEJNS0_4AsinIfEEEEEvT_T0_DpT1_,@function
_ZN2at6native12_GLOBAL__N_125multi_tensor_apply_kernelINS1_18TensorListMetadataILi1EEENS1_14UnaryOpFunctorIfLi1ELi1ELi0EEEJNS0_4AsinIfEEEEEvT_T0_DpT1_: ; @_ZN2at6native12_GLOBAL__N_125multi_tensor_apply_kernelINS1_18TensorListMetadataILi1EEENS1_14UnaryOpFunctorIfLi1ELi1ELi0EEEJNS0_4AsinIfEEEEEvT_T0_DpT1_
; %bb.0:
	s_bfe_u32 s2, ttmp6, 0x4000c
	s_and_b32 s3, ttmp6, 15
	s_add_co_i32 s2, s2, 1
	s_getreg_b32 s4, hwreg(HW_REG_IB_STS2, 6, 4)
	s_mul_i32 s2, ttmp9, s2
	s_delay_alu instid0(SALU_CYCLE_1)
	s_add_co_i32 s3, s3, s2
	s_cmp_eq_u32 s4, 0
	s_cselect_b32 s2, ttmp9, s3
	s_mov_b32 s3, 0
	s_load_u8 s8, s[0:1], s2 offset:0x6e0
	s_add_nc_u64 s[4:5], s[0:1], s[2:3]
	s_mul_u64 s[6:7], s[2:3], 3
	s_delay_alu instid0(SALU_CYCLE_1)
	s_add_nc_u64 s[4:5], s[4:5], s[6:7]
	s_load_b32 s10, s[4:5], 0x820
	s_wait_kmcnt 0x0
	s_clause 0x1
	s_load_b64 s[6:7], s[0:1], s8 offset:0x0 scale_offset
	s_load_b64 s[12:13], s[0:1], s8 offset:0x370 scale_offset
	s_ashr_i32 s11, s10, 31
	s_wait_kmcnt 0x0
	s_and_b64 s[4:5], s[6:7], 15
	s_and_b32 s2, s12, 3
	s_lshl_b64 s[8:9], s[10:11], 18
	s_or_b64 s[2:3], s[4:5], s[2:3]
	s_lshl_b64 s[4:5], s[10:11], 16
	s_cmp_eq_u64 s[2:3], 0
	s_sub_nc_u64 s[10:11], s[12:13], s[4:5]
	s_cbranch_scc1 .LBB60_21
; %bb.1:
	v_cmp_lt_i64_e64 s2, s[10:11], 1
	s_and_b32 vcc_lo, exec_lo, s2
	s_cbranch_vccnz .LBB60_20
; %bb.2:
	s_load_b32 s4, s[0:1], 0xd3c
	v_min_i64 v[2:3], 0x10000, s[10:11]
	v_min_u64 v[4:5], 0x10000, s[10:11]
	v_dual_mov_b32 v1, 0 :: v_dual_lshlrev_b32 v8, 2, v0
	s_mov_b32 s19, 0
	s_add_nc_u64 s[2:3], s[6:7], s[8:9]
	s_mov_b32 s5, s19
	s_delay_alu instid0(VALU_DEP_1)
	v_mov_b32_e32 v15, v1
	s_mov_b32 s17, s19
	s_mov_b32 s13, s19
	;; [unrolled: 1-line block ×3, first 2 shown]
	s_mov_b64 s[20:21], 0
	s_wait_kmcnt 0x0
	s_and_b32 s18, s4, 0xffff
	s_delay_alu instid0(SALU_CYCLE_1)
	v_add_nc_u64_e32 v[6:7], s[18:19], v[0:1]
	v_mov_b32_e32 v9, v1
	s_lshl_b32 s4, s18, 1
	s_mul_i32 s16, s18, 3
	v_add_nc_u64_e32 v[12:13], s[4:5], v[0:1]
	v_add_nc_u64_e32 v[10:11], s[16:17], v[0:1]
	s_lshl_b32 s12, s18, 2
	v_lshlrev_b32_e32 v14, 2, v6
	v_add_nc_u64_e32 v[8:9], s[2:3], v[8:9]
	s_lshl_b32 s14, s18, 4
	s_mul_u64 s[16:17], s[18:19], 12
	s_lshl_b32 s18, s18, 3
	v_add_nc_u64_e32 v[14:15], s[2:3], v[14:15]
	s_mov_b32 s5, 0x3d1c21a7
	s_branch .LBB60_4
.LBB60_3:                               ;   in Loop: Header=BB60_4 Depth=1
	s_wait_xcnt 0x0
	s_or_b32 exec_lo, exec_lo, s2
	s_add_nc_u64 s[20:21], s[20:21], s[12:13]
	v_add_nc_u64_e32 v[8:9], s[14:15], v[8:9]
	v_cmp_lt_i64_e32 vcc_lo, s[20:21], v[2:3]
	v_add_nc_u64_e32 v[14:15], s[14:15], v[14:15]
	s_cbranch_vccz .LBB60_20
.LBB60_4:                               ; =>This Inner Loop Header: Depth=1
	v_add_nc_u64_e32 v[16:17], s[20:21], v[0:1]
	s_wait_loadcnt 0x0
	v_mov_b32_e32 v23, 0
	s_delay_alu instid0(VALU_DEP_2)
	v_cmp_lt_u64_e64 s4, v[16:17], v[4:5]
	s_and_saveexec_b32 s2, s4
	s_cbranch_execz .LBB60_6
; %bb.5:                                ;   in Loop: Header=BB60_4 Depth=1
	global_load_b32 v23, v[8:9], off
.LBB60_6:                               ;   in Loop: Header=BB60_4 Depth=1
	s_wait_xcnt 0x0
	s_or_b32 exec_lo, exec_lo, s2
	v_add_nc_u64_e32 v[16:17], s[20:21], v[6:7]
	v_dual_mov_b32 v20, 0 :: v_dual_mov_b32 v22, 0
	s_delay_alu instid0(VALU_DEP_2)
	v_cmp_lt_u64_e64 s3, v[16:17], v[4:5]
	s_and_saveexec_b32 s2, s3
	s_cbranch_execz .LBB60_8
; %bb.7:                                ;   in Loop: Header=BB60_4 Depth=1
	global_load_b32 v22, v[14:15], off
.LBB60_8:                               ;   in Loop: Header=BB60_4 Depth=1
	s_wait_xcnt 0x0
	s_or_b32 exec_lo, exec_lo, s2
	v_add_nc_u64_e32 v[16:17], s[20:21], v[12:13]
	v_add_nc_u64_e32 v[18:19], s[18:19], v[8:9]
	s_delay_alu instid0(VALU_DEP_2)
	v_cmp_lt_u64_e64 s2, v[16:17], v[4:5]
	s_and_saveexec_b32 s22, s2
	s_cbranch_execz .LBB60_10
; %bb.9:                                ;   in Loop: Header=BB60_4 Depth=1
	global_load_b32 v20, v[18:19], off
.LBB60_10:                              ;   in Loop: Header=BB60_4 Depth=1
	s_wait_xcnt 0x0
	s_or_b32 exec_lo, exec_lo, s22
	v_add_nc_u64_e32 v[16:17], s[20:21], v[10:11]
	v_mov_b32_e32 v21, 0
	s_delay_alu instid0(VALU_DEP_2)
	v_cmp_lt_u64_e32 vcc_lo, v[16:17], v[4:5]
	v_add_nc_u64_e32 v[16:17], s[16:17], v[8:9]
	s_and_saveexec_b32 s22, vcc_lo
	s_cbranch_execnz .LBB60_15
; %bb.11:                               ;   in Loop: Header=BB60_4 Depth=1
	s_or_b32 exec_lo, exec_lo, s22
	s_and_saveexec_b32 s22, s4
	s_cbranch_execnz .LBB60_16
.LBB60_12:                              ;   in Loop: Header=BB60_4 Depth=1
	s_or_b32 exec_lo, exec_lo, s22
	s_and_saveexec_b32 s4, s3
	s_cbranch_execnz .LBB60_17
.LBB60_13:                              ;   in Loop: Header=BB60_4 Depth=1
	s_or_b32 exec_lo, exec_lo, s4
	s_and_saveexec_b32 s3, s2
	s_cbranch_execnz .LBB60_18
.LBB60_14:                              ;   in Loop: Header=BB60_4 Depth=1
	s_or_b32 exec_lo, exec_lo, s3
	s_and_saveexec_b32 s2, vcc_lo
	s_cbranch_execz .LBB60_3
	s_branch .LBB60_19
.LBB60_15:                              ;   in Loop: Header=BB60_4 Depth=1
	global_load_b32 v21, v[16:17], off
	s_wait_xcnt 0x0
	s_or_b32 exec_lo, exec_lo, s22
	s_and_saveexec_b32 s22, s4
	s_cbranch_execz .LBB60_12
.LBB60_16:                              ;   in Loop: Header=BB60_4 Depth=1
	s_wait_loadcnt 0x0
	v_fma_f32 v24, |v23|, -0.5, 0.5
	v_mul_f32_e32 v25, v23, v23
	v_cmp_ge_f32_e64 s4, |v23|, 0.5
	s_delay_alu instid0(VALU_DEP_1) | instskip(SKIP_1) | instid1(VALU_DEP_2)
	v_cndmask_b32_e64 v24, v25, v24, s4
	v_cmp_lt_f32_e64 s4, |v23|, 0.5
	v_fmaak_f32 v25, s5, v24, 0x3c5fc5da
	v_sqrt_f32_e32 v26, v24
	s_delay_alu instid0(VALU_DEP_1) | instskip(NEXT) | instid1(VALU_DEP_1)
	v_fmaak_f32 v25, v24, v25, 0x3d034c3c
	v_fmaak_f32 v25, v24, v25, 0x3d3641b1
	s_delay_alu instid0(VALU_DEP_1) | instskip(NEXT) | instid1(VALU_DEP_1)
	v_fmaak_f32 v25, v24, v25, 0x3d999bc8
	v_fmaak_f32 v25, v24, v25, 0x3e2aaaac
	s_delay_alu instid0(VALU_DEP_1)
	v_mul_f32_e32 v24, v24, v25
	s_delay_alu instid0(TRANS32_DEP_1) | instid1(VALU_DEP_1)
	v_fmac_f32_e32 v26, v26, v24
	s_delay_alu instid0(VALU_DEP_1) | instskip(NEXT) | instid1(VALU_DEP_1)
	v_add_f32_e32 v25, v26, v26
	v_sub_f32_e32 v25, 0x3fc90fdb, v25
	v_fma_f32 v24, |v23|, v24, |v23|
	s_delay_alu instid0(VALU_DEP_1) | instskip(NEXT) | instid1(VALU_DEP_1)
	v_cndmask_b32_e64 v24, v25, v24, s4
	v_bfi_b32 v23, 0x7fffffff, v24, v23
	global_store_b32 v[8:9], v23, off
	s_wait_xcnt 0x0
	s_or_b32 exec_lo, exec_lo, s22
	s_and_saveexec_b32 s4, s3
	s_cbranch_execz .LBB60_13
.LBB60_17:                              ;   in Loop: Header=BB60_4 Depth=1
	s_wait_loadcnt 0x0
	v_fma_f32 v23, |v22|, -0.5, 0.5
	v_mul_f32_e32 v24, v22, v22
	v_cmp_ge_f32_e64 s3, |v22|, 0.5
	s_delay_alu instid0(VALU_DEP_1) | instskip(SKIP_1) | instid1(VALU_DEP_2)
	v_cndmask_b32_e64 v23, v24, v23, s3
	v_cmp_lt_f32_e64 s3, |v22|, 0.5
	v_fmaak_f32 v24, s5, v23, 0x3c5fc5da
	v_sqrt_f32_e32 v25, v23
	s_delay_alu instid0(VALU_DEP_1) | instskip(NEXT) | instid1(VALU_DEP_1)
	v_fmaak_f32 v24, v23, v24, 0x3d034c3c
	v_fmaak_f32 v24, v23, v24, 0x3d3641b1
	s_delay_alu instid0(VALU_DEP_1) | instskip(NEXT) | instid1(VALU_DEP_1)
	v_fmaak_f32 v24, v23, v24, 0x3d999bc8
	v_fmaak_f32 v24, v23, v24, 0x3e2aaaac
	s_delay_alu instid0(VALU_DEP_1)
	v_mul_f32_e32 v23, v23, v24
	s_delay_alu instid0(TRANS32_DEP_1) | instid1(VALU_DEP_1)
	v_fmac_f32_e32 v25, v25, v23
	s_delay_alu instid0(VALU_DEP_1) | instskip(NEXT) | instid1(VALU_DEP_1)
	v_add_f32_e32 v24, v25, v25
	v_sub_f32_e32 v24, 0x3fc90fdb, v24
	v_fma_f32 v23, |v22|, v23, |v22|
	s_delay_alu instid0(VALU_DEP_1) | instskip(NEXT) | instid1(VALU_DEP_1)
	v_cndmask_b32_e64 v23, v24, v23, s3
	v_bfi_b32 v22, 0x7fffffff, v23, v22
	global_store_b32 v[14:15], v22, off
	s_wait_xcnt 0x0
	s_or_b32 exec_lo, exec_lo, s4
	s_and_saveexec_b32 s3, s2
	s_cbranch_execz .LBB60_14
.LBB60_18:                              ;   in Loop: Header=BB60_4 Depth=1
	s_wait_loadcnt 0x0
	v_fma_f32 v22, |v20|, -0.5, 0.5
	v_mul_f32_e32 v23, v20, v20
	v_cmp_ge_f32_e64 s2, |v20|, 0.5
	s_delay_alu instid0(VALU_DEP_1) | instskip(SKIP_1) | instid1(VALU_DEP_2)
	v_cndmask_b32_e64 v22, v23, v22, s2
	v_cmp_lt_f32_e64 s2, |v20|, 0.5
	v_sqrt_f32_e32 v24, v22
	v_fmaak_f32 v23, s5, v22, 0x3c5fc5da
	s_delay_alu instid0(VALU_DEP_1) | instskip(NEXT) | instid1(VALU_DEP_1)
	v_fmaak_f32 v23, v22, v23, 0x3d034c3c
	v_fmaak_f32 v23, v22, v23, 0x3d3641b1
	s_delay_alu instid0(VALU_DEP_1) | instskip(NEXT) | instid1(VALU_DEP_1)
	v_fmaak_f32 v23, v22, v23, 0x3d999bc8
	v_fmaak_f32 v23, v22, v23, 0x3e2aaaac
	s_delay_alu instid0(VALU_DEP_1) | instskip(NEXT) | instid1(VALU_DEP_1)
	v_mul_f32_e32 v22, v22, v23
	v_fmac_f32_e32 v24, v24, v22
	s_delay_alu instid0(VALU_DEP_1) | instskip(NEXT) | instid1(VALU_DEP_1)
	v_add_f32_e32 v23, v24, v24
	v_sub_f32_e32 v23, 0x3fc90fdb, v23
	v_fma_f32 v22, |v20|, v22, |v20|
	s_delay_alu instid0(VALU_DEP_1) | instskip(NEXT) | instid1(VALU_DEP_1)
	v_cndmask_b32_e64 v22, v23, v22, s2
	v_bfi_b32 v20, 0x7fffffff, v22, v20
	global_store_b32 v[18:19], v20, off
	s_wait_xcnt 0x0
	s_or_b32 exec_lo, exec_lo, s3
	s_and_saveexec_b32 s2, vcc_lo
	s_cbranch_execz .LBB60_3
.LBB60_19:                              ;   in Loop: Header=BB60_4 Depth=1
	s_wait_loadcnt 0x0
	v_fma_f32 v18, |v21|, -0.5, 0.5
	v_mul_f32_e32 v19, v21, v21
	v_cmp_ge_f32_e64 vcc_lo, |v21|, 0.5
	s_delay_alu instid0(VALU_DEP_2) | instskip(SKIP_1) | instid1(VALU_DEP_2)
	v_cndmask_b32_e32 v18, v19, v18, vcc_lo
	v_cmp_lt_f32_e64 vcc_lo, |v21|, 0.5
	v_fmaak_f32 v19, s5, v18, 0x3c5fc5da
	v_sqrt_f32_e32 v20, v18
	s_delay_alu instid0(VALU_DEP_1) | instskip(NEXT) | instid1(VALU_DEP_1)
	v_fmaak_f32 v19, v18, v19, 0x3d034c3c
	v_fmaak_f32 v19, v18, v19, 0x3d3641b1
	s_delay_alu instid0(VALU_DEP_1) | instskip(NEXT) | instid1(VALU_DEP_1)
	v_fmaak_f32 v19, v18, v19, 0x3d999bc8
	v_fmaak_f32 v19, v18, v19, 0x3e2aaaac
	s_delay_alu instid0(VALU_DEP_1)
	v_mul_f32_e32 v18, v18, v19
	s_delay_alu instid0(TRANS32_DEP_1) | instid1(VALU_DEP_1)
	v_fmac_f32_e32 v20, v20, v18
	s_delay_alu instid0(VALU_DEP_1) | instskip(NEXT) | instid1(VALU_DEP_1)
	v_add_f32_e32 v19, v20, v20
	v_sub_f32_e32 v19, 0x3fc90fdb, v19
	v_fma_f32 v18, |v21|, v18, |v21|
	s_delay_alu instid0(VALU_DEP_1) | instskip(NEXT) | instid1(VALU_DEP_1)
	v_cndmask_b32_e32 v18, v19, v18, vcc_lo
	v_bfi_b32 v18, 0x7fffffff, v18, v21
	global_store_b32 v[16:17], v18, off
	s_branch .LBB60_3
.LBB60_20:
	s_cbranch_execz .LBB60_22
	s_branch .LBB60_25
.LBB60_21:
.LBB60_22:
	v_min_i64 v[2:3], 0x10000, s[10:11]
	v_dual_mov_b32 v5, 0 :: v_dual_lshlrev_b32 v4, 2, v0
	s_mov_b32 s2, exec_lo
	s_delay_alu instid0(VALU_DEP_1)
	v_cmpx_lt_i64_e64 v[4:5], v[2:3]
	s_cbranch_execz .LBB60_25
; %bb.23:
	s_load_b32 s0, s[0:1], 0xd3c
	v_dual_mov_b32 v1, v5 :: v_dual_lshlrev_b32 v4, 4, v0
	s_add_nc_u64 s[2:3], s[6:7], s[8:9]
	s_wait_xcnt 0x0
	s_mov_b32 s1, 0
	s_mov_b32 s4, 0x3d1c21a7
	v_add_nc_u64_e32 v[4:5], s[2:3], v[4:5]
	s_mov_b32 s2, 0x3c5fc5da
	s_mov_b32 s6, 0x3d034c3c
	;; [unrolled: 1-line block ×6, first 2 shown]
	v_add_nc_u64_e32 v[4:5], 8, v[4:5]
	s_mov_b32 s17, s1
	s_mov_b32 s3, s1
	s_wait_kmcnt 0x0
	s_and_b32 s0, s0, 0xffff
	s_delay_alu instid0(SALU_CYCLE_1)
	s_lshl_b32 s16, s0, 4
.LBB60_24:                              ; =>This Inner Loop Header: Depth=1
	global_load_b128 v[6:9], v[4:5], off offset:-8
	v_add_nc_u64_e32 v[0:1], s[0:1], v[0:1]
	s_wait_loadcnt 0x0
	v_and_b32_e32 v11, 0x7fffffff, v7
	v_and_b32_e32 v10, 0x7fffffff, v6
	v_pk_mul_f32 v[14:15], v[6:7], v[6:7]
	v_cmp_ge_f32_e64 vcc_lo, |v7|, 0.5
	v_and_b32_e32 v13, 0x7fffffff, v9
	v_and_b32_e32 v12, 0x7fffffff, v8
	v_pk_fma_f32 v[16:17], v[10:11], -0.5, 0.5 op_sel_hi:[1,0,0]
	v_pk_mul_f32 v[18:19], v[8:9], v[8:9]
	s_delay_alu instid0(VALU_DEP_3) | instskip(NEXT) | instid1(VALU_DEP_3)
	v_pk_fma_f32 v[20:21], v[12:13], -0.5, 0.5 op_sel_hi:[1,0,0]
	v_cndmask_b32_e32 v15, v15, v17, vcc_lo
	v_cmp_ge_f32_e64 vcc_lo, |v6|, 0.5
	v_cndmask_b32_e32 v14, v14, v16, vcc_lo
	v_cmp_ge_f32_e64 vcc_lo, |v9|, 0.5
	s_delay_alu instid0(VALU_DEP_4) | instskip(NEXT) | instid1(VALU_DEP_2)
	v_sqrt_f32_e32 v23, v15
	v_sqrt_f32_e32 v22, v14
	v_cndmask_b32_e32 v17, v19, v21, vcc_lo
	v_cmp_ge_f32_e64 vcc_lo, |v8|, 0.5
	v_cndmask_b32_e32 v16, v18, v20, vcc_lo
	v_pk_fma_f32 v[18:19], v[14:15], s[4:5], s[2:3] op_sel_hi:[1,0,0]
	s_delay_alu instid0(VALU_DEP_4) | instskip(SKIP_1) | instid1(VALU_DEP_3)
	v_sqrt_f32_e32 v25, v17
	v_cmp_lt_f32_e64 vcc_lo, |v6|, 0.5
	v_pk_fma_f32 v[20:21], v[16:17], s[4:5], s[2:3] op_sel_hi:[1,0,0]
	s_delay_alu instid0(VALU_DEP_3) | instskip(SKIP_1) | instid1(VALU_DEP_2)
	v_pk_fma_f32 v[18:19], v[14:15], v[18:19], s[6:7] op_sel_hi:[1,1,0]
	v_sqrt_f32_e32 v24, v16
	v_pk_fma_f32 v[20:21], v[16:17], v[20:21], s[6:7] op_sel_hi:[1,1,0]
	s_delay_alu instid0(VALU_DEP_2) | instskip(NEXT) | instid1(VALU_DEP_2)
	v_pk_fma_f32 v[18:19], v[14:15], v[18:19], s[8:9] op_sel_hi:[1,1,0]
	v_pk_fma_f32 v[20:21], v[16:17], v[20:21], s[8:9] op_sel_hi:[1,1,0]
	s_delay_alu instid0(VALU_DEP_2) | instskip(NEXT) | instid1(VALU_DEP_2)
	v_pk_fma_f32 v[18:19], v[14:15], v[18:19], s[10:11] op_sel_hi:[1,1,0]
	;; [unrolled: 3-line block ×3, first 2 shown]
	v_pk_fma_f32 v[20:21], v[16:17], v[20:21], s[12:13] op_sel_hi:[1,1,0]
	s_delay_alu instid0(VALU_DEP_2) | instskip(NEXT) | instid1(VALU_DEP_2)
	v_pk_mul_f32 v[14:15], v[14:15], v[18:19]
	v_pk_mul_f32 v[16:17], v[16:17], v[20:21]
	s_delay_alu instid0(VALU_DEP_2) | instskip(SKIP_1) | instid1(VALU_DEP_3)
	v_pk_fma_f32 v[18:19], v[22:23], v[14:15], v[22:23]
	v_pk_fma_f32 v[10:11], v[10:11], v[14:15], v[10:11]
	;; [unrolled: 1-line block ×3, first 2 shown]
	s_delay_alu instid0(VALU_DEP_3) | instskip(SKIP_1) | instid1(VALU_DEP_3)
	v_pk_add_f32 v[18:19], v[18:19], v[18:19]
	v_pk_fma_f32 v[12:13], v[12:13], v[16:17], v[12:13]
	v_pk_add_f32 v[20:21], v[20:21], v[20:21]
	s_delay_alu instid0(VALU_DEP_3) | instskip(NEXT) | instid1(VALU_DEP_2)
	v_pk_add_f32 v[14:15], v[18:19], s[14:15] op_sel_hi:[1,0] neg_lo:[1,0] neg_hi:[1,0]
	v_pk_add_f32 v[16:17], v[20:21], s[14:15] op_sel_hi:[1,0] neg_lo:[1,0] neg_hi:[1,0]
	s_delay_alu instid0(VALU_DEP_2) | instskip(SKIP_1) | instid1(VALU_DEP_4)
	v_cndmask_b32_e32 v14, v14, v10, vcc_lo
	v_cmp_lt_f32_e64 vcc_lo, |v7|, 0.5
	v_cndmask_b32_e32 v15, v15, v11, vcc_lo
	v_cmp_lt_f32_e64 vcc_lo, |v9|, 0.5
	v_lshlrev_b64_e32 v[10:11], 2, v[0:1]
	v_bfi_b32 v6, 0x7fffffff, v14, v6
	s_delay_alu instid0(VALU_DEP_4) | instskip(SKIP_3) | instid1(VALU_DEP_3)
	v_bfi_b32 v7, 0x7fffffff, v15, v7
	v_cndmask_b32_e32 v13, v17, v13, vcc_lo
	v_cmp_lt_f32_e64 vcc_lo, |v8|, 0.5
	v_cndmask_b32_e32 v12, v16, v12, vcc_lo
	v_bfi_b32 v9, 0x7fffffff, v13, v9
	v_cmp_ge_i64_e32 vcc_lo, v[10:11], v[2:3]
	s_delay_alu instid0(VALU_DEP_3)
	v_bfi_b32 v8, 0x7fffffff, v12, v8
	s_or_b32 s3, vcc_lo, s3
	global_store_b128 v[4:5], v[6:9], off offset:-8
	s_wait_xcnt 0x0
	v_add_nc_u64_e32 v[4:5], s[16:17], v[4:5]
	s_and_not1_b32 exec_lo, exec_lo, s3
	s_cbranch_execnz .LBB60_24
.LBB60_25:
	s_endpgm
	.section	.rodata,"a",@progbits
	.p2align	6, 0x0
	.amdhsa_kernel _ZN2at6native12_GLOBAL__N_125multi_tensor_apply_kernelINS1_18TensorListMetadataILi1EEENS1_14UnaryOpFunctorIfLi1ELi1ELi0EEEJNS0_4AsinIfEEEEEvT_T0_DpT1_
		.amdhsa_group_segment_fixed_size 0
		.amdhsa_private_segment_fixed_size 0
		.amdhsa_kernarg_size 3632
		.amdhsa_user_sgpr_count 2
		.amdhsa_user_sgpr_dispatch_ptr 0
		.amdhsa_user_sgpr_queue_ptr 0
		.amdhsa_user_sgpr_kernarg_segment_ptr 1
		.amdhsa_user_sgpr_dispatch_id 0
		.amdhsa_user_sgpr_kernarg_preload_length 0
		.amdhsa_user_sgpr_kernarg_preload_offset 0
		.amdhsa_user_sgpr_private_segment_size 0
		.amdhsa_wavefront_size32 1
		.amdhsa_uses_dynamic_stack 0
		.amdhsa_enable_private_segment 0
		.amdhsa_system_sgpr_workgroup_id_x 1
		.amdhsa_system_sgpr_workgroup_id_y 0
		.amdhsa_system_sgpr_workgroup_id_z 0
		.amdhsa_system_sgpr_workgroup_info 0
		.amdhsa_system_vgpr_workitem_id 0
		.amdhsa_next_free_vgpr 27
		.amdhsa_next_free_sgpr 23
		.amdhsa_named_barrier_count 0
		.amdhsa_reserve_vcc 1
		.amdhsa_float_round_mode_32 0
		.amdhsa_float_round_mode_16_64 0
		.amdhsa_float_denorm_mode_32 3
		.amdhsa_float_denorm_mode_16_64 3
		.amdhsa_fp16_overflow 0
		.amdhsa_memory_ordered 1
		.amdhsa_forward_progress 1
		.amdhsa_inst_pref_size 16
		.amdhsa_round_robin_scheduling 0
		.amdhsa_exception_fp_ieee_invalid_op 0
		.amdhsa_exception_fp_denorm_src 0
		.amdhsa_exception_fp_ieee_div_zero 0
		.amdhsa_exception_fp_ieee_overflow 0
		.amdhsa_exception_fp_ieee_underflow 0
		.amdhsa_exception_fp_ieee_inexact 0
		.amdhsa_exception_int_div_zero 0
	.end_amdhsa_kernel
	.section	.text._ZN2at6native12_GLOBAL__N_125multi_tensor_apply_kernelINS1_18TensorListMetadataILi1EEENS1_14UnaryOpFunctorIfLi1ELi1ELi0EEEJNS0_4AsinIfEEEEEvT_T0_DpT1_,"axG",@progbits,_ZN2at6native12_GLOBAL__N_125multi_tensor_apply_kernelINS1_18TensorListMetadataILi1EEENS1_14UnaryOpFunctorIfLi1ELi1ELi0EEEJNS0_4AsinIfEEEEEvT_T0_DpT1_,comdat
.Lfunc_end60:
	.size	_ZN2at6native12_GLOBAL__N_125multi_tensor_apply_kernelINS1_18TensorListMetadataILi1EEENS1_14UnaryOpFunctorIfLi1ELi1ELi0EEEJNS0_4AsinIfEEEEEvT_T0_DpT1_, .Lfunc_end60-_ZN2at6native12_GLOBAL__N_125multi_tensor_apply_kernelINS1_18TensorListMetadataILi1EEENS1_14UnaryOpFunctorIfLi1ELi1ELi0EEEJNS0_4AsinIfEEEEEvT_T0_DpT1_
                                        ; -- End function
	.set _ZN2at6native12_GLOBAL__N_125multi_tensor_apply_kernelINS1_18TensorListMetadataILi1EEENS1_14UnaryOpFunctorIfLi1ELi1ELi0EEEJNS0_4AsinIfEEEEEvT_T0_DpT1_.num_vgpr, 27
	.set _ZN2at6native12_GLOBAL__N_125multi_tensor_apply_kernelINS1_18TensorListMetadataILi1EEENS1_14UnaryOpFunctorIfLi1ELi1ELi0EEEJNS0_4AsinIfEEEEEvT_T0_DpT1_.num_agpr, 0
	.set _ZN2at6native12_GLOBAL__N_125multi_tensor_apply_kernelINS1_18TensorListMetadataILi1EEENS1_14UnaryOpFunctorIfLi1ELi1ELi0EEEJNS0_4AsinIfEEEEEvT_T0_DpT1_.numbered_sgpr, 23
	.set _ZN2at6native12_GLOBAL__N_125multi_tensor_apply_kernelINS1_18TensorListMetadataILi1EEENS1_14UnaryOpFunctorIfLi1ELi1ELi0EEEJNS0_4AsinIfEEEEEvT_T0_DpT1_.num_named_barrier, 0
	.set _ZN2at6native12_GLOBAL__N_125multi_tensor_apply_kernelINS1_18TensorListMetadataILi1EEENS1_14UnaryOpFunctorIfLi1ELi1ELi0EEEJNS0_4AsinIfEEEEEvT_T0_DpT1_.private_seg_size, 0
	.set _ZN2at6native12_GLOBAL__N_125multi_tensor_apply_kernelINS1_18TensorListMetadataILi1EEENS1_14UnaryOpFunctorIfLi1ELi1ELi0EEEJNS0_4AsinIfEEEEEvT_T0_DpT1_.uses_vcc, 1
	.set _ZN2at6native12_GLOBAL__N_125multi_tensor_apply_kernelINS1_18TensorListMetadataILi1EEENS1_14UnaryOpFunctorIfLi1ELi1ELi0EEEJNS0_4AsinIfEEEEEvT_T0_DpT1_.uses_flat_scratch, 0
	.set _ZN2at6native12_GLOBAL__N_125multi_tensor_apply_kernelINS1_18TensorListMetadataILi1EEENS1_14UnaryOpFunctorIfLi1ELi1ELi0EEEJNS0_4AsinIfEEEEEvT_T0_DpT1_.has_dyn_sized_stack, 0
	.set _ZN2at6native12_GLOBAL__N_125multi_tensor_apply_kernelINS1_18TensorListMetadataILi1EEENS1_14UnaryOpFunctorIfLi1ELi1ELi0EEEJNS0_4AsinIfEEEEEvT_T0_DpT1_.has_recursion, 0
	.set _ZN2at6native12_GLOBAL__N_125multi_tensor_apply_kernelINS1_18TensorListMetadataILi1EEENS1_14UnaryOpFunctorIfLi1ELi1ELi0EEEJNS0_4AsinIfEEEEEvT_T0_DpT1_.has_indirect_call, 0
	.section	.AMDGPU.csdata,"",@progbits
; Kernel info:
; codeLenInByte = 2004
; TotalNumSgprs: 25
; NumVgprs: 27
; ScratchSize: 0
; MemoryBound: 0
; FloatMode: 240
; IeeeMode: 1
; LDSByteSize: 0 bytes/workgroup (compile time only)
; SGPRBlocks: 0
; VGPRBlocks: 1
; NumSGPRsForWavesPerEU: 25
; NumVGPRsForWavesPerEU: 27
; NamedBarCnt: 0
; Occupancy: 16
; WaveLimiterHint : 0
; COMPUTE_PGM_RSRC2:SCRATCH_EN: 0
; COMPUTE_PGM_RSRC2:USER_SGPR: 2
; COMPUTE_PGM_RSRC2:TRAP_HANDLER: 0
; COMPUTE_PGM_RSRC2:TGID_X_EN: 1
; COMPUTE_PGM_RSRC2:TGID_Y_EN: 0
; COMPUTE_PGM_RSRC2:TGID_Z_EN: 0
; COMPUTE_PGM_RSRC2:TIDIG_COMP_CNT: 0
	.section	.text._ZN2at6native12_GLOBAL__N_125multi_tensor_apply_kernelINS1_18TensorListMetadataILi1EEENS1_14UnaryOpFunctorIN3c107complexIdEELi1ELi1ELi0EEEJNS0_4AsinIS8_EEEEEvT_T0_DpT1_,"axG",@progbits,_ZN2at6native12_GLOBAL__N_125multi_tensor_apply_kernelINS1_18TensorListMetadataILi1EEENS1_14UnaryOpFunctorIN3c107complexIdEELi1ELi1ELi0EEEJNS0_4AsinIS8_EEEEEvT_T0_DpT1_,comdat
	.globl	_ZN2at6native12_GLOBAL__N_125multi_tensor_apply_kernelINS1_18TensorListMetadataILi1EEENS1_14UnaryOpFunctorIN3c107complexIdEELi1ELi1ELi0EEEJNS0_4AsinIS8_EEEEEvT_T0_DpT1_ ; -- Begin function _ZN2at6native12_GLOBAL__N_125multi_tensor_apply_kernelINS1_18TensorListMetadataILi1EEENS1_14UnaryOpFunctorIN3c107complexIdEELi1ELi1ELi0EEEJNS0_4AsinIS8_EEEEEvT_T0_DpT1_
	.p2align	8
	.type	_ZN2at6native12_GLOBAL__N_125multi_tensor_apply_kernelINS1_18TensorListMetadataILi1EEENS1_14UnaryOpFunctorIN3c107complexIdEELi1ELi1ELi0EEEJNS0_4AsinIS8_EEEEEvT_T0_DpT1_,@function
_ZN2at6native12_GLOBAL__N_125multi_tensor_apply_kernelINS1_18TensorListMetadataILi1EEENS1_14UnaryOpFunctorIN3c107complexIdEELi1ELi1ELi0EEEJNS0_4AsinIS8_EEEEEvT_T0_DpT1_: ; @_ZN2at6native12_GLOBAL__N_125multi_tensor_apply_kernelINS1_18TensorListMetadataILi1EEENS1_14UnaryOpFunctorIN3c107complexIdEELi1ELi1ELi0EEEJNS0_4AsinIS8_EEEEEvT_T0_DpT1_
; %bb.0:
	s_mov_b64 s[12:13], s[0:1]
	s_bfe_u32 s0, ttmp6, 0x4000c
	s_and_b32 s1, ttmp6, 15
	s_add_co_i32 s0, s0, 1
	s_getreg_b32 s2, hwreg(HW_REG_IB_STS2, 6, 4)
	s_mul_i32 s0, ttmp9, s0
	v_mov_b32_e32 v54, v0
	s_add_co_i32 s1, s1, s0
	s_cmp_eq_u32 s2, 0
	s_mov_b32 s32, 0
	s_cselect_b32 s0, ttmp9, s1
	s_mov_b32 s1, 0
	s_load_u8 s10, s[12:13], s0 offset:0x6e0
	s_add_nc_u64 s[2:3], s[12:13], s[0:1]
	s_mul_u64 s[4:5], s[0:1], 3
	s_delay_alu instid0(SALU_CYCLE_1)
	s_add_nc_u64 s[2:3], s[2:3], s[4:5]
	s_load_b32 s4, s[2:3], 0x820
	s_wait_kmcnt 0x0
	s_clause 0x1
	s_load_b64 s[6:7], s[12:13], s10 offset:0x0 scale_offset
	s_load_b64 s[8:9], s[12:13], s10 offset:0x370 scale_offset
	s_ashr_i32 s5, s4, 31
	s_delay_alu instid0(SALU_CYCLE_1) | instskip(SKIP_3) | instid1(SALU_CYCLE_1)
	s_lshl_b64 s[2:3], s[4:5], 20
	s_wait_kmcnt 0x0
	s_and_b32 s0, s8, 3
	s_add_nc_u64 s[18:19], s[6:7], s[2:3]
	s_and_b64 s[2:3], s[18:19], 63
	s_delay_alu instid0(SALU_CYCLE_1)
	s_or_b64 s[0:1], s[2:3], s[0:1]
	s_lshl_b64 s[2:3], s[4:5], 16
	s_cmp_eq_u64 s[0:1], 0
	s_sub_nc_u64 s[20:21], s[8:9], s[2:3]
	s_cbranch_scc1 .LBB61_21
; %bb.1:
	v_cmp_lt_i64_e64 s0, s[20:21], 1
	s_and_b32 vcc_lo, exec_lo, s0
	s_cbranch_vccnz .LBB61_20
; %bb.2:
	s_load_b32 s0, s[12:13], 0xd3c
	v_min_i64 v[60:61], 0x10000, s[20:21]
	v_min_u64 v[62:63], 0x10000, s[20:21]
	v_dual_mov_b32 v55, 0 :: v_dual_lshlrev_b32 v64, 4, v54
	s_mov_b32 s1, 0
	s_mov_b64 s[28:29], 0
	s_mov_b32 s3, s1
	s_delay_alu instid0(VALU_DEP_1)
	v_dual_mov_b32 v65, v55 :: v_dual_mov_b32 v73, v55
	s_mov_b32 s5, s1
	s_mov_b32 s23, s1
	;; [unrolled: 1-line block ×3, first 2 shown]
	s_mov_b64 s[34:35], s[18:19]
	s_get_pc_i64 s[26:27]
	s_add_nc_u64 s[26:27], s[26:27], _ZNK2at6native4AsinIN3c107complexIdEEEclES4_@rel64+4
	s_wait_kmcnt 0x0
	s_and_b32 s0, s0, 0xffff
	s_delay_alu instid0(SALU_CYCLE_1)
	v_mad_nc_u64_u32 v[68:69], s0, 48, v[64:65]
	s_lshl_b32 s2, s0, 1
	s_mul_i32 s4, s0, 3
	s_lshl_b32 s22, s0, 2
	s_lshl_b32 s24, s0, 6
	v_add_nc_u64_e32 v[66:67], s[0:1], v[54:55]
	s_lshl_b32 s0, s0, 5
	v_add_nc_u64_e32 v[74:75], s[4:5], v[54:55]
	v_add_nc_u64_e32 v[70:71], s[0:1], v[64:65]
	;; [unrolled: 1-line block ×3, first 2 shown]
	s_delay_alu instid0(VALU_DEP_4) | instskip(NEXT) | instid1(VALU_DEP_3)
	v_dual_lshlrev_b32 v72, 4, v66 :: v_dual_bitop2_b32 v68, 8, v68 bitop3:0x54
	v_or_b32_e32 v70, 8, v70
	s_branch .LBB61_4
.LBB61_3:                               ;   in Loop: Header=BB61_4 Depth=1
	s_wait_xcnt 0x0
	s_or_b32 exec_lo, exec_lo, s0
	s_add_nc_u64 s[28:29], s[28:29], s[22:23]
	s_add_nc_u64 s[34:35], s[34:35], s[24:25]
	v_cmp_lt_i64_e32 vcc_lo, s[28:29], v[60:61]
	s_cbranch_vccz .LBB61_20
.LBB61_4:                               ; =>This Inner Loop Header: Depth=1
	v_add_nc_u64_e32 v[0:1], s[28:29], v[54:55]
	v_mov_b64_e32 v[6:7], 0
	v_add_nc_u64_e32 v[78:79], s[34:35], v[64:65]
	v_mov_b64_e32 v[2:3], 0
	s_delay_alu instid0(VALU_DEP_4)
	v_cmp_lt_u64_e64 s11, v[0:1], v[62:63]
	v_mov_b64_e32 v[0:1], 0
	s_and_saveexec_b32 s0, s11
	s_cbranch_execz .LBB61_6
; %bb.5:                                ;   in Loop: Header=BB61_4 Depth=1
	global_load_b128 v[0:3], v[78:79], off
.LBB61_6:                               ;   in Loop: Header=BB61_4 Depth=1
	s_wait_xcnt 0x0
	s_or_b32 exec_lo, exec_lo, s0
	v_add_nc_u64_e32 v[4:5], s[28:29], v[66:67]
	v_add_nc_u64_e32 v[80:81], s[34:35], v[72:73]
	s_delay_alu instid0(VALU_DEP_2)
	v_cmp_lt_u64_e64 s14, v[4:5], v[62:63]
	v_mov_b64_e32 v[4:5], 0
	s_and_saveexec_b32 s0, s14
	s_cbranch_execz .LBB61_8
; %bb.7:                                ;   in Loop: Header=BB61_4 Depth=1
	global_load_b128 v[4:7], v[80:81], off
.LBB61_8:                               ;   in Loop: Header=BB61_4 Depth=1
	s_wait_xcnt 0x0
	s_or_b32 exec_lo, exec_lo, s0
	v_add_nc_u64_e32 v[8:9], s[28:29], v[76:77]
	v_mov_b64_e32 v[58:59], 0
	v_add_nc_u64_e32 v[82:83], s[34:35], v[70:71]
	v_mov_b64_e32 v[42:43], 0
	v_mov_b64_e32 v[40:41], 0
	v_cmp_lt_u64_e64 s15, v[8:9], v[62:63]
	s_and_saveexec_b32 s0, s15
	s_cbranch_execz .LBB61_10
; %bb.9:                                ;   in Loop: Header=BB61_4 Depth=1
	global_load_b128 v[40:43], v[82:83], off offset:-8
.LBB61_10:                              ;   in Loop: Header=BB61_4 Depth=1
	s_wait_xcnt 0x0
	s_or_b32 exec_lo, exec_lo, s0
	s_wait_loadcnt 0x0
	v_mov_b64_e32 v[52:53], v[6:7]
	v_mov_b64_e32 v[50:51], v[4:5]
	v_add_nc_u64_e32 v[4:5], s[28:29], v[74:75]
	v_add_nc_u64_e32 v[84:85], s[34:35], v[68:69]
	v_mov_b64_e32 v[56:57], 0
	s_delay_alu instid0(VALU_DEP_3)
	v_cmp_lt_u64_e64 s16, v[4:5], v[62:63]
	s_and_saveexec_b32 s0, s16
	s_cbranch_execz .LBB61_12
; %bb.11:                               ;   in Loop: Header=BB61_4 Depth=1
	global_load_b128 v[56:59], v[84:85], off offset:-8
.LBB61_12:                              ;   in Loop: Header=BB61_4 Depth=1
	s_wait_xcnt 0x0
	s_or_b32 exec_lo, exec_lo, s0
	s_swap_pc_i64 s[30:31], s[26:27]
	v_dual_mov_b32 v44, v0 :: v_dual_mov_b32 v45, v1
	v_dual_mov_b32 v46, v2 :: v_dual_mov_b32 v47, v3
	v_mov_b64_e32 v[0:1], v[50:51]
	v_mov_b64_e32 v[2:3], v[52:53]
	s_swap_pc_i64 s[30:31], s[26:27]
	s_delay_alu instid0(VALU_DEP_2) | instskip(NEXT) | instid1(VALU_DEP_2)
	v_dual_mov_b32 v50, v0 :: v_dual_mov_b32 v51, v1
	v_dual_mov_b32 v52, v2 :: v_dual_mov_b32 v53, v3
	;; [unrolled: 1-line block ×4, first 2 shown]
	s_swap_pc_i64 s[30:31], s[26:27]
	s_delay_alu instid0(VALU_DEP_2) | instskip(NEXT) | instid1(VALU_DEP_2)
	v_dual_mov_b32 v40, v0 :: v_dual_mov_b32 v41, v1
	v_dual_mov_b32 v42, v2 :: v_dual_mov_b32 v43, v3
	;; [unrolled: 1-line block ×4, first 2 shown]
	s_swap_pc_i64 s[30:31], s[26:27]
	s_and_saveexec_b32 s0, s11
	s_cbranch_execnz .LBB61_16
; %bb.13:                               ;   in Loop: Header=BB61_4 Depth=1
	s_or_b32 exec_lo, exec_lo, s0
	s_and_saveexec_b32 s0, s14
	s_cbranch_execnz .LBB61_17
.LBB61_14:                              ;   in Loop: Header=BB61_4 Depth=1
	s_or_b32 exec_lo, exec_lo, s0
	s_and_saveexec_b32 s0, s15
	s_cbranch_execnz .LBB61_18
.LBB61_15:                              ;   in Loop: Header=BB61_4 Depth=1
	s_or_b32 exec_lo, exec_lo, s0
	s_and_saveexec_b32 s0, s16
	s_cbranch_execz .LBB61_3
	s_branch .LBB61_19
.LBB61_16:                              ;   in Loop: Header=BB61_4 Depth=1
	global_store_b128 v[78:79], v[44:47], off
	s_wait_xcnt 0x0
	s_or_b32 exec_lo, exec_lo, s0
	s_and_saveexec_b32 s0, s14
	s_cbranch_execz .LBB61_14
.LBB61_17:                              ;   in Loop: Header=BB61_4 Depth=1
	global_store_b128 v[80:81], v[50:53], off
	s_wait_xcnt 0x0
	s_or_b32 exec_lo, exec_lo, s0
	s_and_saveexec_b32 s0, s15
	s_cbranch_execz .LBB61_15
.LBB61_18:                              ;   in Loop: Header=BB61_4 Depth=1
	global_store_b128 v[82:83], v[40:43], off offset:-8
	s_wait_xcnt 0x0
	s_or_b32 exec_lo, exec_lo, s0
	s_and_saveexec_b32 s0, s16
	s_cbranch_execz .LBB61_3
.LBB61_19:                              ;   in Loop: Header=BB61_4 Depth=1
	global_store_b128 v[84:85], v[0:3], off offset:-8
	s_branch .LBB61_3
.LBB61_20:
	s_cbranch_execz .LBB61_22
	s_branch .LBB61_25
.LBB61_21:
.LBB61_22:
	v_min_i64 v[60:61], 0x10000, s[20:21]
	v_dual_mov_b32 v1, 0 :: v_dual_lshlrev_b32 v0, 2, v54
	s_mov_b32 s0, exec_lo
	s_delay_alu instid0(VALU_DEP_1)
	v_cmpx_lt_i64_e64 v[0:1], v[60:61]
	s_cbranch_execz .LBB61_25
; %bb.23:
	v_mov_b32_e32 v55, v1
	s_add_nc_u64 s[12:13], s[12:13], 0xd30
	s_mov_b32 s17, 0
	s_mov_b32 s11, 0
	s_get_pc_i64 s[14:15]
	s_add_nc_u64 s[14:15], s[14:15], _ZNK2at6native4AsinIN3c107complexIdEEEclES4_@rel64+4
.LBB61_24:                              ; =>This Inner Loop Header: Depth=1
	v_lshlrev_b64_e32 v[0:1], 6, v[54:55]
	s_delay_alu instid0(VALU_DEP_1)
	v_add_nc_u64_e32 v[62:63], s[18:19], v[0:1]
	s_clause 0x3
	global_load_b128 v[0:3], v[62:63], off
	global_load_b128 v[40:43], v[62:63], off offset:16
	global_load_b128 v[44:47], v[62:63], off offset:48
	;; [unrolled: 1-line block ×3, first 2 shown]
	s_swap_pc_i64 s[30:31], s[14:15]
	v_dual_mov_b32 v56, v0 :: v_dual_mov_b32 v57, v1
	v_dual_mov_b32 v58, v2 :: v_dual_mov_b32 v59, v3
	;; [unrolled: 1-line block ×4, first 2 shown]
	s_swap_pc_i64 s[30:31], s[14:15]
	s_delay_alu instid0(VALU_DEP_2) | instskip(NEXT) | instid1(VALU_DEP_2)
	v_dual_mov_b32 v40, v0 :: v_dual_mov_b32 v41, v1
	v_dual_mov_b32 v42, v2 :: v_dual_mov_b32 v43, v3
	;; [unrolled: 1-line block ×4, first 2 shown]
	s_swap_pc_i64 s[30:31], s[14:15]
	s_delay_alu instid0(VALU_DEP_2) | instskip(NEXT) | instid1(VALU_DEP_2)
	v_dual_mov_b32 v50, v0 :: v_dual_mov_b32 v51, v1
	v_dual_mov_b32 v52, v2 :: v_dual_mov_b32 v53, v3
	;; [unrolled: 1-line block ×4, first 2 shown]
	s_swap_pc_i64 s[30:31], s[14:15]
	s_clause 0x3
	global_store_b128 v[62:63], v[56:59], off
	global_store_b128 v[62:63], v[40:43], off offset:16
	global_store_b128 v[62:63], v[50:53], off offset:32
	;; [unrolled: 1-line block ×3, first 2 shown]
	s_load_b32 s0, s[12:13], 0xc
	s_wait_kmcnt 0x0
	s_and_b32 s16, s0, 0xffff
	s_delay_alu instid0(SALU_CYCLE_1) | instskip(NEXT) | instid1(VALU_DEP_1)
	v_add_nc_u64_e32 v[54:55], s[16:17], v[54:55]
	v_lshlrev_b64_e32 v[0:1], 2, v[54:55]
	s_delay_alu instid0(VALU_DEP_1) | instskip(SKIP_1) | instid1(SALU_CYCLE_1)
	v_cmp_ge_i64_e32 vcc_lo, v[0:1], v[60:61]
	s_or_b32 s11, vcc_lo, s11
	s_and_not1_b32 exec_lo, exec_lo, s11
	s_cbranch_execnz .LBB61_24
.LBB61_25:
	s_endpgm
	.section	.rodata,"a",@progbits
	.p2align	6, 0x0
	.amdhsa_kernel _ZN2at6native12_GLOBAL__N_125multi_tensor_apply_kernelINS1_18TensorListMetadataILi1EEENS1_14UnaryOpFunctorIN3c107complexIdEELi1ELi1ELi0EEEJNS0_4AsinIS8_EEEEEvT_T0_DpT1_
		.amdhsa_group_segment_fixed_size 0
		.amdhsa_private_segment_fixed_size 12
		.amdhsa_kernarg_size 3632
		.amdhsa_user_sgpr_count 2
		.amdhsa_user_sgpr_dispatch_ptr 0
		.amdhsa_user_sgpr_queue_ptr 0
		.amdhsa_user_sgpr_kernarg_segment_ptr 1
		.amdhsa_user_sgpr_dispatch_id 0
		.amdhsa_user_sgpr_kernarg_preload_length 0
		.amdhsa_user_sgpr_kernarg_preload_offset 0
		.amdhsa_user_sgpr_private_segment_size 0
		.amdhsa_wavefront_size32 1
		.amdhsa_uses_dynamic_stack 0
		.amdhsa_enable_private_segment 1
		.amdhsa_system_sgpr_workgroup_id_x 1
		.amdhsa_system_sgpr_workgroup_id_y 0
		.amdhsa_system_sgpr_workgroup_id_z 0
		.amdhsa_system_sgpr_workgroup_info 0
		.amdhsa_system_vgpr_workitem_id 0
		.amdhsa_next_free_vgpr 86
		.amdhsa_next_free_sgpr 36
		.amdhsa_named_barrier_count 0
		.amdhsa_reserve_vcc 1
		.amdhsa_float_round_mode_32 0
		.amdhsa_float_round_mode_16_64 0
		.amdhsa_float_denorm_mode_32 3
		.amdhsa_float_denorm_mode_16_64 3
		.amdhsa_fp16_overflow 0
		.amdhsa_memory_ordered 1
		.amdhsa_forward_progress 1
		.amdhsa_inst_pref_size 10
		.amdhsa_round_robin_scheduling 0
		.amdhsa_exception_fp_ieee_invalid_op 0
		.amdhsa_exception_fp_denorm_src 0
		.amdhsa_exception_fp_ieee_div_zero 0
		.amdhsa_exception_fp_ieee_overflow 0
		.amdhsa_exception_fp_ieee_underflow 0
		.amdhsa_exception_fp_ieee_inexact 0
		.amdhsa_exception_int_div_zero 0
	.end_amdhsa_kernel
	.section	.text._ZN2at6native12_GLOBAL__N_125multi_tensor_apply_kernelINS1_18TensorListMetadataILi1EEENS1_14UnaryOpFunctorIN3c107complexIdEELi1ELi1ELi0EEEJNS0_4AsinIS8_EEEEEvT_T0_DpT1_,"axG",@progbits,_ZN2at6native12_GLOBAL__N_125multi_tensor_apply_kernelINS1_18TensorListMetadataILi1EEENS1_14UnaryOpFunctorIN3c107complexIdEELi1ELi1ELi0EEEJNS0_4AsinIS8_EEEEEvT_T0_DpT1_,comdat
.Lfunc_end61:
	.size	_ZN2at6native12_GLOBAL__N_125multi_tensor_apply_kernelINS1_18TensorListMetadataILi1EEENS1_14UnaryOpFunctorIN3c107complexIdEELi1ELi1ELi0EEEJNS0_4AsinIS8_EEEEEvT_T0_DpT1_, .Lfunc_end61-_ZN2at6native12_GLOBAL__N_125multi_tensor_apply_kernelINS1_18TensorListMetadataILi1EEENS1_14UnaryOpFunctorIN3c107complexIdEELi1ELi1ELi0EEEJNS0_4AsinIS8_EEEEEvT_T0_DpT1_
                                        ; -- End function
	.set _ZN2at6native12_GLOBAL__N_125multi_tensor_apply_kernelINS1_18TensorListMetadataILi1EEENS1_14UnaryOpFunctorIN3c107complexIdEELi1ELi1ELi0EEEJNS0_4AsinIS8_EEEEEvT_T0_DpT1_.num_vgpr, max(86, .L_ZNK2at6native4AsinIN3c107complexIdEEEclES4_.num_vgpr)
	.set _ZN2at6native12_GLOBAL__N_125multi_tensor_apply_kernelINS1_18TensorListMetadataILi1EEENS1_14UnaryOpFunctorIN3c107complexIdEELi1ELi1ELi0EEEJNS0_4AsinIS8_EEEEEvT_T0_DpT1_.num_agpr, max(0, .L_ZNK2at6native4AsinIN3c107complexIdEEEclES4_.num_agpr)
	.set _ZN2at6native12_GLOBAL__N_125multi_tensor_apply_kernelINS1_18TensorListMetadataILi1EEENS1_14UnaryOpFunctorIN3c107complexIdEELi1ELi1ELi0EEEJNS0_4AsinIS8_EEEEEvT_T0_DpT1_.numbered_sgpr, max(36, .L_ZNK2at6native4AsinIN3c107complexIdEEEclES4_.numbered_sgpr)
	.set _ZN2at6native12_GLOBAL__N_125multi_tensor_apply_kernelINS1_18TensorListMetadataILi1EEENS1_14UnaryOpFunctorIN3c107complexIdEELi1ELi1ELi0EEEJNS0_4AsinIS8_EEEEEvT_T0_DpT1_.num_named_barrier, max(0, .L_ZNK2at6native4AsinIN3c107complexIdEEEclES4_.num_named_barrier)
	.set _ZN2at6native12_GLOBAL__N_125multi_tensor_apply_kernelINS1_18TensorListMetadataILi1EEENS1_14UnaryOpFunctorIN3c107complexIdEELi1ELi1ELi0EEEJNS0_4AsinIS8_EEEEEvT_T0_DpT1_.private_seg_size, 0+max(.L_ZNK2at6native4AsinIN3c107complexIdEEEclES4_.private_seg_size)
	.set _ZN2at6native12_GLOBAL__N_125multi_tensor_apply_kernelINS1_18TensorListMetadataILi1EEENS1_14UnaryOpFunctorIN3c107complexIdEELi1ELi1ELi0EEEJNS0_4AsinIS8_EEEEEvT_T0_DpT1_.uses_vcc, or(1, .L_ZNK2at6native4AsinIN3c107complexIdEEEclES4_.uses_vcc)
	.set _ZN2at6native12_GLOBAL__N_125multi_tensor_apply_kernelINS1_18TensorListMetadataILi1EEENS1_14UnaryOpFunctorIN3c107complexIdEELi1ELi1ELi0EEEJNS0_4AsinIS8_EEEEEvT_T0_DpT1_.uses_flat_scratch, or(0, .L_ZNK2at6native4AsinIN3c107complexIdEEEclES4_.uses_flat_scratch)
	.set _ZN2at6native12_GLOBAL__N_125multi_tensor_apply_kernelINS1_18TensorListMetadataILi1EEENS1_14UnaryOpFunctorIN3c107complexIdEELi1ELi1ELi0EEEJNS0_4AsinIS8_EEEEEvT_T0_DpT1_.has_dyn_sized_stack, or(0, .L_ZNK2at6native4AsinIN3c107complexIdEEEclES4_.has_dyn_sized_stack)
	.set _ZN2at6native12_GLOBAL__N_125multi_tensor_apply_kernelINS1_18TensorListMetadataILi1EEENS1_14UnaryOpFunctorIN3c107complexIdEELi1ELi1ELi0EEEJNS0_4AsinIS8_EEEEEvT_T0_DpT1_.has_recursion, or(0, .L_ZNK2at6native4AsinIN3c107complexIdEEEclES4_.has_recursion)
	.set _ZN2at6native12_GLOBAL__N_125multi_tensor_apply_kernelINS1_18TensorListMetadataILi1EEENS1_14UnaryOpFunctorIN3c107complexIdEELi1ELi1ELi0EEEJNS0_4AsinIS8_EEEEEvT_T0_DpT1_.has_indirect_call, or(0, .L_ZNK2at6native4AsinIN3c107complexIdEEEclES4_.has_indirect_call)
	.section	.AMDGPU.csdata,"",@progbits
; Kernel info:
; codeLenInByte = 1252
; TotalNumSgprs: 38
; NumVgprs: 86
; ScratchSize: 12
; MemoryBound: 1
; FloatMode: 240
; IeeeMode: 1
; LDSByteSize: 0 bytes/workgroup (compile time only)
; SGPRBlocks: 0
; VGPRBlocks: 5
; NumSGPRsForWavesPerEU: 38
; NumVGPRsForWavesPerEU: 86
; NamedBarCnt: 0
; Occupancy: 10
; WaveLimiterHint : 0
; COMPUTE_PGM_RSRC2:SCRATCH_EN: 1
; COMPUTE_PGM_RSRC2:USER_SGPR: 2
; COMPUTE_PGM_RSRC2:TRAP_HANDLER: 0
; COMPUTE_PGM_RSRC2:TGID_X_EN: 1
; COMPUTE_PGM_RSRC2:TGID_Y_EN: 0
; COMPUTE_PGM_RSRC2:TGID_Z_EN: 0
; COMPUTE_PGM_RSRC2:TIDIG_COMP_CNT: 0
	.section	.text._ZN2at6native12_GLOBAL__N_125multi_tensor_apply_kernelINS1_18TensorListMetadataILi1EEENS1_14UnaryOpFunctorIN3c107complexIfEELi1ELi1ELi0EEEJNS0_4AsinIS8_EEEEEvT_T0_DpT1_,"axG",@progbits,_ZN2at6native12_GLOBAL__N_125multi_tensor_apply_kernelINS1_18TensorListMetadataILi1EEENS1_14UnaryOpFunctorIN3c107complexIfEELi1ELi1ELi0EEEJNS0_4AsinIS8_EEEEEvT_T0_DpT1_,comdat
	.globl	_ZN2at6native12_GLOBAL__N_125multi_tensor_apply_kernelINS1_18TensorListMetadataILi1EEENS1_14UnaryOpFunctorIN3c107complexIfEELi1ELi1ELi0EEEJNS0_4AsinIS8_EEEEEvT_T0_DpT1_ ; -- Begin function _ZN2at6native12_GLOBAL__N_125multi_tensor_apply_kernelINS1_18TensorListMetadataILi1EEENS1_14UnaryOpFunctorIN3c107complexIfEELi1ELi1ELi0EEEJNS0_4AsinIS8_EEEEEvT_T0_DpT1_
	.p2align	8
	.type	_ZN2at6native12_GLOBAL__N_125multi_tensor_apply_kernelINS1_18TensorListMetadataILi1EEENS1_14UnaryOpFunctorIN3c107complexIfEELi1ELi1ELi0EEEJNS0_4AsinIS8_EEEEEvT_T0_DpT1_,@function
_ZN2at6native12_GLOBAL__N_125multi_tensor_apply_kernelINS1_18TensorListMetadataILi1EEENS1_14UnaryOpFunctorIN3c107complexIfEELi1ELi1ELi0EEEJNS0_4AsinIS8_EEEEEvT_T0_DpT1_: ; @_ZN2at6native12_GLOBAL__N_125multi_tensor_apply_kernelINS1_18TensorListMetadataILi1EEENS1_14UnaryOpFunctorIN3c107complexIfEELi1ELi1ELi0EEEJNS0_4AsinIS8_EEEEEvT_T0_DpT1_
; %bb.0:
	s_bfe_u32 s2, ttmp6, 0x4000c
	s_and_b32 s3, ttmp6, 15
	s_add_co_i32 s2, s2, 1
	s_getreg_b32 s4, hwreg(HW_REG_IB_STS2, 6, 4)
	s_mul_i32 s2, ttmp9, s2
	s_delay_alu instid0(SALU_CYCLE_1)
	s_add_co_i32 s3, s3, s2
	s_cmp_eq_u32 s4, 0
	s_cselect_b32 s2, ttmp9, s3
	s_mov_b32 s3, 0
	s_load_u8 s12, s[0:1], s2 offset:0x6e0
	s_add_nc_u64 s[4:5], s[0:1], s[2:3]
	s_mul_u64 s[6:7], s[2:3], 3
	s_delay_alu instid0(SALU_CYCLE_1)
	s_add_nc_u64 s[4:5], s[4:5], s[6:7]
	s_load_b32 s6, s[4:5], 0x820
	s_wait_kmcnt 0x0
	s_clause 0x1
	s_load_b64 s[8:9], s[0:1], s12 offset:0x0 scale_offset
	s_load_b64 s[10:11], s[0:1], s12 offset:0x370 scale_offset
	s_ashr_i32 s7, s6, 31
	s_delay_alu instid0(SALU_CYCLE_1) | instskip(SKIP_3) | instid1(SALU_CYCLE_1)
	s_lshl_b64 s[4:5], s[6:7], 19
	s_wait_kmcnt 0x0
	s_and_b32 s2, s10, 3
	s_add_nc_u64 s[8:9], s[8:9], s[4:5]
	s_and_b64 s[4:5], s[8:9], 31
	s_delay_alu instid0(SALU_CYCLE_1)
	s_or_b64 s[2:3], s[4:5], s[2:3]
	s_lshl_b64 s[4:5], s[6:7], 16
	s_cmp_eq_u64 s[2:3], 0
	s_sub_nc_u64 s[10:11], s[10:11], s[4:5]
	s_cbranch_scc1 .LBB62_413
; %bb.1:
	v_cmp_lt_i64_e64 s2, s[10:11], 1
	s_and_b32 vcc_lo, exec_lo, s2
	s_cbranch_vccnz .LBB62_412
; %bb.2:
	s_load_b32 s2, s[0:1], 0xd3c
	v_min_i64 v[2:3], 0x10000, s[10:11]
	v_min_u64 v[4:5], 0x10000, s[10:11]
	v_dual_mov_b32 v1, 0 :: v_dual_mov_b32 v14, 0
	v_mbcnt_lo_u32_b32 v7, -1, 0
	s_mov_b32 s3, 0
	v_mov_b32_e32 v40, 0xd800000
	v_dual_lshlrev_b32 v12, 3, v0 :: v_dual_mov_b32 v6, 1.0
	s_delay_alu instid0(VALU_DEP_3) | instskip(SKIP_3) | instid1(VALU_DEP_2)
	v_dual_lshlrev_b32 v15, 20, v7 :: v_dual_mov_b32 v13, v1
	s_mov_b32 s5, s3
	s_mov_b32 s7, s3
	v_mov_b32_e32 v22, 0x3f317218
	v_add_nc_u64_e32 v[8:9], src_flat_scratch_base_lo, v[14:15]
	v_mov_b32_e32 v14, 4
	v_add_nc_u64_e32 v[12:13], s[8:9], v[12:13]
	v_mov_b32_e32 v41, 0x4016cbe4
	s_mov_b64 s[12:13], 0
	s_wait_kmcnt 0x0
	s_and_b32 s2, s2, 0xffff
	v_add_nc_u64_e32 v[14:15], src_flat_scratch_base_lo, v[14:15]
	v_add_nc_u64_e32 v[10:11], s[2:3], v[0:1]
	v_mov_b32_e32 v21, v1
	s_lshl_b32 s4, s2, 1
	s_mul_i32 s6, s2, 3
	v_add_nc_u64_e32 v[18:19], s[4:5], v[0:1]
	v_add_nc_u64_e32 v[16:17], s[6:7], v[0:1]
	s_mov_b32 s15, s3
	v_lshlrev_b32_e32 v20, 3, v10
	s_mov_b32 s17, s3
	s_mov_b32 s19, s3
	s_lshl_b32 s14, s2, 2
	s_lshl_b32 s16, s2, 5
	v_add_nc_u64_e32 v[20:21], s[8:9], v[20:21]
	s_mul_u64 s[20:21], s[2:3], 24
	s_lshl_b32 s18, s2, 4
	s_mov_b32 s23, 0x3e9b6dac
	s_mov_b32 s22, 0x4b800000
	;; [unrolled: 1-line block ×4, first 2 shown]
	s_branch .LBB62_4
.LBB62_3:                               ;   in Loop: Header=BB62_4 Depth=1
	s_wait_xcnt 0x0
	s_or_b32 exec_lo, exec_lo, s2
	s_add_nc_u64 s[12:13], s[12:13], s[14:15]
	v_add_nc_u64_e32 v[12:13], s[16:17], v[12:13]
	v_cmp_ge_i64_e32 vcc_lo, s[12:13], v[2:3]
	v_add_nc_u64_e32 v[20:21], s[16:17], v[20:21]
	s_cbranch_vccnz .LBB62_412
.LBB62_4:                               ; =>This Inner Loop Header: Depth=1
	v_add_nc_u64_e32 v[24:25], s[12:13], v[0:1]
	v_dual_mov_b32 v26, 0 :: v_dual_mov_b32 v27, 0
	s_delay_alu instid0(VALU_DEP_2)
	v_cmp_lt_u64_e64 s2, v[24:25], v[4:5]
	s_and_saveexec_b32 s3, s2
	s_cbranch_execz .LBB62_6
; %bb.5:                                ;   in Loop: Header=BB62_4 Depth=1
	global_load_b64 v[26:27], v[12:13], off
.LBB62_6:                               ;   in Loop: Header=BB62_4 Depth=1
	s_wait_xcnt 0x0
	s_or_b32 exec_lo, exec_lo, s3
	v_add_nc_u64_e32 v[24:25], s[12:13], v[10:11]
	v_dual_mov_b32 v29, 0 :: v_dual_mov_b32 v28, 0
	s_delay_alu instid0(VALU_DEP_2)
	v_cmp_lt_u64_e64 s3, v[24:25], v[4:5]
	v_mov_b32_e32 v24, 0
	s_and_saveexec_b32 s4, s3
	s_cbranch_execz .LBB62_8
; %bb.7:                                ;   in Loop: Header=BB62_4 Depth=1
	global_load_b64 v[28:29], v[20:21], off
.LBB62_8:                               ;   in Loop: Header=BB62_4 Depth=1
	s_wait_xcnt 0x0
	s_or_b32 exec_lo, exec_lo, s4
	v_add_nc_u64_e32 v[30:31], s[12:13], v[18:19]
	v_mov_b32_e32 v25, 0
	s_delay_alu instid0(VALU_DEP_2)
	v_cmp_lt_u64_e64 s4, v[30:31], v[4:5]
	v_add_nc_u64_e32 v[30:31], s[18:19], v[12:13]
	s_and_saveexec_b32 s5, s4
	s_cbranch_execz .LBB62_10
; %bb.9:                                ;   in Loop: Header=BB62_4 Depth=1
	global_load_b64 v[24:25], v[30:31], off
.LBB62_10:                              ;   in Loop: Header=BB62_4 Depth=1
	s_wait_xcnt 0x0
	s_or_b32 exec_lo, exec_lo, s5
	v_add_nc_u64_e32 v[32:33], s[12:13], v[16:17]
	v_dual_mov_b32 v34, 0 :: v_dual_mov_b32 v35, 0
	s_delay_alu instid0(VALU_DEP_2)
	v_cmp_lt_u64_e64 s5, v[32:33], v[4:5]
	v_add_nc_u64_e32 v[32:33], s[20:21], v[12:13]
	s_and_saveexec_b32 s6, s5
	s_cbranch_execz .LBB62_12
; %bb.11:                               ;   in Loop: Header=BB62_4 Depth=1
	global_load_b64 v[34:35], v[32:33], off
.LBB62_12:                              ;   in Loop: Header=BB62_4 Depth=1
	s_wait_xcnt 0x0
	s_or_b32 exec_lo, exec_lo, s6
	s_delay_alu instid0(SALU_CYCLE_1)
	s_mov_b32 s6, exec_lo
	s_wait_loadcnt 0x0
	v_cmpx_o_f32_e32 v27, v26
	s_xor_b32 s26, exec_lo, s6
	s_cbranch_execz .LBB62_96
; %bb.13:                               ;   in Loop: Header=BB62_4 Depth=1
	s_wait_dscnt 0x0
	v_max_num_f32_e64 v7, |v26|, |v26|
	v_max_num_f32_e64 v23, |v27|, |v27|
	s_mov_b32 s6, exec_lo
	s_delay_alu instid0(VALU_DEP_1) | instskip(NEXT) | instid1(VALU_DEP_1)
	v_max_num_f32_e32 v36, v23, v7
	v_cmpx_nlt_f32_e32 0x4b000000, v36
	s_xor_b32 s27, exec_lo, s6
	s_cbranch_execz .LBB62_73
; %bb.14:                               ;   in Loop: Header=BB62_4 Depth=1
	v_cmp_neq_f32_e32 vcc_lo, 0, v27
	v_cmp_neq_f32_e64 s6, 0, v26
	s_or_b32 s6, vcc_lo, s6
	s_delay_alu instid0(SALU_CYCLE_1)
	s_and_saveexec_b32 s28, s6
	s_cbranch_execz .LBB62_72
; %bb.15:                               ;   in Loop: Header=BB62_4 Depth=1
	flat_store_b32 v[8:9], v40 scope:SCOPE_SYS
	s_wait_storecnt 0x0
	flat_load_b32 v7, v[8:9] scope:SCOPE_SYS
	s_wait_loadcnt 0x0
	v_cmp_ngt_f32_e64 s6, 0x395db3d7, |v27|
	v_cmp_ngt_f32_e64 s7, 0x395db3d7, |v26|
	s_or_b32 s6, s6, s7
	s_wait_dscnt 0x0
	v_add_f32_e32 v7, 1.0, v7
	flat_store_b32 v[14:15], v7 scope:SCOPE_SYS
	s_wait_storecnt 0x0
	flat_load_b32 v7, v[14:15] scope:SCOPE_SYS
	s_wait_loadcnt 0x0
	s_wait_xcnt 0x0
	s_and_saveexec_b32 s29, s6
	s_cbranch_execz .LBB62_71
; %bb.16:                               ;   in Loop: Header=BB62_4 Depth=1
	v_add_f32_e64 v43, |v26|, 1.0
	v_add_f32_e64 v42, |v26|, -1.0
	s_mov_b32 s6, exec_lo
	s_wait_dscnt 0x0
	s_delay_alu instid0(VALU_DEP_2) | instskip(NEXT) | instid1(VALU_DEP_2)
	v_max_num_f32_e32 v7, v23, v43
	v_max_num_f32_e64 v23, v23, |v42|
	s_delay_alu instid0(VALU_DEP_2) | instskip(NEXT) | instid1(VALU_DEP_2)
	v_cvt_f64_f32_e32 v[36:37], v7
	v_cvt_f64_f32_e32 v[38:39], v23
	s_delay_alu instid0(VALU_DEP_2) | instskip(NEXT) | instid1(VALU_DEP_2)
	v_frexp_exp_i32_f64_e32 v36, v[36:37]
	v_frexp_exp_i32_f64_e32 v37, v[38:39]
	s_delay_alu instid0(VALU_DEP_2) | instskip(SKIP_1) | instid1(VALU_DEP_2)
	v_sub_nc_u32_e32 v38, 0, v36
	v_cmp_neq_f32_e32 vcc_lo, 0x7f800000, v7
	v_ldexp_f32 v44, v43, v38
	s_delay_alu instid0(VALU_DEP_4) | instskip(SKIP_1) | instid1(VALU_DEP_3)
	v_sub_nc_u32_e32 v39, 0, v37
	v_ldexp_f32 v38, |v27|, v38
	v_mul_f32_e32 v44, v44, v44
	s_delay_alu instid0(VALU_DEP_3) | instskip(SKIP_1) | instid1(VALU_DEP_2)
	v_ldexp_f32 v45, |v42|, v39
	v_ldexp_f32 v39, |v27|, v39
	v_dual_fmac_f32 v44, v38, v38 :: v_dual_mul_f32 v45, v45, v45
	s_delay_alu instid0(VALU_DEP_1) | instskip(NEXT) | instid1(VALU_DEP_1)
	v_sqrt_f32_e32 v38, v44
	v_fmac_f32_e32 v45, v39, v39
	s_delay_alu instid0(VALU_DEP_1) | instskip(NEXT) | instid1(TRANS32_DEP_2)
	v_sqrt_f32_e32 v39, v45
	v_ldexp_f32 v36, v38, v36
	s_delay_alu instid0(VALU_DEP_1) | instskip(NEXT) | instid1(TRANS32_DEP_1)
	v_cndmask_b32_e32 v45, 0x7f800000, v36, vcc_lo
	v_ldexp_f32 v37, v39, v37
	v_cmp_neq_f32_e32 vcc_lo, 0x7f800000, v23
	s_delay_alu instid0(VALU_DEP_2) | instskip(NEXT) | instid1(VALU_DEP_1)
	v_cndmask_b32_e32 v38, 0x7f800000, v37, vcc_lo
	v_add_f32_e32 v7, v45, v38
	s_delay_alu instid0(VALU_DEP_1) | instskip(NEXT) | instid1(VALU_DEP_1)
	v_mul_f32_e32 v7, 0.5, v7
	v_cmp_ngt_f32_e32 vcc_lo, 1.0, v7
	v_cndmask_b32_e32 v36, 1.0, v7, vcc_lo
                                        ; implicit-def: $vgpr7
	s_delay_alu instid0(VALU_DEP_1)
	v_cmpx_ngt_f32_e32 0x41200000, v36
	s_xor_b32 s7, exec_lo, s6
	s_cbranch_execz .LBB62_18
; %bb.17:                               ;   in Loop: Header=BB62_4 Depth=1
	v_fma_f32 v7, v36, v36, -1.0
	s_delay_alu instid0(VALU_DEP_1) | instskip(SKIP_1) | instid1(VALU_DEP_2)
	v_mul_f32_e32 v23, 0x4f800000, v7
	v_cmp_gt_f32_e32 vcc_lo, 0xf800000, v7
	v_cndmask_b32_e32 v7, v7, v23, vcc_lo
	s_delay_alu instid0(VALU_DEP_1) | instskip(SKIP_1) | instid1(TRANS32_DEP_1)
	v_sqrt_f32_e32 v23, v7
	v_nop
	v_dual_add_nc_u32 v37, -1, v23 :: v_dual_add_nc_u32 v39, 1, v23
	s_delay_alu instid0(VALU_DEP_1) | instskip(NEXT) | instid1(VALU_DEP_1)
	v_dual_fma_f32 v44, -v37, v23, v7 :: v_dual_fma_f32 v46, -v39, v23, v7
	v_cmp_ge_f32_e64 s6, 0, v44
	s_delay_alu instid0(VALU_DEP_1) | instskip(NEXT) | instid1(VALU_DEP_3)
	v_cndmask_b32_e64 v23, v23, v37, s6
	v_cmp_lt_f32_e64 s6, 0, v46
	s_delay_alu instid0(VALU_DEP_1) | instskip(NEXT) | instid1(VALU_DEP_1)
	v_cndmask_b32_e64 v23, v23, v39, s6
	v_mul_f32_e32 v37, 0x37800000, v23
	s_delay_alu instid0(VALU_DEP_1) | instskip(SKIP_1) | instid1(VALU_DEP_2)
	v_cndmask_b32_e32 v23, v23, v37, vcc_lo
	v_cmp_class_f32_e64 vcc_lo, v7, 0x260
	v_cndmask_b32_e32 v7, v23, v7, vcc_lo
	s_delay_alu instid0(VALU_DEP_1) | instskip(NEXT) | instid1(VALU_DEP_1)
	v_add_f32_e32 v7, v36, v7
	v_cmp_gt_f32_e32 vcc_lo, 0x800000, v7
	s_delay_alu instid0(VALU_DEP_4) | instskip(NEXT) | instid1(VALU_DEP_1)
	v_cndmask_b32_e64 v23, 0, 32, vcc_lo
	v_ldexp_f32 v7, v7, v23
	s_delay_alu instid0(VALU_DEP_1) | instskip(SKIP_1) | instid1(TRANS32_DEP_1)
	v_log_f32_e32 v7, v7
	v_nop
	v_mul_f32_e32 v23, 0x3f317217, v7
	v_cmp_gt_f32_e64 s6, 0x7f800000, |v7|
	s_delay_alu instid0(VALU_DEP_2) | instskip(NEXT) | instid1(VALU_DEP_1)
	v_fma_f32 v23, 0x3f317217, v7, -v23
	v_fmac_f32_e32 v23, 0x3377d1cf, v7
	s_delay_alu instid0(VALU_DEP_1) | instskip(NEXT) | instid1(VALU_DEP_1)
	v_fmac_f32_e32 v23, 0x3f317217, v7
	v_cndmask_b32_e64 v7, v7, v23, s6
	v_cndmask_b32_e64 v23, 0, 0x41b17218, vcc_lo
	s_delay_alu instid0(VALU_DEP_1)
	v_sub_f32_e32 v7, v7, v23
.LBB62_18:                              ;   in Loop: Header=BB62_4 Depth=1
	s_or_saveexec_b32 s7, s7
	v_and_b32_e32 v44, 0x7fffffff, v27
	s_xor_b32 exec_lo, exec_lo, s7
	s_cbranch_execz .LBB62_40
; %bb.19:                               ;   in Loop: Header=BB62_4 Depth=1
	v_cmp_neq_f32_e64 s6, |v26|, 1.0
	v_cmp_ngt_f32_e64 s30, 0x25000000, |v27|
                                        ; implicit-def: $vgpr7
	s_or_b32 s6, s30, s6
	s_delay_alu instid0(SALU_CYCLE_1) | instskip(NEXT) | instid1(SALU_CYCLE_1)
	s_and_saveexec_b32 s30, s6
	s_xor_b32 s30, exec_lo, s30
	s_cbranch_execz .LBB62_37
; %bb.20:                               ;   in Loop: Header=BB62_4 Depth=1
	v_mul_f32_e64 v7, 0x34000000, |v42|
	s_delay_alu instid0(VALU_DEP_1) | instskip(SKIP_1) | instid1(SALU_CYCLE_1)
	v_cmp_ge_f32_e64 s6, |v27|, v7
                                        ; implicit-def: $vgpr7
	s_and_saveexec_b32 s31, s6
	s_xor_b32 s31, exec_lo, s31
	s_cbranch_execz .LBB62_30
; %bb.21:                               ;   in Loop: Header=BB62_4 Depth=1
	v_mov_b32_e32 v7, v44
	s_mov_b32 s6, exec_lo
	v_cmpx_neq_f32_e32 0, v43
	s_cbranch_execz .LBB62_23
; %bb.22:                               ;   in Loop: Header=BB62_4 Depth=1
	v_mul_f32_e32 v7, v27, v27
	v_add_f32_e32 v23, v43, v45
	s_delay_alu instid0(VALU_DEP_1) | instskip(NEXT) | instid1(VALU_DEP_1)
	v_div_scale_f32 v37, null, v23, v23, v7
	v_rcp_f32_e32 v39, v37
	v_nop
	s_delay_alu instid0(TRANS32_DEP_1) | instskip(NEXT) | instid1(VALU_DEP_1)
	v_fma_f32 v46, -v37, v39, 1.0
	v_fmac_f32_e32 v39, v46, v39
	v_div_scale_f32 v46, vcc_lo, v7, v23, v7
	s_delay_alu instid0(VALU_DEP_1) | instskip(NEXT) | instid1(VALU_DEP_1)
	v_mul_f32_e32 v47, v46, v39
	v_fma_f32 v48, -v37, v47, v46
	s_delay_alu instid0(VALU_DEP_1) | instskip(NEXT) | instid1(VALU_DEP_1)
	v_fmac_f32_e32 v47, v48, v39
	v_fma_f32 v37, -v37, v47, v46
	s_delay_alu instid0(VALU_DEP_1) | instskip(NEXT) | instid1(VALU_DEP_1)
	v_div_fmas_f32 v37, v37, v39, v47
	v_div_fixup_f32 v7, v37, v23, v7
.LBB62_23:                              ;   in Loop: Header=BB62_4 Depth=1
	s_or_b32 exec_lo, exec_lo, s6
	v_sub_f32_e64 v37, 1.0, |v26|
	s_mov_b32 s6, exec_lo
                                        ; implicit-def: $vgpr23
	s_delay_alu instid0(VALU_DEP_1)
	v_cmpx_ngt_f32_e32 0, v37
	s_xor_b32 s6, exec_lo, s6
	s_cbranch_execz .LBB62_27
; %bb.24:                               ;   in Loop: Header=BB62_4 Depth=1
	v_mov_b32_e32 v23, v44
	s_mov_b32 s33, exec_lo
	v_cmpx_neq_f32_e32 0, v37
	s_cbranch_execz .LBB62_26
; %bb.25:                               ;   in Loop: Header=BB62_4 Depth=1
	v_dual_mul_f32 v23, v27, v27 :: v_dual_add_f32 v37, v37, v38
	s_delay_alu instid0(VALU_DEP_1) | instskip(NEXT) | instid1(VALU_DEP_1)
	v_div_scale_f32 v39, null, v37, v37, v23
	v_rcp_f32_e32 v46, v39
	v_nop
	s_delay_alu instid0(TRANS32_DEP_1) | instskip(NEXT) | instid1(VALU_DEP_1)
	v_fma_f32 v47, -v39, v46, 1.0
	v_fmac_f32_e32 v46, v47, v46
	v_div_scale_f32 v47, vcc_lo, v23, v37, v23
	s_delay_alu instid0(VALU_DEP_1) | instskip(NEXT) | instid1(VALU_DEP_1)
	v_mul_f32_e32 v48, v47, v46
	v_fma_f32 v49, -v39, v48, v47
	s_delay_alu instid0(VALU_DEP_1) | instskip(NEXT) | instid1(VALU_DEP_1)
	v_fmac_f32_e32 v48, v49, v46
	v_fma_f32 v39, -v39, v48, v47
	s_delay_alu instid0(VALU_DEP_1) | instskip(NEXT) | instid1(VALU_DEP_1)
	v_div_fmas_f32 v39, v39, v46, v48
	v_div_fixup_f32 v23, v39, v37, v23
.LBB62_26:                              ;   in Loop: Header=BB62_4 Depth=1
	s_or_b32 exec_lo, exec_lo, s33
                                        ; implicit-def: $vgpr37
.LBB62_27:                              ;   in Loop: Header=BB62_4 Depth=1
	s_and_not1_saveexec_b32 s6, s6
; %bb.28:                               ;   in Loop: Header=BB62_4 Depth=1
	v_sub_f32_e32 v23, v38, v37
; %bb.29:                               ;   in Loop: Header=BB62_4 Depth=1
	s_or_b32 exec_lo, exec_lo, s6
	v_mul_f32_e32 v37, 0.5, v7
	s_delay_alu instid0(VALU_DEP_2) | instskip(NEXT) | instid1(VALU_DEP_1)
	v_mul_f32_e32 v7, 0.5, v23
	v_pk_add_f32 v[46:47], v[36:37], v[6:7]
	s_delay_alu instid0(VALU_DEP_1) | instskip(NEXT) | instid1(VALU_DEP_1)
	v_mul_f32_e32 v7, v46, v47
	v_mul_f32_e32 v23, 0x4f800000, v7
	v_cmp_gt_f32_e32 vcc_lo, 0xf800000, v7
	s_delay_alu instid0(VALU_DEP_2) | instskip(NEXT) | instid1(VALU_DEP_1)
	v_cndmask_b32_e32 v7, v7, v23, vcc_lo
	v_sqrt_f32_e32 v23, v7
	v_nop
	s_delay_alu instid0(TRANS32_DEP_1) | instskip(NEXT) | instid1(VALU_DEP_1)
	v_dual_add_nc_u32 v37, -1, v23 :: v_dual_add_nc_u32 v39, 1, v23
	v_dual_fma_f32 v46, -v37, v23, v7 :: v_dual_fma_f32 v48, -v39, v23, v7
	s_delay_alu instid0(VALU_DEP_1) | instskip(NEXT) | instid1(VALU_DEP_1)
	v_cmp_ge_f32_e64 s6, 0, v46
	v_cndmask_b32_e64 v23, v23, v37, s6
	s_delay_alu instid0(VALU_DEP_3) | instskip(NEXT) | instid1(VALU_DEP_1)
	v_cmp_lt_f32_e64 s6, 0, v48
	v_cndmask_b32_e64 v23, v23, v39, s6
	s_delay_alu instid0(VALU_DEP_1) | instskip(NEXT) | instid1(VALU_DEP_1)
	v_mul_f32_e32 v37, 0x37800000, v23
	v_cndmask_b32_e32 v23, v23, v37, vcc_lo
	v_cmp_class_f32_e64 vcc_lo, v7, 0x260
	s_delay_alu instid0(VALU_DEP_2) | instskip(NEXT) | instid1(VALU_DEP_1)
	v_cndmask_b32_e32 v7, v23, v7, vcc_lo
	v_add_f32_e32 v46, v47, v7
	s_delay_alu instid0(VALU_DEP_1) | instskip(NEXT) | instid1(VALU_DEP_1)
	v_add_f32_e32 v49, 1.0, v46
	v_cvt_f64_f32_e32 v[50:51], v49
	v_frexp_mant_f32_e32 v23, v49
	s_delay_alu instid0(VALU_DEP_1) | instskip(NEXT) | instid1(VALU_DEP_3)
	v_cmp_gt_f32_e32 vcc_lo, 0x3f2aaaab, v23
	v_frexp_exp_i32_f64_e32 v7, v[50:51]
	s_delay_alu instid0(VALU_DEP_1) | instskip(SKIP_2) | instid1(VALU_DEP_2)
	v_subrev_co_ci_u32_e64 v7, null, 0, v7, vcc_lo
	v_add_f32_e32 v47, -1.0, v49
	v_cmp_neq_f32_e32 vcc_lo, 0x7f800000, v46
	v_dual_mov_b32 v48, v47 :: v_dual_sub_nc_u32 v23, 0, v7
	s_delay_alu instid0(VALU_DEP_1) | instskip(NEXT) | instid1(VALU_DEP_2)
	v_ldexp_f32 v37, v49, v23
	v_pk_add_f32 v[50:51], v[46:47], v[48:49] neg_lo:[0,1] neg_hi:[0,1]
	s_delay_alu instid0(VALU_DEP_1) | instskip(NEXT) | instid1(VALU_DEP_1)
	v_dual_add_f32 v53, -1.0, v37 :: v_dual_add_f32 v39, 1.0, v51
	v_dual_add_f32 v47, 1.0, v37 :: v_dual_add_f32 v39, v50, v39
	s_delay_alu instid0(VALU_DEP_1) | instskip(NEXT) | instid1(VALU_DEP_2)
	v_add_f32_e32 v48, -1.0, v47
	v_ldexp_f32 v23, v39, v23
	s_delay_alu instid0(VALU_DEP_2) | instskip(NEXT) | instid1(VALU_DEP_1)
	v_dual_sub_f32 v39, v37, v48 :: v_dual_add_f32 v48, 1.0, v53
	v_dual_add_f32 v39, v23, v39 :: v_dual_sub_f32 v37, v37, v48
	s_delay_alu instid0(VALU_DEP_1) | instskip(NEXT) | instid1(VALU_DEP_1)
	v_add_f32_e32 v23, v23, v37
	v_add_f32_e32 v49, v53, v23
	s_delay_alu instid0(VALU_DEP_3) | instskip(NEXT) | instid1(VALU_DEP_1)
	v_add_f32_e32 v54, v47, v39
	v_rcp_f32_e32 v37, v54
	v_nop
	s_delay_alu instid0(TRANS32_DEP_1) | instskip(NEXT) | instid1(VALU_DEP_1)
	v_dual_mul_f32 v55, v49, v37 :: v_dual_sub_f32 v47, v54, v47
	v_mul_f32_e32 v50, v54, v55
	s_delay_alu instid0(VALU_DEP_2) | instskip(NEXT) | instid1(VALU_DEP_2)
	v_sub_f32_e32 v39, v39, v47
	v_dual_fma_f32 v52, v55, v54, -v50 :: v_dual_sub_f32 v47, v49, v53
	s_delay_alu instid0(VALU_DEP_1) | instskip(NEXT) | instid1(VALU_DEP_1)
	v_fmac_f32_e32 v52, v55, v39
	v_dual_sub_f32 v23, v23, v47 :: v_dual_add_f32 v48, v50, v52
	s_delay_alu instid0(VALU_DEP_1) | instskip(NEXT) | instid1(VALU_DEP_1)
	v_dual_sub_f32 v51, v49, v48 :: v_dual_mov_b32 v53, v48
	v_pk_add_f32 v[48:49], v[48:49], v[50:51] neg_lo:[0,1] neg_hi:[0,1]
	s_delay_alu instid0(VALU_DEP_1) | instskip(NEXT) | instid1(VALU_DEP_1)
	v_pk_add_f32 v[48:49], v[48:49], v[52:53] neg_lo:[0,1] neg_hi:[0,1]
	v_add_f32_e32 v23, v23, v49
	s_delay_alu instid0(VALU_DEP_1) | instskip(NEXT) | instid1(VALU_DEP_1)
	v_add_f32_e32 v23, v48, v23
	v_add_f32_e32 v49, v51, v23
	s_delay_alu instid0(VALU_DEP_1) | instskip(NEXT) | instid1(VALU_DEP_1)
	v_mul_f32_e32 v47, v37, v49
	v_mul_f32_e32 v52, v54, v47
	s_delay_alu instid0(VALU_DEP_1) | instskip(NEXT) | instid1(VALU_DEP_1)
	v_fma_f32 v50, v47, v54, -v52
	v_fmac_f32_e32 v50, v47, v39
	s_delay_alu instid0(VALU_DEP_1) | instskip(NEXT) | instid1(VALU_DEP_1)
	v_dual_add_f32 v48, v52, v50 :: v_dual_sub_f32 v39, v51, v49
	v_dual_sub_f32 v53, v49, v48 :: v_dual_mov_b32 v51, v48
	s_delay_alu instid0(VALU_DEP_2) | instskip(SKIP_1) | instid1(VALU_DEP_3)
	v_add_f32_e32 v23, v23, v39
	v_add_f32_e32 v39, v55, v47
	v_pk_add_f32 v[48:49], v[48:49], v[52:53] neg_lo:[0,1] neg_hi:[0,1]
	s_delay_alu instid0(VALU_DEP_1) | instskip(NEXT) | instid1(VALU_DEP_1)
	v_pk_add_f32 v[48:49], v[48:49], v[50:51] neg_lo:[0,1] neg_hi:[0,1]
	v_add_f32_e32 v23, v23, v49
	s_delay_alu instid0(VALU_DEP_1) | instskip(SKIP_1) | instid1(VALU_DEP_1)
	v_add_f32_e32 v23, v48, v23
	v_sub_f32_e32 v48, v39, v55
	v_dual_add_f32 v23, v53, v23 :: v_dual_sub_f32 v47, v47, v48
	v_cvt_f32_i32_e32 v48, v7
	s_delay_alu instid0(VALU_DEP_2) | instskip(NEXT) | instid1(VALU_DEP_1)
	v_mul_f32_e32 v23, v37, v23
	v_add_f32_e32 v37, v47, v23
	s_delay_alu instid0(VALU_DEP_1) | instskip(NEXT) | instid1(VALU_DEP_1)
	v_add_f32_e32 v47, v39, v37
	v_mul_f32_e32 v23, v47, v47
	v_ldexp_f32 v53, v47, 1
	s_delay_alu instid0(VALU_DEP_2) | instskip(NEXT) | instid1(VALU_DEP_1)
	v_dual_fmaak_f32 v50, s23, v23, 0x3ecc95a3 :: v_dual_mul_f32 v49, v47, v23
	v_fmaak_f32 v23, v23, v50, 0x3f2aaada
	s_delay_alu instid0(VALU_DEP_1) | instskip(NEXT) | instid1(VALU_DEP_1)
	v_pk_mul_f32 v[50:51], v[48:49], v[22:23]
	v_fma_f32 v52, 0x3f317218, v48, -v50
	v_mov_b32_e32 v54, v50
	s_delay_alu instid0(VALU_DEP_2) | instskip(NEXT) | instid1(VALU_DEP_1)
	v_fmac_f32_e32 v52, 0xb102e308, v48
	v_pk_add_f32 v[48:49], v[50:51], v[52:53]
	s_delay_alu instid0(VALU_DEP_1) | instskip(NEXT) | instid1(VALU_DEP_2)
	v_dual_sub_f32 v23, v49, v53 :: v_dual_sub_f32 v7, v47, v39
	v_dual_mov_b32 v53, v48 :: v_dual_mov_b32 v62, v49
	s_delay_alu instid0(VALU_DEP_2) | instskip(NEXT) | instid1(VALU_DEP_3)
	v_sub_f32_e32 v23, v51, v23
	v_sub_f32_e32 v7, v37, v7
	v_pk_add_f32 v[50:51], v[48:49], v[50:51] neg_lo:[0,1] neg_hi:[0,1]
	s_delay_alu instid0(VALU_DEP_2) | instskip(NEXT) | instid1(VALU_DEP_1)
	v_ldexp_f32 v7, v7, 1
	v_add_f32_e32 v55, v7, v23
	s_delay_alu instid0(VALU_DEP_1) | instskip(NEXT) | instid1(VALU_DEP_1)
	v_pk_add_f32 v[56:57], v[48:49], v[54:55]
	v_mov_b32_e32 v51, v57
	s_delay_alu instid0(VALU_DEP_1) | instskip(SKIP_2) | instid1(VALU_DEP_3)
	v_pk_add_f32 v[58:59], v[52:53], v[50:51]
	v_mov_b32_e32 v58, v57
	v_pk_add_f32 v[50:51], v[52:53], v[50:51] neg_lo:[0,1] neg_hi:[0,1]
	v_dual_mov_b32 v54, v59 :: v_dual_mov_b32 v51, v59
	s_delay_alu instid0(VALU_DEP_1) | instskip(SKIP_1) | instid1(VALU_DEP_2)
	v_pk_add_f32 v[60:61], v[54:55], v[48:49] neg_lo:[0,1] neg_hi:[0,1]
	v_dual_mov_b32 v49, v48 :: v_dual_mov_b32 v48, v55
	v_dual_mov_b32 v63, v60 :: v_dual_mov_b32 v7, v60
	s_delay_alu instid0(VALU_DEP_1) | instskip(NEXT) | instid1(VALU_DEP_2)
	v_pk_add_f32 v[60:61], v[58:59], v[62:63] neg_lo:[0,1] neg_hi:[0,1]
	v_pk_add_f32 v[52:53], v[56:57], v[6:7] neg_lo:[0,1] neg_hi:[0,1]
	v_mov_b32_e32 v52, v50
	s_delay_alu instid0(VALU_DEP_3) | instskip(NEXT) | instid1(VALU_DEP_1)
	v_pk_add_f32 v[48:49], v[48:49], v[60:61] neg_lo:[0,1] neg_hi:[0,1]
	v_pk_add_f32 v[52:53], v[52:53], v[48:49]
	s_delay_alu instid0(VALU_DEP_1) | instskip(NEXT) | instid1(VALU_DEP_1)
	v_mov_b32_e32 v56, v53
	v_pk_add_f32 v[56:57], v[52:53], v[56:57]
	s_delay_alu instid0(VALU_DEP_1) | instskip(NEXT) | instid1(VALU_DEP_1)
	v_pk_add_f32 v[54:55], v[54:55], v[56:57]
	v_dual_mov_b32 v49, v56 :: v_dual_mov_b32 v53, v54
	s_delay_alu instid0(VALU_DEP_1) | instskip(NEXT) | instid1(VALU_DEP_1)
	v_pk_add_f32 v[58:59], v[52:53], v[50:51] neg_lo:[0,1] neg_hi:[0,1]
	v_sub_f32_e32 v7, v52, v58
	s_delay_alu instid0(VALU_DEP_2) | instskip(NEXT) | instid1(VALU_DEP_2)
	v_pk_add_f32 v[48:49], v[48:49], v[58:59] neg_lo:[0,1] neg_hi:[0,1]
	v_sub_f32_e32 v7, v50, v7
	s_delay_alu instid0(VALU_DEP_1) | instskip(NEXT) | instid1(VALU_DEP_1)
	v_add_f32_e32 v7, v48, v7
	v_add_f32_e32 v7, v7, v49
	s_delay_alu instid0(VALU_DEP_1) | instskip(NEXT) | instid1(VALU_DEP_1)
	v_add_f32_e32 v7, v54, v7
	v_cndmask_b32_e32 v7, 0x7f800000, v7, vcc_lo
	v_cmp_ngt_f32_e32 vcc_lo, -1.0, v46
	s_delay_alu instid0(VALU_DEP_2) | instskip(SKIP_1) | instid1(VALU_DEP_2)
	v_cndmask_b32_e32 v7, 0x7fc00000, v7, vcc_lo
	v_cmp_neq_f32_e32 vcc_lo, -1.0, v46
	v_cndmask_b32_e32 v7, 0xff800000, v7, vcc_lo
	v_cmp_gt_f32_e64 vcc_lo, 0x33800000, |v46|
	s_delay_alu instid0(VALU_DEP_2)
	v_cndmask_b32_e32 v7, v7, v46, vcc_lo
.LBB62_30:                              ;   in Loop: Header=BB62_4 Depth=1
	s_and_not1_saveexec_b32 s31, s31
	s_cbranch_execz .LBB62_36
; %bb.31:                               ;   in Loop: Header=BB62_4 Depth=1
	s_mov_b32 s33, exec_lo
                                        ; implicit-def: $vgpr7
	v_cmpx_nlt_f32_e64 |v26|, 1.0
	s_xor_b32 s33, exec_lo, s33
	s_cbranch_execz .LBB62_33
; %bb.32:                               ;   in Loop: Header=BB62_4 Depth=1
	v_mul_f32_e32 v7, v42, v43
	s_delay_alu instid0(VALU_DEP_1) | instskip(SKIP_1) | instid1(VALU_DEP_2)
	v_mul_f32_e32 v23, 0x4f800000, v7
	v_cmp_gt_f32_e32 vcc_lo, 0xf800000, v7
	v_cndmask_b32_e32 v7, v7, v23, vcc_lo
	s_delay_alu instid0(VALU_DEP_1) | instskip(SKIP_1) | instid1(TRANS32_DEP_1)
	v_sqrt_f32_e32 v23, v7
	v_nop
	v_dual_add_nc_u32 v37, -1, v23 :: v_dual_add_nc_u32 v39, 1, v23
	s_delay_alu instid0(VALU_DEP_1) | instskip(NEXT) | instid1(VALU_DEP_1)
	v_dual_fma_f32 v46, -v37, v23, v7 :: v_dual_fma_f32 v47, -v39, v23, v7
	v_cmp_ge_f32_e64 s6, 0, v46
	s_delay_alu instid0(VALU_DEP_1) | instskip(NEXT) | instid1(VALU_DEP_3)
	v_cndmask_b32_e64 v23, v23, v37, s6
	v_cmp_lt_f32_e64 s6, 0, v47
	s_delay_alu instid0(VALU_DEP_1) | instskip(NEXT) | instid1(VALU_DEP_1)
	v_cndmask_b32_e64 v23, v23, v39, s6
	v_mul_f32_e32 v37, 0x37800000, v23
	s_delay_alu instid0(VALU_DEP_1) | instskip(SKIP_1) | instid1(VALU_DEP_2)
	v_cndmask_b32_e32 v23, v23, v37, vcc_lo
	v_cmp_class_f32_e64 vcc_lo, v7, 0x260
	v_cndmask_b32_e32 v7, v23, v7, vcc_lo
	s_delay_alu instid0(VALU_DEP_1) | instskip(NEXT) | instid1(VALU_DEP_1)
	v_add_f32_e32 v46, v42, v7
	v_add_f32_e32 v49, 1.0, v46
	s_delay_alu instid0(VALU_DEP_1) | instskip(SKIP_2) | instid1(VALU_DEP_2)
	v_cvt_f64_f32_e32 v[50:51], v49
	v_frexp_mant_f32_e32 v23, v49
	v_add_f32_e32 v47, -1.0, v49
	v_cmp_gt_f32_e32 vcc_lo, 0x3f2aaaab, v23
	s_delay_alu instid0(VALU_DEP_2) | instskip(SKIP_1) | instid1(VALU_DEP_2)
	v_mov_b32_e32 v48, v47
	v_frexp_exp_i32_f64_e32 v7, v[50:51]
	v_pk_add_f32 v[50:51], v[46:47], v[48:49] neg_lo:[0,1] neg_hi:[0,1]
	s_delay_alu instid0(VALU_DEP_1) | instskip(NEXT) | instid1(VALU_DEP_3)
	v_add_f32_e32 v39, 1.0, v51
	v_subrev_co_ci_u32_e64 v7, null, 0, v7, vcc_lo
	v_cmp_neq_f32_e32 vcc_lo, 0x7f800000, v46
	s_delay_alu instid0(VALU_DEP_2) | instskip(NEXT) | instid1(VALU_DEP_1)
	v_sub_nc_u32_e32 v23, 0, v7
	v_ldexp_f32 v37, v49, v23
	s_delay_alu instid0(VALU_DEP_1) | instskip(SKIP_1) | instid1(VALU_DEP_1)
	v_dual_add_f32 v47, 1.0, v37 :: v_dual_add_f32 v53, -1.0, v37
	v_add_f32_e32 v39, v50, v39
	v_ldexp_f32 v23, v39, v23
	s_delay_alu instid0(VALU_DEP_3) | instskip(NEXT) | instid1(VALU_DEP_1)
	v_add_f32_e32 v48, -1.0, v47
	v_dual_sub_f32 v39, v37, v48 :: v_dual_add_f32 v48, 1.0, v53
	s_delay_alu instid0(VALU_DEP_1) | instskip(NEXT) | instid1(VALU_DEP_1)
	v_dual_sub_f32 v37, v37, v48 :: v_dual_add_f32 v39, v23, v39
	v_add_f32_e32 v23, v23, v37
	s_delay_alu instid0(VALU_DEP_2) | instskip(NEXT) | instid1(VALU_DEP_2)
	v_add_f32_e32 v54, v47, v39
	v_add_f32_e32 v49, v53, v23
	s_delay_alu instid0(VALU_DEP_2) | instskip(SKIP_1) | instid1(TRANS32_DEP_1)
	v_rcp_f32_e32 v37, v54
	v_nop
	v_mul_f32_e32 v55, v49, v37
	s_delay_alu instid0(VALU_DEP_1) | instskip(NEXT) | instid1(VALU_DEP_1)
	v_mul_f32_e32 v50, v54, v55
	v_dual_fma_f32 v52, v55, v54, -v50 :: v_dual_sub_f32 v47, v54, v47
	s_delay_alu instid0(VALU_DEP_1) | instskip(NEXT) | instid1(VALU_DEP_1)
	v_dual_sub_f32 v39, v39, v47 :: v_dual_sub_f32 v47, v49, v53
	v_fmac_f32_e32 v52, v55, v39
	s_delay_alu instid0(VALU_DEP_1) | instskip(NEXT) | instid1(VALU_DEP_1)
	v_dual_sub_f32 v23, v23, v47 :: v_dual_add_f32 v48, v50, v52
	v_dual_sub_f32 v51, v49, v48 :: v_dual_mov_b32 v53, v48
	s_delay_alu instid0(VALU_DEP_1) | instskip(NEXT) | instid1(VALU_DEP_1)
	v_pk_add_f32 v[48:49], v[48:49], v[50:51] neg_lo:[0,1] neg_hi:[0,1]
	v_pk_add_f32 v[48:49], v[48:49], v[52:53] neg_lo:[0,1] neg_hi:[0,1]
	s_delay_alu instid0(VALU_DEP_1) | instskip(NEXT) | instid1(VALU_DEP_1)
	v_add_f32_e32 v23, v23, v49
	v_add_f32_e32 v23, v48, v23
	s_delay_alu instid0(VALU_DEP_1) | instskip(NEXT) | instid1(VALU_DEP_1)
	v_add_f32_e32 v49, v51, v23
	v_mul_f32_e32 v47, v37, v49
	s_delay_alu instid0(VALU_DEP_1) | instskip(NEXT) | instid1(VALU_DEP_1)
	v_mul_f32_e32 v52, v54, v47
	v_fma_f32 v50, v47, v54, -v52
	s_delay_alu instid0(VALU_DEP_1) | instskip(NEXT) | instid1(VALU_DEP_1)
	v_fmac_f32_e32 v50, v47, v39
	v_dual_sub_f32 v39, v51, v49 :: v_dual_add_f32 v48, v52, v50
	s_delay_alu instid0(VALU_DEP_1) | instskip(NEXT) | instid1(VALU_DEP_2)
	v_add_f32_e32 v23, v23, v39
	v_dual_add_f32 v39, v55, v47 :: v_dual_mov_b32 v51, v48
	v_sub_f32_e32 v53, v49, v48
	s_delay_alu instid0(VALU_DEP_1) | instskip(NEXT) | instid1(VALU_DEP_1)
	v_pk_add_f32 v[48:49], v[48:49], v[52:53] neg_lo:[0,1] neg_hi:[0,1]
	v_pk_add_f32 v[48:49], v[48:49], v[50:51] neg_lo:[0,1] neg_hi:[0,1]
	s_delay_alu instid0(VALU_DEP_1) | instskip(NEXT) | instid1(VALU_DEP_1)
	v_add_f32_e32 v23, v23, v49
	v_add_f32_e32 v23, v48, v23
	v_sub_f32_e32 v48, v39, v55
	s_delay_alu instid0(VALU_DEP_1) | instskip(SKIP_1) | instid1(VALU_DEP_2)
	v_dual_add_f32 v23, v53, v23 :: v_dual_sub_f32 v47, v47, v48
	v_cvt_f32_i32_e32 v48, v7
	v_mul_f32_e32 v23, v37, v23
	s_delay_alu instid0(VALU_DEP_1) | instskip(NEXT) | instid1(VALU_DEP_1)
	v_add_f32_e32 v37, v47, v23
	v_add_f32_e32 v47, v39, v37
	s_delay_alu instid0(VALU_DEP_1) | instskip(SKIP_1) | instid1(VALU_DEP_2)
	v_mul_f32_e32 v23, v47, v47
	v_ldexp_f32 v53, v47, 1
	v_dual_fmaak_f32 v50, s23, v23, 0x3ecc95a3 :: v_dual_mul_f32 v49, v47, v23
	s_delay_alu instid0(VALU_DEP_1) | instskip(NEXT) | instid1(VALU_DEP_1)
	v_fmaak_f32 v23, v23, v50, 0x3f2aaada
	v_pk_mul_f32 v[50:51], v[48:49], v[22:23]
	s_delay_alu instid0(VALU_DEP_1) | instskip(SKIP_1) | instid1(VALU_DEP_2)
	v_fma_f32 v52, 0x3f317218, v48, -v50
	v_mov_b32_e32 v54, v50
	v_fmac_f32_e32 v52, 0xb102e308, v48
	s_delay_alu instid0(VALU_DEP_1) | instskip(NEXT) | instid1(VALU_DEP_1)
	v_pk_add_f32 v[48:49], v[50:51], v[52:53]
	v_dual_sub_f32 v23, v49, v53 :: v_dual_sub_f32 v7, v47, v39
	s_delay_alu instid0(VALU_DEP_2) | instskip(NEXT) | instid1(VALU_DEP_2)
	v_dual_mov_b32 v53, v48 :: v_dual_mov_b32 v62, v49
	v_sub_f32_e32 v23, v51, v23
	s_delay_alu instid0(VALU_DEP_3) | instskip(SKIP_1) | instid1(VALU_DEP_2)
	v_sub_f32_e32 v7, v37, v7
	v_pk_add_f32 v[50:51], v[48:49], v[50:51] neg_lo:[0,1] neg_hi:[0,1]
	v_ldexp_f32 v7, v7, 1
	s_delay_alu instid0(VALU_DEP_1) | instskip(NEXT) | instid1(VALU_DEP_1)
	v_add_f32_e32 v55, v7, v23
	v_pk_add_f32 v[56:57], v[48:49], v[54:55]
	s_delay_alu instid0(VALU_DEP_1) | instskip(NEXT) | instid1(VALU_DEP_1)
	v_mov_b32_e32 v51, v57
	v_pk_add_f32 v[58:59], v[52:53], v[50:51]
	v_mov_b32_e32 v58, v57
	v_pk_add_f32 v[50:51], v[52:53], v[50:51] neg_lo:[0,1] neg_hi:[0,1]
	s_delay_alu instid0(VALU_DEP_3) | instskip(NEXT) | instid1(VALU_DEP_1)
	v_dual_mov_b32 v54, v59 :: v_dual_mov_b32 v51, v59
	v_pk_add_f32 v[60:61], v[54:55], v[48:49] neg_lo:[0,1] neg_hi:[0,1]
	v_dual_mov_b32 v49, v48 :: v_dual_mov_b32 v48, v55
	s_delay_alu instid0(VALU_DEP_2) | instskip(NEXT) | instid1(VALU_DEP_1)
	v_dual_mov_b32 v63, v60 :: v_dual_mov_b32 v7, v60
	v_pk_add_f32 v[60:61], v[58:59], v[62:63] neg_lo:[0,1] neg_hi:[0,1]
	s_delay_alu instid0(VALU_DEP_2) | instskip(SKIP_1) | instid1(VALU_DEP_3)
	v_pk_add_f32 v[52:53], v[56:57], v[6:7] neg_lo:[0,1] neg_hi:[0,1]
	v_mov_b32_e32 v52, v50
	v_pk_add_f32 v[48:49], v[48:49], v[60:61] neg_lo:[0,1] neg_hi:[0,1]
	s_delay_alu instid0(VALU_DEP_1) | instskip(NEXT) | instid1(VALU_DEP_1)
	v_pk_add_f32 v[52:53], v[52:53], v[48:49]
	v_mov_b32_e32 v56, v53
	s_delay_alu instid0(VALU_DEP_1) | instskip(NEXT) | instid1(VALU_DEP_1)
	v_pk_add_f32 v[56:57], v[52:53], v[56:57]
	v_pk_add_f32 v[54:55], v[54:55], v[56:57]
	s_delay_alu instid0(VALU_DEP_1) | instskip(NEXT) | instid1(VALU_DEP_1)
	v_dual_mov_b32 v49, v56 :: v_dual_mov_b32 v53, v54
	v_pk_add_f32 v[58:59], v[52:53], v[50:51] neg_lo:[0,1] neg_hi:[0,1]
	s_delay_alu instid0(VALU_DEP_1) | instskip(NEXT) | instid1(VALU_DEP_2)
	v_sub_f32_e32 v7, v52, v58
	v_pk_add_f32 v[48:49], v[48:49], v[58:59] neg_lo:[0,1] neg_hi:[0,1]
	s_delay_alu instid0(VALU_DEP_2) | instskip(NEXT) | instid1(VALU_DEP_1)
	v_sub_f32_e32 v7, v50, v7
	v_add_f32_e32 v7, v48, v7
	s_delay_alu instid0(VALU_DEP_1) | instskip(NEXT) | instid1(VALU_DEP_1)
	v_add_f32_e32 v7, v7, v49
	v_add_f32_e32 v7, v54, v7
	s_delay_alu instid0(VALU_DEP_1) | instskip(SKIP_1) | instid1(VALU_DEP_2)
	v_cndmask_b32_e32 v7, 0x7f800000, v7, vcc_lo
	v_cmp_ngt_f32_e32 vcc_lo, -1.0, v46
	v_cndmask_b32_e32 v7, 0x7fc00000, v7, vcc_lo
	v_cmp_neq_f32_e32 vcc_lo, -1.0, v46
	s_delay_alu instid0(VALU_DEP_2) | instskip(SKIP_1) | instid1(VALU_DEP_2)
	v_cndmask_b32_e32 v7, 0xff800000, v7, vcc_lo
	v_cmp_gt_f32_e64 vcc_lo, 0x33800000, |v46|
	v_cndmask_b32_e32 v7, v7, v46, vcc_lo
.LBB62_33:                              ;   in Loop: Header=BB62_4 Depth=1
	s_and_not1_saveexec_b32 s33, s33
	s_cbranch_execz .LBB62_35
; %bb.34:                               ;   in Loop: Header=BB62_4 Depth=1
	v_sub_f32_e64 v7, 1.0, |v26|
	s_delay_alu instid0(VALU_DEP_1) | instskip(NEXT) | instid1(VALU_DEP_1)
	v_mul_f32_e32 v7, v7, v43
	v_mul_f32_e32 v23, 0x4f800000, v7
	v_cmp_gt_f32_e32 vcc_lo, 0xf800000, v7
	s_delay_alu instid0(VALU_DEP_2) | instskip(NEXT) | instid1(VALU_DEP_1)
	v_cndmask_b32_e32 v7, v7, v23, vcc_lo
	v_sqrt_f32_e32 v23, v7
	v_nop
	s_delay_alu instid0(TRANS32_DEP_1) | instskip(NEXT) | instid1(VALU_DEP_1)
	v_dual_add_nc_u32 v37, -1, v23 :: v_dual_add_nc_u32 v39, 1, v23
	v_dual_fma_f32 v46, -v37, v23, v7 :: v_dual_fma_f32 v47, -v39, v23, v7
	s_delay_alu instid0(VALU_DEP_1) | instskip(NEXT) | instid1(VALU_DEP_1)
	v_cmp_ge_f32_e64 s6, 0, v46
	v_cndmask_b32_e64 v23, v23, v37, s6
	s_delay_alu instid0(VALU_DEP_3) | instskip(NEXT) | instid1(VALU_DEP_1)
	v_cmp_lt_f32_e64 s6, 0, v47
	v_cndmask_b32_e64 v23, v23, v39, s6
	s_delay_alu instid0(VALU_DEP_1) | instskip(NEXT) | instid1(VALU_DEP_1)
	v_mul_f32_e32 v37, 0x37800000, v23
	v_cndmask_b32_e32 v23, v23, v37, vcc_lo
	v_cmp_class_f32_e64 vcc_lo, v7, 0x260
	v_and_b32_e32 v37, 0x7fffffff, v27
	s_delay_alu instid0(VALU_DEP_3) | instskip(NEXT) | instid1(VALU_DEP_1)
	v_cndmask_b32_e32 v7, v23, v7, vcc_lo
	v_div_scale_f32 v23, null, v7, v7, v37
	v_div_scale_f32 v37, vcc_lo, v37, v7, v37
	s_delay_alu instid0(VALU_DEP_2) | instskip(SKIP_1) | instid1(TRANS32_DEP_1)
	v_rcp_f32_e32 v39, v23
	v_nop
	v_fma_f32 v46, -v23, v39, 1.0
	s_delay_alu instid0(VALU_DEP_1) | instskip(NEXT) | instid1(VALU_DEP_1)
	v_fmac_f32_e32 v39, v46, v39
	v_mul_f32_e32 v46, v37, v39
	s_delay_alu instid0(VALU_DEP_1) | instskip(NEXT) | instid1(VALU_DEP_1)
	v_fma_f32 v47, -v23, v46, v37
	v_fmac_f32_e32 v46, v47, v39
	s_delay_alu instid0(VALU_DEP_1) | instskip(NEXT) | instid1(VALU_DEP_1)
	v_fma_f32 v23, -v23, v46, v37
	v_div_fmas_f32 v23, v23, v39, v46
	s_delay_alu instid0(VALU_DEP_1)
	v_div_fixup_f32 v7, v23, v7, |v27|
.LBB62_35:                              ;   in Loop: Header=BB62_4 Depth=1
	s_or_b32 exec_lo, exec_lo, s33
.LBB62_36:                              ;   in Loop: Header=BB62_4 Depth=1
	s_delay_alu instid0(SALU_CYCLE_1)
	s_or_b32 exec_lo, exec_lo, s31
.LBB62_37:                              ;   in Loop: Header=BB62_4 Depth=1
	s_and_not1_saveexec_b32 s30, s30
	s_cbranch_execz .LBB62_39
; %bb.38:                               ;   in Loop: Header=BB62_4 Depth=1
	v_mul_f32_e64 v7, 0x4f800000, |v27|
	v_cmp_gt_f32_e64 vcc_lo, 0xf800000, |v27|
	s_delay_alu instid0(VALU_DEP_1) | instskip(NEXT) | instid1(VALU_DEP_1)
	v_cndmask_b32_e64 v7, |v27|, v7, vcc_lo
	v_sqrt_f32_e32 v23, v7
	v_nop
	s_delay_alu instid0(TRANS32_DEP_1) | instskip(NEXT) | instid1(VALU_DEP_1)
	v_dual_add_nc_u32 v37, -1, v23 :: v_dual_add_nc_u32 v39, 1, v23
	v_dual_fma_f32 v46, -v37, v23, v7 :: v_dual_fma_f32 v47, -v39, v23, v7
	s_delay_alu instid0(VALU_DEP_1) | instskip(NEXT) | instid1(VALU_DEP_1)
	v_cmp_ge_f32_e64 s6, 0, v46
	v_cndmask_b32_e64 v23, v23, v37, s6
	s_delay_alu instid0(VALU_DEP_3) | instskip(NEXT) | instid1(VALU_DEP_1)
	v_cmp_lt_f32_e64 s6, 0, v47
	v_cndmask_b32_e64 v23, v23, v39, s6
	s_delay_alu instid0(VALU_DEP_1) | instskip(NEXT) | instid1(VALU_DEP_1)
	v_mul_f32_e32 v37, 0x37800000, v23
	v_cndmask_b32_e32 v23, v23, v37, vcc_lo
	v_cmp_class_f32_e64 vcc_lo, v7, 0x260
	s_delay_alu instid0(VALU_DEP_2)
	v_cndmask_b32_e32 v7, v23, v7, vcc_lo
.LBB62_39:                              ;   in Loop: Header=BB62_4 Depth=1
	s_or_b32 exec_lo, exec_lo, s30
.LBB62_40:                              ;   in Loop: Header=BB62_4 Depth=1
	s_delay_alu instid0(SALU_CYCLE_1)
	s_or_b32 exec_lo, exec_lo, s7
	v_and_b32_e32 v39, 0x7fffffff, v26
	s_mov_b32 s30, exec_lo
                                        ; implicit-def: $sgpr6
                                        ; implicit-def: $vgpr23
	v_cmpx_ngt_f32_e64 0x21000000, |v26|
	s_xor_b32 s30, exec_lo, s30
	s_cbranch_execz .LBB62_64
; %bb.41:                               ;   in Loop: Header=BB62_4 Depth=1
	v_div_scale_f32 v23, null, v36, v36, v39
	s_mov_b32 s6, 0
	s_mov_b32 s31, exec_lo
	v_rcp_f32_e32 v37, v23
	v_nop
	s_delay_alu instid0(TRANS32_DEP_1) | instskip(NEXT) | instid1(VALU_DEP_1)
	v_fma_f32 v46, -v23, v37, 1.0
	v_fmac_f32_e32 v37, v46, v37
	v_div_scale_f32 v46, vcc_lo, v39, v36, v39
	s_delay_alu instid0(VALU_DEP_1) | instskip(NEXT) | instid1(VALU_DEP_1)
	v_mul_f32_e32 v47, v46, v37
	v_fma_f32 v48, -v23, v47, v46
	s_delay_alu instid0(VALU_DEP_1) | instskip(NEXT) | instid1(VALU_DEP_1)
	v_fmac_f32_e32 v47, v48, v37
	v_fma_f32 v23, -v23, v47, v46
	s_delay_alu instid0(VALU_DEP_1) | instskip(NEXT) | instid1(VALU_DEP_1)
	v_div_fmas_f32 v23, v23, v37, v47
	v_div_fixup_f32 v23, v23, v36, |v26|
	s_delay_alu instid0(VALU_DEP_1)
	v_cmpx_lt_f32_e32 0x3f244674, v23
	s_cbranch_execz .LBB62_63
; %bb.42:                               ;   in Loop: Header=BB62_4 Depth=1
	v_cmp_neq_f32_e64 s6, |v26|, 1.0
	v_cmp_ngt_f32_e64 s7, 0x30800000, |v27|
	s_or_b32 s6, s7, s6
	s_delay_alu instid0(SALU_CYCLE_1) | instskip(NEXT) | instid1(SALU_CYCLE_1)
	s_and_saveexec_b32 s7, s6
	s_xor_b32 s7, exec_lo, s7
	s_cbranch_execz .LBB62_60
; %bb.43:                               ;   in Loop: Header=BB62_4 Depth=1
	v_mul_f32_e64 v37, 0x34000000, |v42|
	s_mov_b32 s33, exec_lo
	s_delay_alu instid0(VALU_DEP_1)
	v_cmpx_ge_f32_e64 |v27|, v37
	s_xor_b32 s33, exec_lo, s33
	s_cbranch_execz .LBB62_53
; %bb.44:                               ;   in Loop: Header=BB62_4 Depth=1
	v_mov_b32_e32 v37, v44
	s_mov_b32 s6, exec_lo
	v_cmpx_neq_f32_e32 0, v43
	s_cbranch_execz .LBB62_46
; %bb.45:                               ;   in Loop: Header=BB62_4 Depth=1
	v_mul_f32_e32 v37, v27, v27
	v_add_f32_e32 v43, v43, v45
	s_delay_alu instid0(VALU_DEP_1) | instskip(NEXT) | instid1(VALU_DEP_1)
	v_div_scale_f32 v45, null, v43, v43, v37
	v_rcp_f32_e32 v46, v45
	v_nop
	s_delay_alu instid0(TRANS32_DEP_1) | instskip(NEXT) | instid1(VALU_DEP_1)
	v_fma_f32 v47, -v45, v46, 1.0
	v_fmac_f32_e32 v46, v47, v46
	v_div_scale_f32 v47, vcc_lo, v37, v43, v37
	s_delay_alu instid0(VALU_DEP_1) | instskip(NEXT) | instid1(VALU_DEP_1)
	v_mul_f32_e32 v48, v47, v46
	v_fma_f32 v49, -v45, v48, v47
	s_delay_alu instid0(VALU_DEP_1) | instskip(NEXT) | instid1(VALU_DEP_1)
	v_fmac_f32_e32 v48, v49, v46
	v_fma_f32 v45, -v45, v48, v47
	s_delay_alu instid0(VALU_DEP_1) | instskip(NEXT) | instid1(VALU_DEP_1)
	v_div_fmas_f32 v45, v45, v46, v48
	v_div_fixup_f32 v37, v45, v43, v37
.LBB62_46:                              ;   in Loop: Header=BB62_4 Depth=1
	s_or_b32 exec_lo, exec_lo, s6
	s_delay_alu instid0(SALU_CYCLE_1)
	s_mov_b32 s6, exec_lo
	v_cmpx_ngt_f32_e32 0, v42
	s_xor_b32 s6, exec_lo, s6
	s_cbranch_execz .LBB62_50
; %bb.47:                               ;   in Loop: Header=BB62_4 Depth=1
	s_mov_b32 s34, exec_lo
	v_cmpx_neq_f32_e32 0, v42
	s_cbranch_execz .LBB62_49
; %bb.48:                               ;   in Loop: Header=BB62_4 Depth=1
	v_dual_mul_f32 v43, v27, v27 :: v_dual_add_f32 v38, v42, v38
	s_delay_alu instid0(VALU_DEP_1) | instskip(NEXT) | instid1(VALU_DEP_1)
	v_div_scale_f32 v42, null, v38, v38, v43
	v_rcp_f32_e32 v44, v42
	v_nop
	s_delay_alu instid0(TRANS32_DEP_1) | instskip(NEXT) | instid1(VALU_DEP_1)
	v_fma_f32 v45, -v42, v44, 1.0
	v_fmac_f32_e32 v44, v45, v44
	v_div_scale_f32 v45, vcc_lo, v43, v38, v43
	s_delay_alu instid0(VALU_DEP_1) | instskip(NEXT) | instid1(VALU_DEP_1)
	v_mul_f32_e32 v46, v45, v44
	v_fma_f32 v47, -v42, v46, v45
	s_delay_alu instid0(VALU_DEP_1) | instskip(NEXT) | instid1(VALU_DEP_1)
	v_fmac_f32_e32 v46, v47, v44
	v_fma_f32 v42, -v42, v46, v45
	s_delay_alu instid0(VALU_DEP_1) | instskip(NEXT) | instid1(VALU_DEP_1)
	v_div_fmas_f32 v42, v42, v44, v46
	v_div_fixup_f32 v44, v42, v38, v43
.LBB62_49:                              ;   in Loop: Header=BB62_4 Depth=1
	s_or_b32 exec_lo, exec_lo, s34
                                        ; implicit-def: $vgpr38
                                        ; implicit-def: $vgpr42
.LBB62_50:                              ;   in Loop: Header=BB62_4 Depth=1
	s_and_not1_saveexec_b32 s6, s6
; %bb.51:                               ;   in Loop: Header=BB62_4 Depth=1
	v_sub_f32_e32 v44, v38, v42
; %bb.52:                               ;   in Loop: Header=BB62_4 Depth=1
	s_or_b32 exec_lo, exec_lo, s6
	s_delay_alu instid0(VALU_DEP_1) | instskip(SKIP_1) | instid1(VALU_DEP_1)
	v_dual_mul_f32 v43, 0.5, v37 :: v_dual_mul_f32 v37, 0.5, v44
	v_and_b32_e32 v42, 0x7fffffff, v26
	v_pk_add_f32 v[36:37], v[42:43], v[36:37]
	s_delay_alu instid0(VALU_DEP_1) | instskip(NEXT) | instid1(VALU_DEP_1)
	v_mul_f32_e32 v36, v36, v37
	v_mul_f32_e32 v37, 0x4f800000, v36
	v_cmp_gt_f32_e32 vcc_lo, 0xf800000, v36
	s_delay_alu instid0(VALU_DEP_2) | instskip(NEXT) | instid1(VALU_DEP_1)
	v_cndmask_b32_e32 v36, v36, v37, vcc_lo
	v_sqrt_f32_e32 v37, v36
	v_nop
	s_delay_alu instid0(TRANS32_DEP_1) | instskip(NEXT) | instid1(VALU_DEP_1)
	v_dual_add_nc_u32 v38, -1, v37 :: v_dual_add_nc_u32 v42, 1, v37
	v_fma_f32 v43, -v38, v37, v36
	s_delay_alu instid0(VALU_DEP_2) | instskip(NEXT) | instid1(VALU_DEP_2)
	v_fma_f32 v44, -v42, v37, v36
	v_cmp_ge_f32_e64 s6, 0, v43
                                        ; implicit-def: $vgpr43
	s_delay_alu instid0(VALU_DEP_1) | instskip(NEXT) | instid1(VALU_DEP_3)
	v_cndmask_b32_e64 v37, v37, v38, s6
	v_cmp_lt_f32_e64 s6, 0, v44
	s_delay_alu instid0(VALU_DEP_1) | instskip(NEXT) | instid1(VALU_DEP_1)
	v_cndmask_b32_e64 v37, v37, v42, s6
                                        ; implicit-def: $vgpr42
	v_mul_f32_e32 v38, 0x37800000, v37
	s_delay_alu instid0(VALU_DEP_1) | instskip(SKIP_1) | instid1(VALU_DEP_2)
	v_cndmask_b32_e32 v37, v37, v38, vcc_lo
	v_cmp_class_f32_e64 vcc_lo, v36, 0x260
	v_cndmask_b32_e32 v38, v37, v36, vcc_lo
.LBB62_53:                              ;   in Loop: Header=BB62_4 Depth=1
	s_and_not1_saveexec_b32 s33, s33
	s_cbranch_execz .LBB62_59
; %bb.54:                               ;   in Loop: Header=BB62_4 Depth=1
	s_mov_b32 s34, exec_lo
	v_cmpx_ngt_f32_e64 |v26|, 1.0
	s_xor_b32 s34, exec_lo, s34
	s_cbranch_execz .LBB62_56
; %bb.55:                               ;   in Loop: Header=BB62_4 Depth=1
	v_sub_f32_e64 v36, 1.0, |v26|
	s_delay_alu instid0(VALU_DEP_1) | instskip(NEXT) | instid1(VALU_DEP_1)
	v_mul_f32_e32 v36, v36, v43
	v_mul_f32_e32 v37, 0x4f800000, v36
	v_cmp_gt_f32_e32 vcc_lo, 0xf800000, v36
	s_delay_alu instid0(VALU_DEP_2) | instskip(NEXT) | instid1(VALU_DEP_1)
	v_cndmask_b32_e32 v36, v36, v37, vcc_lo
	v_sqrt_f32_e32 v37, v36
	v_nop
	s_delay_alu instid0(TRANS32_DEP_1) | instskip(NEXT) | instid1(VALU_DEP_1)
	v_dual_add_nc_u32 v38, -1, v37 :: v_dual_add_nc_u32 v42, 1, v37
	v_fma_f32 v43, -v38, v37, v36
	s_delay_alu instid0(VALU_DEP_2) | instskip(NEXT) | instid1(VALU_DEP_2)
	v_fma_f32 v44, -v42, v37, v36
	v_cmp_ge_f32_e64 s6, 0, v43
                                        ; implicit-def: $vgpr43
	s_delay_alu instid0(VALU_DEP_1) | instskip(NEXT) | instid1(VALU_DEP_3)
	v_cndmask_b32_e64 v37, v37, v38, s6
	v_cmp_lt_f32_e64 s6, 0, v44
	s_delay_alu instid0(VALU_DEP_1) | instskip(NEXT) | instid1(VALU_DEP_1)
	v_cndmask_b32_e64 v37, v37, v42, s6
                                        ; implicit-def: $vgpr42
	v_mul_f32_e32 v38, 0x37800000, v37
	s_delay_alu instid0(VALU_DEP_1) | instskip(SKIP_1) | instid1(VALU_DEP_2)
	v_cndmask_b32_e32 v37, v37, v38, vcc_lo
	v_cmp_class_f32_e64 vcc_lo, v36, 0x260
	v_cndmask_b32_e32 v38, v37, v36, vcc_lo
.LBB62_56:                              ;   in Loop: Header=BB62_4 Depth=1
	s_and_not1_saveexec_b32 s34, s34
	s_cbranch_execz .LBB62_58
; %bb.57:                               ;   in Loop: Header=BB62_4 Depth=1
	v_mul_f32_e32 v36, v43, v42
	s_delay_alu instid0(VALU_DEP_1) | instskip(SKIP_1) | instid1(VALU_DEP_2)
	v_mul_f32_e32 v37, 0x4f800000, v36
	v_cmp_gt_f32_e32 vcc_lo, 0xf800000, v36
	v_cndmask_b32_e32 v36, v36, v37, vcc_lo
	s_delay_alu instid0(VALU_DEP_1) | instskip(SKIP_1) | instid1(TRANS32_DEP_1)
	v_sqrt_f32_e32 v37, v36
	v_nop
	v_dual_add_nc_u32 v38, -1, v37 :: v_dual_add_nc_u32 v39, 1, v37
	s_delay_alu instid0(VALU_DEP_1) | instskip(NEXT) | instid1(VALU_DEP_1)
	v_dual_fma_f32 v42, -v38, v37, v36 :: v_dual_fma_f32 v43, -v39, v37, v36
	v_cmp_ge_f32_e64 s6, 0, v42
	s_delay_alu instid0(VALU_DEP_1) | instskip(NEXT) | instid1(VALU_DEP_3)
	v_cndmask_b32_e64 v37, v37, v38, s6
	v_cmp_lt_f32_e64 s6, 0, v43
	s_delay_alu instid0(VALU_DEP_1) | instskip(SKIP_1) | instid1(VALU_DEP_2)
	v_cndmask_b32_e64 v37, v37, v39, s6
	v_mul_f32_e64 v39, 0x57800000, |v27|
	v_mul_f32_e32 v38, 0x37800000, v37
	s_delay_alu instid0(VALU_DEP_1) | instskip(SKIP_1) | instid1(VALU_DEP_4)
	v_cndmask_b32_e32 v37, v37, v38, vcc_lo
	v_cmp_class_f32_e64 vcc_lo, v36, 0x260
	v_mul_f32_e64 v38, |v26|, v39
	s_delay_alu instid0(VALU_DEP_3) | instskip(NEXT) | instid1(VALU_DEP_1)
	v_cndmask_b32_e32 v36, v37, v36, vcc_lo
	v_div_scale_f32 v37, null, v36, v36, v38
	v_div_scale_f32 v43, vcc_lo, v38, v36, v38
	s_delay_alu instid0(VALU_DEP_2) | instskip(SKIP_1) | instid1(TRANS32_DEP_1)
	v_rcp_f32_e32 v39, v37
	v_nop
	v_fma_f32 v42, -v37, v39, 1.0
	s_delay_alu instid0(VALU_DEP_1) | instskip(NEXT) | instid1(VALU_DEP_1)
	v_fmac_f32_e32 v39, v42, v39
	v_mul_f32_e32 v42, v43, v39
	s_delay_alu instid0(VALU_DEP_1) | instskip(NEXT) | instid1(VALU_DEP_1)
	v_fma_f32 v44, -v37, v42, v43
	v_fmac_f32_e32 v42, v44, v39
	s_delay_alu instid0(VALU_DEP_1) | instskip(NEXT) | instid1(VALU_DEP_1)
	v_fma_f32 v37, -v37, v42, v43
	v_div_fmas_f32 v37, v37, v39, v42
	v_mul_f32_e64 v39, 0x57800000, |v26|
	s_delay_alu instid0(VALU_DEP_2)
	v_div_fixup_f32 v38, v37, v36, v38
.LBB62_58:                              ;   in Loop: Header=BB62_4 Depth=1
	s_or_b32 exec_lo, exec_lo, s34
.LBB62_59:                              ;   in Loop: Header=BB62_4 Depth=1
	s_delay_alu instid0(SALU_CYCLE_1)
	s_or_b32 exec_lo, exec_lo, s33
                                        ; implicit-def: $vgpr36
.LBB62_60:                              ;   in Loop: Header=BB62_4 Depth=1
	s_and_not1_saveexec_b32 s33, s7
	s_cbranch_execz .LBB62_62
; %bb.61:                               ;   in Loop: Header=BB62_4 Depth=1
	v_add_f32_e32 v36, 1.0, v36
	v_mul_f32_e64 v37, 0x4f800000, |v27|
	v_cmp_gt_f32_e64 vcc_lo, 0xf800000, |v27|
	s_delay_alu instid0(VALU_DEP_3) | instskip(NEXT) | instid1(VALU_DEP_2)
	v_mul_f32_e32 v36, 0.5, v36
	v_cndmask_b32_e64 v37, |v27|, v37, vcc_lo
	s_delay_alu instid0(VALU_DEP_2) | instskip(SKIP_1) | instid1(VALU_DEP_1)
	v_mul_f32_e32 v38, 0x4f800000, v36
	v_cmp_gt_f32_e64 s6, 0xf800000, v36
	v_cndmask_b32_e64 v36, v36, v38, s6
	s_delay_alu instid0(VALU_DEP_4) | instskip(SKIP_1) | instid1(TRANS32_DEP_1)
	v_sqrt_f32_e32 v38, v37
	v_nop
	v_add_nc_u32_e32 v44, 1, v38
	s_delay_alu instid0(VALU_DEP_3) | instskip(NEXT) | instid1(VALU_DEP_1)
	v_sqrt_f32_e32 v39, v36
	v_dual_add_nc_u32 v42, -1, v38 :: v_dual_fma_f32 v48, -v44, v38, v37
	s_delay_alu instid0(TRANS32_DEP_1) | instid1(VALU_DEP_1)
	v_dual_fma_f32 v45, -v42, v38, v37 :: v_dual_add_nc_u32 v46, 1, v39
	v_add_nc_u32_e32 v43, -1, v39
	s_delay_alu instid0(VALU_DEP_2) | instskip(NEXT) | instid1(VALU_DEP_1)
	v_cmp_ge_f32_e64 s7, 0, v45
	v_dual_fma_f32 v47, -v43, v39, v36 :: v_dual_cndmask_b32 v38, v38, v42, s7
	s_delay_alu instid0(VALU_DEP_4) | instskip(NEXT) | instid1(VALU_DEP_2)
	v_fma_f32 v42, -v46, v39, v36
	v_cmp_ge_f32_e64 s7, 0, v47
	s_delay_alu instid0(VALU_DEP_1) | instskip(SKIP_1) | instid1(VALU_DEP_1)
	v_cndmask_b32_e64 v39, v39, v43, s7
	v_cmp_lt_f32_e64 s7, 0, v48
	v_cndmask_b32_e64 v38, v38, v44, s7
	v_cmp_lt_f32_e64 s7, 0, v42
	s_delay_alu instid0(VALU_DEP_1) | instskip(NEXT) | instid1(VALU_DEP_1)
	v_cndmask_b32_e64 v39, v39, v46, s7
	v_mul_f32_e32 v43, 0x37800000, v39
	s_delay_alu instid0(VALU_DEP_1) | instskip(SKIP_1) | instid1(VALU_DEP_1)
	v_cndmask_b32_e64 v39, v39, v43, s6
	v_mul_f32_e32 v42, 0x37800000, v38
	v_cndmask_b32_e32 v38, v38, v42, vcc_lo
	v_cmp_class_f32_e64 vcc_lo, v37, 0x260
	s_delay_alu instid0(VALU_DEP_2) | instskip(SKIP_2) | instid1(VALU_DEP_1)
	v_cndmask_b32_e32 v37, v38, v37, vcc_lo
	v_cmp_class_f32_e64 vcc_lo, v36, 0x260
	v_dual_cndmask_b32 v36, v39, v36 :: v_dual_mov_b32 v39, 1.0
	v_mul_f32_e32 v38, v37, v36
.LBB62_62:                              ;   in Loop: Header=BB62_4 Depth=1
	s_or_b32 exec_lo, exec_lo, s33
	s_delay_alu instid0(SALU_CYCLE_1)
	s_mov_b32 s6, exec_lo
.LBB62_63:                              ;   in Loop: Header=BB62_4 Depth=1
	s_or_b32 exec_lo, exec_lo, s31
                                        ; implicit-def: $vgpr36
.LBB62_64:                              ;   in Loop: Header=BB62_4 Depth=1
	s_and_not1_saveexec_b32 s7, s30
; %bb.65:                               ;   in Loop: Header=BB62_4 Depth=1
	v_mov_b32_e32 v37, v39
	s_or_b32 s6, s6, exec_lo
                                        ; implicit-def: $vgpr23
	s_delay_alu instid0(VALU_DEP_1)
	v_pk_mul_f32 v[38:39], v[36:37], s[22:23] op_sel_hi:[1,0]
; %bb.66:                               ;   in Loop: Header=BB62_4 Depth=1
	s_or_b32 exec_lo, exec_lo, s7
	s_xor_b32 s6, s6, -1
                                        ; implicit-def: $vgpr36
	s_delay_alu instid0(SALU_CYCLE_1) | instskip(NEXT) | instid1(SALU_CYCLE_1)
	s_and_saveexec_b32 s7, s6
	s_xor_b32 s6, exec_lo, s7
	s_cbranch_execz .LBB62_68
; %bb.67:                               ;   in Loop: Header=BB62_4 Depth=1
	v_fma_f32 v36, |v23|, -0.5, 0.5
	v_mul_f32_e32 v37, v23, v23
	v_cmp_ge_f32_e64 vcc_lo, |v23|, 0.5
	s_delay_alu instid0(VALU_DEP_2) | instskip(SKIP_1) | instid1(VALU_DEP_2)
	v_cndmask_b32_e32 v36, v37, v36, vcc_lo
	v_cmp_lt_f32_e64 vcc_lo, |v23|, 0.5
	v_fmaak_f32 v37, s24, v36, 0x3c5fc5da
	v_sqrt_f32_e32 v38, v36
	s_delay_alu instid0(VALU_DEP_1) | instskip(NEXT) | instid1(VALU_DEP_1)
	v_fmaak_f32 v37, v36, v37, 0x3d034c3c
	v_fmaak_f32 v37, v36, v37, 0x3d3641b1
	s_delay_alu instid0(VALU_DEP_1) | instskip(NEXT) | instid1(VALU_DEP_1)
	v_fmaak_f32 v37, v36, v37, 0x3d999bc8
	v_fmaak_f32 v37, v36, v37, 0x3e2aaaac
	s_delay_alu instid0(VALU_DEP_1)
	v_mul_f32_e32 v36, v36, v37
	s_delay_alu instid0(TRANS32_DEP_1) | instid1(VALU_DEP_1)
	v_fmac_f32_e32 v38, v38, v36
	s_delay_alu instid0(VALU_DEP_1) | instskip(NEXT) | instid1(VALU_DEP_1)
	v_add_f32_e32 v37, v38, v38
                                        ; implicit-def: $vgpr39
	v_sub_f32_e32 v37, 0x3fc90fdb, v37
	v_fma_f32 v36, |v23|, v36, |v23|
	s_delay_alu instid0(VALU_DEP_1) | instskip(NEXT) | instid1(VALU_DEP_1)
	v_cndmask_b32_e32 v36, v37, v36, vcc_lo
	v_bfi_b32 v36, 0x7fffffff, v36, v23
.LBB62_68:                              ;   in Loop: Header=BB62_4 Depth=1
	s_and_not1_saveexec_b32 s7, s6
	s_cbranch_execz .LBB62_70
; %bb.69:                               ;   in Loop: Header=BB62_4 Depth=1
	v_max_num_f32_e32 v23, v39, v39
	v_max_num_f32_e64 v36, |v38|, |v38|
	v_cmp_gt_f32_e64 vcc_lo, v39, |v38|
	v_cmp_gt_i32_e64 s6, 0, v38
	v_cmp_class_f32_e64 s30, v38, 0x204
	s_delay_alu instid0(VALU_DEP_4) | instskip(NEXT) | instid1(VALU_DEP_1)
	v_dual_max_num_f32 v37, v36, v23 :: v_dual_min_num_f32 v23, v36, v23
	v_frexp_mant_f32_e32 v42, v37
	v_frexp_exp_i32_f32_e32 v36, v37
	s_delay_alu instid0(VALU_DEP_2)
	v_rcp_f32_e32 v37, v42
	v_nop
	v_frexp_exp_i32_f32_e32 v42, v23
	v_frexp_mant_f32_e32 v23, v23
	s_delay_alu instid0(TRANS32_DEP_1) | instid1(VALU_DEP_1)
	v_dual_mul_f32 v23, v23, v37 :: v_dual_sub_nc_u32 v36, v42, v36
	s_delay_alu instid0(VALU_DEP_1) | instskip(NEXT) | instid1(VALU_DEP_1)
	v_ldexp_f32 v23, v23, v36
	v_mul_f32_e32 v36, v23, v23
	s_delay_alu instid0(VALU_DEP_1) | instskip(NEXT) | instid1(VALU_DEP_1)
	v_fmaak_f32 v37, s25, v36, 0xbc7a590c
	v_fmaak_f32 v37, v36, v37, 0x3d29fb3f
	s_delay_alu instid0(VALU_DEP_1) | instskip(NEXT) | instid1(VALU_DEP_1)
	v_fmaak_f32 v37, v36, v37, 0xbd97d4d7
	v_fmaak_f32 v37, v36, v37, 0x3dd931b2
	;; [unrolled: 3-line block ×3, first 2 shown]
	s_delay_alu instid0(VALU_DEP_1) | instskip(NEXT) | instid1(VALU_DEP_1)
	v_fmaak_f32 v37, v36, v37, 0xbeaaaa62
	v_mul_f32_e32 v36, v36, v37
	s_delay_alu instid0(VALU_DEP_1) | instskip(NEXT) | instid1(VALU_DEP_1)
	v_fmac_f32_e32 v23, v23, v36
	v_sub_f32_e32 v36, 0x3fc90fdb, v23
	s_delay_alu instid0(VALU_DEP_1) | instskip(SKIP_1) | instid1(VALU_DEP_2)
	v_cndmask_b32_e32 v23, v23, v36, vcc_lo
	v_cmp_gt_f32_e32 vcc_lo, 0, v38
	v_sub_f32_e32 v36, 0x40490fdb, v23
	v_cndmask_b32_e32 v37, 0x3f490fdb, v41, vcc_lo
	s_delay_alu instid0(VALU_DEP_2) | instskip(SKIP_3) | instid1(VALU_DEP_2)
	v_cndmask_b32_e32 v23, v23, v36, vcc_lo
	v_cndmask_b32_e64 v36, 0, 0x40490fdb, s6
	v_cmp_eq_f32_e64 s6, 0, v39
	v_cmp_eq_f32_e32 vcc_lo, 0x7f800000, v39
	v_cndmask_b32_e64 v23, |v23|, v36, s6
	s_and_b32 vcc_lo, vcc_lo, s30
	s_delay_alu instid0(VALU_DEP_1) | instskip(SKIP_1) | instid1(VALU_DEP_2)
	v_cndmask_b32_e32 v23, v23, v37, vcc_lo
	v_cmp_o_f32_e32 vcc_lo, v38, v38
	v_cndmask_b32_e32 v36, 0x7fc00000, v23, vcc_lo
.LBB62_70:                              ;   in Loop: Header=BB62_4 Depth=1
	s_or_b32 exec_lo, exec_lo, s7
	s_delay_alu instid0(VALU_DEP_1)
	v_bfi_b32 v26, 0x7fffffff, v36, v26
	v_bfi_b32 v27, 0x7fffffff, v7, v27
.LBB62_71:                              ;   in Loop: Header=BB62_4 Depth=1
	s_or_b32 exec_lo, exec_lo, s29
.LBB62_72:                              ;   in Loop: Header=BB62_4 Depth=1
	s_delay_alu instid0(SALU_CYCLE_1)
	s_or_b32 exec_lo, exec_lo, s28
                                        ; implicit-def: $vgpr7
                                        ; implicit-def: $vgpr23
                                        ; implicit-def: $vgpr36
.LBB62_73:                              ;   in Loop: Header=BB62_4 Depth=1
	s_and_not1_saveexec_b32 s27, s27
	s_cbranch_execz .LBB62_95
; %bb.74:                               ;   in Loop: Header=BB62_4 Depth=1
                                        ; implicit-def: $sgpr28
                                        ; implicit-def: $vgpr37
                                        ; implicit-def: $vgpr38
	s_mov_b32 s6, exec_lo
	v_cmpx_lt_i32_e32 -1, v27
	s_xor_b32 s29, exec_lo, s6
	s_cbranch_execz .LBB62_84
; %bb.75:                               ;   in Loop: Header=BB62_4 Depth=1
	v_cmp_lt_f32_e64 s6, |v27|, |v26|
                                        ; implicit-def: $vgpr37
                                        ; implicit-def: $vgpr38
	s_mov_b32 s7, exec_lo
	v_cndmask_b32_e64 v39, |v27|, |v26|, s6
	s_delay_alu instid0(VALU_DEP_1)
	v_cmpx_nlt_f32_e32 0x7effffff, v39
	s_xor_b32 s28, exec_lo, s7
	s_cbranch_execz .LBB62_81
; %bb.76:                               ;   in Loop: Header=BB62_4 Depth=1
	v_cndmask_b32_e64 v42, |v26|, |v27|, s6
	v_cmp_nlt_f32_e32 vcc_lo, 0x5e000000, v39
                                        ; implicit-def: $vgpr37
                                        ; implicit-def: $vgpr38
	s_delay_alu instid0(VALU_DEP_2) | instskip(SKIP_1) | instid1(SALU_CYCLE_1)
	v_cmp_ngt_f32_e64 s7, 0x20000000, v42
	s_and_b32 s7, vcc_lo, s7
	s_and_saveexec_b32 s30, s7
	s_delay_alu instid0(SALU_CYCLE_1)
	s_xor_b32 s30, exec_lo, s30
	s_cbranch_execz .LBB62_78
; %bb.77:                               ;   in Loop: Header=BB62_4 Depth=1
	v_frexp_mant_f32_e32 v37, v36
	s_wait_dscnt 0x0
	v_dual_min_num_f32 v7, v23, v7 :: v_dual_mul_f32 v42, v42, v42
	v_frexp_exp_i32_f32_e32 v23, v36
	s_delay_alu instid0(VALU_DEP_3) | instskip(SKIP_1) | instid1(VALU_DEP_3)
	v_rcp_f32_e32 v36, v37
	v_nop
	v_frexp_exp_i32_f32_e32 v37, v7
	v_frexp_mant_f32_e32 v7, v7
	s_delay_alu instid0(TRANS32_DEP_1) | instid1(VALU_DEP_1)
	v_dual_sub_nc_u32 v23, v37, v23 :: v_dual_mul_f32 v7, v7, v36
	s_delay_alu instid0(VALU_DEP_1) | instskip(NEXT) | instid1(VALU_DEP_1)
	v_ldexp_f32 v38, v7, v23
	v_dual_fmac_f32 v42, v39, v39 :: v_dual_mul_f32 v23, v38, v38
	s_delay_alu instid0(VALU_DEP_1) | instskip(SKIP_1) | instid1(VALU_DEP_1)
	v_cmp_gt_f32_e32 vcc_lo, 0x800000, v42
	v_cndmask_b32_e64 v7, 0, 32, vcc_lo
	v_ldexp_f32 v7, v42, v7
	s_delay_alu instid0(VALU_DEP_1) | instskip(SKIP_1) | instid1(TRANS32_DEP_1)
	v_log_f32_e32 v7, v7
	v_nop
	v_mul_f32_e32 v37, 0x3f317217, v7
	v_cmp_gt_f32_e64 s7, 0x7f800000, |v7|
	s_delay_alu instid0(VALU_DEP_2) | instskip(NEXT) | instid1(VALU_DEP_1)
	v_fma_f32 v37, 0x3f317217, v7, -v37
	v_fmac_f32_e32 v37, 0x3377d1cf, v7
	s_delay_alu instid0(VALU_DEP_1) | instskip(NEXT) | instid1(VALU_DEP_1)
	v_fmac_f32_e32 v37, 0x3f317217, v7
	v_cndmask_b32_e64 v7, v7, v37, s7
	v_cndmask_b32_e64 v37, 0, 0x41b17218, vcc_lo
	s_delay_alu instid0(VALU_DEP_1) | instskip(NEXT) | instid1(VALU_DEP_1)
	v_dual_fmaak_f32 v36, s25, v23, 0xbc7a590c :: v_dual_sub_f32 v7, v7, v37
	v_dual_fmaak_f32 v36, v23, v36, 0x3d29fb3f :: v_dual_mul_f32 v37, 0.5, v7
	s_delay_alu instid0(VALU_DEP_1) | instskip(NEXT) | instid1(VALU_DEP_1)
	v_fmaak_f32 v36, v23, v36, 0xbd97d4d7
                                        ; implicit-def: $vgpr7
	v_fmaak_f32 v36, v23, v36, 0x3dd931b2
	s_delay_alu instid0(VALU_DEP_1) | instskip(NEXT) | instid1(VALU_DEP_1)
	v_fmaak_f32 v36, v23, v36, 0xbe1160e6
	v_fmaak_f32 v36, v23, v36, 0x3e4cb8bf
	s_delay_alu instid0(VALU_DEP_1) | instskip(NEXT) | instid1(VALU_DEP_1)
	v_fmaak_f32 v36, v23, v36, 0xbeaaaa62
	v_mul_f32_e32 v23, v23, v36
                                        ; implicit-def: $vgpr36
	s_delay_alu instid0(VALU_DEP_1)
	v_fmac_f32_e32 v38, v38, v23
                                        ; implicit-def: $vgpr23
.LBB62_78:                              ;   in Loop: Header=BB62_4 Depth=1
	s_and_not1_saveexec_b32 s7, s30
	s_cbranch_execz .LBB62_80
; %bb.79:                               ;   in Loop: Header=BB62_4 Depth=1
	v_cvt_f64_f32_e32 v[38:39], v36
	v_frexp_mant_f32_e32 v42, v36
	v_cmp_neq_f32_e32 vcc_lo, 0x7f800000, v36
	s_delay_alu instid0(VALU_DEP_3) | instskip(NEXT) | instid1(VALU_DEP_1)
	v_frexp_exp_i32_f64_e32 v37, v[38:39]
	v_sub_nc_u32_e32 v38, 0, v37
	s_delay_alu instid0(VALU_DEP_1) | instskip(NEXT) | instid1(VALU_DEP_1)
	v_ldexp_f32 v39, |v26|, v38
	v_mul_f32_e32 v39, v39, v39
	v_ldexp_f32 v38, |v27|, v38
	s_wait_dscnt 0x0
	v_min_num_f32_e32 v7, v23, v7
	v_frexp_exp_i32_f32_e32 v23, v36
	s_delay_alu instid0(VALU_DEP_3)
	v_fmac_f32_e32 v39, v38, v38
	v_rcp_f32_e32 v38, v42
	v_nop
	v_frexp_exp_i32_f32_e32 v42, v7
	v_frexp_mant_f32_e32 v7, v7
	v_sqrt_f32_e32 v39, v39
	s_delay_alu instid0(TRANS32_DEP_2) | instid1(VALU_DEP_1)
	v_dual_sub_nc_u32 v23, v42, v23 :: v_dual_mul_f32 v7, v7, v38
	s_delay_alu instid0(TRANS32_DEP_1) | instskip(NEXT) | instid1(VALU_DEP_2)
	v_ldexp_f32 v37, v39, v37
	v_ldexp_f32 v38, v7, v23
	s_delay_alu instid0(VALU_DEP_2) | instskip(NEXT) | instid1(VALU_DEP_1)
	v_cndmask_b32_e32 v7, 0x7f800000, v37, vcc_lo
	v_cmp_gt_f32_e32 vcc_lo, 0x800000, v7
	v_cndmask_b32_e64 v36, 0, 32, vcc_lo
	v_cndmask_b32_e64 v39, 0, 0x41b17218, vcc_lo
	s_delay_alu instid0(VALU_DEP_2) | instskip(NEXT) | instid1(VALU_DEP_1)
	v_ldexp_f32 v7, v7, v36
	v_log_f32_e32 v7, v7
	v_nop
	s_delay_alu instid0(TRANS32_DEP_1) | instskip(SKIP_1) | instid1(VALU_DEP_1)
	v_cmp_gt_f32_e64 vcc_lo, 0x7f800000, |v7|
	v_mul_f32_e32 v23, v38, v38
	v_fmaak_f32 v37, s25, v23, 0xbc7a590c
	s_delay_alu instid0(VALU_DEP_1) | instskip(SKIP_1) | instid1(VALU_DEP_1)
	v_fmaak_f32 v36, v23, v37, 0x3d29fb3f
	v_mul_f32_e32 v37, 0x3f317217, v7
	v_fma_f32 v37, 0x3f317217, v7, -v37
	s_delay_alu instid0(VALU_DEP_1) | instskip(NEXT) | instid1(VALU_DEP_1)
	v_fmac_f32_e32 v37, 0x3377d1cf, v7
	v_fmac_f32_e32 v37, 0x3f317217, v7
	s_delay_alu instid0(VALU_DEP_1) | instskip(SKIP_1) | instid1(VALU_DEP_2)
	v_cndmask_b32_e32 v7, v7, v37, vcc_lo
	v_fmaak_f32 v36, v23, v36, 0xbd97d4d7
	v_sub_f32_e32 v37, v7, v39
	s_delay_alu instid0(VALU_DEP_2) | instskip(NEXT) | instid1(VALU_DEP_1)
	v_fmaak_f32 v36, v23, v36, 0x3dd931b2
	v_fmaak_f32 v36, v23, v36, 0xbe1160e6
	s_delay_alu instid0(VALU_DEP_1) | instskip(NEXT) | instid1(VALU_DEP_1)
	v_fmaak_f32 v36, v23, v36, 0x3e4cb8bf
	v_fmaak_f32 v36, v23, v36, 0xbeaaaa62
	s_delay_alu instid0(VALU_DEP_1) | instskip(NEXT) | instid1(VALU_DEP_1)
	v_mul_f32_e32 v23, v23, v36
	v_fmac_f32_e32 v38, v38, v23
.LBB62_80:                              ;   in Loop: Header=BB62_4 Depth=1
	s_or_b32 exec_lo, exec_lo, s7
                                        ; implicit-def: $vgpr23
                                        ; implicit-def: $vgpr7
                                        ; implicit-def: $vgpr36
.LBB62_81:                              ;   in Loop: Header=BB62_4 Depth=1
	s_and_not1_saveexec_b32 s28, s28
	s_cbranch_execz .LBB62_83
; %bb.82:                               ;   in Loop: Header=BB62_4 Depth=1
	v_div_scale_f32 v37, null, 0x402df854, 0x402df854, v27
	v_div_scale_f32 v38, null, 0x402df854, 0x402df854, v26
	v_div_scale_f32 v45, vcc_lo, v27, 0x402df854, v27
	s_delay_alu instid0(VALU_DEP_3) | instskip(NEXT) | instid1(VALU_DEP_2)
	v_rcp_f32_e32 v39, v37
	v_rcp_f32_e32 v42, v38
	s_wait_dscnt 0x0
	v_min_num_f32_e32 v7, v23, v7
	s_delay_alu instid0(TRANS32_DEP_2) | instskip(NEXT) | instid1(TRANS32_DEP_1)
	v_fma_f32 v43, -v37, v39, 1.0
	v_fma_f32 v44, -v38, v42, 1.0
	s_delay_alu instid0(VALU_DEP_1) | instskip(SKIP_1) | instid1(VALU_DEP_1)
	v_dual_fmac_f32 v39, v43, v39 :: v_dual_fmac_f32 v42, v44, v42
	v_div_scale_f32 v43, s7, v26, 0x402df854, v26
	v_dual_mul_f32 v44, v45, v39 :: v_dual_mul_f32 v46, v43, v42
	s_delay_alu instid0(VALU_DEP_1) | instskip(NEXT) | instid1(VALU_DEP_1)
	v_dual_fma_f32 v47, -v37, v44, v45 :: v_dual_fma_f32 v48, -v38, v46, v43
	v_dual_fmac_f32 v44, v47, v39 :: v_dual_fmac_f32 v46, v48, v42
	s_delay_alu instid0(VALU_DEP_1) | instskip(NEXT) | instid1(VALU_DEP_1)
	v_dual_fma_f32 v37, -v37, v44, v45 :: v_dual_fma_f32 v38, -v38, v46, v43
	v_div_fmas_f32 v37, v37, v39, v44
	s_mov_b32 vcc_lo, s7
	s_delay_alu instid0(VALU_DEP_2) | instskip(NEXT) | instid1(VALU_DEP_2)
	v_div_fmas_f32 v38, v38, v42, v46
	v_div_fixup_f32 v37, v37, 0x402df854, v27
	s_delay_alu instid0(VALU_DEP_2) | instskip(NEXT) | instid1(VALU_DEP_1)
	v_div_fixup_f32 v42, v38, 0x402df854, v26
	v_max_num_f32_e64 v43, v37, |v42|
	s_delay_alu instid0(VALU_DEP_1) | instskip(SKIP_1) | instid1(VALU_DEP_2)
	v_cvt_f64_f32_e32 v[38:39], v43
	v_cmp_neq_f32_e32 vcc_lo, 0x7f800000, v43
	v_frexp_exp_i32_f64_e32 v38, v[38:39]
	s_delay_alu instid0(VALU_DEP_1) | instskip(NEXT) | instid1(VALU_DEP_1)
	v_sub_nc_u32_e32 v39, 0, v38
	v_ldexp_f32 v42, |v42|, v39
	v_ldexp_f32 v37, v37, v39
	s_delay_alu instid0(VALU_DEP_2) | instskip(NEXT) | instid1(VALU_DEP_1)
	v_mul_f32_e32 v39, v42, v42
	v_fmac_f32_e32 v39, v37, v37
	v_frexp_mant_f32_e32 v37, v36
	v_frexp_exp_i32_f32_e32 v36, v36
	s_delay_alu instid0(VALU_DEP_3) | instskip(NEXT) | instid1(VALU_DEP_2)
	v_sqrt_f32_e32 v23, v39
	v_rcp_f32_e32 v37, v37
	v_frexp_exp_i32_f32_e32 v39, v7
	v_frexp_mant_f32_e32 v7, v7
	s_delay_alu instid0(TRANS32_DEP_2) | instskip(NEXT) | instid1(VALU_DEP_3)
	v_ldexp_f32 v23, v23, v38
	v_sub_nc_u32_e32 v36, v39, v36
	s_delay_alu instid0(TRANS32_DEP_1) | instid1(VALU_DEP_3)
	v_mul_f32_e32 v7, v7, v37
	s_delay_alu instid0(VALU_DEP_3) | instskip(NEXT) | instid1(VALU_DEP_2)
	v_cndmask_b32_e32 v23, 0x7f800000, v23, vcc_lo
	v_ldexp_f32 v38, v7, v36
	s_delay_alu instid0(VALU_DEP_2) | instskip(NEXT) | instid1(VALU_DEP_2)
	v_cmp_gt_f32_e32 vcc_lo, 0x800000, v23
	v_mul_f32_e32 v36, v38, v38
	v_cndmask_b32_e64 v7, 0, 32, vcc_lo
	v_cndmask_b32_e64 v39, 0, 0x41b17218, vcc_lo
	s_delay_alu instid0(VALU_DEP_2) | instskip(NEXT) | instid1(VALU_DEP_4)
	v_ldexp_f32 v7, v23, v7
	v_fmaak_f32 v23, s25, v36, 0xbc7a590c
	s_delay_alu instid0(VALU_DEP_2) | instskip(NEXT) | instid1(VALU_DEP_1)
	v_log_f32_e32 v7, v7
	v_fmaak_f32 v23, v36, v23, 0x3d29fb3f
	s_delay_alu instid0(VALU_DEP_1) | instskip(NEXT) | instid1(TRANS32_DEP_1)
	v_fmaak_f32 v23, v36, v23, 0xbd97d4d7
	v_mul_f32_e32 v37, 0x3f317217, v7
	v_cmp_gt_f32_e64 vcc_lo, 0x7f800000, |v7|
	s_delay_alu instid0(VALU_DEP_3) | instskip(NEXT) | instid1(VALU_DEP_3)
	v_fmaak_f32 v23, v36, v23, 0x3dd931b2
	v_fma_f32 v37, 0x3f317217, v7, -v37
	s_delay_alu instid0(VALU_DEP_2) | instskip(NEXT) | instid1(VALU_DEP_2)
	v_fmaak_f32 v23, v36, v23, 0xbe1160e6
	v_fmac_f32_e32 v37, 0x3377d1cf, v7
	s_delay_alu instid0(VALU_DEP_2) | instskip(NEXT) | instid1(VALU_DEP_2)
	v_fmaak_f32 v23, v36, v23, 0x3e4cb8bf
	v_fmac_f32_e32 v37, 0x3f317217, v7
	s_delay_alu instid0(VALU_DEP_2) | instskip(NEXT) | instid1(VALU_DEP_1)
	v_fmaak_f32 v23, v36, v23, 0xbeaaaa62
	v_dual_cndmask_b32 v7, v7, v37, vcc_lo :: v_dual_mul_f32 v23, v36, v23
	s_delay_alu instid0(VALU_DEP_1) | instskip(NEXT) | instid1(VALU_DEP_2)
	v_sub_f32_e32 v7, v7, v39
	v_fmac_f32_e32 v38, v38, v23
	s_delay_alu instid0(VALU_DEP_2)
	v_add_f32_e32 v37, 1.0, v7
.LBB62_83:                              ;   in Loop: Header=BB62_4 Depth=1
	s_or_b32 exec_lo, exec_lo, s28
	s_wait_dscnt 0x0
	s_delay_alu instid0(VALU_DEP_1) | instskip(SKIP_2) | instid1(VALU_DEP_3)
	v_sub_f32_e32 v7, 0x3fc90fdb, v38
	v_cmp_neq_f32_e32 vcc_lo, 0, v26
	v_cmp_class_f32_e64 s28, v27, 0x204
	v_cndmask_b32_e64 v7, v38, v7, s6
	s_delay_alu instid0(VALU_DEP_1)
	v_cndmask_b32_e32 v38, 0, v7, vcc_lo
                                        ; implicit-def: $vgpr7
.LBB62_84:                              ;   in Loop: Header=BB62_4 Depth=1
	s_and_not1_saveexec_b32 s29, s29
	s_cbranch_execz .LBB62_94
; %bb.85:                               ;   in Loop: Header=BB62_4 Depth=1
	v_cmp_gt_f32_e64 s6, |v26|, -v27
                                        ; implicit-def: $vgpr37
                                        ; implicit-def: $vgpr23
	s_mov_b32 s7, exec_lo
	v_cndmask_b32_e64 v36, -v27, |v26|, s6
	s_delay_alu instid0(VALU_DEP_1)
	v_cmpx_nlt_f32_e32 0x7effffff, v36
	s_xor_b32 s30, exec_lo, s7
	s_cbranch_execz .LBB62_91
; %bb.86:                               ;   in Loop: Header=BB62_4 Depth=1
	v_xor_b32_e32 v23, 0x80000000, v27
	v_cmp_nlt_f32_e32 vcc_lo, 0x5e000000, v36
                                        ; implicit-def: $vgpr37
	s_delay_alu instid0(VALU_DEP_2) | instskip(NEXT) | instid1(VALU_DEP_1)
	v_cndmask_b32_e64 v38, |v26|, v23, s6
                                        ; implicit-def: $vgpr23
	v_cmp_ngt_f32_e64 s7, 0x20000000, v38
	s_and_b32 s7, vcc_lo, s7
	s_delay_alu instid0(SALU_CYCLE_1) | instskip(NEXT) | instid1(SALU_CYCLE_1)
	s_and_saveexec_b32 s31, s7
	s_xor_b32 s31, exec_lo, s31
	s_cbranch_execz .LBB62_88
; %bb.87:                               ;   in Loop: Header=BB62_4 Depth=1
	v_dual_max_num_f32 v23, -v27, -v27 :: v_dual_mul_f32 v38, v38, v38
	s_wait_dscnt 0x0
	s_delay_alu instid0(VALU_DEP_1) | instskip(NEXT) | instid1(VALU_DEP_2)
	v_dual_max_num_f32 v37, v23, v7 :: v_dual_min_num_f32 v7, v23, v7
	v_fmac_f32_e32 v38, v36, v36
	s_delay_alu instid0(VALU_DEP_2) | instskip(SKIP_1) | instid1(VALU_DEP_3)
	v_frexp_mant_f32_e32 v39, v37
	v_frexp_exp_i32_f32_e32 v23, v37
	v_cmp_gt_f32_e32 vcc_lo, 0x800000, v38
	s_delay_alu instid0(VALU_DEP_3) | instskip(SKIP_3) | instid1(VALU_DEP_2)
	v_rcp_f32_e32 v37, v39
	v_nop
	v_frexp_exp_i32_f32_e32 v39, v7
	v_frexp_mant_f32_e32 v7, v7
	v_sub_nc_u32_e32 v23, v39, v23
	s_delay_alu instid0(TRANS32_DEP_1) | instid1(VALU_DEP_2)
	v_mul_f32_e32 v7, v7, v37
	s_delay_alu instid0(VALU_DEP_1) | instskip(SKIP_1) | instid1(VALU_DEP_2)
	v_ldexp_f32 v23, v7, v23
	v_cndmask_b32_e64 v7, 0, 32, vcc_lo
	v_mul_f32_e32 v36, v23, v23
	s_delay_alu instid0(VALU_DEP_2) | instskip(NEXT) | instid1(VALU_DEP_2)
	v_ldexp_f32 v7, v38, v7
	v_fmaak_f32 v37, s25, v36, 0xbc7a590c
	s_delay_alu instid0(VALU_DEP_2) | instskip(NEXT) | instid1(VALU_DEP_1)
	v_log_f32_e32 v7, v7
	v_fmaak_f32 v37, v36, v37, 0x3d29fb3f
	s_delay_alu instid0(TRANS32_DEP_1) | instskip(SKIP_1) | instid1(VALU_DEP_3)
	v_mul_f32_e32 v38, 0x3f317217, v7
	v_cmp_gt_f32_e64 s7, 0x7f800000, |v7|
	v_fmaak_f32 v37, v36, v37, 0xbd97d4d7
	s_delay_alu instid0(VALU_DEP_3) | instskip(NEXT) | instid1(VALU_DEP_2)
	v_fma_f32 v38, 0x3f317217, v7, -v38
	v_fmaak_f32 v37, v36, v37, 0x3dd931b2
	s_delay_alu instid0(VALU_DEP_1) | instskip(NEXT) | instid1(VALU_DEP_1)
	v_fmaak_f32 v37, v36, v37, 0xbe1160e6
	v_fmaak_f32 v37, v36, v37, 0x3e4cb8bf
	s_delay_alu instid0(VALU_DEP_1) | instskip(NEXT) | instid1(VALU_DEP_1)
	v_fmaak_f32 v37, v36, v37, 0xbeaaaa62
	v_mul_f32_e32 v36, v36, v37
	s_delay_alu instid0(VALU_DEP_1) | instskip(NEXT) | instid1(VALU_DEP_1)
	v_dual_fmac_f32 v38, 0x3377d1cf, v7 :: v_dual_fmac_f32 v23, v23, v36
	v_fmac_f32_e32 v38, 0x3f317217, v7
	s_delay_alu instid0(VALU_DEP_1) | instskip(SKIP_1) | instid1(VALU_DEP_1)
	v_cndmask_b32_e64 v7, v7, v38, s7
	v_cndmask_b32_e64 v38, 0, 0x41b17218, vcc_lo
	v_sub_f32_e32 v7, v7, v38
	s_delay_alu instid0(VALU_DEP_1)
	v_mul_f32_e32 v37, 0.5, v7
                                        ; implicit-def: $vgpr7
.LBB62_88:                              ;   in Loop: Header=BB62_4 Depth=1
	s_and_not1_saveexec_b32 s7, s31
	s_cbranch_execz .LBB62_90
; %bb.89:                               ;   in Loop: Header=BB62_4 Depth=1
	v_max_num_f32_e64 v23, -v27, -v27
	s_wait_dscnt 0x0
	s_delay_alu instid0(VALU_DEP_1) | instskip(NEXT) | instid1(VALU_DEP_1)
	v_max_num_f32_e32 v38, v23, v7
	v_cvt_f64_f32_e32 v[36:37], v38
	s_delay_alu instid0(VALU_DEP_1) | instskip(NEXT) | instid1(VALU_DEP_1)
	v_frexp_exp_i32_f64_e32 v36, v[36:37]
	v_dual_sub_nc_u32 v37, 0, v36 :: v_dual_min_num_f32 v7, v23, v7
	v_frexp_mant_f32_e32 v23, v38
	v_cmp_neq_f32_e32 vcc_lo, 0x7f800000, v38
	s_delay_alu instid0(VALU_DEP_3)
	v_ldexp_f32 v39, |v26|, v37
	v_ldexp_f32 v37, -v27, v37
	v_frexp_exp_i32_f32_e32 v42, v7
	v_rcp_f32_e32 v23, v23
	v_frexp_mant_f32_e32 v7, v7
	v_mul_f32_e32 v39, v39, v39
	s_delay_alu instid0(TRANS32_DEP_1) | instid1(VALU_DEP_1)
	v_dual_fmac_f32 v39, v37, v37 :: v_dual_mul_f32 v7, v7, v23
	v_frexp_exp_i32_f32_e32 v37, v38
	s_delay_alu instid0(VALU_DEP_2) | instskip(NEXT) | instid1(VALU_DEP_1)
	v_sqrt_f32_e32 v39, v39
	v_sub_nc_u32_e32 v37, v42, v37
	s_delay_alu instid0(VALU_DEP_1) | instskip(NEXT) | instid1(TRANS32_DEP_1)
	v_ldexp_f32 v23, v7, v37
	v_ldexp_f32 v36, v39, v36
	s_delay_alu instid0(VALU_DEP_1) | instskip(NEXT) | instid1(VALU_DEP_1)
	v_dual_cndmask_b32 v7, 0x7f800000, v36 :: v_dual_mul_f32 v36, v23, v23
	v_cmp_gt_f32_e32 vcc_lo, 0x800000, v7
	v_cndmask_b32_e64 v37, 0, 32, vcc_lo
	v_cndmask_b32_e64 v39, 0, 0x41b17218, vcc_lo
	s_delay_alu instid0(VALU_DEP_4) | instskip(NEXT) | instid1(VALU_DEP_3)
	v_fmaak_f32 v38, s25, v36, 0xbc7a590c
	v_ldexp_f32 v7, v7, v37
	s_delay_alu instid0(VALU_DEP_2) | instskip(NEXT) | instid1(VALU_DEP_2)
	v_fmaak_f32 v37, v36, v38, 0x3d29fb3f
	v_log_f32_e32 v7, v7
	s_delay_alu instid0(VALU_DEP_1) | instskip(NEXT) | instid1(VALU_DEP_1)
	v_fmaak_f32 v37, v36, v37, 0xbd97d4d7
	v_fmaak_f32 v37, v36, v37, 0x3dd931b2
	s_delay_alu instid0(TRANS32_DEP_1) | instskip(NEXT) | instid1(VALU_DEP_2)
	v_cmp_gt_f32_e64 vcc_lo, 0x7f800000, |v7|
	v_fmaak_f32 v37, v36, v37, 0xbe1160e6
	s_delay_alu instid0(VALU_DEP_1) | instskip(NEXT) | instid1(VALU_DEP_1)
	v_fmaak_f32 v37, v36, v37, 0x3e4cb8bf
	v_fmaak_f32 v37, v36, v37, 0xbeaaaa62
	s_delay_alu instid0(VALU_DEP_1) | instskip(NEXT) | instid1(VALU_DEP_1)
	v_mul_f32_e32 v36, v36, v37
	v_dual_mul_f32 v38, 0x3f317217, v7 :: v_dual_fmac_f32 v23, v23, v36
	s_delay_alu instid0(VALU_DEP_1) | instskip(NEXT) | instid1(VALU_DEP_1)
	v_fma_f32 v38, 0x3f317217, v7, -v38
	v_fmac_f32_e32 v38, 0x3377d1cf, v7
	s_delay_alu instid0(VALU_DEP_1) | instskip(NEXT) | instid1(VALU_DEP_1)
	v_fmac_f32_e32 v38, 0x3f317217, v7
	v_cndmask_b32_e32 v7, v7, v38, vcc_lo
	s_delay_alu instid0(VALU_DEP_1)
	v_sub_f32_e32 v37, v7, v39
.LBB62_90:                              ;   in Loop: Header=BB62_4 Depth=1
	s_or_b32 exec_lo, exec_lo, s7
                                        ; implicit-def: $vgpr7
.LBB62_91:                              ;   in Loop: Header=BB62_4 Depth=1
	s_and_not1_saveexec_b32 s30, s30
	s_cbranch_execz .LBB62_93
; %bb.92:                               ;   in Loop: Header=BB62_4 Depth=1
	v_div_scale_f32 v23, null, 0xc02df854, 0xc02df854, v27
	v_div_scale_f32 v36, null, 0xc02df854, 0xc02df854, v26
	v_div_scale_f32 v43, vcc_lo, v27, 0xc02df854, v27
	s_delay_alu instid0(VALU_DEP_3) | instskip(NEXT) | instid1(VALU_DEP_2)
	v_rcp_f32_e32 v37, v23
	v_rcp_f32_e32 v38, v36
	s_delay_alu instid0(TRANS32_DEP_2) | instskip(NEXT) | instid1(TRANS32_DEP_1)
	v_fma_f32 v39, -v23, v37, 1.0
	v_fma_f32 v42, -v36, v38, 1.0
	s_delay_alu instid0(VALU_DEP_1) | instskip(SKIP_1) | instid1(VALU_DEP_1)
	v_dual_fmac_f32 v37, v39, v37 :: v_dual_fmac_f32 v38, v42, v38
	v_div_scale_f32 v39, s7, v26, 0xc02df854, v26
	v_mul_f32_e32 v44, v39, v38
	s_delay_alu instid0(VALU_DEP_1) | instskip(NEXT) | instid1(VALU_DEP_1)
	v_dual_mul_f32 v42, v43, v37 :: v_dual_fma_f32 v46, -v36, v44, v39
	v_fma_f32 v45, -v23, v42, v43
	s_delay_alu instid0(VALU_DEP_1) | instskip(NEXT) | instid1(VALU_DEP_1)
	v_dual_fmac_f32 v42, v45, v37 :: v_dual_fmac_f32 v44, v46, v38
	v_fma_f32 v23, -v23, v42, v43
	s_delay_alu instid0(VALU_DEP_2) | instskip(NEXT) | instid1(VALU_DEP_2)
	v_fma_f32 v36, -v36, v44, v39
	v_div_fmas_f32 v23, v23, v37, v42
	s_mov_b32 vcc_lo, s7
	v_max_num_f32_e64 v42, -v27, -v27
	s_delay_alu instid0(VALU_DEP_3) | instskip(NEXT) | instid1(VALU_DEP_3)
	v_div_fmas_f32 v36, v36, v38, v44
	v_div_fixup_f32 v23, v23, 0xc02df854, v27
	s_delay_alu instid0(VALU_DEP_2) | instskip(NEXT) | instid1(VALU_DEP_1)
	v_div_fixup_f32 v38, v36, 0xc02df854, v26
	v_max_num_f32_e64 v39, |v23|, |v38|
	s_delay_alu instid0(VALU_DEP_1) | instskip(SKIP_1) | instid1(VALU_DEP_2)
	v_cvt_f64_f32_e32 v[36:37], v39
	v_cmp_neq_f32_e32 vcc_lo, 0x7f800000, v39
	v_frexp_exp_i32_f64_e32 v36, v[36:37]
	s_delay_alu instid0(VALU_DEP_1) | instskip(NEXT) | instid1(VALU_DEP_1)
	v_sub_nc_u32_e32 v37, 0, v36
	v_ldexp_f32 v38, |v38|, v37
	v_ldexp_f32 v23, |v23|, v37
	s_delay_alu instid0(VALU_DEP_2) | instskip(SKIP_2) | instid1(VALU_DEP_2)
	v_mul_f32_e32 v37, v38, v38
	s_wait_dscnt 0x0
	v_dual_max_num_f32 v38, v42, v7 :: v_dual_min_num_f32 v7, v42, v7
	v_fmac_f32_e32 v37, v23, v23
	s_delay_alu instid0(VALU_DEP_2) | instskip(SKIP_1) | instid1(VALU_DEP_4)
	v_frexp_mant_f32_e32 v23, v38
	v_frexp_exp_i32_f32_e32 v38, v38
	v_frexp_exp_i32_f32_e32 v42, v7
	v_frexp_mant_f32_e32 v7, v7
	v_sqrt_f32_e32 v37, v37
	v_rcp_f32_e32 v23, v23
	s_delay_alu instid0(TRANS32_DEP_2) | instskip(NEXT) | instid1(TRANS32_DEP_1)
	v_ldexp_f32 v36, v37, v36
	v_dual_sub_nc_u32 v37, v42, v38 :: v_dual_mul_f32 v7, v7, v23
	s_delay_alu instid0(VALU_DEP_2) | instskip(NEXT) | instid1(VALU_DEP_2)
	v_cndmask_b32_e32 v36, 0x7f800000, v36, vcc_lo
	v_ldexp_f32 v23, v7, v37
	s_delay_alu instid0(VALU_DEP_2) | instskip(NEXT) | instid1(VALU_DEP_2)
	v_cmp_gt_f32_e32 vcc_lo, 0x800000, v36
	v_mul_f32_e32 v37, v23, v23
	v_cndmask_b32_e64 v7, 0, 32, vcc_lo
	v_cndmask_b32_e64 v39, 0, 0x41b17218, vcc_lo
	s_delay_alu instid0(VALU_DEP_2) | instskip(NEXT) | instid1(VALU_DEP_1)
	v_ldexp_f32 v7, v36, v7
	v_log_f32_e32 v7, v7
	v_nop
	s_delay_alu instid0(TRANS32_DEP_1) | instskip(SKIP_1) | instid1(VALU_DEP_2)
	v_mul_f32_e32 v38, 0x3f317217, v7
	v_cmp_gt_f32_e64 vcc_lo, 0x7f800000, |v7|
	v_fma_f32 v38, 0x3f317217, v7, -v38
	s_delay_alu instid0(VALU_DEP_1) | instskip(NEXT) | instid1(VALU_DEP_1)
	v_fmac_f32_e32 v38, 0x3377d1cf, v7
	v_fmac_f32_e32 v38, 0x3f317217, v7
	s_delay_alu instid0(VALU_DEP_1) | instskip(NEXT) | instid1(VALU_DEP_1)
	v_cndmask_b32_e32 v7, v7, v38, vcc_lo
	v_dual_fmaak_f32 v36, s25, v37, 0xbc7a590c :: v_dual_sub_f32 v7, v7, v39
	s_delay_alu instid0(VALU_DEP_1) | instskip(NEXT) | instid1(VALU_DEP_1)
	v_fmaak_f32 v36, v37, v36, 0x3d29fb3f
	v_fmaak_f32 v36, v37, v36, 0xbd97d4d7
	s_delay_alu instid0(VALU_DEP_1) | instskip(NEXT) | instid1(VALU_DEP_1)
	v_fmaak_f32 v36, v37, v36, 0x3dd931b2
	v_fmaak_f32 v36, v37, v36, 0xbe1160e6
	;; [unrolled: 3-line block ×3, first 2 shown]
	s_delay_alu instid0(VALU_DEP_1) | instskip(NEXT) | instid1(VALU_DEP_1)
	v_dual_mul_f32 v36, v37, v36 :: v_dual_add_f32 v37, 1.0, v7
	v_fmac_f32_e32 v23, v23, v36
.LBB62_93:                              ;   in Loop: Header=BB62_4 Depth=1
	s_or_b32 exec_lo, exec_lo, s30
	s_wait_dscnt 0x0
	s_delay_alu instid0(VALU_DEP_1) | instskip(SKIP_1) | instid1(VALU_DEP_2)
	v_sub_f32_e32 v7, 0x3fc90fdb, v23
	v_cmp_eq_f32_e32 vcc_lo, 0xff800000, v27
	v_cndmask_b32_e64 v7, v23, v7, s6
	v_cmp_neq_f32_e64 s6, 0, v26
	s_and_b32 s7, vcc_lo, exec_lo
	v_cndmask_b32_e64 v38, 0, v7, s6
	s_and_not1_b32 s6, s28, exec_lo
	s_delay_alu instid0(SALU_CYCLE_1)
	s_or_b32 s28, s6, s7
.LBB62_94:                              ;   in Loop: Header=BB62_4 Depth=1
	s_or_b32 exec_lo, exec_lo, s29
	v_cmp_class_f32_e64 s6, v26, 0x204
	v_add_f32_e32 v23, 0x3f317218, v37
	s_and_b32 s6, s6, s28
	s_delay_alu instid0(VALU_DEP_1) | instskip(SKIP_2) | instid1(VALU_DEP_1)
	v_bfi_b32 v27, 0x7fffffff, v23, v27
	s_wait_dscnt 0x0
	v_cndmask_b32_e64 v7, v38, 0x3f490fdb, s6
	v_bfi_b32 v26, 0x7fffffff, v7, v26
.LBB62_95:                              ;   in Loop: Header=BB62_4 Depth=1
	s_or_b32 exec_lo, exec_lo, s27
.LBB62_96:                              ;   in Loop: Header=BB62_4 Depth=1
	s_and_not1_saveexec_b32 s6, s26
	s_cbranch_execz .LBB62_110
; %bb.97:                               ;   in Loop: Header=BB62_4 Depth=1
	v_cmp_neq_f32_e64 s7, 0x7f800000, |v27|
                                        ; implicit-def: $vgpr7
	s_and_saveexec_b32 s26, s7
	s_delay_alu instid0(SALU_CYCLE_1)
	s_xor_b32 s7, exec_lo, s26
	s_cbranch_execz .LBB62_107
; %bb.98:                               ;   in Loop: Header=BB62_4 Depth=1
	v_cmp_neq_f32_e64 s26, 0x7f800000, |v26|
                                        ; implicit-def: $vgpr7
	s_and_saveexec_b32 s27, s26
	s_delay_alu instid0(SALU_CYCLE_1)
	s_xor_b32 s26, exec_lo, s27
	s_cbranch_execz .LBB62_104
; %bb.99:                               ;   in Loop: Header=BB62_4 Depth=1
	s_mov_b32 s27, exec_lo
	v_cmpx_neq_f32_e32 0, v26
	s_xor_b32 s27, exec_lo, s27
	s_cbranch_execz .LBB62_101
; %bb.100:                              ;   in Loop: Header=BB62_4 Depth=1
	s_wait_dscnt 0x0
	v_add_f32_e32 v7, 0, v27
	s_delay_alu instid0(VALU_DEP_1)
	v_add_f32_e32 v27, v26, v7
.LBB62_101:                             ;   in Loop: Header=BB62_4 Depth=1
	s_or_saveexec_b32 s27, s27
	s_wait_dscnt 0x0
	s_delay_alu instid0(VALU_DEP_1)
	v_mov_b32_e32 v7, v27
	s_xor_b32 exec_lo, exec_lo, s27
; %bb.102:                              ;   in Loop: Header=BB62_4 Depth=1
	v_dual_add_f32 v27, v27, v27 :: v_dual_mov_b32 v7, v26
; %bb.103:                              ;   in Loop: Header=BB62_4 Depth=1
	s_or_b32 exec_lo, exec_lo, s27
.LBB62_104:                             ;   in Loop: Header=BB62_4 Depth=1
	s_and_not1_saveexec_b32 s26, s26
	s_cbranch_execz .LBB62_106
; %bb.105:                              ;   in Loop: Header=BB62_4 Depth=1
	s_wait_dscnt 0x0
	v_dual_add_f32 v7, v27, v27 :: v_dual_mov_b32 v27, v26
.LBB62_106:                             ;   in Loop: Header=BB62_4 Depth=1
	s_or_b32 exec_lo, exec_lo, s26
.LBB62_107:                             ;   in Loop: Header=BB62_4 Depth=1
	s_and_not1_saveexec_b32 s7, s7
	s_cbranch_execz .LBB62_109
; %bb.108:                              ;   in Loop: Header=BB62_4 Depth=1
	s_wait_dscnt 0x0
	v_add_f32_e32 v7, v26, v26
.LBB62_109:                             ;   in Loop: Header=BB62_4 Depth=1
	s_or_b32 exec_lo, exec_lo, s7
	s_wait_dscnt 0x0
	s_delay_alu instid0(VALU_DEP_1)
	v_mov_b32_e32 v26, v7
.LBB62_110:                             ;   in Loop: Header=BB62_4 Depth=1
	s_or_b32 exec_lo, exec_lo, s6
	s_delay_alu instid0(SALU_CYCLE_1)
	s_mov_b32 s6, exec_lo
	v_cmpx_o_f32_e32 v29, v28
	s_xor_b32 s26, exec_lo, s6
	s_cbranch_execz .LBB62_194
; %bb.111:                              ;   in Loop: Header=BB62_4 Depth=1
	s_wait_dscnt 0x0
	v_max_num_f32_e64 v7, |v28|, |v28|
	v_max_num_f32_e64 v23, |v29|, |v29|
	s_mov_b32 s6, exec_lo
	s_delay_alu instid0(VALU_DEP_1) | instskip(NEXT) | instid1(VALU_DEP_1)
	v_max_num_f32_e32 v36, v23, v7
	v_cmpx_nlt_f32_e32 0x4b000000, v36
	s_xor_b32 s27, exec_lo, s6
	s_cbranch_execz .LBB62_171
; %bb.112:                              ;   in Loop: Header=BB62_4 Depth=1
	v_cmp_neq_f32_e32 vcc_lo, 0, v29
	v_cmp_neq_f32_e64 s6, 0, v28
	s_or_b32 s6, vcc_lo, s6
	s_delay_alu instid0(SALU_CYCLE_1)
	s_and_saveexec_b32 s28, s6
	s_cbranch_execz .LBB62_170
; %bb.113:                              ;   in Loop: Header=BB62_4 Depth=1
	flat_store_b32 v[8:9], v40 scope:SCOPE_SYS
	s_wait_storecnt 0x0
	flat_load_b32 v7, v[8:9] scope:SCOPE_SYS
	s_wait_loadcnt 0x0
	v_cmp_ngt_f32_e64 s6, 0x395db3d7, |v29|
	v_cmp_ngt_f32_e64 s7, 0x395db3d7, |v28|
	s_or_b32 s6, s6, s7
	s_wait_dscnt 0x0
	v_add_f32_e32 v7, 1.0, v7
	flat_store_b32 v[14:15], v7 scope:SCOPE_SYS
	s_wait_storecnt 0x0
	flat_load_b32 v7, v[14:15] scope:SCOPE_SYS
	s_wait_loadcnt 0x0
	s_wait_xcnt 0x0
	s_and_saveexec_b32 s29, s6
	s_cbranch_execz .LBB62_169
; %bb.114:                              ;   in Loop: Header=BB62_4 Depth=1
	v_add_f32_e64 v43, |v28|, 1.0
	v_add_f32_e64 v42, |v28|, -1.0
	s_mov_b32 s6, exec_lo
	s_wait_dscnt 0x0
	s_delay_alu instid0(VALU_DEP_2) | instskip(NEXT) | instid1(VALU_DEP_2)
	v_max_num_f32_e32 v7, v23, v43
	v_max_num_f32_e64 v23, v23, |v42|
	s_delay_alu instid0(VALU_DEP_2) | instskip(NEXT) | instid1(VALU_DEP_2)
	v_cvt_f64_f32_e32 v[36:37], v7
	v_cvt_f64_f32_e32 v[38:39], v23
	s_delay_alu instid0(VALU_DEP_2) | instskip(NEXT) | instid1(VALU_DEP_2)
	v_frexp_exp_i32_f64_e32 v36, v[36:37]
	v_frexp_exp_i32_f64_e32 v37, v[38:39]
	s_delay_alu instid0(VALU_DEP_2) | instskip(SKIP_1) | instid1(VALU_DEP_2)
	v_sub_nc_u32_e32 v38, 0, v36
	v_cmp_neq_f32_e32 vcc_lo, 0x7f800000, v7
	v_ldexp_f32 v44, v43, v38
	s_delay_alu instid0(VALU_DEP_4) | instskip(SKIP_1) | instid1(VALU_DEP_3)
	v_sub_nc_u32_e32 v39, 0, v37
	v_ldexp_f32 v38, |v29|, v38
	v_mul_f32_e32 v44, v44, v44
	s_delay_alu instid0(VALU_DEP_3) | instskip(SKIP_1) | instid1(VALU_DEP_2)
	v_ldexp_f32 v45, |v42|, v39
	v_ldexp_f32 v39, |v29|, v39
	v_dual_fmac_f32 v44, v38, v38 :: v_dual_mul_f32 v45, v45, v45
	s_delay_alu instid0(VALU_DEP_1) | instskip(NEXT) | instid1(VALU_DEP_1)
	v_sqrt_f32_e32 v38, v44
	v_fmac_f32_e32 v45, v39, v39
	s_delay_alu instid0(VALU_DEP_1) | instskip(NEXT) | instid1(TRANS32_DEP_2)
	v_sqrt_f32_e32 v39, v45
	v_ldexp_f32 v36, v38, v36
	s_delay_alu instid0(VALU_DEP_1) | instskip(NEXT) | instid1(TRANS32_DEP_1)
	v_cndmask_b32_e32 v45, 0x7f800000, v36, vcc_lo
	v_ldexp_f32 v37, v39, v37
	v_cmp_neq_f32_e32 vcc_lo, 0x7f800000, v23
	s_delay_alu instid0(VALU_DEP_2) | instskip(NEXT) | instid1(VALU_DEP_1)
	v_cndmask_b32_e32 v38, 0x7f800000, v37, vcc_lo
	v_add_f32_e32 v7, v45, v38
	s_delay_alu instid0(VALU_DEP_1) | instskip(NEXT) | instid1(VALU_DEP_1)
	v_mul_f32_e32 v7, 0.5, v7
	v_cmp_ngt_f32_e32 vcc_lo, 1.0, v7
	v_cndmask_b32_e32 v36, 1.0, v7, vcc_lo
                                        ; implicit-def: $vgpr7
	s_delay_alu instid0(VALU_DEP_1)
	v_cmpx_ngt_f32_e32 0x41200000, v36
	s_xor_b32 s7, exec_lo, s6
	s_cbranch_execz .LBB62_116
; %bb.115:                              ;   in Loop: Header=BB62_4 Depth=1
	v_fma_f32 v7, v36, v36, -1.0
	s_delay_alu instid0(VALU_DEP_1) | instskip(SKIP_1) | instid1(VALU_DEP_2)
	v_mul_f32_e32 v23, 0x4f800000, v7
	v_cmp_gt_f32_e32 vcc_lo, 0xf800000, v7
	v_cndmask_b32_e32 v7, v7, v23, vcc_lo
	s_delay_alu instid0(VALU_DEP_1) | instskip(SKIP_1) | instid1(TRANS32_DEP_1)
	v_sqrt_f32_e32 v23, v7
	v_nop
	v_dual_add_nc_u32 v37, -1, v23 :: v_dual_add_nc_u32 v39, 1, v23
	s_delay_alu instid0(VALU_DEP_1) | instskip(NEXT) | instid1(VALU_DEP_1)
	v_dual_fma_f32 v44, -v37, v23, v7 :: v_dual_fma_f32 v46, -v39, v23, v7
	v_cmp_ge_f32_e64 s6, 0, v44
	s_delay_alu instid0(VALU_DEP_1) | instskip(NEXT) | instid1(VALU_DEP_3)
	v_cndmask_b32_e64 v23, v23, v37, s6
	v_cmp_lt_f32_e64 s6, 0, v46
	s_delay_alu instid0(VALU_DEP_1) | instskip(NEXT) | instid1(VALU_DEP_1)
	v_cndmask_b32_e64 v23, v23, v39, s6
	v_mul_f32_e32 v37, 0x37800000, v23
	s_delay_alu instid0(VALU_DEP_1) | instskip(SKIP_1) | instid1(VALU_DEP_2)
	v_cndmask_b32_e32 v23, v23, v37, vcc_lo
	v_cmp_class_f32_e64 vcc_lo, v7, 0x260
	v_cndmask_b32_e32 v7, v23, v7, vcc_lo
	s_delay_alu instid0(VALU_DEP_1) | instskip(NEXT) | instid1(VALU_DEP_1)
	v_add_f32_e32 v7, v36, v7
	v_cmp_gt_f32_e32 vcc_lo, 0x800000, v7
	s_delay_alu instid0(VALU_DEP_4) | instskip(NEXT) | instid1(VALU_DEP_1)
	v_cndmask_b32_e64 v23, 0, 32, vcc_lo
	v_ldexp_f32 v7, v7, v23
	s_delay_alu instid0(VALU_DEP_1) | instskip(SKIP_1) | instid1(TRANS32_DEP_1)
	v_log_f32_e32 v7, v7
	v_nop
	v_mul_f32_e32 v23, 0x3f317217, v7
	v_cmp_gt_f32_e64 s6, 0x7f800000, |v7|
	s_delay_alu instid0(VALU_DEP_2) | instskip(NEXT) | instid1(VALU_DEP_1)
	v_fma_f32 v23, 0x3f317217, v7, -v23
	v_fmac_f32_e32 v23, 0x3377d1cf, v7
	s_delay_alu instid0(VALU_DEP_1) | instskip(NEXT) | instid1(VALU_DEP_1)
	v_fmac_f32_e32 v23, 0x3f317217, v7
	v_cndmask_b32_e64 v7, v7, v23, s6
	v_cndmask_b32_e64 v23, 0, 0x41b17218, vcc_lo
	s_delay_alu instid0(VALU_DEP_1)
	v_sub_f32_e32 v7, v7, v23
.LBB62_116:                             ;   in Loop: Header=BB62_4 Depth=1
	s_or_saveexec_b32 s7, s7
	v_and_b32_e32 v44, 0x7fffffff, v29
	s_xor_b32 exec_lo, exec_lo, s7
	s_cbranch_execz .LBB62_138
; %bb.117:                              ;   in Loop: Header=BB62_4 Depth=1
	v_cmp_neq_f32_e64 s6, |v28|, 1.0
	v_cmp_ngt_f32_e64 s30, 0x25000000, |v29|
                                        ; implicit-def: $vgpr7
	s_or_b32 s6, s30, s6
	s_delay_alu instid0(SALU_CYCLE_1) | instskip(NEXT) | instid1(SALU_CYCLE_1)
	s_and_saveexec_b32 s30, s6
	s_xor_b32 s30, exec_lo, s30
	s_cbranch_execz .LBB62_135
; %bb.118:                              ;   in Loop: Header=BB62_4 Depth=1
	v_mul_f32_e64 v7, 0x34000000, |v42|
	s_delay_alu instid0(VALU_DEP_1) | instskip(SKIP_1) | instid1(SALU_CYCLE_1)
	v_cmp_ge_f32_e64 s6, |v29|, v7
                                        ; implicit-def: $vgpr7
	s_and_saveexec_b32 s31, s6
	s_xor_b32 s31, exec_lo, s31
	s_cbranch_execz .LBB62_128
; %bb.119:                              ;   in Loop: Header=BB62_4 Depth=1
	v_mov_b32_e32 v7, v44
	s_mov_b32 s6, exec_lo
	v_cmpx_neq_f32_e32 0, v43
	s_cbranch_execz .LBB62_121
; %bb.120:                              ;   in Loop: Header=BB62_4 Depth=1
	v_mul_f32_e32 v7, v29, v29
	v_add_f32_e32 v23, v43, v45
	s_delay_alu instid0(VALU_DEP_1) | instskip(NEXT) | instid1(VALU_DEP_1)
	v_div_scale_f32 v37, null, v23, v23, v7
	v_rcp_f32_e32 v39, v37
	v_nop
	s_delay_alu instid0(TRANS32_DEP_1) | instskip(NEXT) | instid1(VALU_DEP_1)
	v_fma_f32 v46, -v37, v39, 1.0
	v_fmac_f32_e32 v39, v46, v39
	v_div_scale_f32 v46, vcc_lo, v7, v23, v7
	s_delay_alu instid0(VALU_DEP_1) | instskip(NEXT) | instid1(VALU_DEP_1)
	v_mul_f32_e32 v47, v46, v39
	v_fma_f32 v48, -v37, v47, v46
	s_delay_alu instid0(VALU_DEP_1) | instskip(NEXT) | instid1(VALU_DEP_1)
	v_fmac_f32_e32 v47, v48, v39
	v_fma_f32 v37, -v37, v47, v46
	s_delay_alu instid0(VALU_DEP_1) | instskip(NEXT) | instid1(VALU_DEP_1)
	v_div_fmas_f32 v37, v37, v39, v47
	v_div_fixup_f32 v7, v37, v23, v7
.LBB62_121:                             ;   in Loop: Header=BB62_4 Depth=1
	s_or_b32 exec_lo, exec_lo, s6
	v_sub_f32_e64 v37, 1.0, |v28|
	s_mov_b32 s6, exec_lo
                                        ; implicit-def: $vgpr23
	s_delay_alu instid0(VALU_DEP_1)
	v_cmpx_ngt_f32_e32 0, v37
	s_xor_b32 s6, exec_lo, s6
	s_cbranch_execz .LBB62_125
; %bb.122:                              ;   in Loop: Header=BB62_4 Depth=1
	v_mov_b32_e32 v23, v44
	s_mov_b32 s33, exec_lo
	v_cmpx_neq_f32_e32 0, v37
	s_cbranch_execz .LBB62_124
; %bb.123:                              ;   in Loop: Header=BB62_4 Depth=1
	v_mul_f32_e32 v23, v29, v29
	v_add_f32_e32 v37, v37, v38
	s_delay_alu instid0(VALU_DEP_1) | instskip(NEXT) | instid1(VALU_DEP_1)
	v_div_scale_f32 v39, null, v37, v37, v23
	v_rcp_f32_e32 v46, v39
	v_nop
	s_delay_alu instid0(TRANS32_DEP_1) | instskip(NEXT) | instid1(VALU_DEP_1)
	v_fma_f32 v47, -v39, v46, 1.0
	v_fmac_f32_e32 v46, v47, v46
	v_div_scale_f32 v47, vcc_lo, v23, v37, v23
	s_delay_alu instid0(VALU_DEP_1) | instskip(NEXT) | instid1(VALU_DEP_1)
	v_mul_f32_e32 v48, v47, v46
	v_fma_f32 v49, -v39, v48, v47
	s_delay_alu instid0(VALU_DEP_1) | instskip(NEXT) | instid1(VALU_DEP_1)
	v_fmac_f32_e32 v48, v49, v46
	v_fma_f32 v39, -v39, v48, v47
	s_delay_alu instid0(VALU_DEP_1) | instskip(NEXT) | instid1(VALU_DEP_1)
	v_div_fmas_f32 v39, v39, v46, v48
	v_div_fixup_f32 v23, v39, v37, v23
.LBB62_124:                             ;   in Loop: Header=BB62_4 Depth=1
	s_or_b32 exec_lo, exec_lo, s33
                                        ; implicit-def: $vgpr37
.LBB62_125:                             ;   in Loop: Header=BB62_4 Depth=1
	s_and_not1_saveexec_b32 s6, s6
; %bb.126:                              ;   in Loop: Header=BB62_4 Depth=1
	v_sub_f32_e32 v23, v38, v37
; %bb.127:                              ;   in Loop: Header=BB62_4 Depth=1
	s_or_b32 exec_lo, exec_lo, s6
	v_mul_f32_e32 v37, 0.5, v7
	s_delay_alu instid0(VALU_DEP_2) | instskip(NEXT) | instid1(VALU_DEP_1)
	v_mul_f32_e32 v7, 0.5, v23
	v_pk_add_f32 v[46:47], v[36:37], v[6:7]
	s_delay_alu instid0(VALU_DEP_1) | instskip(NEXT) | instid1(VALU_DEP_1)
	v_mul_f32_e32 v7, v46, v47
	v_mul_f32_e32 v23, 0x4f800000, v7
	v_cmp_gt_f32_e32 vcc_lo, 0xf800000, v7
	s_delay_alu instid0(VALU_DEP_2) | instskip(NEXT) | instid1(VALU_DEP_1)
	v_cndmask_b32_e32 v7, v7, v23, vcc_lo
	v_sqrt_f32_e32 v23, v7
	v_nop
	s_delay_alu instid0(TRANS32_DEP_1) | instskip(NEXT) | instid1(VALU_DEP_1)
	v_dual_add_nc_u32 v37, -1, v23 :: v_dual_add_nc_u32 v39, 1, v23
	v_dual_fma_f32 v46, -v37, v23, v7 :: v_dual_fma_f32 v48, -v39, v23, v7
	s_delay_alu instid0(VALU_DEP_1) | instskip(NEXT) | instid1(VALU_DEP_1)
	v_cmp_ge_f32_e64 s6, 0, v46
	v_cndmask_b32_e64 v23, v23, v37, s6
	s_delay_alu instid0(VALU_DEP_3) | instskip(NEXT) | instid1(VALU_DEP_1)
	v_cmp_lt_f32_e64 s6, 0, v48
	v_cndmask_b32_e64 v23, v23, v39, s6
	s_delay_alu instid0(VALU_DEP_1) | instskip(NEXT) | instid1(VALU_DEP_1)
	v_mul_f32_e32 v37, 0x37800000, v23
	v_cndmask_b32_e32 v23, v23, v37, vcc_lo
	v_cmp_class_f32_e64 vcc_lo, v7, 0x260
	s_delay_alu instid0(VALU_DEP_2) | instskip(NEXT) | instid1(VALU_DEP_1)
	v_cndmask_b32_e32 v7, v23, v7, vcc_lo
	v_add_f32_e32 v46, v47, v7
	s_delay_alu instid0(VALU_DEP_1) | instskip(NEXT) | instid1(VALU_DEP_1)
	v_add_f32_e32 v49, 1.0, v46
	v_cvt_f64_f32_e32 v[50:51], v49
	v_frexp_mant_f32_e32 v23, v49
	s_delay_alu instid0(VALU_DEP_1) | instskip(NEXT) | instid1(VALU_DEP_3)
	v_cmp_gt_f32_e32 vcc_lo, 0x3f2aaaab, v23
	v_frexp_exp_i32_f64_e32 v7, v[50:51]
	s_delay_alu instid0(VALU_DEP_1) | instskip(SKIP_2) | instid1(VALU_DEP_2)
	v_subrev_co_ci_u32_e64 v7, null, 0, v7, vcc_lo
	v_add_f32_e32 v47, -1.0, v49
	v_cmp_neq_f32_e32 vcc_lo, 0x7f800000, v46
	v_dual_mov_b32 v48, v47 :: v_dual_sub_nc_u32 v23, 0, v7
	s_delay_alu instid0(VALU_DEP_1) | instskip(NEXT) | instid1(VALU_DEP_2)
	v_ldexp_f32 v37, v49, v23
	v_pk_add_f32 v[50:51], v[46:47], v[48:49] neg_lo:[0,1] neg_hi:[0,1]
	s_delay_alu instid0(VALU_DEP_1) | instskip(NEXT) | instid1(VALU_DEP_1)
	v_dual_add_f32 v53, -1.0, v37 :: v_dual_add_f32 v39, 1.0, v51
	v_dual_add_f32 v47, 1.0, v37 :: v_dual_add_f32 v39, v50, v39
	s_delay_alu instid0(VALU_DEP_1) | instskip(NEXT) | instid1(VALU_DEP_2)
	v_add_f32_e32 v48, -1.0, v47
	v_ldexp_f32 v23, v39, v23
	s_delay_alu instid0(VALU_DEP_2) | instskip(NEXT) | instid1(VALU_DEP_1)
	v_dual_sub_f32 v39, v37, v48 :: v_dual_add_f32 v48, 1.0, v53
	v_dual_add_f32 v39, v23, v39 :: v_dual_sub_f32 v37, v37, v48
	s_delay_alu instid0(VALU_DEP_1) | instskip(NEXT) | instid1(VALU_DEP_1)
	v_add_f32_e32 v23, v23, v37
	v_add_f32_e32 v49, v53, v23
	s_delay_alu instid0(VALU_DEP_3) | instskip(NEXT) | instid1(VALU_DEP_1)
	v_add_f32_e32 v54, v47, v39
	v_rcp_f32_e32 v37, v54
	v_nop
	s_delay_alu instid0(TRANS32_DEP_1) | instskip(NEXT) | instid1(VALU_DEP_1)
	v_dual_mul_f32 v55, v49, v37 :: v_dual_sub_f32 v47, v54, v47
	v_mul_f32_e32 v50, v54, v55
	s_delay_alu instid0(VALU_DEP_2) | instskip(NEXT) | instid1(VALU_DEP_2)
	v_sub_f32_e32 v39, v39, v47
	v_dual_fma_f32 v52, v55, v54, -v50 :: v_dual_sub_f32 v47, v49, v53
	s_delay_alu instid0(VALU_DEP_1) | instskip(NEXT) | instid1(VALU_DEP_1)
	v_fmac_f32_e32 v52, v55, v39
	v_dual_sub_f32 v23, v23, v47 :: v_dual_add_f32 v48, v50, v52
	s_delay_alu instid0(VALU_DEP_1) | instskip(NEXT) | instid1(VALU_DEP_1)
	v_dual_sub_f32 v51, v49, v48 :: v_dual_mov_b32 v53, v48
	v_pk_add_f32 v[48:49], v[48:49], v[50:51] neg_lo:[0,1] neg_hi:[0,1]
	s_delay_alu instid0(VALU_DEP_1) | instskip(NEXT) | instid1(VALU_DEP_1)
	v_pk_add_f32 v[48:49], v[48:49], v[52:53] neg_lo:[0,1] neg_hi:[0,1]
	v_add_f32_e32 v23, v23, v49
	s_delay_alu instid0(VALU_DEP_1) | instskip(NEXT) | instid1(VALU_DEP_1)
	v_add_f32_e32 v23, v48, v23
	v_add_f32_e32 v49, v51, v23
	s_delay_alu instid0(VALU_DEP_1) | instskip(NEXT) | instid1(VALU_DEP_1)
	v_mul_f32_e32 v47, v37, v49
	v_mul_f32_e32 v52, v54, v47
	s_delay_alu instid0(VALU_DEP_1) | instskip(NEXT) | instid1(VALU_DEP_1)
	v_fma_f32 v50, v47, v54, -v52
	v_fmac_f32_e32 v50, v47, v39
	s_delay_alu instid0(VALU_DEP_1) | instskip(NEXT) | instid1(VALU_DEP_1)
	v_dual_add_f32 v48, v52, v50 :: v_dual_sub_f32 v39, v51, v49
	v_dual_sub_f32 v53, v49, v48 :: v_dual_mov_b32 v51, v48
	s_delay_alu instid0(VALU_DEP_2) | instskip(SKIP_1) | instid1(VALU_DEP_3)
	v_add_f32_e32 v23, v23, v39
	v_add_f32_e32 v39, v55, v47
	v_pk_add_f32 v[48:49], v[48:49], v[52:53] neg_lo:[0,1] neg_hi:[0,1]
	s_delay_alu instid0(VALU_DEP_1) | instskip(NEXT) | instid1(VALU_DEP_1)
	v_pk_add_f32 v[48:49], v[48:49], v[50:51] neg_lo:[0,1] neg_hi:[0,1]
	v_add_f32_e32 v23, v23, v49
	s_delay_alu instid0(VALU_DEP_1) | instskip(SKIP_1) | instid1(VALU_DEP_1)
	v_add_f32_e32 v23, v48, v23
	v_sub_f32_e32 v48, v39, v55
	v_dual_add_f32 v23, v53, v23 :: v_dual_sub_f32 v47, v47, v48
	v_cvt_f32_i32_e32 v48, v7
	s_delay_alu instid0(VALU_DEP_2) | instskip(NEXT) | instid1(VALU_DEP_1)
	v_mul_f32_e32 v23, v37, v23
	v_add_f32_e32 v37, v47, v23
	s_delay_alu instid0(VALU_DEP_1) | instskip(NEXT) | instid1(VALU_DEP_1)
	v_add_f32_e32 v47, v39, v37
	v_mul_f32_e32 v23, v47, v47
	v_ldexp_f32 v53, v47, 1
	s_delay_alu instid0(VALU_DEP_2) | instskip(NEXT) | instid1(VALU_DEP_1)
	v_dual_fmaak_f32 v50, s23, v23, 0x3ecc95a3 :: v_dual_mul_f32 v49, v47, v23
	v_fmaak_f32 v23, v23, v50, 0x3f2aaada
	s_delay_alu instid0(VALU_DEP_1) | instskip(NEXT) | instid1(VALU_DEP_1)
	v_pk_mul_f32 v[50:51], v[48:49], v[22:23]
	v_fma_f32 v52, 0x3f317218, v48, -v50
	v_mov_b32_e32 v54, v50
	s_delay_alu instid0(VALU_DEP_2) | instskip(NEXT) | instid1(VALU_DEP_1)
	v_fmac_f32_e32 v52, 0xb102e308, v48
	v_pk_add_f32 v[48:49], v[50:51], v[52:53]
	s_delay_alu instid0(VALU_DEP_1) | instskip(NEXT) | instid1(VALU_DEP_2)
	v_dual_sub_f32 v23, v49, v53 :: v_dual_sub_f32 v7, v47, v39
	v_dual_mov_b32 v53, v48 :: v_dual_mov_b32 v62, v49
	s_delay_alu instid0(VALU_DEP_2) | instskip(NEXT) | instid1(VALU_DEP_3)
	v_sub_f32_e32 v23, v51, v23
	v_sub_f32_e32 v7, v37, v7
	v_pk_add_f32 v[50:51], v[48:49], v[50:51] neg_lo:[0,1] neg_hi:[0,1]
	s_delay_alu instid0(VALU_DEP_2) | instskip(NEXT) | instid1(VALU_DEP_1)
	v_ldexp_f32 v7, v7, 1
	v_add_f32_e32 v55, v7, v23
	s_delay_alu instid0(VALU_DEP_1) | instskip(NEXT) | instid1(VALU_DEP_1)
	v_pk_add_f32 v[56:57], v[48:49], v[54:55]
	v_mov_b32_e32 v51, v57
	s_delay_alu instid0(VALU_DEP_1) | instskip(SKIP_2) | instid1(VALU_DEP_3)
	v_pk_add_f32 v[58:59], v[52:53], v[50:51]
	v_mov_b32_e32 v58, v57
	v_pk_add_f32 v[50:51], v[52:53], v[50:51] neg_lo:[0,1] neg_hi:[0,1]
	v_dual_mov_b32 v54, v59 :: v_dual_mov_b32 v51, v59
	s_delay_alu instid0(VALU_DEP_1) | instskip(SKIP_1) | instid1(VALU_DEP_2)
	v_pk_add_f32 v[60:61], v[54:55], v[48:49] neg_lo:[0,1] neg_hi:[0,1]
	v_dual_mov_b32 v49, v48 :: v_dual_mov_b32 v48, v55
	v_dual_mov_b32 v63, v60 :: v_dual_mov_b32 v7, v60
	s_delay_alu instid0(VALU_DEP_1) | instskip(NEXT) | instid1(VALU_DEP_2)
	v_pk_add_f32 v[60:61], v[58:59], v[62:63] neg_lo:[0,1] neg_hi:[0,1]
	v_pk_add_f32 v[52:53], v[56:57], v[6:7] neg_lo:[0,1] neg_hi:[0,1]
	v_mov_b32_e32 v52, v50
	s_delay_alu instid0(VALU_DEP_3) | instskip(NEXT) | instid1(VALU_DEP_1)
	v_pk_add_f32 v[48:49], v[48:49], v[60:61] neg_lo:[0,1] neg_hi:[0,1]
	v_pk_add_f32 v[52:53], v[52:53], v[48:49]
	s_delay_alu instid0(VALU_DEP_1) | instskip(NEXT) | instid1(VALU_DEP_1)
	v_mov_b32_e32 v56, v53
	v_pk_add_f32 v[56:57], v[52:53], v[56:57]
	s_delay_alu instid0(VALU_DEP_1) | instskip(NEXT) | instid1(VALU_DEP_1)
	v_pk_add_f32 v[54:55], v[54:55], v[56:57]
	v_dual_mov_b32 v49, v56 :: v_dual_mov_b32 v53, v54
	s_delay_alu instid0(VALU_DEP_1) | instskip(NEXT) | instid1(VALU_DEP_1)
	v_pk_add_f32 v[58:59], v[52:53], v[50:51] neg_lo:[0,1] neg_hi:[0,1]
	v_sub_f32_e32 v7, v52, v58
	s_delay_alu instid0(VALU_DEP_2) | instskip(NEXT) | instid1(VALU_DEP_2)
	v_pk_add_f32 v[48:49], v[48:49], v[58:59] neg_lo:[0,1] neg_hi:[0,1]
	v_sub_f32_e32 v7, v50, v7
	s_delay_alu instid0(VALU_DEP_1) | instskip(NEXT) | instid1(VALU_DEP_1)
	v_add_f32_e32 v7, v48, v7
	v_add_f32_e32 v7, v7, v49
	s_delay_alu instid0(VALU_DEP_1) | instskip(NEXT) | instid1(VALU_DEP_1)
	v_add_f32_e32 v7, v54, v7
	v_cndmask_b32_e32 v7, 0x7f800000, v7, vcc_lo
	v_cmp_ngt_f32_e32 vcc_lo, -1.0, v46
	s_delay_alu instid0(VALU_DEP_2) | instskip(SKIP_1) | instid1(VALU_DEP_2)
	v_cndmask_b32_e32 v7, 0x7fc00000, v7, vcc_lo
	v_cmp_neq_f32_e32 vcc_lo, -1.0, v46
	v_cndmask_b32_e32 v7, 0xff800000, v7, vcc_lo
	v_cmp_gt_f32_e64 vcc_lo, 0x33800000, |v46|
	s_delay_alu instid0(VALU_DEP_2)
	v_cndmask_b32_e32 v7, v7, v46, vcc_lo
.LBB62_128:                             ;   in Loop: Header=BB62_4 Depth=1
	s_and_not1_saveexec_b32 s31, s31
	s_cbranch_execz .LBB62_134
; %bb.129:                              ;   in Loop: Header=BB62_4 Depth=1
	s_mov_b32 s33, exec_lo
                                        ; implicit-def: $vgpr7
	v_cmpx_nlt_f32_e64 |v28|, 1.0
	s_xor_b32 s33, exec_lo, s33
	s_cbranch_execz .LBB62_131
; %bb.130:                              ;   in Loop: Header=BB62_4 Depth=1
	v_mul_f32_e32 v7, v42, v43
	s_delay_alu instid0(VALU_DEP_1) | instskip(SKIP_1) | instid1(VALU_DEP_2)
	v_mul_f32_e32 v23, 0x4f800000, v7
	v_cmp_gt_f32_e32 vcc_lo, 0xf800000, v7
	v_cndmask_b32_e32 v7, v7, v23, vcc_lo
	s_delay_alu instid0(VALU_DEP_1) | instskip(SKIP_1) | instid1(TRANS32_DEP_1)
	v_sqrt_f32_e32 v23, v7
	v_nop
	v_dual_add_nc_u32 v37, -1, v23 :: v_dual_add_nc_u32 v39, 1, v23
	s_delay_alu instid0(VALU_DEP_1) | instskip(NEXT) | instid1(VALU_DEP_1)
	v_dual_fma_f32 v46, -v37, v23, v7 :: v_dual_fma_f32 v47, -v39, v23, v7
	v_cmp_ge_f32_e64 s6, 0, v46
	s_delay_alu instid0(VALU_DEP_1) | instskip(NEXT) | instid1(VALU_DEP_3)
	v_cndmask_b32_e64 v23, v23, v37, s6
	v_cmp_lt_f32_e64 s6, 0, v47
	s_delay_alu instid0(VALU_DEP_1) | instskip(NEXT) | instid1(VALU_DEP_1)
	v_cndmask_b32_e64 v23, v23, v39, s6
	v_mul_f32_e32 v37, 0x37800000, v23
	s_delay_alu instid0(VALU_DEP_1) | instskip(SKIP_1) | instid1(VALU_DEP_2)
	v_cndmask_b32_e32 v23, v23, v37, vcc_lo
	v_cmp_class_f32_e64 vcc_lo, v7, 0x260
	v_cndmask_b32_e32 v7, v23, v7, vcc_lo
	s_delay_alu instid0(VALU_DEP_1) | instskip(NEXT) | instid1(VALU_DEP_1)
	v_add_f32_e32 v46, v42, v7
	v_add_f32_e32 v49, 1.0, v46
	s_delay_alu instid0(VALU_DEP_1) | instskip(SKIP_2) | instid1(VALU_DEP_2)
	v_cvt_f64_f32_e32 v[50:51], v49
	v_frexp_mant_f32_e32 v23, v49
	v_add_f32_e32 v47, -1.0, v49
	v_cmp_gt_f32_e32 vcc_lo, 0x3f2aaaab, v23
	s_delay_alu instid0(VALU_DEP_2) | instskip(SKIP_1) | instid1(VALU_DEP_2)
	v_mov_b32_e32 v48, v47
	v_frexp_exp_i32_f64_e32 v7, v[50:51]
	v_pk_add_f32 v[50:51], v[46:47], v[48:49] neg_lo:[0,1] neg_hi:[0,1]
	s_delay_alu instid0(VALU_DEP_1) | instskip(NEXT) | instid1(VALU_DEP_3)
	v_add_f32_e32 v39, 1.0, v51
	v_subrev_co_ci_u32_e64 v7, null, 0, v7, vcc_lo
	v_cmp_neq_f32_e32 vcc_lo, 0x7f800000, v46
	s_delay_alu instid0(VALU_DEP_2) | instskip(NEXT) | instid1(VALU_DEP_1)
	v_sub_nc_u32_e32 v23, 0, v7
	v_ldexp_f32 v37, v49, v23
	s_delay_alu instid0(VALU_DEP_1) | instskip(SKIP_1) | instid1(VALU_DEP_1)
	v_dual_add_f32 v47, 1.0, v37 :: v_dual_add_f32 v53, -1.0, v37
	v_add_f32_e32 v39, v50, v39
	v_ldexp_f32 v23, v39, v23
	s_delay_alu instid0(VALU_DEP_3) | instskip(NEXT) | instid1(VALU_DEP_1)
	v_add_f32_e32 v48, -1.0, v47
	v_dual_sub_f32 v39, v37, v48 :: v_dual_add_f32 v48, 1.0, v53
	s_delay_alu instid0(VALU_DEP_1) | instskip(NEXT) | instid1(VALU_DEP_1)
	v_dual_sub_f32 v37, v37, v48 :: v_dual_add_f32 v39, v23, v39
	v_add_f32_e32 v23, v23, v37
	s_delay_alu instid0(VALU_DEP_2) | instskip(NEXT) | instid1(VALU_DEP_2)
	v_add_f32_e32 v54, v47, v39
	v_add_f32_e32 v49, v53, v23
	s_delay_alu instid0(VALU_DEP_2) | instskip(SKIP_1) | instid1(TRANS32_DEP_1)
	v_rcp_f32_e32 v37, v54
	v_nop
	v_mul_f32_e32 v55, v49, v37
	s_delay_alu instid0(VALU_DEP_1) | instskip(NEXT) | instid1(VALU_DEP_1)
	v_mul_f32_e32 v50, v54, v55
	v_dual_fma_f32 v52, v55, v54, -v50 :: v_dual_sub_f32 v47, v54, v47
	s_delay_alu instid0(VALU_DEP_1) | instskip(NEXT) | instid1(VALU_DEP_1)
	v_dual_sub_f32 v39, v39, v47 :: v_dual_sub_f32 v47, v49, v53
	v_fmac_f32_e32 v52, v55, v39
	s_delay_alu instid0(VALU_DEP_1) | instskip(NEXT) | instid1(VALU_DEP_1)
	v_dual_sub_f32 v23, v23, v47 :: v_dual_add_f32 v48, v50, v52
	v_dual_sub_f32 v51, v49, v48 :: v_dual_mov_b32 v53, v48
	s_delay_alu instid0(VALU_DEP_1) | instskip(NEXT) | instid1(VALU_DEP_1)
	v_pk_add_f32 v[48:49], v[48:49], v[50:51] neg_lo:[0,1] neg_hi:[0,1]
	v_pk_add_f32 v[48:49], v[48:49], v[52:53] neg_lo:[0,1] neg_hi:[0,1]
	s_delay_alu instid0(VALU_DEP_1) | instskip(NEXT) | instid1(VALU_DEP_1)
	v_add_f32_e32 v23, v23, v49
	v_add_f32_e32 v23, v48, v23
	s_delay_alu instid0(VALU_DEP_1) | instskip(NEXT) | instid1(VALU_DEP_1)
	v_add_f32_e32 v49, v51, v23
	v_mul_f32_e32 v47, v37, v49
	s_delay_alu instid0(VALU_DEP_1) | instskip(NEXT) | instid1(VALU_DEP_1)
	v_mul_f32_e32 v52, v54, v47
	v_fma_f32 v50, v47, v54, -v52
	s_delay_alu instid0(VALU_DEP_1) | instskip(NEXT) | instid1(VALU_DEP_1)
	v_fmac_f32_e32 v50, v47, v39
	v_dual_sub_f32 v39, v51, v49 :: v_dual_add_f32 v48, v52, v50
	s_delay_alu instid0(VALU_DEP_1) | instskip(NEXT) | instid1(VALU_DEP_2)
	v_add_f32_e32 v23, v23, v39
	v_dual_add_f32 v39, v55, v47 :: v_dual_mov_b32 v51, v48
	v_sub_f32_e32 v53, v49, v48
	s_delay_alu instid0(VALU_DEP_1) | instskip(NEXT) | instid1(VALU_DEP_1)
	v_pk_add_f32 v[48:49], v[48:49], v[52:53] neg_lo:[0,1] neg_hi:[0,1]
	v_pk_add_f32 v[48:49], v[48:49], v[50:51] neg_lo:[0,1] neg_hi:[0,1]
	s_delay_alu instid0(VALU_DEP_1) | instskip(NEXT) | instid1(VALU_DEP_1)
	v_add_f32_e32 v23, v23, v49
	v_add_f32_e32 v23, v48, v23
	v_sub_f32_e32 v48, v39, v55
	s_delay_alu instid0(VALU_DEP_1) | instskip(SKIP_1) | instid1(VALU_DEP_2)
	v_dual_add_f32 v23, v53, v23 :: v_dual_sub_f32 v47, v47, v48
	v_cvt_f32_i32_e32 v48, v7
	v_mul_f32_e32 v23, v37, v23
	s_delay_alu instid0(VALU_DEP_1) | instskip(NEXT) | instid1(VALU_DEP_1)
	v_add_f32_e32 v37, v47, v23
	v_add_f32_e32 v47, v39, v37
	s_delay_alu instid0(VALU_DEP_1) | instskip(SKIP_1) | instid1(VALU_DEP_2)
	v_mul_f32_e32 v23, v47, v47
	v_ldexp_f32 v53, v47, 1
	v_dual_fmaak_f32 v50, s23, v23, 0x3ecc95a3 :: v_dual_mul_f32 v49, v47, v23
	s_delay_alu instid0(VALU_DEP_1) | instskip(NEXT) | instid1(VALU_DEP_1)
	v_fmaak_f32 v23, v23, v50, 0x3f2aaada
	v_pk_mul_f32 v[50:51], v[48:49], v[22:23]
	s_delay_alu instid0(VALU_DEP_1) | instskip(SKIP_1) | instid1(VALU_DEP_2)
	v_fma_f32 v52, 0x3f317218, v48, -v50
	v_mov_b32_e32 v54, v50
	v_fmac_f32_e32 v52, 0xb102e308, v48
	s_delay_alu instid0(VALU_DEP_1) | instskip(NEXT) | instid1(VALU_DEP_1)
	v_pk_add_f32 v[48:49], v[50:51], v[52:53]
	v_dual_sub_f32 v23, v49, v53 :: v_dual_sub_f32 v7, v47, v39
	s_delay_alu instid0(VALU_DEP_2) | instskip(NEXT) | instid1(VALU_DEP_2)
	v_dual_mov_b32 v53, v48 :: v_dual_mov_b32 v62, v49
	v_sub_f32_e32 v23, v51, v23
	s_delay_alu instid0(VALU_DEP_3) | instskip(SKIP_1) | instid1(VALU_DEP_2)
	v_sub_f32_e32 v7, v37, v7
	v_pk_add_f32 v[50:51], v[48:49], v[50:51] neg_lo:[0,1] neg_hi:[0,1]
	v_ldexp_f32 v7, v7, 1
	s_delay_alu instid0(VALU_DEP_1) | instskip(NEXT) | instid1(VALU_DEP_1)
	v_add_f32_e32 v55, v7, v23
	v_pk_add_f32 v[56:57], v[48:49], v[54:55]
	s_delay_alu instid0(VALU_DEP_1) | instskip(NEXT) | instid1(VALU_DEP_1)
	v_mov_b32_e32 v51, v57
	v_pk_add_f32 v[58:59], v[52:53], v[50:51]
	v_mov_b32_e32 v58, v57
	v_pk_add_f32 v[50:51], v[52:53], v[50:51] neg_lo:[0,1] neg_hi:[0,1]
	s_delay_alu instid0(VALU_DEP_3) | instskip(NEXT) | instid1(VALU_DEP_1)
	v_dual_mov_b32 v54, v59 :: v_dual_mov_b32 v51, v59
	v_pk_add_f32 v[60:61], v[54:55], v[48:49] neg_lo:[0,1] neg_hi:[0,1]
	v_dual_mov_b32 v49, v48 :: v_dual_mov_b32 v48, v55
	s_delay_alu instid0(VALU_DEP_2) | instskip(NEXT) | instid1(VALU_DEP_1)
	v_dual_mov_b32 v63, v60 :: v_dual_mov_b32 v7, v60
	v_pk_add_f32 v[60:61], v[58:59], v[62:63] neg_lo:[0,1] neg_hi:[0,1]
	s_delay_alu instid0(VALU_DEP_2) | instskip(SKIP_1) | instid1(VALU_DEP_3)
	v_pk_add_f32 v[52:53], v[56:57], v[6:7] neg_lo:[0,1] neg_hi:[0,1]
	v_mov_b32_e32 v52, v50
	v_pk_add_f32 v[48:49], v[48:49], v[60:61] neg_lo:[0,1] neg_hi:[0,1]
	s_delay_alu instid0(VALU_DEP_1) | instskip(NEXT) | instid1(VALU_DEP_1)
	v_pk_add_f32 v[52:53], v[52:53], v[48:49]
	v_mov_b32_e32 v56, v53
	s_delay_alu instid0(VALU_DEP_1) | instskip(NEXT) | instid1(VALU_DEP_1)
	v_pk_add_f32 v[56:57], v[52:53], v[56:57]
	v_pk_add_f32 v[54:55], v[54:55], v[56:57]
	s_delay_alu instid0(VALU_DEP_1) | instskip(NEXT) | instid1(VALU_DEP_1)
	v_dual_mov_b32 v49, v56 :: v_dual_mov_b32 v53, v54
	v_pk_add_f32 v[58:59], v[52:53], v[50:51] neg_lo:[0,1] neg_hi:[0,1]
	s_delay_alu instid0(VALU_DEP_1) | instskip(NEXT) | instid1(VALU_DEP_2)
	v_sub_f32_e32 v7, v52, v58
	v_pk_add_f32 v[48:49], v[48:49], v[58:59] neg_lo:[0,1] neg_hi:[0,1]
	s_delay_alu instid0(VALU_DEP_2) | instskip(NEXT) | instid1(VALU_DEP_1)
	v_sub_f32_e32 v7, v50, v7
	v_add_f32_e32 v7, v48, v7
	s_delay_alu instid0(VALU_DEP_1) | instskip(NEXT) | instid1(VALU_DEP_1)
	v_add_f32_e32 v7, v7, v49
	v_add_f32_e32 v7, v54, v7
	s_delay_alu instid0(VALU_DEP_1) | instskip(SKIP_1) | instid1(VALU_DEP_2)
	v_cndmask_b32_e32 v7, 0x7f800000, v7, vcc_lo
	v_cmp_ngt_f32_e32 vcc_lo, -1.0, v46
	v_cndmask_b32_e32 v7, 0x7fc00000, v7, vcc_lo
	v_cmp_neq_f32_e32 vcc_lo, -1.0, v46
	s_delay_alu instid0(VALU_DEP_2) | instskip(SKIP_1) | instid1(VALU_DEP_2)
	v_cndmask_b32_e32 v7, 0xff800000, v7, vcc_lo
	v_cmp_gt_f32_e64 vcc_lo, 0x33800000, |v46|
	v_cndmask_b32_e32 v7, v7, v46, vcc_lo
.LBB62_131:                             ;   in Loop: Header=BB62_4 Depth=1
	s_and_not1_saveexec_b32 s33, s33
	s_cbranch_execz .LBB62_133
; %bb.132:                              ;   in Loop: Header=BB62_4 Depth=1
	v_sub_f32_e64 v7, 1.0, |v28|
	s_delay_alu instid0(VALU_DEP_1) | instskip(NEXT) | instid1(VALU_DEP_1)
	v_mul_f32_e32 v7, v7, v43
	v_mul_f32_e32 v23, 0x4f800000, v7
	v_cmp_gt_f32_e32 vcc_lo, 0xf800000, v7
	s_delay_alu instid0(VALU_DEP_2) | instskip(NEXT) | instid1(VALU_DEP_1)
	v_cndmask_b32_e32 v7, v7, v23, vcc_lo
	v_sqrt_f32_e32 v23, v7
	v_nop
	s_delay_alu instid0(TRANS32_DEP_1) | instskip(NEXT) | instid1(VALU_DEP_1)
	v_dual_add_nc_u32 v37, -1, v23 :: v_dual_add_nc_u32 v39, 1, v23
	v_dual_fma_f32 v46, -v37, v23, v7 :: v_dual_fma_f32 v47, -v39, v23, v7
	s_delay_alu instid0(VALU_DEP_1) | instskip(NEXT) | instid1(VALU_DEP_1)
	v_cmp_ge_f32_e64 s6, 0, v46
	v_cndmask_b32_e64 v23, v23, v37, s6
	s_delay_alu instid0(VALU_DEP_3) | instskip(NEXT) | instid1(VALU_DEP_1)
	v_cmp_lt_f32_e64 s6, 0, v47
	v_cndmask_b32_e64 v23, v23, v39, s6
	s_delay_alu instid0(VALU_DEP_1) | instskip(NEXT) | instid1(VALU_DEP_1)
	v_mul_f32_e32 v37, 0x37800000, v23
	v_cndmask_b32_e32 v23, v23, v37, vcc_lo
	v_cmp_class_f32_e64 vcc_lo, v7, 0x260
	v_and_b32_e32 v37, 0x7fffffff, v29
	s_delay_alu instid0(VALU_DEP_3) | instskip(NEXT) | instid1(VALU_DEP_1)
	v_cndmask_b32_e32 v7, v23, v7, vcc_lo
	v_div_scale_f32 v23, null, v7, v7, v37
	v_div_scale_f32 v37, vcc_lo, v37, v7, v37
	s_delay_alu instid0(VALU_DEP_2) | instskip(SKIP_1) | instid1(TRANS32_DEP_1)
	v_rcp_f32_e32 v39, v23
	v_nop
	v_fma_f32 v46, -v23, v39, 1.0
	s_delay_alu instid0(VALU_DEP_1) | instskip(NEXT) | instid1(VALU_DEP_1)
	v_fmac_f32_e32 v39, v46, v39
	v_mul_f32_e32 v46, v37, v39
	s_delay_alu instid0(VALU_DEP_1) | instskip(NEXT) | instid1(VALU_DEP_1)
	v_fma_f32 v47, -v23, v46, v37
	v_fmac_f32_e32 v46, v47, v39
	s_delay_alu instid0(VALU_DEP_1) | instskip(NEXT) | instid1(VALU_DEP_1)
	v_fma_f32 v23, -v23, v46, v37
	v_div_fmas_f32 v23, v23, v39, v46
	s_delay_alu instid0(VALU_DEP_1)
	v_div_fixup_f32 v7, v23, v7, |v29|
.LBB62_133:                             ;   in Loop: Header=BB62_4 Depth=1
	s_or_b32 exec_lo, exec_lo, s33
.LBB62_134:                             ;   in Loop: Header=BB62_4 Depth=1
	s_delay_alu instid0(SALU_CYCLE_1)
	s_or_b32 exec_lo, exec_lo, s31
.LBB62_135:                             ;   in Loop: Header=BB62_4 Depth=1
	s_and_not1_saveexec_b32 s30, s30
	s_cbranch_execz .LBB62_137
; %bb.136:                              ;   in Loop: Header=BB62_4 Depth=1
	v_mul_f32_e64 v7, 0x4f800000, |v29|
	v_cmp_gt_f32_e64 vcc_lo, 0xf800000, |v29|
	s_delay_alu instid0(VALU_DEP_1) | instskip(NEXT) | instid1(VALU_DEP_1)
	v_cndmask_b32_e64 v7, |v29|, v7, vcc_lo
	v_sqrt_f32_e32 v23, v7
	v_nop
	s_delay_alu instid0(TRANS32_DEP_1) | instskip(NEXT) | instid1(VALU_DEP_1)
	v_dual_add_nc_u32 v37, -1, v23 :: v_dual_add_nc_u32 v39, 1, v23
	v_dual_fma_f32 v46, -v37, v23, v7 :: v_dual_fma_f32 v47, -v39, v23, v7
	s_delay_alu instid0(VALU_DEP_1) | instskip(NEXT) | instid1(VALU_DEP_1)
	v_cmp_ge_f32_e64 s6, 0, v46
	v_cndmask_b32_e64 v23, v23, v37, s6
	s_delay_alu instid0(VALU_DEP_3) | instskip(NEXT) | instid1(VALU_DEP_1)
	v_cmp_lt_f32_e64 s6, 0, v47
	v_cndmask_b32_e64 v23, v23, v39, s6
	s_delay_alu instid0(VALU_DEP_1) | instskip(NEXT) | instid1(VALU_DEP_1)
	v_mul_f32_e32 v37, 0x37800000, v23
	v_cndmask_b32_e32 v23, v23, v37, vcc_lo
	v_cmp_class_f32_e64 vcc_lo, v7, 0x260
	s_delay_alu instid0(VALU_DEP_2)
	v_cndmask_b32_e32 v7, v23, v7, vcc_lo
.LBB62_137:                             ;   in Loop: Header=BB62_4 Depth=1
	s_or_b32 exec_lo, exec_lo, s30
.LBB62_138:                             ;   in Loop: Header=BB62_4 Depth=1
	s_delay_alu instid0(SALU_CYCLE_1)
	s_or_b32 exec_lo, exec_lo, s7
	v_and_b32_e32 v39, 0x7fffffff, v28
	s_mov_b32 s30, exec_lo
                                        ; implicit-def: $sgpr6
                                        ; implicit-def: $vgpr23
	v_cmpx_ngt_f32_e64 0x21000000, |v28|
	s_xor_b32 s30, exec_lo, s30
	s_cbranch_execz .LBB62_162
; %bb.139:                              ;   in Loop: Header=BB62_4 Depth=1
	v_div_scale_f32 v23, null, v36, v36, v39
	s_mov_b32 s6, 0
	s_mov_b32 s31, exec_lo
	v_rcp_f32_e32 v37, v23
	v_nop
	s_delay_alu instid0(TRANS32_DEP_1) | instskip(NEXT) | instid1(VALU_DEP_1)
	v_fma_f32 v46, -v23, v37, 1.0
	v_fmac_f32_e32 v37, v46, v37
	v_div_scale_f32 v46, vcc_lo, v39, v36, v39
	s_delay_alu instid0(VALU_DEP_1) | instskip(NEXT) | instid1(VALU_DEP_1)
	v_mul_f32_e32 v47, v46, v37
	v_fma_f32 v48, -v23, v47, v46
	s_delay_alu instid0(VALU_DEP_1) | instskip(NEXT) | instid1(VALU_DEP_1)
	v_fmac_f32_e32 v47, v48, v37
	v_fma_f32 v23, -v23, v47, v46
	s_delay_alu instid0(VALU_DEP_1) | instskip(NEXT) | instid1(VALU_DEP_1)
	v_div_fmas_f32 v23, v23, v37, v47
	v_div_fixup_f32 v23, v23, v36, |v28|
	s_delay_alu instid0(VALU_DEP_1)
	v_cmpx_lt_f32_e32 0x3f244674, v23
	s_cbranch_execz .LBB62_161
; %bb.140:                              ;   in Loop: Header=BB62_4 Depth=1
	v_cmp_neq_f32_e64 s6, |v28|, 1.0
	v_cmp_ngt_f32_e64 s7, 0x30800000, |v29|
	s_or_b32 s6, s7, s6
	s_delay_alu instid0(SALU_CYCLE_1) | instskip(NEXT) | instid1(SALU_CYCLE_1)
	s_and_saveexec_b32 s7, s6
	s_xor_b32 s7, exec_lo, s7
	s_cbranch_execz .LBB62_158
; %bb.141:                              ;   in Loop: Header=BB62_4 Depth=1
	v_mul_f32_e64 v37, 0x34000000, |v42|
	s_mov_b32 s33, exec_lo
	s_delay_alu instid0(VALU_DEP_1)
	v_cmpx_ge_f32_e64 |v29|, v37
	s_xor_b32 s33, exec_lo, s33
	s_cbranch_execz .LBB62_151
; %bb.142:                              ;   in Loop: Header=BB62_4 Depth=1
	v_mov_b32_e32 v37, v44
	s_mov_b32 s6, exec_lo
	v_cmpx_neq_f32_e32 0, v43
	s_cbranch_execz .LBB62_144
; %bb.143:                              ;   in Loop: Header=BB62_4 Depth=1
	v_mul_f32_e32 v37, v29, v29
	v_add_f32_e32 v43, v43, v45
	s_delay_alu instid0(VALU_DEP_1) | instskip(NEXT) | instid1(VALU_DEP_1)
	v_div_scale_f32 v45, null, v43, v43, v37
	v_rcp_f32_e32 v46, v45
	v_nop
	s_delay_alu instid0(TRANS32_DEP_1) | instskip(NEXT) | instid1(VALU_DEP_1)
	v_fma_f32 v47, -v45, v46, 1.0
	v_fmac_f32_e32 v46, v47, v46
	v_div_scale_f32 v47, vcc_lo, v37, v43, v37
	s_delay_alu instid0(VALU_DEP_1) | instskip(NEXT) | instid1(VALU_DEP_1)
	v_mul_f32_e32 v48, v47, v46
	v_fma_f32 v49, -v45, v48, v47
	s_delay_alu instid0(VALU_DEP_1) | instskip(NEXT) | instid1(VALU_DEP_1)
	v_fmac_f32_e32 v48, v49, v46
	v_fma_f32 v45, -v45, v48, v47
	s_delay_alu instid0(VALU_DEP_1) | instskip(NEXT) | instid1(VALU_DEP_1)
	v_div_fmas_f32 v45, v45, v46, v48
	v_div_fixup_f32 v37, v45, v43, v37
.LBB62_144:                             ;   in Loop: Header=BB62_4 Depth=1
	s_or_b32 exec_lo, exec_lo, s6
	s_delay_alu instid0(SALU_CYCLE_1)
	s_mov_b32 s6, exec_lo
	v_cmpx_ngt_f32_e32 0, v42
	s_xor_b32 s6, exec_lo, s6
	s_cbranch_execz .LBB62_148
; %bb.145:                              ;   in Loop: Header=BB62_4 Depth=1
	s_mov_b32 s34, exec_lo
	v_cmpx_neq_f32_e32 0, v42
	s_cbranch_execz .LBB62_147
; %bb.146:                              ;   in Loop: Header=BB62_4 Depth=1
	v_dual_mul_f32 v43, v29, v29 :: v_dual_add_f32 v38, v42, v38
	s_delay_alu instid0(VALU_DEP_1) | instskip(NEXT) | instid1(VALU_DEP_1)
	v_div_scale_f32 v42, null, v38, v38, v43
	v_rcp_f32_e32 v44, v42
	v_nop
	s_delay_alu instid0(TRANS32_DEP_1) | instskip(NEXT) | instid1(VALU_DEP_1)
	v_fma_f32 v45, -v42, v44, 1.0
	v_fmac_f32_e32 v44, v45, v44
	v_div_scale_f32 v45, vcc_lo, v43, v38, v43
	s_delay_alu instid0(VALU_DEP_1) | instskip(NEXT) | instid1(VALU_DEP_1)
	v_mul_f32_e32 v46, v45, v44
	v_fma_f32 v47, -v42, v46, v45
	s_delay_alu instid0(VALU_DEP_1) | instskip(NEXT) | instid1(VALU_DEP_1)
	v_fmac_f32_e32 v46, v47, v44
	v_fma_f32 v42, -v42, v46, v45
	s_delay_alu instid0(VALU_DEP_1) | instskip(NEXT) | instid1(VALU_DEP_1)
	v_div_fmas_f32 v42, v42, v44, v46
	v_div_fixup_f32 v44, v42, v38, v43
.LBB62_147:                             ;   in Loop: Header=BB62_4 Depth=1
	s_or_b32 exec_lo, exec_lo, s34
                                        ; implicit-def: $vgpr38
                                        ; implicit-def: $vgpr42
.LBB62_148:                             ;   in Loop: Header=BB62_4 Depth=1
	s_and_not1_saveexec_b32 s6, s6
; %bb.149:                              ;   in Loop: Header=BB62_4 Depth=1
	v_sub_f32_e32 v44, v38, v42
; %bb.150:                              ;   in Loop: Header=BB62_4 Depth=1
	s_or_b32 exec_lo, exec_lo, s6
	s_delay_alu instid0(VALU_DEP_1) | instskip(SKIP_1) | instid1(VALU_DEP_1)
	v_dual_mul_f32 v43, 0.5, v37 :: v_dual_mul_f32 v37, 0.5, v44
	v_and_b32_e32 v42, 0x7fffffff, v28
	v_pk_add_f32 v[36:37], v[42:43], v[36:37]
	s_delay_alu instid0(VALU_DEP_1) | instskip(NEXT) | instid1(VALU_DEP_1)
	v_mul_f32_e32 v36, v36, v37
	v_mul_f32_e32 v37, 0x4f800000, v36
	v_cmp_gt_f32_e32 vcc_lo, 0xf800000, v36
	s_delay_alu instid0(VALU_DEP_2) | instskip(NEXT) | instid1(VALU_DEP_1)
	v_cndmask_b32_e32 v36, v36, v37, vcc_lo
	v_sqrt_f32_e32 v37, v36
	v_nop
	s_delay_alu instid0(TRANS32_DEP_1) | instskip(NEXT) | instid1(VALU_DEP_1)
	v_dual_add_nc_u32 v38, -1, v37 :: v_dual_add_nc_u32 v42, 1, v37
	v_fma_f32 v43, -v38, v37, v36
	s_delay_alu instid0(VALU_DEP_2) | instskip(NEXT) | instid1(VALU_DEP_2)
	v_fma_f32 v44, -v42, v37, v36
	v_cmp_ge_f32_e64 s6, 0, v43
                                        ; implicit-def: $vgpr43
	s_delay_alu instid0(VALU_DEP_1) | instskip(NEXT) | instid1(VALU_DEP_3)
	v_cndmask_b32_e64 v37, v37, v38, s6
	v_cmp_lt_f32_e64 s6, 0, v44
	s_delay_alu instid0(VALU_DEP_1) | instskip(NEXT) | instid1(VALU_DEP_1)
	v_cndmask_b32_e64 v37, v37, v42, s6
                                        ; implicit-def: $vgpr42
	v_mul_f32_e32 v38, 0x37800000, v37
	s_delay_alu instid0(VALU_DEP_1) | instskip(SKIP_1) | instid1(VALU_DEP_2)
	v_cndmask_b32_e32 v37, v37, v38, vcc_lo
	v_cmp_class_f32_e64 vcc_lo, v36, 0x260
	v_cndmask_b32_e32 v38, v37, v36, vcc_lo
.LBB62_151:                             ;   in Loop: Header=BB62_4 Depth=1
	s_and_not1_saveexec_b32 s33, s33
	s_cbranch_execz .LBB62_157
; %bb.152:                              ;   in Loop: Header=BB62_4 Depth=1
	s_mov_b32 s34, exec_lo
	v_cmpx_ngt_f32_e64 |v28|, 1.0
	s_xor_b32 s34, exec_lo, s34
	s_cbranch_execz .LBB62_154
; %bb.153:                              ;   in Loop: Header=BB62_4 Depth=1
	v_sub_f32_e64 v36, 1.0, |v28|
	s_delay_alu instid0(VALU_DEP_1) | instskip(NEXT) | instid1(VALU_DEP_1)
	v_mul_f32_e32 v36, v36, v43
	v_mul_f32_e32 v37, 0x4f800000, v36
	v_cmp_gt_f32_e32 vcc_lo, 0xf800000, v36
	s_delay_alu instid0(VALU_DEP_2) | instskip(NEXT) | instid1(VALU_DEP_1)
	v_cndmask_b32_e32 v36, v36, v37, vcc_lo
	v_sqrt_f32_e32 v37, v36
	v_nop
	s_delay_alu instid0(TRANS32_DEP_1) | instskip(NEXT) | instid1(VALU_DEP_1)
	v_dual_add_nc_u32 v38, -1, v37 :: v_dual_add_nc_u32 v42, 1, v37
	v_fma_f32 v43, -v38, v37, v36
	s_delay_alu instid0(VALU_DEP_2) | instskip(NEXT) | instid1(VALU_DEP_2)
	v_fma_f32 v44, -v42, v37, v36
	v_cmp_ge_f32_e64 s6, 0, v43
                                        ; implicit-def: $vgpr43
	s_delay_alu instid0(VALU_DEP_1) | instskip(NEXT) | instid1(VALU_DEP_3)
	v_cndmask_b32_e64 v37, v37, v38, s6
	v_cmp_lt_f32_e64 s6, 0, v44
	s_delay_alu instid0(VALU_DEP_1) | instskip(NEXT) | instid1(VALU_DEP_1)
	v_cndmask_b32_e64 v37, v37, v42, s6
                                        ; implicit-def: $vgpr42
	v_mul_f32_e32 v38, 0x37800000, v37
	s_delay_alu instid0(VALU_DEP_1) | instskip(SKIP_1) | instid1(VALU_DEP_2)
	v_cndmask_b32_e32 v37, v37, v38, vcc_lo
	v_cmp_class_f32_e64 vcc_lo, v36, 0x260
	v_cndmask_b32_e32 v38, v37, v36, vcc_lo
.LBB62_154:                             ;   in Loop: Header=BB62_4 Depth=1
	s_and_not1_saveexec_b32 s34, s34
	s_cbranch_execz .LBB62_156
; %bb.155:                              ;   in Loop: Header=BB62_4 Depth=1
	v_mul_f32_e32 v36, v43, v42
	s_delay_alu instid0(VALU_DEP_1) | instskip(SKIP_1) | instid1(VALU_DEP_2)
	v_mul_f32_e32 v37, 0x4f800000, v36
	v_cmp_gt_f32_e32 vcc_lo, 0xf800000, v36
	v_cndmask_b32_e32 v36, v36, v37, vcc_lo
	s_delay_alu instid0(VALU_DEP_1) | instskip(SKIP_1) | instid1(TRANS32_DEP_1)
	v_sqrt_f32_e32 v37, v36
	v_nop
	v_dual_add_nc_u32 v38, -1, v37 :: v_dual_add_nc_u32 v39, 1, v37
	s_delay_alu instid0(VALU_DEP_1) | instskip(NEXT) | instid1(VALU_DEP_1)
	v_dual_fma_f32 v42, -v38, v37, v36 :: v_dual_fma_f32 v43, -v39, v37, v36
	v_cmp_ge_f32_e64 s6, 0, v42
	s_delay_alu instid0(VALU_DEP_1) | instskip(NEXT) | instid1(VALU_DEP_3)
	v_cndmask_b32_e64 v37, v37, v38, s6
	v_cmp_lt_f32_e64 s6, 0, v43
	s_delay_alu instid0(VALU_DEP_1) | instskip(SKIP_1) | instid1(VALU_DEP_2)
	v_cndmask_b32_e64 v37, v37, v39, s6
	v_mul_f32_e64 v39, 0x57800000, |v29|
	v_mul_f32_e32 v38, 0x37800000, v37
	s_delay_alu instid0(VALU_DEP_1) | instskip(SKIP_1) | instid1(VALU_DEP_4)
	v_cndmask_b32_e32 v37, v37, v38, vcc_lo
	v_cmp_class_f32_e64 vcc_lo, v36, 0x260
	v_mul_f32_e64 v38, |v28|, v39
	s_delay_alu instid0(VALU_DEP_3) | instskip(NEXT) | instid1(VALU_DEP_1)
	v_cndmask_b32_e32 v36, v37, v36, vcc_lo
	v_div_scale_f32 v37, null, v36, v36, v38
	v_div_scale_f32 v43, vcc_lo, v38, v36, v38
	s_delay_alu instid0(VALU_DEP_2) | instskip(SKIP_1) | instid1(TRANS32_DEP_1)
	v_rcp_f32_e32 v39, v37
	v_nop
	v_fma_f32 v42, -v37, v39, 1.0
	s_delay_alu instid0(VALU_DEP_1) | instskip(NEXT) | instid1(VALU_DEP_1)
	v_fmac_f32_e32 v39, v42, v39
	v_mul_f32_e32 v42, v43, v39
	s_delay_alu instid0(VALU_DEP_1) | instskip(NEXT) | instid1(VALU_DEP_1)
	v_fma_f32 v44, -v37, v42, v43
	v_fmac_f32_e32 v42, v44, v39
	s_delay_alu instid0(VALU_DEP_1) | instskip(NEXT) | instid1(VALU_DEP_1)
	v_fma_f32 v37, -v37, v42, v43
	v_div_fmas_f32 v37, v37, v39, v42
	v_mul_f32_e64 v39, 0x57800000, |v28|
	s_delay_alu instid0(VALU_DEP_2)
	v_div_fixup_f32 v38, v37, v36, v38
.LBB62_156:                             ;   in Loop: Header=BB62_4 Depth=1
	s_or_b32 exec_lo, exec_lo, s34
.LBB62_157:                             ;   in Loop: Header=BB62_4 Depth=1
	s_delay_alu instid0(SALU_CYCLE_1)
	s_or_b32 exec_lo, exec_lo, s33
                                        ; implicit-def: $vgpr36
.LBB62_158:                             ;   in Loop: Header=BB62_4 Depth=1
	s_and_not1_saveexec_b32 s33, s7
	s_cbranch_execz .LBB62_160
; %bb.159:                              ;   in Loop: Header=BB62_4 Depth=1
	v_add_f32_e32 v36, 1.0, v36
	v_mul_f32_e64 v37, 0x4f800000, |v29|
	v_cmp_gt_f32_e64 vcc_lo, 0xf800000, |v29|
	s_delay_alu instid0(VALU_DEP_3) | instskip(NEXT) | instid1(VALU_DEP_2)
	v_mul_f32_e32 v36, 0.5, v36
	v_cndmask_b32_e64 v37, |v29|, v37, vcc_lo
	s_delay_alu instid0(VALU_DEP_2) | instskip(SKIP_1) | instid1(VALU_DEP_1)
	v_mul_f32_e32 v38, 0x4f800000, v36
	v_cmp_gt_f32_e64 s6, 0xf800000, v36
	v_cndmask_b32_e64 v36, v36, v38, s6
	s_delay_alu instid0(VALU_DEP_4) | instskip(SKIP_1) | instid1(TRANS32_DEP_1)
	v_sqrt_f32_e32 v38, v37
	v_nop
	v_add_nc_u32_e32 v44, 1, v38
	s_delay_alu instid0(VALU_DEP_3) | instskip(NEXT) | instid1(VALU_DEP_1)
	v_sqrt_f32_e32 v39, v36
	v_dual_add_nc_u32 v42, -1, v38 :: v_dual_fma_f32 v48, -v44, v38, v37
	s_delay_alu instid0(TRANS32_DEP_1) | instid1(VALU_DEP_1)
	v_dual_fma_f32 v45, -v42, v38, v37 :: v_dual_add_nc_u32 v46, 1, v39
	v_add_nc_u32_e32 v43, -1, v39
	s_delay_alu instid0(VALU_DEP_2) | instskip(NEXT) | instid1(VALU_DEP_1)
	v_cmp_ge_f32_e64 s7, 0, v45
	v_dual_fma_f32 v47, -v43, v39, v36 :: v_dual_cndmask_b32 v38, v38, v42, s7
	s_delay_alu instid0(VALU_DEP_4) | instskip(NEXT) | instid1(VALU_DEP_2)
	v_fma_f32 v42, -v46, v39, v36
	v_cmp_ge_f32_e64 s7, 0, v47
	s_delay_alu instid0(VALU_DEP_1) | instskip(SKIP_1) | instid1(VALU_DEP_1)
	v_cndmask_b32_e64 v39, v39, v43, s7
	v_cmp_lt_f32_e64 s7, 0, v48
	v_cndmask_b32_e64 v38, v38, v44, s7
	v_cmp_lt_f32_e64 s7, 0, v42
	s_delay_alu instid0(VALU_DEP_1) | instskip(NEXT) | instid1(VALU_DEP_1)
	v_cndmask_b32_e64 v39, v39, v46, s7
	v_mul_f32_e32 v43, 0x37800000, v39
	s_delay_alu instid0(VALU_DEP_1) | instskip(SKIP_1) | instid1(VALU_DEP_1)
	v_cndmask_b32_e64 v39, v39, v43, s6
	v_mul_f32_e32 v42, 0x37800000, v38
	v_cndmask_b32_e32 v38, v38, v42, vcc_lo
	v_cmp_class_f32_e64 vcc_lo, v37, 0x260
	s_delay_alu instid0(VALU_DEP_2) | instskip(SKIP_2) | instid1(VALU_DEP_1)
	v_cndmask_b32_e32 v37, v38, v37, vcc_lo
	v_cmp_class_f32_e64 vcc_lo, v36, 0x260
	v_dual_cndmask_b32 v36, v39, v36 :: v_dual_mov_b32 v39, 1.0
	v_mul_f32_e32 v38, v37, v36
.LBB62_160:                             ;   in Loop: Header=BB62_4 Depth=1
	s_or_b32 exec_lo, exec_lo, s33
	s_delay_alu instid0(SALU_CYCLE_1)
	s_mov_b32 s6, exec_lo
.LBB62_161:                             ;   in Loop: Header=BB62_4 Depth=1
	s_or_b32 exec_lo, exec_lo, s31
                                        ; implicit-def: $vgpr36
.LBB62_162:                             ;   in Loop: Header=BB62_4 Depth=1
	s_and_not1_saveexec_b32 s7, s30
; %bb.163:                              ;   in Loop: Header=BB62_4 Depth=1
	v_mov_b32_e32 v37, v39
	s_or_b32 s6, s6, exec_lo
                                        ; implicit-def: $vgpr23
	s_delay_alu instid0(VALU_DEP_1)
	v_pk_mul_f32 v[38:39], v[36:37], s[22:23] op_sel_hi:[1,0]
; %bb.164:                              ;   in Loop: Header=BB62_4 Depth=1
	s_or_b32 exec_lo, exec_lo, s7
	s_xor_b32 s6, s6, -1
                                        ; implicit-def: $vgpr36
	s_delay_alu instid0(SALU_CYCLE_1) | instskip(NEXT) | instid1(SALU_CYCLE_1)
	s_and_saveexec_b32 s7, s6
	s_xor_b32 s6, exec_lo, s7
	s_cbranch_execz .LBB62_166
; %bb.165:                              ;   in Loop: Header=BB62_4 Depth=1
	v_fma_f32 v36, |v23|, -0.5, 0.5
	v_mul_f32_e32 v37, v23, v23
	v_cmp_ge_f32_e64 vcc_lo, |v23|, 0.5
	s_delay_alu instid0(VALU_DEP_2) | instskip(SKIP_1) | instid1(VALU_DEP_2)
	v_cndmask_b32_e32 v36, v37, v36, vcc_lo
	v_cmp_lt_f32_e64 vcc_lo, |v23|, 0.5
	v_fmaak_f32 v37, s24, v36, 0x3c5fc5da
	v_sqrt_f32_e32 v38, v36
	s_delay_alu instid0(VALU_DEP_1) | instskip(NEXT) | instid1(VALU_DEP_1)
	v_fmaak_f32 v37, v36, v37, 0x3d034c3c
	v_fmaak_f32 v37, v36, v37, 0x3d3641b1
	s_delay_alu instid0(VALU_DEP_1) | instskip(NEXT) | instid1(VALU_DEP_1)
	v_fmaak_f32 v37, v36, v37, 0x3d999bc8
	v_fmaak_f32 v37, v36, v37, 0x3e2aaaac
	s_delay_alu instid0(VALU_DEP_1)
	v_mul_f32_e32 v36, v36, v37
	s_delay_alu instid0(TRANS32_DEP_1) | instid1(VALU_DEP_1)
	v_fmac_f32_e32 v38, v38, v36
	s_delay_alu instid0(VALU_DEP_1) | instskip(NEXT) | instid1(VALU_DEP_1)
	v_add_f32_e32 v37, v38, v38
                                        ; implicit-def: $vgpr39
	v_sub_f32_e32 v37, 0x3fc90fdb, v37
	v_fma_f32 v36, |v23|, v36, |v23|
	s_delay_alu instid0(VALU_DEP_1) | instskip(NEXT) | instid1(VALU_DEP_1)
	v_cndmask_b32_e32 v36, v37, v36, vcc_lo
	v_bfi_b32 v36, 0x7fffffff, v36, v23
.LBB62_166:                             ;   in Loop: Header=BB62_4 Depth=1
	s_and_not1_saveexec_b32 s7, s6
	s_cbranch_execz .LBB62_168
; %bb.167:                              ;   in Loop: Header=BB62_4 Depth=1
	v_max_num_f32_e32 v23, v39, v39
	v_max_num_f32_e64 v36, |v38|, |v38|
	v_cmp_gt_f32_e64 vcc_lo, v39, |v38|
	v_cmp_gt_i32_e64 s6, 0, v38
	v_cmp_class_f32_e64 s30, v38, 0x204
	s_delay_alu instid0(VALU_DEP_4) | instskip(NEXT) | instid1(VALU_DEP_1)
	v_dual_max_num_f32 v37, v36, v23 :: v_dual_min_num_f32 v23, v36, v23
	v_frexp_mant_f32_e32 v42, v37
	v_frexp_exp_i32_f32_e32 v36, v37
	s_delay_alu instid0(VALU_DEP_2)
	v_rcp_f32_e32 v37, v42
	v_nop
	v_frexp_exp_i32_f32_e32 v42, v23
	v_frexp_mant_f32_e32 v23, v23
	s_delay_alu instid0(TRANS32_DEP_1) | instid1(VALU_DEP_1)
	v_dual_mul_f32 v23, v23, v37 :: v_dual_sub_nc_u32 v36, v42, v36
	s_delay_alu instid0(VALU_DEP_1) | instskip(NEXT) | instid1(VALU_DEP_1)
	v_ldexp_f32 v23, v23, v36
	v_mul_f32_e32 v36, v23, v23
	s_delay_alu instid0(VALU_DEP_1) | instskip(NEXT) | instid1(VALU_DEP_1)
	v_fmaak_f32 v37, s25, v36, 0xbc7a590c
	v_fmaak_f32 v37, v36, v37, 0x3d29fb3f
	s_delay_alu instid0(VALU_DEP_1) | instskip(NEXT) | instid1(VALU_DEP_1)
	v_fmaak_f32 v37, v36, v37, 0xbd97d4d7
	v_fmaak_f32 v37, v36, v37, 0x3dd931b2
	;; [unrolled: 3-line block ×3, first 2 shown]
	s_delay_alu instid0(VALU_DEP_1) | instskip(NEXT) | instid1(VALU_DEP_1)
	v_fmaak_f32 v37, v36, v37, 0xbeaaaa62
	v_mul_f32_e32 v36, v36, v37
	s_delay_alu instid0(VALU_DEP_1) | instskip(NEXT) | instid1(VALU_DEP_1)
	v_fmac_f32_e32 v23, v23, v36
	v_sub_f32_e32 v36, 0x3fc90fdb, v23
	s_delay_alu instid0(VALU_DEP_1) | instskip(SKIP_1) | instid1(VALU_DEP_2)
	v_cndmask_b32_e32 v23, v23, v36, vcc_lo
	v_cmp_gt_f32_e32 vcc_lo, 0, v38
	v_sub_f32_e32 v36, 0x40490fdb, v23
	v_cndmask_b32_e32 v37, 0x3f490fdb, v41, vcc_lo
	s_delay_alu instid0(VALU_DEP_2) | instskip(SKIP_3) | instid1(VALU_DEP_2)
	v_cndmask_b32_e32 v23, v23, v36, vcc_lo
	v_cndmask_b32_e64 v36, 0, 0x40490fdb, s6
	v_cmp_eq_f32_e64 s6, 0, v39
	v_cmp_eq_f32_e32 vcc_lo, 0x7f800000, v39
	v_cndmask_b32_e64 v23, |v23|, v36, s6
	s_and_b32 vcc_lo, vcc_lo, s30
	s_delay_alu instid0(VALU_DEP_1) | instskip(SKIP_1) | instid1(VALU_DEP_2)
	v_cndmask_b32_e32 v23, v23, v37, vcc_lo
	v_cmp_o_f32_e32 vcc_lo, v38, v38
	v_cndmask_b32_e32 v36, 0x7fc00000, v23, vcc_lo
.LBB62_168:                             ;   in Loop: Header=BB62_4 Depth=1
	s_or_b32 exec_lo, exec_lo, s7
	s_delay_alu instid0(VALU_DEP_1)
	v_bfi_b32 v28, 0x7fffffff, v36, v28
	v_bfi_b32 v29, 0x7fffffff, v7, v29
.LBB62_169:                             ;   in Loop: Header=BB62_4 Depth=1
	s_or_b32 exec_lo, exec_lo, s29
.LBB62_170:                             ;   in Loop: Header=BB62_4 Depth=1
	s_delay_alu instid0(SALU_CYCLE_1)
	s_or_b32 exec_lo, exec_lo, s28
                                        ; implicit-def: $vgpr7
                                        ; implicit-def: $vgpr23
                                        ; implicit-def: $vgpr36
.LBB62_171:                             ;   in Loop: Header=BB62_4 Depth=1
	s_and_not1_saveexec_b32 s27, s27
	s_cbranch_execz .LBB62_193
; %bb.172:                              ;   in Loop: Header=BB62_4 Depth=1
                                        ; implicit-def: $sgpr28
                                        ; implicit-def: $vgpr37
                                        ; implicit-def: $vgpr38
	s_mov_b32 s6, exec_lo
	v_cmpx_lt_i32_e32 -1, v29
	s_xor_b32 s29, exec_lo, s6
	s_cbranch_execz .LBB62_182
; %bb.173:                              ;   in Loop: Header=BB62_4 Depth=1
	v_cmp_lt_f32_e64 s6, |v29|, |v28|
                                        ; implicit-def: $vgpr37
                                        ; implicit-def: $vgpr38
	s_mov_b32 s7, exec_lo
	v_cndmask_b32_e64 v39, |v29|, |v28|, s6
	s_delay_alu instid0(VALU_DEP_1)
	v_cmpx_nlt_f32_e32 0x7effffff, v39
	s_xor_b32 s28, exec_lo, s7
	s_cbranch_execz .LBB62_179
; %bb.174:                              ;   in Loop: Header=BB62_4 Depth=1
	v_cndmask_b32_e64 v42, |v28|, |v29|, s6
	v_cmp_nlt_f32_e32 vcc_lo, 0x5e000000, v39
                                        ; implicit-def: $vgpr37
                                        ; implicit-def: $vgpr38
	s_delay_alu instid0(VALU_DEP_2) | instskip(SKIP_1) | instid1(SALU_CYCLE_1)
	v_cmp_ngt_f32_e64 s7, 0x20000000, v42
	s_and_b32 s7, vcc_lo, s7
	s_and_saveexec_b32 s30, s7
	s_delay_alu instid0(SALU_CYCLE_1)
	s_xor_b32 s30, exec_lo, s30
	s_cbranch_execz .LBB62_176
; %bb.175:                              ;   in Loop: Header=BB62_4 Depth=1
	v_frexp_mant_f32_e32 v37, v36
	s_wait_dscnt 0x0
	v_dual_min_num_f32 v7, v23, v7 :: v_dual_mul_f32 v42, v42, v42
	v_frexp_exp_i32_f32_e32 v23, v36
	s_delay_alu instid0(VALU_DEP_3) | instskip(SKIP_1) | instid1(VALU_DEP_3)
	v_rcp_f32_e32 v36, v37
	v_nop
	v_frexp_exp_i32_f32_e32 v37, v7
	v_frexp_mant_f32_e32 v7, v7
	s_delay_alu instid0(TRANS32_DEP_1) | instid1(VALU_DEP_1)
	v_dual_sub_nc_u32 v23, v37, v23 :: v_dual_mul_f32 v7, v7, v36
	s_delay_alu instid0(VALU_DEP_1) | instskip(NEXT) | instid1(VALU_DEP_1)
	v_ldexp_f32 v38, v7, v23
	v_dual_fmac_f32 v42, v39, v39 :: v_dual_mul_f32 v23, v38, v38
	s_delay_alu instid0(VALU_DEP_1) | instskip(SKIP_1) | instid1(VALU_DEP_1)
	v_cmp_gt_f32_e32 vcc_lo, 0x800000, v42
	v_cndmask_b32_e64 v7, 0, 32, vcc_lo
	v_ldexp_f32 v7, v42, v7
	s_delay_alu instid0(VALU_DEP_1) | instskip(SKIP_1) | instid1(TRANS32_DEP_1)
	v_log_f32_e32 v7, v7
	v_nop
	v_mul_f32_e32 v37, 0x3f317217, v7
	v_cmp_gt_f32_e64 s7, 0x7f800000, |v7|
	s_delay_alu instid0(VALU_DEP_2) | instskip(NEXT) | instid1(VALU_DEP_1)
	v_fma_f32 v37, 0x3f317217, v7, -v37
	v_fmac_f32_e32 v37, 0x3377d1cf, v7
	s_delay_alu instid0(VALU_DEP_1) | instskip(NEXT) | instid1(VALU_DEP_1)
	v_fmac_f32_e32 v37, 0x3f317217, v7
	v_cndmask_b32_e64 v7, v7, v37, s7
	v_cndmask_b32_e64 v37, 0, 0x41b17218, vcc_lo
	s_delay_alu instid0(VALU_DEP_1) | instskip(NEXT) | instid1(VALU_DEP_1)
	v_dual_fmaak_f32 v36, s25, v23, 0xbc7a590c :: v_dual_sub_f32 v7, v7, v37
	v_dual_fmaak_f32 v36, v23, v36, 0x3d29fb3f :: v_dual_mul_f32 v37, 0.5, v7
	s_delay_alu instid0(VALU_DEP_1) | instskip(NEXT) | instid1(VALU_DEP_1)
	v_fmaak_f32 v36, v23, v36, 0xbd97d4d7
                                        ; implicit-def: $vgpr7
	v_fmaak_f32 v36, v23, v36, 0x3dd931b2
	s_delay_alu instid0(VALU_DEP_1) | instskip(NEXT) | instid1(VALU_DEP_1)
	v_fmaak_f32 v36, v23, v36, 0xbe1160e6
	v_fmaak_f32 v36, v23, v36, 0x3e4cb8bf
	s_delay_alu instid0(VALU_DEP_1) | instskip(NEXT) | instid1(VALU_DEP_1)
	v_fmaak_f32 v36, v23, v36, 0xbeaaaa62
	v_mul_f32_e32 v23, v23, v36
                                        ; implicit-def: $vgpr36
	s_delay_alu instid0(VALU_DEP_1)
	v_fmac_f32_e32 v38, v38, v23
                                        ; implicit-def: $vgpr23
.LBB62_176:                             ;   in Loop: Header=BB62_4 Depth=1
	s_and_not1_saveexec_b32 s7, s30
	s_cbranch_execz .LBB62_178
; %bb.177:                              ;   in Loop: Header=BB62_4 Depth=1
	v_cvt_f64_f32_e32 v[38:39], v36
	v_frexp_mant_f32_e32 v42, v36
	v_cmp_neq_f32_e32 vcc_lo, 0x7f800000, v36
	s_delay_alu instid0(VALU_DEP_3) | instskip(NEXT) | instid1(VALU_DEP_1)
	v_frexp_exp_i32_f64_e32 v37, v[38:39]
	v_sub_nc_u32_e32 v38, 0, v37
	s_delay_alu instid0(VALU_DEP_1) | instskip(NEXT) | instid1(VALU_DEP_1)
	v_ldexp_f32 v39, |v28|, v38
	v_mul_f32_e32 v39, v39, v39
	v_ldexp_f32 v38, |v29|, v38
	s_wait_dscnt 0x0
	v_min_num_f32_e32 v7, v23, v7
	v_frexp_exp_i32_f32_e32 v23, v36
	s_delay_alu instid0(VALU_DEP_3)
	v_fmac_f32_e32 v39, v38, v38
	v_rcp_f32_e32 v38, v42
	v_nop
	v_frexp_exp_i32_f32_e32 v42, v7
	v_frexp_mant_f32_e32 v7, v7
	v_sqrt_f32_e32 v39, v39
	s_delay_alu instid0(TRANS32_DEP_2) | instid1(VALU_DEP_1)
	v_dual_sub_nc_u32 v23, v42, v23 :: v_dual_mul_f32 v7, v7, v38
	s_delay_alu instid0(TRANS32_DEP_1) | instskip(NEXT) | instid1(VALU_DEP_2)
	v_ldexp_f32 v37, v39, v37
	v_ldexp_f32 v38, v7, v23
	s_delay_alu instid0(VALU_DEP_2) | instskip(NEXT) | instid1(VALU_DEP_1)
	v_cndmask_b32_e32 v7, 0x7f800000, v37, vcc_lo
	v_cmp_gt_f32_e32 vcc_lo, 0x800000, v7
	v_cndmask_b32_e64 v36, 0, 32, vcc_lo
	v_cndmask_b32_e64 v39, 0, 0x41b17218, vcc_lo
	s_delay_alu instid0(VALU_DEP_2) | instskip(NEXT) | instid1(VALU_DEP_1)
	v_ldexp_f32 v7, v7, v36
	v_log_f32_e32 v7, v7
	v_nop
	s_delay_alu instid0(TRANS32_DEP_1) | instskip(SKIP_1) | instid1(VALU_DEP_1)
	v_cmp_gt_f32_e64 vcc_lo, 0x7f800000, |v7|
	v_mul_f32_e32 v23, v38, v38
	v_fmaak_f32 v37, s25, v23, 0xbc7a590c
	s_delay_alu instid0(VALU_DEP_1) | instskip(SKIP_1) | instid1(VALU_DEP_1)
	v_fmaak_f32 v36, v23, v37, 0x3d29fb3f
	v_mul_f32_e32 v37, 0x3f317217, v7
	v_fma_f32 v37, 0x3f317217, v7, -v37
	s_delay_alu instid0(VALU_DEP_1) | instskip(NEXT) | instid1(VALU_DEP_1)
	v_fmac_f32_e32 v37, 0x3377d1cf, v7
	v_fmac_f32_e32 v37, 0x3f317217, v7
	s_delay_alu instid0(VALU_DEP_1) | instskip(SKIP_1) | instid1(VALU_DEP_2)
	v_cndmask_b32_e32 v7, v7, v37, vcc_lo
	v_fmaak_f32 v36, v23, v36, 0xbd97d4d7
	v_sub_f32_e32 v37, v7, v39
	s_delay_alu instid0(VALU_DEP_2) | instskip(NEXT) | instid1(VALU_DEP_1)
	v_fmaak_f32 v36, v23, v36, 0x3dd931b2
	v_fmaak_f32 v36, v23, v36, 0xbe1160e6
	s_delay_alu instid0(VALU_DEP_1) | instskip(NEXT) | instid1(VALU_DEP_1)
	v_fmaak_f32 v36, v23, v36, 0x3e4cb8bf
	v_fmaak_f32 v36, v23, v36, 0xbeaaaa62
	s_delay_alu instid0(VALU_DEP_1) | instskip(NEXT) | instid1(VALU_DEP_1)
	v_mul_f32_e32 v23, v23, v36
	v_fmac_f32_e32 v38, v38, v23
.LBB62_178:                             ;   in Loop: Header=BB62_4 Depth=1
	s_or_b32 exec_lo, exec_lo, s7
                                        ; implicit-def: $vgpr23
                                        ; implicit-def: $vgpr7
                                        ; implicit-def: $vgpr36
.LBB62_179:                             ;   in Loop: Header=BB62_4 Depth=1
	s_and_not1_saveexec_b32 s28, s28
	s_cbranch_execz .LBB62_181
; %bb.180:                              ;   in Loop: Header=BB62_4 Depth=1
	v_div_scale_f32 v37, null, 0x402df854, 0x402df854, v29
	v_div_scale_f32 v38, null, 0x402df854, 0x402df854, v28
	v_div_scale_f32 v45, vcc_lo, v29, 0x402df854, v29
	s_delay_alu instid0(VALU_DEP_3) | instskip(NEXT) | instid1(VALU_DEP_2)
	v_rcp_f32_e32 v39, v37
	v_rcp_f32_e32 v42, v38
	s_wait_dscnt 0x0
	v_min_num_f32_e32 v7, v23, v7
	s_delay_alu instid0(TRANS32_DEP_2) | instskip(NEXT) | instid1(TRANS32_DEP_1)
	v_fma_f32 v43, -v37, v39, 1.0
	v_fma_f32 v44, -v38, v42, 1.0
	s_delay_alu instid0(VALU_DEP_1) | instskip(SKIP_1) | instid1(VALU_DEP_1)
	v_dual_fmac_f32 v39, v43, v39 :: v_dual_fmac_f32 v42, v44, v42
	v_div_scale_f32 v43, s7, v28, 0x402df854, v28
	v_dual_mul_f32 v44, v45, v39 :: v_dual_mul_f32 v46, v43, v42
	s_delay_alu instid0(VALU_DEP_1) | instskip(NEXT) | instid1(VALU_DEP_1)
	v_dual_fma_f32 v47, -v37, v44, v45 :: v_dual_fma_f32 v48, -v38, v46, v43
	v_dual_fmac_f32 v44, v47, v39 :: v_dual_fmac_f32 v46, v48, v42
	s_delay_alu instid0(VALU_DEP_1) | instskip(NEXT) | instid1(VALU_DEP_1)
	v_dual_fma_f32 v37, -v37, v44, v45 :: v_dual_fma_f32 v38, -v38, v46, v43
	v_div_fmas_f32 v37, v37, v39, v44
	s_mov_b32 vcc_lo, s7
	s_delay_alu instid0(VALU_DEP_2) | instskip(NEXT) | instid1(VALU_DEP_2)
	v_div_fmas_f32 v38, v38, v42, v46
	v_div_fixup_f32 v37, v37, 0x402df854, v29
	s_delay_alu instid0(VALU_DEP_2) | instskip(NEXT) | instid1(VALU_DEP_1)
	v_div_fixup_f32 v42, v38, 0x402df854, v28
	v_max_num_f32_e64 v43, v37, |v42|
	s_delay_alu instid0(VALU_DEP_1) | instskip(SKIP_1) | instid1(VALU_DEP_2)
	v_cvt_f64_f32_e32 v[38:39], v43
	v_cmp_neq_f32_e32 vcc_lo, 0x7f800000, v43
	v_frexp_exp_i32_f64_e32 v38, v[38:39]
	s_delay_alu instid0(VALU_DEP_1) | instskip(NEXT) | instid1(VALU_DEP_1)
	v_sub_nc_u32_e32 v39, 0, v38
	v_ldexp_f32 v42, |v42|, v39
	v_ldexp_f32 v37, v37, v39
	s_delay_alu instid0(VALU_DEP_2) | instskip(NEXT) | instid1(VALU_DEP_1)
	v_mul_f32_e32 v39, v42, v42
	v_fmac_f32_e32 v39, v37, v37
	v_frexp_mant_f32_e32 v37, v36
	v_frexp_exp_i32_f32_e32 v36, v36
	s_delay_alu instid0(VALU_DEP_3) | instskip(NEXT) | instid1(VALU_DEP_2)
	v_sqrt_f32_e32 v23, v39
	v_rcp_f32_e32 v37, v37
	v_frexp_exp_i32_f32_e32 v39, v7
	v_frexp_mant_f32_e32 v7, v7
	s_delay_alu instid0(TRANS32_DEP_2) | instskip(NEXT) | instid1(VALU_DEP_3)
	v_ldexp_f32 v23, v23, v38
	v_sub_nc_u32_e32 v36, v39, v36
	s_delay_alu instid0(TRANS32_DEP_1) | instid1(VALU_DEP_3)
	v_mul_f32_e32 v7, v7, v37
	s_delay_alu instid0(VALU_DEP_3) | instskip(NEXT) | instid1(VALU_DEP_2)
	v_cndmask_b32_e32 v23, 0x7f800000, v23, vcc_lo
	v_ldexp_f32 v38, v7, v36
	s_delay_alu instid0(VALU_DEP_2) | instskip(NEXT) | instid1(VALU_DEP_2)
	v_cmp_gt_f32_e32 vcc_lo, 0x800000, v23
	v_mul_f32_e32 v36, v38, v38
	v_cndmask_b32_e64 v7, 0, 32, vcc_lo
	v_cndmask_b32_e64 v39, 0, 0x41b17218, vcc_lo
	s_delay_alu instid0(VALU_DEP_2) | instskip(NEXT) | instid1(VALU_DEP_4)
	v_ldexp_f32 v7, v23, v7
	v_fmaak_f32 v23, s25, v36, 0xbc7a590c
	s_delay_alu instid0(VALU_DEP_2) | instskip(NEXT) | instid1(VALU_DEP_1)
	v_log_f32_e32 v7, v7
	v_fmaak_f32 v23, v36, v23, 0x3d29fb3f
	s_delay_alu instid0(VALU_DEP_1) | instskip(NEXT) | instid1(TRANS32_DEP_1)
	v_fmaak_f32 v23, v36, v23, 0xbd97d4d7
	v_mul_f32_e32 v37, 0x3f317217, v7
	v_cmp_gt_f32_e64 vcc_lo, 0x7f800000, |v7|
	s_delay_alu instid0(VALU_DEP_3) | instskip(NEXT) | instid1(VALU_DEP_3)
	v_fmaak_f32 v23, v36, v23, 0x3dd931b2
	v_fma_f32 v37, 0x3f317217, v7, -v37
	s_delay_alu instid0(VALU_DEP_2) | instskip(NEXT) | instid1(VALU_DEP_2)
	v_fmaak_f32 v23, v36, v23, 0xbe1160e6
	v_fmac_f32_e32 v37, 0x3377d1cf, v7
	s_delay_alu instid0(VALU_DEP_2) | instskip(NEXT) | instid1(VALU_DEP_2)
	v_fmaak_f32 v23, v36, v23, 0x3e4cb8bf
	v_fmac_f32_e32 v37, 0x3f317217, v7
	s_delay_alu instid0(VALU_DEP_2) | instskip(NEXT) | instid1(VALU_DEP_1)
	v_fmaak_f32 v23, v36, v23, 0xbeaaaa62
	v_dual_cndmask_b32 v7, v7, v37, vcc_lo :: v_dual_mul_f32 v23, v36, v23
	s_delay_alu instid0(VALU_DEP_1) | instskip(NEXT) | instid1(VALU_DEP_2)
	v_sub_f32_e32 v7, v7, v39
	v_fmac_f32_e32 v38, v38, v23
	s_delay_alu instid0(VALU_DEP_2)
	v_add_f32_e32 v37, 1.0, v7
.LBB62_181:                             ;   in Loop: Header=BB62_4 Depth=1
	s_or_b32 exec_lo, exec_lo, s28
	s_wait_dscnt 0x0
	s_delay_alu instid0(VALU_DEP_1) | instskip(SKIP_2) | instid1(VALU_DEP_3)
	v_sub_f32_e32 v7, 0x3fc90fdb, v38
	v_cmp_neq_f32_e32 vcc_lo, 0, v28
	v_cmp_class_f32_e64 s28, v29, 0x204
	v_cndmask_b32_e64 v7, v38, v7, s6
	s_delay_alu instid0(VALU_DEP_1)
	v_cndmask_b32_e32 v38, 0, v7, vcc_lo
                                        ; implicit-def: $vgpr7
.LBB62_182:                             ;   in Loop: Header=BB62_4 Depth=1
	s_and_not1_saveexec_b32 s29, s29
	s_cbranch_execz .LBB62_192
; %bb.183:                              ;   in Loop: Header=BB62_4 Depth=1
	v_cmp_gt_f32_e64 s6, |v28|, -v29
                                        ; implicit-def: $vgpr37
                                        ; implicit-def: $vgpr23
	s_mov_b32 s7, exec_lo
	v_cndmask_b32_e64 v36, -v29, |v28|, s6
	s_delay_alu instid0(VALU_DEP_1)
	v_cmpx_nlt_f32_e32 0x7effffff, v36
	s_xor_b32 s30, exec_lo, s7
	s_cbranch_execz .LBB62_189
; %bb.184:                              ;   in Loop: Header=BB62_4 Depth=1
	v_xor_b32_e32 v23, 0x80000000, v29
	v_cmp_nlt_f32_e32 vcc_lo, 0x5e000000, v36
                                        ; implicit-def: $vgpr37
	s_delay_alu instid0(VALU_DEP_2) | instskip(NEXT) | instid1(VALU_DEP_1)
	v_cndmask_b32_e64 v38, |v28|, v23, s6
                                        ; implicit-def: $vgpr23
	v_cmp_ngt_f32_e64 s7, 0x20000000, v38
	s_and_b32 s7, vcc_lo, s7
	s_delay_alu instid0(SALU_CYCLE_1) | instskip(NEXT) | instid1(SALU_CYCLE_1)
	s_and_saveexec_b32 s31, s7
	s_xor_b32 s31, exec_lo, s31
	s_cbranch_execz .LBB62_186
; %bb.185:                              ;   in Loop: Header=BB62_4 Depth=1
	v_dual_max_num_f32 v23, -v29, -v29 :: v_dual_mul_f32 v38, v38, v38
	s_wait_dscnt 0x0
	s_delay_alu instid0(VALU_DEP_1) | instskip(NEXT) | instid1(VALU_DEP_2)
	v_dual_max_num_f32 v37, v23, v7 :: v_dual_min_num_f32 v7, v23, v7
	v_fmac_f32_e32 v38, v36, v36
	s_delay_alu instid0(VALU_DEP_2) | instskip(SKIP_1) | instid1(VALU_DEP_3)
	v_frexp_mant_f32_e32 v39, v37
	v_frexp_exp_i32_f32_e32 v23, v37
	v_cmp_gt_f32_e32 vcc_lo, 0x800000, v38
	s_delay_alu instid0(VALU_DEP_3) | instskip(SKIP_3) | instid1(VALU_DEP_2)
	v_rcp_f32_e32 v37, v39
	v_nop
	v_frexp_exp_i32_f32_e32 v39, v7
	v_frexp_mant_f32_e32 v7, v7
	v_sub_nc_u32_e32 v23, v39, v23
	s_delay_alu instid0(TRANS32_DEP_1) | instid1(VALU_DEP_2)
	v_mul_f32_e32 v7, v7, v37
	s_delay_alu instid0(VALU_DEP_1) | instskip(SKIP_1) | instid1(VALU_DEP_2)
	v_ldexp_f32 v23, v7, v23
	v_cndmask_b32_e64 v7, 0, 32, vcc_lo
	v_mul_f32_e32 v36, v23, v23
	s_delay_alu instid0(VALU_DEP_2) | instskip(NEXT) | instid1(VALU_DEP_2)
	v_ldexp_f32 v7, v38, v7
	v_fmaak_f32 v37, s25, v36, 0xbc7a590c
	s_delay_alu instid0(VALU_DEP_2) | instskip(NEXT) | instid1(VALU_DEP_1)
	v_log_f32_e32 v7, v7
	v_fmaak_f32 v37, v36, v37, 0x3d29fb3f
	s_delay_alu instid0(TRANS32_DEP_1) | instskip(SKIP_1) | instid1(VALU_DEP_3)
	v_mul_f32_e32 v38, 0x3f317217, v7
	v_cmp_gt_f32_e64 s7, 0x7f800000, |v7|
	v_fmaak_f32 v37, v36, v37, 0xbd97d4d7
	s_delay_alu instid0(VALU_DEP_3) | instskip(NEXT) | instid1(VALU_DEP_2)
	v_fma_f32 v38, 0x3f317217, v7, -v38
	v_fmaak_f32 v37, v36, v37, 0x3dd931b2
	s_delay_alu instid0(VALU_DEP_1) | instskip(NEXT) | instid1(VALU_DEP_1)
	v_fmaak_f32 v37, v36, v37, 0xbe1160e6
	v_fmaak_f32 v37, v36, v37, 0x3e4cb8bf
	s_delay_alu instid0(VALU_DEP_1) | instskip(NEXT) | instid1(VALU_DEP_1)
	v_fmaak_f32 v37, v36, v37, 0xbeaaaa62
	v_mul_f32_e32 v36, v36, v37
	s_delay_alu instid0(VALU_DEP_1) | instskip(NEXT) | instid1(VALU_DEP_1)
	v_dual_fmac_f32 v38, 0x3377d1cf, v7 :: v_dual_fmac_f32 v23, v23, v36
	v_fmac_f32_e32 v38, 0x3f317217, v7
	s_delay_alu instid0(VALU_DEP_1) | instskip(SKIP_1) | instid1(VALU_DEP_1)
	v_cndmask_b32_e64 v7, v7, v38, s7
	v_cndmask_b32_e64 v38, 0, 0x41b17218, vcc_lo
	v_sub_f32_e32 v7, v7, v38
	s_delay_alu instid0(VALU_DEP_1)
	v_mul_f32_e32 v37, 0.5, v7
                                        ; implicit-def: $vgpr7
.LBB62_186:                             ;   in Loop: Header=BB62_4 Depth=1
	s_and_not1_saveexec_b32 s7, s31
	s_cbranch_execz .LBB62_188
; %bb.187:                              ;   in Loop: Header=BB62_4 Depth=1
	v_max_num_f32_e64 v23, -v29, -v29
	s_wait_dscnt 0x0
	s_delay_alu instid0(VALU_DEP_1) | instskip(NEXT) | instid1(VALU_DEP_1)
	v_max_num_f32_e32 v38, v23, v7
	v_cvt_f64_f32_e32 v[36:37], v38
	s_delay_alu instid0(VALU_DEP_1) | instskip(NEXT) | instid1(VALU_DEP_1)
	v_frexp_exp_i32_f64_e32 v36, v[36:37]
	v_dual_sub_nc_u32 v37, 0, v36 :: v_dual_min_num_f32 v7, v23, v7
	v_frexp_mant_f32_e32 v23, v38
	v_cmp_neq_f32_e32 vcc_lo, 0x7f800000, v38
	s_delay_alu instid0(VALU_DEP_3)
	v_ldexp_f32 v39, |v28|, v37
	v_ldexp_f32 v37, -v29, v37
	v_frexp_exp_i32_f32_e32 v42, v7
	v_rcp_f32_e32 v23, v23
	v_frexp_mant_f32_e32 v7, v7
	v_mul_f32_e32 v39, v39, v39
	s_delay_alu instid0(TRANS32_DEP_1) | instid1(VALU_DEP_1)
	v_dual_fmac_f32 v39, v37, v37 :: v_dual_mul_f32 v7, v7, v23
	v_frexp_exp_i32_f32_e32 v37, v38
	s_delay_alu instid0(VALU_DEP_2) | instskip(NEXT) | instid1(VALU_DEP_1)
	v_sqrt_f32_e32 v39, v39
	v_sub_nc_u32_e32 v37, v42, v37
	s_delay_alu instid0(VALU_DEP_1) | instskip(NEXT) | instid1(TRANS32_DEP_1)
	v_ldexp_f32 v23, v7, v37
	v_ldexp_f32 v36, v39, v36
	s_delay_alu instid0(VALU_DEP_1) | instskip(NEXT) | instid1(VALU_DEP_1)
	v_dual_cndmask_b32 v7, 0x7f800000, v36 :: v_dual_mul_f32 v36, v23, v23
	v_cmp_gt_f32_e32 vcc_lo, 0x800000, v7
	v_cndmask_b32_e64 v37, 0, 32, vcc_lo
	v_cndmask_b32_e64 v39, 0, 0x41b17218, vcc_lo
	s_delay_alu instid0(VALU_DEP_4) | instskip(NEXT) | instid1(VALU_DEP_3)
	v_fmaak_f32 v38, s25, v36, 0xbc7a590c
	v_ldexp_f32 v7, v7, v37
	s_delay_alu instid0(VALU_DEP_2) | instskip(NEXT) | instid1(VALU_DEP_2)
	v_fmaak_f32 v37, v36, v38, 0x3d29fb3f
	v_log_f32_e32 v7, v7
	s_delay_alu instid0(VALU_DEP_1) | instskip(NEXT) | instid1(VALU_DEP_1)
	v_fmaak_f32 v37, v36, v37, 0xbd97d4d7
	v_fmaak_f32 v37, v36, v37, 0x3dd931b2
	s_delay_alu instid0(TRANS32_DEP_1) | instskip(NEXT) | instid1(VALU_DEP_2)
	v_cmp_gt_f32_e64 vcc_lo, 0x7f800000, |v7|
	v_fmaak_f32 v37, v36, v37, 0xbe1160e6
	s_delay_alu instid0(VALU_DEP_1) | instskip(NEXT) | instid1(VALU_DEP_1)
	v_fmaak_f32 v37, v36, v37, 0x3e4cb8bf
	v_fmaak_f32 v37, v36, v37, 0xbeaaaa62
	s_delay_alu instid0(VALU_DEP_1) | instskip(NEXT) | instid1(VALU_DEP_1)
	v_mul_f32_e32 v36, v36, v37
	v_dual_mul_f32 v38, 0x3f317217, v7 :: v_dual_fmac_f32 v23, v23, v36
	s_delay_alu instid0(VALU_DEP_1) | instskip(NEXT) | instid1(VALU_DEP_1)
	v_fma_f32 v38, 0x3f317217, v7, -v38
	v_fmac_f32_e32 v38, 0x3377d1cf, v7
	s_delay_alu instid0(VALU_DEP_1) | instskip(NEXT) | instid1(VALU_DEP_1)
	v_fmac_f32_e32 v38, 0x3f317217, v7
	v_cndmask_b32_e32 v7, v7, v38, vcc_lo
	s_delay_alu instid0(VALU_DEP_1)
	v_sub_f32_e32 v37, v7, v39
.LBB62_188:                             ;   in Loop: Header=BB62_4 Depth=1
	s_or_b32 exec_lo, exec_lo, s7
                                        ; implicit-def: $vgpr7
.LBB62_189:                             ;   in Loop: Header=BB62_4 Depth=1
	s_and_not1_saveexec_b32 s30, s30
	s_cbranch_execz .LBB62_191
; %bb.190:                              ;   in Loop: Header=BB62_4 Depth=1
	v_div_scale_f32 v23, null, 0xc02df854, 0xc02df854, v29
	v_div_scale_f32 v36, null, 0xc02df854, 0xc02df854, v28
	v_div_scale_f32 v43, vcc_lo, v29, 0xc02df854, v29
	s_delay_alu instid0(VALU_DEP_3) | instskip(NEXT) | instid1(VALU_DEP_2)
	v_rcp_f32_e32 v37, v23
	v_rcp_f32_e32 v38, v36
	s_delay_alu instid0(TRANS32_DEP_2) | instskip(NEXT) | instid1(TRANS32_DEP_1)
	v_fma_f32 v39, -v23, v37, 1.0
	v_fma_f32 v42, -v36, v38, 1.0
	s_delay_alu instid0(VALU_DEP_1) | instskip(SKIP_1) | instid1(VALU_DEP_1)
	v_dual_fmac_f32 v37, v39, v37 :: v_dual_fmac_f32 v38, v42, v38
	v_div_scale_f32 v39, s7, v28, 0xc02df854, v28
	v_mul_f32_e32 v44, v39, v38
	s_delay_alu instid0(VALU_DEP_1) | instskip(NEXT) | instid1(VALU_DEP_1)
	v_dual_mul_f32 v42, v43, v37 :: v_dual_fma_f32 v46, -v36, v44, v39
	v_fma_f32 v45, -v23, v42, v43
	s_delay_alu instid0(VALU_DEP_1) | instskip(NEXT) | instid1(VALU_DEP_1)
	v_dual_fmac_f32 v42, v45, v37 :: v_dual_fmac_f32 v44, v46, v38
	v_fma_f32 v23, -v23, v42, v43
	s_delay_alu instid0(VALU_DEP_2) | instskip(NEXT) | instid1(VALU_DEP_2)
	v_fma_f32 v36, -v36, v44, v39
	v_div_fmas_f32 v23, v23, v37, v42
	s_mov_b32 vcc_lo, s7
	v_max_num_f32_e64 v42, -v29, -v29
	s_delay_alu instid0(VALU_DEP_3) | instskip(NEXT) | instid1(VALU_DEP_3)
	v_div_fmas_f32 v36, v36, v38, v44
	v_div_fixup_f32 v23, v23, 0xc02df854, v29
	s_delay_alu instid0(VALU_DEP_2) | instskip(NEXT) | instid1(VALU_DEP_1)
	v_div_fixup_f32 v38, v36, 0xc02df854, v28
	v_max_num_f32_e64 v39, |v23|, |v38|
	s_delay_alu instid0(VALU_DEP_1) | instskip(SKIP_1) | instid1(VALU_DEP_2)
	v_cvt_f64_f32_e32 v[36:37], v39
	v_cmp_neq_f32_e32 vcc_lo, 0x7f800000, v39
	v_frexp_exp_i32_f64_e32 v36, v[36:37]
	s_delay_alu instid0(VALU_DEP_1) | instskip(NEXT) | instid1(VALU_DEP_1)
	v_sub_nc_u32_e32 v37, 0, v36
	v_ldexp_f32 v38, |v38|, v37
	v_ldexp_f32 v23, |v23|, v37
	s_delay_alu instid0(VALU_DEP_2) | instskip(SKIP_2) | instid1(VALU_DEP_2)
	v_mul_f32_e32 v37, v38, v38
	s_wait_dscnt 0x0
	v_dual_max_num_f32 v38, v42, v7 :: v_dual_min_num_f32 v7, v42, v7
	v_fmac_f32_e32 v37, v23, v23
	s_delay_alu instid0(VALU_DEP_2) | instskip(SKIP_1) | instid1(VALU_DEP_4)
	v_frexp_mant_f32_e32 v23, v38
	v_frexp_exp_i32_f32_e32 v38, v38
	v_frexp_exp_i32_f32_e32 v42, v7
	v_frexp_mant_f32_e32 v7, v7
	v_sqrt_f32_e32 v37, v37
	v_rcp_f32_e32 v23, v23
	s_delay_alu instid0(TRANS32_DEP_2) | instskip(NEXT) | instid1(TRANS32_DEP_1)
	v_ldexp_f32 v36, v37, v36
	v_dual_sub_nc_u32 v37, v42, v38 :: v_dual_mul_f32 v7, v7, v23
	s_delay_alu instid0(VALU_DEP_2) | instskip(NEXT) | instid1(VALU_DEP_2)
	v_cndmask_b32_e32 v36, 0x7f800000, v36, vcc_lo
	v_ldexp_f32 v23, v7, v37
	s_delay_alu instid0(VALU_DEP_2) | instskip(NEXT) | instid1(VALU_DEP_2)
	v_cmp_gt_f32_e32 vcc_lo, 0x800000, v36
	v_mul_f32_e32 v37, v23, v23
	v_cndmask_b32_e64 v7, 0, 32, vcc_lo
	v_cndmask_b32_e64 v39, 0, 0x41b17218, vcc_lo
	s_delay_alu instid0(VALU_DEP_2) | instskip(NEXT) | instid1(VALU_DEP_1)
	v_ldexp_f32 v7, v36, v7
	v_log_f32_e32 v7, v7
	v_nop
	s_delay_alu instid0(TRANS32_DEP_1) | instskip(SKIP_1) | instid1(VALU_DEP_2)
	v_mul_f32_e32 v38, 0x3f317217, v7
	v_cmp_gt_f32_e64 vcc_lo, 0x7f800000, |v7|
	v_fma_f32 v38, 0x3f317217, v7, -v38
	s_delay_alu instid0(VALU_DEP_1) | instskip(NEXT) | instid1(VALU_DEP_1)
	v_fmac_f32_e32 v38, 0x3377d1cf, v7
	v_fmac_f32_e32 v38, 0x3f317217, v7
	s_delay_alu instid0(VALU_DEP_1) | instskip(NEXT) | instid1(VALU_DEP_1)
	v_cndmask_b32_e32 v7, v7, v38, vcc_lo
	v_dual_fmaak_f32 v36, s25, v37, 0xbc7a590c :: v_dual_sub_f32 v7, v7, v39
	s_delay_alu instid0(VALU_DEP_1) | instskip(NEXT) | instid1(VALU_DEP_1)
	v_fmaak_f32 v36, v37, v36, 0x3d29fb3f
	v_fmaak_f32 v36, v37, v36, 0xbd97d4d7
	s_delay_alu instid0(VALU_DEP_1) | instskip(NEXT) | instid1(VALU_DEP_1)
	v_fmaak_f32 v36, v37, v36, 0x3dd931b2
	v_fmaak_f32 v36, v37, v36, 0xbe1160e6
	;; [unrolled: 3-line block ×3, first 2 shown]
	s_delay_alu instid0(VALU_DEP_1) | instskip(NEXT) | instid1(VALU_DEP_1)
	v_dual_mul_f32 v36, v37, v36 :: v_dual_add_f32 v37, 1.0, v7
	v_fmac_f32_e32 v23, v23, v36
.LBB62_191:                             ;   in Loop: Header=BB62_4 Depth=1
	s_or_b32 exec_lo, exec_lo, s30
	s_wait_dscnt 0x0
	s_delay_alu instid0(VALU_DEP_1) | instskip(SKIP_1) | instid1(VALU_DEP_2)
	v_sub_f32_e32 v7, 0x3fc90fdb, v23
	v_cmp_eq_f32_e32 vcc_lo, 0xff800000, v29
	v_cndmask_b32_e64 v7, v23, v7, s6
	v_cmp_neq_f32_e64 s6, 0, v28
	s_and_b32 s7, vcc_lo, exec_lo
	v_cndmask_b32_e64 v38, 0, v7, s6
	s_and_not1_b32 s6, s28, exec_lo
	s_delay_alu instid0(SALU_CYCLE_1)
	s_or_b32 s28, s6, s7
.LBB62_192:                             ;   in Loop: Header=BB62_4 Depth=1
	s_or_b32 exec_lo, exec_lo, s29
	v_cmp_class_f32_e64 s6, v28, 0x204
	v_add_f32_e32 v23, 0x3f317218, v37
	s_and_b32 s6, s6, s28
	s_delay_alu instid0(VALU_DEP_1) | instskip(SKIP_2) | instid1(VALU_DEP_1)
	v_bfi_b32 v29, 0x7fffffff, v23, v29
	s_wait_dscnt 0x0
	v_cndmask_b32_e64 v7, v38, 0x3f490fdb, s6
	v_bfi_b32 v28, 0x7fffffff, v7, v28
.LBB62_193:                             ;   in Loop: Header=BB62_4 Depth=1
	s_or_b32 exec_lo, exec_lo, s27
.LBB62_194:                             ;   in Loop: Header=BB62_4 Depth=1
	s_and_not1_saveexec_b32 s6, s26
	s_cbranch_execz .LBB62_208
; %bb.195:                              ;   in Loop: Header=BB62_4 Depth=1
	v_cmp_neq_f32_e64 s7, 0x7f800000, |v29|
                                        ; implicit-def: $vgpr7
	s_and_saveexec_b32 s26, s7
	s_delay_alu instid0(SALU_CYCLE_1)
	s_xor_b32 s7, exec_lo, s26
	s_cbranch_execz .LBB62_205
; %bb.196:                              ;   in Loop: Header=BB62_4 Depth=1
	v_cmp_neq_f32_e64 s26, 0x7f800000, |v28|
                                        ; implicit-def: $vgpr7
	s_and_saveexec_b32 s27, s26
	s_delay_alu instid0(SALU_CYCLE_1)
	s_xor_b32 s26, exec_lo, s27
	s_cbranch_execz .LBB62_202
; %bb.197:                              ;   in Loop: Header=BB62_4 Depth=1
	s_mov_b32 s27, exec_lo
	v_cmpx_neq_f32_e32 0, v28
	s_xor_b32 s27, exec_lo, s27
	s_cbranch_execz .LBB62_199
; %bb.198:                              ;   in Loop: Header=BB62_4 Depth=1
	s_wait_dscnt 0x0
	v_add_f32_e32 v7, 0, v29
	s_delay_alu instid0(VALU_DEP_1)
	v_add_f32_e32 v29, v28, v7
.LBB62_199:                             ;   in Loop: Header=BB62_4 Depth=1
	s_or_saveexec_b32 s27, s27
	s_wait_dscnt 0x0
	s_delay_alu instid0(VALU_DEP_1)
	v_mov_b32_e32 v7, v29
	s_xor_b32 exec_lo, exec_lo, s27
; %bb.200:                              ;   in Loop: Header=BB62_4 Depth=1
	v_dual_add_f32 v29, v29, v29 :: v_dual_mov_b32 v7, v28
; %bb.201:                              ;   in Loop: Header=BB62_4 Depth=1
	s_or_b32 exec_lo, exec_lo, s27
.LBB62_202:                             ;   in Loop: Header=BB62_4 Depth=1
	s_and_not1_saveexec_b32 s26, s26
	s_cbranch_execz .LBB62_204
; %bb.203:                              ;   in Loop: Header=BB62_4 Depth=1
	s_wait_dscnt 0x0
	v_dual_add_f32 v7, v29, v29 :: v_dual_mov_b32 v29, v28
.LBB62_204:                             ;   in Loop: Header=BB62_4 Depth=1
	s_or_b32 exec_lo, exec_lo, s26
.LBB62_205:                             ;   in Loop: Header=BB62_4 Depth=1
	s_and_not1_saveexec_b32 s7, s7
	s_cbranch_execz .LBB62_207
; %bb.206:                              ;   in Loop: Header=BB62_4 Depth=1
	s_wait_dscnt 0x0
	v_add_f32_e32 v7, v28, v28
.LBB62_207:                             ;   in Loop: Header=BB62_4 Depth=1
	s_or_b32 exec_lo, exec_lo, s7
	s_wait_dscnt 0x0
	s_delay_alu instid0(VALU_DEP_1)
	v_mov_b32_e32 v28, v7
.LBB62_208:                             ;   in Loop: Header=BB62_4 Depth=1
	s_or_b32 exec_lo, exec_lo, s6
	s_delay_alu instid0(SALU_CYCLE_1)
	s_mov_b32 s6, exec_lo
	v_cmpx_o_f32_e32 v25, v24
	s_xor_b32 s26, exec_lo, s6
	s_cbranch_execz .LBB62_292
; %bb.209:                              ;   in Loop: Header=BB62_4 Depth=1
	s_wait_dscnt 0x0
	v_max_num_f32_e64 v7, |v24|, |v24|
	v_max_num_f32_e64 v23, |v25|, |v25|
	s_mov_b32 s6, exec_lo
	s_delay_alu instid0(VALU_DEP_1) | instskip(NEXT) | instid1(VALU_DEP_1)
	v_max_num_f32_e32 v36, v23, v7
	v_cmpx_nlt_f32_e32 0x4b000000, v36
	s_xor_b32 s27, exec_lo, s6
	s_cbranch_execz .LBB62_269
; %bb.210:                              ;   in Loop: Header=BB62_4 Depth=1
	v_cmp_neq_f32_e32 vcc_lo, 0, v25
	v_cmp_neq_f32_e64 s6, 0, v24
	s_or_b32 s6, vcc_lo, s6
	s_delay_alu instid0(SALU_CYCLE_1)
	s_and_saveexec_b32 s28, s6
	s_cbranch_execz .LBB62_268
; %bb.211:                              ;   in Loop: Header=BB62_4 Depth=1
	flat_store_b32 v[8:9], v40 scope:SCOPE_SYS
	s_wait_storecnt 0x0
	flat_load_b32 v7, v[8:9] scope:SCOPE_SYS
	s_wait_loadcnt 0x0
	v_cmp_ngt_f32_e64 s6, 0x395db3d7, |v25|
	v_cmp_ngt_f32_e64 s7, 0x395db3d7, |v24|
	s_or_b32 s6, s6, s7
	s_wait_dscnt 0x0
	v_add_f32_e32 v7, 1.0, v7
	flat_store_b32 v[14:15], v7 scope:SCOPE_SYS
	s_wait_storecnt 0x0
	flat_load_b32 v7, v[14:15] scope:SCOPE_SYS
	s_wait_loadcnt 0x0
	s_wait_xcnt 0x0
	s_and_saveexec_b32 s29, s6
	s_cbranch_execz .LBB62_267
; %bb.212:                              ;   in Loop: Header=BB62_4 Depth=1
	v_add_f32_e64 v43, |v24|, 1.0
	v_add_f32_e64 v42, |v24|, -1.0
	s_mov_b32 s6, exec_lo
	s_wait_dscnt 0x0
	s_delay_alu instid0(VALU_DEP_2) | instskip(NEXT) | instid1(VALU_DEP_2)
	v_max_num_f32_e32 v7, v23, v43
	v_max_num_f32_e64 v23, v23, |v42|
	s_delay_alu instid0(VALU_DEP_2) | instskip(NEXT) | instid1(VALU_DEP_2)
	v_cvt_f64_f32_e32 v[36:37], v7
	v_cvt_f64_f32_e32 v[38:39], v23
	s_delay_alu instid0(VALU_DEP_2) | instskip(NEXT) | instid1(VALU_DEP_2)
	v_frexp_exp_i32_f64_e32 v36, v[36:37]
	v_frexp_exp_i32_f64_e32 v37, v[38:39]
	s_delay_alu instid0(VALU_DEP_2) | instskip(SKIP_1) | instid1(VALU_DEP_2)
	v_sub_nc_u32_e32 v38, 0, v36
	v_cmp_neq_f32_e32 vcc_lo, 0x7f800000, v7
	v_ldexp_f32 v44, v43, v38
	s_delay_alu instid0(VALU_DEP_4) | instskip(SKIP_1) | instid1(VALU_DEP_3)
	v_sub_nc_u32_e32 v39, 0, v37
	v_ldexp_f32 v38, |v25|, v38
	v_mul_f32_e32 v44, v44, v44
	s_delay_alu instid0(VALU_DEP_3) | instskip(SKIP_1) | instid1(VALU_DEP_2)
	v_ldexp_f32 v45, |v42|, v39
	v_ldexp_f32 v39, |v25|, v39
	v_dual_fmac_f32 v44, v38, v38 :: v_dual_mul_f32 v45, v45, v45
	s_delay_alu instid0(VALU_DEP_1) | instskip(NEXT) | instid1(VALU_DEP_1)
	v_sqrt_f32_e32 v38, v44
	v_fmac_f32_e32 v45, v39, v39
	s_delay_alu instid0(VALU_DEP_1) | instskip(NEXT) | instid1(TRANS32_DEP_2)
	v_sqrt_f32_e32 v39, v45
	v_ldexp_f32 v36, v38, v36
	s_delay_alu instid0(VALU_DEP_1) | instskip(NEXT) | instid1(TRANS32_DEP_1)
	v_cndmask_b32_e32 v45, 0x7f800000, v36, vcc_lo
	v_ldexp_f32 v37, v39, v37
	v_cmp_neq_f32_e32 vcc_lo, 0x7f800000, v23
	s_delay_alu instid0(VALU_DEP_2) | instskip(NEXT) | instid1(VALU_DEP_1)
	v_cndmask_b32_e32 v38, 0x7f800000, v37, vcc_lo
	v_add_f32_e32 v7, v45, v38
	s_delay_alu instid0(VALU_DEP_1) | instskip(NEXT) | instid1(VALU_DEP_1)
	v_mul_f32_e32 v7, 0.5, v7
	v_cmp_ngt_f32_e32 vcc_lo, 1.0, v7
	v_cndmask_b32_e32 v36, 1.0, v7, vcc_lo
                                        ; implicit-def: $vgpr7
	s_delay_alu instid0(VALU_DEP_1)
	v_cmpx_ngt_f32_e32 0x41200000, v36
	s_xor_b32 s7, exec_lo, s6
	s_cbranch_execz .LBB62_214
; %bb.213:                              ;   in Loop: Header=BB62_4 Depth=1
	v_fma_f32 v7, v36, v36, -1.0
	s_delay_alu instid0(VALU_DEP_1) | instskip(SKIP_1) | instid1(VALU_DEP_2)
	v_mul_f32_e32 v23, 0x4f800000, v7
	v_cmp_gt_f32_e32 vcc_lo, 0xf800000, v7
	v_cndmask_b32_e32 v7, v7, v23, vcc_lo
	s_delay_alu instid0(VALU_DEP_1) | instskip(SKIP_1) | instid1(TRANS32_DEP_1)
	v_sqrt_f32_e32 v23, v7
	v_nop
	v_dual_add_nc_u32 v37, -1, v23 :: v_dual_add_nc_u32 v39, 1, v23
	s_delay_alu instid0(VALU_DEP_1) | instskip(NEXT) | instid1(VALU_DEP_1)
	v_dual_fma_f32 v44, -v37, v23, v7 :: v_dual_fma_f32 v46, -v39, v23, v7
	v_cmp_ge_f32_e64 s6, 0, v44
	s_delay_alu instid0(VALU_DEP_1) | instskip(NEXT) | instid1(VALU_DEP_3)
	v_cndmask_b32_e64 v23, v23, v37, s6
	v_cmp_lt_f32_e64 s6, 0, v46
	s_delay_alu instid0(VALU_DEP_1) | instskip(NEXT) | instid1(VALU_DEP_1)
	v_cndmask_b32_e64 v23, v23, v39, s6
	v_mul_f32_e32 v37, 0x37800000, v23
	s_delay_alu instid0(VALU_DEP_1) | instskip(SKIP_1) | instid1(VALU_DEP_2)
	v_cndmask_b32_e32 v23, v23, v37, vcc_lo
	v_cmp_class_f32_e64 vcc_lo, v7, 0x260
	v_cndmask_b32_e32 v7, v23, v7, vcc_lo
	s_delay_alu instid0(VALU_DEP_1) | instskip(NEXT) | instid1(VALU_DEP_1)
	v_add_f32_e32 v7, v36, v7
	v_cmp_gt_f32_e32 vcc_lo, 0x800000, v7
	s_delay_alu instid0(VALU_DEP_4) | instskip(NEXT) | instid1(VALU_DEP_1)
	v_cndmask_b32_e64 v23, 0, 32, vcc_lo
	v_ldexp_f32 v7, v7, v23
	s_delay_alu instid0(VALU_DEP_1) | instskip(SKIP_1) | instid1(TRANS32_DEP_1)
	v_log_f32_e32 v7, v7
	v_nop
	v_mul_f32_e32 v23, 0x3f317217, v7
	v_cmp_gt_f32_e64 s6, 0x7f800000, |v7|
	s_delay_alu instid0(VALU_DEP_2) | instskip(NEXT) | instid1(VALU_DEP_1)
	v_fma_f32 v23, 0x3f317217, v7, -v23
	v_fmac_f32_e32 v23, 0x3377d1cf, v7
	s_delay_alu instid0(VALU_DEP_1) | instskip(NEXT) | instid1(VALU_DEP_1)
	v_fmac_f32_e32 v23, 0x3f317217, v7
	v_cndmask_b32_e64 v7, v7, v23, s6
	v_cndmask_b32_e64 v23, 0, 0x41b17218, vcc_lo
	s_delay_alu instid0(VALU_DEP_1)
	v_sub_f32_e32 v7, v7, v23
.LBB62_214:                             ;   in Loop: Header=BB62_4 Depth=1
	s_or_saveexec_b32 s7, s7
	v_and_b32_e32 v44, 0x7fffffff, v25
	s_xor_b32 exec_lo, exec_lo, s7
	s_cbranch_execz .LBB62_236
; %bb.215:                              ;   in Loop: Header=BB62_4 Depth=1
	v_cmp_neq_f32_e64 s6, |v24|, 1.0
	v_cmp_ngt_f32_e64 s30, 0x25000000, |v25|
                                        ; implicit-def: $vgpr7
	s_or_b32 s6, s30, s6
	s_delay_alu instid0(SALU_CYCLE_1) | instskip(NEXT) | instid1(SALU_CYCLE_1)
	s_and_saveexec_b32 s30, s6
	s_xor_b32 s30, exec_lo, s30
	s_cbranch_execz .LBB62_233
; %bb.216:                              ;   in Loop: Header=BB62_4 Depth=1
	v_mul_f32_e64 v7, 0x34000000, |v42|
	s_delay_alu instid0(VALU_DEP_1) | instskip(SKIP_1) | instid1(SALU_CYCLE_1)
	v_cmp_ge_f32_e64 s6, |v25|, v7
                                        ; implicit-def: $vgpr7
	s_and_saveexec_b32 s31, s6
	s_xor_b32 s31, exec_lo, s31
	s_cbranch_execz .LBB62_226
; %bb.217:                              ;   in Loop: Header=BB62_4 Depth=1
	v_mov_b32_e32 v7, v44
	s_mov_b32 s6, exec_lo
	v_cmpx_neq_f32_e32 0, v43
	s_cbranch_execz .LBB62_219
; %bb.218:                              ;   in Loop: Header=BB62_4 Depth=1
	v_mul_f32_e32 v7, v25, v25
	v_add_f32_e32 v23, v43, v45
	s_delay_alu instid0(VALU_DEP_1) | instskip(NEXT) | instid1(VALU_DEP_1)
	v_div_scale_f32 v37, null, v23, v23, v7
	v_rcp_f32_e32 v39, v37
	v_nop
	s_delay_alu instid0(TRANS32_DEP_1) | instskip(NEXT) | instid1(VALU_DEP_1)
	v_fma_f32 v46, -v37, v39, 1.0
	v_fmac_f32_e32 v39, v46, v39
	v_div_scale_f32 v46, vcc_lo, v7, v23, v7
	s_delay_alu instid0(VALU_DEP_1) | instskip(NEXT) | instid1(VALU_DEP_1)
	v_mul_f32_e32 v47, v46, v39
	v_fma_f32 v48, -v37, v47, v46
	s_delay_alu instid0(VALU_DEP_1) | instskip(NEXT) | instid1(VALU_DEP_1)
	v_fmac_f32_e32 v47, v48, v39
	v_fma_f32 v37, -v37, v47, v46
	s_delay_alu instid0(VALU_DEP_1) | instskip(NEXT) | instid1(VALU_DEP_1)
	v_div_fmas_f32 v37, v37, v39, v47
	v_div_fixup_f32 v7, v37, v23, v7
.LBB62_219:                             ;   in Loop: Header=BB62_4 Depth=1
	s_or_b32 exec_lo, exec_lo, s6
	v_sub_f32_e64 v37, 1.0, |v24|
	s_mov_b32 s6, exec_lo
                                        ; implicit-def: $vgpr23
	s_delay_alu instid0(VALU_DEP_1)
	v_cmpx_ngt_f32_e32 0, v37
	s_xor_b32 s6, exec_lo, s6
	s_cbranch_execz .LBB62_223
; %bb.220:                              ;   in Loop: Header=BB62_4 Depth=1
	v_mov_b32_e32 v23, v44
	s_mov_b32 s33, exec_lo
	v_cmpx_neq_f32_e32 0, v37
	s_cbranch_execz .LBB62_222
; %bb.221:                              ;   in Loop: Header=BB62_4 Depth=1
	v_mul_f32_e32 v23, v25, v25
	v_add_f32_e32 v37, v37, v38
	s_delay_alu instid0(VALU_DEP_1) | instskip(NEXT) | instid1(VALU_DEP_1)
	v_div_scale_f32 v39, null, v37, v37, v23
	v_rcp_f32_e32 v46, v39
	v_nop
	s_delay_alu instid0(TRANS32_DEP_1) | instskip(NEXT) | instid1(VALU_DEP_1)
	v_fma_f32 v47, -v39, v46, 1.0
	v_fmac_f32_e32 v46, v47, v46
	v_div_scale_f32 v47, vcc_lo, v23, v37, v23
	s_delay_alu instid0(VALU_DEP_1) | instskip(NEXT) | instid1(VALU_DEP_1)
	v_mul_f32_e32 v48, v47, v46
	v_fma_f32 v49, -v39, v48, v47
	s_delay_alu instid0(VALU_DEP_1) | instskip(NEXT) | instid1(VALU_DEP_1)
	v_fmac_f32_e32 v48, v49, v46
	v_fma_f32 v39, -v39, v48, v47
	s_delay_alu instid0(VALU_DEP_1) | instskip(NEXT) | instid1(VALU_DEP_1)
	v_div_fmas_f32 v39, v39, v46, v48
	v_div_fixup_f32 v23, v39, v37, v23
.LBB62_222:                             ;   in Loop: Header=BB62_4 Depth=1
	s_or_b32 exec_lo, exec_lo, s33
                                        ; implicit-def: $vgpr37
.LBB62_223:                             ;   in Loop: Header=BB62_4 Depth=1
	s_and_not1_saveexec_b32 s6, s6
; %bb.224:                              ;   in Loop: Header=BB62_4 Depth=1
	v_sub_f32_e32 v23, v38, v37
; %bb.225:                              ;   in Loop: Header=BB62_4 Depth=1
	s_or_b32 exec_lo, exec_lo, s6
	v_mul_f32_e32 v37, 0.5, v7
	s_delay_alu instid0(VALU_DEP_2) | instskip(NEXT) | instid1(VALU_DEP_1)
	v_mul_f32_e32 v7, 0.5, v23
	v_pk_add_f32 v[46:47], v[36:37], v[6:7]
	s_delay_alu instid0(VALU_DEP_1) | instskip(NEXT) | instid1(VALU_DEP_1)
	v_mul_f32_e32 v7, v46, v47
	v_mul_f32_e32 v23, 0x4f800000, v7
	v_cmp_gt_f32_e32 vcc_lo, 0xf800000, v7
	s_delay_alu instid0(VALU_DEP_2) | instskip(NEXT) | instid1(VALU_DEP_1)
	v_cndmask_b32_e32 v7, v7, v23, vcc_lo
	v_sqrt_f32_e32 v23, v7
	v_nop
	s_delay_alu instid0(TRANS32_DEP_1) | instskip(NEXT) | instid1(VALU_DEP_1)
	v_dual_add_nc_u32 v37, -1, v23 :: v_dual_add_nc_u32 v39, 1, v23
	v_dual_fma_f32 v46, -v37, v23, v7 :: v_dual_fma_f32 v48, -v39, v23, v7
	s_delay_alu instid0(VALU_DEP_1) | instskip(NEXT) | instid1(VALU_DEP_1)
	v_cmp_ge_f32_e64 s6, 0, v46
	v_cndmask_b32_e64 v23, v23, v37, s6
	s_delay_alu instid0(VALU_DEP_3) | instskip(NEXT) | instid1(VALU_DEP_1)
	v_cmp_lt_f32_e64 s6, 0, v48
	v_cndmask_b32_e64 v23, v23, v39, s6
	s_delay_alu instid0(VALU_DEP_1) | instskip(NEXT) | instid1(VALU_DEP_1)
	v_mul_f32_e32 v37, 0x37800000, v23
	v_cndmask_b32_e32 v23, v23, v37, vcc_lo
	v_cmp_class_f32_e64 vcc_lo, v7, 0x260
	s_delay_alu instid0(VALU_DEP_2) | instskip(NEXT) | instid1(VALU_DEP_1)
	v_cndmask_b32_e32 v7, v23, v7, vcc_lo
	v_add_f32_e32 v46, v47, v7
	s_delay_alu instid0(VALU_DEP_1) | instskip(NEXT) | instid1(VALU_DEP_1)
	v_add_f32_e32 v49, 1.0, v46
	v_cvt_f64_f32_e32 v[50:51], v49
	v_frexp_mant_f32_e32 v23, v49
	s_delay_alu instid0(VALU_DEP_1) | instskip(NEXT) | instid1(VALU_DEP_3)
	v_cmp_gt_f32_e32 vcc_lo, 0x3f2aaaab, v23
	v_frexp_exp_i32_f64_e32 v7, v[50:51]
	s_delay_alu instid0(VALU_DEP_1) | instskip(SKIP_2) | instid1(VALU_DEP_2)
	v_subrev_co_ci_u32_e64 v7, null, 0, v7, vcc_lo
	v_add_f32_e32 v47, -1.0, v49
	v_cmp_neq_f32_e32 vcc_lo, 0x7f800000, v46
	v_dual_mov_b32 v48, v47 :: v_dual_sub_nc_u32 v23, 0, v7
	s_delay_alu instid0(VALU_DEP_1) | instskip(NEXT) | instid1(VALU_DEP_2)
	v_ldexp_f32 v37, v49, v23
	v_pk_add_f32 v[50:51], v[46:47], v[48:49] neg_lo:[0,1] neg_hi:[0,1]
	s_delay_alu instid0(VALU_DEP_1) | instskip(NEXT) | instid1(VALU_DEP_1)
	v_dual_add_f32 v53, -1.0, v37 :: v_dual_add_f32 v39, 1.0, v51
	v_dual_add_f32 v47, 1.0, v37 :: v_dual_add_f32 v39, v50, v39
	s_delay_alu instid0(VALU_DEP_1) | instskip(NEXT) | instid1(VALU_DEP_2)
	v_add_f32_e32 v48, -1.0, v47
	v_ldexp_f32 v23, v39, v23
	s_delay_alu instid0(VALU_DEP_2) | instskip(NEXT) | instid1(VALU_DEP_1)
	v_dual_sub_f32 v39, v37, v48 :: v_dual_add_f32 v48, 1.0, v53
	v_dual_add_f32 v39, v23, v39 :: v_dual_sub_f32 v37, v37, v48
	s_delay_alu instid0(VALU_DEP_1) | instskip(NEXT) | instid1(VALU_DEP_1)
	v_add_f32_e32 v23, v23, v37
	v_add_f32_e32 v49, v53, v23
	s_delay_alu instid0(VALU_DEP_3) | instskip(NEXT) | instid1(VALU_DEP_1)
	v_add_f32_e32 v54, v47, v39
	v_rcp_f32_e32 v37, v54
	v_nop
	s_delay_alu instid0(TRANS32_DEP_1) | instskip(NEXT) | instid1(VALU_DEP_1)
	v_dual_mul_f32 v55, v49, v37 :: v_dual_sub_f32 v47, v54, v47
	v_mul_f32_e32 v50, v54, v55
	s_delay_alu instid0(VALU_DEP_2) | instskip(NEXT) | instid1(VALU_DEP_2)
	v_sub_f32_e32 v39, v39, v47
	v_dual_fma_f32 v52, v55, v54, -v50 :: v_dual_sub_f32 v47, v49, v53
	s_delay_alu instid0(VALU_DEP_1) | instskip(NEXT) | instid1(VALU_DEP_1)
	v_fmac_f32_e32 v52, v55, v39
	v_dual_sub_f32 v23, v23, v47 :: v_dual_add_f32 v48, v50, v52
	s_delay_alu instid0(VALU_DEP_1) | instskip(NEXT) | instid1(VALU_DEP_1)
	v_dual_sub_f32 v51, v49, v48 :: v_dual_mov_b32 v53, v48
	v_pk_add_f32 v[48:49], v[48:49], v[50:51] neg_lo:[0,1] neg_hi:[0,1]
	s_delay_alu instid0(VALU_DEP_1) | instskip(NEXT) | instid1(VALU_DEP_1)
	v_pk_add_f32 v[48:49], v[48:49], v[52:53] neg_lo:[0,1] neg_hi:[0,1]
	v_add_f32_e32 v23, v23, v49
	s_delay_alu instid0(VALU_DEP_1) | instskip(NEXT) | instid1(VALU_DEP_1)
	v_add_f32_e32 v23, v48, v23
	v_add_f32_e32 v49, v51, v23
	s_delay_alu instid0(VALU_DEP_1) | instskip(NEXT) | instid1(VALU_DEP_1)
	v_mul_f32_e32 v47, v37, v49
	v_mul_f32_e32 v52, v54, v47
	s_delay_alu instid0(VALU_DEP_1) | instskip(NEXT) | instid1(VALU_DEP_1)
	v_fma_f32 v50, v47, v54, -v52
	v_fmac_f32_e32 v50, v47, v39
	s_delay_alu instid0(VALU_DEP_1) | instskip(NEXT) | instid1(VALU_DEP_1)
	v_dual_add_f32 v48, v52, v50 :: v_dual_sub_f32 v39, v51, v49
	v_dual_sub_f32 v53, v49, v48 :: v_dual_mov_b32 v51, v48
	s_delay_alu instid0(VALU_DEP_2) | instskip(SKIP_1) | instid1(VALU_DEP_3)
	v_add_f32_e32 v23, v23, v39
	v_add_f32_e32 v39, v55, v47
	v_pk_add_f32 v[48:49], v[48:49], v[52:53] neg_lo:[0,1] neg_hi:[0,1]
	s_delay_alu instid0(VALU_DEP_1) | instskip(NEXT) | instid1(VALU_DEP_1)
	v_pk_add_f32 v[48:49], v[48:49], v[50:51] neg_lo:[0,1] neg_hi:[0,1]
	v_add_f32_e32 v23, v23, v49
	s_delay_alu instid0(VALU_DEP_1) | instskip(SKIP_1) | instid1(VALU_DEP_1)
	v_add_f32_e32 v23, v48, v23
	v_sub_f32_e32 v48, v39, v55
	v_dual_add_f32 v23, v53, v23 :: v_dual_sub_f32 v47, v47, v48
	v_cvt_f32_i32_e32 v48, v7
	s_delay_alu instid0(VALU_DEP_2) | instskip(NEXT) | instid1(VALU_DEP_1)
	v_mul_f32_e32 v23, v37, v23
	v_add_f32_e32 v37, v47, v23
	s_delay_alu instid0(VALU_DEP_1) | instskip(NEXT) | instid1(VALU_DEP_1)
	v_add_f32_e32 v47, v39, v37
	v_mul_f32_e32 v23, v47, v47
	v_ldexp_f32 v53, v47, 1
	s_delay_alu instid0(VALU_DEP_2) | instskip(NEXT) | instid1(VALU_DEP_1)
	v_dual_fmaak_f32 v50, s23, v23, 0x3ecc95a3 :: v_dual_mul_f32 v49, v47, v23
	v_fmaak_f32 v23, v23, v50, 0x3f2aaada
	s_delay_alu instid0(VALU_DEP_1) | instskip(NEXT) | instid1(VALU_DEP_1)
	v_pk_mul_f32 v[50:51], v[48:49], v[22:23]
	v_fma_f32 v52, 0x3f317218, v48, -v50
	v_mov_b32_e32 v54, v50
	s_delay_alu instid0(VALU_DEP_2) | instskip(NEXT) | instid1(VALU_DEP_1)
	v_fmac_f32_e32 v52, 0xb102e308, v48
	v_pk_add_f32 v[48:49], v[50:51], v[52:53]
	s_delay_alu instid0(VALU_DEP_1) | instskip(NEXT) | instid1(VALU_DEP_2)
	v_dual_sub_f32 v23, v49, v53 :: v_dual_sub_f32 v7, v47, v39
	v_dual_mov_b32 v53, v48 :: v_dual_mov_b32 v62, v49
	s_delay_alu instid0(VALU_DEP_2) | instskip(NEXT) | instid1(VALU_DEP_3)
	v_sub_f32_e32 v23, v51, v23
	v_sub_f32_e32 v7, v37, v7
	v_pk_add_f32 v[50:51], v[48:49], v[50:51] neg_lo:[0,1] neg_hi:[0,1]
	s_delay_alu instid0(VALU_DEP_2) | instskip(NEXT) | instid1(VALU_DEP_1)
	v_ldexp_f32 v7, v7, 1
	v_add_f32_e32 v55, v7, v23
	s_delay_alu instid0(VALU_DEP_1) | instskip(NEXT) | instid1(VALU_DEP_1)
	v_pk_add_f32 v[56:57], v[48:49], v[54:55]
	v_mov_b32_e32 v51, v57
	s_delay_alu instid0(VALU_DEP_1) | instskip(SKIP_2) | instid1(VALU_DEP_3)
	v_pk_add_f32 v[58:59], v[52:53], v[50:51]
	v_mov_b32_e32 v58, v57
	v_pk_add_f32 v[50:51], v[52:53], v[50:51] neg_lo:[0,1] neg_hi:[0,1]
	v_dual_mov_b32 v54, v59 :: v_dual_mov_b32 v51, v59
	s_delay_alu instid0(VALU_DEP_1) | instskip(SKIP_1) | instid1(VALU_DEP_2)
	v_pk_add_f32 v[60:61], v[54:55], v[48:49] neg_lo:[0,1] neg_hi:[0,1]
	v_dual_mov_b32 v49, v48 :: v_dual_mov_b32 v48, v55
	v_dual_mov_b32 v63, v60 :: v_dual_mov_b32 v7, v60
	s_delay_alu instid0(VALU_DEP_1) | instskip(NEXT) | instid1(VALU_DEP_2)
	v_pk_add_f32 v[60:61], v[58:59], v[62:63] neg_lo:[0,1] neg_hi:[0,1]
	v_pk_add_f32 v[52:53], v[56:57], v[6:7] neg_lo:[0,1] neg_hi:[0,1]
	v_mov_b32_e32 v52, v50
	s_delay_alu instid0(VALU_DEP_3) | instskip(NEXT) | instid1(VALU_DEP_1)
	v_pk_add_f32 v[48:49], v[48:49], v[60:61] neg_lo:[0,1] neg_hi:[0,1]
	v_pk_add_f32 v[52:53], v[52:53], v[48:49]
	s_delay_alu instid0(VALU_DEP_1) | instskip(NEXT) | instid1(VALU_DEP_1)
	v_mov_b32_e32 v56, v53
	v_pk_add_f32 v[56:57], v[52:53], v[56:57]
	s_delay_alu instid0(VALU_DEP_1) | instskip(NEXT) | instid1(VALU_DEP_1)
	v_pk_add_f32 v[54:55], v[54:55], v[56:57]
	v_dual_mov_b32 v49, v56 :: v_dual_mov_b32 v53, v54
	s_delay_alu instid0(VALU_DEP_1) | instskip(NEXT) | instid1(VALU_DEP_1)
	v_pk_add_f32 v[58:59], v[52:53], v[50:51] neg_lo:[0,1] neg_hi:[0,1]
	v_sub_f32_e32 v7, v52, v58
	s_delay_alu instid0(VALU_DEP_2) | instskip(NEXT) | instid1(VALU_DEP_2)
	v_pk_add_f32 v[48:49], v[48:49], v[58:59] neg_lo:[0,1] neg_hi:[0,1]
	v_sub_f32_e32 v7, v50, v7
	s_delay_alu instid0(VALU_DEP_1) | instskip(NEXT) | instid1(VALU_DEP_1)
	v_add_f32_e32 v7, v48, v7
	v_add_f32_e32 v7, v7, v49
	s_delay_alu instid0(VALU_DEP_1) | instskip(NEXT) | instid1(VALU_DEP_1)
	v_add_f32_e32 v7, v54, v7
	v_cndmask_b32_e32 v7, 0x7f800000, v7, vcc_lo
	v_cmp_ngt_f32_e32 vcc_lo, -1.0, v46
	s_delay_alu instid0(VALU_DEP_2) | instskip(SKIP_1) | instid1(VALU_DEP_2)
	v_cndmask_b32_e32 v7, 0x7fc00000, v7, vcc_lo
	v_cmp_neq_f32_e32 vcc_lo, -1.0, v46
	v_cndmask_b32_e32 v7, 0xff800000, v7, vcc_lo
	v_cmp_gt_f32_e64 vcc_lo, 0x33800000, |v46|
	s_delay_alu instid0(VALU_DEP_2)
	v_cndmask_b32_e32 v7, v7, v46, vcc_lo
.LBB62_226:                             ;   in Loop: Header=BB62_4 Depth=1
	s_and_not1_saveexec_b32 s31, s31
	s_cbranch_execz .LBB62_232
; %bb.227:                              ;   in Loop: Header=BB62_4 Depth=1
	s_mov_b32 s33, exec_lo
                                        ; implicit-def: $vgpr7
	v_cmpx_nlt_f32_e64 |v24|, 1.0
	s_xor_b32 s33, exec_lo, s33
	s_cbranch_execz .LBB62_229
; %bb.228:                              ;   in Loop: Header=BB62_4 Depth=1
	v_mul_f32_e32 v7, v42, v43
	s_delay_alu instid0(VALU_DEP_1) | instskip(SKIP_1) | instid1(VALU_DEP_2)
	v_mul_f32_e32 v23, 0x4f800000, v7
	v_cmp_gt_f32_e32 vcc_lo, 0xf800000, v7
	v_cndmask_b32_e32 v7, v7, v23, vcc_lo
	s_delay_alu instid0(VALU_DEP_1) | instskip(SKIP_1) | instid1(TRANS32_DEP_1)
	v_sqrt_f32_e32 v23, v7
	v_nop
	v_dual_add_nc_u32 v37, -1, v23 :: v_dual_add_nc_u32 v39, 1, v23
	s_delay_alu instid0(VALU_DEP_1) | instskip(NEXT) | instid1(VALU_DEP_1)
	v_dual_fma_f32 v46, -v37, v23, v7 :: v_dual_fma_f32 v47, -v39, v23, v7
	v_cmp_ge_f32_e64 s6, 0, v46
	s_delay_alu instid0(VALU_DEP_1) | instskip(NEXT) | instid1(VALU_DEP_3)
	v_cndmask_b32_e64 v23, v23, v37, s6
	v_cmp_lt_f32_e64 s6, 0, v47
	s_delay_alu instid0(VALU_DEP_1) | instskip(NEXT) | instid1(VALU_DEP_1)
	v_cndmask_b32_e64 v23, v23, v39, s6
	v_mul_f32_e32 v37, 0x37800000, v23
	s_delay_alu instid0(VALU_DEP_1) | instskip(SKIP_1) | instid1(VALU_DEP_2)
	v_cndmask_b32_e32 v23, v23, v37, vcc_lo
	v_cmp_class_f32_e64 vcc_lo, v7, 0x260
	v_cndmask_b32_e32 v7, v23, v7, vcc_lo
	s_delay_alu instid0(VALU_DEP_1) | instskip(NEXT) | instid1(VALU_DEP_1)
	v_add_f32_e32 v46, v42, v7
	v_add_f32_e32 v49, 1.0, v46
	s_delay_alu instid0(VALU_DEP_1) | instskip(SKIP_2) | instid1(VALU_DEP_2)
	v_cvt_f64_f32_e32 v[50:51], v49
	v_frexp_mant_f32_e32 v23, v49
	v_add_f32_e32 v47, -1.0, v49
	v_cmp_gt_f32_e32 vcc_lo, 0x3f2aaaab, v23
	s_delay_alu instid0(VALU_DEP_2) | instskip(SKIP_1) | instid1(VALU_DEP_2)
	v_mov_b32_e32 v48, v47
	v_frexp_exp_i32_f64_e32 v7, v[50:51]
	v_pk_add_f32 v[50:51], v[46:47], v[48:49] neg_lo:[0,1] neg_hi:[0,1]
	s_delay_alu instid0(VALU_DEP_1) | instskip(NEXT) | instid1(VALU_DEP_3)
	v_add_f32_e32 v39, 1.0, v51
	v_subrev_co_ci_u32_e64 v7, null, 0, v7, vcc_lo
	v_cmp_neq_f32_e32 vcc_lo, 0x7f800000, v46
	s_delay_alu instid0(VALU_DEP_2) | instskip(NEXT) | instid1(VALU_DEP_1)
	v_sub_nc_u32_e32 v23, 0, v7
	v_ldexp_f32 v37, v49, v23
	s_delay_alu instid0(VALU_DEP_1) | instskip(SKIP_1) | instid1(VALU_DEP_1)
	v_dual_add_f32 v47, 1.0, v37 :: v_dual_add_f32 v53, -1.0, v37
	v_add_f32_e32 v39, v50, v39
	v_ldexp_f32 v23, v39, v23
	s_delay_alu instid0(VALU_DEP_3) | instskip(NEXT) | instid1(VALU_DEP_1)
	v_add_f32_e32 v48, -1.0, v47
	v_dual_sub_f32 v39, v37, v48 :: v_dual_add_f32 v48, 1.0, v53
	s_delay_alu instid0(VALU_DEP_1) | instskip(NEXT) | instid1(VALU_DEP_1)
	v_dual_sub_f32 v37, v37, v48 :: v_dual_add_f32 v39, v23, v39
	v_add_f32_e32 v23, v23, v37
	s_delay_alu instid0(VALU_DEP_2) | instskip(NEXT) | instid1(VALU_DEP_2)
	v_add_f32_e32 v54, v47, v39
	v_add_f32_e32 v49, v53, v23
	s_delay_alu instid0(VALU_DEP_2) | instskip(SKIP_1) | instid1(TRANS32_DEP_1)
	v_rcp_f32_e32 v37, v54
	v_nop
	v_mul_f32_e32 v55, v49, v37
	s_delay_alu instid0(VALU_DEP_1) | instskip(NEXT) | instid1(VALU_DEP_1)
	v_mul_f32_e32 v50, v54, v55
	v_dual_fma_f32 v52, v55, v54, -v50 :: v_dual_sub_f32 v47, v54, v47
	s_delay_alu instid0(VALU_DEP_1) | instskip(NEXT) | instid1(VALU_DEP_1)
	v_dual_sub_f32 v39, v39, v47 :: v_dual_sub_f32 v47, v49, v53
	v_fmac_f32_e32 v52, v55, v39
	s_delay_alu instid0(VALU_DEP_1) | instskip(NEXT) | instid1(VALU_DEP_1)
	v_dual_sub_f32 v23, v23, v47 :: v_dual_add_f32 v48, v50, v52
	v_dual_sub_f32 v51, v49, v48 :: v_dual_mov_b32 v53, v48
	s_delay_alu instid0(VALU_DEP_1) | instskip(NEXT) | instid1(VALU_DEP_1)
	v_pk_add_f32 v[48:49], v[48:49], v[50:51] neg_lo:[0,1] neg_hi:[0,1]
	v_pk_add_f32 v[48:49], v[48:49], v[52:53] neg_lo:[0,1] neg_hi:[0,1]
	s_delay_alu instid0(VALU_DEP_1) | instskip(NEXT) | instid1(VALU_DEP_1)
	v_add_f32_e32 v23, v23, v49
	v_add_f32_e32 v23, v48, v23
	s_delay_alu instid0(VALU_DEP_1) | instskip(NEXT) | instid1(VALU_DEP_1)
	v_add_f32_e32 v49, v51, v23
	v_mul_f32_e32 v47, v37, v49
	s_delay_alu instid0(VALU_DEP_1) | instskip(NEXT) | instid1(VALU_DEP_1)
	v_mul_f32_e32 v52, v54, v47
	v_fma_f32 v50, v47, v54, -v52
	s_delay_alu instid0(VALU_DEP_1) | instskip(NEXT) | instid1(VALU_DEP_1)
	v_fmac_f32_e32 v50, v47, v39
	v_dual_sub_f32 v39, v51, v49 :: v_dual_add_f32 v48, v52, v50
	s_delay_alu instid0(VALU_DEP_1) | instskip(NEXT) | instid1(VALU_DEP_2)
	v_add_f32_e32 v23, v23, v39
	v_dual_add_f32 v39, v55, v47 :: v_dual_mov_b32 v51, v48
	v_sub_f32_e32 v53, v49, v48
	s_delay_alu instid0(VALU_DEP_1) | instskip(NEXT) | instid1(VALU_DEP_1)
	v_pk_add_f32 v[48:49], v[48:49], v[52:53] neg_lo:[0,1] neg_hi:[0,1]
	v_pk_add_f32 v[48:49], v[48:49], v[50:51] neg_lo:[0,1] neg_hi:[0,1]
	s_delay_alu instid0(VALU_DEP_1) | instskip(NEXT) | instid1(VALU_DEP_1)
	v_add_f32_e32 v23, v23, v49
	v_add_f32_e32 v23, v48, v23
	v_sub_f32_e32 v48, v39, v55
	s_delay_alu instid0(VALU_DEP_1) | instskip(SKIP_1) | instid1(VALU_DEP_2)
	v_dual_add_f32 v23, v53, v23 :: v_dual_sub_f32 v47, v47, v48
	v_cvt_f32_i32_e32 v48, v7
	v_mul_f32_e32 v23, v37, v23
	s_delay_alu instid0(VALU_DEP_1) | instskip(NEXT) | instid1(VALU_DEP_1)
	v_add_f32_e32 v37, v47, v23
	v_add_f32_e32 v47, v39, v37
	s_delay_alu instid0(VALU_DEP_1) | instskip(SKIP_1) | instid1(VALU_DEP_2)
	v_mul_f32_e32 v23, v47, v47
	v_ldexp_f32 v53, v47, 1
	v_dual_fmaak_f32 v50, s23, v23, 0x3ecc95a3 :: v_dual_mul_f32 v49, v47, v23
	s_delay_alu instid0(VALU_DEP_1) | instskip(NEXT) | instid1(VALU_DEP_1)
	v_fmaak_f32 v23, v23, v50, 0x3f2aaada
	v_pk_mul_f32 v[50:51], v[48:49], v[22:23]
	s_delay_alu instid0(VALU_DEP_1) | instskip(SKIP_1) | instid1(VALU_DEP_2)
	v_fma_f32 v52, 0x3f317218, v48, -v50
	v_mov_b32_e32 v54, v50
	v_fmac_f32_e32 v52, 0xb102e308, v48
	s_delay_alu instid0(VALU_DEP_1) | instskip(NEXT) | instid1(VALU_DEP_1)
	v_pk_add_f32 v[48:49], v[50:51], v[52:53]
	v_dual_sub_f32 v23, v49, v53 :: v_dual_sub_f32 v7, v47, v39
	s_delay_alu instid0(VALU_DEP_2) | instskip(NEXT) | instid1(VALU_DEP_2)
	v_dual_mov_b32 v53, v48 :: v_dual_mov_b32 v62, v49
	v_sub_f32_e32 v23, v51, v23
	s_delay_alu instid0(VALU_DEP_3) | instskip(SKIP_1) | instid1(VALU_DEP_2)
	v_sub_f32_e32 v7, v37, v7
	v_pk_add_f32 v[50:51], v[48:49], v[50:51] neg_lo:[0,1] neg_hi:[0,1]
	v_ldexp_f32 v7, v7, 1
	s_delay_alu instid0(VALU_DEP_1) | instskip(NEXT) | instid1(VALU_DEP_1)
	v_add_f32_e32 v55, v7, v23
	v_pk_add_f32 v[56:57], v[48:49], v[54:55]
	s_delay_alu instid0(VALU_DEP_1) | instskip(NEXT) | instid1(VALU_DEP_1)
	v_mov_b32_e32 v51, v57
	v_pk_add_f32 v[58:59], v[52:53], v[50:51]
	v_mov_b32_e32 v58, v57
	v_pk_add_f32 v[50:51], v[52:53], v[50:51] neg_lo:[0,1] neg_hi:[0,1]
	s_delay_alu instid0(VALU_DEP_3) | instskip(NEXT) | instid1(VALU_DEP_1)
	v_dual_mov_b32 v54, v59 :: v_dual_mov_b32 v51, v59
	v_pk_add_f32 v[60:61], v[54:55], v[48:49] neg_lo:[0,1] neg_hi:[0,1]
	v_dual_mov_b32 v49, v48 :: v_dual_mov_b32 v48, v55
	s_delay_alu instid0(VALU_DEP_2) | instskip(NEXT) | instid1(VALU_DEP_1)
	v_dual_mov_b32 v63, v60 :: v_dual_mov_b32 v7, v60
	v_pk_add_f32 v[60:61], v[58:59], v[62:63] neg_lo:[0,1] neg_hi:[0,1]
	s_delay_alu instid0(VALU_DEP_2) | instskip(SKIP_1) | instid1(VALU_DEP_3)
	v_pk_add_f32 v[52:53], v[56:57], v[6:7] neg_lo:[0,1] neg_hi:[0,1]
	v_mov_b32_e32 v52, v50
	v_pk_add_f32 v[48:49], v[48:49], v[60:61] neg_lo:[0,1] neg_hi:[0,1]
	s_delay_alu instid0(VALU_DEP_1) | instskip(NEXT) | instid1(VALU_DEP_1)
	v_pk_add_f32 v[52:53], v[52:53], v[48:49]
	v_mov_b32_e32 v56, v53
	s_delay_alu instid0(VALU_DEP_1) | instskip(NEXT) | instid1(VALU_DEP_1)
	v_pk_add_f32 v[56:57], v[52:53], v[56:57]
	v_pk_add_f32 v[54:55], v[54:55], v[56:57]
	s_delay_alu instid0(VALU_DEP_1) | instskip(NEXT) | instid1(VALU_DEP_1)
	v_dual_mov_b32 v49, v56 :: v_dual_mov_b32 v53, v54
	v_pk_add_f32 v[58:59], v[52:53], v[50:51] neg_lo:[0,1] neg_hi:[0,1]
	s_delay_alu instid0(VALU_DEP_1) | instskip(NEXT) | instid1(VALU_DEP_2)
	v_sub_f32_e32 v7, v52, v58
	v_pk_add_f32 v[48:49], v[48:49], v[58:59] neg_lo:[0,1] neg_hi:[0,1]
	s_delay_alu instid0(VALU_DEP_2) | instskip(NEXT) | instid1(VALU_DEP_1)
	v_sub_f32_e32 v7, v50, v7
	v_add_f32_e32 v7, v48, v7
	s_delay_alu instid0(VALU_DEP_1) | instskip(NEXT) | instid1(VALU_DEP_1)
	v_add_f32_e32 v7, v7, v49
	v_add_f32_e32 v7, v54, v7
	s_delay_alu instid0(VALU_DEP_1) | instskip(SKIP_1) | instid1(VALU_DEP_2)
	v_cndmask_b32_e32 v7, 0x7f800000, v7, vcc_lo
	v_cmp_ngt_f32_e32 vcc_lo, -1.0, v46
	v_cndmask_b32_e32 v7, 0x7fc00000, v7, vcc_lo
	v_cmp_neq_f32_e32 vcc_lo, -1.0, v46
	s_delay_alu instid0(VALU_DEP_2) | instskip(SKIP_1) | instid1(VALU_DEP_2)
	v_cndmask_b32_e32 v7, 0xff800000, v7, vcc_lo
	v_cmp_gt_f32_e64 vcc_lo, 0x33800000, |v46|
	v_cndmask_b32_e32 v7, v7, v46, vcc_lo
.LBB62_229:                             ;   in Loop: Header=BB62_4 Depth=1
	s_and_not1_saveexec_b32 s33, s33
	s_cbranch_execz .LBB62_231
; %bb.230:                              ;   in Loop: Header=BB62_4 Depth=1
	v_sub_f32_e64 v7, 1.0, |v24|
	s_delay_alu instid0(VALU_DEP_1) | instskip(NEXT) | instid1(VALU_DEP_1)
	v_mul_f32_e32 v7, v7, v43
	v_mul_f32_e32 v23, 0x4f800000, v7
	v_cmp_gt_f32_e32 vcc_lo, 0xf800000, v7
	s_delay_alu instid0(VALU_DEP_2) | instskip(NEXT) | instid1(VALU_DEP_1)
	v_cndmask_b32_e32 v7, v7, v23, vcc_lo
	v_sqrt_f32_e32 v23, v7
	v_nop
	s_delay_alu instid0(TRANS32_DEP_1) | instskip(NEXT) | instid1(VALU_DEP_1)
	v_dual_add_nc_u32 v37, -1, v23 :: v_dual_add_nc_u32 v39, 1, v23
	v_dual_fma_f32 v46, -v37, v23, v7 :: v_dual_fma_f32 v47, -v39, v23, v7
	s_delay_alu instid0(VALU_DEP_1) | instskip(NEXT) | instid1(VALU_DEP_1)
	v_cmp_ge_f32_e64 s6, 0, v46
	v_cndmask_b32_e64 v23, v23, v37, s6
	s_delay_alu instid0(VALU_DEP_3) | instskip(NEXT) | instid1(VALU_DEP_1)
	v_cmp_lt_f32_e64 s6, 0, v47
	v_cndmask_b32_e64 v23, v23, v39, s6
	s_delay_alu instid0(VALU_DEP_1) | instskip(NEXT) | instid1(VALU_DEP_1)
	v_mul_f32_e32 v37, 0x37800000, v23
	v_cndmask_b32_e32 v23, v23, v37, vcc_lo
	v_cmp_class_f32_e64 vcc_lo, v7, 0x260
	v_and_b32_e32 v37, 0x7fffffff, v25
	s_delay_alu instid0(VALU_DEP_3) | instskip(NEXT) | instid1(VALU_DEP_1)
	v_cndmask_b32_e32 v7, v23, v7, vcc_lo
	v_div_scale_f32 v23, null, v7, v7, v37
	v_div_scale_f32 v37, vcc_lo, v37, v7, v37
	s_delay_alu instid0(VALU_DEP_2) | instskip(SKIP_1) | instid1(TRANS32_DEP_1)
	v_rcp_f32_e32 v39, v23
	v_nop
	v_fma_f32 v46, -v23, v39, 1.0
	s_delay_alu instid0(VALU_DEP_1) | instskip(NEXT) | instid1(VALU_DEP_1)
	v_fmac_f32_e32 v39, v46, v39
	v_mul_f32_e32 v46, v37, v39
	s_delay_alu instid0(VALU_DEP_1) | instskip(NEXT) | instid1(VALU_DEP_1)
	v_fma_f32 v47, -v23, v46, v37
	v_fmac_f32_e32 v46, v47, v39
	s_delay_alu instid0(VALU_DEP_1) | instskip(NEXT) | instid1(VALU_DEP_1)
	v_fma_f32 v23, -v23, v46, v37
	v_div_fmas_f32 v23, v23, v39, v46
	s_delay_alu instid0(VALU_DEP_1)
	v_div_fixup_f32 v7, v23, v7, |v25|
.LBB62_231:                             ;   in Loop: Header=BB62_4 Depth=1
	s_or_b32 exec_lo, exec_lo, s33
.LBB62_232:                             ;   in Loop: Header=BB62_4 Depth=1
	s_delay_alu instid0(SALU_CYCLE_1)
	s_or_b32 exec_lo, exec_lo, s31
.LBB62_233:                             ;   in Loop: Header=BB62_4 Depth=1
	s_and_not1_saveexec_b32 s30, s30
	s_cbranch_execz .LBB62_235
; %bb.234:                              ;   in Loop: Header=BB62_4 Depth=1
	v_mul_f32_e64 v7, 0x4f800000, |v25|
	v_cmp_gt_f32_e64 vcc_lo, 0xf800000, |v25|
	s_delay_alu instid0(VALU_DEP_1) | instskip(NEXT) | instid1(VALU_DEP_1)
	v_cndmask_b32_e64 v7, |v25|, v7, vcc_lo
	v_sqrt_f32_e32 v23, v7
	v_nop
	s_delay_alu instid0(TRANS32_DEP_1) | instskip(NEXT) | instid1(VALU_DEP_1)
	v_dual_add_nc_u32 v37, -1, v23 :: v_dual_add_nc_u32 v39, 1, v23
	v_dual_fma_f32 v46, -v37, v23, v7 :: v_dual_fma_f32 v47, -v39, v23, v7
	s_delay_alu instid0(VALU_DEP_1) | instskip(NEXT) | instid1(VALU_DEP_1)
	v_cmp_ge_f32_e64 s6, 0, v46
	v_cndmask_b32_e64 v23, v23, v37, s6
	s_delay_alu instid0(VALU_DEP_3) | instskip(NEXT) | instid1(VALU_DEP_1)
	v_cmp_lt_f32_e64 s6, 0, v47
	v_cndmask_b32_e64 v23, v23, v39, s6
	s_delay_alu instid0(VALU_DEP_1) | instskip(NEXT) | instid1(VALU_DEP_1)
	v_mul_f32_e32 v37, 0x37800000, v23
	v_cndmask_b32_e32 v23, v23, v37, vcc_lo
	v_cmp_class_f32_e64 vcc_lo, v7, 0x260
	s_delay_alu instid0(VALU_DEP_2)
	v_cndmask_b32_e32 v7, v23, v7, vcc_lo
.LBB62_235:                             ;   in Loop: Header=BB62_4 Depth=1
	s_or_b32 exec_lo, exec_lo, s30
.LBB62_236:                             ;   in Loop: Header=BB62_4 Depth=1
	s_delay_alu instid0(SALU_CYCLE_1)
	s_or_b32 exec_lo, exec_lo, s7
	v_and_b32_e32 v39, 0x7fffffff, v24
	s_mov_b32 s30, exec_lo
                                        ; implicit-def: $sgpr6
                                        ; implicit-def: $vgpr23
	v_cmpx_ngt_f32_e64 0x21000000, |v24|
	s_xor_b32 s30, exec_lo, s30
	s_cbranch_execz .LBB62_260
; %bb.237:                              ;   in Loop: Header=BB62_4 Depth=1
	v_div_scale_f32 v23, null, v36, v36, v39
	s_mov_b32 s6, 0
	s_mov_b32 s31, exec_lo
	v_rcp_f32_e32 v37, v23
	v_nop
	s_delay_alu instid0(TRANS32_DEP_1) | instskip(NEXT) | instid1(VALU_DEP_1)
	v_fma_f32 v46, -v23, v37, 1.0
	v_fmac_f32_e32 v37, v46, v37
	v_div_scale_f32 v46, vcc_lo, v39, v36, v39
	s_delay_alu instid0(VALU_DEP_1) | instskip(NEXT) | instid1(VALU_DEP_1)
	v_mul_f32_e32 v47, v46, v37
	v_fma_f32 v48, -v23, v47, v46
	s_delay_alu instid0(VALU_DEP_1) | instskip(NEXT) | instid1(VALU_DEP_1)
	v_fmac_f32_e32 v47, v48, v37
	v_fma_f32 v23, -v23, v47, v46
	s_delay_alu instid0(VALU_DEP_1) | instskip(NEXT) | instid1(VALU_DEP_1)
	v_div_fmas_f32 v23, v23, v37, v47
	v_div_fixup_f32 v23, v23, v36, |v24|
	s_delay_alu instid0(VALU_DEP_1)
	v_cmpx_lt_f32_e32 0x3f244674, v23
	s_cbranch_execz .LBB62_259
; %bb.238:                              ;   in Loop: Header=BB62_4 Depth=1
	v_cmp_neq_f32_e64 s6, |v24|, 1.0
	v_cmp_ngt_f32_e64 s7, 0x30800000, |v25|
	s_or_b32 s6, s7, s6
	s_delay_alu instid0(SALU_CYCLE_1) | instskip(NEXT) | instid1(SALU_CYCLE_1)
	s_and_saveexec_b32 s7, s6
	s_xor_b32 s7, exec_lo, s7
	s_cbranch_execz .LBB62_256
; %bb.239:                              ;   in Loop: Header=BB62_4 Depth=1
	v_mul_f32_e64 v37, 0x34000000, |v42|
	s_mov_b32 s33, exec_lo
	s_delay_alu instid0(VALU_DEP_1)
	v_cmpx_ge_f32_e64 |v25|, v37
	s_xor_b32 s33, exec_lo, s33
	s_cbranch_execz .LBB62_249
; %bb.240:                              ;   in Loop: Header=BB62_4 Depth=1
	v_mov_b32_e32 v37, v44
	s_mov_b32 s6, exec_lo
	v_cmpx_neq_f32_e32 0, v43
	s_cbranch_execz .LBB62_242
; %bb.241:                              ;   in Loop: Header=BB62_4 Depth=1
	v_mul_f32_e32 v37, v25, v25
	v_add_f32_e32 v43, v43, v45
	s_delay_alu instid0(VALU_DEP_1) | instskip(NEXT) | instid1(VALU_DEP_1)
	v_div_scale_f32 v45, null, v43, v43, v37
	v_rcp_f32_e32 v46, v45
	v_nop
	s_delay_alu instid0(TRANS32_DEP_1) | instskip(NEXT) | instid1(VALU_DEP_1)
	v_fma_f32 v47, -v45, v46, 1.0
	v_fmac_f32_e32 v46, v47, v46
	v_div_scale_f32 v47, vcc_lo, v37, v43, v37
	s_delay_alu instid0(VALU_DEP_1) | instskip(NEXT) | instid1(VALU_DEP_1)
	v_mul_f32_e32 v48, v47, v46
	v_fma_f32 v49, -v45, v48, v47
	s_delay_alu instid0(VALU_DEP_1) | instskip(NEXT) | instid1(VALU_DEP_1)
	v_fmac_f32_e32 v48, v49, v46
	v_fma_f32 v45, -v45, v48, v47
	s_delay_alu instid0(VALU_DEP_1) | instskip(NEXT) | instid1(VALU_DEP_1)
	v_div_fmas_f32 v45, v45, v46, v48
	v_div_fixup_f32 v37, v45, v43, v37
.LBB62_242:                             ;   in Loop: Header=BB62_4 Depth=1
	s_or_b32 exec_lo, exec_lo, s6
	s_delay_alu instid0(SALU_CYCLE_1)
	s_mov_b32 s6, exec_lo
	v_cmpx_ngt_f32_e32 0, v42
	s_xor_b32 s6, exec_lo, s6
	s_cbranch_execz .LBB62_246
; %bb.243:                              ;   in Loop: Header=BB62_4 Depth=1
	s_mov_b32 s34, exec_lo
	v_cmpx_neq_f32_e32 0, v42
	s_cbranch_execz .LBB62_245
; %bb.244:                              ;   in Loop: Header=BB62_4 Depth=1
	v_dual_mul_f32 v43, v25, v25 :: v_dual_add_f32 v38, v42, v38
	s_delay_alu instid0(VALU_DEP_1) | instskip(NEXT) | instid1(VALU_DEP_1)
	v_div_scale_f32 v42, null, v38, v38, v43
	v_rcp_f32_e32 v44, v42
	v_nop
	s_delay_alu instid0(TRANS32_DEP_1) | instskip(NEXT) | instid1(VALU_DEP_1)
	v_fma_f32 v45, -v42, v44, 1.0
	v_fmac_f32_e32 v44, v45, v44
	v_div_scale_f32 v45, vcc_lo, v43, v38, v43
	s_delay_alu instid0(VALU_DEP_1) | instskip(NEXT) | instid1(VALU_DEP_1)
	v_mul_f32_e32 v46, v45, v44
	v_fma_f32 v47, -v42, v46, v45
	s_delay_alu instid0(VALU_DEP_1) | instskip(NEXT) | instid1(VALU_DEP_1)
	v_fmac_f32_e32 v46, v47, v44
	v_fma_f32 v42, -v42, v46, v45
	s_delay_alu instid0(VALU_DEP_1) | instskip(NEXT) | instid1(VALU_DEP_1)
	v_div_fmas_f32 v42, v42, v44, v46
	v_div_fixup_f32 v44, v42, v38, v43
.LBB62_245:                             ;   in Loop: Header=BB62_4 Depth=1
	s_or_b32 exec_lo, exec_lo, s34
                                        ; implicit-def: $vgpr38
                                        ; implicit-def: $vgpr42
.LBB62_246:                             ;   in Loop: Header=BB62_4 Depth=1
	s_and_not1_saveexec_b32 s6, s6
; %bb.247:                              ;   in Loop: Header=BB62_4 Depth=1
	v_sub_f32_e32 v44, v38, v42
; %bb.248:                              ;   in Loop: Header=BB62_4 Depth=1
	s_or_b32 exec_lo, exec_lo, s6
	s_delay_alu instid0(VALU_DEP_1) | instskip(SKIP_1) | instid1(VALU_DEP_1)
	v_dual_mul_f32 v43, 0.5, v37 :: v_dual_mul_f32 v37, 0.5, v44
	v_and_b32_e32 v42, 0x7fffffff, v24
	v_pk_add_f32 v[36:37], v[42:43], v[36:37]
	s_delay_alu instid0(VALU_DEP_1) | instskip(NEXT) | instid1(VALU_DEP_1)
	v_mul_f32_e32 v36, v36, v37
	v_mul_f32_e32 v37, 0x4f800000, v36
	v_cmp_gt_f32_e32 vcc_lo, 0xf800000, v36
	s_delay_alu instid0(VALU_DEP_2) | instskip(NEXT) | instid1(VALU_DEP_1)
	v_cndmask_b32_e32 v36, v36, v37, vcc_lo
	v_sqrt_f32_e32 v37, v36
	v_nop
	s_delay_alu instid0(TRANS32_DEP_1) | instskip(NEXT) | instid1(VALU_DEP_1)
	v_dual_add_nc_u32 v38, -1, v37 :: v_dual_add_nc_u32 v42, 1, v37
	v_fma_f32 v43, -v38, v37, v36
	s_delay_alu instid0(VALU_DEP_2) | instskip(NEXT) | instid1(VALU_DEP_2)
	v_fma_f32 v44, -v42, v37, v36
	v_cmp_ge_f32_e64 s6, 0, v43
                                        ; implicit-def: $vgpr43
	s_delay_alu instid0(VALU_DEP_1) | instskip(NEXT) | instid1(VALU_DEP_3)
	v_cndmask_b32_e64 v37, v37, v38, s6
	v_cmp_lt_f32_e64 s6, 0, v44
	s_delay_alu instid0(VALU_DEP_1) | instskip(NEXT) | instid1(VALU_DEP_1)
	v_cndmask_b32_e64 v37, v37, v42, s6
                                        ; implicit-def: $vgpr42
	v_mul_f32_e32 v38, 0x37800000, v37
	s_delay_alu instid0(VALU_DEP_1) | instskip(SKIP_1) | instid1(VALU_DEP_2)
	v_cndmask_b32_e32 v37, v37, v38, vcc_lo
	v_cmp_class_f32_e64 vcc_lo, v36, 0x260
	v_cndmask_b32_e32 v38, v37, v36, vcc_lo
.LBB62_249:                             ;   in Loop: Header=BB62_4 Depth=1
	s_and_not1_saveexec_b32 s33, s33
	s_cbranch_execz .LBB62_255
; %bb.250:                              ;   in Loop: Header=BB62_4 Depth=1
	s_mov_b32 s34, exec_lo
	v_cmpx_ngt_f32_e64 |v24|, 1.0
	s_xor_b32 s34, exec_lo, s34
	s_cbranch_execz .LBB62_252
; %bb.251:                              ;   in Loop: Header=BB62_4 Depth=1
	v_sub_f32_e64 v36, 1.0, |v24|
	s_delay_alu instid0(VALU_DEP_1) | instskip(NEXT) | instid1(VALU_DEP_1)
	v_mul_f32_e32 v36, v36, v43
	v_mul_f32_e32 v37, 0x4f800000, v36
	v_cmp_gt_f32_e32 vcc_lo, 0xf800000, v36
	s_delay_alu instid0(VALU_DEP_2) | instskip(NEXT) | instid1(VALU_DEP_1)
	v_cndmask_b32_e32 v36, v36, v37, vcc_lo
	v_sqrt_f32_e32 v37, v36
	v_nop
	s_delay_alu instid0(TRANS32_DEP_1) | instskip(NEXT) | instid1(VALU_DEP_1)
	v_dual_add_nc_u32 v38, -1, v37 :: v_dual_add_nc_u32 v42, 1, v37
	v_fma_f32 v43, -v38, v37, v36
	s_delay_alu instid0(VALU_DEP_2) | instskip(NEXT) | instid1(VALU_DEP_2)
	v_fma_f32 v44, -v42, v37, v36
	v_cmp_ge_f32_e64 s6, 0, v43
                                        ; implicit-def: $vgpr43
	s_delay_alu instid0(VALU_DEP_1) | instskip(NEXT) | instid1(VALU_DEP_3)
	v_cndmask_b32_e64 v37, v37, v38, s6
	v_cmp_lt_f32_e64 s6, 0, v44
	s_delay_alu instid0(VALU_DEP_1) | instskip(NEXT) | instid1(VALU_DEP_1)
	v_cndmask_b32_e64 v37, v37, v42, s6
                                        ; implicit-def: $vgpr42
	v_mul_f32_e32 v38, 0x37800000, v37
	s_delay_alu instid0(VALU_DEP_1) | instskip(SKIP_1) | instid1(VALU_DEP_2)
	v_cndmask_b32_e32 v37, v37, v38, vcc_lo
	v_cmp_class_f32_e64 vcc_lo, v36, 0x260
	v_cndmask_b32_e32 v38, v37, v36, vcc_lo
.LBB62_252:                             ;   in Loop: Header=BB62_4 Depth=1
	s_and_not1_saveexec_b32 s34, s34
	s_cbranch_execz .LBB62_254
; %bb.253:                              ;   in Loop: Header=BB62_4 Depth=1
	v_mul_f32_e32 v36, v43, v42
	s_delay_alu instid0(VALU_DEP_1) | instskip(SKIP_1) | instid1(VALU_DEP_2)
	v_mul_f32_e32 v37, 0x4f800000, v36
	v_cmp_gt_f32_e32 vcc_lo, 0xf800000, v36
	v_cndmask_b32_e32 v36, v36, v37, vcc_lo
	s_delay_alu instid0(VALU_DEP_1) | instskip(SKIP_1) | instid1(TRANS32_DEP_1)
	v_sqrt_f32_e32 v37, v36
	v_nop
	v_dual_add_nc_u32 v38, -1, v37 :: v_dual_add_nc_u32 v39, 1, v37
	s_delay_alu instid0(VALU_DEP_1) | instskip(NEXT) | instid1(VALU_DEP_1)
	v_dual_fma_f32 v42, -v38, v37, v36 :: v_dual_fma_f32 v43, -v39, v37, v36
	v_cmp_ge_f32_e64 s6, 0, v42
	s_delay_alu instid0(VALU_DEP_1) | instskip(NEXT) | instid1(VALU_DEP_3)
	v_cndmask_b32_e64 v37, v37, v38, s6
	v_cmp_lt_f32_e64 s6, 0, v43
	s_delay_alu instid0(VALU_DEP_1) | instskip(SKIP_1) | instid1(VALU_DEP_2)
	v_cndmask_b32_e64 v37, v37, v39, s6
	v_mul_f32_e64 v39, 0x57800000, |v25|
	v_mul_f32_e32 v38, 0x37800000, v37
	s_delay_alu instid0(VALU_DEP_1) | instskip(SKIP_1) | instid1(VALU_DEP_4)
	v_cndmask_b32_e32 v37, v37, v38, vcc_lo
	v_cmp_class_f32_e64 vcc_lo, v36, 0x260
	v_mul_f32_e64 v38, |v24|, v39
	s_delay_alu instid0(VALU_DEP_3) | instskip(NEXT) | instid1(VALU_DEP_1)
	v_cndmask_b32_e32 v36, v37, v36, vcc_lo
	v_div_scale_f32 v37, null, v36, v36, v38
	v_div_scale_f32 v43, vcc_lo, v38, v36, v38
	s_delay_alu instid0(VALU_DEP_2) | instskip(SKIP_1) | instid1(TRANS32_DEP_1)
	v_rcp_f32_e32 v39, v37
	v_nop
	v_fma_f32 v42, -v37, v39, 1.0
	s_delay_alu instid0(VALU_DEP_1) | instskip(NEXT) | instid1(VALU_DEP_1)
	v_fmac_f32_e32 v39, v42, v39
	v_mul_f32_e32 v42, v43, v39
	s_delay_alu instid0(VALU_DEP_1) | instskip(NEXT) | instid1(VALU_DEP_1)
	v_fma_f32 v44, -v37, v42, v43
	v_fmac_f32_e32 v42, v44, v39
	s_delay_alu instid0(VALU_DEP_1) | instskip(NEXT) | instid1(VALU_DEP_1)
	v_fma_f32 v37, -v37, v42, v43
	v_div_fmas_f32 v37, v37, v39, v42
	v_mul_f32_e64 v39, 0x57800000, |v24|
	s_delay_alu instid0(VALU_DEP_2)
	v_div_fixup_f32 v38, v37, v36, v38
.LBB62_254:                             ;   in Loop: Header=BB62_4 Depth=1
	s_or_b32 exec_lo, exec_lo, s34
.LBB62_255:                             ;   in Loop: Header=BB62_4 Depth=1
	s_delay_alu instid0(SALU_CYCLE_1)
	s_or_b32 exec_lo, exec_lo, s33
                                        ; implicit-def: $vgpr36
.LBB62_256:                             ;   in Loop: Header=BB62_4 Depth=1
	s_and_not1_saveexec_b32 s33, s7
	s_cbranch_execz .LBB62_258
; %bb.257:                              ;   in Loop: Header=BB62_4 Depth=1
	v_add_f32_e32 v36, 1.0, v36
	v_mul_f32_e64 v37, 0x4f800000, |v25|
	v_cmp_gt_f32_e64 vcc_lo, 0xf800000, |v25|
	s_delay_alu instid0(VALU_DEP_3) | instskip(NEXT) | instid1(VALU_DEP_2)
	v_mul_f32_e32 v36, 0.5, v36
	v_cndmask_b32_e64 v37, |v25|, v37, vcc_lo
	s_delay_alu instid0(VALU_DEP_2) | instskip(SKIP_1) | instid1(VALU_DEP_1)
	v_mul_f32_e32 v38, 0x4f800000, v36
	v_cmp_gt_f32_e64 s6, 0xf800000, v36
	v_cndmask_b32_e64 v36, v36, v38, s6
	s_delay_alu instid0(VALU_DEP_4) | instskip(SKIP_1) | instid1(TRANS32_DEP_1)
	v_sqrt_f32_e32 v38, v37
	v_nop
	v_add_nc_u32_e32 v44, 1, v38
	s_delay_alu instid0(VALU_DEP_3) | instskip(NEXT) | instid1(VALU_DEP_1)
	v_sqrt_f32_e32 v39, v36
	v_dual_add_nc_u32 v42, -1, v38 :: v_dual_fma_f32 v48, -v44, v38, v37
	s_delay_alu instid0(TRANS32_DEP_1) | instid1(VALU_DEP_1)
	v_dual_fma_f32 v45, -v42, v38, v37 :: v_dual_add_nc_u32 v46, 1, v39
	v_add_nc_u32_e32 v43, -1, v39
	s_delay_alu instid0(VALU_DEP_2) | instskip(NEXT) | instid1(VALU_DEP_1)
	v_cmp_ge_f32_e64 s7, 0, v45
	v_dual_fma_f32 v47, -v43, v39, v36 :: v_dual_cndmask_b32 v38, v38, v42, s7
	s_delay_alu instid0(VALU_DEP_4) | instskip(NEXT) | instid1(VALU_DEP_2)
	v_fma_f32 v42, -v46, v39, v36
	v_cmp_ge_f32_e64 s7, 0, v47
	s_delay_alu instid0(VALU_DEP_1) | instskip(SKIP_1) | instid1(VALU_DEP_1)
	v_cndmask_b32_e64 v39, v39, v43, s7
	v_cmp_lt_f32_e64 s7, 0, v48
	v_cndmask_b32_e64 v38, v38, v44, s7
	v_cmp_lt_f32_e64 s7, 0, v42
	s_delay_alu instid0(VALU_DEP_1) | instskip(NEXT) | instid1(VALU_DEP_1)
	v_cndmask_b32_e64 v39, v39, v46, s7
	v_mul_f32_e32 v43, 0x37800000, v39
	s_delay_alu instid0(VALU_DEP_1) | instskip(SKIP_1) | instid1(VALU_DEP_1)
	v_cndmask_b32_e64 v39, v39, v43, s6
	v_mul_f32_e32 v42, 0x37800000, v38
	v_cndmask_b32_e32 v38, v38, v42, vcc_lo
	v_cmp_class_f32_e64 vcc_lo, v37, 0x260
	s_delay_alu instid0(VALU_DEP_2) | instskip(SKIP_2) | instid1(VALU_DEP_1)
	v_cndmask_b32_e32 v37, v38, v37, vcc_lo
	v_cmp_class_f32_e64 vcc_lo, v36, 0x260
	v_dual_cndmask_b32 v36, v39, v36 :: v_dual_mov_b32 v39, 1.0
	v_mul_f32_e32 v38, v37, v36
.LBB62_258:                             ;   in Loop: Header=BB62_4 Depth=1
	s_or_b32 exec_lo, exec_lo, s33
	s_delay_alu instid0(SALU_CYCLE_1)
	s_mov_b32 s6, exec_lo
.LBB62_259:                             ;   in Loop: Header=BB62_4 Depth=1
	s_or_b32 exec_lo, exec_lo, s31
                                        ; implicit-def: $vgpr36
.LBB62_260:                             ;   in Loop: Header=BB62_4 Depth=1
	s_and_not1_saveexec_b32 s7, s30
; %bb.261:                              ;   in Loop: Header=BB62_4 Depth=1
	v_mov_b32_e32 v37, v39
	s_or_b32 s6, s6, exec_lo
                                        ; implicit-def: $vgpr23
	s_delay_alu instid0(VALU_DEP_1)
	v_pk_mul_f32 v[38:39], v[36:37], s[22:23] op_sel_hi:[1,0]
; %bb.262:                              ;   in Loop: Header=BB62_4 Depth=1
	s_or_b32 exec_lo, exec_lo, s7
	s_xor_b32 s6, s6, -1
                                        ; implicit-def: $vgpr36
	s_delay_alu instid0(SALU_CYCLE_1) | instskip(NEXT) | instid1(SALU_CYCLE_1)
	s_and_saveexec_b32 s7, s6
	s_xor_b32 s6, exec_lo, s7
	s_cbranch_execz .LBB62_264
; %bb.263:                              ;   in Loop: Header=BB62_4 Depth=1
	v_fma_f32 v36, |v23|, -0.5, 0.5
	v_mul_f32_e32 v37, v23, v23
	v_cmp_ge_f32_e64 vcc_lo, |v23|, 0.5
	s_delay_alu instid0(VALU_DEP_2) | instskip(SKIP_1) | instid1(VALU_DEP_2)
	v_cndmask_b32_e32 v36, v37, v36, vcc_lo
	v_cmp_lt_f32_e64 vcc_lo, |v23|, 0.5
	v_fmaak_f32 v37, s24, v36, 0x3c5fc5da
	v_sqrt_f32_e32 v38, v36
	s_delay_alu instid0(VALU_DEP_1) | instskip(NEXT) | instid1(VALU_DEP_1)
	v_fmaak_f32 v37, v36, v37, 0x3d034c3c
	v_fmaak_f32 v37, v36, v37, 0x3d3641b1
	s_delay_alu instid0(VALU_DEP_1) | instskip(NEXT) | instid1(VALU_DEP_1)
	v_fmaak_f32 v37, v36, v37, 0x3d999bc8
	v_fmaak_f32 v37, v36, v37, 0x3e2aaaac
	s_delay_alu instid0(VALU_DEP_1)
	v_mul_f32_e32 v36, v36, v37
	s_delay_alu instid0(TRANS32_DEP_1) | instid1(VALU_DEP_1)
	v_fmac_f32_e32 v38, v38, v36
	s_delay_alu instid0(VALU_DEP_1) | instskip(NEXT) | instid1(VALU_DEP_1)
	v_add_f32_e32 v37, v38, v38
                                        ; implicit-def: $vgpr39
	v_sub_f32_e32 v37, 0x3fc90fdb, v37
	v_fma_f32 v36, |v23|, v36, |v23|
	s_delay_alu instid0(VALU_DEP_1) | instskip(NEXT) | instid1(VALU_DEP_1)
	v_cndmask_b32_e32 v36, v37, v36, vcc_lo
	v_bfi_b32 v36, 0x7fffffff, v36, v23
.LBB62_264:                             ;   in Loop: Header=BB62_4 Depth=1
	s_and_not1_saveexec_b32 s7, s6
	s_cbranch_execz .LBB62_266
; %bb.265:                              ;   in Loop: Header=BB62_4 Depth=1
	v_max_num_f32_e32 v23, v39, v39
	v_max_num_f32_e64 v36, |v38|, |v38|
	v_cmp_gt_f32_e64 vcc_lo, v39, |v38|
	v_cmp_gt_i32_e64 s6, 0, v38
	v_cmp_class_f32_e64 s30, v38, 0x204
	s_delay_alu instid0(VALU_DEP_4) | instskip(NEXT) | instid1(VALU_DEP_1)
	v_dual_max_num_f32 v37, v36, v23 :: v_dual_min_num_f32 v23, v36, v23
	v_frexp_mant_f32_e32 v42, v37
	v_frexp_exp_i32_f32_e32 v36, v37
	s_delay_alu instid0(VALU_DEP_2)
	v_rcp_f32_e32 v37, v42
	v_nop
	v_frexp_exp_i32_f32_e32 v42, v23
	v_frexp_mant_f32_e32 v23, v23
	s_delay_alu instid0(TRANS32_DEP_1) | instid1(VALU_DEP_1)
	v_dual_mul_f32 v23, v23, v37 :: v_dual_sub_nc_u32 v36, v42, v36
	s_delay_alu instid0(VALU_DEP_1) | instskip(NEXT) | instid1(VALU_DEP_1)
	v_ldexp_f32 v23, v23, v36
	v_mul_f32_e32 v36, v23, v23
	s_delay_alu instid0(VALU_DEP_1) | instskip(NEXT) | instid1(VALU_DEP_1)
	v_fmaak_f32 v37, s25, v36, 0xbc7a590c
	v_fmaak_f32 v37, v36, v37, 0x3d29fb3f
	s_delay_alu instid0(VALU_DEP_1) | instskip(NEXT) | instid1(VALU_DEP_1)
	v_fmaak_f32 v37, v36, v37, 0xbd97d4d7
	v_fmaak_f32 v37, v36, v37, 0x3dd931b2
	;; [unrolled: 3-line block ×3, first 2 shown]
	s_delay_alu instid0(VALU_DEP_1) | instskip(NEXT) | instid1(VALU_DEP_1)
	v_fmaak_f32 v37, v36, v37, 0xbeaaaa62
	v_mul_f32_e32 v36, v36, v37
	s_delay_alu instid0(VALU_DEP_1) | instskip(NEXT) | instid1(VALU_DEP_1)
	v_fmac_f32_e32 v23, v23, v36
	v_sub_f32_e32 v36, 0x3fc90fdb, v23
	s_delay_alu instid0(VALU_DEP_1) | instskip(SKIP_1) | instid1(VALU_DEP_2)
	v_cndmask_b32_e32 v23, v23, v36, vcc_lo
	v_cmp_gt_f32_e32 vcc_lo, 0, v38
	v_sub_f32_e32 v36, 0x40490fdb, v23
	v_cndmask_b32_e32 v37, 0x3f490fdb, v41, vcc_lo
	s_delay_alu instid0(VALU_DEP_2) | instskip(SKIP_3) | instid1(VALU_DEP_2)
	v_cndmask_b32_e32 v23, v23, v36, vcc_lo
	v_cndmask_b32_e64 v36, 0, 0x40490fdb, s6
	v_cmp_eq_f32_e64 s6, 0, v39
	v_cmp_eq_f32_e32 vcc_lo, 0x7f800000, v39
	v_cndmask_b32_e64 v23, |v23|, v36, s6
	s_and_b32 vcc_lo, vcc_lo, s30
	s_delay_alu instid0(VALU_DEP_1) | instskip(SKIP_1) | instid1(VALU_DEP_2)
	v_cndmask_b32_e32 v23, v23, v37, vcc_lo
	v_cmp_o_f32_e32 vcc_lo, v38, v38
	v_cndmask_b32_e32 v36, 0x7fc00000, v23, vcc_lo
.LBB62_266:                             ;   in Loop: Header=BB62_4 Depth=1
	s_or_b32 exec_lo, exec_lo, s7
	s_delay_alu instid0(VALU_DEP_1)
	v_bfi_b32 v24, 0x7fffffff, v36, v24
	v_bfi_b32 v25, 0x7fffffff, v7, v25
.LBB62_267:                             ;   in Loop: Header=BB62_4 Depth=1
	s_or_b32 exec_lo, exec_lo, s29
.LBB62_268:                             ;   in Loop: Header=BB62_4 Depth=1
	s_delay_alu instid0(SALU_CYCLE_1)
	s_or_b32 exec_lo, exec_lo, s28
                                        ; implicit-def: $vgpr7
                                        ; implicit-def: $vgpr23
                                        ; implicit-def: $vgpr36
.LBB62_269:                             ;   in Loop: Header=BB62_4 Depth=1
	s_and_not1_saveexec_b32 s27, s27
	s_cbranch_execz .LBB62_291
; %bb.270:                              ;   in Loop: Header=BB62_4 Depth=1
                                        ; implicit-def: $sgpr28
                                        ; implicit-def: $vgpr37
                                        ; implicit-def: $vgpr38
	s_mov_b32 s6, exec_lo
	v_cmpx_lt_i32_e32 -1, v25
	s_xor_b32 s29, exec_lo, s6
	s_cbranch_execz .LBB62_280
; %bb.271:                              ;   in Loop: Header=BB62_4 Depth=1
	v_cmp_lt_f32_e64 s6, |v25|, |v24|
                                        ; implicit-def: $vgpr37
                                        ; implicit-def: $vgpr38
	s_mov_b32 s7, exec_lo
	v_cndmask_b32_e64 v39, |v25|, |v24|, s6
	s_delay_alu instid0(VALU_DEP_1)
	v_cmpx_nlt_f32_e32 0x7effffff, v39
	s_xor_b32 s28, exec_lo, s7
	s_cbranch_execz .LBB62_277
; %bb.272:                              ;   in Loop: Header=BB62_4 Depth=1
	v_cndmask_b32_e64 v42, |v24|, |v25|, s6
	v_cmp_nlt_f32_e32 vcc_lo, 0x5e000000, v39
                                        ; implicit-def: $vgpr37
                                        ; implicit-def: $vgpr38
	s_delay_alu instid0(VALU_DEP_2) | instskip(SKIP_1) | instid1(SALU_CYCLE_1)
	v_cmp_ngt_f32_e64 s7, 0x20000000, v42
	s_and_b32 s7, vcc_lo, s7
	s_and_saveexec_b32 s30, s7
	s_delay_alu instid0(SALU_CYCLE_1)
	s_xor_b32 s30, exec_lo, s30
	s_cbranch_execz .LBB62_274
; %bb.273:                              ;   in Loop: Header=BB62_4 Depth=1
	v_frexp_mant_f32_e32 v37, v36
	s_wait_dscnt 0x0
	v_dual_min_num_f32 v7, v23, v7 :: v_dual_mul_f32 v42, v42, v42
	v_frexp_exp_i32_f32_e32 v23, v36
	s_delay_alu instid0(VALU_DEP_3) | instskip(SKIP_1) | instid1(VALU_DEP_3)
	v_rcp_f32_e32 v36, v37
	v_nop
	v_frexp_exp_i32_f32_e32 v37, v7
	v_frexp_mant_f32_e32 v7, v7
	s_delay_alu instid0(TRANS32_DEP_1) | instid1(VALU_DEP_1)
	v_dual_sub_nc_u32 v23, v37, v23 :: v_dual_mul_f32 v7, v7, v36
	s_delay_alu instid0(VALU_DEP_1) | instskip(NEXT) | instid1(VALU_DEP_1)
	v_ldexp_f32 v38, v7, v23
	v_dual_fmac_f32 v42, v39, v39 :: v_dual_mul_f32 v23, v38, v38
	s_delay_alu instid0(VALU_DEP_1) | instskip(SKIP_1) | instid1(VALU_DEP_1)
	v_cmp_gt_f32_e32 vcc_lo, 0x800000, v42
	v_cndmask_b32_e64 v7, 0, 32, vcc_lo
	v_ldexp_f32 v7, v42, v7
	s_delay_alu instid0(VALU_DEP_1) | instskip(SKIP_1) | instid1(TRANS32_DEP_1)
	v_log_f32_e32 v7, v7
	v_nop
	v_mul_f32_e32 v37, 0x3f317217, v7
	v_cmp_gt_f32_e64 s7, 0x7f800000, |v7|
	s_delay_alu instid0(VALU_DEP_2) | instskip(NEXT) | instid1(VALU_DEP_1)
	v_fma_f32 v37, 0x3f317217, v7, -v37
	v_fmac_f32_e32 v37, 0x3377d1cf, v7
	s_delay_alu instid0(VALU_DEP_1) | instskip(NEXT) | instid1(VALU_DEP_1)
	v_fmac_f32_e32 v37, 0x3f317217, v7
	v_cndmask_b32_e64 v7, v7, v37, s7
	v_cndmask_b32_e64 v37, 0, 0x41b17218, vcc_lo
	s_delay_alu instid0(VALU_DEP_1) | instskip(NEXT) | instid1(VALU_DEP_1)
	v_dual_fmaak_f32 v36, s25, v23, 0xbc7a590c :: v_dual_sub_f32 v7, v7, v37
	v_dual_fmaak_f32 v36, v23, v36, 0x3d29fb3f :: v_dual_mul_f32 v37, 0.5, v7
	s_delay_alu instid0(VALU_DEP_1) | instskip(NEXT) | instid1(VALU_DEP_1)
	v_fmaak_f32 v36, v23, v36, 0xbd97d4d7
                                        ; implicit-def: $vgpr7
	v_fmaak_f32 v36, v23, v36, 0x3dd931b2
	s_delay_alu instid0(VALU_DEP_1) | instskip(NEXT) | instid1(VALU_DEP_1)
	v_fmaak_f32 v36, v23, v36, 0xbe1160e6
	v_fmaak_f32 v36, v23, v36, 0x3e4cb8bf
	s_delay_alu instid0(VALU_DEP_1) | instskip(NEXT) | instid1(VALU_DEP_1)
	v_fmaak_f32 v36, v23, v36, 0xbeaaaa62
	v_mul_f32_e32 v23, v23, v36
                                        ; implicit-def: $vgpr36
	s_delay_alu instid0(VALU_DEP_1)
	v_fmac_f32_e32 v38, v38, v23
                                        ; implicit-def: $vgpr23
.LBB62_274:                             ;   in Loop: Header=BB62_4 Depth=1
	s_and_not1_saveexec_b32 s7, s30
	s_cbranch_execz .LBB62_276
; %bb.275:                              ;   in Loop: Header=BB62_4 Depth=1
	v_cvt_f64_f32_e32 v[38:39], v36
	v_frexp_mant_f32_e32 v42, v36
	v_cmp_neq_f32_e32 vcc_lo, 0x7f800000, v36
	s_delay_alu instid0(VALU_DEP_3) | instskip(NEXT) | instid1(VALU_DEP_1)
	v_frexp_exp_i32_f64_e32 v37, v[38:39]
	v_sub_nc_u32_e32 v38, 0, v37
	s_delay_alu instid0(VALU_DEP_1) | instskip(NEXT) | instid1(VALU_DEP_1)
	v_ldexp_f32 v39, |v24|, v38
	v_mul_f32_e32 v39, v39, v39
	v_ldexp_f32 v38, |v25|, v38
	s_wait_dscnt 0x0
	v_min_num_f32_e32 v7, v23, v7
	v_frexp_exp_i32_f32_e32 v23, v36
	s_delay_alu instid0(VALU_DEP_3)
	v_fmac_f32_e32 v39, v38, v38
	v_rcp_f32_e32 v38, v42
	v_nop
	v_frexp_exp_i32_f32_e32 v42, v7
	v_frexp_mant_f32_e32 v7, v7
	v_sqrt_f32_e32 v39, v39
	s_delay_alu instid0(TRANS32_DEP_2) | instid1(VALU_DEP_1)
	v_dual_sub_nc_u32 v23, v42, v23 :: v_dual_mul_f32 v7, v7, v38
	s_delay_alu instid0(TRANS32_DEP_1) | instskip(NEXT) | instid1(VALU_DEP_2)
	v_ldexp_f32 v37, v39, v37
	v_ldexp_f32 v38, v7, v23
	s_delay_alu instid0(VALU_DEP_2) | instskip(NEXT) | instid1(VALU_DEP_1)
	v_cndmask_b32_e32 v7, 0x7f800000, v37, vcc_lo
	v_cmp_gt_f32_e32 vcc_lo, 0x800000, v7
	v_cndmask_b32_e64 v36, 0, 32, vcc_lo
	v_cndmask_b32_e64 v39, 0, 0x41b17218, vcc_lo
	s_delay_alu instid0(VALU_DEP_2) | instskip(NEXT) | instid1(VALU_DEP_1)
	v_ldexp_f32 v7, v7, v36
	v_log_f32_e32 v7, v7
	v_nop
	s_delay_alu instid0(TRANS32_DEP_1) | instskip(SKIP_1) | instid1(VALU_DEP_1)
	v_cmp_gt_f32_e64 vcc_lo, 0x7f800000, |v7|
	v_mul_f32_e32 v23, v38, v38
	v_fmaak_f32 v37, s25, v23, 0xbc7a590c
	s_delay_alu instid0(VALU_DEP_1) | instskip(SKIP_1) | instid1(VALU_DEP_1)
	v_fmaak_f32 v36, v23, v37, 0x3d29fb3f
	v_mul_f32_e32 v37, 0x3f317217, v7
	v_fma_f32 v37, 0x3f317217, v7, -v37
	s_delay_alu instid0(VALU_DEP_1) | instskip(NEXT) | instid1(VALU_DEP_1)
	v_fmac_f32_e32 v37, 0x3377d1cf, v7
	v_fmac_f32_e32 v37, 0x3f317217, v7
	s_delay_alu instid0(VALU_DEP_1) | instskip(SKIP_1) | instid1(VALU_DEP_2)
	v_cndmask_b32_e32 v7, v7, v37, vcc_lo
	v_fmaak_f32 v36, v23, v36, 0xbd97d4d7
	v_sub_f32_e32 v37, v7, v39
	s_delay_alu instid0(VALU_DEP_2) | instskip(NEXT) | instid1(VALU_DEP_1)
	v_fmaak_f32 v36, v23, v36, 0x3dd931b2
	v_fmaak_f32 v36, v23, v36, 0xbe1160e6
	s_delay_alu instid0(VALU_DEP_1) | instskip(NEXT) | instid1(VALU_DEP_1)
	v_fmaak_f32 v36, v23, v36, 0x3e4cb8bf
	v_fmaak_f32 v36, v23, v36, 0xbeaaaa62
	s_delay_alu instid0(VALU_DEP_1) | instskip(NEXT) | instid1(VALU_DEP_1)
	v_mul_f32_e32 v23, v23, v36
	v_fmac_f32_e32 v38, v38, v23
.LBB62_276:                             ;   in Loop: Header=BB62_4 Depth=1
	s_or_b32 exec_lo, exec_lo, s7
                                        ; implicit-def: $vgpr23
                                        ; implicit-def: $vgpr7
                                        ; implicit-def: $vgpr36
.LBB62_277:                             ;   in Loop: Header=BB62_4 Depth=1
	s_and_not1_saveexec_b32 s28, s28
	s_cbranch_execz .LBB62_279
; %bb.278:                              ;   in Loop: Header=BB62_4 Depth=1
	v_div_scale_f32 v37, null, 0x402df854, 0x402df854, v25
	v_div_scale_f32 v38, null, 0x402df854, 0x402df854, v24
	v_div_scale_f32 v45, vcc_lo, v25, 0x402df854, v25
	s_delay_alu instid0(VALU_DEP_3) | instskip(NEXT) | instid1(VALU_DEP_2)
	v_rcp_f32_e32 v39, v37
	v_rcp_f32_e32 v42, v38
	s_wait_dscnt 0x0
	v_min_num_f32_e32 v7, v23, v7
	s_delay_alu instid0(TRANS32_DEP_2) | instskip(NEXT) | instid1(TRANS32_DEP_1)
	v_fma_f32 v43, -v37, v39, 1.0
	v_fma_f32 v44, -v38, v42, 1.0
	s_delay_alu instid0(VALU_DEP_1) | instskip(SKIP_1) | instid1(VALU_DEP_1)
	v_dual_fmac_f32 v39, v43, v39 :: v_dual_fmac_f32 v42, v44, v42
	v_div_scale_f32 v43, s7, v24, 0x402df854, v24
	v_dual_mul_f32 v44, v45, v39 :: v_dual_mul_f32 v46, v43, v42
	s_delay_alu instid0(VALU_DEP_1) | instskip(NEXT) | instid1(VALU_DEP_1)
	v_dual_fma_f32 v47, -v37, v44, v45 :: v_dual_fma_f32 v48, -v38, v46, v43
	v_dual_fmac_f32 v44, v47, v39 :: v_dual_fmac_f32 v46, v48, v42
	s_delay_alu instid0(VALU_DEP_1) | instskip(NEXT) | instid1(VALU_DEP_1)
	v_dual_fma_f32 v37, -v37, v44, v45 :: v_dual_fma_f32 v38, -v38, v46, v43
	v_div_fmas_f32 v37, v37, v39, v44
	s_mov_b32 vcc_lo, s7
	s_delay_alu instid0(VALU_DEP_2) | instskip(NEXT) | instid1(VALU_DEP_2)
	v_div_fmas_f32 v38, v38, v42, v46
	v_div_fixup_f32 v37, v37, 0x402df854, v25
	s_delay_alu instid0(VALU_DEP_2) | instskip(NEXT) | instid1(VALU_DEP_1)
	v_div_fixup_f32 v42, v38, 0x402df854, v24
	v_max_num_f32_e64 v43, v37, |v42|
	s_delay_alu instid0(VALU_DEP_1) | instskip(SKIP_1) | instid1(VALU_DEP_2)
	v_cvt_f64_f32_e32 v[38:39], v43
	v_cmp_neq_f32_e32 vcc_lo, 0x7f800000, v43
	v_frexp_exp_i32_f64_e32 v38, v[38:39]
	s_delay_alu instid0(VALU_DEP_1) | instskip(NEXT) | instid1(VALU_DEP_1)
	v_sub_nc_u32_e32 v39, 0, v38
	v_ldexp_f32 v42, |v42|, v39
	v_ldexp_f32 v37, v37, v39
	s_delay_alu instid0(VALU_DEP_2) | instskip(NEXT) | instid1(VALU_DEP_1)
	v_mul_f32_e32 v39, v42, v42
	v_fmac_f32_e32 v39, v37, v37
	v_frexp_mant_f32_e32 v37, v36
	v_frexp_exp_i32_f32_e32 v36, v36
	s_delay_alu instid0(VALU_DEP_3) | instskip(NEXT) | instid1(VALU_DEP_2)
	v_sqrt_f32_e32 v23, v39
	v_rcp_f32_e32 v37, v37
	v_frexp_exp_i32_f32_e32 v39, v7
	v_frexp_mant_f32_e32 v7, v7
	s_delay_alu instid0(TRANS32_DEP_2) | instskip(NEXT) | instid1(VALU_DEP_3)
	v_ldexp_f32 v23, v23, v38
	v_sub_nc_u32_e32 v36, v39, v36
	s_delay_alu instid0(TRANS32_DEP_1) | instid1(VALU_DEP_3)
	v_mul_f32_e32 v7, v7, v37
	s_delay_alu instid0(VALU_DEP_3) | instskip(NEXT) | instid1(VALU_DEP_2)
	v_cndmask_b32_e32 v23, 0x7f800000, v23, vcc_lo
	v_ldexp_f32 v38, v7, v36
	s_delay_alu instid0(VALU_DEP_2) | instskip(NEXT) | instid1(VALU_DEP_2)
	v_cmp_gt_f32_e32 vcc_lo, 0x800000, v23
	v_mul_f32_e32 v36, v38, v38
	v_cndmask_b32_e64 v7, 0, 32, vcc_lo
	v_cndmask_b32_e64 v39, 0, 0x41b17218, vcc_lo
	s_delay_alu instid0(VALU_DEP_2) | instskip(NEXT) | instid1(VALU_DEP_4)
	v_ldexp_f32 v7, v23, v7
	v_fmaak_f32 v23, s25, v36, 0xbc7a590c
	s_delay_alu instid0(VALU_DEP_2) | instskip(NEXT) | instid1(VALU_DEP_1)
	v_log_f32_e32 v7, v7
	v_fmaak_f32 v23, v36, v23, 0x3d29fb3f
	s_delay_alu instid0(VALU_DEP_1) | instskip(NEXT) | instid1(TRANS32_DEP_1)
	v_fmaak_f32 v23, v36, v23, 0xbd97d4d7
	v_mul_f32_e32 v37, 0x3f317217, v7
	v_cmp_gt_f32_e64 vcc_lo, 0x7f800000, |v7|
	s_delay_alu instid0(VALU_DEP_3) | instskip(NEXT) | instid1(VALU_DEP_3)
	v_fmaak_f32 v23, v36, v23, 0x3dd931b2
	v_fma_f32 v37, 0x3f317217, v7, -v37
	s_delay_alu instid0(VALU_DEP_2) | instskip(NEXT) | instid1(VALU_DEP_2)
	v_fmaak_f32 v23, v36, v23, 0xbe1160e6
	v_fmac_f32_e32 v37, 0x3377d1cf, v7
	s_delay_alu instid0(VALU_DEP_2) | instskip(NEXT) | instid1(VALU_DEP_2)
	v_fmaak_f32 v23, v36, v23, 0x3e4cb8bf
	v_fmac_f32_e32 v37, 0x3f317217, v7
	s_delay_alu instid0(VALU_DEP_2) | instskip(NEXT) | instid1(VALU_DEP_1)
	v_fmaak_f32 v23, v36, v23, 0xbeaaaa62
	v_dual_cndmask_b32 v7, v7, v37, vcc_lo :: v_dual_mul_f32 v23, v36, v23
	s_delay_alu instid0(VALU_DEP_1) | instskip(NEXT) | instid1(VALU_DEP_2)
	v_sub_f32_e32 v7, v7, v39
	v_fmac_f32_e32 v38, v38, v23
	s_delay_alu instid0(VALU_DEP_2)
	v_add_f32_e32 v37, 1.0, v7
.LBB62_279:                             ;   in Loop: Header=BB62_4 Depth=1
	s_or_b32 exec_lo, exec_lo, s28
	s_wait_dscnt 0x0
	s_delay_alu instid0(VALU_DEP_1) | instskip(SKIP_2) | instid1(VALU_DEP_3)
	v_sub_f32_e32 v7, 0x3fc90fdb, v38
	v_cmp_neq_f32_e32 vcc_lo, 0, v24
	v_cmp_class_f32_e64 s28, v25, 0x204
	v_cndmask_b32_e64 v7, v38, v7, s6
	s_delay_alu instid0(VALU_DEP_1)
	v_cndmask_b32_e32 v38, 0, v7, vcc_lo
                                        ; implicit-def: $vgpr7
.LBB62_280:                             ;   in Loop: Header=BB62_4 Depth=1
	s_and_not1_saveexec_b32 s29, s29
	s_cbranch_execz .LBB62_290
; %bb.281:                              ;   in Loop: Header=BB62_4 Depth=1
	v_cmp_gt_f32_e64 s6, |v24|, -v25
                                        ; implicit-def: $vgpr37
                                        ; implicit-def: $vgpr23
	s_mov_b32 s7, exec_lo
	v_cndmask_b32_e64 v36, -v25, |v24|, s6
	s_delay_alu instid0(VALU_DEP_1)
	v_cmpx_nlt_f32_e32 0x7effffff, v36
	s_xor_b32 s30, exec_lo, s7
	s_cbranch_execz .LBB62_287
; %bb.282:                              ;   in Loop: Header=BB62_4 Depth=1
	v_xor_b32_e32 v23, 0x80000000, v25
	v_cmp_nlt_f32_e32 vcc_lo, 0x5e000000, v36
                                        ; implicit-def: $vgpr37
	s_delay_alu instid0(VALU_DEP_2) | instskip(NEXT) | instid1(VALU_DEP_1)
	v_cndmask_b32_e64 v38, |v24|, v23, s6
                                        ; implicit-def: $vgpr23
	v_cmp_ngt_f32_e64 s7, 0x20000000, v38
	s_and_b32 s7, vcc_lo, s7
	s_delay_alu instid0(SALU_CYCLE_1) | instskip(NEXT) | instid1(SALU_CYCLE_1)
	s_and_saveexec_b32 s31, s7
	s_xor_b32 s31, exec_lo, s31
	s_cbranch_execz .LBB62_284
; %bb.283:                              ;   in Loop: Header=BB62_4 Depth=1
	v_dual_max_num_f32 v23, -v25, -v25 :: v_dual_mul_f32 v38, v38, v38
	s_wait_dscnt 0x0
	s_delay_alu instid0(VALU_DEP_1) | instskip(NEXT) | instid1(VALU_DEP_2)
	v_dual_max_num_f32 v37, v23, v7 :: v_dual_min_num_f32 v7, v23, v7
	v_fmac_f32_e32 v38, v36, v36
	s_delay_alu instid0(VALU_DEP_2) | instskip(SKIP_1) | instid1(VALU_DEP_3)
	v_frexp_mant_f32_e32 v39, v37
	v_frexp_exp_i32_f32_e32 v23, v37
	v_cmp_gt_f32_e32 vcc_lo, 0x800000, v38
	s_delay_alu instid0(VALU_DEP_3) | instskip(SKIP_3) | instid1(VALU_DEP_2)
	v_rcp_f32_e32 v37, v39
	v_nop
	v_frexp_exp_i32_f32_e32 v39, v7
	v_frexp_mant_f32_e32 v7, v7
	v_sub_nc_u32_e32 v23, v39, v23
	s_delay_alu instid0(TRANS32_DEP_1) | instid1(VALU_DEP_2)
	v_mul_f32_e32 v7, v7, v37
	s_delay_alu instid0(VALU_DEP_1) | instskip(SKIP_1) | instid1(VALU_DEP_2)
	v_ldexp_f32 v23, v7, v23
	v_cndmask_b32_e64 v7, 0, 32, vcc_lo
	v_mul_f32_e32 v36, v23, v23
	s_delay_alu instid0(VALU_DEP_2) | instskip(NEXT) | instid1(VALU_DEP_2)
	v_ldexp_f32 v7, v38, v7
	v_fmaak_f32 v37, s25, v36, 0xbc7a590c
	s_delay_alu instid0(VALU_DEP_2) | instskip(NEXT) | instid1(VALU_DEP_1)
	v_log_f32_e32 v7, v7
	v_fmaak_f32 v37, v36, v37, 0x3d29fb3f
	s_delay_alu instid0(TRANS32_DEP_1) | instskip(SKIP_1) | instid1(VALU_DEP_3)
	v_mul_f32_e32 v38, 0x3f317217, v7
	v_cmp_gt_f32_e64 s7, 0x7f800000, |v7|
	v_fmaak_f32 v37, v36, v37, 0xbd97d4d7
	s_delay_alu instid0(VALU_DEP_3) | instskip(NEXT) | instid1(VALU_DEP_2)
	v_fma_f32 v38, 0x3f317217, v7, -v38
	v_fmaak_f32 v37, v36, v37, 0x3dd931b2
	s_delay_alu instid0(VALU_DEP_1) | instskip(NEXT) | instid1(VALU_DEP_1)
	v_fmaak_f32 v37, v36, v37, 0xbe1160e6
	v_fmaak_f32 v37, v36, v37, 0x3e4cb8bf
	s_delay_alu instid0(VALU_DEP_1) | instskip(NEXT) | instid1(VALU_DEP_1)
	v_fmaak_f32 v37, v36, v37, 0xbeaaaa62
	v_mul_f32_e32 v36, v36, v37
	s_delay_alu instid0(VALU_DEP_1) | instskip(NEXT) | instid1(VALU_DEP_1)
	v_dual_fmac_f32 v38, 0x3377d1cf, v7 :: v_dual_fmac_f32 v23, v23, v36
	v_fmac_f32_e32 v38, 0x3f317217, v7
	s_delay_alu instid0(VALU_DEP_1) | instskip(SKIP_1) | instid1(VALU_DEP_1)
	v_cndmask_b32_e64 v7, v7, v38, s7
	v_cndmask_b32_e64 v38, 0, 0x41b17218, vcc_lo
	v_sub_f32_e32 v7, v7, v38
	s_delay_alu instid0(VALU_DEP_1)
	v_mul_f32_e32 v37, 0.5, v7
                                        ; implicit-def: $vgpr7
.LBB62_284:                             ;   in Loop: Header=BB62_4 Depth=1
	s_and_not1_saveexec_b32 s7, s31
	s_cbranch_execz .LBB62_286
; %bb.285:                              ;   in Loop: Header=BB62_4 Depth=1
	v_max_num_f32_e64 v23, -v25, -v25
	s_wait_dscnt 0x0
	s_delay_alu instid0(VALU_DEP_1) | instskip(NEXT) | instid1(VALU_DEP_1)
	v_max_num_f32_e32 v38, v23, v7
	v_cvt_f64_f32_e32 v[36:37], v38
	s_delay_alu instid0(VALU_DEP_1) | instskip(NEXT) | instid1(VALU_DEP_1)
	v_frexp_exp_i32_f64_e32 v36, v[36:37]
	v_dual_sub_nc_u32 v37, 0, v36 :: v_dual_min_num_f32 v7, v23, v7
	v_frexp_mant_f32_e32 v23, v38
	v_cmp_neq_f32_e32 vcc_lo, 0x7f800000, v38
	s_delay_alu instid0(VALU_DEP_3)
	v_ldexp_f32 v39, |v24|, v37
	v_ldexp_f32 v37, -v25, v37
	v_frexp_exp_i32_f32_e32 v42, v7
	v_rcp_f32_e32 v23, v23
	v_frexp_mant_f32_e32 v7, v7
	v_mul_f32_e32 v39, v39, v39
	s_delay_alu instid0(TRANS32_DEP_1) | instid1(VALU_DEP_1)
	v_dual_fmac_f32 v39, v37, v37 :: v_dual_mul_f32 v7, v7, v23
	v_frexp_exp_i32_f32_e32 v37, v38
	s_delay_alu instid0(VALU_DEP_2) | instskip(NEXT) | instid1(VALU_DEP_1)
	v_sqrt_f32_e32 v39, v39
	v_sub_nc_u32_e32 v37, v42, v37
	s_delay_alu instid0(VALU_DEP_1) | instskip(NEXT) | instid1(TRANS32_DEP_1)
	v_ldexp_f32 v23, v7, v37
	v_ldexp_f32 v36, v39, v36
	s_delay_alu instid0(VALU_DEP_1) | instskip(NEXT) | instid1(VALU_DEP_1)
	v_dual_cndmask_b32 v7, 0x7f800000, v36 :: v_dual_mul_f32 v36, v23, v23
	v_cmp_gt_f32_e32 vcc_lo, 0x800000, v7
	v_cndmask_b32_e64 v37, 0, 32, vcc_lo
	v_cndmask_b32_e64 v39, 0, 0x41b17218, vcc_lo
	s_delay_alu instid0(VALU_DEP_4) | instskip(NEXT) | instid1(VALU_DEP_3)
	v_fmaak_f32 v38, s25, v36, 0xbc7a590c
	v_ldexp_f32 v7, v7, v37
	s_delay_alu instid0(VALU_DEP_2) | instskip(NEXT) | instid1(VALU_DEP_2)
	v_fmaak_f32 v37, v36, v38, 0x3d29fb3f
	v_log_f32_e32 v7, v7
	s_delay_alu instid0(VALU_DEP_1) | instskip(NEXT) | instid1(VALU_DEP_1)
	v_fmaak_f32 v37, v36, v37, 0xbd97d4d7
	v_fmaak_f32 v37, v36, v37, 0x3dd931b2
	s_delay_alu instid0(TRANS32_DEP_1) | instskip(NEXT) | instid1(VALU_DEP_2)
	v_cmp_gt_f32_e64 vcc_lo, 0x7f800000, |v7|
	v_fmaak_f32 v37, v36, v37, 0xbe1160e6
	s_delay_alu instid0(VALU_DEP_1) | instskip(NEXT) | instid1(VALU_DEP_1)
	v_fmaak_f32 v37, v36, v37, 0x3e4cb8bf
	v_fmaak_f32 v37, v36, v37, 0xbeaaaa62
	s_delay_alu instid0(VALU_DEP_1) | instskip(NEXT) | instid1(VALU_DEP_1)
	v_mul_f32_e32 v36, v36, v37
	v_dual_mul_f32 v38, 0x3f317217, v7 :: v_dual_fmac_f32 v23, v23, v36
	s_delay_alu instid0(VALU_DEP_1) | instskip(NEXT) | instid1(VALU_DEP_1)
	v_fma_f32 v38, 0x3f317217, v7, -v38
	v_fmac_f32_e32 v38, 0x3377d1cf, v7
	s_delay_alu instid0(VALU_DEP_1) | instskip(NEXT) | instid1(VALU_DEP_1)
	v_fmac_f32_e32 v38, 0x3f317217, v7
	v_cndmask_b32_e32 v7, v7, v38, vcc_lo
	s_delay_alu instid0(VALU_DEP_1)
	v_sub_f32_e32 v37, v7, v39
.LBB62_286:                             ;   in Loop: Header=BB62_4 Depth=1
	s_or_b32 exec_lo, exec_lo, s7
                                        ; implicit-def: $vgpr7
.LBB62_287:                             ;   in Loop: Header=BB62_4 Depth=1
	s_and_not1_saveexec_b32 s30, s30
	s_cbranch_execz .LBB62_289
; %bb.288:                              ;   in Loop: Header=BB62_4 Depth=1
	v_div_scale_f32 v23, null, 0xc02df854, 0xc02df854, v25
	v_div_scale_f32 v36, null, 0xc02df854, 0xc02df854, v24
	v_div_scale_f32 v43, vcc_lo, v25, 0xc02df854, v25
	s_delay_alu instid0(VALU_DEP_3) | instskip(NEXT) | instid1(VALU_DEP_2)
	v_rcp_f32_e32 v37, v23
	v_rcp_f32_e32 v38, v36
	s_delay_alu instid0(TRANS32_DEP_2) | instskip(NEXT) | instid1(TRANS32_DEP_1)
	v_fma_f32 v39, -v23, v37, 1.0
	v_fma_f32 v42, -v36, v38, 1.0
	s_delay_alu instid0(VALU_DEP_1) | instskip(SKIP_1) | instid1(VALU_DEP_1)
	v_dual_fmac_f32 v37, v39, v37 :: v_dual_fmac_f32 v38, v42, v38
	v_div_scale_f32 v39, s7, v24, 0xc02df854, v24
	v_mul_f32_e32 v44, v39, v38
	s_delay_alu instid0(VALU_DEP_1) | instskip(NEXT) | instid1(VALU_DEP_1)
	v_dual_mul_f32 v42, v43, v37 :: v_dual_fma_f32 v46, -v36, v44, v39
	v_fma_f32 v45, -v23, v42, v43
	s_delay_alu instid0(VALU_DEP_1) | instskip(NEXT) | instid1(VALU_DEP_1)
	v_dual_fmac_f32 v42, v45, v37 :: v_dual_fmac_f32 v44, v46, v38
	v_fma_f32 v23, -v23, v42, v43
	s_delay_alu instid0(VALU_DEP_2) | instskip(NEXT) | instid1(VALU_DEP_2)
	v_fma_f32 v36, -v36, v44, v39
	v_div_fmas_f32 v23, v23, v37, v42
	s_mov_b32 vcc_lo, s7
	v_max_num_f32_e64 v42, -v25, -v25
	s_delay_alu instid0(VALU_DEP_3) | instskip(NEXT) | instid1(VALU_DEP_3)
	v_div_fmas_f32 v36, v36, v38, v44
	v_div_fixup_f32 v23, v23, 0xc02df854, v25
	s_delay_alu instid0(VALU_DEP_2) | instskip(NEXT) | instid1(VALU_DEP_1)
	v_div_fixup_f32 v38, v36, 0xc02df854, v24
	v_max_num_f32_e64 v39, |v23|, |v38|
	s_delay_alu instid0(VALU_DEP_1) | instskip(SKIP_1) | instid1(VALU_DEP_2)
	v_cvt_f64_f32_e32 v[36:37], v39
	v_cmp_neq_f32_e32 vcc_lo, 0x7f800000, v39
	v_frexp_exp_i32_f64_e32 v36, v[36:37]
	s_delay_alu instid0(VALU_DEP_1) | instskip(NEXT) | instid1(VALU_DEP_1)
	v_sub_nc_u32_e32 v37, 0, v36
	v_ldexp_f32 v38, |v38|, v37
	v_ldexp_f32 v23, |v23|, v37
	s_delay_alu instid0(VALU_DEP_2) | instskip(SKIP_2) | instid1(VALU_DEP_2)
	v_mul_f32_e32 v37, v38, v38
	s_wait_dscnt 0x0
	v_dual_max_num_f32 v38, v42, v7 :: v_dual_min_num_f32 v7, v42, v7
	v_fmac_f32_e32 v37, v23, v23
	s_delay_alu instid0(VALU_DEP_2) | instskip(SKIP_1) | instid1(VALU_DEP_4)
	v_frexp_mant_f32_e32 v23, v38
	v_frexp_exp_i32_f32_e32 v38, v38
	v_frexp_exp_i32_f32_e32 v42, v7
	v_frexp_mant_f32_e32 v7, v7
	v_sqrt_f32_e32 v37, v37
	v_rcp_f32_e32 v23, v23
	s_delay_alu instid0(TRANS32_DEP_2) | instskip(NEXT) | instid1(TRANS32_DEP_1)
	v_ldexp_f32 v36, v37, v36
	v_dual_sub_nc_u32 v37, v42, v38 :: v_dual_mul_f32 v7, v7, v23
	s_delay_alu instid0(VALU_DEP_2) | instskip(NEXT) | instid1(VALU_DEP_2)
	v_cndmask_b32_e32 v36, 0x7f800000, v36, vcc_lo
	v_ldexp_f32 v23, v7, v37
	s_delay_alu instid0(VALU_DEP_2) | instskip(NEXT) | instid1(VALU_DEP_2)
	v_cmp_gt_f32_e32 vcc_lo, 0x800000, v36
	v_mul_f32_e32 v37, v23, v23
	v_cndmask_b32_e64 v7, 0, 32, vcc_lo
	v_cndmask_b32_e64 v39, 0, 0x41b17218, vcc_lo
	s_delay_alu instid0(VALU_DEP_2) | instskip(NEXT) | instid1(VALU_DEP_1)
	v_ldexp_f32 v7, v36, v7
	v_log_f32_e32 v7, v7
	v_nop
	s_delay_alu instid0(TRANS32_DEP_1) | instskip(SKIP_1) | instid1(VALU_DEP_2)
	v_mul_f32_e32 v38, 0x3f317217, v7
	v_cmp_gt_f32_e64 vcc_lo, 0x7f800000, |v7|
	v_fma_f32 v38, 0x3f317217, v7, -v38
	s_delay_alu instid0(VALU_DEP_1) | instskip(NEXT) | instid1(VALU_DEP_1)
	v_fmac_f32_e32 v38, 0x3377d1cf, v7
	v_fmac_f32_e32 v38, 0x3f317217, v7
	s_delay_alu instid0(VALU_DEP_1) | instskip(NEXT) | instid1(VALU_DEP_1)
	v_cndmask_b32_e32 v7, v7, v38, vcc_lo
	v_dual_fmaak_f32 v36, s25, v37, 0xbc7a590c :: v_dual_sub_f32 v7, v7, v39
	s_delay_alu instid0(VALU_DEP_1) | instskip(NEXT) | instid1(VALU_DEP_1)
	v_fmaak_f32 v36, v37, v36, 0x3d29fb3f
	v_fmaak_f32 v36, v37, v36, 0xbd97d4d7
	s_delay_alu instid0(VALU_DEP_1) | instskip(NEXT) | instid1(VALU_DEP_1)
	v_fmaak_f32 v36, v37, v36, 0x3dd931b2
	v_fmaak_f32 v36, v37, v36, 0xbe1160e6
	;; [unrolled: 3-line block ×3, first 2 shown]
	s_delay_alu instid0(VALU_DEP_1) | instskip(NEXT) | instid1(VALU_DEP_1)
	v_dual_mul_f32 v36, v37, v36 :: v_dual_add_f32 v37, 1.0, v7
	v_fmac_f32_e32 v23, v23, v36
.LBB62_289:                             ;   in Loop: Header=BB62_4 Depth=1
	s_or_b32 exec_lo, exec_lo, s30
	s_wait_dscnt 0x0
	s_delay_alu instid0(VALU_DEP_1) | instskip(SKIP_1) | instid1(VALU_DEP_2)
	v_sub_f32_e32 v7, 0x3fc90fdb, v23
	v_cmp_eq_f32_e32 vcc_lo, 0xff800000, v25
	v_cndmask_b32_e64 v7, v23, v7, s6
	v_cmp_neq_f32_e64 s6, 0, v24
	s_and_b32 s7, vcc_lo, exec_lo
	v_cndmask_b32_e64 v38, 0, v7, s6
	s_and_not1_b32 s6, s28, exec_lo
	s_delay_alu instid0(SALU_CYCLE_1)
	s_or_b32 s28, s6, s7
.LBB62_290:                             ;   in Loop: Header=BB62_4 Depth=1
	s_or_b32 exec_lo, exec_lo, s29
	v_cmp_class_f32_e64 s6, v24, 0x204
	v_add_f32_e32 v23, 0x3f317218, v37
	s_and_b32 s6, s6, s28
	s_delay_alu instid0(VALU_DEP_1) | instskip(SKIP_2) | instid1(VALU_DEP_1)
	v_bfi_b32 v25, 0x7fffffff, v23, v25
	s_wait_dscnt 0x0
	v_cndmask_b32_e64 v7, v38, 0x3f490fdb, s6
	v_bfi_b32 v24, 0x7fffffff, v7, v24
.LBB62_291:                             ;   in Loop: Header=BB62_4 Depth=1
	s_or_b32 exec_lo, exec_lo, s27
.LBB62_292:                             ;   in Loop: Header=BB62_4 Depth=1
	s_and_not1_saveexec_b32 s6, s26
	s_cbranch_execz .LBB62_306
; %bb.293:                              ;   in Loop: Header=BB62_4 Depth=1
	v_cmp_neq_f32_e64 s7, 0x7f800000, |v25|
                                        ; implicit-def: $vgpr7
	s_and_saveexec_b32 s26, s7
	s_delay_alu instid0(SALU_CYCLE_1)
	s_xor_b32 s7, exec_lo, s26
	s_cbranch_execz .LBB62_303
; %bb.294:                              ;   in Loop: Header=BB62_4 Depth=1
	v_cmp_neq_f32_e64 s26, 0x7f800000, |v24|
                                        ; implicit-def: $vgpr7
	s_and_saveexec_b32 s27, s26
	s_delay_alu instid0(SALU_CYCLE_1)
	s_xor_b32 s26, exec_lo, s27
	s_cbranch_execz .LBB62_300
; %bb.295:                              ;   in Loop: Header=BB62_4 Depth=1
	s_mov_b32 s27, exec_lo
	v_cmpx_neq_f32_e32 0, v24
	s_xor_b32 s27, exec_lo, s27
	s_cbranch_execz .LBB62_297
; %bb.296:                              ;   in Loop: Header=BB62_4 Depth=1
	s_wait_dscnt 0x0
	v_add_f32_e32 v7, 0, v25
	s_delay_alu instid0(VALU_DEP_1)
	v_add_f32_e32 v25, v24, v7
.LBB62_297:                             ;   in Loop: Header=BB62_4 Depth=1
	s_or_saveexec_b32 s27, s27
	s_wait_dscnt 0x0
	s_delay_alu instid0(VALU_DEP_1)
	v_mov_b32_e32 v7, v25
	s_xor_b32 exec_lo, exec_lo, s27
; %bb.298:                              ;   in Loop: Header=BB62_4 Depth=1
	v_dual_add_f32 v25, v25, v25 :: v_dual_mov_b32 v7, v24
; %bb.299:                              ;   in Loop: Header=BB62_4 Depth=1
	s_or_b32 exec_lo, exec_lo, s27
.LBB62_300:                             ;   in Loop: Header=BB62_4 Depth=1
	s_and_not1_saveexec_b32 s26, s26
	s_cbranch_execz .LBB62_302
; %bb.301:                              ;   in Loop: Header=BB62_4 Depth=1
	s_wait_dscnt 0x0
	v_dual_add_f32 v7, v25, v25 :: v_dual_mov_b32 v25, v24
.LBB62_302:                             ;   in Loop: Header=BB62_4 Depth=1
	s_or_b32 exec_lo, exec_lo, s26
.LBB62_303:                             ;   in Loop: Header=BB62_4 Depth=1
	s_and_not1_saveexec_b32 s7, s7
	s_cbranch_execz .LBB62_305
; %bb.304:                              ;   in Loop: Header=BB62_4 Depth=1
	s_wait_dscnt 0x0
	v_add_f32_e32 v7, v24, v24
.LBB62_305:                             ;   in Loop: Header=BB62_4 Depth=1
	s_or_b32 exec_lo, exec_lo, s7
	s_wait_dscnt 0x0
	s_delay_alu instid0(VALU_DEP_1)
	v_mov_b32_e32 v24, v7
.LBB62_306:                             ;   in Loop: Header=BB62_4 Depth=1
	s_or_b32 exec_lo, exec_lo, s6
	s_delay_alu instid0(SALU_CYCLE_1)
	s_mov_b32 s6, exec_lo
	v_cmpx_o_f32_e32 v35, v34
	s_xor_b32 s26, exec_lo, s6
	s_cbranch_execnz .LBB62_312
; %bb.307:                              ;   in Loop: Header=BB62_4 Depth=1
	s_and_not1_saveexec_b32 s6, s26
	s_cbranch_execnz .LBB62_395
.LBB62_308:                             ;   in Loop: Header=BB62_4 Depth=1
	s_or_b32 exec_lo, exec_lo, s6
	s_and_saveexec_b32 s6, s2
	s_delay_alu instid0(SALU_CYCLE_1)
	s_xor_b32 s2, exec_lo, s6
	s_cbranch_execnz .LBB62_408
.LBB62_309:                             ;   in Loop: Header=BB62_4 Depth=1
	s_or_b32 exec_lo, exec_lo, s2
	s_and_saveexec_b32 s2, s3
	s_cbranch_execnz .LBB62_409
.LBB62_310:                             ;   in Loop: Header=BB62_4 Depth=1
	s_or_b32 exec_lo, exec_lo, s2
	s_and_saveexec_b32 s2, s4
	s_cbranch_execnz .LBB62_410
.LBB62_311:                             ;   in Loop: Header=BB62_4 Depth=1
	s_or_b32 exec_lo, exec_lo, s2
	s_and_saveexec_b32 s2, s5
	s_cbranch_execz .LBB62_3
	s_branch .LBB62_411
.LBB62_312:                             ;   in Loop: Header=BB62_4 Depth=1
	s_wait_dscnt 0x0
	v_max_num_f32_e64 v7, |v34|, |v34|
	v_max_num_f32_e64 v23, |v35|, |v35|
	s_mov_b32 s6, exec_lo
	s_delay_alu instid0(VALU_DEP_1) | instskip(NEXT) | instid1(VALU_DEP_1)
	v_max_num_f32_e32 v36, v23, v7
	v_cmpx_nlt_f32_e32 0x4b000000, v36
	s_xor_b32 s27, exec_lo, s6
	s_cbranch_execz .LBB62_372
; %bb.313:                              ;   in Loop: Header=BB62_4 Depth=1
	v_cmp_neq_f32_e32 vcc_lo, 0, v35
	v_cmp_neq_f32_e64 s6, 0, v34
	s_or_b32 s6, vcc_lo, s6
	s_delay_alu instid0(SALU_CYCLE_1)
	s_and_saveexec_b32 s28, s6
	s_cbranch_execz .LBB62_371
; %bb.314:                              ;   in Loop: Header=BB62_4 Depth=1
	flat_store_b32 v[8:9], v40 scope:SCOPE_SYS
	s_wait_storecnt 0x0
	flat_load_b32 v7, v[8:9] scope:SCOPE_SYS
	s_wait_loadcnt 0x0
	v_cmp_ngt_f32_e64 s6, 0x395db3d7, |v35|
	v_cmp_ngt_f32_e64 s7, 0x395db3d7, |v34|
	s_or_b32 s6, s6, s7
	s_wait_dscnt 0x0
	v_add_f32_e32 v7, 1.0, v7
	flat_store_b32 v[14:15], v7 scope:SCOPE_SYS
	s_wait_storecnt 0x0
	flat_load_b32 v7, v[14:15] scope:SCOPE_SYS
	s_wait_loadcnt 0x0
	s_wait_xcnt 0x0
	s_and_saveexec_b32 s29, s6
	s_cbranch_execz .LBB62_370
; %bb.315:                              ;   in Loop: Header=BB62_4 Depth=1
	v_add_f32_e64 v43, |v34|, 1.0
	v_add_f32_e64 v42, |v34|, -1.0
	s_mov_b32 s6, exec_lo
	s_wait_dscnt 0x0
	s_delay_alu instid0(VALU_DEP_2) | instskip(NEXT) | instid1(VALU_DEP_2)
	v_max_num_f32_e32 v7, v23, v43
	v_max_num_f32_e64 v23, v23, |v42|
	s_delay_alu instid0(VALU_DEP_2) | instskip(NEXT) | instid1(VALU_DEP_2)
	v_cvt_f64_f32_e32 v[36:37], v7
	v_cvt_f64_f32_e32 v[38:39], v23
	s_delay_alu instid0(VALU_DEP_2) | instskip(NEXT) | instid1(VALU_DEP_2)
	v_frexp_exp_i32_f64_e32 v36, v[36:37]
	v_frexp_exp_i32_f64_e32 v37, v[38:39]
	s_delay_alu instid0(VALU_DEP_2) | instskip(SKIP_1) | instid1(VALU_DEP_2)
	v_sub_nc_u32_e32 v38, 0, v36
	v_cmp_neq_f32_e32 vcc_lo, 0x7f800000, v7
	v_ldexp_f32 v44, v43, v38
	s_delay_alu instid0(VALU_DEP_4) | instskip(SKIP_1) | instid1(VALU_DEP_3)
	v_sub_nc_u32_e32 v39, 0, v37
	v_ldexp_f32 v38, |v35|, v38
	v_mul_f32_e32 v44, v44, v44
	s_delay_alu instid0(VALU_DEP_3) | instskip(SKIP_1) | instid1(VALU_DEP_2)
	v_ldexp_f32 v45, |v42|, v39
	v_ldexp_f32 v39, |v35|, v39
	v_dual_fmac_f32 v44, v38, v38 :: v_dual_mul_f32 v45, v45, v45
	s_delay_alu instid0(VALU_DEP_1) | instskip(NEXT) | instid1(VALU_DEP_1)
	v_sqrt_f32_e32 v38, v44
	v_fmac_f32_e32 v45, v39, v39
	s_delay_alu instid0(VALU_DEP_1) | instskip(NEXT) | instid1(TRANS32_DEP_2)
	v_sqrt_f32_e32 v39, v45
	v_ldexp_f32 v36, v38, v36
	s_delay_alu instid0(VALU_DEP_1) | instskip(NEXT) | instid1(TRANS32_DEP_1)
	v_cndmask_b32_e32 v45, 0x7f800000, v36, vcc_lo
	v_ldexp_f32 v37, v39, v37
	v_cmp_neq_f32_e32 vcc_lo, 0x7f800000, v23
	s_delay_alu instid0(VALU_DEP_2) | instskip(NEXT) | instid1(VALU_DEP_1)
	v_cndmask_b32_e32 v38, 0x7f800000, v37, vcc_lo
	v_add_f32_e32 v7, v45, v38
	s_delay_alu instid0(VALU_DEP_1) | instskip(NEXT) | instid1(VALU_DEP_1)
	v_mul_f32_e32 v7, 0.5, v7
	v_cmp_ngt_f32_e32 vcc_lo, 1.0, v7
	v_cndmask_b32_e32 v36, 1.0, v7, vcc_lo
                                        ; implicit-def: $vgpr7
	s_delay_alu instid0(VALU_DEP_1)
	v_cmpx_ngt_f32_e32 0x41200000, v36
	s_xor_b32 s7, exec_lo, s6
	s_cbranch_execz .LBB62_317
; %bb.316:                              ;   in Loop: Header=BB62_4 Depth=1
	v_fma_f32 v7, v36, v36, -1.0
	s_delay_alu instid0(VALU_DEP_1) | instskip(SKIP_1) | instid1(VALU_DEP_2)
	v_mul_f32_e32 v23, 0x4f800000, v7
	v_cmp_gt_f32_e32 vcc_lo, 0xf800000, v7
	v_cndmask_b32_e32 v7, v7, v23, vcc_lo
	s_delay_alu instid0(VALU_DEP_1) | instskip(SKIP_1) | instid1(TRANS32_DEP_1)
	v_sqrt_f32_e32 v23, v7
	v_nop
	v_dual_add_nc_u32 v37, -1, v23 :: v_dual_add_nc_u32 v39, 1, v23
	s_delay_alu instid0(VALU_DEP_1) | instskip(NEXT) | instid1(VALU_DEP_1)
	v_dual_fma_f32 v44, -v37, v23, v7 :: v_dual_fma_f32 v46, -v39, v23, v7
	v_cmp_ge_f32_e64 s6, 0, v44
	s_delay_alu instid0(VALU_DEP_1) | instskip(NEXT) | instid1(VALU_DEP_3)
	v_cndmask_b32_e64 v23, v23, v37, s6
	v_cmp_lt_f32_e64 s6, 0, v46
	s_delay_alu instid0(VALU_DEP_1) | instskip(NEXT) | instid1(VALU_DEP_1)
	v_cndmask_b32_e64 v23, v23, v39, s6
	v_mul_f32_e32 v37, 0x37800000, v23
	s_delay_alu instid0(VALU_DEP_1) | instskip(SKIP_1) | instid1(VALU_DEP_2)
	v_cndmask_b32_e32 v23, v23, v37, vcc_lo
	v_cmp_class_f32_e64 vcc_lo, v7, 0x260
	v_cndmask_b32_e32 v7, v23, v7, vcc_lo
	s_delay_alu instid0(VALU_DEP_1) | instskip(NEXT) | instid1(VALU_DEP_1)
	v_add_f32_e32 v7, v36, v7
	v_cmp_gt_f32_e32 vcc_lo, 0x800000, v7
	s_delay_alu instid0(VALU_DEP_4) | instskip(NEXT) | instid1(VALU_DEP_1)
	v_cndmask_b32_e64 v23, 0, 32, vcc_lo
	v_ldexp_f32 v7, v7, v23
	s_delay_alu instid0(VALU_DEP_1) | instskip(SKIP_1) | instid1(TRANS32_DEP_1)
	v_log_f32_e32 v7, v7
	v_nop
	v_mul_f32_e32 v23, 0x3f317217, v7
	v_cmp_gt_f32_e64 s6, 0x7f800000, |v7|
	s_delay_alu instid0(VALU_DEP_2) | instskip(NEXT) | instid1(VALU_DEP_1)
	v_fma_f32 v23, 0x3f317217, v7, -v23
	v_fmac_f32_e32 v23, 0x3377d1cf, v7
	s_delay_alu instid0(VALU_DEP_1) | instskip(NEXT) | instid1(VALU_DEP_1)
	v_fmac_f32_e32 v23, 0x3f317217, v7
	v_cndmask_b32_e64 v7, v7, v23, s6
	v_cndmask_b32_e64 v23, 0, 0x41b17218, vcc_lo
	s_delay_alu instid0(VALU_DEP_1)
	v_sub_f32_e32 v7, v7, v23
.LBB62_317:                             ;   in Loop: Header=BB62_4 Depth=1
	s_or_saveexec_b32 s7, s7
	v_and_b32_e32 v44, 0x7fffffff, v35
	s_xor_b32 exec_lo, exec_lo, s7
	s_cbranch_execz .LBB62_339
; %bb.318:                              ;   in Loop: Header=BB62_4 Depth=1
	v_cmp_neq_f32_e64 s6, |v34|, 1.0
	v_cmp_ngt_f32_e64 s30, 0x25000000, |v35|
                                        ; implicit-def: $vgpr7
	s_or_b32 s6, s30, s6
	s_delay_alu instid0(SALU_CYCLE_1) | instskip(NEXT) | instid1(SALU_CYCLE_1)
	s_and_saveexec_b32 s30, s6
	s_xor_b32 s30, exec_lo, s30
	s_cbranch_execz .LBB62_336
; %bb.319:                              ;   in Loop: Header=BB62_4 Depth=1
	v_mul_f32_e64 v7, 0x34000000, |v42|
	s_delay_alu instid0(VALU_DEP_1) | instskip(SKIP_1) | instid1(SALU_CYCLE_1)
	v_cmp_ge_f32_e64 s6, |v35|, v7
                                        ; implicit-def: $vgpr7
	s_and_saveexec_b32 s31, s6
	s_xor_b32 s31, exec_lo, s31
	s_cbranch_execz .LBB62_329
; %bb.320:                              ;   in Loop: Header=BB62_4 Depth=1
	v_mov_b32_e32 v7, v44
	s_mov_b32 s6, exec_lo
	v_cmpx_neq_f32_e32 0, v43
	s_cbranch_execz .LBB62_322
; %bb.321:                              ;   in Loop: Header=BB62_4 Depth=1
	v_mul_f32_e32 v7, v35, v35
	v_add_f32_e32 v23, v43, v45
	s_delay_alu instid0(VALU_DEP_1) | instskip(NEXT) | instid1(VALU_DEP_1)
	v_div_scale_f32 v37, null, v23, v23, v7
	v_rcp_f32_e32 v39, v37
	v_nop
	s_delay_alu instid0(TRANS32_DEP_1) | instskip(NEXT) | instid1(VALU_DEP_1)
	v_fma_f32 v46, -v37, v39, 1.0
	v_fmac_f32_e32 v39, v46, v39
	v_div_scale_f32 v46, vcc_lo, v7, v23, v7
	s_delay_alu instid0(VALU_DEP_1) | instskip(NEXT) | instid1(VALU_DEP_1)
	v_mul_f32_e32 v47, v46, v39
	v_fma_f32 v48, -v37, v47, v46
	s_delay_alu instid0(VALU_DEP_1) | instskip(NEXT) | instid1(VALU_DEP_1)
	v_fmac_f32_e32 v47, v48, v39
	v_fma_f32 v37, -v37, v47, v46
	s_delay_alu instid0(VALU_DEP_1) | instskip(NEXT) | instid1(VALU_DEP_1)
	v_div_fmas_f32 v37, v37, v39, v47
	v_div_fixup_f32 v7, v37, v23, v7
.LBB62_322:                             ;   in Loop: Header=BB62_4 Depth=1
	s_or_b32 exec_lo, exec_lo, s6
	v_sub_f32_e64 v37, 1.0, |v34|
	s_mov_b32 s6, exec_lo
                                        ; implicit-def: $vgpr23
	s_delay_alu instid0(VALU_DEP_1)
	v_cmpx_ngt_f32_e32 0, v37
	s_xor_b32 s6, exec_lo, s6
	s_cbranch_execz .LBB62_326
; %bb.323:                              ;   in Loop: Header=BB62_4 Depth=1
	v_mov_b32_e32 v23, v44
	s_mov_b32 s33, exec_lo
	v_cmpx_neq_f32_e32 0, v37
	s_cbranch_execz .LBB62_325
; %bb.324:                              ;   in Loop: Header=BB62_4 Depth=1
	v_dual_mul_f32 v23, v35, v35 :: v_dual_add_f32 v37, v37, v38
	s_delay_alu instid0(VALU_DEP_1) | instskip(NEXT) | instid1(VALU_DEP_1)
	v_div_scale_f32 v39, null, v37, v37, v23
	v_rcp_f32_e32 v46, v39
	v_nop
	s_delay_alu instid0(TRANS32_DEP_1) | instskip(NEXT) | instid1(VALU_DEP_1)
	v_fma_f32 v47, -v39, v46, 1.0
	v_fmac_f32_e32 v46, v47, v46
	v_div_scale_f32 v47, vcc_lo, v23, v37, v23
	s_delay_alu instid0(VALU_DEP_1) | instskip(NEXT) | instid1(VALU_DEP_1)
	v_mul_f32_e32 v48, v47, v46
	v_fma_f32 v49, -v39, v48, v47
	s_delay_alu instid0(VALU_DEP_1) | instskip(NEXT) | instid1(VALU_DEP_1)
	v_fmac_f32_e32 v48, v49, v46
	v_fma_f32 v39, -v39, v48, v47
	s_delay_alu instid0(VALU_DEP_1) | instskip(NEXT) | instid1(VALU_DEP_1)
	v_div_fmas_f32 v39, v39, v46, v48
	v_div_fixup_f32 v23, v39, v37, v23
.LBB62_325:                             ;   in Loop: Header=BB62_4 Depth=1
	s_or_b32 exec_lo, exec_lo, s33
                                        ; implicit-def: $vgpr37
.LBB62_326:                             ;   in Loop: Header=BB62_4 Depth=1
	s_and_not1_saveexec_b32 s6, s6
; %bb.327:                              ;   in Loop: Header=BB62_4 Depth=1
	v_sub_f32_e32 v23, v38, v37
; %bb.328:                              ;   in Loop: Header=BB62_4 Depth=1
	s_or_b32 exec_lo, exec_lo, s6
	v_mul_f32_e32 v37, 0.5, v7
	s_delay_alu instid0(VALU_DEP_2) | instskip(NEXT) | instid1(VALU_DEP_1)
	v_mul_f32_e32 v7, 0.5, v23
	v_pk_add_f32 v[46:47], v[36:37], v[6:7]
	s_delay_alu instid0(VALU_DEP_1) | instskip(NEXT) | instid1(VALU_DEP_1)
	v_mul_f32_e32 v7, v46, v47
	v_mul_f32_e32 v23, 0x4f800000, v7
	v_cmp_gt_f32_e32 vcc_lo, 0xf800000, v7
	s_delay_alu instid0(VALU_DEP_2) | instskip(NEXT) | instid1(VALU_DEP_1)
	v_cndmask_b32_e32 v7, v7, v23, vcc_lo
	v_sqrt_f32_e32 v23, v7
	v_nop
	s_delay_alu instid0(TRANS32_DEP_1) | instskip(NEXT) | instid1(VALU_DEP_1)
	v_dual_add_nc_u32 v37, -1, v23 :: v_dual_add_nc_u32 v39, 1, v23
	v_dual_fma_f32 v46, -v37, v23, v7 :: v_dual_fma_f32 v48, -v39, v23, v7
	s_delay_alu instid0(VALU_DEP_1) | instskip(NEXT) | instid1(VALU_DEP_1)
	v_cmp_ge_f32_e64 s6, 0, v46
	v_cndmask_b32_e64 v23, v23, v37, s6
	s_delay_alu instid0(VALU_DEP_3) | instskip(NEXT) | instid1(VALU_DEP_1)
	v_cmp_lt_f32_e64 s6, 0, v48
	v_cndmask_b32_e64 v23, v23, v39, s6
	s_delay_alu instid0(VALU_DEP_1) | instskip(NEXT) | instid1(VALU_DEP_1)
	v_mul_f32_e32 v37, 0x37800000, v23
	v_cndmask_b32_e32 v23, v23, v37, vcc_lo
	v_cmp_class_f32_e64 vcc_lo, v7, 0x260
	s_delay_alu instid0(VALU_DEP_2) | instskip(NEXT) | instid1(VALU_DEP_1)
	v_cndmask_b32_e32 v7, v23, v7, vcc_lo
	v_add_f32_e32 v46, v47, v7
	s_delay_alu instid0(VALU_DEP_1) | instskip(NEXT) | instid1(VALU_DEP_1)
	v_add_f32_e32 v49, 1.0, v46
	v_cvt_f64_f32_e32 v[50:51], v49
	v_frexp_mant_f32_e32 v23, v49
	s_delay_alu instid0(VALU_DEP_1) | instskip(NEXT) | instid1(VALU_DEP_3)
	v_cmp_gt_f32_e32 vcc_lo, 0x3f2aaaab, v23
	v_frexp_exp_i32_f64_e32 v7, v[50:51]
	s_delay_alu instid0(VALU_DEP_1) | instskip(SKIP_2) | instid1(VALU_DEP_2)
	v_subrev_co_ci_u32_e64 v7, null, 0, v7, vcc_lo
	v_add_f32_e32 v47, -1.0, v49
	v_cmp_neq_f32_e32 vcc_lo, 0x7f800000, v46
	v_dual_mov_b32 v48, v47 :: v_dual_sub_nc_u32 v23, 0, v7
	s_delay_alu instid0(VALU_DEP_1) | instskip(NEXT) | instid1(VALU_DEP_2)
	v_ldexp_f32 v37, v49, v23
	v_pk_add_f32 v[50:51], v[46:47], v[48:49] neg_lo:[0,1] neg_hi:[0,1]
	s_delay_alu instid0(VALU_DEP_1) | instskip(NEXT) | instid1(VALU_DEP_1)
	v_dual_add_f32 v53, -1.0, v37 :: v_dual_add_f32 v39, 1.0, v51
	v_dual_add_f32 v47, 1.0, v37 :: v_dual_add_f32 v39, v50, v39
	s_delay_alu instid0(VALU_DEP_1) | instskip(NEXT) | instid1(VALU_DEP_2)
	v_add_f32_e32 v48, -1.0, v47
	v_ldexp_f32 v23, v39, v23
	s_delay_alu instid0(VALU_DEP_2) | instskip(NEXT) | instid1(VALU_DEP_1)
	v_dual_sub_f32 v39, v37, v48 :: v_dual_add_f32 v48, 1.0, v53
	v_dual_add_f32 v39, v23, v39 :: v_dual_sub_f32 v37, v37, v48
	s_delay_alu instid0(VALU_DEP_1) | instskip(NEXT) | instid1(VALU_DEP_1)
	v_add_f32_e32 v23, v23, v37
	v_add_f32_e32 v49, v53, v23
	s_delay_alu instid0(VALU_DEP_3) | instskip(NEXT) | instid1(VALU_DEP_1)
	v_add_f32_e32 v54, v47, v39
	v_rcp_f32_e32 v37, v54
	v_nop
	s_delay_alu instid0(TRANS32_DEP_1) | instskip(NEXT) | instid1(VALU_DEP_1)
	v_dual_mul_f32 v55, v49, v37 :: v_dual_sub_f32 v47, v54, v47
	v_mul_f32_e32 v50, v54, v55
	s_delay_alu instid0(VALU_DEP_2) | instskip(NEXT) | instid1(VALU_DEP_2)
	v_sub_f32_e32 v39, v39, v47
	v_dual_fma_f32 v52, v55, v54, -v50 :: v_dual_sub_f32 v47, v49, v53
	s_delay_alu instid0(VALU_DEP_1) | instskip(NEXT) | instid1(VALU_DEP_1)
	v_fmac_f32_e32 v52, v55, v39
	v_dual_sub_f32 v23, v23, v47 :: v_dual_add_f32 v48, v50, v52
	s_delay_alu instid0(VALU_DEP_1) | instskip(NEXT) | instid1(VALU_DEP_1)
	v_dual_sub_f32 v51, v49, v48 :: v_dual_mov_b32 v53, v48
	v_pk_add_f32 v[48:49], v[48:49], v[50:51] neg_lo:[0,1] neg_hi:[0,1]
	s_delay_alu instid0(VALU_DEP_1) | instskip(NEXT) | instid1(VALU_DEP_1)
	v_pk_add_f32 v[48:49], v[48:49], v[52:53] neg_lo:[0,1] neg_hi:[0,1]
	v_add_f32_e32 v23, v23, v49
	s_delay_alu instid0(VALU_DEP_1) | instskip(NEXT) | instid1(VALU_DEP_1)
	v_add_f32_e32 v23, v48, v23
	v_add_f32_e32 v49, v51, v23
	s_delay_alu instid0(VALU_DEP_1) | instskip(NEXT) | instid1(VALU_DEP_1)
	v_mul_f32_e32 v47, v37, v49
	v_mul_f32_e32 v52, v54, v47
	s_delay_alu instid0(VALU_DEP_1) | instskip(NEXT) | instid1(VALU_DEP_1)
	v_fma_f32 v50, v47, v54, -v52
	v_fmac_f32_e32 v50, v47, v39
	s_delay_alu instid0(VALU_DEP_1) | instskip(NEXT) | instid1(VALU_DEP_1)
	v_dual_add_f32 v48, v52, v50 :: v_dual_sub_f32 v39, v51, v49
	v_dual_sub_f32 v53, v49, v48 :: v_dual_mov_b32 v51, v48
	s_delay_alu instid0(VALU_DEP_2) | instskip(SKIP_1) | instid1(VALU_DEP_3)
	v_add_f32_e32 v23, v23, v39
	v_add_f32_e32 v39, v55, v47
	v_pk_add_f32 v[48:49], v[48:49], v[52:53] neg_lo:[0,1] neg_hi:[0,1]
	s_delay_alu instid0(VALU_DEP_1) | instskip(NEXT) | instid1(VALU_DEP_1)
	v_pk_add_f32 v[48:49], v[48:49], v[50:51] neg_lo:[0,1] neg_hi:[0,1]
	v_add_f32_e32 v23, v23, v49
	s_delay_alu instid0(VALU_DEP_1) | instskip(SKIP_1) | instid1(VALU_DEP_1)
	v_add_f32_e32 v23, v48, v23
	v_sub_f32_e32 v48, v39, v55
	v_dual_add_f32 v23, v53, v23 :: v_dual_sub_f32 v47, v47, v48
	v_cvt_f32_i32_e32 v48, v7
	s_delay_alu instid0(VALU_DEP_2) | instskip(NEXT) | instid1(VALU_DEP_1)
	v_mul_f32_e32 v23, v37, v23
	v_add_f32_e32 v37, v47, v23
	s_delay_alu instid0(VALU_DEP_1) | instskip(NEXT) | instid1(VALU_DEP_1)
	v_add_f32_e32 v47, v39, v37
	v_mul_f32_e32 v23, v47, v47
	v_ldexp_f32 v53, v47, 1
	s_delay_alu instid0(VALU_DEP_2) | instskip(NEXT) | instid1(VALU_DEP_1)
	v_dual_fmaak_f32 v50, s23, v23, 0x3ecc95a3 :: v_dual_mul_f32 v49, v47, v23
	v_fmaak_f32 v23, v23, v50, 0x3f2aaada
	s_delay_alu instid0(VALU_DEP_1) | instskip(NEXT) | instid1(VALU_DEP_1)
	v_pk_mul_f32 v[50:51], v[48:49], v[22:23]
	v_fma_f32 v52, 0x3f317218, v48, -v50
	v_mov_b32_e32 v54, v50
	s_delay_alu instid0(VALU_DEP_2) | instskip(NEXT) | instid1(VALU_DEP_1)
	v_fmac_f32_e32 v52, 0xb102e308, v48
	v_pk_add_f32 v[48:49], v[50:51], v[52:53]
	s_delay_alu instid0(VALU_DEP_1) | instskip(NEXT) | instid1(VALU_DEP_2)
	v_dual_sub_f32 v23, v49, v53 :: v_dual_sub_f32 v7, v47, v39
	v_dual_mov_b32 v53, v48 :: v_dual_mov_b32 v62, v49
	s_delay_alu instid0(VALU_DEP_2) | instskip(NEXT) | instid1(VALU_DEP_3)
	v_sub_f32_e32 v23, v51, v23
	v_sub_f32_e32 v7, v37, v7
	v_pk_add_f32 v[50:51], v[48:49], v[50:51] neg_lo:[0,1] neg_hi:[0,1]
	s_delay_alu instid0(VALU_DEP_2) | instskip(NEXT) | instid1(VALU_DEP_1)
	v_ldexp_f32 v7, v7, 1
	v_add_f32_e32 v55, v7, v23
	s_delay_alu instid0(VALU_DEP_1) | instskip(NEXT) | instid1(VALU_DEP_1)
	v_pk_add_f32 v[56:57], v[48:49], v[54:55]
	v_mov_b32_e32 v51, v57
	s_delay_alu instid0(VALU_DEP_1) | instskip(SKIP_2) | instid1(VALU_DEP_3)
	v_pk_add_f32 v[58:59], v[52:53], v[50:51]
	v_mov_b32_e32 v58, v57
	v_pk_add_f32 v[50:51], v[52:53], v[50:51] neg_lo:[0,1] neg_hi:[0,1]
	v_dual_mov_b32 v54, v59 :: v_dual_mov_b32 v51, v59
	s_delay_alu instid0(VALU_DEP_1) | instskip(SKIP_1) | instid1(VALU_DEP_2)
	v_pk_add_f32 v[60:61], v[54:55], v[48:49] neg_lo:[0,1] neg_hi:[0,1]
	v_dual_mov_b32 v49, v48 :: v_dual_mov_b32 v48, v55
	v_dual_mov_b32 v63, v60 :: v_dual_mov_b32 v7, v60
	s_delay_alu instid0(VALU_DEP_1) | instskip(NEXT) | instid1(VALU_DEP_2)
	v_pk_add_f32 v[60:61], v[58:59], v[62:63] neg_lo:[0,1] neg_hi:[0,1]
	v_pk_add_f32 v[52:53], v[56:57], v[6:7] neg_lo:[0,1] neg_hi:[0,1]
	v_mov_b32_e32 v52, v50
	s_delay_alu instid0(VALU_DEP_3) | instskip(NEXT) | instid1(VALU_DEP_1)
	v_pk_add_f32 v[48:49], v[48:49], v[60:61] neg_lo:[0,1] neg_hi:[0,1]
	v_pk_add_f32 v[52:53], v[52:53], v[48:49]
	s_delay_alu instid0(VALU_DEP_1) | instskip(NEXT) | instid1(VALU_DEP_1)
	v_mov_b32_e32 v56, v53
	v_pk_add_f32 v[56:57], v[52:53], v[56:57]
	s_delay_alu instid0(VALU_DEP_1) | instskip(NEXT) | instid1(VALU_DEP_1)
	v_pk_add_f32 v[54:55], v[54:55], v[56:57]
	v_dual_mov_b32 v49, v56 :: v_dual_mov_b32 v53, v54
	s_delay_alu instid0(VALU_DEP_1) | instskip(NEXT) | instid1(VALU_DEP_1)
	v_pk_add_f32 v[58:59], v[52:53], v[50:51] neg_lo:[0,1] neg_hi:[0,1]
	v_sub_f32_e32 v7, v52, v58
	s_delay_alu instid0(VALU_DEP_2) | instskip(NEXT) | instid1(VALU_DEP_2)
	v_pk_add_f32 v[48:49], v[48:49], v[58:59] neg_lo:[0,1] neg_hi:[0,1]
	v_sub_f32_e32 v7, v50, v7
	s_delay_alu instid0(VALU_DEP_1) | instskip(NEXT) | instid1(VALU_DEP_1)
	v_add_f32_e32 v7, v48, v7
	v_add_f32_e32 v7, v7, v49
	s_delay_alu instid0(VALU_DEP_1) | instskip(NEXT) | instid1(VALU_DEP_1)
	v_add_f32_e32 v7, v54, v7
	v_cndmask_b32_e32 v7, 0x7f800000, v7, vcc_lo
	v_cmp_ngt_f32_e32 vcc_lo, -1.0, v46
	s_delay_alu instid0(VALU_DEP_2) | instskip(SKIP_1) | instid1(VALU_DEP_2)
	v_cndmask_b32_e32 v7, 0x7fc00000, v7, vcc_lo
	v_cmp_neq_f32_e32 vcc_lo, -1.0, v46
	v_cndmask_b32_e32 v7, 0xff800000, v7, vcc_lo
	v_cmp_gt_f32_e64 vcc_lo, 0x33800000, |v46|
	s_delay_alu instid0(VALU_DEP_2)
	v_cndmask_b32_e32 v7, v7, v46, vcc_lo
.LBB62_329:                             ;   in Loop: Header=BB62_4 Depth=1
	s_and_not1_saveexec_b32 s31, s31
	s_cbranch_execz .LBB62_335
; %bb.330:                              ;   in Loop: Header=BB62_4 Depth=1
	s_mov_b32 s33, exec_lo
                                        ; implicit-def: $vgpr7
	v_cmpx_nlt_f32_e64 |v34|, 1.0
	s_xor_b32 s33, exec_lo, s33
	s_cbranch_execz .LBB62_332
; %bb.331:                              ;   in Loop: Header=BB62_4 Depth=1
	v_mul_f32_e32 v7, v42, v43
	s_delay_alu instid0(VALU_DEP_1) | instskip(SKIP_1) | instid1(VALU_DEP_2)
	v_mul_f32_e32 v23, 0x4f800000, v7
	v_cmp_gt_f32_e32 vcc_lo, 0xf800000, v7
	v_cndmask_b32_e32 v7, v7, v23, vcc_lo
	s_delay_alu instid0(VALU_DEP_1) | instskip(SKIP_1) | instid1(TRANS32_DEP_1)
	v_sqrt_f32_e32 v23, v7
	v_nop
	v_dual_add_nc_u32 v37, -1, v23 :: v_dual_add_nc_u32 v39, 1, v23
	s_delay_alu instid0(VALU_DEP_1) | instskip(NEXT) | instid1(VALU_DEP_1)
	v_dual_fma_f32 v46, -v37, v23, v7 :: v_dual_fma_f32 v47, -v39, v23, v7
	v_cmp_ge_f32_e64 s6, 0, v46
	s_delay_alu instid0(VALU_DEP_1) | instskip(NEXT) | instid1(VALU_DEP_3)
	v_cndmask_b32_e64 v23, v23, v37, s6
	v_cmp_lt_f32_e64 s6, 0, v47
	s_delay_alu instid0(VALU_DEP_1) | instskip(NEXT) | instid1(VALU_DEP_1)
	v_cndmask_b32_e64 v23, v23, v39, s6
	v_mul_f32_e32 v37, 0x37800000, v23
	s_delay_alu instid0(VALU_DEP_1) | instskip(SKIP_1) | instid1(VALU_DEP_2)
	v_cndmask_b32_e32 v23, v23, v37, vcc_lo
	v_cmp_class_f32_e64 vcc_lo, v7, 0x260
	v_cndmask_b32_e32 v7, v23, v7, vcc_lo
	s_delay_alu instid0(VALU_DEP_1) | instskip(NEXT) | instid1(VALU_DEP_1)
	v_add_f32_e32 v46, v42, v7
	v_add_f32_e32 v49, 1.0, v46
	s_delay_alu instid0(VALU_DEP_1) | instskip(SKIP_2) | instid1(VALU_DEP_2)
	v_cvt_f64_f32_e32 v[50:51], v49
	v_frexp_mant_f32_e32 v23, v49
	v_add_f32_e32 v47, -1.0, v49
	v_cmp_gt_f32_e32 vcc_lo, 0x3f2aaaab, v23
	s_delay_alu instid0(VALU_DEP_2) | instskip(SKIP_1) | instid1(VALU_DEP_2)
	v_mov_b32_e32 v48, v47
	v_frexp_exp_i32_f64_e32 v7, v[50:51]
	v_pk_add_f32 v[50:51], v[46:47], v[48:49] neg_lo:[0,1] neg_hi:[0,1]
	s_delay_alu instid0(VALU_DEP_1) | instskip(NEXT) | instid1(VALU_DEP_3)
	v_add_f32_e32 v39, 1.0, v51
	v_subrev_co_ci_u32_e64 v7, null, 0, v7, vcc_lo
	v_cmp_neq_f32_e32 vcc_lo, 0x7f800000, v46
	s_delay_alu instid0(VALU_DEP_2) | instskip(NEXT) | instid1(VALU_DEP_1)
	v_sub_nc_u32_e32 v23, 0, v7
	v_ldexp_f32 v37, v49, v23
	s_delay_alu instid0(VALU_DEP_1) | instskip(SKIP_1) | instid1(VALU_DEP_1)
	v_dual_add_f32 v47, 1.0, v37 :: v_dual_add_f32 v53, -1.0, v37
	v_add_f32_e32 v39, v50, v39
	v_ldexp_f32 v23, v39, v23
	s_delay_alu instid0(VALU_DEP_3) | instskip(NEXT) | instid1(VALU_DEP_1)
	v_add_f32_e32 v48, -1.0, v47
	v_dual_sub_f32 v39, v37, v48 :: v_dual_add_f32 v48, 1.0, v53
	s_delay_alu instid0(VALU_DEP_1) | instskip(NEXT) | instid1(VALU_DEP_1)
	v_dual_sub_f32 v37, v37, v48 :: v_dual_add_f32 v39, v23, v39
	v_add_f32_e32 v23, v23, v37
	s_delay_alu instid0(VALU_DEP_2) | instskip(NEXT) | instid1(VALU_DEP_2)
	v_add_f32_e32 v54, v47, v39
	v_add_f32_e32 v49, v53, v23
	s_delay_alu instid0(VALU_DEP_2) | instskip(SKIP_1) | instid1(TRANS32_DEP_1)
	v_rcp_f32_e32 v37, v54
	v_nop
	v_mul_f32_e32 v55, v49, v37
	s_delay_alu instid0(VALU_DEP_1) | instskip(NEXT) | instid1(VALU_DEP_1)
	v_mul_f32_e32 v50, v54, v55
	v_dual_fma_f32 v52, v55, v54, -v50 :: v_dual_sub_f32 v47, v54, v47
	s_delay_alu instid0(VALU_DEP_1) | instskip(NEXT) | instid1(VALU_DEP_1)
	v_dual_sub_f32 v39, v39, v47 :: v_dual_sub_f32 v47, v49, v53
	v_fmac_f32_e32 v52, v55, v39
	s_delay_alu instid0(VALU_DEP_1) | instskip(NEXT) | instid1(VALU_DEP_1)
	v_dual_sub_f32 v23, v23, v47 :: v_dual_add_f32 v48, v50, v52
	v_dual_sub_f32 v51, v49, v48 :: v_dual_mov_b32 v53, v48
	s_delay_alu instid0(VALU_DEP_1) | instskip(NEXT) | instid1(VALU_DEP_1)
	v_pk_add_f32 v[48:49], v[48:49], v[50:51] neg_lo:[0,1] neg_hi:[0,1]
	v_pk_add_f32 v[48:49], v[48:49], v[52:53] neg_lo:[0,1] neg_hi:[0,1]
	s_delay_alu instid0(VALU_DEP_1) | instskip(NEXT) | instid1(VALU_DEP_1)
	v_add_f32_e32 v23, v23, v49
	v_add_f32_e32 v23, v48, v23
	s_delay_alu instid0(VALU_DEP_1) | instskip(NEXT) | instid1(VALU_DEP_1)
	v_add_f32_e32 v49, v51, v23
	v_mul_f32_e32 v47, v37, v49
	s_delay_alu instid0(VALU_DEP_1) | instskip(NEXT) | instid1(VALU_DEP_1)
	v_mul_f32_e32 v52, v54, v47
	v_fma_f32 v50, v47, v54, -v52
	s_delay_alu instid0(VALU_DEP_1) | instskip(NEXT) | instid1(VALU_DEP_1)
	v_fmac_f32_e32 v50, v47, v39
	v_dual_sub_f32 v39, v51, v49 :: v_dual_add_f32 v48, v52, v50
	s_delay_alu instid0(VALU_DEP_1) | instskip(NEXT) | instid1(VALU_DEP_2)
	v_add_f32_e32 v23, v23, v39
	v_dual_add_f32 v39, v55, v47 :: v_dual_mov_b32 v51, v48
	v_sub_f32_e32 v53, v49, v48
	s_delay_alu instid0(VALU_DEP_1) | instskip(NEXT) | instid1(VALU_DEP_1)
	v_pk_add_f32 v[48:49], v[48:49], v[52:53] neg_lo:[0,1] neg_hi:[0,1]
	v_pk_add_f32 v[48:49], v[48:49], v[50:51] neg_lo:[0,1] neg_hi:[0,1]
	s_delay_alu instid0(VALU_DEP_1) | instskip(NEXT) | instid1(VALU_DEP_1)
	v_add_f32_e32 v23, v23, v49
	v_add_f32_e32 v23, v48, v23
	v_sub_f32_e32 v48, v39, v55
	s_delay_alu instid0(VALU_DEP_1) | instskip(SKIP_1) | instid1(VALU_DEP_2)
	v_dual_add_f32 v23, v53, v23 :: v_dual_sub_f32 v47, v47, v48
	v_cvt_f32_i32_e32 v48, v7
	v_mul_f32_e32 v23, v37, v23
	s_delay_alu instid0(VALU_DEP_1) | instskip(NEXT) | instid1(VALU_DEP_1)
	v_add_f32_e32 v37, v47, v23
	v_add_f32_e32 v47, v39, v37
	s_delay_alu instid0(VALU_DEP_1) | instskip(SKIP_1) | instid1(VALU_DEP_2)
	v_mul_f32_e32 v23, v47, v47
	v_ldexp_f32 v53, v47, 1
	v_dual_fmaak_f32 v50, s23, v23, 0x3ecc95a3 :: v_dual_mul_f32 v49, v47, v23
	s_delay_alu instid0(VALU_DEP_1) | instskip(NEXT) | instid1(VALU_DEP_1)
	v_fmaak_f32 v23, v23, v50, 0x3f2aaada
	v_pk_mul_f32 v[50:51], v[48:49], v[22:23]
	s_delay_alu instid0(VALU_DEP_1) | instskip(SKIP_1) | instid1(VALU_DEP_2)
	v_fma_f32 v52, 0x3f317218, v48, -v50
	v_mov_b32_e32 v54, v50
	v_fmac_f32_e32 v52, 0xb102e308, v48
	s_delay_alu instid0(VALU_DEP_1) | instskip(NEXT) | instid1(VALU_DEP_1)
	v_pk_add_f32 v[48:49], v[50:51], v[52:53]
	v_dual_sub_f32 v23, v49, v53 :: v_dual_sub_f32 v7, v47, v39
	s_delay_alu instid0(VALU_DEP_2) | instskip(NEXT) | instid1(VALU_DEP_2)
	v_dual_mov_b32 v53, v48 :: v_dual_mov_b32 v62, v49
	v_sub_f32_e32 v23, v51, v23
	s_delay_alu instid0(VALU_DEP_3) | instskip(SKIP_1) | instid1(VALU_DEP_2)
	v_sub_f32_e32 v7, v37, v7
	v_pk_add_f32 v[50:51], v[48:49], v[50:51] neg_lo:[0,1] neg_hi:[0,1]
	v_ldexp_f32 v7, v7, 1
	s_delay_alu instid0(VALU_DEP_1) | instskip(NEXT) | instid1(VALU_DEP_1)
	v_add_f32_e32 v55, v7, v23
	v_pk_add_f32 v[56:57], v[48:49], v[54:55]
	s_delay_alu instid0(VALU_DEP_1) | instskip(NEXT) | instid1(VALU_DEP_1)
	v_mov_b32_e32 v51, v57
	v_pk_add_f32 v[58:59], v[52:53], v[50:51]
	v_mov_b32_e32 v58, v57
	v_pk_add_f32 v[50:51], v[52:53], v[50:51] neg_lo:[0,1] neg_hi:[0,1]
	s_delay_alu instid0(VALU_DEP_3) | instskip(NEXT) | instid1(VALU_DEP_1)
	v_dual_mov_b32 v54, v59 :: v_dual_mov_b32 v51, v59
	v_pk_add_f32 v[60:61], v[54:55], v[48:49] neg_lo:[0,1] neg_hi:[0,1]
	v_dual_mov_b32 v49, v48 :: v_dual_mov_b32 v48, v55
	s_delay_alu instid0(VALU_DEP_2) | instskip(NEXT) | instid1(VALU_DEP_1)
	v_dual_mov_b32 v63, v60 :: v_dual_mov_b32 v7, v60
	v_pk_add_f32 v[60:61], v[58:59], v[62:63] neg_lo:[0,1] neg_hi:[0,1]
	s_delay_alu instid0(VALU_DEP_2) | instskip(SKIP_1) | instid1(VALU_DEP_3)
	v_pk_add_f32 v[52:53], v[56:57], v[6:7] neg_lo:[0,1] neg_hi:[0,1]
	v_mov_b32_e32 v52, v50
	v_pk_add_f32 v[48:49], v[48:49], v[60:61] neg_lo:[0,1] neg_hi:[0,1]
	s_delay_alu instid0(VALU_DEP_1) | instskip(NEXT) | instid1(VALU_DEP_1)
	v_pk_add_f32 v[52:53], v[52:53], v[48:49]
	v_mov_b32_e32 v56, v53
	s_delay_alu instid0(VALU_DEP_1) | instskip(NEXT) | instid1(VALU_DEP_1)
	v_pk_add_f32 v[56:57], v[52:53], v[56:57]
	v_pk_add_f32 v[54:55], v[54:55], v[56:57]
	s_delay_alu instid0(VALU_DEP_1) | instskip(NEXT) | instid1(VALU_DEP_1)
	v_dual_mov_b32 v49, v56 :: v_dual_mov_b32 v53, v54
	v_pk_add_f32 v[58:59], v[52:53], v[50:51] neg_lo:[0,1] neg_hi:[0,1]
	s_delay_alu instid0(VALU_DEP_1) | instskip(NEXT) | instid1(VALU_DEP_2)
	v_sub_f32_e32 v7, v52, v58
	v_pk_add_f32 v[48:49], v[48:49], v[58:59] neg_lo:[0,1] neg_hi:[0,1]
	s_delay_alu instid0(VALU_DEP_2) | instskip(NEXT) | instid1(VALU_DEP_1)
	v_sub_f32_e32 v7, v50, v7
	v_add_f32_e32 v7, v48, v7
	s_delay_alu instid0(VALU_DEP_1) | instskip(NEXT) | instid1(VALU_DEP_1)
	v_add_f32_e32 v7, v7, v49
	v_add_f32_e32 v7, v54, v7
	s_delay_alu instid0(VALU_DEP_1) | instskip(SKIP_1) | instid1(VALU_DEP_2)
	v_cndmask_b32_e32 v7, 0x7f800000, v7, vcc_lo
	v_cmp_ngt_f32_e32 vcc_lo, -1.0, v46
	v_cndmask_b32_e32 v7, 0x7fc00000, v7, vcc_lo
	v_cmp_neq_f32_e32 vcc_lo, -1.0, v46
	s_delay_alu instid0(VALU_DEP_2) | instskip(SKIP_1) | instid1(VALU_DEP_2)
	v_cndmask_b32_e32 v7, 0xff800000, v7, vcc_lo
	v_cmp_gt_f32_e64 vcc_lo, 0x33800000, |v46|
	v_cndmask_b32_e32 v7, v7, v46, vcc_lo
.LBB62_332:                             ;   in Loop: Header=BB62_4 Depth=1
	s_and_not1_saveexec_b32 s33, s33
	s_cbranch_execz .LBB62_334
; %bb.333:                              ;   in Loop: Header=BB62_4 Depth=1
	v_sub_f32_e64 v7, 1.0, |v34|
	s_delay_alu instid0(VALU_DEP_1) | instskip(NEXT) | instid1(VALU_DEP_1)
	v_mul_f32_e32 v7, v7, v43
	v_mul_f32_e32 v23, 0x4f800000, v7
	v_cmp_gt_f32_e32 vcc_lo, 0xf800000, v7
	s_delay_alu instid0(VALU_DEP_2) | instskip(NEXT) | instid1(VALU_DEP_1)
	v_cndmask_b32_e32 v7, v7, v23, vcc_lo
	v_sqrt_f32_e32 v23, v7
	v_nop
	s_delay_alu instid0(TRANS32_DEP_1) | instskip(NEXT) | instid1(VALU_DEP_1)
	v_dual_add_nc_u32 v37, -1, v23 :: v_dual_add_nc_u32 v39, 1, v23
	v_dual_fma_f32 v46, -v37, v23, v7 :: v_dual_fma_f32 v47, -v39, v23, v7
	s_delay_alu instid0(VALU_DEP_1) | instskip(NEXT) | instid1(VALU_DEP_1)
	v_cmp_ge_f32_e64 s6, 0, v46
	v_cndmask_b32_e64 v23, v23, v37, s6
	s_delay_alu instid0(VALU_DEP_3) | instskip(NEXT) | instid1(VALU_DEP_1)
	v_cmp_lt_f32_e64 s6, 0, v47
	v_cndmask_b32_e64 v23, v23, v39, s6
	s_delay_alu instid0(VALU_DEP_1) | instskip(NEXT) | instid1(VALU_DEP_1)
	v_mul_f32_e32 v37, 0x37800000, v23
	v_cndmask_b32_e32 v23, v23, v37, vcc_lo
	v_cmp_class_f32_e64 vcc_lo, v7, 0x260
	v_and_b32_e32 v37, 0x7fffffff, v35
	s_delay_alu instid0(VALU_DEP_3) | instskip(NEXT) | instid1(VALU_DEP_1)
	v_cndmask_b32_e32 v7, v23, v7, vcc_lo
	v_div_scale_f32 v23, null, v7, v7, v37
	v_div_scale_f32 v37, vcc_lo, v37, v7, v37
	s_delay_alu instid0(VALU_DEP_2) | instskip(SKIP_1) | instid1(TRANS32_DEP_1)
	v_rcp_f32_e32 v39, v23
	v_nop
	v_fma_f32 v46, -v23, v39, 1.0
	s_delay_alu instid0(VALU_DEP_1) | instskip(NEXT) | instid1(VALU_DEP_1)
	v_fmac_f32_e32 v39, v46, v39
	v_mul_f32_e32 v46, v37, v39
	s_delay_alu instid0(VALU_DEP_1) | instskip(NEXT) | instid1(VALU_DEP_1)
	v_fma_f32 v47, -v23, v46, v37
	v_fmac_f32_e32 v46, v47, v39
	s_delay_alu instid0(VALU_DEP_1) | instskip(NEXT) | instid1(VALU_DEP_1)
	v_fma_f32 v23, -v23, v46, v37
	v_div_fmas_f32 v23, v23, v39, v46
	s_delay_alu instid0(VALU_DEP_1)
	v_div_fixup_f32 v7, v23, v7, |v35|
.LBB62_334:                             ;   in Loop: Header=BB62_4 Depth=1
	s_or_b32 exec_lo, exec_lo, s33
.LBB62_335:                             ;   in Loop: Header=BB62_4 Depth=1
	s_delay_alu instid0(SALU_CYCLE_1)
	s_or_b32 exec_lo, exec_lo, s31
.LBB62_336:                             ;   in Loop: Header=BB62_4 Depth=1
	s_and_not1_saveexec_b32 s30, s30
	s_cbranch_execz .LBB62_338
; %bb.337:                              ;   in Loop: Header=BB62_4 Depth=1
	v_mul_f32_e64 v7, 0x4f800000, |v35|
	v_cmp_gt_f32_e64 vcc_lo, 0xf800000, |v35|
	s_delay_alu instid0(VALU_DEP_1) | instskip(NEXT) | instid1(VALU_DEP_1)
	v_cndmask_b32_e64 v7, |v35|, v7, vcc_lo
	v_sqrt_f32_e32 v23, v7
	v_nop
	s_delay_alu instid0(TRANS32_DEP_1) | instskip(NEXT) | instid1(VALU_DEP_1)
	v_dual_add_nc_u32 v37, -1, v23 :: v_dual_add_nc_u32 v39, 1, v23
	v_dual_fma_f32 v46, -v37, v23, v7 :: v_dual_fma_f32 v47, -v39, v23, v7
	s_delay_alu instid0(VALU_DEP_1) | instskip(NEXT) | instid1(VALU_DEP_1)
	v_cmp_ge_f32_e64 s6, 0, v46
	v_cndmask_b32_e64 v23, v23, v37, s6
	s_delay_alu instid0(VALU_DEP_3) | instskip(NEXT) | instid1(VALU_DEP_1)
	v_cmp_lt_f32_e64 s6, 0, v47
	v_cndmask_b32_e64 v23, v23, v39, s6
	s_delay_alu instid0(VALU_DEP_1) | instskip(NEXT) | instid1(VALU_DEP_1)
	v_mul_f32_e32 v37, 0x37800000, v23
	v_cndmask_b32_e32 v23, v23, v37, vcc_lo
	v_cmp_class_f32_e64 vcc_lo, v7, 0x260
	s_delay_alu instid0(VALU_DEP_2)
	v_cndmask_b32_e32 v7, v23, v7, vcc_lo
.LBB62_338:                             ;   in Loop: Header=BB62_4 Depth=1
	s_or_b32 exec_lo, exec_lo, s30
.LBB62_339:                             ;   in Loop: Header=BB62_4 Depth=1
	s_delay_alu instid0(SALU_CYCLE_1)
	s_or_b32 exec_lo, exec_lo, s7
	v_and_b32_e32 v39, 0x7fffffff, v34
	s_mov_b32 s30, exec_lo
                                        ; implicit-def: $sgpr6
                                        ; implicit-def: $vgpr23
	v_cmpx_ngt_f32_e64 0x21000000, |v34|
	s_xor_b32 s30, exec_lo, s30
	s_cbranch_execz .LBB62_363
; %bb.340:                              ;   in Loop: Header=BB62_4 Depth=1
	v_div_scale_f32 v23, null, v36, v36, v39
	s_mov_b32 s6, 0
	s_mov_b32 s31, exec_lo
	v_rcp_f32_e32 v37, v23
	v_nop
	s_delay_alu instid0(TRANS32_DEP_1) | instskip(NEXT) | instid1(VALU_DEP_1)
	v_fma_f32 v46, -v23, v37, 1.0
	v_fmac_f32_e32 v37, v46, v37
	v_div_scale_f32 v46, vcc_lo, v39, v36, v39
	s_delay_alu instid0(VALU_DEP_1) | instskip(NEXT) | instid1(VALU_DEP_1)
	v_mul_f32_e32 v47, v46, v37
	v_fma_f32 v48, -v23, v47, v46
	s_delay_alu instid0(VALU_DEP_1) | instskip(NEXT) | instid1(VALU_DEP_1)
	v_fmac_f32_e32 v47, v48, v37
	v_fma_f32 v23, -v23, v47, v46
	s_delay_alu instid0(VALU_DEP_1) | instskip(NEXT) | instid1(VALU_DEP_1)
	v_div_fmas_f32 v23, v23, v37, v47
	v_div_fixup_f32 v23, v23, v36, |v34|
	s_delay_alu instid0(VALU_DEP_1)
	v_cmpx_lt_f32_e32 0x3f244674, v23
	s_cbranch_execz .LBB62_362
; %bb.341:                              ;   in Loop: Header=BB62_4 Depth=1
	v_cmp_neq_f32_e64 s6, |v34|, 1.0
	v_cmp_ngt_f32_e64 s7, 0x30800000, |v35|
	s_or_b32 s6, s7, s6
	s_delay_alu instid0(SALU_CYCLE_1) | instskip(NEXT) | instid1(SALU_CYCLE_1)
	s_and_saveexec_b32 s7, s6
	s_xor_b32 s7, exec_lo, s7
	s_cbranch_execz .LBB62_359
; %bb.342:                              ;   in Loop: Header=BB62_4 Depth=1
	v_mul_f32_e64 v37, 0x34000000, |v42|
	s_mov_b32 s33, exec_lo
	s_delay_alu instid0(VALU_DEP_1)
	v_cmpx_ge_f32_e64 |v35|, v37
	s_xor_b32 s33, exec_lo, s33
	s_cbranch_execz .LBB62_352
; %bb.343:                              ;   in Loop: Header=BB62_4 Depth=1
	v_mov_b32_e32 v37, v44
	s_mov_b32 s6, exec_lo
	v_cmpx_neq_f32_e32 0, v43
	s_cbranch_execz .LBB62_345
; %bb.344:                              ;   in Loop: Header=BB62_4 Depth=1
	v_mul_f32_e32 v37, v35, v35
	v_add_f32_e32 v43, v43, v45
	s_delay_alu instid0(VALU_DEP_1) | instskip(NEXT) | instid1(VALU_DEP_1)
	v_div_scale_f32 v45, null, v43, v43, v37
	v_rcp_f32_e32 v46, v45
	v_nop
	s_delay_alu instid0(TRANS32_DEP_1) | instskip(NEXT) | instid1(VALU_DEP_1)
	v_fma_f32 v47, -v45, v46, 1.0
	v_fmac_f32_e32 v46, v47, v46
	v_div_scale_f32 v47, vcc_lo, v37, v43, v37
	s_delay_alu instid0(VALU_DEP_1) | instskip(NEXT) | instid1(VALU_DEP_1)
	v_mul_f32_e32 v48, v47, v46
	v_fma_f32 v49, -v45, v48, v47
	s_delay_alu instid0(VALU_DEP_1) | instskip(NEXT) | instid1(VALU_DEP_1)
	v_fmac_f32_e32 v48, v49, v46
	v_fma_f32 v45, -v45, v48, v47
	s_delay_alu instid0(VALU_DEP_1) | instskip(NEXT) | instid1(VALU_DEP_1)
	v_div_fmas_f32 v45, v45, v46, v48
	v_div_fixup_f32 v37, v45, v43, v37
.LBB62_345:                             ;   in Loop: Header=BB62_4 Depth=1
	s_or_b32 exec_lo, exec_lo, s6
	s_delay_alu instid0(SALU_CYCLE_1)
	s_mov_b32 s6, exec_lo
	v_cmpx_ngt_f32_e32 0, v42
	s_xor_b32 s6, exec_lo, s6
	s_cbranch_execz .LBB62_349
; %bb.346:                              ;   in Loop: Header=BB62_4 Depth=1
	s_mov_b32 s34, exec_lo
	v_cmpx_neq_f32_e32 0, v42
	s_cbranch_execz .LBB62_348
; %bb.347:                              ;   in Loop: Header=BB62_4 Depth=1
	v_dual_mul_f32 v43, v35, v35 :: v_dual_add_f32 v38, v42, v38
	s_delay_alu instid0(VALU_DEP_1) | instskip(NEXT) | instid1(VALU_DEP_1)
	v_div_scale_f32 v42, null, v38, v38, v43
	v_rcp_f32_e32 v44, v42
	v_nop
	s_delay_alu instid0(TRANS32_DEP_1) | instskip(NEXT) | instid1(VALU_DEP_1)
	v_fma_f32 v45, -v42, v44, 1.0
	v_fmac_f32_e32 v44, v45, v44
	v_div_scale_f32 v45, vcc_lo, v43, v38, v43
	s_delay_alu instid0(VALU_DEP_1) | instskip(NEXT) | instid1(VALU_DEP_1)
	v_mul_f32_e32 v46, v45, v44
	v_fma_f32 v47, -v42, v46, v45
	s_delay_alu instid0(VALU_DEP_1) | instskip(NEXT) | instid1(VALU_DEP_1)
	v_fmac_f32_e32 v46, v47, v44
	v_fma_f32 v42, -v42, v46, v45
	s_delay_alu instid0(VALU_DEP_1) | instskip(NEXT) | instid1(VALU_DEP_1)
	v_div_fmas_f32 v42, v42, v44, v46
	v_div_fixup_f32 v44, v42, v38, v43
.LBB62_348:                             ;   in Loop: Header=BB62_4 Depth=1
	s_or_b32 exec_lo, exec_lo, s34
                                        ; implicit-def: $vgpr38
                                        ; implicit-def: $vgpr42
.LBB62_349:                             ;   in Loop: Header=BB62_4 Depth=1
	s_and_not1_saveexec_b32 s6, s6
; %bb.350:                              ;   in Loop: Header=BB62_4 Depth=1
	v_sub_f32_e32 v44, v38, v42
; %bb.351:                              ;   in Loop: Header=BB62_4 Depth=1
	s_or_b32 exec_lo, exec_lo, s6
	s_delay_alu instid0(VALU_DEP_1) | instskip(SKIP_1) | instid1(VALU_DEP_1)
	v_dual_mul_f32 v43, 0.5, v37 :: v_dual_mul_f32 v37, 0.5, v44
	v_and_b32_e32 v42, 0x7fffffff, v34
	v_pk_add_f32 v[36:37], v[42:43], v[36:37]
	s_delay_alu instid0(VALU_DEP_1) | instskip(NEXT) | instid1(VALU_DEP_1)
	v_mul_f32_e32 v36, v36, v37
	v_mul_f32_e32 v37, 0x4f800000, v36
	v_cmp_gt_f32_e32 vcc_lo, 0xf800000, v36
	s_delay_alu instid0(VALU_DEP_2) | instskip(NEXT) | instid1(VALU_DEP_1)
	v_cndmask_b32_e32 v36, v36, v37, vcc_lo
	v_sqrt_f32_e32 v37, v36
	v_nop
	s_delay_alu instid0(TRANS32_DEP_1) | instskip(NEXT) | instid1(VALU_DEP_1)
	v_dual_add_nc_u32 v38, -1, v37 :: v_dual_add_nc_u32 v42, 1, v37
	v_fma_f32 v43, -v38, v37, v36
	s_delay_alu instid0(VALU_DEP_2) | instskip(NEXT) | instid1(VALU_DEP_2)
	v_fma_f32 v44, -v42, v37, v36
	v_cmp_ge_f32_e64 s6, 0, v43
                                        ; implicit-def: $vgpr43
	s_delay_alu instid0(VALU_DEP_1) | instskip(NEXT) | instid1(VALU_DEP_3)
	v_cndmask_b32_e64 v37, v37, v38, s6
	v_cmp_lt_f32_e64 s6, 0, v44
	s_delay_alu instid0(VALU_DEP_1) | instskip(NEXT) | instid1(VALU_DEP_1)
	v_cndmask_b32_e64 v37, v37, v42, s6
                                        ; implicit-def: $vgpr42
	v_mul_f32_e32 v38, 0x37800000, v37
	s_delay_alu instid0(VALU_DEP_1) | instskip(SKIP_1) | instid1(VALU_DEP_2)
	v_cndmask_b32_e32 v37, v37, v38, vcc_lo
	v_cmp_class_f32_e64 vcc_lo, v36, 0x260
	v_cndmask_b32_e32 v38, v37, v36, vcc_lo
.LBB62_352:                             ;   in Loop: Header=BB62_4 Depth=1
	s_and_not1_saveexec_b32 s33, s33
	s_cbranch_execz .LBB62_358
; %bb.353:                              ;   in Loop: Header=BB62_4 Depth=1
	s_mov_b32 s34, exec_lo
	v_cmpx_ngt_f32_e64 |v34|, 1.0
	s_xor_b32 s34, exec_lo, s34
	s_cbranch_execz .LBB62_355
; %bb.354:                              ;   in Loop: Header=BB62_4 Depth=1
	v_sub_f32_e64 v36, 1.0, |v34|
	s_delay_alu instid0(VALU_DEP_1) | instskip(NEXT) | instid1(VALU_DEP_1)
	v_mul_f32_e32 v36, v36, v43
	v_mul_f32_e32 v37, 0x4f800000, v36
	v_cmp_gt_f32_e32 vcc_lo, 0xf800000, v36
	s_delay_alu instid0(VALU_DEP_2) | instskip(NEXT) | instid1(VALU_DEP_1)
	v_cndmask_b32_e32 v36, v36, v37, vcc_lo
	v_sqrt_f32_e32 v37, v36
	v_nop
	s_delay_alu instid0(TRANS32_DEP_1) | instskip(NEXT) | instid1(VALU_DEP_1)
	v_dual_add_nc_u32 v38, -1, v37 :: v_dual_add_nc_u32 v42, 1, v37
	v_fma_f32 v43, -v38, v37, v36
	s_delay_alu instid0(VALU_DEP_2) | instskip(NEXT) | instid1(VALU_DEP_2)
	v_fma_f32 v44, -v42, v37, v36
	v_cmp_ge_f32_e64 s6, 0, v43
                                        ; implicit-def: $vgpr43
	s_delay_alu instid0(VALU_DEP_1) | instskip(NEXT) | instid1(VALU_DEP_3)
	v_cndmask_b32_e64 v37, v37, v38, s6
	v_cmp_lt_f32_e64 s6, 0, v44
	s_delay_alu instid0(VALU_DEP_1) | instskip(NEXT) | instid1(VALU_DEP_1)
	v_cndmask_b32_e64 v37, v37, v42, s6
                                        ; implicit-def: $vgpr42
	v_mul_f32_e32 v38, 0x37800000, v37
	s_delay_alu instid0(VALU_DEP_1) | instskip(SKIP_1) | instid1(VALU_DEP_2)
	v_cndmask_b32_e32 v37, v37, v38, vcc_lo
	v_cmp_class_f32_e64 vcc_lo, v36, 0x260
	v_cndmask_b32_e32 v38, v37, v36, vcc_lo
.LBB62_355:                             ;   in Loop: Header=BB62_4 Depth=1
	s_and_not1_saveexec_b32 s34, s34
	s_cbranch_execz .LBB62_357
; %bb.356:                              ;   in Loop: Header=BB62_4 Depth=1
	v_mul_f32_e32 v36, v43, v42
	s_delay_alu instid0(VALU_DEP_1) | instskip(SKIP_1) | instid1(VALU_DEP_2)
	v_mul_f32_e32 v37, 0x4f800000, v36
	v_cmp_gt_f32_e32 vcc_lo, 0xf800000, v36
	v_cndmask_b32_e32 v36, v36, v37, vcc_lo
	s_delay_alu instid0(VALU_DEP_1) | instskip(SKIP_1) | instid1(TRANS32_DEP_1)
	v_sqrt_f32_e32 v37, v36
	v_nop
	v_dual_add_nc_u32 v38, -1, v37 :: v_dual_add_nc_u32 v39, 1, v37
	s_delay_alu instid0(VALU_DEP_1) | instskip(NEXT) | instid1(VALU_DEP_1)
	v_dual_fma_f32 v42, -v38, v37, v36 :: v_dual_fma_f32 v43, -v39, v37, v36
	v_cmp_ge_f32_e64 s6, 0, v42
	s_delay_alu instid0(VALU_DEP_1) | instskip(NEXT) | instid1(VALU_DEP_3)
	v_cndmask_b32_e64 v37, v37, v38, s6
	v_cmp_lt_f32_e64 s6, 0, v43
	s_delay_alu instid0(VALU_DEP_1) | instskip(SKIP_1) | instid1(VALU_DEP_2)
	v_cndmask_b32_e64 v37, v37, v39, s6
	v_mul_f32_e64 v39, 0x57800000, |v35|
	v_mul_f32_e32 v38, 0x37800000, v37
	s_delay_alu instid0(VALU_DEP_1) | instskip(SKIP_1) | instid1(VALU_DEP_4)
	v_cndmask_b32_e32 v37, v37, v38, vcc_lo
	v_cmp_class_f32_e64 vcc_lo, v36, 0x260
	v_mul_f32_e64 v38, |v34|, v39
	s_delay_alu instid0(VALU_DEP_3) | instskip(NEXT) | instid1(VALU_DEP_1)
	v_cndmask_b32_e32 v36, v37, v36, vcc_lo
	v_div_scale_f32 v37, null, v36, v36, v38
	v_div_scale_f32 v43, vcc_lo, v38, v36, v38
	s_delay_alu instid0(VALU_DEP_2) | instskip(SKIP_1) | instid1(TRANS32_DEP_1)
	v_rcp_f32_e32 v39, v37
	v_nop
	v_fma_f32 v42, -v37, v39, 1.0
	s_delay_alu instid0(VALU_DEP_1) | instskip(NEXT) | instid1(VALU_DEP_1)
	v_fmac_f32_e32 v39, v42, v39
	v_mul_f32_e32 v42, v43, v39
	s_delay_alu instid0(VALU_DEP_1) | instskip(NEXT) | instid1(VALU_DEP_1)
	v_fma_f32 v44, -v37, v42, v43
	v_fmac_f32_e32 v42, v44, v39
	s_delay_alu instid0(VALU_DEP_1) | instskip(NEXT) | instid1(VALU_DEP_1)
	v_fma_f32 v37, -v37, v42, v43
	v_div_fmas_f32 v37, v37, v39, v42
	v_mul_f32_e64 v39, 0x57800000, |v34|
	s_delay_alu instid0(VALU_DEP_2)
	v_div_fixup_f32 v38, v37, v36, v38
.LBB62_357:                             ;   in Loop: Header=BB62_4 Depth=1
	s_or_b32 exec_lo, exec_lo, s34
.LBB62_358:                             ;   in Loop: Header=BB62_4 Depth=1
	s_delay_alu instid0(SALU_CYCLE_1)
	s_or_b32 exec_lo, exec_lo, s33
                                        ; implicit-def: $vgpr36
.LBB62_359:                             ;   in Loop: Header=BB62_4 Depth=1
	s_and_not1_saveexec_b32 s33, s7
	s_cbranch_execz .LBB62_361
; %bb.360:                              ;   in Loop: Header=BB62_4 Depth=1
	v_add_f32_e32 v36, 1.0, v36
	v_mul_f32_e64 v37, 0x4f800000, |v35|
	v_cmp_gt_f32_e64 vcc_lo, 0xf800000, |v35|
	s_delay_alu instid0(VALU_DEP_3) | instskip(NEXT) | instid1(VALU_DEP_2)
	v_mul_f32_e32 v36, 0.5, v36
	v_cndmask_b32_e64 v37, |v35|, v37, vcc_lo
	s_delay_alu instid0(VALU_DEP_2) | instskip(SKIP_1) | instid1(VALU_DEP_1)
	v_mul_f32_e32 v38, 0x4f800000, v36
	v_cmp_gt_f32_e64 s6, 0xf800000, v36
	v_cndmask_b32_e64 v36, v36, v38, s6
	s_delay_alu instid0(VALU_DEP_4) | instskip(SKIP_1) | instid1(TRANS32_DEP_1)
	v_sqrt_f32_e32 v38, v37
	v_nop
	v_add_nc_u32_e32 v44, 1, v38
	s_delay_alu instid0(VALU_DEP_3) | instskip(NEXT) | instid1(VALU_DEP_1)
	v_sqrt_f32_e32 v39, v36
	v_dual_add_nc_u32 v42, -1, v38 :: v_dual_fma_f32 v48, -v44, v38, v37
	s_delay_alu instid0(TRANS32_DEP_1) | instid1(VALU_DEP_1)
	v_dual_fma_f32 v45, -v42, v38, v37 :: v_dual_add_nc_u32 v46, 1, v39
	v_add_nc_u32_e32 v43, -1, v39
	s_delay_alu instid0(VALU_DEP_2) | instskip(NEXT) | instid1(VALU_DEP_1)
	v_cmp_ge_f32_e64 s7, 0, v45
	v_dual_fma_f32 v47, -v43, v39, v36 :: v_dual_cndmask_b32 v38, v38, v42, s7
	s_delay_alu instid0(VALU_DEP_4) | instskip(NEXT) | instid1(VALU_DEP_2)
	v_fma_f32 v42, -v46, v39, v36
	v_cmp_ge_f32_e64 s7, 0, v47
	s_delay_alu instid0(VALU_DEP_1) | instskip(SKIP_1) | instid1(VALU_DEP_1)
	v_cndmask_b32_e64 v39, v39, v43, s7
	v_cmp_lt_f32_e64 s7, 0, v48
	v_cndmask_b32_e64 v38, v38, v44, s7
	v_cmp_lt_f32_e64 s7, 0, v42
	s_delay_alu instid0(VALU_DEP_1) | instskip(NEXT) | instid1(VALU_DEP_1)
	v_cndmask_b32_e64 v39, v39, v46, s7
	v_mul_f32_e32 v43, 0x37800000, v39
	s_delay_alu instid0(VALU_DEP_1) | instskip(SKIP_1) | instid1(VALU_DEP_1)
	v_cndmask_b32_e64 v39, v39, v43, s6
	v_mul_f32_e32 v42, 0x37800000, v38
	v_cndmask_b32_e32 v38, v38, v42, vcc_lo
	v_cmp_class_f32_e64 vcc_lo, v37, 0x260
	s_delay_alu instid0(VALU_DEP_2) | instskip(SKIP_2) | instid1(VALU_DEP_1)
	v_cndmask_b32_e32 v37, v38, v37, vcc_lo
	v_cmp_class_f32_e64 vcc_lo, v36, 0x260
	v_dual_cndmask_b32 v36, v39, v36 :: v_dual_mov_b32 v39, 1.0
	v_mul_f32_e32 v38, v37, v36
.LBB62_361:                             ;   in Loop: Header=BB62_4 Depth=1
	s_or_b32 exec_lo, exec_lo, s33
	s_delay_alu instid0(SALU_CYCLE_1)
	s_mov_b32 s6, exec_lo
.LBB62_362:                             ;   in Loop: Header=BB62_4 Depth=1
	s_or_b32 exec_lo, exec_lo, s31
                                        ; implicit-def: $vgpr36
.LBB62_363:                             ;   in Loop: Header=BB62_4 Depth=1
	s_and_not1_saveexec_b32 s7, s30
; %bb.364:                              ;   in Loop: Header=BB62_4 Depth=1
	v_mov_b32_e32 v37, v39
	s_or_b32 s6, s6, exec_lo
                                        ; implicit-def: $vgpr23
	s_delay_alu instid0(VALU_DEP_1)
	v_pk_mul_f32 v[38:39], v[36:37], s[22:23] op_sel_hi:[1,0]
; %bb.365:                              ;   in Loop: Header=BB62_4 Depth=1
	s_or_b32 exec_lo, exec_lo, s7
	s_xor_b32 s6, s6, -1
                                        ; implicit-def: $vgpr36
	s_delay_alu instid0(SALU_CYCLE_1) | instskip(NEXT) | instid1(SALU_CYCLE_1)
	s_and_saveexec_b32 s7, s6
	s_xor_b32 s6, exec_lo, s7
	s_cbranch_execz .LBB62_367
; %bb.366:                              ;   in Loop: Header=BB62_4 Depth=1
	v_fma_f32 v36, |v23|, -0.5, 0.5
	v_mul_f32_e32 v37, v23, v23
	v_cmp_ge_f32_e64 vcc_lo, |v23|, 0.5
	s_delay_alu instid0(VALU_DEP_2) | instskip(SKIP_1) | instid1(VALU_DEP_2)
	v_cndmask_b32_e32 v36, v37, v36, vcc_lo
	v_cmp_lt_f32_e64 vcc_lo, |v23|, 0.5
	v_fmaak_f32 v37, s24, v36, 0x3c5fc5da
	v_sqrt_f32_e32 v38, v36
	s_delay_alu instid0(VALU_DEP_1) | instskip(NEXT) | instid1(VALU_DEP_1)
	v_fmaak_f32 v37, v36, v37, 0x3d034c3c
	v_fmaak_f32 v37, v36, v37, 0x3d3641b1
	s_delay_alu instid0(VALU_DEP_1) | instskip(NEXT) | instid1(VALU_DEP_1)
	v_fmaak_f32 v37, v36, v37, 0x3d999bc8
	v_fmaak_f32 v37, v36, v37, 0x3e2aaaac
	s_delay_alu instid0(VALU_DEP_1)
	v_mul_f32_e32 v36, v36, v37
	s_delay_alu instid0(TRANS32_DEP_1) | instid1(VALU_DEP_1)
	v_fmac_f32_e32 v38, v38, v36
	s_delay_alu instid0(VALU_DEP_1) | instskip(NEXT) | instid1(VALU_DEP_1)
	v_add_f32_e32 v37, v38, v38
                                        ; implicit-def: $vgpr39
	v_sub_f32_e32 v37, 0x3fc90fdb, v37
	v_fma_f32 v36, |v23|, v36, |v23|
	s_delay_alu instid0(VALU_DEP_1) | instskip(NEXT) | instid1(VALU_DEP_1)
	v_cndmask_b32_e32 v36, v37, v36, vcc_lo
	v_bfi_b32 v36, 0x7fffffff, v36, v23
.LBB62_367:                             ;   in Loop: Header=BB62_4 Depth=1
	s_and_not1_saveexec_b32 s7, s6
	s_cbranch_execz .LBB62_369
; %bb.368:                              ;   in Loop: Header=BB62_4 Depth=1
	v_max_num_f32_e32 v23, v39, v39
	v_max_num_f32_e64 v36, |v38|, |v38|
	v_cmp_gt_f32_e64 vcc_lo, v39, |v38|
	v_cmp_gt_i32_e64 s6, 0, v38
	v_cmp_class_f32_e64 s30, v38, 0x204
	s_delay_alu instid0(VALU_DEP_4) | instskip(NEXT) | instid1(VALU_DEP_1)
	v_dual_max_num_f32 v37, v36, v23 :: v_dual_min_num_f32 v23, v36, v23
	v_frexp_mant_f32_e32 v42, v37
	v_frexp_exp_i32_f32_e32 v36, v37
	s_delay_alu instid0(VALU_DEP_2)
	v_rcp_f32_e32 v37, v42
	v_nop
	v_frexp_exp_i32_f32_e32 v42, v23
	v_frexp_mant_f32_e32 v23, v23
	s_delay_alu instid0(TRANS32_DEP_1) | instid1(VALU_DEP_1)
	v_dual_mul_f32 v23, v23, v37 :: v_dual_sub_nc_u32 v36, v42, v36
	s_delay_alu instid0(VALU_DEP_1) | instskip(NEXT) | instid1(VALU_DEP_1)
	v_ldexp_f32 v23, v23, v36
	v_mul_f32_e32 v36, v23, v23
	s_delay_alu instid0(VALU_DEP_1) | instskip(NEXT) | instid1(VALU_DEP_1)
	v_fmaak_f32 v37, s25, v36, 0xbc7a590c
	v_fmaak_f32 v37, v36, v37, 0x3d29fb3f
	s_delay_alu instid0(VALU_DEP_1) | instskip(NEXT) | instid1(VALU_DEP_1)
	v_fmaak_f32 v37, v36, v37, 0xbd97d4d7
	v_fmaak_f32 v37, v36, v37, 0x3dd931b2
	;; [unrolled: 3-line block ×3, first 2 shown]
	s_delay_alu instid0(VALU_DEP_1) | instskip(NEXT) | instid1(VALU_DEP_1)
	v_fmaak_f32 v37, v36, v37, 0xbeaaaa62
	v_mul_f32_e32 v36, v36, v37
	s_delay_alu instid0(VALU_DEP_1) | instskip(NEXT) | instid1(VALU_DEP_1)
	v_fmac_f32_e32 v23, v23, v36
	v_sub_f32_e32 v36, 0x3fc90fdb, v23
	s_delay_alu instid0(VALU_DEP_1) | instskip(SKIP_1) | instid1(VALU_DEP_2)
	v_cndmask_b32_e32 v23, v23, v36, vcc_lo
	v_cmp_gt_f32_e32 vcc_lo, 0, v38
	v_sub_f32_e32 v36, 0x40490fdb, v23
	v_cndmask_b32_e32 v37, 0x3f490fdb, v41, vcc_lo
	s_delay_alu instid0(VALU_DEP_2) | instskip(SKIP_3) | instid1(VALU_DEP_2)
	v_cndmask_b32_e32 v23, v23, v36, vcc_lo
	v_cndmask_b32_e64 v36, 0, 0x40490fdb, s6
	v_cmp_eq_f32_e64 s6, 0, v39
	v_cmp_eq_f32_e32 vcc_lo, 0x7f800000, v39
	v_cndmask_b32_e64 v23, |v23|, v36, s6
	s_and_b32 vcc_lo, vcc_lo, s30
	s_delay_alu instid0(VALU_DEP_1) | instskip(SKIP_1) | instid1(VALU_DEP_2)
	v_cndmask_b32_e32 v23, v23, v37, vcc_lo
	v_cmp_o_f32_e32 vcc_lo, v38, v38
	v_cndmask_b32_e32 v36, 0x7fc00000, v23, vcc_lo
.LBB62_369:                             ;   in Loop: Header=BB62_4 Depth=1
	s_or_b32 exec_lo, exec_lo, s7
	s_delay_alu instid0(VALU_DEP_1)
	v_bfi_b32 v34, 0x7fffffff, v36, v34
	v_bfi_b32 v35, 0x7fffffff, v7, v35
.LBB62_370:                             ;   in Loop: Header=BB62_4 Depth=1
	s_or_b32 exec_lo, exec_lo, s29
.LBB62_371:                             ;   in Loop: Header=BB62_4 Depth=1
	s_delay_alu instid0(SALU_CYCLE_1)
	s_or_b32 exec_lo, exec_lo, s28
                                        ; implicit-def: $vgpr7
                                        ; implicit-def: $vgpr23
                                        ; implicit-def: $vgpr36
.LBB62_372:                             ;   in Loop: Header=BB62_4 Depth=1
	s_and_not1_saveexec_b32 s27, s27
	s_cbranch_execz .LBB62_394
; %bb.373:                              ;   in Loop: Header=BB62_4 Depth=1
                                        ; implicit-def: $sgpr28
                                        ; implicit-def: $vgpr37
                                        ; implicit-def: $vgpr38
	s_mov_b32 s6, exec_lo
	v_cmpx_lt_i32_e32 -1, v35
	s_xor_b32 s29, exec_lo, s6
	s_cbranch_execz .LBB62_383
; %bb.374:                              ;   in Loop: Header=BB62_4 Depth=1
	v_cmp_lt_f32_e64 s6, |v35|, |v34|
                                        ; implicit-def: $vgpr37
                                        ; implicit-def: $vgpr38
	s_mov_b32 s7, exec_lo
	v_cndmask_b32_e64 v39, |v35|, |v34|, s6
	s_delay_alu instid0(VALU_DEP_1)
	v_cmpx_nlt_f32_e32 0x7effffff, v39
	s_xor_b32 s28, exec_lo, s7
	s_cbranch_execz .LBB62_380
; %bb.375:                              ;   in Loop: Header=BB62_4 Depth=1
	v_cndmask_b32_e64 v42, |v34|, |v35|, s6
	v_cmp_nlt_f32_e32 vcc_lo, 0x5e000000, v39
                                        ; implicit-def: $vgpr37
                                        ; implicit-def: $vgpr38
	s_delay_alu instid0(VALU_DEP_2) | instskip(SKIP_1) | instid1(SALU_CYCLE_1)
	v_cmp_ngt_f32_e64 s7, 0x20000000, v42
	s_and_b32 s7, vcc_lo, s7
	s_and_saveexec_b32 s30, s7
	s_delay_alu instid0(SALU_CYCLE_1)
	s_xor_b32 s30, exec_lo, s30
	s_cbranch_execz .LBB62_377
; %bb.376:                              ;   in Loop: Header=BB62_4 Depth=1
	v_frexp_mant_f32_e32 v37, v36
	s_wait_dscnt 0x0
	v_dual_min_num_f32 v7, v23, v7 :: v_dual_mul_f32 v42, v42, v42
	v_frexp_exp_i32_f32_e32 v23, v36
	s_delay_alu instid0(VALU_DEP_3) | instskip(SKIP_1) | instid1(VALU_DEP_3)
	v_rcp_f32_e32 v36, v37
	v_nop
	v_frexp_exp_i32_f32_e32 v37, v7
	v_frexp_mant_f32_e32 v7, v7
	s_delay_alu instid0(TRANS32_DEP_1) | instid1(VALU_DEP_1)
	v_dual_sub_nc_u32 v23, v37, v23 :: v_dual_mul_f32 v7, v7, v36
	s_delay_alu instid0(VALU_DEP_1) | instskip(NEXT) | instid1(VALU_DEP_1)
	v_ldexp_f32 v38, v7, v23
	v_dual_fmac_f32 v42, v39, v39 :: v_dual_mul_f32 v23, v38, v38
	s_delay_alu instid0(VALU_DEP_1) | instskip(SKIP_1) | instid1(VALU_DEP_1)
	v_cmp_gt_f32_e32 vcc_lo, 0x800000, v42
	v_cndmask_b32_e64 v7, 0, 32, vcc_lo
	v_ldexp_f32 v7, v42, v7
	s_delay_alu instid0(VALU_DEP_1) | instskip(SKIP_1) | instid1(TRANS32_DEP_1)
	v_log_f32_e32 v7, v7
	v_nop
	v_mul_f32_e32 v37, 0x3f317217, v7
	v_cmp_gt_f32_e64 s7, 0x7f800000, |v7|
	s_delay_alu instid0(VALU_DEP_2) | instskip(NEXT) | instid1(VALU_DEP_1)
	v_fma_f32 v37, 0x3f317217, v7, -v37
	v_fmac_f32_e32 v37, 0x3377d1cf, v7
	s_delay_alu instid0(VALU_DEP_1) | instskip(NEXT) | instid1(VALU_DEP_1)
	v_fmac_f32_e32 v37, 0x3f317217, v7
	v_cndmask_b32_e64 v7, v7, v37, s7
	v_cndmask_b32_e64 v37, 0, 0x41b17218, vcc_lo
	s_delay_alu instid0(VALU_DEP_1) | instskip(NEXT) | instid1(VALU_DEP_1)
	v_dual_fmaak_f32 v36, s25, v23, 0xbc7a590c :: v_dual_sub_f32 v7, v7, v37
	v_dual_fmaak_f32 v36, v23, v36, 0x3d29fb3f :: v_dual_mul_f32 v37, 0.5, v7
	s_delay_alu instid0(VALU_DEP_1) | instskip(NEXT) | instid1(VALU_DEP_1)
	v_fmaak_f32 v36, v23, v36, 0xbd97d4d7
                                        ; implicit-def: $vgpr7
	v_fmaak_f32 v36, v23, v36, 0x3dd931b2
	s_delay_alu instid0(VALU_DEP_1) | instskip(NEXT) | instid1(VALU_DEP_1)
	v_fmaak_f32 v36, v23, v36, 0xbe1160e6
	v_fmaak_f32 v36, v23, v36, 0x3e4cb8bf
	s_delay_alu instid0(VALU_DEP_1) | instskip(NEXT) | instid1(VALU_DEP_1)
	v_fmaak_f32 v36, v23, v36, 0xbeaaaa62
	v_mul_f32_e32 v23, v23, v36
                                        ; implicit-def: $vgpr36
	s_delay_alu instid0(VALU_DEP_1)
	v_fmac_f32_e32 v38, v38, v23
                                        ; implicit-def: $vgpr23
.LBB62_377:                             ;   in Loop: Header=BB62_4 Depth=1
	s_and_not1_saveexec_b32 s7, s30
	s_cbranch_execz .LBB62_379
; %bb.378:                              ;   in Loop: Header=BB62_4 Depth=1
	v_cvt_f64_f32_e32 v[38:39], v36
	v_frexp_mant_f32_e32 v42, v36
	v_cmp_neq_f32_e32 vcc_lo, 0x7f800000, v36
	s_delay_alu instid0(VALU_DEP_3) | instskip(NEXT) | instid1(VALU_DEP_1)
	v_frexp_exp_i32_f64_e32 v37, v[38:39]
	v_sub_nc_u32_e32 v38, 0, v37
	s_delay_alu instid0(VALU_DEP_1) | instskip(NEXT) | instid1(VALU_DEP_1)
	v_ldexp_f32 v39, |v34|, v38
	v_mul_f32_e32 v39, v39, v39
	v_ldexp_f32 v38, |v35|, v38
	s_wait_dscnt 0x0
	v_min_num_f32_e32 v7, v23, v7
	v_frexp_exp_i32_f32_e32 v23, v36
	s_delay_alu instid0(VALU_DEP_3)
	v_fmac_f32_e32 v39, v38, v38
	v_rcp_f32_e32 v38, v42
	v_nop
	v_frexp_exp_i32_f32_e32 v42, v7
	v_frexp_mant_f32_e32 v7, v7
	v_sqrt_f32_e32 v39, v39
	s_delay_alu instid0(TRANS32_DEP_2) | instid1(VALU_DEP_1)
	v_dual_sub_nc_u32 v23, v42, v23 :: v_dual_mul_f32 v7, v7, v38
	s_delay_alu instid0(TRANS32_DEP_1) | instskip(NEXT) | instid1(VALU_DEP_2)
	v_ldexp_f32 v37, v39, v37
	v_ldexp_f32 v38, v7, v23
	s_delay_alu instid0(VALU_DEP_2) | instskip(NEXT) | instid1(VALU_DEP_1)
	v_cndmask_b32_e32 v7, 0x7f800000, v37, vcc_lo
	v_cmp_gt_f32_e32 vcc_lo, 0x800000, v7
	v_cndmask_b32_e64 v36, 0, 32, vcc_lo
	v_cndmask_b32_e64 v39, 0, 0x41b17218, vcc_lo
	s_delay_alu instid0(VALU_DEP_2) | instskip(NEXT) | instid1(VALU_DEP_1)
	v_ldexp_f32 v7, v7, v36
	v_log_f32_e32 v7, v7
	v_nop
	s_delay_alu instid0(TRANS32_DEP_1) | instskip(SKIP_1) | instid1(VALU_DEP_1)
	v_cmp_gt_f32_e64 vcc_lo, 0x7f800000, |v7|
	v_mul_f32_e32 v23, v38, v38
	v_fmaak_f32 v37, s25, v23, 0xbc7a590c
	s_delay_alu instid0(VALU_DEP_1) | instskip(SKIP_1) | instid1(VALU_DEP_1)
	v_fmaak_f32 v36, v23, v37, 0x3d29fb3f
	v_mul_f32_e32 v37, 0x3f317217, v7
	v_fma_f32 v37, 0x3f317217, v7, -v37
	s_delay_alu instid0(VALU_DEP_1) | instskip(NEXT) | instid1(VALU_DEP_1)
	v_fmac_f32_e32 v37, 0x3377d1cf, v7
	v_fmac_f32_e32 v37, 0x3f317217, v7
	s_delay_alu instid0(VALU_DEP_1) | instskip(SKIP_1) | instid1(VALU_DEP_2)
	v_cndmask_b32_e32 v7, v7, v37, vcc_lo
	v_fmaak_f32 v36, v23, v36, 0xbd97d4d7
	v_sub_f32_e32 v37, v7, v39
	s_delay_alu instid0(VALU_DEP_2) | instskip(NEXT) | instid1(VALU_DEP_1)
	v_fmaak_f32 v36, v23, v36, 0x3dd931b2
	v_fmaak_f32 v36, v23, v36, 0xbe1160e6
	s_delay_alu instid0(VALU_DEP_1) | instskip(NEXT) | instid1(VALU_DEP_1)
	v_fmaak_f32 v36, v23, v36, 0x3e4cb8bf
	v_fmaak_f32 v36, v23, v36, 0xbeaaaa62
	s_delay_alu instid0(VALU_DEP_1) | instskip(NEXT) | instid1(VALU_DEP_1)
	v_mul_f32_e32 v23, v23, v36
	v_fmac_f32_e32 v38, v38, v23
.LBB62_379:                             ;   in Loop: Header=BB62_4 Depth=1
	s_or_b32 exec_lo, exec_lo, s7
                                        ; implicit-def: $vgpr23
                                        ; implicit-def: $vgpr7
                                        ; implicit-def: $vgpr36
.LBB62_380:                             ;   in Loop: Header=BB62_4 Depth=1
	s_and_not1_saveexec_b32 s28, s28
	s_cbranch_execz .LBB62_382
; %bb.381:                              ;   in Loop: Header=BB62_4 Depth=1
	v_div_scale_f32 v37, null, 0x402df854, 0x402df854, v35
	v_div_scale_f32 v38, null, 0x402df854, 0x402df854, v34
	v_div_scale_f32 v45, vcc_lo, v35, 0x402df854, v35
	s_delay_alu instid0(VALU_DEP_3) | instskip(NEXT) | instid1(VALU_DEP_2)
	v_rcp_f32_e32 v39, v37
	v_rcp_f32_e32 v42, v38
	s_wait_dscnt 0x0
	v_min_num_f32_e32 v7, v23, v7
	s_delay_alu instid0(TRANS32_DEP_2) | instskip(NEXT) | instid1(TRANS32_DEP_1)
	v_fma_f32 v43, -v37, v39, 1.0
	v_fma_f32 v44, -v38, v42, 1.0
	s_delay_alu instid0(VALU_DEP_1) | instskip(SKIP_1) | instid1(VALU_DEP_1)
	v_dual_fmac_f32 v39, v43, v39 :: v_dual_fmac_f32 v42, v44, v42
	v_div_scale_f32 v43, s7, v34, 0x402df854, v34
	v_dual_mul_f32 v44, v45, v39 :: v_dual_mul_f32 v46, v43, v42
	s_delay_alu instid0(VALU_DEP_1) | instskip(NEXT) | instid1(VALU_DEP_1)
	v_dual_fma_f32 v47, -v37, v44, v45 :: v_dual_fma_f32 v48, -v38, v46, v43
	v_dual_fmac_f32 v44, v47, v39 :: v_dual_fmac_f32 v46, v48, v42
	s_delay_alu instid0(VALU_DEP_1) | instskip(NEXT) | instid1(VALU_DEP_1)
	v_dual_fma_f32 v37, -v37, v44, v45 :: v_dual_fma_f32 v38, -v38, v46, v43
	v_div_fmas_f32 v37, v37, v39, v44
	s_mov_b32 vcc_lo, s7
	s_delay_alu instid0(VALU_DEP_2) | instskip(NEXT) | instid1(VALU_DEP_2)
	v_div_fmas_f32 v38, v38, v42, v46
	v_div_fixup_f32 v37, v37, 0x402df854, v35
	s_delay_alu instid0(VALU_DEP_2) | instskip(NEXT) | instid1(VALU_DEP_1)
	v_div_fixup_f32 v42, v38, 0x402df854, v34
	v_max_num_f32_e64 v43, v37, |v42|
	s_delay_alu instid0(VALU_DEP_1) | instskip(SKIP_1) | instid1(VALU_DEP_2)
	v_cvt_f64_f32_e32 v[38:39], v43
	v_cmp_neq_f32_e32 vcc_lo, 0x7f800000, v43
	v_frexp_exp_i32_f64_e32 v38, v[38:39]
	s_delay_alu instid0(VALU_DEP_1) | instskip(NEXT) | instid1(VALU_DEP_1)
	v_sub_nc_u32_e32 v39, 0, v38
	v_ldexp_f32 v42, |v42|, v39
	v_ldexp_f32 v37, v37, v39
	s_delay_alu instid0(VALU_DEP_2) | instskip(NEXT) | instid1(VALU_DEP_1)
	v_mul_f32_e32 v39, v42, v42
	v_fmac_f32_e32 v39, v37, v37
	v_frexp_mant_f32_e32 v37, v36
	v_frexp_exp_i32_f32_e32 v36, v36
	s_delay_alu instid0(VALU_DEP_3) | instskip(NEXT) | instid1(VALU_DEP_2)
	v_sqrt_f32_e32 v23, v39
	v_rcp_f32_e32 v37, v37
	v_frexp_exp_i32_f32_e32 v39, v7
	v_frexp_mant_f32_e32 v7, v7
	s_delay_alu instid0(TRANS32_DEP_2) | instskip(NEXT) | instid1(VALU_DEP_3)
	v_ldexp_f32 v23, v23, v38
	v_sub_nc_u32_e32 v36, v39, v36
	s_delay_alu instid0(TRANS32_DEP_1) | instid1(VALU_DEP_3)
	v_mul_f32_e32 v7, v7, v37
	s_delay_alu instid0(VALU_DEP_3) | instskip(NEXT) | instid1(VALU_DEP_2)
	v_cndmask_b32_e32 v23, 0x7f800000, v23, vcc_lo
	v_ldexp_f32 v38, v7, v36
	s_delay_alu instid0(VALU_DEP_2) | instskip(NEXT) | instid1(VALU_DEP_2)
	v_cmp_gt_f32_e32 vcc_lo, 0x800000, v23
	v_mul_f32_e32 v36, v38, v38
	v_cndmask_b32_e64 v7, 0, 32, vcc_lo
	v_cndmask_b32_e64 v39, 0, 0x41b17218, vcc_lo
	s_delay_alu instid0(VALU_DEP_2) | instskip(NEXT) | instid1(VALU_DEP_4)
	v_ldexp_f32 v7, v23, v7
	v_fmaak_f32 v23, s25, v36, 0xbc7a590c
	s_delay_alu instid0(VALU_DEP_2) | instskip(NEXT) | instid1(VALU_DEP_1)
	v_log_f32_e32 v7, v7
	v_fmaak_f32 v23, v36, v23, 0x3d29fb3f
	s_delay_alu instid0(VALU_DEP_1) | instskip(NEXT) | instid1(TRANS32_DEP_1)
	v_fmaak_f32 v23, v36, v23, 0xbd97d4d7
	v_mul_f32_e32 v37, 0x3f317217, v7
	v_cmp_gt_f32_e64 vcc_lo, 0x7f800000, |v7|
	s_delay_alu instid0(VALU_DEP_3) | instskip(NEXT) | instid1(VALU_DEP_3)
	v_fmaak_f32 v23, v36, v23, 0x3dd931b2
	v_fma_f32 v37, 0x3f317217, v7, -v37
	s_delay_alu instid0(VALU_DEP_2) | instskip(NEXT) | instid1(VALU_DEP_2)
	v_fmaak_f32 v23, v36, v23, 0xbe1160e6
	v_fmac_f32_e32 v37, 0x3377d1cf, v7
	s_delay_alu instid0(VALU_DEP_2) | instskip(NEXT) | instid1(VALU_DEP_2)
	v_fmaak_f32 v23, v36, v23, 0x3e4cb8bf
	v_fmac_f32_e32 v37, 0x3f317217, v7
	s_delay_alu instid0(VALU_DEP_2) | instskip(NEXT) | instid1(VALU_DEP_1)
	v_fmaak_f32 v23, v36, v23, 0xbeaaaa62
	v_dual_cndmask_b32 v7, v7, v37, vcc_lo :: v_dual_mul_f32 v23, v36, v23
	s_delay_alu instid0(VALU_DEP_1) | instskip(NEXT) | instid1(VALU_DEP_2)
	v_sub_f32_e32 v7, v7, v39
	v_fmac_f32_e32 v38, v38, v23
	s_delay_alu instid0(VALU_DEP_2)
	v_add_f32_e32 v37, 1.0, v7
.LBB62_382:                             ;   in Loop: Header=BB62_4 Depth=1
	s_or_b32 exec_lo, exec_lo, s28
	s_wait_dscnt 0x0
	s_delay_alu instid0(VALU_DEP_1) | instskip(SKIP_2) | instid1(VALU_DEP_3)
	v_sub_f32_e32 v7, 0x3fc90fdb, v38
	v_cmp_neq_f32_e32 vcc_lo, 0, v34
	v_cmp_class_f32_e64 s28, v35, 0x204
	v_cndmask_b32_e64 v7, v38, v7, s6
	s_delay_alu instid0(VALU_DEP_1)
	v_cndmask_b32_e32 v38, 0, v7, vcc_lo
                                        ; implicit-def: $vgpr7
.LBB62_383:                             ;   in Loop: Header=BB62_4 Depth=1
	s_and_not1_saveexec_b32 s29, s29
	s_cbranch_execz .LBB62_393
; %bb.384:                              ;   in Loop: Header=BB62_4 Depth=1
	v_cmp_gt_f32_e64 s6, |v34|, -v35
                                        ; implicit-def: $vgpr37
                                        ; implicit-def: $vgpr23
	s_mov_b32 s7, exec_lo
	v_cndmask_b32_e64 v36, -v35, |v34|, s6
	s_delay_alu instid0(VALU_DEP_1)
	v_cmpx_nlt_f32_e32 0x7effffff, v36
	s_xor_b32 s30, exec_lo, s7
	s_cbranch_execz .LBB62_390
; %bb.385:                              ;   in Loop: Header=BB62_4 Depth=1
	v_xor_b32_e32 v23, 0x80000000, v35
	v_cmp_nlt_f32_e32 vcc_lo, 0x5e000000, v36
                                        ; implicit-def: $vgpr37
	s_delay_alu instid0(VALU_DEP_2) | instskip(NEXT) | instid1(VALU_DEP_1)
	v_cndmask_b32_e64 v38, |v34|, v23, s6
                                        ; implicit-def: $vgpr23
	v_cmp_ngt_f32_e64 s7, 0x20000000, v38
	s_and_b32 s7, vcc_lo, s7
	s_delay_alu instid0(SALU_CYCLE_1) | instskip(NEXT) | instid1(SALU_CYCLE_1)
	s_and_saveexec_b32 s31, s7
	s_xor_b32 s31, exec_lo, s31
	s_cbranch_execz .LBB62_387
; %bb.386:                              ;   in Loop: Header=BB62_4 Depth=1
	v_dual_max_num_f32 v23, -v35, -v35 :: v_dual_mul_f32 v38, v38, v38
	s_wait_dscnt 0x0
	s_delay_alu instid0(VALU_DEP_1) | instskip(NEXT) | instid1(VALU_DEP_2)
	v_dual_max_num_f32 v37, v23, v7 :: v_dual_min_num_f32 v7, v23, v7
	v_fmac_f32_e32 v38, v36, v36
	s_delay_alu instid0(VALU_DEP_2) | instskip(SKIP_1) | instid1(VALU_DEP_3)
	v_frexp_mant_f32_e32 v39, v37
	v_frexp_exp_i32_f32_e32 v23, v37
	v_cmp_gt_f32_e32 vcc_lo, 0x800000, v38
	s_delay_alu instid0(VALU_DEP_3) | instskip(SKIP_3) | instid1(VALU_DEP_2)
	v_rcp_f32_e32 v37, v39
	v_nop
	v_frexp_exp_i32_f32_e32 v39, v7
	v_frexp_mant_f32_e32 v7, v7
	v_sub_nc_u32_e32 v23, v39, v23
	s_delay_alu instid0(TRANS32_DEP_1) | instid1(VALU_DEP_2)
	v_mul_f32_e32 v7, v7, v37
	s_delay_alu instid0(VALU_DEP_1) | instskip(SKIP_1) | instid1(VALU_DEP_2)
	v_ldexp_f32 v23, v7, v23
	v_cndmask_b32_e64 v7, 0, 32, vcc_lo
	v_mul_f32_e32 v36, v23, v23
	s_delay_alu instid0(VALU_DEP_2) | instskip(NEXT) | instid1(VALU_DEP_2)
	v_ldexp_f32 v7, v38, v7
	v_fmaak_f32 v37, s25, v36, 0xbc7a590c
	s_delay_alu instid0(VALU_DEP_2) | instskip(NEXT) | instid1(VALU_DEP_1)
	v_log_f32_e32 v7, v7
	v_fmaak_f32 v37, v36, v37, 0x3d29fb3f
	s_delay_alu instid0(TRANS32_DEP_1) | instskip(SKIP_1) | instid1(VALU_DEP_3)
	v_mul_f32_e32 v38, 0x3f317217, v7
	v_cmp_gt_f32_e64 s7, 0x7f800000, |v7|
	v_fmaak_f32 v37, v36, v37, 0xbd97d4d7
	s_delay_alu instid0(VALU_DEP_3) | instskip(NEXT) | instid1(VALU_DEP_2)
	v_fma_f32 v38, 0x3f317217, v7, -v38
	v_fmaak_f32 v37, v36, v37, 0x3dd931b2
	s_delay_alu instid0(VALU_DEP_1) | instskip(NEXT) | instid1(VALU_DEP_1)
	v_fmaak_f32 v37, v36, v37, 0xbe1160e6
	v_fmaak_f32 v37, v36, v37, 0x3e4cb8bf
	s_delay_alu instid0(VALU_DEP_1) | instskip(NEXT) | instid1(VALU_DEP_1)
	v_fmaak_f32 v37, v36, v37, 0xbeaaaa62
	v_mul_f32_e32 v36, v36, v37
	s_delay_alu instid0(VALU_DEP_1) | instskip(NEXT) | instid1(VALU_DEP_1)
	v_dual_fmac_f32 v38, 0x3377d1cf, v7 :: v_dual_fmac_f32 v23, v23, v36
	v_fmac_f32_e32 v38, 0x3f317217, v7
	s_delay_alu instid0(VALU_DEP_1) | instskip(SKIP_1) | instid1(VALU_DEP_1)
	v_cndmask_b32_e64 v7, v7, v38, s7
	v_cndmask_b32_e64 v38, 0, 0x41b17218, vcc_lo
	v_sub_f32_e32 v7, v7, v38
	s_delay_alu instid0(VALU_DEP_1)
	v_mul_f32_e32 v37, 0.5, v7
                                        ; implicit-def: $vgpr7
.LBB62_387:                             ;   in Loop: Header=BB62_4 Depth=1
	s_and_not1_saveexec_b32 s7, s31
	s_cbranch_execz .LBB62_389
; %bb.388:                              ;   in Loop: Header=BB62_4 Depth=1
	v_max_num_f32_e64 v23, -v35, -v35
	s_wait_dscnt 0x0
	s_delay_alu instid0(VALU_DEP_1) | instskip(NEXT) | instid1(VALU_DEP_1)
	v_max_num_f32_e32 v38, v23, v7
	v_cvt_f64_f32_e32 v[36:37], v38
	s_delay_alu instid0(VALU_DEP_1) | instskip(NEXT) | instid1(VALU_DEP_1)
	v_frexp_exp_i32_f64_e32 v36, v[36:37]
	v_dual_sub_nc_u32 v37, 0, v36 :: v_dual_min_num_f32 v7, v23, v7
	v_frexp_mant_f32_e32 v23, v38
	v_cmp_neq_f32_e32 vcc_lo, 0x7f800000, v38
	s_delay_alu instid0(VALU_DEP_3)
	v_ldexp_f32 v39, |v34|, v37
	v_ldexp_f32 v37, -v35, v37
	v_frexp_exp_i32_f32_e32 v42, v7
	v_rcp_f32_e32 v23, v23
	v_frexp_mant_f32_e32 v7, v7
	v_mul_f32_e32 v39, v39, v39
	s_delay_alu instid0(TRANS32_DEP_1) | instid1(VALU_DEP_1)
	v_dual_fmac_f32 v39, v37, v37 :: v_dual_mul_f32 v7, v7, v23
	v_frexp_exp_i32_f32_e32 v37, v38
	s_delay_alu instid0(VALU_DEP_2) | instskip(NEXT) | instid1(VALU_DEP_1)
	v_sqrt_f32_e32 v39, v39
	v_sub_nc_u32_e32 v37, v42, v37
	s_delay_alu instid0(VALU_DEP_1) | instskip(NEXT) | instid1(TRANS32_DEP_1)
	v_ldexp_f32 v23, v7, v37
	v_ldexp_f32 v36, v39, v36
	s_delay_alu instid0(VALU_DEP_1) | instskip(NEXT) | instid1(VALU_DEP_1)
	v_dual_cndmask_b32 v7, 0x7f800000, v36 :: v_dual_mul_f32 v36, v23, v23
	v_cmp_gt_f32_e32 vcc_lo, 0x800000, v7
	v_cndmask_b32_e64 v37, 0, 32, vcc_lo
	v_cndmask_b32_e64 v39, 0, 0x41b17218, vcc_lo
	s_delay_alu instid0(VALU_DEP_4) | instskip(NEXT) | instid1(VALU_DEP_3)
	v_fmaak_f32 v38, s25, v36, 0xbc7a590c
	v_ldexp_f32 v7, v7, v37
	s_delay_alu instid0(VALU_DEP_2) | instskip(NEXT) | instid1(VALU_DEP_2)
	v_fmaak_f32 v37, v36, v38, 0x3d29fb3f
	v_log_f32_e32 v7, v7
	s_delay_alu instid0(VALU_DEP_1) | instskip(NEXT) | instid1(VALU_DEP_1)
	v_fmaak_f32 v37, v36, v37, 0xbd97d4d7
	v_fmaak_f32 v37, v36, v37, 0x3dd931b2
	s_delay_alu instid0(TRANS32_DEP_1) | instskip(NEXT) | instid1(VALU_DEP_2)
	v_cmp_gt_f32_e64 vcc_lo, 0x7f800000, |v7|
	v_fmaak_f32 v37, v36, v37, 0xbe1160e6
	s_delay_alu instid0(VALU_DEP_1) | instskip(NEXT) | instid1(VALU_DEP_1)
	v_fmaak_f32 v37, v36, v37, 0x3e4cb8bf
	v_fmaak_f32 v37, v36, v37, 0xbeaaaa62
	s_delay_alu instid0(VALU_DEP_1) | instskip(NEXT) | instid1(VALU_DEP_1)
	v_mul_f32_e32 v36, v36, v37
	v_dual_mul_f32 v38, 0x3f317217, v7 :: v_dual_fmac_f32 v23, v23, v36
	s_delay_alu instid0(VALU_DEP_1) | instskip(NEXT) | instid1(VALU_DEP_1)
	v_fma_f32 v38, 0x3f317217, v7, -v38
	v_fmac_f32_e32 v38, 0x3377d1cf, v7
	s_delay_alu instid0(VALU_DEP_1) | instskip(NEXT) | instid1(VALU_DEP_1)
	v_fmac_f32_e32 v38, 0x3f317217, v7
	v_cndmask_b32_e32 v7, v7, v38, vcc_lo
	s_delay_alu instid0(VALU_DEP_1)
	v_sub_f32_e32 v37, v7, v39
.LBB62_389:                             ;   in Loop: Header=BB62_4 Depth=1
	s_or_b32 exec_lo, exec_lo, s7
                                        ; implicit-def: $vgpr7
.LBB62_390:                             ;   in Loop: Header=BB62_4 Depth=1
	s_and_not1_saveexec_b32 s30, s30
	s_cbranch_execz .LBB62_392
; %bb.391:                              ;   in Loop: Header=BB62_4 Depth=1
	v_div_scale_f32 v23, null, 0xc02df854, 0xc02df854, v35
	v_div_scale_f32 v36, null, 0xc02df854, 0xc02df854, v34
	v_div_scale_f32 v43, vcc_lo, v35, 0xc02df854, v35
	s_delay_alu instid0(VALU_DEP_3) | instskip(NEXT) | instid1(VALU_DEP_2)
	v_rcp_f32_e32 v37, v23
	v_rcp_f32_e32 v38, v36
	s_delay_alu instid0(TRANS32_DEP_2) | instskip(NEXT) | instid1(TRANS32_DEP_1)
	v_fma_f32 v39, -v23, v37, 1.0
	v_fma_f32 v42, -v36, v38, 1.0
	s_delay_alu instid0(VALU_DEP_1) | instskip(SKIP_1) | instid1(VALU_DEP_1)
	v_dual_fmac_f32 v37, v39, v37 :: v_dual_fmac_f32 v38, v42, v38
	v_div_scale_f32 v39, s7, v34, 0xc02df854, v34
	v_mul_f32_e32 v44, v39, v38
	s_delay_alu instid0(VALU_DEP_1) | instskip(NEXT) | instid1(VALU_DEP_1)
	v_dual_mul_f32 v42, v43, v37 :: v_dual_fma_f32 v46, -v36, v44, v39
	v_fma_f32 v45, -v23, v42, v43
	s_delay_alu instid0(VALU_DEP_1) | instskip(NEXT) | instid1(VALU_DEP_1)
	v_dual_fmac_f32 v42, v45, v37 :: v_dual_fmac_f32 v44, v46, v38
	v_fma_f32 v23, -v23, v42, v43
	s_delay_alu instid0(VALU_DEP_2) | instskip(NEXT) | instid1(VALU_DEP_2)
	v_fma_f32 v36, -v36, v44, v39
	v_div_fmas_f32 v23, v23, v37, v42
	s_mov_b32 vcc_lo, s7
	v_max_num_f32_e64 v42, -v35, -v35
	s_delay_alu instid0(VALU_DEP_3) | instskip(NEXT) | instid1(VALU_DEP_3)
	v_div_fmas_f32 v36, v36, v38, v44
	v_div_fixup_f32 v23, v23, 0xc02df854, v35
	s_delay_alu instid0(VALU_DEP_2) | instskip(NEXT) | instid1(VALU_DEP_1)
	v_div_fixup_f32 v38, v36, 0xc02df854, v34
	v_max_num_f32_e64 v39, |v23|, |v38|
	s_delay_alu instid0(VALU_DEP_1) | instskip(SKIP_1) | instid1(VALU_DEP_2)
	v_cvt_f64_f32_e32 v[36:37], v39
	v_cmp_neq_f32_e32 vcc_lo, 0x7f800000, v39
	v_frexp_exp_i32_f64_e32 v36, v[36:37]
	s_delay_alu instid0(VALU_DEP_1) | instskip(NEXT) | instid1(VALU_DEP_1)
	v_sub_nc_u32_e32 v37, 0, v36
	v_ldexp_f32 v38, |v38|, v37
	v_ldexp_f32 v23, |v23|, v37
	s_delay_alu instid0(VALU_DEP_2) | instskip(SKIP_2) | instid1(VALU_DEP_2)
	v_mul_f32_e32 v37, v38, v38
	s_wait_dscnt 0x0
	v_dual_max_num_f32 v38, v42, v7 :: v_dual_min_num_f32 v7, v42, v7
	v_fmac_f32_e32 v37, v23, v23
	s_delay_alu instid0(VALU_DEP_2) | instskip(SKIP_1) | instid1(VALU_DEP_4)
	v_frexp_mant_f32_e32 v23, v38
	v_frexp_exp_i32_f32_e32 v38, v38
	v_frexp_exp_i32_f32_e32 v42, v7
	v_frexp_mant_f32_e32 v7, v7
	v_sqrt_f32_e32 v37, v37
	v_rcp_f32_e32 v23, v23
	s_delay_alu instid0(TRANS32_DEP_2) | instskip(NEXT) | instid1(TRANS32_DEP_1)
	v_ldexp_f32 v36, v37, v36
	v_dual_sub_nc_u32 v37, v42, v38 :: v_dual_mul_f32 v7, v7, v23
	s_delay_alu instid0(VALU_DEP_2) | instskip(NEXT) | instid1(VALU_DEP_2)
	v_cndmask_b32_e32 v36, 0x7f800000, v36, vcc_lo
	v_ldexp_f32 v23, v7, v37
	s_delay_alu instid0(VALU_DEP_2) | instskip(NEXT) | instid1(VALU_DEP_2)
	v_cmp_gt_f32_e32 vcc_lo, 0x800000, v36
	v_mul_f32_e32 v37, v23, v23
	v_cndmask_b32_e64 v7, 0, 32, vcc_lo
	v_cndmask_b32_e64 v39, 0, 0x41b17218, vcc_lo
	s_delay_alu instid0(VALU_DEP_2) | instskip(NEXT) | instid1(VALU_DEP_1)
	v_ldexp_f32 v7, v36, v7
	v_log_f32_e32 v7, v7
	v_nop
	s_delay_alu instid0(TRANS32_DEP_1) | instskip(SKIP_1) | instid1(VALU_DEP_2)
	v_mul_f32_e32 v38, 0x3f317217, v7
	v_cmp_gt_f32_e64 vcc_lo, 0x7f800000, |v7|
	v_fma_f32 v38, 0x3f317217, v7, -v38
	s_delay_alu instid0(VALU_DEP_1) | instskip(NEXT) | instid1(VALU_DEP_1)
	v_fmac_f32_e32 v38, 0x3377d1cf, v7
	v_fmac_f32_e32 v38, 0x3f317217, v7
	s_delay_alu instid0(VALU_DEP_1) | instskip(NEXT) | instid1(VALU_DEP_1)
	v_cndmask_b32_e32 v7, v7, v38, vcc_lo
	v_dual_fmaak_f32 v36, s25, v37, 0xbc7a590c :: v_dual_sub_f32 v7, v7, v39
	s_delay_alu instid0(VALU_DEP_1) | instskip(NEXT) | instid1(VALU_DEP_1)
	v_fmaak_f32 v36, v37, v36, 0x3d29fb3f
	v_fmaak_f32 v36, v37, v36, 0xbd97d4d7
	s_delay_alu instid0(VALU_DEP_1) | instskip(NEXT) | instid1(VALU_DEP_1)
	v_fmaak_f32 v36, v37, v36, 0x3dd931b2
	v_fmaak_f32 v36, v37, v36, 0xbe1160e6
	;; [unrolled: 3-line block ×3, first 2 shown]
	s_delay_alu instid0(VALU_DEP_1) | instskip(NEXT) | instid1(VALU_DEP_1)
	v_dual_mul_f32 v36, v37, v36 :: v_dual_add_f32 v37, 1.0, v7
	v_fmac_f32_e32 v23, v23, v36
.LBB62_392:                             ;   in Loop: Header=BB62_4 Depth=1
	s_or_b32 exec_lo, exec_lo, s30
	s_wait_dscnt 0x0
	s_delay_alu instid0(VALU_DEP_1) | instskip(SKIP_1) | instid1(VALU_DEP_2)
	v_sub_f32_e32 v7, 0x3fc90fdb, v23
	v_cmp_eq_f32_e32 vcc_lo, 0xff800000, v35
	v_cndmask_b32_e64 v7, v23, v7, s6
	v_cmp_neq_f32_e64 s6, 0, v34
	s_and_b32 s7, vcc_lo, exec_lo
	v_cndmask_b32_e64 v38, 0, v7, s6
	s_and_not1_b32 s6, s28, exec_lo
	s_delay_alu instid0(SALU_CYCLE_1)
	s_or_b32 s28, s6, s7
.LBB62_393:                             ;   in Loop: Header=BB62_4 Depth=1
	s_or_b32 exec_lo, exec_lo, s29
	v_cmp_class_f32_e64 s6, v34, 0x204
	v_add_f32_e32 v23, 0x3f317218, v37
	s_and_b32 s6, s6, s28
	s_delay_alu instid0(VALU_DEP_1) | instskip(SKIP_2) | instid1(VALU_DEP_1)
	v_bfi_b32 v35, 0x7fffffff, v23, v35
	s_wait_dscnt 0x0
	v_cndmask_b32_e64 v7, v38, 0x3f490fdb, s6
	v_bfi_b32 v34, 0x7fffffff, v7, v34
.LBB62_394:                             ;   in Loop: Header=BB62_4 Depth=1
	s_or_b32 exec_lo, exec_lo, s27
	s_and_not1_saveexec_b32 s6, s26
	s_cbranch_execz .LBB62_308
.LBB62_395:                             ;   in Loop: Header=BB62_4 Depth=1
	v_cmp_neq_f32_e64 s7, 0x7f800000, |v35|
                                        ; implicit-def: $vgpr7
	s_and_saveexec_b32 s26, s7
	s_delay_alu instid0(SALU_CYCLE_1)
	s_xor_b32 s7, exec_lo, s26
	s_cbranch_execz .LBB62_405
; %bb.396:                              ;   in Loop: Header=BB62_4 Depth=1
	v_cmp_neq_f32_e64 s26, 0x7f800000, |v34|
                                        ; implicit-def: $vgpr7
	s_and_saveexec_b32 s27, s26
	s_delay_alu instid0(SALU_CYCLE_1)
	s_xor_b32 s26, exec_lo, s27
	s_cbranch_execz .LBB62_402
; %bb.397:                              ;   in Loop: Header=BB62_4 Depth=1
	s_mov_b32 s27, exec_lo
	v_cmpx_neq_f32_e32 0, v34
	s_xor_b32 s27, exec_lo, s27
	s_cbranch_execz .LBB62_399
; %bb.398:                              ;   in Loop: Header=BB62_4 Depth=1
	s_wait_dscnt 0x0
	v_add_f32_e32 v7, 0, v35
	s_delay_alu instid0(VALU_DEP_1)
	v_add_f32_e32 v35, v34, v7
.LBB62_399:                             ;   in Loop: Header=BB62_4 Depth=1
	s_or_saveexec_b32 s27, s27
	s_wait_dscnt 0x0
	s_delay_alu instid0(VALU_DEP_1)
	v_mov_b32_e32 v7, v35
	s_xor_b32 exec_lo, exec_lo, s27
; %bb.400:                              ;   in Loop: Header=BB62_4 Depth=1
	v_dual_add_f32 v35, v35, v35 :: v_dual_mov_b32 v7, v34
; %bb.401:                              ;   in Loop: Header=BB62_4 Depth=1
	s_or_b32 exec_lo, exec_lo, s27
.LBB62_402:                             ;   in Loop: Header=BB62_4 Depth=1
	s_and_not1_saveexec_b32 s26, s26
	s_cbranch_execz .LBB62_404
; %bb.403:                              ;   in Loop: Header=BB62_4 Depth=1
	s_wait_dscnt 0x0
	v_dual_add_f32 v7, v35, v35 :: v_dual_mov_b32 v35, v34
.LBB62_404:                             ;   in Loop: Header=BB62_4 Depth=1
	s_or_b32 exec_lo, exec_lo, s26
.LBB62_405:                             ;   in Loop: Header=BB62_4 Depth=1
	s_and_not1_saveexec_b32 s7, s7
	s_cbranch_execz .LBB62_407
; %bb.406:                              ;   in Loop: Header=BB62_4 Depth=1
	s_wait_dscnt 0x0
	v_add_f32_e32 v7, v34, v34
.LBB62_407:                             ;   in Loop: Header=BB62_4 Depth=1
	s_or_b32 exec_lo, exec_lo, s7
	s_wait_dscnt 0x0
	s_delay_alu instid0(VALU_DEP_1) | instskip(SKIP_2) | instid1(SALU_CYCLE_1)
	v_mov_b32_e32 v34, v7
	s_or_b32 exec_lo, exec_lo, s6
	s_and_saveexec_b32 s6, s2
	s_xor_b32 s2, exec_lo, s6
	s_cbranch_execz .LBB62_309
.LBB62_408:                             ;   in Loop: Header=BB62_4 Depth=1
	global_store_b64 v[12:13], v[26:27], off
	s_wait_xcnt 0x0
	s_or_b32 exec_lo, exec_lo, s2
	s_and_saveexec_b32 s2, s3
	s_cbranch_execz .LBB62_310
.LBB62_409:                             ;   in Loop: Header=BB62_4 Depth=1
	global_store_b64 v[20:21], v[28:29], off
	s_wait_xcnt 0x0
	s_or_b32 exec_lo, exec_lo, s2
	s_and_saveexec_b32 s2, s4
	s_cbranch_execz .LBB62_311
.LBB62_410:                             ;   in Loop: Header=BB62_4 Depth=1
	global_store_b64 v[30:31], v[24:25], off
	s_wait_xcnt 0x0
	s_or_b32 exec_lo, exec_lo, s2
	s_and_saveexec_b32 s2, s5
	s_cbranch_execz .LBB62_3
.LBB62_411:                             ;   in Loop: Header=BB62_4 Depth=1
	global_store_b64 v[32:33], v[34:35], off
	s_branch .LBB62_3
.LBB62_412:
	s_cbranch_execz .LBB62_414
	s_branch .LBB62_809
.LBB62_413:
.LBB62_414:
	v_min_i64 v[14:15], 0x10000, s[10:11]
	v_dual_mov_b32 v3, 0 :: v_dual_lshlrev_b32 v2, 2, v0
	s_mov_b32 s2, exec_lo
	s_delay_alu instid0(VALU_DEP_1)
	v_cmpx_lt_i64_e64 v[2:3], v[14:15]
	s_cbranch_execz .LBB62_809
; %bb.415:
	v_mbcnt_lo_u32_b32 v1, -1, 0
	v_mov_b32_e32 v4, 0
	v_mov_b32_e32 v26, 0xd800000
	v_dual_mov_b32 v18, 1.0 :: v_dual_mov_b32 v27, 0x4016cbe4
	s_delay_alu instid0(VALU_DEP_4) | instskip(SKIP_3) | instid1(VALU_DEP_2)
	v_dual_lshlrev_b32 v5, 20, v1 :: v_dual_mov_b32 v1, v3
	v_mov_b32_e32 v22, 0x3f317218
	s_add_nc_u64 s[2:3], s[0:1], 0xd30
	s_mov_b32 s5, 0
	v_add_nc_u64_e32 v[16:17], src_flat_scratch_base_lo, v[4:5]
	v_mov_b32_e32 v4, 4
	s_mov_b32 s7, 0x3e9b6dac
	s_mov_b32 s6, 0x4b800000
	;; [unrolled: 1-line block ×4, first 2 shown]
	v_add_nc_u64_e32 v[20:21], src_flat_scratch_base_lo, v[4:5]
	s_mov_b32 s12, 0
	s_branch .LBB62_418
.LBB62_416:                             ;   in Loop: Header=BB62_418 Depth=1
	s_or_b32 exec_lo, exec_lo, s1
.LBB62_417:                             ;   in Loop: Header=BB62_418 Depth=1
	s_delay_alu instid0(SALU_CYCLE_1)
	s_or_b32 exec_lo, exec_lo, s0
	s_wait_dscnt 0x0
	s_clause 0x1
	global_store_b128 v[24:25], v[6:9], off
	global_store_b128 v[24:25], v[10:13], off offset:16
	s_load_b32 s0, s[2:3], 0xc
	s_wait_kmcnt 0x0
	s_and_b32 s4, s0, 0xffff
	s_delay_alu instid0(SALU_CYCLE_1) | instskip(NEXT) | instid1(VALU_DEP_1)
	v_add_nc_u64_e32 v[0:1], s[4:5], v[0:1]
	v_lshlrev_b64_e32 v[2:3], 2, v[0:1]
	s_delay_alu instid0(VALU_DEP_1) | instskip(SKIP_1) | instid1(SALU_CYCLE_1)
	v_cmp_ge_i64_e32 vcc_lo, v[2:3], v[14:15]
	s_or_b32 s12, vcc_lo, s12
	s_and_not1_b32 exec_lo, exec_lo, s12
	s_cbranch_execz .LBB62_809
.LBB62_418:                             ; =>This Inner Loop Header: Depth=1
	v_lshlrev_b64_e32 v[2:3], 5, v[0:1]
                                        ; implicit-def: $vgpr7
	s_mov_b32 s0, exec_lo
	s_delay_alu instid0(VALU_DEP_1)
	v_add_nc_u64_e32 v[24:25], s[8:9], v[2:3]
	s_clause 0x1
	global_load_b128 v[10:13], v[24:25], off
	global_load_b128 v[2:5], v[24:25], off offset:16
	s_wait_loadcnt 0x1
	s_wait_xcnt 0x0
	v_cmpx_o_f32_e32 v11, v10
	s_xor_b32 s4, exec_lo, s0
	s_cbranch_execz .LBB62_502
; %bb.419:                              ;   in Loop: Header=BB62_418 Depth=1
	v_max_num_f32_e64 v9, |v11|, |v11|
	v_max_num_f32_e64 v8, |v10|, |v10|
                                        ; implicit-def: $vgpr7
	s_mov_b32 s0, exec_lo
	s_delay_alu instid0(VALU_DEP_1) | instskip(NEXT) | instid1(VALU_DEP_1)
	v_max_num_f32_e32 v19, v8, v9
	v_cmpx_nlt_f32_e32 0x4b000000, v19
	s_xor_b32 s13, exec_lo, s0
	s_cbranch_execz .LBB62_479
; %bb.420:                              ;   in Loop: Header=BB62_418 Depth=1
	v_cmp_neq_f32_e32 vcc_lo, 0, v11
	v_cmp_neq_f32_e64 s0, 0, v10
	s_wait_dscnt 0x0
	v_dual_mov_b32 v7, v11 :: v_dual_mov_b32 v6, v10
	s_or_b32 s0, vcc_lo, s0
	s_delay_alu instid0(SALU_CYCLE_1)
	s_and_saveexec_b32 s14, s0
	s_cbranch_execz .LBB62_478
; %bb.421:                              ;   in Loop: Header=BB62_418 Depth=1
	flat_store_b32 v[16:17], v26 scope:SCOPE_SYS
	s_wait_storecnt 0x0
	flat_load_b32 v6, v[16:17] scope:SCOPE_SYS
	s_wait_loadcnt 0x0
	v_cmp_ngt_f32_e64 s0, 0x395db3d7, |v11|
	v_cmp_ngt_f32_e64 s1, 0x395db3d7, |v10|
	v_mov_b32_e32 v7, v11
	s_or_b32 s0, s1, s0
	s_wait_dscnt 0x0
	v_add_f32_e32 v6, 1.0, v6
	flat_store_b32 v[20:21], v6 scope:SCOPE_SYS
	s_wait_storecnt 0x0
	flat_load_b32 v6, v[20:21] scope:SCOPE_SYS
	s_wait_loadcnt_dscnt 0x0
	v_mov_b32_e32 v6, v10
	s_and_saveexec_b32 s15, s0
	s_cbranch_execz .LBB62_477
; %bb.422:                              ;   in Loop: Header=BB62_418 Depth=1
	v_add_f32_e64 v29, |v10|, 1.0
	v_add_f32_e64 v28, |v10|, -1.0
	s_mov_b32 s0, exec_lo
	s_delay_alu instid0(VALU_DEP_2) | instskip(NEXT) | instid1(VALU_DEP_2)
	v_max_num_f32_e32 v19, v9, v29
	v_max_num_f32_e64 v23, v9, |v28|
	s_delay_alu instid0(VALU_DEP_2) | instskip(NEXT) | instid1(VALU_DEP_2)
	v_cvt_f64_f32_e32 v[6:7], v19
	v_cvt_f64_f32_e32 v[8:9], v23
	s_delay_alu instid0(VALU_DEP_2) | instskip(NEXT) | instid1(VALU_DEP_2)
	v_frexp_exp_i32_f64_e32 v6, v[6:7]
	v_frexp_exp_i32_f64_e32 v7, v[8:9]
	s_delay_alu instid0(VALU_DEP_2) | instskip(SKIP_1) | instid1(VALU_DEP_2)
	v_sub_nc_u32_e32 v8, 0, v6
	v_cmp_neq_f32_e32 vcc_lo, 0x7f800000, v19
                                        ; implicit-def: $vgpr19
	v_ldexp_f32 v30, v29, v8
	s_delay_alu instid0(VALU_DEP_4) | instskip(SKIP_1) | instid1(VALU_DEP_3)
	v_sub_nc_u32_e32 v9, 0, v7
	v_ldexp_f32 v8, |v11|, v8
	v_mul_f32_e32 v30, v30, v30
	s_delay_alu instid0(VALU_DEP_3) | instskip(SKIP_1) | instid1(VALU_DEP_2)
	v_ldexp_f32 v31, |v28|, v9
	v_ldexp_f32 v9, |v11|, v9
	v_dual_fmac_f32 v30, v8, v8 :: v_dual_mul_f32 v31, v31, v31
	s_delay_alu instid0(VALU_DEP_1) | instskip(NEXT) | instid1(VALU_DEP_1)
	v_sqrt_f32_e32 v8, v30
	v_fmac_f32_e32 v31, v9, v9
	s_delay_alu instid0(VALU_DEP_1) | instskip(NEXT) | instid1(TRANS32_DEP_2)
	v_sqrt_f32_e32 v9, v31
	v_ldexp_f32 v6, v8, v6
	s_delay_alu instid0(VALU_DEP_1) | instskip(NEXT) | instid1(TRANS32_DEP_1)
	v_cndmask_b32_e32 v31, 0x7f800000, v6, vcc_lo
	v_ldexp_f32 v7, v9, v7
	v_cmp_neq_f32_e32 vcc_lo, 0x7f800000, v23
	s_delay_alu instid0(VALU_DEP_2) | instskip(NEXT) | instid1(VALU_DEP_1)
	v_cndmask_b32_e32 v8, 0x7f800000, v7, vcc_lo
	v_add_f32_e32 v6, v31, v8
	s_delay_alu instid0(VALU_DEP_1) | instskip(NEXT) | instid1(VALU_DEP_1)
	v_mul_f32_e32 v6, 0.5, v6
	v_cmp_ngt_f32_e32 vcc_lo, 1.0, v6
	v_cndmask_b32_e32 v6, 1.0, v6, vcc_lo
	s_delay_alu instid0(VALU_DEP_1)
	v_cmpx_ngt_f32_e32 0x41200000, v6
	s_xor_b32 s1, exec_lo, s0
	s_cbranch_execz .LBB62_424
; %bb.423:                              ;   in Loop: Header=BB62_418 Depth=1
	v_fma_f32 v7, v6, v6, -1.0
	s_delay_alu instid0(VALU_DEP_1) | instskip(SKIP_1) | instid1(VALU_DEP_2)
	v_mul_f32_e32 v9, 0x4f800000, v7
	v_cmp_gt_f32_e32 vcc_lo, 0xf800000, v7
	v_cndmask_b32_e32 v7, v7, v9, vcc_lo
	s_delay_alu instid0(VALU_DEP_1) | instskip(SKIP_1) | instid1(TRANS32_DEP_1)
	v_sqrt_f32_e32 v9, v7
	v_nop
	v_dual_add_nc_u32 v19, -1, v9 :: v_dual_add_nc_u32 v23, 1, v9
	s_delay_alu instid0(VALU_DEP_1) | instskip(NEXT) | instid1(VALU_DEP_1)
	v_fma_f32 v30, -v19, v9, v7
	v_cmp_ge_f32_e64 s0, 0, v30
	s_delay_alu instid0(VALU_DEP_1) | instskip(NEXT) | instid1(VALU_DEP_1)
	v_dual_fma_f32 v32, -v23, v9, v7 :: v_dual_cndmask_b32 v9, v9, v19, s0
	v_cmp_lt_f32_e64 s0, 0, v32
	s_delay_alu instid0(VALU_DEP_1) | instskip(NEXT) | instid1(VALU_DEP_1)
	v_cndmask_b32_e64 v9, v9, v23, s0
	v_mul_f32_e32 v19, 0x37800000, v9
	s_delay_alu instid0(VALU_DEP_1) | instskip(SKIP_1) | instid1(VALU_DEP_2)
	v_cndmask_b32_e32 v9, v9, v19, vcc_lo
	v_cmp_class_f32_e64 vcc_lo, v7, 0x260
	v_cndmask_b32_e32 v7, v9, v7, vcc_lo
	s_delay_alu instid0(VALU_DEP_1) | instskip(NEXT) | instid1(VALU_DEP_1)
	v_add_f32_e32 v7, v6, v7
	v_cmp_gt_f32_e32 vcc_lo, 0x800000, v7
	s_delay_alu instid0(VALU_DEP_4) | instskip(NEXT) | instid1(VALU_DEP_1)
	v_cndmask_b32_e64 v9, 0, 32, vcc_lo
	v_ldexp_f32 v7, v7, v9
	s_delay_alu instid0(VALU_DEP_1) | instskip(SKIP_1) | instid1(TRANS32_DEP_1)
	v_log_f32_e32 v7, v7
	v_nop
	v_mul_f32_e32 v9, 0x3f317217, v7
	v_cmp_gt_f32_e64 s0, 0x7f800000, |v7|
	s_delay_alu instid0(VALU_DEP_2) | instskip(NEXT) | instid1(VALU_DEP_1)
	v_fma_f32 v9, 0x3f317217, v7, -v9
	v_fmac_f32_e32 v9, 0x3377d1cf, v7
	s_delay_alu instid0(VALU_DEP_1) | instskip(NEXT) | instid1(VALU_DEP_1)
	v_fmac_f32_e32 v9, 0x3f317217, v7
	v_cndmask_b32_e64 v7, v7, v9, s0
	v_cndmask_b32_e64 v9, 0, 0x41b17218, vcc_lo
	s_delay_alu instid0(VALU_DEP_1)
	v_sub_f32_e32 v19, v7, v9
.LBB62_424:                             ;   in Loop: Header=BB62_418 Depth=1
	s_or_saveexec_b32 s1, s1
	v_and_b32_e32 v30, 0x7fffffff, v11
	s_xor_b32 exec_lo, exec_lo, s1
	s_cbranch_execz .LBB62_446
; %bb.425:                              ;   in Loop: Header=BB62_418 Depth=1
	v_cmp_neq_f32_e64 s0, |v10|, 1.0
	v_cmp_ngt_f32_e64 s16, 0x25000000, |v11|
                                        ; implicit-def: $vgpr19
	s_or_b32 s0, s0, s16
	s_delay_alu instid0(SALU_CYCLE_1) | instskip(NEXT) | instid1(SALU_CYCLE_1)
	s_and_saveexec_b32 s16, s0
	s_xor_b32 s16, exec_lo, s16
	s_cbranch_execz .LBB62_443
; %bb.426:                              ;   in Loop: Header=BB62_418 Depth=1
	v_mul_f32_e64 v7, 0x34000000, |v28|
	s_mov_b32 s17, exec_lo
                                        ; implicit-def: $vgpr19
	s_delay_alu instid0(VALU_DEP_1)
	v_cmpx_ge_f32_e64 |v11|, v7
	s_xor_b32 s17, exec_lo, s17
	s_cbranch_execz .LBB62_436
; %bb.427:                              ;   in Loop: Header=BB62_418 Depth=1
	v_mov_b32_e32 v7, v30
	s_mov_b32 s0, exec_lo
	v_cmpx_neq_f32_e32 0, v29
	s_cbranch_execz .LBB62_429
; %bb.428:                              ;   in Loop: Header=BB62_418 Depth=1
	v_mul_f32_e32 v7, v11, v11
	v_add_f32_e32 v9, v29, v31
	s_delay_alu instid0(VALU_DEP_1) | instskip(NEXT) | instid1(VALU_DEP_1)
	v_div_scale_f32 v19, null, v9, v9, v7
	v_rcp_f32_e32 v23, v19
	v_nop
	s_delay_alu instid0(TRANS32_DEP_1) | instskip(NEXT) | instid1(VALU_DEP_1)
	v_fma_f32 v32, -v19, v23, 1.0
	v_fmac_f32_e32 v23, v32, v23
	v_div_scale_f32 v32, vcc_lo, v7, v9, v7
	s_delay_alu instid0(VALU_DEP_1) | instskip(NEXT) | instid1(VALU_DEP_1)
	v_mul_f32_e32 v33, v32, v23
	v_fma_f32 v34, -v19, v33, v32
	s_delay_alu instid0(VALU_DEP_1) | instskip(NEXT) | instid1(VALU_DEP_1)
	v_fmac_f32_e32 v33, v34, v23
	v_fma_f32 v19, -v19, v33, v32
	s_delay_alu instid0(VALU_DEP_1) | instskip(NEXT) | instid1(VALU_DEP_1)
	v_div_fmas_f32 v19, v19, v23, v33
	v_div_fixup_f32 v7, v19, v9, v7
.LBB62_429:                             ;   in Loop: Header=BB62_418 Depth=1
	s_or_b32 exec_lo, exec_lo, s0
	v_sub_f32_e64 v19, 1.0, |v10|
	s_mov_b32 s0, exec_lo
                                        ; implicit-def: $vgpr9
	s_delay_alu instid0(VALU_DEP_1)
	v_cmpx_ngt_f32_e32 0, v19
	s_xor_b32 s0, exec_lo, s0
	s_cbranch_execz .LBB62_433
; %bb.430:                              ;   in Loop: Header=BB62_418 Depth=1
	v_mov_b32_e32 v9, v30
	s_mov_b32 s18, exec_lo
	v_cmpx_neq_f32_e32 0, v19
	s_cbranch_execz .LBB62_432
; %bb.431:                              ;   in Loop: Header=BB62_418 Depth=1
	v_mul_f32_e32 v9, v11, v11
	v_add_f32_e32 v19, v19, v8
	s_delay_alu instid0(VALU_DEP_1) | instskip(NEXT) | instid1(VALU_DEP_1)
	v_div_scale_f32 v23, null, v19, v19, v9
	v_rcp_f32_e32 v32, v23
	v_nop
	s_delay_alu instid0(TRANS32_DEP_1) | instskip(NEXT) | instid1(VALU_DEP_1)
	v_fma_f32 v33, -v23, v32, 1.0
	v_fmac_f32_e32 v32, v33, v32
	v_div_scale_f32 v33, vcc_lo, v9, v19, v9
	s_delay_alu instid0(VALU_DEP_1) | instskip(NEXT) | instid1(VALU_DEP_1)
	v_mul_f32_e32 v34, v33, v32
	v_fma_f32 v35, -v23, v34, v33
	s_delay_alu instid0(VALU_DEP_1) | instskip(NEXT) | instid1(VALU_DEP_1)
	v_fmac_f32_e32 v34, v35, v32
	v_fma_f32 v23, -v23, v34, v33
	s_delay_alu instid0(VALU_DEP_1) | instskip(NEXT) | instid1(VALU_DEP_1)
	v_div_fmas_f32 v23, v23, v32, v34
	v_div_fixup_f32 v9, v23, v19, v9
.LBB62_432:                             ;   in Loop: Header=BB62_418 Depth=1
	s_or_b32 exec_lo, exec_lo, s18
                                        ; implicit-def: $vgpr19
.LBB62_433:                             ;   in Loop: Header=BB62_418 Depth=1
	s_and_not1_saveexec_b32 s0, s0
; %bb.434:                              ;   in Loop: Header=BB62_418 Depth=1
	v_sub_f32_e32 v9, v8, v19
; %bb.435:                              ;   in Loop: Header=BB62_418 Depth=1
	s_or_b32 exec_lo, exec_lo, s0
	s_delay_alu instid0(VALU_DEP_1) | instskip(NEXT) | instid1(VALU_DEP_1)
	v_dual_mul_f32 v7, 0.5, v7 :: v_dual_mul_f32 v19, 0.5, v9
	v_pk_add_f32 v[32:33], v[6:7], v[18:19]
	s_delay_alu instid0(VALU_DEP_1) | instskip(NEXT) | instid1(VALU_DEP_1)
	v_mul_f32_e32 v7, v32, v33
	v_mul_f32_e32 v9, 0x4f800000, v7
	v_cmp_gt_f32_e32 vcc_lo, 0xf800000, v7
	s_delay_alu instid0(VALU_DEP_2) | instskip(NEXT) | instid1(VALU_DEP_1)
	v_cndmask_b32_e32 v7, v7, v9, vcc_lo
	v_sqrt_f32_e32 v9, v7
	v_nop
	s_delay_alu instid0(TRANS32_DEP_1) | instskip(NEXT) | instid1(VALU_DEP_1)
	v_dual_add_nc_u32 v19, -1, v9 :: v_dual_add_nc_u32 v23, 1, v9
	v_fma_f32 v32, -v19, v9, v7
	s_delay_alu instid0(VALU_DEP_2) | instskip(NEXT) | instid1(VALU_DEP_2)
	v_fma_f32 v34, -v23, v9, v7
	v_cmp_ge_f32_e64 s0, 0, v32
	s_delay_alu instid0(VALU_DEP_1) | instskip(NEXT) | instid1(VALU_DEP_3)
	v_cndmask_b32_e64 v9, v9, v19, s0
	v_cmp_lt_f32_e64 s0, 0, v34
	s_delay_alu instid0(VALU_DEP_1) | instskip(NEXT) | instid1(VALU_DEP_1)
	v_cndmask_b32_e64 v9, v9, v23, s0
	v_mul_f32_e32 v19, 0x37800000, v9
	s_delay_alu instid0(VALU_DEP_1) | instskip(SKIP_1) | instid1(VALU_DEP_2)
	v_cndmask_b32_e32 v9, v9, v19, vcc_lo
	v_cmp_class_f32_e64 vcc_lo, v7, 0x260
	v_cndmask_b32_e32 v7, v9, v7, vcc_lo
	s_delay_alu instid0(VALU_DEP_1) | instskip(NEXT) | instid1(VALU_DEP_1)
	v_add_f32_e32 v32, v33, v7
	v_add_f32_e32 v35, 1.0, v32
	s_delay_alu instid0(VALU_DEP_1) | instskip(SKIP_1) | instid1(VALU_DEP_1)
	v_cvt_f64_f32_e32 v[36:37], v35
	v_frexp_mant_f32_e32 v9, v35
	v_cmp_gt_f32_e32 vcc_lo, 0x3f2aaaab, v9
	s_delay_alu instid0(VALU_DEP_3) | instskip(NEXT) | instid1(VALU_DEP_1)
	v_frexp_exp_i32_f64_e32 v7, v[36:37]
	v_subrev_co_ci_u32_e64 v7, null, 0, v7, vcc_lo
	v_cmp_neq_f32_e32 vcc_lo, 0x7f800000, v32
	s_delay_alu instid0(VALU_DEP_2) | instskip(NEXT) | instid1(VALU_DEP_1)
	v_sub_nc_u32_e32 v9, 0, v7
	v_ldexp_f32 v19, v35, v9
	v_add_f32_e32 v33, -1.0, v35
	s_delay_alu instid0(VALU_DEP_1) | instskip(NEXT) | instid1(VALU_DEP_1)
	v_dual_add_f32 v39, -1.0, v19 :: v_dual_mov_b32 v34, v33
	v_pk_add_f32 v[36:37], v[32:33], v[34:35] neg_lo:[0,1] neg_hi:[0,1]
	s_delay_alu instid0(VALU_DEP_1) | instskip(NEXT) | instid1(VALU_DEP_1)
	v_dual_add_f32 v33, 1.0, v19 :: v_dual_add_f32 v23, 1.0, v37
	v_dual_add_f32 v34, -1.0, v33 :: v_dual_add_f32 v23, v36, v23
	s_delay_alu instid0(VALU_DEP_1) | instskip(NEXT) | instid1(VALU_DEP_2)
	v_ldexp_f32 v9, v23, v9
	v_dual_sub_f32 v23, v19, v34 :: v_dual_add_f32 v34, 1.0, v39
	s_delay_alu instid0(VALU_DEP_1) | instskip(NEXT) | instid1(VALU_DEP_1)
	v_dual_add_f32 v23, v9, v23 :: v_dual_sub_f32 v19, v19, v34
	v_add_f32_e32 v40, v33, v23
	s_delay_alu instid0(VALU_DEP_1) | instskip(NEXT) | instid1(VALU_DEP_1)
	v_dual_add_f32 v9, v9, v19 :: v_dual_sub_f32 v33, v40, v33
	v_add_f32_e32 v35, v39, v9
	s_delay_alu instid0(VALU_DEP_2) | instskip(SKIP_1) | instid1(VALU_DEP_2)
	v_sub_f32_e32 v23, v23, v33
	v_rcp_f32_e32 v19, v40
	v_sub_f32_e32 v33, v35, v39
	s_delay_alu instid0(TRANS32_DEP_1) | instid1(VALU_DEP_1)
	v_dual_mul_f32 v41, v35, v19 :: v_dual_sub_f32 v9, v9, v33
	s_delay_alu instid0(VALU_DEP_1) | instskip(NEXT) | instid1(VALU_DEP_1)
	v_mul_f32_e32 v36, v40, v41
	v_fma_f32 v38, v41, v40, -v36
	s_delay_alu instid0(VALU_DEP_1) | instskip(NEXT) | instid1(VALU_DEP_1)
	v_fmac_f32_e32 v38, v41, v23
	v_add_f32_e32 v34, v36, v38
	s_delay_alu instid0(VALU_DEP_1) | instskip(NEXT) | instid1(VALU_DEP_1)
	v_dual_sub_f32 v37, v35, v34 :: v_dual_mov_b32 v39, v34
	v_pk_add_f32 v[34:35], v[34:35], v[36:37] neg_lo:[0,1] neg_hi:[0,1]
	s_delay_alu instid0(VALU_DEP_1) | instskip(NEXT) | instid1(VALU_DEP_1)
	v_pk_add_f32 v[34:35], v[34:35], v[38:39] neg_lo:[0,1] neg_hi:[0,1]
	v_add_f32_e32 v9, v9, v35
	s_delay_alu instid0(VALU_DEP_1) | instskip(NEXT) | instid1(VALU_DEP_1)
	v_add_f32_e32 v9, v34, v9
	v_add_f32_e32 v35, v37, v9
	s_delay_alu instid0(VALU_DEP_1) | instskip(NEXT) | instid1(VALU_DEP_1)
	v_mul_f32_e32 v33, v19, v35
	v_mul_f32_e32 v38, v40, v33
	s_delay_alu instid0(VALU_DEP_1) | instskip(SKIP_1) | instid1(VALU_DEP_2)
	v_fma_f32 v36, v33, v40, -v38
	v_add_f32_e32 v40, v41, v33
	v_fmac_f32_e32 v36, v33, v23
	s_delay_alu instid0(VALU_DEP_1) | instskip(NEXT) | instid1(VALU_DEP_1)
	v_dual_add_f32 v34, v38, v36 :: v_dual_sub_f32 v23, v37, v35
	v_dual_sub_f32 v39, v35, v34 :: v_dual_mov_b32 v37, v34
	s_delay_alu instid0(VALU_DEP_2) | instskip(NEXT) | instid1(VALU_DEP_2)
	v_dual_add_f32 v9, v9, v23 :: v_dual_sub_f32 v23, v40, v41
	v_pk_add_f32 v[34:35], v[34:35], v[38:39] neg_lo:[0,1] neg_hi:[0,1]
	s_delay_alu instid0(VALU_DEP_2) | instskip(NEXT) | instid1(VALU_DEP_2)
	v_sub_f32_e32 v23, v33, v23
	v_pk_add_f32 v[34:35], v[34:35], v[36:37] neg_lo:[0,1] neg_hi:[0,1]
	s_delay_alu instid0(VALU_DEP_1) | instskip(NEXT) | instid1(VALU_DEP_1)
	v_add_f32_e32 v9, v9, v35
	v_add_f32_e32 v9, v34, v9
	v_cvt_f32_i32_e32 v34, v7
	s_delay_alu instid0(VALU_DEP_2) | instskip(NEXT) | instid1(VALU_DEP_1)
	v_add_f32_e32 v9, v39, v9
	v_mul_f32_e32 v9, v19, v9
	s_delay_alu instid0(VALU_DEP_1) | instskip(NEXT) | instid1(VALU_DEP_1)
	v_add_f32_e32 v9, v23, v9
	v_add_f32_e32 v19, v40, v9
	s_delay_alu instid0(VALU_DEP_1) | instskip(NEXT) | instid1(VALU_DEP_1)
	v_mul_f32_e32 v23, v19, v19
	v_fmaak_f32 v33, s7, v23, 0x3ecc95a3
	v_mul_f32_e32 v35, v19, v23
	s_delay_alu instid0(VALU_DEP_2) | instskip(NEXT) | instid1(VALU_DEP_1)
	v_fmaak_f32 v23, v23, v33, 0x3f2aaada
	v_pk_mul_f32 v[36:37], v[34:35], v[22:23]
	v_sub_f32_e32 v7, v19, v40
	s_delay_alu instid0(VALU_DEP_2) | instskip(NEXT) | instid1(VALU_DEP_2)
	v_fma_f32 v38, 0x3f317218, v34, -v36
	v_dual_mov_b32 v40, v36 :: v_dual_sub_f32 v7, v9, v7
	v_ldexp_f32 v39, v19, 1
	s_delay_alu instid0(VALU_DEP_3) | instskip(NEXT) | instid1(VALU_DEP_3)
	v_fmac_f32_e32 v38, 0xb102e308, v34
	v_ldexp_f32 v7, v7, 1
	s_delay_alu instid0(VALU_DEP_2) | instskip(NEXT) | instid1(VALU_DEP_1)
	v_pk_add_f32 v[34:35], v[36:37], v[38:39]
	v_dual_sub_f32 v9, v35, v39 :: v_dual_mov_b32 v39, v34
	s_delay_alu instid0(VALU_DEP_1) | instskip(SKIP_1) | instid1(VALU_DEP_2)
	v_dual_mov_b32 v48, v35 :: v_dual_sub_f32 v9, v37, v9
	v_pk_add_f32 v[36:37], v[34:35], v[36:37] neg_lo:[0,1] neg_hi:[0,1]
	v_add_f32_e32 v41, v7, v9
	s_delay_alu instid0(VALU_DEP_1) | instskip(NEXT) | instid1(VALU_DEP_1)
	v_pk_add_f32 v[42:43], v[34:35], v[40:41]
	v_mov_b32_e32 v37, v43
	s_delay_alu instid0(VALU_DEP_1) | instskip(SKIP_2) | instid1(VALU_DEP_3)
	v_pk_add_f32 v[44:45], v[38:39], v[36:37]
	v_mov_b32_e32 v44, v43
	v_pk_add_f32 v[36:37], v[38:39], v[36:37] neg_lo:[0,1] neg_hi:[0,1]
	v_dual_mov_b32 v40, v45 :: v_dual_mov_b32 v37, v45
	s_delay_alu instid0(VALU_DEP_1) | instskip(NEXT) | instid1(VALU_DEP_1)
	v_pk_add_f32 v[46:47], v[40:41], v[34:35] neg_lo:[0,1] neg_hi:[0,1]
	v_dual_mov_b32 v35, v34 :: v_dual_mov_b32 v49, v46
	v_dual_mov_b32 v7, v46 :: v_dual_mov_b32 v34, v41
	s_delay_alu instid0(VALU_DEP_2) | instskip(NEXT) | instid1(VALU_DEP_2)
	v_pk_add_f32 v[46:47], v[44:45], v[48:49] neg_lo:[0,1] neg_hi:[0,1]
	v_pk_add_f32 v[38:39], v[42:43], v[6:7] neg_lo:[0,1] neg_hi:[0,1]
	v_mov_b32_e32 v38, v36
	s_delay_alu instid0(VALU_DEP_3) | instskip(NEXT) | instid1(VALU_DEP_1)
	v_pk_add_f32 v[34:35], v[34:35], v[46:47] neg_lo:[0,1] neg_hi:[0,1]
	v_pk_add_f32 v[38:39], v[38:39], v[34:35]
	s_delay_alu instid0(VALU_DEP_1) | instskip(NEXT) | instid1(VALU_DEP_1)
	v_mov_b32_e32 v42, v39
	v_pk_add_f32 v[42:43], v[38:39], v[42:43]
	s_delay_alu instid0(VALU_DEP_1) | instskip(NEXT) | instid1(VALU_DEP_1)
	v_pk_add_f32 v[40:41], v[40:41], v[42:43]
	v_dual_mov_b32 v35, v42 :: v_dual_mov_b32 v39, v40
	s_delay_alu instid0(VALU_DEP_1) | instskip(NEXT) | instid1(VALU_DEP_1)
	v_pk_add_f32 v[44:45], v[38:39], v[36:37] neg_lo:[0,1] neg_hi:[0,1]
	v_sub_f32_e32 v7, v38, v44
	s_delay_alu instid0(VALU_DEP_2) | instskip(NEXT) | instid1(VALU_DEP_2)
	v_pk_add_f32 v[34:35], v[34:35], v[44:45] neg_lo:[0,1] neg_hi:[0,1]
	v_sub_f32_e32 v7, v36, v7
	s_delay_alu instid0(VALU_DEP_1) | instskip(NEXT) | instid1(VALU_DEP_1)
	v_add_f32_e32 v7, v34, v7
	v_add_f32_e32 v7, v7, v35
	s_delay_alu instid0(VALU_DEP_1) | instskip(NEXT) | instid1(VALU_DEP_1)
	v_add_f32_e32 v7, v40, v7
	v_cndmask_b32_e32 v7, 0x7f800000, v7, vcc_lo
	v_cmp_ngt_f32_e32 vcc_lo, -1.0, v32
	s_delay_alu instid0(VALU_DEP_2) | instskip(SKIP_1) | instid1(VALU_DEP_2)
	v_cndmask_b32_e32 v7, 0x7fc00000, v7, vcc_lo
	v_cmp_neq_f32_e32 vcc_lo, -1.0, v32
	v_cndmask_b32_e32 v7, 0xff800000, v7, vcc_lo
	v_cmp_gt_f32_e64 vcc_lo, 0x33800000, |v32|
	s_delay_alu instid0(VALU_DEP_2)
	v_cndmask_b32_e32 v19, v7, v32, vcc_lo
.LBB62_436:                             ;   in Loop: Header=BB62_418 Depth=1
	s_and_not1_saveexec_b32 s17, s17
	s_cbranch_execz .LBB62_442
; %bb.437:                              ;   in Loop: Header=BB62_418 Depth=1
	s_mov_b32 s18, exec_lo
                                        ; implicit-def: $vgpr19
	v_cmpx_nlt_f32_e64 |v10|, 1.0
	s_xor_b32 s18, exec_lo, s18
	s_cbranch_execz .LBB62_439
; %bb.438:                              ;   in Loop: Header=BB62_418 Depth=1
	v_mul_f32_e32 v7, v28, v29
	s_delay_alu instid0(VALU_DEP_1) | instskip(SKIP_1) | instid1(VALU_DEP_2)
	v_mul_f32_e32 v9, 0x4f800000, v7
	v_cmp_gt_f32_e32 vcc_lo, 0xf800000, v7
	v_cndmask_b32_e32 v7, v7, v9, vcc_lo
	s_delay_alu instid0(VALU_DEP_1) | instskip(SKIP_1) | instid1(TRANS32_DEP_1)
	v_sqrt_f32_e32 v9, v7
	v_nop
	v_dual_add_nc_u32 v19, -1, v9 :: v_dual_add_nc_u32 v23, 1, v9
	s_delay_alu instid0(VALU_DEP_1) | instskip(NEXT) | instid1(VALU_DEP_2)
	v_fma_f32 v32, -v19, v9, v7
	v_fma_f32 v33, -v23, v9, v7
	s_delay_alu instid0(VALU_DEP_2) | instskip(NEXT) | instid1(VALU_DEP_1)
	v_cmp_ge_f32_e64 s0, 0, v32
	v_cndmask_b32_e64 v9, v9, v19, s0
	s_delay_alu instid0(VALU_DEP_3) | instskip(NEXT) | instid1(VALU_DEP_1)
	v_cmp_lt_f32_e64 s0, 0, v33
	v_cndmask_b32_e64 v9, v9, v23, s0
	s_delay_alu instid0(VALU_DEP_1) | instskip(NEXT) | instid1(VALU_DEP_1)
	v_mul_f32_e32 v19, 0x37800000, v9
	v_cndmask_b32_e32 v9, v9, v19, vcc_lo
	v_cmp_class_f32_e64 vcc_lo, v7, 0x260
	s_delay_alu instid0(VALU_DEP_2) | instskip(NEXT) | instid1(VALU_DEP_1)
	v_cndmask_b32_e32 v7, v9, v7, vcc_lo
	v_add_f32_e32 v32, v28, v7
	s_delay_alu instid0(VALU_DEP_1) | instskip(NEXT) | instid1(VALU_DEP_1)
	v_add_f32_e32 v35, 1.0, v32
	v_cvt_f64_f32_e32 v[36:37], v35
	v_frexp_mant_f32_e32 v9, v35
	s_delay_alu instid0(VALU_DEP_1) | instskip(NEXT) | instid1(VALU_DEP_3)
	v_cmp_gt_f32_e32 vcc_lo, 0x3f2aaaab, v9
	v_frexp_exp_i32_f64_e32 v7, v[36:37]
	s_delay_alu instid0(VALU_DEP_1) | instskip(SKIP_1) | instid1(VALU_DEP_2)
	v_subrev_co_ci_u32_e64 v7, null, 0, v7, vcc_lo
	v_cmp_neq_f32_e32 vcc_lo, 0x7f800000, v32
	v_sub_nc_u32_e32 v9, 0, v7
	s_delay_alu instid0(VALU_DEP_1) | instskip(SKIP_1) | instid1(VALU_DEP_1)
	v_ldexp_f32 v19, v35, v9
	v_add_f32_e32 v33, -1.0, v35
	v_dual_add_f32 v39, -1.0, v19 :: v_dual_mov_b32 v34, v33
	s_delay_alu instid0(VALU_DEP_1) | instskip(NEXT) | instid1(VALU_DEP_1)
	v_pk_add_f32 v[36:37], v[32:33], v[34:35] neg_lo:[0,1] neg_hi:[0,1]
	v_dual_add_f32 v33, 1.0, v19 :: v_dual_add_f32 v23, 1.0, v37
	s_delay_alu instid0(VALU_DEP_1) | instskip(NEXT) | instid1(VALU_DEP_1)
	v_dual_add_f32 v34, -1.0, v33 :: v_dual_add_f32 v23, v36, v23
	v_ldexp_f32 v9, v23, v9
	s_delay_alu instid0(VALU_DEP_2) | instskip(NEXT) | instid1(VALU_DEP_1)
	v_dual_sub_f32 v23, v19, v34 :: v_dual_add_f32 v34, 1.0, v39
	v_dual_add_f32 v23, v9, v23 :: v_dual_sub_f32 v19, v19, v34
	s_delay_alu instid0(VALU_DEP_1) | instskip(NEXT) | instid1(VALU_DEP_1)
	v_add_f32_e32 v40, v33, v23
	v_dual_add_f32 v9, v9, v19 :: v_dual_sub_f32 v33, v40, v33
	s_delay_alu instid0(VALU_DEP_1) | instskip(NEXT) | instid1(VALU_DEP_2)
	v_add_f32_e32 v35, v39, v9
	v_sub_f32_e32 v23, v23, v33
	v_rcp_f32_e32 v19, v40
	s_delay_alu instid0(VALU_DEP_2)
	v_sub_f32_e32 v33, v35, v39
	s_delay_alu instid0(TRANS32_DEP_1) | instid1(VALU_DEP_1)
	v_dual_mul_f32 v41, v35, v19 :: v_dual_sub_f32 v9, v9, v33
	s_delay_alu instid0(VALU_DEP_1) | instskip(NEXT) | instid1(VALU_DEP_1)
	v_mul_f32_e32 v36, v40, v41
	v_fma_f32 v38, v41, v40, -v36
	s_delay_alu instid0(VALU_DEP_1) | instskip(NEXT) | instid1(VALU_DEP_1)
	v_fmac_f32_e32 v38, v41, v23
	v_add_f32_e32 v34, v36, v38
	s_delay_alu instid0(VALU_DEP_1) | instskip(NEXT) | instid1(VALU_DEP_1)
	v_dual_sub_f32 v37, v35, v34 :: v_dual_mov_b32 v39, v34
	v_pk_add_f32 v[34:35], v[34:35], v[36:37] neg_lo:[0,1] neg_hi:[0,1]
	s_delay_alu instid0(VALU_DEP_1) | instskip(NEXT) | instid1(VALU_DEP_1)
	v_pk_add_f32 v[34:35], v[34:35], v[38:39] neg_lo:[0,1] neg_hi:[0,1]
	v_add_f32_e32 v9, v9, v35
	s_delay_alu instid0(VALU_DEP_1) | instskip(NEXT) | instid1(VALU_DEP_1)
	v_add_f32_e32 v9, v34, v9
	v_add_f32_e32 v35, v37, v9
	s_delay_alu instid0(VALU_DEP_1) | instskip(NEXT) | instid1(VALU_DEP_1)
	v_mul_f32_e32 v33, v19, v35
	v_mul_f32_e32 v38, v40, v33
	s_delay_alu instid0(VALU_DEP_1) | instskip(SKIP_1) | instid1(VALU_DEP_2)
	v_fma_f32 v36, v33, v40, -v38
	v_add_f32_e32 v40, v41, v33
	v_fmac_f32_e32 v36, v33, v23
	s_delay_alu instid0(VALU_DEP_1) | instskip(NEXT) | instid1(VALU_DEP_1)
	v_dual_add_f32 v34, v38, v36 :: v_dual_sub_f32 v23, v37, v35
	v_dual_sub_f32 v39, v35, v34 :: v_dual_mov_b32 v37, v34
	s_delay_alu instid0(VALU_DEP_2) | instskip(NEXT) | instid1(VALU_DEP_2)
	v_dual_add_f32 v9, v9, v23 :: v_dual_sub_f32 v23, v40, v41
	v_pk_add_f32 v[34:35], v[34:35], v[38:39] neg_lo:[0,1] neg_hi:[0,1]
	s_delay_alu instid0(VALU_DEP_2) | instskip(NEXT) | instid1(VALU_DEP_2)
	v_sub_f32_e32 v23, v33, v23
	v_pk_add_f32 v[34:35], v[34:35], v[36:37] neg_lo:[0,1] neg_hi:[0,1]
	s_delay_alu instid0(VALU_DEP_1) | instskip(NEXT) | instid1(VALU_DEP_1)
	v_add_f32_e32 v9, v9, v35
	v_add_f32_e32 v9, v34, v9
	v_cvt_f32_i32_e32 v34, v7
	s_delay_alu instid0(VALU_DEP_2) | instskip(NEXT) | instid1(VALU_DEP_1)
	v_add_f32_e32 v9, v39, v9
	v_mul_f32_e32 v9, v19, v9
	s_delay_alu instid0(VALU_DEP_1) | instskip(NEXT) | instid1(VALU_DEP_1)
	v_add_f32_e32 v9, v23, v9
	v_add_f32_e32 v19, v40, v9
	s_delay_alu instid0(VALU_DEP_1) | instskip(NEXT) | instid1(VALU_DEP_1)
	v_mul_f32_e32 v23, v19, v19
	v_fmaak_f32 v33, s7, v23, 0x3ecc95a3
	v_mul_f32_e32 v35, v19, v23
	s_delay_alu instid0(VALU_DEP_2) | instskip(NEXT) | instid1(VALU_DEP_1)
	v_fmaak_f32 v23, v23, v33, 0x3f2aaada
	v_pk_mul_f32 v[36:37], v[34:35], v[22:23]
	v_sub_f32_e32 v7, v19, v40
	s_delay_alu instid0(VALU_DEP_2) | instskip(NEXT) | instid1(VALU_DEP_2)
	v_fma_f32 v38, 0x3f317218, v34, -v36
	v_dual_mov_b32 v40, v36 :: v_dual_sub_f32 v7, v9, v7
	v_ldexp_f32 v39, v19, 1
	s_delay_alu instid0(VALU_DEP_3) | instskip(NEXT) | instid1(VALU_DEP_3)
	v_fmac_f32_e32 v38, 0xb102e308, v34
	v_ldexp_f32 v7, v7, 1
	s_delay_alu instid0(VALU_DEP_2) | instskip(NEXT) | instid1(VALU_DEP_1)
	v_pk_add_f32 v[34:35], v[36:37], v[38:39]
	v_dual_sub_f32 v9, v35, v39 :: v_dual_mov_b32 v39, v34
	s_delay_alu instid0(VALU_DEP_1) | instskip(SKIP_1) | instid1(VALU_DEP_2)
	v_dual_mov_b32 v48, v35 :: v_dual_sub_f32 v9, v37, v9
	v_pk_add_f32 v[36:37], v[34:35], v[36:37] neg_lo:[0,1] neg_hi:[0,1]
	v_add_f32_e32 v41, v7, v9
	s_delay_alu instid0(VALU_DEP_1) | instskip(NEXT) | instid1(VALU_DEP_1)
	v_pk_add_f32 v[42:43], v[34:35], v[40:41]
	v_mov_b32_e32 v37, v43
	s_delay_alu instid0(VALU_DEP_1) | instskip(SKIP_2) | instid1(VALU_DEP_3)
	v_pk_add_f32 v[44:45], v[38:39], v[36:37]
	v_mov_b32_e32 v44, v43
	v_pk_add_f32 v[36:37], v[38:39], v[36:37] neg_lo:[0,1] neg_hi:[0,1]
	v_dual_mov_b32 v40, v45 :: v_dual_mov_b32 v37, v45
	s_delay_alu instid0(VALU_DEP_1) | instskip(NEXT) | instid1(VALU_DEP_1)
	v_pk_add_f32 v[46:47], v[40:41], v[34:35] neg_lo:[0,1] neg_hi:[0,1]
	v_dual_mov_b32 v35, v34 :: v_dual_mov_b32 v49, v46
	v_dual_mov_b32 v7, v46 :: v_dual_mov_b32 v34, v41
	s_delay_alu instid0(VALU_DEP_2) | instskip(NEXT) | instid1(VALU_DEP_2)
	v_pk_add_f32 v[46:47], v[44:45], v[48:49] neg_lo:[0,1] neg_hi:[0,1]
	v_pk_add_f32 v[38:39], v[42:43], v[6:7] neg_lo:[0,1] neg_hi:[0,1]
	v_mov_b32_e32 v38, v36
	s_delay_alu instid0(VALU_DEP_3) | instskip(NEXT) | instid1(VALU_DEP_1)
	v_pk_add_f32 v[34:35], v[34:35], v[46:47] neg_lo:[0,1] neg_hi:[0,1]
	v_pk_add_f32 v[38:39], v[38:39], v[34:35]
	s_delay_alu instid0(VALU_DEP_1) | instskip(NEXT) | instid1(VALU_DEP_1)
	v_mov_b32_e32 v42, v39
	v_pk_add_f32 v[42:43], v[38:39], v[42:43]
	s_delay_alu instid0(VALU_DEP_1) | instskip(NEXT) | instid1(VALU_DEP_1)
	v_pk_add_f32 v[40:41], v[40:41], v[42:43]
	v_dual_mov_b32 v35, v42 :: v_dual_mov_b32 v39, v40
	s_delay_alu instid0(VALU_DEP_1) | instskip(NEXT) | instid1(VALU_DEP_1)
	v_pk_add_f32 v[44:45], v[38:39], v[36:37] neg_lo:[0,1] neg_hi:[0,1]
	v_sub_f32_e32 v7, v38, v44
	s_delay_alu instid0(VALU_DEP_2) | instskip(NEXT) | instid1(VALU_DEP_2)
	v_pk_add_f32 v[34:35], v[34:35], v[44:45] neg_lo:[0,1] neg_hi:[0,1]
	v_sub_f32_e32 v7, v36, v7
	s_delay_alu instid0(VALU_DEP_1) | instskip(NEXT) | instid1(VALU_DEP_1)
	v_add_f32_e32 v7, v34, v7
	v_add_f32_e32 v7, v7, v35
	s_delay_alu instid0(VALU_DEP_1) | instskip(NEXT) | instid1(VALU_DEP_1)
	v_add_f32_e32 v7, v40, v7
	v_cndmask_b32_e32 v7, 0x7f800000, v7, vcc_lo
	v_cmp_ngt_f32_e32 vcc_lo, -1.0, v32
	s_delay_alu instid0(VALU_DEP_2) | instskip(SKIP_1) | instid1(VALU_DEP_2)
	v_cndmask_b32_e32 v7, 0x7fc00000, v7, vcc_lo
	v_cmp_neq_f32_e32 vcc_lo, -1.0, v32
	v_cndmask_b32_e32 v7, 0xff800000, v7, vcc_lo
	v_cmp_gt_f32_e64 vcc_lo, 0x33800000, |v32|
	s_delay_alu instid0(VALU_DEP_2)
	v_cndmask_b32_e32 v19, v7, v32, vcc_lo
.LBB62_439:                             ;   in Loop: Header=BB62_418 Depth=1
	s_and_not1_saveexec_b32 s18, s18
	s_cbranch_execz .LBB62_441
; %bb.440:                              ;   in Loop: Header=BB62_418 Depth=1
	v_sub_f32_e64 v7, 1.0, |v10|
	s_delay_alu instid0(VALU_DEP_1) | instskip(NEXT) | instid1(VALU_DEP_1)
	v_mul_f32_e32 v7, v7, v29
	v_mul_f32_e32 v9, 0x4f800000, v7
	v_cmp_gt_f32_e32 vcc_lo, 0xf800000, v7
	s_delay_alu instid0(VALU_DEP_2) | instskip(NEXT) | instid1(VALU_DEP_1)
	v_cndmask_b32_e32 v7, v7, v9, vcc_lo
	v_sqrt_f32_e32 v9, v7
	v_nop
	s_delay_alu instid0(TRANS32_DEP_1) | instskip(NEXT) | instid1(VALU_DEP_1)
	v_dual_add_nc_u32 v19, -1, v9 :: v_dual_add_nc_u32 v23, 1, v9
	v_fma_f32 v32, -v19, v9, v7
	s_delay_alu instid0(VALU_DEP_2) | instskip(NEXT) | instid1(VALU_DEP_2)
	v_fma_f32 v33, -v23, v9, v7
	v_cmp_ge_f32_e64 s0, 0, v32
	s_delay_alu instid0(VALU_DEP_1) | instskip(NEXT) | instid1(VALU_DEP_3)
	v_cndmask_b32_e64 v9, v9, v19, s0
	v_cmp_lt_f32_e64 s0, 0, v33
	s_delay_alu instid0(VALU_DEP_1) | instskip(NEXT) | instid1(VALU_DEP_1)
	v_cndmask_b32_e64 v9, v9, v23, s0
	v_mul_f32_e32 v19, 0x37800000, v9
	s_delay_alu instid0(VALU_DEP_1) | instskip(SKIP_2) | instid1(VALU_DEP_3)
	v_cndmask_b32_e32 v9, v9, v19, vcc_lo
	v_cmp_class_f32_e64 vcc_lo, v7, 0x260
	v_and_b32_e32 v19, 0x7fffffff, v11
	v_cndmask_b32_e32 v7, v9, v7, vcc_lo
	s_delay_alu instid0(VALU_DEP_1) | instskip(SKIP_1) | instid1(VALU_DEP_2)
	v_div_scale_f32 v9, null, v7, v7, v19
	v_div_scale_f32 v19, vcc_lo, v19, v7, v19
	v_rcp_f32_e32 v23, v9
	v_nop
	s_delay_alu instid0(TRANS32_DEP_1) | instskip(NEXT) | instid1(VALU_DEP_1)
	v_fma_f32 v32, -v9, v23, 1.0
	v_fmac_f32_e32 v23, v32, v23
	s_delay_alu instid0(VALU_DEP_1) | instskip(NEXT) | instid1(VALU_DEP_1)
	v_mul_f32_e32 v32, v19, v23
	v_fma_f32 v33, -v9, v32, v19
	s_delay_alu instid0(VALU_DEP_1) | instskip(NEXT) | instid1(VALU_DEP_1)
	v_fmac_f32_e32 v32, v33, v23
	v_fma_f32 v9, -v9, v32, v19
	s_delay_alu instid0(VALU_DEP_1) | instskip(NEXT) | instid1(VALU_DEP_1)
	v_div_fmas_f32 v9, v9, v23, v32
	v_div_fixup_f32 v19, v9, v7, |v11|
.LBB62_441:                             ;   in Loop: Header=BB62_418 Depth=1
	s_or_b32 exec_lo, exec_lo, s18
.LBB62_442:                             ;   in Loop: Header=BB62_418 Depth=1
	s_delay_alu instid0(SALU_CYCLE_1)
	s_or_b32 exec_lo, exec_lo, s17
.LBB62_443:                             ;   in Loop: Header=BB62_418 Depth=1
	s_and_not1_saveexec_b32 s16, s16
	s_cbranch_execz .LBB62_445
; %bb.444:                              ;   in Loop: Header=BB62_418 Depth=1
	v_mul_f32_e64 v7, 0x4f800000, |v11|
	v_cmp_gt_f32_e64 vcc_lo, 0xf800000, |v11|
	s_delay_alu instid0(VALU_DEP_1) | instskip(NEXT) | instid1(VALU_DEP_1)
	v_cndmask_b32_e64 v7, |v11|, v7, vcc_lo
	v_sqrt_f32_e32 v9, v7
	v_nop
	s_delay_alu instid0(TRANS32_DEP_1) | instskip(NEXT) | instid1(VALU_DEP_1)
	v_dual_add_nc_u32 v19, -1, v9 :: v_dual_add_nc_u32 v23, 1, v9
	v_fma_f32 v32, -v19, v9, v7
	s_delay_alu instid0(VALU_DEP_2) | instskip(NEXT) | instid1(VALU_DEP_2)
	v_fma_f32 v33, -v23, v9, v7
	v_cmp_ge_f32_e64 s0, 0, v32
	s_delay_alu instid0(VALU_DEP_1) | instskip(NEXT) | instid1(VALU_DEP_3)
	v_cndmask_b32_e64 v9, v9, v19, s0
	v_cmp_lt_f32_e64 s0, 0, v33
	s_delay_alu instid0(VALU_DEP_1) | instskip(NEXT) | instid1(VALU_DEP_1)
	v_cndmask_b32_e64 v9, v9, v23, s0
	v_mul_f32_e32 v19, 0x37800000, v9
	s_delay_alu instid0(VALU_DEP_1) | instskip(SKIP_1) | instid1(VALU_DEP_2)
	v_cndmask_b32_e32 v9, v9, v19, vcc_lo
	v_cmp_class_f32_e64 vcc_lo, v7, 0x260
	v_cndmask_b32_e32 v19, v9, v7, vcc_lo
.LBB62_445:                             ;   in Loop: Header=BB62_418 Depth=1
	s_or_b32 exec_lo, exec_lo, s16
.LBB62_446:                             ;   in Loop: Header=BB62_418 Depth=1
	s_delay_alu instid0(SALU_CYCLE_1) | instskip(NEXT) | instid1(SALU_CYCLE_1)
	s_or_b32 exec_lo, exec_lo, s1
	s_mov_b32 s16, exec_lo
                                        ; implicit-def: $sgpr0
                                        ; implicit-def: $vgpr9
                                        ; implicit-def: $vgpr23
	v_cmpx_ngt_f32_e64 0x21000000, |v10|
	s_xor_b32 s16, exec_lo, s16
	s_cbranch_execz .LBB62_470
; %bb.447:                              ;   in Loop: Header=BB62_418 Depth=1
	v_and_b32_e32 v9, 0x7fffffff, v10
	s_mov_b32 s0, 0
	s_mov_b32 s17, exec_lo
	s_delay_alu instid0(VALU_DEP_1) | instskip(NEXT) | instid1(VALU_DEP_1)
	v_div_scale_f32 v7, null, v6, v6, v9
	v_rcp_f32_e32 v23, v7
	v_nop
	s_delay_alu instid0(TRANS32_DEP_1) | instskip(NEXT) | instid1(VALU_DEP_1)
	v_fma_f32 v32, -v7, v23, 1.0
	v_fmac_f32_e32 v23, v32, v23
	v_div_scale_f32 v32, vcc_lo, v9, v6, v9
	s_delay_alu instid0(VALU_DEP_1) | instskip(NEXT) | instid1(VALU_DEP_1)
	v_mul_f32_e32 v33, v32, v23
	v_fma_f32 v34, -v7, v33, v32
	s_delay_alu instid0(VALU_DEP_1) | instskip(NEXT) | instid1(VALU_DEP_1)
	v_fmac_f32_e32 v33, v34, v23
	v_fma_f32 v7, -v7, v33, v32
	s_delay_alu instid0(VALU_DEP_1) | instskip(NEXT) | instid1(VALU_DEP_1)
	v_div_fmas_f32 v7, v7, v23, v33
	v_div_fixup_f32 v23, v7, v6, |v10|
	s_delay_alu instid0(VALU_DEP_1)
	v_cmpx_lt_f32_e32 0x3f244674, v23
	s_cbranch_execz .LBB62_469
; %bb.448:                              ;   in Loop: Header=BB62_418 Depth=1
	v_cmp_neq_f32_e64 s0, |v10|, 1.0
	v_cmp_ngt_f32_e64 s1, 0x30800000, |v11|
	s_or_b32 s0, s0, s1
	s_delay_alu instid0(SALU_CYCLE_1) | instskip(NEXT) | instid1(SALU_CYCLE_1)
	s_and_saveexec_b32 s1, s0
	s_xor_b32 s1, exec_lo, s1
	s_cbranch_execz .LBB62_466
; %bb.449:                              ;   in Loop: Header=BB62_418 Depth=1
	v_mul_f32_e64 v7, 0x34000000, |v28|
	s_mov_b32 s18, exec_lo
	s_delay_alu instid0(VALU_DEP_1)
	v_cmpx_ge_f32_e64 |v11|, v7
	s_xor_b32 s18, exec_lo, s18
	s_cbranch_execz .LBB62_459
; %bb.450:                              ;   in Loop: Header=BB62_418 Depth=1
	v_mov_b32_e32 v7, v30
	s_mov_b32 s0, exec_lo
	v_cmpx_neq_f32_e32 0, v29
	s_cbranch_execz .LBB62_452
; %bb.451:                              ;   in Loop: Header=BB62_418 Depth=1
	v_mul_f32_e32 v7, v11, v11
	v_add_f32_e32 v29, v29, v31
	s_delay_alu instid0(VALU_DEP_1) | instskip(NEXT) | instid1(VALU_DEP_1)
	v_div_scale_f32 v31, null, v29, v29, v7
	v_rcp_f32_e32 v32, v31
	v_nop
	s_delay_alu instid0(TRANS32_DEP_1) | instskip(NEXT) | instid1(VALU_DEP_1)
	v_fma_f32 v33, -v31, v32, 1.0
	v_fmac_f32_e32 v32, v33, v32
	v_div_scale_f32 v33, vcc_lo, v7, v29, v7
	s_delay_alu instid0(VALU_DEP_1) | instskip(NEXT) | instid1(VALU_DEP_1)
	v_mul_f32_e32 v34, v33, v32
	v_fma_f32 v35, -v31, v34, v33
	s_delay_alu instid0(VALU_DEP_1) | instskip(NEXT) | instid1(VALU_DEP_1)
	v_fmac_f32_e32 v34, v35, v32
	v_fma_f32 v31, -v31, v34, v33
	s_delay_alu instid0(VALU_DEP_1) | instskip(NEXT) | instid1(VALU_DEP_1)
	v_div_fmas_f32 v31, v31, v32, v34
	v_div_fixup_f32 v7, v31, v29, v7
.LBB62_452:                             ;   in Loop: Header=BB62_418 Depth=1
	s_or_b32 exec_lo, exec_lo, s0
	s_delay_alu instid0(SALU_CYCLE_1)
	s_mov_b32 s0, exec_lo
	v_cmpx_ngt_f32_e32 0, v28
	s_xor_b32 s0, exec_lo, s0
	s_cbranch_execz .LBB62_456
; %bb.453:                              ;   in Loop: Header=BB62_418 Depth=1
	s_mov_b32 s19, exec_lo
	v_cmpx_neq_f32_e32 0, v28
	s_cbranch_execz .LBB62_455
; %bb.454:                              ;   in Loop: Header=BB62_418 Depth=1
	v_dual_mul_f32 v29, v11, v11 :: v_dual_add_f32 v8, v28, v8
	s_delay_alu instid0(VALU_DEP_1) | instskip(NEXT) | instid1(VALU_DEP_1)
	v_div_scale_f32 v28, null, v8, v8, v29
	v_rcp_f32_e32 v30, v28
	v_nop
	s_delay_alu instid0(TRANS32_DEP_1) | instskip(NEXT) | instid1(VALU_DEP_1)
	v_fma_f32 v31, -v28, v30, 1.0
	v_fmac_f32_e32 v30, v31, v30
	v_div_scale_f32 v31, vcc_lo, v29, v8, v29
	s_delay_alu instid0(VALU_DEP_1) | instskip(NEXT) | instid1(VALU_DEP_1)
	v_mul_f32_e32 v32, v31, v30
	v_fma_f32 v33, -v28, v32, v31
	s_delay_alu instid0(VALU_DEP_1) | instskip(NEXT) | instid1(VALU_DEP_1)
	v_fmac_f32_e32 v32, v33, v30
	v_fma_f32 v28, -v28, v32, v31
	s_delay_alu instid0(VALU_DEP_1) | instskip(NEXT) | instid1(VALU_DEP_1)
	v_div_fmas_f32 v28, v28, v30, v32
	v_div_fixup_f32 v30, v28, v8, v29
.LBB62_455:                             ;   in Loop: Header=BB62_418 Depth=1
	s_or_b32 exec_lo, exec_lo, s19
                                        ; implicit-def: $vgpr8
                                        ; implicit-def: $vgpr28
.LBB62_456:                             ;   in Loop: Header=BB62_418 Depth=1
	s_and_not1_saveexec_b32 s0, s0
; %bb.457:                              ;   in Loop: Header=BB62_418 Depth=1
	v_sub_f32_e32 v30, v8, v28
; %bb.458:                              ;   in Loop: Header=BB62_418 Depth=1
	s_or_b32 exec_lo, exec_lo, s0
	s_delay_alu instid0(VALU_DEP_1) | instskip(SKIP_1) | instid1(VALU_DEP_1)
	v_dual_mul_f32 v29, 0.5, v7 :: v_dual_mul_f32 v7, 0.5, v30
	v_and_b32_e32 v28, 0x7fffffff, v10
	v_pk_add_f32 v[6:7], v[28:29], v[6:7]
	s_delay_alu instid0(VALU_DEP_1) | instskip(NEXT) | instid1(VALU_DEP_1)
	v_mul_f32_e32 v6, v6, v7
	v_mul_f32_e32 v7, 0x4f800000, v6
	v_cmp_gt_f32_e32 vcc_lo, 0xf800000, v6
	s_delay_alu instid0(VALU_DEP_2) | instskip(NEXT) | instid1(VALU_DEP_1)
	v_cndmask_b32_e32 v6, v6, v7, vcc_lo
	v_sqrt_f32_e32 v7, v6
	v_nop
	s_delay_alu instid0(TRANS32_DEP_1) | instskip(NEXT) | instid1(VALU_DEP_1)
	v_dual_add_nc_u32 v8, -1, v7 :: v_dual_add_nc_u32 v28, 1, v7
	v_fma_f32 v29, -v8, v7, v6
	s_delay_alu instid0(VALU_DEP_2) | instskip(NEXT) | instid1(VALU_DEP_2)
	v_fma_f32 v30, -v28, v7, v6
	v_cmp_ge_f32_e64 s0, 0, v29
                                        ; implicit-def: $vgpr29
	s_delay_alu instid0(VALU_DEP_1) | instskip(NEXT) | instid1(VALU_DEP_3)
	v_cndmask_b32_e64 v7, v7, v8, s0
	v_cmp_lt_f32_e64 s0, 0, v30
	s_delay_alu instid0(VALU_DEP_1) | instskip(NEXT) | instid1(VALU_DEP_1)
	v_cndmask_b32_e64 v7, v7, v28, s0
                                        ; implicit-def: $vgpr28
	v_mul_f32_e32 v8, 0x37800000, v7
	s_delay_alu instid0(VALU_DEP_1) | instskip(SKIP_1) | instid1(VALU_DEP_2)
	v_cndmask_b32_e32 v7, v7, v8, vcc_lo
	v_cmp_class_f32_e64 vcc_lo, v6, 0x260
	v_cndmask_b32_e32 v8, v7, v6, vcc_lo
.LBB62_459:                             ;   in Loop: Header=BB62_418 Depth=1
	s_and_not1_saveexec_b32 s18, s18
	s_cbranch_execz .LBB62_465
; %bb.460:                              ;   in Loop: Header=BB62_418 Depth=1
	s_mov_b32 s19, exec_lo
	v_cmpx_ngt_f32_e64 |v10|, 1.0
	s_xor_b32 s19, exec_lo, s19
	s_cbranch_execz .LBB62_462
; %bb.461:                              ;   in Loop: Header=BB62_418 Depth=1
	v_sub_f32_e64 v6, 1.0, |v10|
	s_delay_alu instid0(VALU_DEP_1) | instskip(NEXT) | instid1(VALU_DEP_1)
	v_mul_f32_e32 v6, v6, v29
	v_mul_f32_e32 v7, 0x4f800000, v6
	v_cmp_gt_f32_e32 vcc_lo, 0xf800000, v6
	s_delay_alu instid0(VALU_DEP_2) | instskip(NEXT) | instid1(VALU_DEP_1)
	v_cndmask_b32_e32 v6, v6, v7, vcc_lo
	v_sqrt_f32_e32 v7, v6
	v_nop
	s_delay_alu instid0(TRANS32_DEP_1) | instskip(NEXT) | instid1(VALU_DEP_1)
	v_dual_add_nc_u32 v8, -1, v7 :: v_dual_add_nc_u32 v28, 1, v7
	v_fma_f32 v29, -v8, v7, v6
	s_delay_alu instid0(VALU_DEP_2) | instskip(NEXT) | instid1(VALU_DEP_2)
	v_fma_f32 v30, -v28, v7, v6
	v_cmp_ge_f32_e64 s0, 0, v29
                                        ; implicit-def: $vgpr29
	s_delay_alu instid0(VALU_DEP_1) | instskip(NEXT) | instid1(VALU_DEP_3)
	v_cndmask_b32_e64 v7, v7, v8, s0
	v_cmp_lt_f32_e64 s0, 0, v30
	s_delay_alu instid0(VALU_DEP_1) | instskip(NEXT) | instid1(VALU_DEP_1)
	v_cndmask_b32_e64 v7, v7, v28, s0
                                        ; implicit-def: $vgpr28
	v_mul_f32_e32 v8, 0x37800000, v7
	s_delay_alu instid0(VALU_DEP_1) | instskip(SKIP_1) | instid1(VALU_DEP_2)
	v_cndmask_b32_e32 v7, v7, v8, vcc_lo
	v_cmp_class_f32_e64 vcc_lo, v6, 0x260
	v_cndmask_b32_e32 v8, v7, v6, vcc_lo
.LBB62_462:                             ;   in Loop: Header=BB62_418 Depth=1
	s_and_not1_saveexec_b32 s19, s19
	s_cbranch_execz .LBB62_464
; %bb.463:                              ;   in Loop: Header=BB62_418 Depth=1
	v_mul_f32_e32 v6, v29, v28
	s_delay_alu instid0(VALU_DEP_1) | instskip(SKIP_1) | instid1(VALU_DEP_2)
	v_mul_f32_e32 v7, 0x4f800000, v6
	v_cmp_gt_f32_e32 vcc_lo, 0xf800000, v6
	v_cndmask_b32_e32 v6, v6, v7, vcc_lo
	s_delay_alu instid0(VALU_DEP_1) | instskip(SKIP_1) | instid1(TRANS32_DEP_1)
	v_sqrt_f32_e32 v7, v6
	v_nop
	v_dual_add_nc_u32 v8, -1, v7 :: v_dual_add_nc_u32 v9, 1, v7
	s_delay_alu instid0(VALU_DEP_1) | instskip(NEXT) | instid1(VALU_DEP_1)
	v_dual_fma_f32 v28, -v8, v7, v6 :: v_dual_fma_f32 v29, -v9, v7, v6
	v_cmp_ge_f32_e64 s0, 0, v28
	s_delay_alu instid0(VALU_DEP_1) | instskip(NEXT) | instid1(VALU_DEP_3)
	v_cndmask_b32_e64 v7, v7, v8, s0
	v_cmp_lt_f32_e64 s0, 0, v29
	s_delay_alu instid0(VALU_DEP_1) | instskip(SKIP_1) | instid1(VALU_DEP_2)
	v_cndmask_b32_e64 v7, v7, v9, s0
	v_mul_f32_e64 v9, 0x57800000, |v11|
	v_mul_f32_e32 v8, 0x37800000, v7
	s_delay_alu instid0(VALU_DEP_1) | instskip(SKIP_1) | instid1(VALU_DEP_4)
	v_cndmask_b32_e32 v7, v7, v8, vcc_lo
	v_cmp_class_f32_e64 vcc_lo, v6, 0x260
	v_mul_f32_e64 v8, |v10|, v9
	s_delay_alu instid0(VALU_DEP_3) | instskip(NEXT) | instid1(VALU_DEP_1)
	v_cndmask_b32_e32 v6, v7, v6, vcc_lo
	v_div_scale_f32 v7, null, v6, v6, v8
	v_div_scale_f32 v29, vcc_lo, v8, v6, v8
	s_delay_alu instid0(VALU_DEP_2) | instskip(SKIP_1) | instid1(TRANS32_DEP_1)
	v_rcp_f32_e32 v9, v7
	v_nop
	v_fma_f32 v28, -v7, v9, 1.0
	s_delay_alu instid0(VALU_DEP_1) | instskip(NEXT) | instid1(VALU_DEP_1)
	v_fmac_f32_e32 v9, v28, v9
	v_mul_f32_e32 v28, v29, v9
	s_delay_alu instid0(VALU_DEP_1) | instskip(NEXT) | instid1(VALU_DEP_1)
	v_fma_f32 v30, -v7, v28, v29
	v_fmac_f32_e32 v28, v30, v9
	s_delay_alu instid0(VALU_DEP_1) | instskip(NEXT) | instid1(VALU_DEP_1)
	v_fma_f32 v7, -v7, v28, v29
	v_div_fmas_f32 v7, v7, v9, v28
	v_mul_f32_e64 v9, 0x57800000, |v10|
	s_delay_alu instid0(VALU_DEP_2)
	v_div_fixup_f32 v8, v7, v6, v8
.LBB62_464:                             ;   in Loop: Header=BB62_418 Depth=1
	s_or_b32 exec_lo, exec_lo, s19
.LBB62_465:                             ;   in Loop: Header=BB62_418 Depth=1
	s_delay_alu instid0(SALU_CYCLE_1)
	s_or_b32 exec_lo, exec_lo, s18
                                        ; implicit-def: $vgpr6
.LBB62_466:                             ;   in Loop: Header=BB62_418 Depth=1
	s_and_not1_saveexec_b32 s18, s1
	s_cbranch_execz .LBB62_468
; %bb.467:                              ;   in Loop: Header=BB62_418 Depth=1
	v_add_f32_e32 v6, 1.0, v6
	v_mul_f32_e64 v7, 0x4f800000, |v11|
	v_cmp_gt_f32_e64 vcc_lo, 0xf800000, |v11|
	s_delay_alu instid0(VALU_DEP_3) | instskip(NEXT) | instid1(VALU_DEP_2)
	v_mul_f32_e32 v6, 0.5, v6
	v_cndmask_b32_e64 v7, |v11|, v7, vcc_lo
	s_delay_alu instid0(VALU_DEP_2) | instskip(SKIP_1) | instid1(VALU_DEP_1)
	v_mul_f32_e32 v8, 0x4f800000, v6
	v_cmp_gt_f32_e64 s0, 0xf800000, v6
	v_cndmask_b32_e64 v6, v6, v8, s0
	s_delay_alu instid0(VALU_DEP_4) | instskip(SKIP_1) | instid1(TRANS32_DEP_1)
	v_sqrt_f32_e32 v8, v7
	v_nop
	v_add_nc_u32_e32 v30, 1, v8
	s_delay_alu instid0(VALU_DEP_3) | instskip(NEXT) | instid1(VALU_DEP_1)
	v_sqrt_f32_e32 v9, v6
	v_dual_add_nc_u32 v28, -1, v8 :: v_dual_fma_f32 v34, -v30, v8, v7
	s_delay_alu instid0(TRANS32_DEP_1) | instid1(VALU_DEP_1)
	v_dual_fma_f32 v31, -v28, v8, v7 :: v_dual_add_nc_u32 v32, 1, v9
	v_add_nc_u32_e32 v29, -1, v9
	s_delay_alu instid0(VALU_DEP_2) | instskip(NEXT) | instid1(VALU_DEP_1)
	v_cmp_ge_f32_e64 s1, 0, v31
	v_dual_fma_f32 v33, -v29, v9, v6 :: v_dual_cndmask_b32 v8, v8, v28, s1
	s_delay_alu instid0(VALU_DEP_4) | instskip(NEXT) | instid1(VALU_DEP_2)
	v_fma_f32 v28, -v32, v9, v6
	v_cmp_ge_f32_e64 s1, 0, v33
	s_delay_alu instid0(VALU_DEP_1) | instskip(SKIP_1) | instid1(VALU_DEP_1)
	v_cndmask_b32_e64 v9, v9, v29, s1
	v_cmp_lt_f32_e64 s1, 0, v34
	v_cndmask_b32_e64 v8, v8, v30, s1
	v_cmp_lt_f32_e64 s1, 0, v28
	s_delay_alu instid0(VALU_DEP_1) | instskip(NEXT) | instid1(VALU_DEP_1)
	v_cndmask_b32_e64 v9, v9, v32, s1
	v_mul_f32_e32 v29, 0x37800000, v9
	s_delay_alu instid0(VALU_DEP_1) | instskip(SKIP_1) | instid1(VALU_DEP_1)
	v_cndmask_b32_e64 v9, v9, v29, s0
	v_mul_f32_e32 v28, 0x37800000, v8
	v_cndmask_b32_e32 v8, v8, v28, vcc_lo
	v_cmp_class_f32_e64 vcc_lo, v7, 0x260
	s_delay_alu instid0(VALU_DEP_2) | instskip(SKIP_2) | instid1(VALU_DEP_1)
	v_cndmask_b32_e32 v7, v8, v7, vcc_lo
	v_cmp_class_f32_e64 vcc_lo, v6, 0x260
	v_dual_cndmask_b32 v6, v9, v6 :: v_dual_mov_b32 v9, 1.0
	v_mul_f32_e32 v8, v7, v6
.LBB62_468:                             ;   in Loop: Header=BB62_418 Depth=1
	s_or_b32 exec_lo, exec_lo, s18
	s_delay_alu instid0(SALU_CYCLE_1)
	s_mov_b32 s0, exec_lo
.LBB62_469:                             ;   in Loop: Header=BB62_418 Depth=1
	s_or_b32 exec_lo, exec_lo, s17
                                        ; implicit-def: $vgpr6
.LBB62_470:                             ;   in Loop: Header=BB62_418 Depth=1
	s_and_not1_saveexec_b32 s1, s16
; %bb.471:                              ;   in Loop: Header=BB62_418 Depth=1
	v_and_b32_e32 v7, 0x7fffffff, v10
	s_or_b32 s0, s0, exec_lo
                                        ; implicit-def: $vgpr23
	s_delay_alu instid0(VALU_DEP_1)
	v_pk_mul_f32 v[8:9], v[6:7], s[6:7] op_sel_hi:[1,0]
; %bb.472:                              ;   in Loop: Header=BB62_418 Depth=1
	s_or_b32 exec_lo, exec_lo, s1
	s_xor_b32 s0, s0, -1
                                        ; implicit-def: $vgpr6
	s_delay_alu instid0(SALU_CYCLE_1) | instskip(NEXT) | instid1(SALU_CYCLE_1)
	s_and_saveexec_b32 s1, s0
	s_xor_b32 s0, exec_lo, s1
	s_cbranch_execz .LBB62_474
; %bb.473:                              ;   in Loop: Header=BB62_418 Depth=1
	v_fma_f32 v6, |v23|, -0.5, 0.5
	v_mul_f32_e32 v7, v23, v23
	v_cmp_ge_f32_e64 vcc_lo, |v23|, 0.5
	s_delay_alu instid0(VALU_DEP_2) | instskip(SKIP_1) | instid1(VALU_DEP_2)
	v_cndmask_b32_e32 v6, v7, v6, vcc_lo
	v_cmp_lt_f32_e64 vcc_lo, |v23|, 0.5
	v_fmaak_f32 v7, s10, v6, 0x3c5fc5da
	v_sqrt_f32_e32 v8, v6
	s_delay_alu instid0(VALU_DEP_1) | instskip(NEXT) | instid1(VALU_DEP_1)
	v_fmaak_f32 v7, v6, v7, 0x3d034c3c
	v_fmaak_f32 v7, v6, v7, 0x3d3641b1
	s_delay_alu instid0(VALU_DEP_1) | instskip(NEXT) | instid1(VALU_DEP_1)
	v_fmaak_f32 v7, v6, v7, 0x3d999bc8
	v_fmaak_f32 v7, v6, v7, 0x3e2aaaac
	s_delay_alu instid0(VALU_DEP_1)
	v_mul_f32_e32 v6, v6, v7
	s_delay_alu instid0(TRANS32_DEP_1) | instid1(VALU_DEP_1)
	v_fmac_f32_e32 v8, v8, v6
	s_delay_alu instid0(VALU_DEP_1) | instskip(NEXT) | instid1(VALU_DEP_1)
	v_add_f32_e32 v7, v8, v8
                                        ; implicit-def: $vgpr9
	v_sub_f32_e32 v7, 0x3fc90fdb, v7
	v_fma_f32 v6, |v23|, v6, |v23|
	s_delay_alu instid0(VALU_DEP_1) | instskip(NEXT) | instid1(VALU_DEP_1)
	v_cndmask_b32_e32 v6, v7, v6, vcc_lo
	v_bfi_b32 v6, 0x7fffffff, v6, v23
.LBB62_474:                             ;   in Loop: Header=BB62_418 Depth=1
	s_and_not1_saveexec_b32 s1, s0
	s_cbranch_execz .LBB62_476
; %bb.475:                              ;   in Loop: Header=BB62_418 Depth=1
	v_max_num_f32_e32 v6, v9, v9
	v_max_num_f32_e64 v7, |v8|, |v8|
	v_cmp_gt_f32_e64 vcc_lo, v9, |v8|
	v_cmp_gt_i32_e64 s0, 0, v8
	v_cmp_class_f32_e64 s16, v8, 0x204
	s_delay_alu instid0(VALU_DEP_4) | instskip(NEXT) | instid1(VALU_DEP_1)
	v_dual_max_num_f32 v23, v7, v6 :: v_dual_min_num_f32 v6, v7, v6
	v_frexp_mant_f32_e32 v28, v23
	v_frexp_exp_i32_f32_e32 v7, v23
	s_delay_alu instid0(VALU_DEP_2) | instskip(SKIP_3) | instid1(VALU_DEP_2)
	v_rcp_f32_e32 v23, v28
	v_nop
	v_frexp_exp_i32_f32_e32 v28, v6
	v_frexp_mant_f32_e32 v6, v6
	v_sub_nc_u32_e32 v7, v28, v7
	s_delay_alu instid0(TRANS32_DEP_1) | instid1(VALU_DEP_2)
	v_mul_f32_e32 v6, v6, v23
	s_delay_alu instid0(VALU_DEP_1) | instskip(NEXT) | instid1(VALU_DEP_1)
	v_ldexp_f32 v6, v6, v7
	v_mul_f32_e32 v7, v6, v6
	s_delay_alu instid0(VALU_DEP_1) | instskip(NEXT) | instid1(VALU_DEP_1)
	v_fmaak_f32 v23, s11, v7, 0xbc7a590c
	v_fmaak_f32 v23, v7, v23, 0x3d29fb3f
	s_delay_alu instid0(VALU_DEP_1) | instskip(NEXT) | instid1(VALU_DEP_1)
	v_fmaak_f32 v23, v7, v23, 0xbd97d4d7
	v_fmaak_f32 v23, v7, v23, 0x3dd931b2
	s_delay_alu instid0(VALU_DEP_1) | instskip(NEXT) | instid1(VALU_DEP_1)
	v_fmaak_f32 v23, v7, v23, 0xbe1160e6
	v_fmaak_f32 v23, v7, v23, 0x3e4cb8bf
	s_delay_alu instid0(VALU_DEP_1) | instskip(NEXT) | instid1(VALU_DEP_1)
	v_fmaak_f32 v23, v7, v23, 0xbeaaaa62
	v_mul_f32_e32 v7, v7, v23
	s_delay_alu instid0(VALU_DEP_1) | instskip(NEXT) | instid1(VALU_DEP_1)
	v_fmac_f32_e32 v6, v6, v7
	v_sub_f32_e32 v7, 0x3fc90fdb, v6
	s_delay_alu instid0(VALU_DEP_1) | instskip(SKIP_1) | instid1(VALU_DEP_2)
	v_cndmask_b32_e32 v6, v6, v7, vcc_lo
	v_cmp_gt_f32_e32 vcc_lo, 0, v8
	v_sub_f32_e32 v7, 0x40490fdb, v6
	v_cndmask_b32_e32 v23, 0x3f490fdb, v27, vcc_lo
	s_delay_alu instid0(VALU_DEP_2) | instskip(SKIP_3) | instid1(VALU_DEP_2)
	v_cndmask_b32_e32 v6, v6, v7, vcc_lo
	v_cndmask_b32_e64 v7, 0, 0x40490fdb, s0
	v_cmp_eq_f32_e64 s0, 0, v9
	v_cmp_eq_f32_e32 vcc_lo, 0x7f800000, v9
	v_cndmask_b32_e64 v6, |v6|, v7, s0
	s_and_b32 vcc_lo, vcc_lo, s16
	s_delay_alu instid0(VALU_DEP_1) | instskip(SKIP_1) | instid1(VALU_DEP_2)
	v_cndmask_b32_e32 v6, v6, v23, vcc_lo
	v_cmp_o_f32_e32 vcc_lo, v8, v8
	v_cndmask_b32_e32 v6, 0x7fc00000, v6, vcc_lo
.LBB62_476:                             ;   in Loop: Header=BB62_418 Depth=1
	s_or_b32 exec_lo, exec_lo, s1
	s_delay_alu instid0(VALU_DEP_1)
	v_bfi_b32 v6, 0x7fffffff, v6, v10
	v_bfi_b32 v7, 0x7fffffff, v19, v11
.LBB62_477:                             ;   in Loop: Header=BB62_418 Depth=1
	s_or_b32 exec_lo, exec_lo, s15
.LBB62_478:                             ;   in Loop: Header=BB62_418 Depth=1
	s_delay_alu instid0(SALU_CYCLE_1)
	s_or_b32 exec_lo, exec_lo, s14
                                        ; implicit-def: $vgpr8
                                        ; implicit-def: $vgpr9
                                        ; implicit-def: $vgpr19
.LBB62_479:                             ;   in Loop: Header=BB62_418 Depth=1
	s_and_not1_saveexec_b32 s13, s13
	s_cbranch_execz .LBB62_501
; %bb.480:                              ;   in Loop: Header=BB62_418 Depth=1
                                        ; implicit-def: $sgpr14
                                        ; implicit-def: $vgpr6
                                        ; implicit-def: $vgpr7
	s_mov_b32 s0, exec_lo
	v_cmpx_lt_i32_e32 -1, v11
	s_xor_b32 s15, exec_lo, s0
	s_cbranch_execz .LBB62_490
; %bb.481:                              ;   in Loop: Header=BB62_418 Depth=1
	v_cmp_lt_f32_e64 s0, |v11|, |v10|
                                        ; implicit-def: $vgpr6
                                        ; implicit-def: $vgpr7
	s_mov_b32 s1, exec_lo
	v_cndmask_b32_e64 v23, |v11|, |v10|, s0
	s_delay_alu instid0(VALU_DEP_1)
	v_cmpx_nlt_f32_e32 0x7effffff, v23
	s_xor_b32 s14, exec_lo, s1
	s_cbranch_execz .LBB62_487
; %bb.482:                              ;   in Loop: Header=BB62_418 Depth=1
	v_cndmask_b32_e64 v28, |v10|, |v11|, s0
	v_cmp_nlt_f32_e32 vcc_lo, 0x5e000000, v23
                                        ; implicit-def: $vgpr6
                                        ; implicit-def: $vgpr7
	s_delay_alu instid0(VALU_DEP_2) | instskip(SKIP_1) | instid1(SALU_CYCLE_1)
	v_cmp_ngt_f32_e64 s1, 0x20000000, v28
	s_and_b32 s1, vcc_lo, s1
	s_and_saveexec_b32 s16, s1
	s_delay_alu instid0(SALU_CYCLE_1)
	s_xor_b32 s16, exec_lo, s16
	s_cbranch_execz .LBB62_484
; %bb.483:                              ;   in Loop: Header=BB62_418 Depth=1
	s_wait_dscnt 0x0
	v_min_num_f32_e32 v7, v9, v8
	v_frexp_mant_f32_e32 v6, v19
	v_frexp_exp_i32_f32_e32 v8, v19
	s_delay_alu instid0(VALU_DEP_3) | instskip(NEXT) | instid1(VALU_DEP_3)
	v_frexp_exp_i32_f32_e32 v9, v7
	v_rcp_f32_e32 v6, v6
	s_delay_alu instid0(VALU_DEP_1)
	v_sub_nc_u32_e32 v8, v9, v8
	v_frexp_mant_f32_e32 v7, v7
	s_delay_alu instid0(TRANS32_DEP_1) | instid1(VALU_DEP_1)
	v_dual_mul_f32 v19, v28, v28 :: v_dual_mul_f32 v6, v7, v6
	s_delay_alu instid0(VALU_DEP_1) | instskip(NEXT) | instid1(VALU_DEP_1)
	v_ldexp_f32 v7, v6, v8
	v_mul_f32_e32 v8, v7, v7
	s_delay_alu instid0(VALU_DEP_1) | instskip(NEXT) | instid1(VALU_DEP_1)
	v_fmaak_f32 v9, s11, v8, 0xbc7a590c
	v_fmaak_f32 v9, v8, v9, 0x3d29fb3f
	s_delay_alu instid0(VALU_DEP_1) | instskip(NEXT) | instid1(VALU_DEP_1)
	v_fmaak_f32 v9, v8, v9, 0xbd97d4d7
	v_fmaak_f32 v9, v8, v9, 0x3dd931b2
	;; [unrolled: 3-line block ×3, first 2 shown]
	s_delay_alu instid0(VALU_DEP_1) | instskip(NEXT) | instid1(VALU_DEP_1)
	v_fmaak_f32 v9, v8, v9, 0xbeaaaa62
	v_dual_fmac_f32 v19, v23, v23 :: v_dual_mul_f32 v8, v8, v9
	s_delay_alu instid0(VALU_DEP_1) | instskip(NEXT) | instid1(VALU_DEP_2)
	v_cmp_gt_f32_e32 vcc_lo, 0x800000, v19
                                        ; implicit-def: $vgpr9
	v_fmac_f32_e32 v7, v7, v8
	v_cndmask_b32_e64 v6, 0, 32, vcc_lo
                                        ; implicit-def: $vgpr8
	s_delay_alu instid0(VALU_DEP_1) | instskip(NEXT) | instid1(VALU_DEP_1)
	v_ldexp_f32 v6, v19, v6
	v_log_f32_e32 v6, v6
	v_nop
	s_delay_alu instid0(TRANS32_DEP_1) | instskip(SKIP_1) | instid1(VALU_DEP_2)
	v_mul_f32_e32 v19, 0x3f317217, v6
	v_cmp_gt_f32_e64 s1, 0x7f800000, |v6|
	v_fma_f32 v19, 0x3f317217, v6, -v19
	s_delay_alu instid0(VALU_DEP_1) | instskip(NEXT) | instid1(VALU_DEP_1)
	v_fmac_f32_e32 v19, 0x3377d1cf, v6
	v_fmac_f32_e32 v19, 0x3f317217, v6
	s_delay_alu instid0(VALU_DEP_1) | instskip(SKIP_1) | instid1(VALU_DEP_1)
	v_cndmask_b32_e64 v6, v6, v19, s1
	v_cndmask_b32_e64 v19, 0, 0x41b17218, vcc_lo
	v_sub_f32_e32 v6, v6, v19
                                        ; implicit-def: $vgpr19
	s_delay_alu instid0(VALU_DEP_1)
	v_mul_f32_e32 v6, 0.5, v6
.LBB62_484:                             ;   in Loop: Header=BB62_418 Depth=1
	s_and_not1_saveexec_b32 s1, s16
	s_cbranch_execz .LBB62_486
; %bb.485:                              ;   in Loop: Header=BB62_418 Depth=1
	s_wait_dscnt 0x0
	v_cvt_f64_f32_e32 v[6:7], v19
	v_frexp_mant_f32_e32 v28, v19
	v_cmp_neq_f32_e32 vcc_lo, 0x7f800000, v19
	s_delay_alu instid0(VALU_DEP_3) | instskip(NEXT) | instid1(VALU_DEP_1)
	v_frexp_exp_i32_f64_e32 v6, v[6:7]
	v_sub_nc_u32_e32 v7, 0, v6
	s_delay_alu instid0(VALU_DEP_1) | instskip(NEXT) | instid1(VALU_DEP_1)
	v_ldexp_f32 v23, |v10|, v7
	v_mul_f32_e32 v23, v23, v23
	v_ldexp_f32 v7, |v11|, v7
	v_min_num_f32_e32 v8, v9, v8
	v_rcp_f32_e32 v9, v28
	s_delay_alu instid0(VALU_DEP_2) | instskip(SKIP_1) | instid1(VALU_DEP_3)
	v_fmac_f32_e32 v23, v7, v7
	v_frexp_exp_i32_f32_e32 v7, v19
	v_frexp_exp_i32_f32_e32 v28, v8
	v_frexp_mant_f32_e32 v8, v8
	s_delay_alu instid0(VALU_DEP_4)
	v_sqrt_f32_e32 v23, v23
	s_delay_alu instid0(TRANS32_DEP_2) | instid1(VALU_DEP_1)
	v_mul_f32_e32 v8, v8, v9
	s_delay_alu instid0(TRANS32_DEP_1) | instskip(NEXT) | instid1(VALU_DEP_1)
	v_ldexp_f32 v6, v23, v6
	v_dual_cndmask_b32 v6, 0x7f800000, v6 :: v_dual_sub_nc_u32 v7, v28, v7
	s_delay_alu instid0(VALU_DEP_1) | instskip(NEXT) | instid1(VALU_DEP_2)
	v_ldexp_f32 v7, v8, v7
	v_cmp_gt_f32_e32 vcc_lo, 0x800000, v6
	v_cndmask_b32_e64 v9, 0, 32, vcc_lo
	v_cndmask_b32_e64 v23, 0, 0x41b17218, vcc_lo
	s_delay_alu instid0(VALU_DEP_2) | instskip(NEXT) | instid1(VALU_DEP_1)
	v_ldexp_f32 v6, v6, v9
	v_log_f32_e32 v6, v6
	v_mul_f32_e32 v8, v7, v7
	s_delay_alu instid0(VALU_DEP_1) | instskip(NEXT) | instid1(TRANS32_DEP_1)
	v_fmaak_f32 v19, s11, v8, 0xbc7a590c
	v_cmp_gt_f32_e64 vcc_lo, 0x7f800000, |v6|
	s_delay_alu instid0(VALU_DEP_2) | instskip(SKIP_1) | instid1(VALU_DEP_1)
	v_fmaak_f32 v9, v8, v19, 0x3d29fb3f
	v_mul_f32_e32 v19, 0x3f317217, v6
	v_fma_f32 v19, 0x3f317217, v6, -v19
	s_delay_alu instid0(VALU_DEP_1) | instskip(NEXT) | instid1(VALU_DEP_1)
	v_fmac_f32_e32 v19, 0x3377d1cf, v6
	v_fmac_f32_e32 v19, 0x3f317217, v6
	s_delay_alu instid0(VALU_DEP_1) | instskip(NEXT) | instid1(VALU_DEP_1)
	v_dual_cndmask_b32 v6, v6, v19 :: v_dual_fmaak_f32 v9, v8, v9, 0xbd97d4d7
	v_dual_sub_f32 v6, v6, v23 :: v_dual_fmaak_f32 v9, v8, v9, 0x3dd931b2
	s_delay_alu instid0(VALU_DEP_1) | instskip(NEXT) | instid1(VALU_DEP_1)
	v_fmaak_f32 v9, v8, v9, 0xbe1160e6
	v_fmaak_f32 v9, v8, v9, 0x3e4cb8bf
	s_delay_alu instid0(VALU_DEP_1) | instskip(NEXT) | instid1(VALU_DEP_1)
	v_fmaak_f32 v9, v8, v9, 0xbeaaaa62
	v_mul_f32_e32 v8, v8, v9
	s_delay_alu instid0(VALU_DEP_1)
	v_fmac_f32_e32 v7, v7, v8
.LBB62_486:                             ;   in Loop: Header=BB62_418 Depth=1
	s_or_b32 exec_lo, exec_lo, s1
                                        ; implicit-def: $vgpr9
                                        ; implicit-def: $vgpr8
                                        ; implicit-def: $vgpr19
.LBB62_487:                             ;   in Loop: Header=BB62_418 Depth=1
	s_and_not1_saveexec_b32 s14, s14
	s_cbranch_execz .LBB62_489
; %bb.488:                              ;   in Loop: Header=BB62_418 Depth=1
	v_div_scale_f32 v6, null, 0x402df854, 0x402df854, v11
	s_wait_dscnt 0x0
	v_div_scale_f32 v7, null, 0x402df854, 0x402df854, v10
	v_div_scale_f32 v31, vcc_lo, v11, 0x402df854, v11
	s_delay_alu instid0(VALU_DEP_3) | instskip(NEXT) | instid1(VALU_DEP_2)
	v_rcp_f32_e32 v23, v6
	v_rcp_f32_e32 v28, v7
	v_min_num_f32_e32 v8, v9, v8
	s_delay_alu instid0(TRANS32_DEP_2) | instskip(NEXT) | instid1(TRANS32_DEP_1)
	v_fma_f32 v29, -v6, v23, 1.0
	v_fma_f32 v30, -v7, v28, 1.0
	s_delay_alu instid0(VALU_DEP_1) | instskip(SKIP_1) | instid1(VALU_DEP_1)
	v_dual_fmac_f32 v23, v29, v23 :: v_dual_fmac_f32 v28, v30, v28
	v_div_scale_f32 v29, s1, v10, 0x402df854, v10
	v_dual_mul_f32 v30, v31, v23 :: v_dual_mul_f32 v32, v29, v28
	s_delay_alu instid0(VALU_DEP_1) | instskip(NEXT) | instid1(VALU_DEP_1)
	v_dual_fma_f32 v33, -v6, v30, v31 :: v_dual_fma_f32 v34, -v7, v32, v29
	v_dual_fmac_f32 v30, v33, v23 :: v_dual_fmac_f32 v32, v34, v28
	s_delay_alu instid0(VALU_DEP_1) | instskip(NEXT) | instid1(VALU_DEP_1)
	v_dual_fma_f32 v6, -v6, v30, v31 :: v_dual_fma_f32 v7, -v7, v32, v29
	v_div_fmas_f32 v6, v6, v23, v30
	s_mov_b32 vcc_lo, s1
	s_delay_alu instid0(VALU_DEP_2) | instskip(NEXT) | instid1(VALU_DEP_2)
	v_div_fmas_f32 v7, v7, v28, v32
	v_div_fixup_f32 v23, v6, 0x402df854, v11
	s_delay_alu instid0(VALU_DEP_2) | instskip(NEXT) | instid1(VALU_DEP_1)
	v_div_fixup_f32 v28, v7, 0x402df854, v10
	v_max_num_f32_e64 v29, v23, |v28|
	s_delay_alu instid0(VALU_DEP_1) | instskip(SKIP_1) | instid1(VALU_DEP_2)
	v_cvt_f64_f32_e32 v[6:7], v29
	v_cmp_neq_f32_e32 vcc_lo, 0x7f800000, v29
	v_frexp_exp_i32_f64_e32 v6, v[6:7]
	s_delay_alu instid0(VALU_DEP_1) | instskip(NEXT) | instid1(VALU_DEP_1)
	v_sub_nc_u32_e32 v7, 0, v6
	v_ldexp_f32 v28, |v28|, v7
	v_ldexp_f32 v7, v23, v7
	s_delay_alu instid0(VALU_DEP_2) | instskip(NEXT) | instid1(VALU_DEP_1)
	v_mul_f32_e32 v23, v28, v28
	v_fmac_f32_e32 v23, v7, v7
	v_frexp_mant_f32_e32 v7, v19
	v_frexp_exp_i32_f32_e32 v19, v19
	s_delay_alu instid0(VALU_DEP_3) | instskip(SKIP_4) | instid1(TRANS32_DEP_2)
	v_sqrt_f32_e32 v9, v23
	v_nop
	v_frexp_exp_i32_f32_e32 v23, v8
	v_rcp_f32_e32 v7, v7
	v_frexp_mant_f32_e32 v8, v8
	v_ldexp_f32 v6, v9, v6
	s_delay_alu instid0(VALU_DEP_3)
	v_sub_nc_u32_e32 v9, v23, v19
	s_delay_alu instid0(TRANS32_DEP_1) | instid1(VALU_DEP_2)
	v_dual_mul_f32 v7, v8, v7 :: v_dual_cndmask_b32 v6, 0x7f800000, v6
	s_delay_alu instid0(VALU_DEP_1) | instskip(NEXT) | instid1(VALU_DEP_2)
	v_ldexp_f32 v7, v7, v9
	v_cmp_gt_f32_e32 vcc_lo, 0x800000, v6
	v_cndmask_b32_e64 v8, 0, 32, vcc_lo
	v_cndmask_b32_e64 v23, 0, 0x41b17218, vcc_lo
	s_delay_alu instid0(VALU_DEP_2) | instskip(NEXT) | instid1(VALU_DEP_1)
	v_ldexp_f32 v6, v6, v8
	v_log_f32_e32 v6, v6
	v_nop
	s_delay_alu instid0(TRANS32_DEP_1) | instskip(SKIP_1) | instid1(VALU_DEP_2)
	v_mul_f32_e32 v19, 0x3f317217, v6
	v_cmp_gt_f32_e64 vcc_lo, 0x7f800000, |v6|
	v_fma_f32 v19, 0x3f317217, v6, -v19
	s_delay_alu instid0(VALU_DEP_1) | instskip(NEXT) | instid1(VALU_DEP_1)
	v_fmac_f32_e32 v19, 0x3377d1cf, v6
	v_fmac_f32_e32 v19, 0x3f317217, v6
	s_delay_alu instid0(VALU_DEP_1) | instskip(NEXT) | instid1(VALU_DEP_1)
	v_cndmask_b32_e32 v6, v6, v19, vcc_lo
	v_sub_f32_e32 v6, v6, v23
	s_delay_alu instid0(VALU_DEP_1) | instskip(NEXT) | instid1(VALU_DEP_1)
	v_dual_mul_f32 v9, v7, v7 :: v_dual_add_f32 v6, 1.0, v6
	v_fmaak_f32 v8, s11, v9, 0xbc7a590c
	s_delay_alu instid0(VALU_DEP_1) | instskip(NEXT) | instid1(VALU_DEP_1)
	v_fmaak_f32 v8, v9, v8, 0x3d29fb3f
	v_fmaak_f32 v8, v9, v8, 0xbd97d4d7
	s_delay_alu instid0(VALU_DEP_1) | instskip(NEXT) | instid1(VALU_DEP_1)
	v_fmaak_f32 v8, v9, v8, 0x3dd931b2
	;; [unrolled: 3-line block ×3, first 2 shown]
	v_fmaak_f32 v8, v9, v8, 0xbeaaaa62
	s_delay_alu instid0(VALU_DEP_1) | instskip(NEXT) | instid1(VALU_DEP_1)
	v_mul_f32_e32 v8, v9, v8
	v_fmac_f32_e32 v7, v7, v8
.LBB62_489:                             ;   in Loop: Header=BB62_418 Depth=1
	s_or_b32 exec_lo, exec_lo, s14
	v_cmp_neq_f32_e32 vcc_lo, 0, v10
	s_wait_dscnt 0x0
	s_delay_alu instid0(VALU_DEP_2) | instskip(SKIP_1) | instid1(VALU_DEP_2)
	v_sub_f32_e32 v8, 0x3fc90fdb, v7
	v_cmp_class_f32_e64 s14, v11, 0x204
	v_cndmask_b32_e64 v7, v7, v8, s0
                                        ; implicit-def: $vgpr8
	s_delay_alu instid0(VALU_DEP_1)
	v_cndmask_b32_e32 v7, 0, v7, vcc_lo
.LBB62_490:                             ;   in Loop: Header=BB62_418 Depth=1
	s_and_not1_saveexec_b32 s15, s15
	s_cbranch_execz .LBB62_500
; %bb.491:                              ;   in Loop: Header=BB62_418 Depth=1
	v_cmp_gt_f32_e64 s0, |v10|, -v11
                                        ; implicit-def: $vgpr6
                                        ; implicit-def: $vgpr7
	s_mov_b32 s1, exec_lo
	v_cndmask_b32_e64 v9, -v11, |v10|, s0
	s_delay_alu instid0(VALU_DEP_1)
	v_cmpx_nlt_f32_e32 0x7effffff, v9
	s_xor_b32 s16, exec_lo, s1
	s_cbranch_execz .LBB62_497
; %bb.492:                              ;   in Loop: Header=BB62_418 Depth=1
	v_xor_b32_e32 v6, 0x80000000, v11
	v_cmp_nlt_f32_e32 vcc_lo, 0x5e000000, v9
                                        ; implicit-def: $vgpr7
	s_delay_alu instid0(VALU_DEP_2) | instskip(NEXT) | instid1(VALU_DEP_1)
	v_cndmask_b32_e64 v19, |v10|, v6, s0
                                        ; implicit-def: $vgpr6
	v_cmp_ngt_f32_e64 s1, 0x20000000, v19
	s_and_b32 s1, vcc_lo, s1
	s_delay_alu instid0(SALU_CYCLE_1) | instskip(NEXT) | instid1(SALU_CYCLE_1)
	s_and_saveexec_b32 s17, s1
	s_xor_b32 s17, exec_lo, s17
	s_cbranch_execz .LBB62_494
; %bb.493:                              ;   in Loop: Header=BB62_418 Depth=1
	v_mul_f32_e32 v19, v19, v19
	s_delay_alu instid0(VALU_DEP_1) | instskip(SKIP_1) | instid1(VALU_DEP_1)
	v_dual_max_num_f32 v6, -v11, -v11 :: v_dual_fmac_f32 v19, v9, v9
	s_wait_dscnt 0x0
	v_dual_max_num_f32 v7, v6, v8 :: v_dual_min_num_f32 v6, v6, v8
	s_delay_alu instid0(VALU_DEP_2) | instskip(NEXT) | instid1(VALU_DEP_2)
	v_cmp_gt_f32_e32 vcc_lo, 0x800000, v19
	v_frexp_mant_f32_e32 v23, v7
	v_frexp_exp_i32_f32_e32 v7, v7
	s_delay_alu instid0(VALU_DEP_2)
	v_rcp_f32_e32 v8, v23
	v_nop
	v_frexp_exp_i32_f32_e32 v23, v6
	v_frexp_mant_f32_e32 v6, v6
	s_delay_alu instid0(TRANS32_DEP_1) | instid1(VALU_DEP_1)
	v_dual_mul_f32 v6, v6, v8 :: v_dual_sub_nc_u32 v7, v23, v7
	s_delay_alu instid0(VALU_DEP_1) | instskip(SKIP_1) | instid1(VALU_DEP_1)
	v_ldexp_f32 v7, v6, v7
	v_cndmask_b32_e64 v6, 0, 32, vcc_lo
	v_ldexp_f32 v6, v19, v6
	s_delay_alu instid0(VALU_DEP_1) | instskip(SKIP_1) | instid1(TRANS32_DEP_1)
	v_log_f32_e32 v6, v6
	v_nop
	v_dual_mul_f32 v8, v7, v7 :: v_dual_mul_f32 v19, 0x3f317217, v6
	v_cmp_gt_f32_e64 s1, 0x7f800000, |v6|
	s_delay_alu instid0(VALU_DEP_2) | instskip(NEXT) | instid1(VALU_DEP_1)
	v_fma_f32 v19, 0x3f317217, v6, -v19
	v_fmac_f32_e32 v19, 0x3377d1cf, v6
	s_delay_alu instid0(VALU_DEP_1) | instskip(NEXT) | instid1(VALU_DEP_1)
	v_fmac_f32_e32 v19, 0x3f317217, v6
	v_cndmask_b32_e64 v6, v6, v19, s1
	v_cndmask_b32_e64 v19, 0, 0x41b17218, vcc_lo
	s_delay_alu instid0(VALU_DEP_1) | instskip(NEXT) | instid1(VALU_DEP_1)
	v_dual_fmaak_f32 v9, s11, v8, 0xbc7a590c :: v_dual_sub_f32 v6, v6, v19
	v_dual_fmaak_f32 v9, v8, v9, 0x3d29fb3f :: v_dual_mul_f32 v6, 0.5, v6
	s_delay_alu instid0(VALU_DEP_1) | instskip(NEXT) | instid1(VALU_DEP_1)
	v_fmaak_f32 v9, v8, v9, 0xbd97d4d7
	v_fmaak_f32 v9, v8, v9, 0x3dd931b2
	s_delay_alu instid0(VALU_DEP_1) | instskip(NEXT) | instid1(VALU_DEP_1)
	v_fmaak_f32 v9, v8, v9, 0xbe1160e6
	v_fmaak_f32 v9, v8, v9, 0x3e4cb8bf
	s_delay_alu instid0(VALU_DEP_1) | instskip(NEXT) | instid1(VALU_DEP_1)
	v_fmaak_f32 v9, v8, v9, 0xbeaaaa62
	v_mul_f32_e32 v8, v8, v9
	s_delay_alu instid0(VALU_DEP_1)
	v_fmac_f32_e32 v7, v7, v8
                                        ; implicit-def: $vgpr8
.LBB62_494:                             ;   in Loop: Header=BB62_418 Depth=1
	s_and_not1_saveexec_b32 s1, s17
	s_cbranch_execz .LBB62_496
; %bb.495:                              ;   in Loop: Header=BB62_418 Depth=1
	v_max_num_f32_e64 v9, -v11, -v11
	s_delay_alu instid0(VALU_DEP_1) | instskip(SKIP_1) | instid1(VALU_DEP_1)
	v_max_num_f32_e32 v19, v9, v8
	s_wait_dscnt 0x0
	v_cvt_f64_f32_e32 v[6:7], v19
	s_delay_alu instid0(VALU_DEP_1) | instskip(NEXT) | instid1(VALU_DEP_1)
	v_frexp_exp_i32_f64_e32 v6, v[6:7]
	v_sub_nc_u32_e32 v7, 0, v6
	s_delay_alu instid0(VALU_DEP_1) | instskip(SKIP_1) | instid1(VALU_DEP_2)
	v_ldexp_f32 v23, |v10|, v7
	v_ldexp_f32 v7, -v11, v7
	v_dual_mul_f32 v23, v23, v23 :: v_dual_min_num_f32 v8, v9, v8
	v_cmp_neq_f32_e32 vcc_lo, 0x7f800000, v19
	v_frexp_mant_f32_e32 v9, v19
	s_delay_alu instid0(VALU_DEP_3) | instskip(SKIP_2) | instid1(VALU_DEP_4)
	v_fmac_f32_e32 v23, v7, v7
	v_frexp_exp_i32_f32_e32 v7, v19
	v_frexp_exp_i32_f32_e32 v28, v8
	v_rcp_f32_e32 v9, v9
	v_frexp_mant_f32_e32 v8, v8
	v_sqrt_f32_e32 v23, v23
	s_delay_alu instid0(TRANS32_DEP_2) | instid1(VALU_DEP_1)
	v_mul_f32_e32 v8, v8, v9
	s_delay_alu instid0(TRANS32_DEP_1) | instskip(NEXT) | instid1(VALU_DEP_1)
	v_ldexp_f32 v6, v23, v6
	v_dual_cndmask_b32 v6, 0x7f800000, v6 :: v_dual_sub_nc_u32 v7, v28, v7
	s_delay_alu instid0(VALU_DEP_1) | instskip(NEXT) | instid1(VALU_DEP_2)
	v_ldexp_f32 v7, v8, v7
	v_cmp_gt_f32_e32 vcc_lo, 0x800000, v6
	v_cndmask_b32_e64 v9, 0, 32, vcc_lo
	v_cndmask_b32_e64 v23, 0, 0x41b17218, vcc_lo
	s_delay_alu instid0(VALU_DEP_2) | instskip(NEXT) | instid1(VALU_DEP_1)
	v_ldexp_f32 v6, v6, v9
	v_log_f32_e32 v6, v6
	v_mul_f32_e32 v8, v7, v7
	s_delay_alu instid0(VALU_DEP_1) | instskip(NEXT) | instid1(TRANS32_DEP_1)
	v_fmaak_f32 v19, s11, v8, 0xbc7a590c
	v_cmp_gt_f32_e64 vcc_lo, 0x7f800000, |v6|
	s_delay_alu instid0(VALU_DEP_2) | instskip(SKIP_1) | instid1(VALU_DEP_1)
	v_fmaak_f32 v9, v8, v19, 0x3d29fb3f
	v_mul_f32_e32 v19, 0x3f317217, v6
	v_fma_f32 v19, 0x3f317217, v6, -v19
	s_delay_alu instid0(VALU_DEP_1) | instskip(NEXT) | instid1(VALU_DEP_1)
	v_fmac_f32_e32 v19, 0x3377d1cf, v6
	v_fmac_f32_e32 v19, 0x3f317217, v6
	s_delay_alu instid0(VALU_DEP_1) | instskip(NEXT) | instid1(VALU_DEP_1)
	v_dual_cndmask_b32 v6, v6, v19 :: v_dual_fmaak_f32 v9, v8, v9, 0xbd97d4d7
	v_dual_sub_f32 v6, v6, v23 :: v_dual_fmaak_f32 v9, v8, v9, 0x3dd931b2
	s_delay_alu instid0(VALU_DEP_1) | instskip(NEXT) | instid1(VALU_DEP_1)
	v_fmaak_f32 v9, v8, v9, 0xbe1160e6
	v_fmaak_f32 v9, v8, v9, 0x3e4cb8bf
	s_delay_alu instid0(VALU_DEP_1) | instskip(NEXT) | instid1(VALU_DEP_1)
	v_fmaak_f32 v9, v8, v9, 0xbeaaaa62
	v_mul_f32_e32 v8, v8, v9
	s_delay_alu instid0(VALU_DEP_1)
	v_fmac_f32_e32 v7, v7, v8
.LBB62_496:                             ;   in Loop: Header=BB62_418 Depth=1
	s_or_b32 exec_lo, exec_lo, s1
                                        ; implicit-def: $vgpr8
.LBB62_497:                             ;   in Loop: Header=BB62_418 Depth=1
	s_and_not1_saveexec_b32 s16, s16
	s_cbranch_execz .LBB62_499
; %bb.498:                              ;   in Loop: Header=BB62_418 Depth=1
	v_div_scale_f32 v6, null, 0xc02df854, 0xc02df854, v11
	s_wait_dscnt 0x0
	v_div_scale_f32 v7, null, 0xc02df854, 0xc02df854, v10
	v_div_scale_f32 v29, vcc_lo, v11, 0xc02df854, v11
	s_delay_alu instid0(VALU_DEP_3) | instskip(NEXT) | instid1(VALU_DEP_2)
	v_rcp_f32_e32 v9, v6
	v_rcp_f32_e32 v19, v7
	s_delay_alu instid0(TRANS32_DEP_2) | instskip(NEXT) | instid1(TRANS32_DEP_1)
	v_fma_f32 v23, -v6, v9, 1.0
	v_fma_f32 v28, -v7, v19, 1.0
	s_delay_alu instid0(VALU_DEP_1) | instskip(SKIP_1) | instid1(VALU_DEP_1)
	v_dual_fmac_f32 v9, v23, v9 :: v_dual_fmac_f32 v19, v28, v19
	v_div_scale_f32 v23, s1, v10, 0xc02df854, v10
	v_dual_mul_f32 v28, v29, v9 :: v_dual_mul_f32 v30, v23, v19
	s_delay_alu instid0(VALU_DEP_1) | instskip(NEXT) | instid1(VALU_DEP_1)
	v_dual_fma_f32 v31, -v6, v28, v29 :: v_dual_fma_f32 v32, -v7, v30, v23
	v_dual_fmac_f32 v28, v31, v9 :: v_dual_fmac_f32 v30, v32, v19
	s_delay_alu instid0(VALU_DEP_1) | instskip(NEXT) | instid1(VALU_DEP_1)
	v_dual_fma_f32 v6, -v6, v28, v29 :: v_dual_fma_f32 v7, -v7, v30, v23
	v_div_fmas_f32 v6, v6, v9, v28
	s_mov_b32 vcc_lo, s1
	v_max_num_f32_e64 v28, -v11, -v11
	s_delay_alu instid0(VALU_DEP_3) | instskip(NEXT) | instid1(VALU_DEP_3)
	v_div_fmas_f32 v7, v7, v19, v30
	v_div_fixup_f32 v9, v6, 0xc02df854, v11
	s_delay_alu instid0(VALU_DEP_2) | instskip(NEXT) | instid1(VALU_DEP_1)
	v_div_fixup_f32 v19, v7, 0xc02df854, v10
	v_max_num_f32_e64 v23, |v9|, |v19|
	s_delay_alu instid0(VALU_DEP_1) | instskip(SKIP_1) | instid1(VALU_DEP_2)
	v_cvt_f64_f32_e32 v[6:7], v23
	v_cmp_neq_f32_e32 vcc_lo, 0x7f800000, v23
	v_frexp_exp_i32_f64_e32 v6, v[6:7]
	s_delay_alu instid0(VALU_DEP_1) | instskip(NEXT) | instid1(VALU_DEP_1)
	v_sub_nc_u32_e32 v7, 0, v6
	v_ldexp_f32 v19, |v19|, v7
	v_ldexp_f32 v7, |v9|, v7
	s_delay_alu instid0(VALU_DEP_2) | instskip(NEXT) | instid1(VALU_DEP_1)
	v_dual_mul_f32 v9, v19, v19 :: v_dual_max_num_f32 v19, v28, v8
	v_dual_min_num_f32 v8, v28, v8 :: v_dual_fmac_f32 v9, v7, v7
	s_delay_alu instid0(VALU_DEP_2) | instskip(SKIP_1) | instid1(VALU_DEP_3)
	v_frexp_mant_f32_e32 v7, v19
	v_frexp_exp_i32_f32_e32 v19, v19
	v_frexp_exp_i32_f32_e32 v28, v8
	v_frexp_mant_f32_e32 v8, v8
	v_sqrt_f32_e32 v9, v9
	v_rcp_f32_e32 v7, v7
	s_delay_alu instid0(TRANS32_DEP_2)
	v_ldexp_f32 v6, v9, v6
	v_sub_nc_u32_e32 v9, v28, v19
	s_delay_alu instid0(TRANS32_DEP_1) | instid1(VALU_DEP_2)
	v_dual_mul_f32 v7, v8, v7 :: v_dual_cndmask_b32 v6, 0x7f800000, v6
	s_delay_alu instid0(VALU_DEP_1) | instskip(NEXT) | instid1(VALU_DEP_2)
	v_ldexp_f32 v7, v7, v9
	v_cmp_gt_f32_e32 vcc_lo, 0x800000, v6
	v_cndmask_b32_e64 v8, 0, 32, vcc_lo
	v_cndmask_b32_e64 v23, 0, 0x41b17218, vcc_lo
	s_delay_alu instid0(VALU_DEP_2) | instskip(NEXT) | instid1(VALU_DEP_1)
	v_ldexp_f32 v6, v6, v8
	v_log_f32_e32 v6, v6
	v_nop
	s_delay_alu instid0(TRANS32_DEP_1) | instskip(SKIP_1) | instid1(VALU_DEP_2)
	v_mul_f32_e32 v19, 0x3f317217, v6
	v_cmp_gt_f32_e64 vcc_lo, 0x7f800000, |v6|
	v_fma_f32 v19, 0x3f317217, v6, -v19
	s_delay_alu instid0(VALU_DEP_1) | instskip(NEXT) | instid1(VALU_DEP_1)
	v_fmac_f32_e32 v19, 0x3377d1cf, v6
	v_fmac_f32_e32 v19, 0x3f317217, v6
	s_delay_alu instid0(VALU_DEP_1) | instskip(NEXT) | instid1(VALU_DEP_1)
	v_cndmask_b32_e32 v6, v6, v19, vcc_lo
	v_sub_f32_e32 v6, v6, v23
	s_delay_alu instid0(VALU_DEP_1) | instskip(NEXT) | instid1(VALU_DEP_1)
	v_dual_mul_f32 v9, v7, v7 :: v_dual_add_f32 v6, 1.0, v6
	v_fmaak_f32 v8, s11, v9, 0xbc7a590c
	s_delay_alu instid0(VALU_DEP_1) | instskip(NEXT) | instid1(VALU_DEP_1)
	v_fmaak_f32 v8, v9, v8, 0x3d29fb3f
	v_fmaak_f32 v8, v9, v8, 0xbd97d4d7
	s_delay_alu instid0(VALU_DEP_1) | instskip(NEXT) | instid1(VALU_DEP_1)
	v_fmaak_f32 v8, v9, v8, 0x3dd931b2
	;; [unrolled: 3-line block ×3, first 2 shown]
	v_fmaak_f32 v8, v9, v8, 0xbeaaaa62
	s_delay_alu instid0(VALU_DEP_1) | instskip(NEXT) | instid1(VALU_DEP_1)
	v_mul_f32_e32 v8, v9, v8
	v_fmac_f32_e32 v7, v7, v8
.LBB62_499:                             ;   in Loop: Header=BB62_418 Depth=1
	s_or_b32 exec_lo, exec_lo, s16
	s_wait_dscnt 0x0
	s_delay_alu instid0(VALU_DEP_1) | instskip(SKIP_1) | instid1(VALU_DEP_2)
	v_sub_f32_e32 v8, 0x3fc90fdb, v7
	v_cmp_eq_f32_e32 vcc_lo, 0xff800000, v11
	v_cndmask_b32_e64 v7, v7, v8, s0
	v_cmp_neq_f32_e64 s0, 0, v10
	s_and_b32 s1, vcc_lo, exec_lo
	v_cndmask_b32_e64 v7, 0, v7, s0
	s_and_not1_b32 s0, s14, exec_lo
	s_delay_alu instid0(SALU_CYCLE_1)
	s_or_b32 s14, s0, s1
.LBB62_500:                             ;   in Loop: Header=BB62_418 Depth=1
	s_or_b32 exec_lo, exec_lo, s15
	v_cmp_class_f32_e64 s0, v10, 0x204
	v_add_f32_e32 v8, 0x3f317218, v6
	s_and_b32 s0, s0, s14
	s_wait_dscnt 0x0
	v_cndmask_b32_e64 v7, v7, 0x3f490fdb, s0
	s_delay_alu instid0(VALU_DEP_1)
	v_bfi_b32 v6, 0x7fffffff, v7, v10
	v_bfi_b32 v7, 0x7fffffff, v8, v11
.LBB62_501:                             ;   in Loop: Header=BB62_418 Depth=1
	s_or_b32 exec_lo, exec_lo, s13
.LBB62_502:                             ;   in Loop: Header=BB62_418 Depth=1
	s_and_not1_saveexec_b32 s0, s4
	s_cbranch_execz .LBB62_516
; %bb.503:                              ;   in Loop: Header=BB62_418 Depth=1
	v_cmp_neq_f32_e64 s1, 0x7f800000, |v11|
                                        ; implicit-def: $vgpr7
	s_and_saveexec_b32 s4, s1
	s_delay_alu instid0(SALU_CYCLE_1)
	s_xor_b32 s1, exec_lo, s4
	s_cbranch_execz .LBB62_513
; %bb.504:                              ;   in Loop: Header=BB62_418 Depth=1
	v_cmp_neq_f32_e64 s4, 0x7f800000, |v10|
                                        ; implicit-def: $vgpr7
	s_and_saveexec_b32 s13, s4
	s_delay_alu instid0(SALU_CYCLE_1)
	s_xor_b32 s4, exec_lo, s13
	s_cbranch_execz .LBB62_510
; %bb.505:                              ;   in Loop: Header=BB62_418 Depth=1
	s_mov_b32 s13, exec_lo
                                        ; implicit-def: $vgpr7
	v_cmpx_neq_f32_e32 0, v10
	s_xor_b32 s13, exec_lo, s13
	s_cbranch_execz .LBB62_507
; %bb.506:                              ;   in Loop: Header=BB62_418 Depth=1
	v_add_f32_e32 v6, 0, v11
	s_wait_dscnt 0x0
	s_delay_alu instid0(VALU_DEP_1)
	v_add_f32_e32 v7, v10, v6
.LBB62_507:                             ;   in Loop: Header=BB62_418 Depth=1
	s_or_saveexec_b32 s13, s13
	s_wait_dscnt 0x0
	s_delay_alu instid0(VALU_DEP_1)
	v_mov_b32_e32 v6, v7
	s_xor_b32 exec_lo, exec_lo, s13
; %bb.508:                              ;   in Loop: Header=BB62_418 Depth=1
	v_pk_add_f32 v[6:7], v[10:11], v[10:11]
	v_mov_b32_e32 v6, v10
; %bb.509:                              ;   in Loop: Header=BB62_418 Depth=1
	s_or_b32 exec_lo, exec_lo, s13
.LBB62_510:                             ;   in Loop: Header=BB62_418 Depth=1
	s_and_not1_saveexec_b32 s4, s4
	s_cbranch_execz .LBB62_512
; %bb.511:                              ;   in Loop: Header=BB62_418 Depth=1
	s_wait_dscnt 0x0
	v_dual_add_f32 v6, v11, v11 :: v_dual_mov_b32 v7, v10
.LBB62_512:                             ;   in Loop: Header=BB62_418 Depth=1
	s_or_b32 exec_lo, exec_lo, s4
.LBB62_513:                             ;   in Loop: Header=BB62_418 Depth=1
	s_and_not1_saveexec_b32 s1, s1
	s_cbranch_execz .LBB62_515
; %bb.514:                              ;   in Loop: Header=BB62_418 Depth=1
	s_wait_dscnt 0x0
	v_dual_add_f32 v6, v10, v10 :: v_dual_mov_b32 v7, v11
.LBB62_515:                             ;   in Loop: Header=BB62_418 Depth=1
	s_or_b32 exec_lo, exec_lo, s1
.LBB62_516:                             ;   in Loop: Header=BB62_418 Depth=1
	s_delay_alu instid0(SALU_CYCLE_1) | instskip(NEXT) | instid1(SALU_CYCLE_1)
	s_or_b32 exec_lo, exec_lo, s0
	s_mov_b32 s0, exec_lo
	v_cmpx_o_f32_e32 v13, v12
	s_xor_b32 s4, exec_lo, s0
	s_cbranch_execz .LBB62_600
; %bb.517:                              ;   in Loop: Header=BB62_418 Depth=1
	v_max_num_f32_e64 v11, |v13|, |v13|
	v_max_num_f32_e64 v10, |v12|, |v12|
	s_mov_b32 s0, exec_lo
	s_delay_alu instid0(VALU_DEP_1) | instskip(NEXT) | instid1(VALU_DEP_1)
	v_max_num_f32_e32 v19, v10, v11
	v_cmpx_nlt_f32_e32 0x4b000000, v19
	s_xor_b32 s13, exec_lo, s0
	s_cbranch_execz .LBB62_577
; %bb.518:                              ;   in Loop: Header=BB62_418 Depth=1
	v_cmp_neq_f32_e32 vcc_lo, 0, v13
	v_cmp_neq_f32_e64 s0, 0, v12
	s_or_b32 s0, vcc_lo, s0
	s_delay_alu instid0(SALU_CYCLE_1)
	s_and_saveexec_b32 s14, s0
	s_cbranch_execz .LBB62_576
; %bb.519:                              ;   in Loop: Header=BB62_418 Depth=1
	flat_store_b32 v[16:17], v26 scope:SCOPE_SYS
	s_wait_storecnt 0x0
	flat_load_b32 v8, v[16:17] scope:SCOPE_SYS
	s_wait_loadcnt 0x0
	v_cmp_ngt_f32_e64 s0, 0x395db3d7, |v13|
	v_cmp_ngt_f32_e64 s1, 0x395db3d7, |v12|
	s_or_b32 s0, s1, s0
	s_wait_dscnt 0x0
	v_add_f32_e32 v8, 1.0, v8
	flat_store_b32 v[20:21], v8 scope:SCOPE_SYS
	s_wait_storecnt 0x0
	flat_load_b32 v8, v[20:21] scope:SCOPE_SYS
	s_wait_loadcnt 0x0
	s_wait_xcnt 0x0
	s_and_saveexec_b32 s15, s0
	s_cbranch_execz .LBB62_575
; %bb.520:                              ;   in Loop: Header=BB62_418 Depth=1
	v_add_f32_e64 v29, |v12|, 1.0
	v_add_f32_e64 v28, |v12|, -1.0
	s_mov_b32 s0, exec_lo
	s_delay_alu instid0(VALU_DEP_2) | instskip(NEXT) | instid1(VALU_DEP_2)
	v_max_num_f32_e32 v19, v11, v29
	v_max_num_f32_e64 v23, v11, |v28|
	s_wait_dscnt 0x0
	s_delay_alu instid0(VALU_DEP_2) | instskip(NEXT) | instid1(VALU_DEP_2)
	v_cvt_f64_f32_e32 v[8:9], v19
	v_cvt_f64_f32_e32 v[10:11], v23
	s_delay_alu instid0(VALU_DEP_2) | instskip(NEXT) | instid1(VALU_DEP_2)
	v_frexp_exp_i32_f64_e32 v8, v[8:9]
	v_frexp_exp_i32_f64_e32 v9, v[10:11]
	s_delay_alu instid0(VALU_DEP_2) | instskip(SKIP_1) | instid1(VALU_DEP_2)
	v_sub_nc_u32_e32 v10, 0, v8
	v_cmp_neq_f32_e32 vcc_lo, 0x7f800000, v19
                                        ; implicit-def: $vgpr19
	v_ldexp_f32 v30, v29, v10
	s_delay_alu instid0(VALU_DEP_4) | instskip(SKIP_1) | instid1(VALU_DEP_3)
	v_sub_nc_u32_e32 v11, 0, v9
	v_ldexp_f32 v10, |v13|, v10
	v_mul_f32_e32 v30, v30, v30
	s_delay_alu instid0(VALU_DEP_3) | instskip(SKIP_1) | instid1(VALU_DEP_2)
	v_ldexp_f32 v31, |v28|, v11
	v_ldexp_f32 v11, |v13|, v11
	v_dual_fmac_f32 v30, v10, v10 :: v_dual_mul_f32 v31, v31, v31
	s_delay_alu instid0(VALU_DEP_1) | instskip(NEXT) | instid1(VALU_DEP_1)
	v_sqrt_f32_e32 v10, v30
	v_fmac_f32_e32 v31, v11, v11
	s_delay_alu instid0(VALU_DEP_1) | instskip(NEXT) | instid1(TRANS32_DEP_2)
	v_sqrt_f32_e32 v11, v31
	v_ldexp_f32 v8, v10, v8
	s_delay_alu instid0(VALU_DEP_1) | instskip(NEXT) | instid1(TRANS32_DEP_1)
	v_cndmask_b32_e32 v31, 0x7f800000, v8, vcc_lo
	v_ldexp_f32 v9, v11, v9
	v_cmp_neq_f32_e32 vcc_lo, 0x7f800000, v23
	s_delay_alu instid0(VALU_DEP_2) | instskip(NEXT) | instid1(VALU_DEP_1)
	v_cndmask_b32_e32 v10, 0x7f800000, v9, vcc_lo
	v_add_f32_e32 v8, v31, v10
	s_delay_alu instid0(VALU_DEP_1) | instskip(NEXT) | instid1(VALU_DEP_1)
	v_mul_f32_e32 v8, 0.5, v8
	v_cmp_ngt_f32_e32 vcc_lo, 1.0, v8
	v_cndmask_b32_e32 v8, 1.0, v8, vcc_lo
	s_delay_alu instid0(VALU_DEP_1)
	v_cmpx_ngt_f32_e32 0x41200000, v8
	s_xor_b32 s1, exec_lo, s0
	s_cbranch_execz .LBB62_522
; %bb.521:                              ;   in Loop: Header=BB62_418 Depth=1
	v_fma_f32 v9, v8, v8, -1.0
	s_delay_alu instid0(VALU_DEP_1) | instskip(SKIP_1) | instid1(VALU_DEP_2)
	v_mul_f32_e32 v11, 0x4f800000, v9
	v_cmp_gt_f32_e32 vcc_lo, 0xf800000, v9
	v_cndmask_b32_e32 v9, v9, v11, vcc_lo
	s_delay_alu instid0(VALU_DEP_1) | instskip(SKIP_1) | instid1(TRANS32_DEP_1)
	v_sqrt_f32_e32 v11, v9
	v_nop
	v_dual_add_nc_u32 v19, -1, v11 :: v_dual_add_nc_u32 v23, 1, v11
	s_delay_alu instid0(VALU_DEP_1) | instskip(NEXT) | instid1(VALU_DEP_2)
	v_fma_f32 v30, -v19, v11, v9
	v_fma_f32 v32, -v23, v11, v9
	s_delay_alu instid0(VALU_DEP_2) | instskip(NEXT) | instid1(VALU_DEP_1)
	v_cmp_ge_f32_e64 s0, 0, v30
	v_cndmask_b32_e64 v11, v11, v19, s0
	s_delay_alu instid0(VALU_DEP_3) | instskip(NEXT) | instid1(VALU_DEP_1)
	v_cmp_lt_f32_e64 s0, 0, v32
	v_cndmask_b32_e64 v11, v11, v23, s0
	s_delay_alu instid0(VALU_DEP_1) | instskip(NEXT) | instid1(VALU_DEP_1)
	v_mul_f32_e32 v19, 0x37800000, v11
	v_cndmask_b32_e32 v11, v11, v19, vcc_lo
	v_cmp_class_f32_e64 vcc_lo, v9, 0x260
	s_delay_alu instid0(VALU_DEP_2) | instskip(NEXT) | instid1(VALU_DEP_1)
	v_cndmask_b32_e32 v9, v11, v9, vcc_lo
	v_add_f32_e32 v9, v8, v9
	s_delay_alu instid0(VALU_DEP_1) | instskip(NEXT) | instid1(VALU_DEP_4)
	v_cmp_gt_f32_e32 vcc_lo, 0x800000, v9
	v_cndmask_b32_e64 v11, 0, 32, vcc_lo
	s_delay_alu instid0(VALU_DEP_1) | instskip(NEXT) | instid1(VALU_DEP_1)
	v_ldexp_f32 v9, v9, v11
	v_log_f32_e32 v9, v9
	v_nop
	s_delay_alu instid0(TRANS32_DEP_1) | instskip(SKIP_1) | instid1(VALU_DEP_2)
	v_mul_f32_e32 v11, 0x3f317217, v9
	v_cmp_gt_f32_e64 s0, 0x7f800000, |v9|
	v_fma_f32 v11, 0x3f317217, v9, -v11
	s_delay_alu instid0(VALU_DEP_1) | instskip(NEXT) | instid1(VALU_DEP_1)
	v_fmac_f32_e32 v11, 0x3377d1cf, v9
	v_fmac_f32_e32 v11, 0x3f317217, v9
	s_delay_alu instid0(VALU_DEP_1) | instskip(SKIP_1) | instid1(VALU_DEP_1)
	v_cndmask_b32_e64 v9, v9, v11, s0
	v_cndmask_b32_e64 v11, 0, 0x41b17218, vcc_lo
	v_sub_f32_e32 v19, v9, v11
.LBB62_522:                             ;   in Loop: Header=BB62_418 Depth=1
	s_or_saveexec_b32 s1, s1
	v_and_b32_e32 v30, 0x7fffffff, v13
	s_xor_b32 exec_lo, exec_lo, s1
	s_cbranch_execz .LBB62_544
; %bb.523:                              ;   in Loop: Header=BB62_418 Depth=1
	v_cmp_neq_f32_e64 s0, |v12|, 1.0
	v_cmp_ngt_f32_e64 s16, 0x25000000, |v13|
                                        ; implicit-def: $vgpr19
	s_or_b32 s0, s0, s16
	s_delay_alu instid0(SALU_CYCLE_1) | instskip(NEXT) | instid1(SALU_CYCLE_1)
	s_and_saveexec_b32 s16, s0
	s_xor_b32 s16, exec_lo, s16
	s_cbranch_execz .LBB62_541
; %bb.524:                              ;   in Loop: Header=BB62_418 Depth=1
	v_mul_f32_e64 v9, 0x34000000, |v28|
	s_mov_b32 s17, exec_lo
                                        ; implicit-def: $vgpr19
	s_delay_alu instid0(VALU_DEP_1)
	v_cmpx_ge_f32_e64 |v13|, v9
	s_xor_b32 s17, exec_lo, s17
	s_cbranch_execz .LBB62_534
; %bb.525:                              ;   in Loop: Header=BB62_418 Depth=1
	v_mov_b32_e32 v9, v30
	s_mov_b32 s0, exec_lo
	v_cmpx_neq_f32_e32 0, v29
	s_cbranch_execz .LBB62_527
; %bb.526:                              ;   in Loop: Header=BB62_418 Depth=1
	v_mul_f32_e32 v9, v13, v13
	v_add_f32_e32 v11, v29, v31
	s_delay_alu instid0(VALU_DEP_1) | instskip(NEXT) | instid1(VALU_DEP_1)
	v_div_scale_f32 v19, null, v11, v11, v9
	v_rcp_f32_e32 v23, v19
	v_nop
	s_delay_alu instid0(TRANS32_DEP_1) | instskip(NEXT) | instid1(VALU_DEP_1)
	v_fma_f32 v32, -v19, v23, 1.0
	v_fmac_f32_e32 v23, v32, v23
	v_div_scale_f32 v32, vcc_lo, v9, v11, v9
	s_delay_alu instid0(VALU_DEP_1) | instskip(NEXT) | instid1(VALU_DEP_1)
	v_mul_f32_e32 v33, v32, v23
	v_fma_f32 v34, -v19, v33, v32
	s_delay_alu instid0(VALU_DEP_1) | instskip(NEXT) | instid1(VALU_DEP_1)
	v_fmac_f32_e32 v33, v34, v23
	v_fma_f32 v19, -v19, v33, v32
	s_delay_alu instid0(VALU_DEP_1) | instskip(NEXT) | instid1(VALU_DEP_1)
	v_div_fmas_f32 v19, v19, v23, v33
	v_div_fixup_f32 v9, v19, v11, v9
.LBB62_527:                             ;   in Loop: Header=BB62_418 Depth=1
	s_or_b32 exec_lo, exec_lo, s0
	v_sub_f32_e64 v19, 1.0, |v12|
	s_mov_b32 s0, exec_lo
                                        ; implicit-def: $vgpr11
	s_delay_alu instid0(VALU_DEP_1)
	v_cmpx_ngt_f32_e32 0, v19
	s_xor_b32 s0, exec_lo, s0
	s_cbranch_execz .LBB62_531
; %bb.528:                              ;   in Loop: Header=BB62_418 Depth=1
	v_mov_b32_e32 v11, v30
	s_mov_b32 s18, exec_lo
	v_cmpx_neq_f32_e32 0, v19
	s_cbranch_execz .LBB62_530
; %bb.529:                              ;   in Loop: Header=BB62_418 Depth=1
	v_dual_mul_f32 v11, v13, v13 :: v_dual_add_f32 v19, v19, v10
	s_delay_alu instid0(VALU_DEP_1) | instskip(NEXT) | instid1(VALU_DEP_1)
	v_div_scale_f32 v23, null, v19, v19, v11
	v_rcp_f32_e32 v32, v23
	v_nop
	s_delay_alu instid0(TRANS32_DEP_1) | instskip(NEXT) | instid1(VALU_DEP_1)
	v_fma_f32 v33, -v23, v32, 1.0
	v_fmac_f32_e32 v32, v33, v32
	v_div_scale_f32 v33, vcc_lo, v11, v19, v11
	s_delay_alu instid0(VALU_DEP_1) | instskip(NEXT) | instid1(VALU_DEP_1)
	v_mul_f32_e32 v34, v33, v32
	v_fma_f32 v35, -v23, v34, v33
	s_delay_alu instid0(VALU_DEP_1) | instskip(NEXT) | instid1(VALU_DEP_1)
	v_fmac_f32_e32 v34, v35, v32
	v_fma_f32 v23, -v23, v34, v33
	s_delay_alu instid0(VALU_DEP_1) | instskip(NEXT) | instid1(VALU_DEP_1)
	v_div_fmas_f32 v23, v23, v32, v34
	v_div_fixup_f32 v11, v23, v19, v11
.LBB62_530:                             ;   in Loop: Header=BB62_418 Depth=1
	s_or_b32 exec_lo, exec_lo, s18
                                        ; implicit-def: $vgpr19
.LBB62_531:                             ;   in Loop: Header=BB62_418 Depth=1
	s_and_not1_saveexec_b32 s0, s0
; %bb.532:                              ;   in Loop: Header=BB62_418 Depth=1
	v_sub_f32_e32 v11, v10, v19
; %bb.533:                              ;   in Loop: Header=BB62_418 Depth=1
	s_or_b32 exec_lo, exec_lo, s0
	s_delay_alu instid0(VALU_DEP_1) | instskip(NEXT) | instid1(VALU_DEP_1)
	v_dual_mul_f32 v9, 0.5, v9 :: v_dual_mul_f32 v19, 0.5, v11
	v_pk_add_f32 v[32:33], v[8:9], v[18:19]
	s_delay_alu instid0(VALU_DEP_1) | instskip(NEXT) | instid1(VALU_DEP_1)
	v_mul_f32_e32 v9, v32, v33
	v_mul_f32_e32 v11, 0x4f800000, v9
	v_cmp_gt_f32_e32 vcc_lo, 0xf800000, v9
	s_delay_alu instid0(VALU_DEP_2) | instskip(NEXT) | instid1(VALU_DEP_1)
	v_cndmask_b32_e32 v9, v9, v11, vcc_lo
	v_sqrt_f32_e32 v11, v9
	v_nop
	s_delay_alu instid0(TRANS32_DEP_1) | instskip(NEXT) | instid1(VALU_DEP_1)
	v_dual_add_nc_u32 v19, -1, v11 :: v_dual_add_nc_u32 v23, 1, v11
	v_fma_f32 v32, -v19, v11, v9
	s_delay_alu instid0(VALU_DEP_2) | instskip(NEXT) | instid1(VALU_DEP_2)
	v_fma_f32 v34, -v23, v11, v9
	v_cmp_ge_f32_e64 s0, 0, v32
	s_delay_alu instid0(VALU_DEP_1) | instskip(NEXT) | instid1(VALU_DEP_3)
	v_cndmask_b32_e64 v11, v11, v19, s0
	v_cmp_lt_f32_e64 s0, 0, v34
	s_delay_alu instid0(VALU_DEP_1) | instskip(NEXT) | instid1(VALU_DEP_1)
	v_cndmask_b32_e64 v11, v11, v23, s0
	v_mul_f32_e32 v19, 0x37800000, v11
	s_delay_alu instid0(VALU_DEP_1) | instskip(SKIP_1) | instid1(VALU_DEP_2)
	v_cndmask_b32_e32 v11, v11, v19, vcc_lo
	v_cmp_class_f32_e64 vcc_lo, v9, 0x260
	v_cndmask_b32_e32 v9, v11, v9, vcc_lo
	s_delay_alu instid0(VALU_DEP_1) | instskip(NEXT) | instid1(VALU_DEP_1)
	v_add_f32_e32 v32, v33, v9
	v_add_f32_e32 v35, 1.0, v32
	s_delay_alu instid0(VALU_DEP_1) | instskip(SKIP_2) | instid1(VALU_DEP_2)
	v_cvt_f64_f32_e32 v[36:37], v35
	v_frexp_mant_f32_e32 v11, v35
	v_add_f32_e32 v33, -1.0, v35
	v_cmp_gt_f32_e32 vcc_lo, 0x3f2aaaab, v11
	s_delay_alu instid0(VALU_DEP_2) | instskip(SKIP_1) | instid1(VALU_DEP_2)
	v_mov_b32_e32 v34, v33
	v_frexp_exp_i32_f64_e32 v9, v[36:37]
	v_pk_add_f32 v[36:37], v[32:33], v[34:35] neg_lo:[0,1] neg_hi:[0,1]
	s_delay_alu instid0(VALU_DEP_1) | instskip(NEXT) | instid1(VALU_DEP_1)
	v_add_f32_e32 v23, 1.0, v37
	v_add_f32_e32 v23, v36, v23
	s_delay_alu instid0(VALU_DEP_4) | instskip(SKIP_1) | instid1(VALU_DEP_2)
	v_subrev_co_ci_u32_e64 v9, null, 0, v9, vcc_lo
	v_cmp_neq_f32_e32 vcc_lo, 0x7f800000, v32
	v_sub_nc_u32_e32 v11, 0, v9
	s_delay_alu instid0(VALU_DEP_1) | instskip(NEXT) | instid1(VALU_DEP_1)
	v_ldexp_f32 v19, v35, v11
	v_dual_add_f32 v33, 1.0, v19 :: v_dual_add_f32 v39, -1.0, v19
	v_ldexp_f32 v11, v23, v11
	s_delay_alu instid0(VALU_DEP_2) | instskip(NEXT) | instid1(VALU_DEP_1)
	v_add_f32_e32 v34, -1.0, v33
	v_dual_sub_f32 v23, v19, v34 :: v_dual_add_f32 v34, 1.0, v39
	s_delay_alu instid0(VALU_DEP_1) | instskip(NEXT) | instid1(VALU_DEP_1)
	v_add_f32_e32 v23, v11, v23
	v_dual_sub_f32 v19, v19, v34 :: v_dual_add_f32 v40, v33, v23
	s_delay_alu instid0(VALU_DEP_1) | instskip(NEXT) | instid1(VALU_DEP_2)
	v_add_f32_e32 v11, v11, v19
	v_rcp_f32_e32 v19, v40
	s_delay_alu instid0(VALU_DEP_1)
	v_dual_add_f32 v35, v39, v11 :: v_dual_sub_f32 v33, v40, v33
	s_delay_alu instid0(TRANS32_DEP_1) | instid1(VALU_DEP_1)
	v_mul_f32_e32 v41, v35, v19
	s_delay_alu instid0(VALU_DEP_2) | instskip(NEXT) | instid1(VALU_DEP_2)
	v_sub_f32_e32 v23, v23, v33
	v_mul_f32_e32 v36, v40, v41
	s_delay_alu instid0(VALU_DEP_1) | instskip(NEXT) | instid1(VALU_DEP_1)
	v_dual_fma_f32 v38, v41, v40, -v36 :: v_dual_sub_f32 v33, v35, v39
	v_dual_fmac_f32 v38, v41, v23 :: v_dual_sub_f32 v11, v11, v33
	s_delay_alu instid0(VALU_DEP_1) | instskip(NEXT) | instid1(VALU_DEP_1)
	v_add_f32_e32 v34, v36, v38
	v_dual_sub_f32 v37, v35, v34 :: v_dual_mov_b32 v39, v34
	s_delay_alu instid0(VALU_DEP_1) | instskip(NEXT) | instid1(VALU_DEP_1)
	v_pk_add_f32 v[34:35], v[34:35], v[36:37] neg_lo:[0,1] neg_hi:[0,1]
	v_pk_add_f32 v[34:35], v[34:35], v[38:39] neg_lo:[0,1] neg_hi:[0,1]
	s_delay_alu instid0(VALU_DEP_1) | instskip(NEXT) | instid1(VALU_DEP_1)
	v_add_f32_e32 v11, v11, v35
	v_add_f32_e32 v11, v34, v11
	s_delay_alu instid0(VALU_DEP_1) | instskip(NEXT) | instid1(VALU_DEP_1)
	v_add_f32_e32 v35, v37, v11
	v_mul_f32_e32 v33, v19, v35
	s_delay_alu instid0(VALU_DEP_1) | instskip(NEXT) | instid1(VALU_DEP_1)
	v_mul_f32_e32 v38, v40, v33
	v_fma_f32 v36, v33, v40, -v38
	s_delay_alu instid0(VALU_DEP_1) | instskip(SKIP_1) | instid1(VALU_DEP_2)
	v_fmac_f32_e32 v36, v33, v23
	v_sub_f32_e32 v23, v37, v35
	v_dual_add_f32 v40, v41, v33 :: v_dual_add_f32 v34, v38, v36
	s_delay_alu instid0(VALU_DEP_1) | instskip(NEXT) | instid1(VALU_DEP_2)
	v_dual_mov_b32 v37, v34 :: v_dual_sub_f32 v39, v35, v34
	v_dual_add_f32 v11, v11, v23 :: v_dual_sub_f32 v23, v40, v41
	s_delay_alu instid0(VALU_DEP_2) | instskip(NEXT) | instid1(VALU_DEP_2)
	v_pk_add_f32 v[34:35], v[34:35], v[38:39] neg_lo:[0,1] neg_hi:[0,1]
	v_sub_f32_e32 v23, v33, v23
	s_delay_alu instid0(VALU_DEP_2) | instskip(NEXT) | instid1(VALU_DEP_1)
	v_pk_add_f32 v[34:35], v[34:35], v[36:37] neg_lo:[0,1] neg_hi:[0,1]
	v_add_f32_e32 v11, v11, v35
	s_delay_alu instid0(VALU_DEP_1) | instskip(SKIP_1) | instid1(VALU_DEP_2)
	v_add_f32_e32 v11, v34, v11
	v_cvt_f32_i32_e32 v34, v9
	v_add_f32_e32 v11, v39, v11
	s_delay_alu instid0(VALU_DEP_1) | instskip(NEXT) | instid1(VALU_DEP_1)
	v_mul_f32_e32 v11, v19, v11
	v_add_f32_e32 v11, v23, v11
	s_delay_alu instid0(VALU_DEP_1) | instskip(NEXT) | instid1(VALU_DEP_1)
	v_add_f32_e32 v19, v40, v11
	v_sub_f32_e32 v9, v19, v40
	s_delay_alu instid0(VALU_DEP_1) | instskip(SKIP_2) | instid1(VALU_DEP_3)
	v_sub_f32_e32 v9, v11, v9
	v_mul_f32_e32 v23, v19, v19
	v_ldexp_f32 v39, v19, 1
	v_ldexp_f32 v9, v9, 1
	s_delay_alu instid0(VALU_DEP_3) | instskip(SKIP_1) | instid1(VALU_DEP_2)
	v_fmaak_f32 v33, s7, v23, 0x3ecc95a3
	v_mul_f32_e32 v35, v19, v23
	v_fmaak_f32 v23, v23, v33, 0x3f2aaada
	s_delay_alu instid0(VALU_DEP_1) | instskip(NEXT) | instid1(VALU_DEP_1)
	v_pk_mul_f32 v[36:37], v[34:35], v[22:23]
	v_fma_f32 v38, 0x3f317218, v34, -v36
	v_mov_b32_e32 v40, v36
	s_delay_alu instid0(VALU_DEP_2) | instskip(NEXT) | instid1(VALU_DEP_1)
	v_fmac_f32_e32 v38, 0xb102e308, v34
	v_pk_add_f32 v[34:35], v[36:37], v[38:39]
	s_delay_alu instid0(VALU_DEP_1) | instskip(NEXT) | instid1(VALU_DEP_1)
	v_dual_sub_f32 v11, v35, v39 :: v_dual_mov_b32 v39, v34
	v_dual_mov_b32 v48, v35 :: v_dual_sub_f32 v11, v37, v11
	v_pk_add_f32 v[36:37], v[34:35], v[36:37] neg_lo:[0,1] neg_hi:[0,1]
	s_delay_alu instid0(VALU_DEP_2) | instskip(NEXT) | instid1(VALU_DEP_1)
	v_add_f32_e32 v41, v9, v11
	v_pk_add_f32 v[42:43], v[34:35], v[40:41]
	s_delay_alu instid0(VALU_DEP_1) | instskip(NEXT) | instid1(VALU_DEP_1)
	v_mov_b32_e32 v37, v43
	v_pk_add_f32 v[44:45], v[38:39], v[36:37]
	v_mov_b32_e32 v44, v43
	v_pk_add_f32 v[36:37], v[38:39], v[36:37] neg_lo:[0,1] neg_hi:[0,1]
	s_delay_alu instid0(VALU_DEP_3) | instskip(NEXT) | instid1(VALU_DEP_1)
	v_dual_mov_b32 v40, v45 :: v_dual_mov_b32 v37, v45
	v_pk_add_f32 v[46:47], v[40:41], v[34:35] neg_lo:[0,1] neg_hi:[0,1]
	v_dual_mov_b32 v35, v34 :: v_dual_mov_b32 v34, v41
	s_delay_alu instid0(VALU_DEP_2) | instskip(NEXT) | instid1(VALU_DEP_1)
	v_dual_mov_b32 v49, v46 :: v_dual_mov_b32 v9, v46
	v_pk_add_f32 v[46:47], v[44:45], v[48:49] neg_lo:[0,1] neg_hi:[0,1]
	s_delay_alu instid0(VALU_DEP_2) | instskip(SKIP_1) | instid1(VALU_DEP_3)
	v_pk_add_f32 v[38:39], v[42:43], v[8:9] neg_lo:[0,1] neg_hi:[0,1]
	v_mov_b32_e32 v38, v36
	v_pk_add_f32 v[34:35], v[34:35], v[46:47] neg_lo:[0,1] neg_hi:[0,1]
	s_delay_alu instid0(VALU_DEP_1) | instskip(NEXT) | instid1(VALU_DEP_1)
	v_pk_add_f32 v[38:39], v[38:39], v[34:35]
	v_mov_b32_e32 v42, v39
	s_delay_alu instid0(VALU_DEP_1) | instskip(NEXT) | instid1(VALU_DEP_1)
	v_pk_add_f32 v[42:43], v[38:39], v[42:43]
	v_pk_add_f32 v[40:41], v[40:41], v[42:43]
	s_delay_alu instid0(VALU_DEP_1) | instskip(NEXT) | instid1(VALU_DEP_1)
	v_dual_mov_b32 v35, v42 :: v_dual_mov_b32 v39, v40
	v_pk_add_f32 v[44:45], v[38:39], v[36:37] neg_lo:[0,1] neg_hi:[0,1]
	s_delay_alu instid0(VALU_DEP_1) | instskip(NEXT) | instid1(VALU_DEP_2)
	v_sub_f32_e32 v9, v38, v44
	v_pk_add_f32 v[34:35], v[34:35], v[44:45] neg_lo:[0,1] neg_hi:[0,1]
	s_delay_alu instid0(VALU_DEP_2) | instskip(NEXT) | instid1(VALU_DEP_1)
	v_sub_f32_e32 v9, v36, v9
	v_add_f32_e32 v9, v34, v9
	s_delay_alu instid0(VALU_DEP_1) | instskip(NEXT) | instid1(VALU_DEP_1)
	v_add_f32_e32 v9, v9, v35
	v_add_f32_e32 v9, v40, v9
	s_delay_alu instid0(VALU_DEP_1) | instskip(SKIP_1) | instid1(VALU_DEP_2)
	v_cndmask_b32_e32 v9, 0x7f800000, v9, vcc_lo
	v_cmp_ngt_f32_e32 vcc_lo, -1.0, v32
	v_cndmask_b32_e32 v9, 0x7fc00000, v9, vcc_lo
	v_cmp_neq_f32_e32 vcc_lo, -1.0, v32
	s_delay_alu instid0(VALU_DEP_2) | instskip(SKIP_1) | instid1(VALU_DEP_2)
	v_cndmask_b32_e32 v9, 0xff800000, v9, vcc_lo
	v_cmp_gt_f32_e64 vcc_lo, 0x33800000, |v32|
	v_cndmask_b32_e32 v19, v9, v32, vcc_lo
.LBB62_534:                             ;   in Loop: Header=BB62_418 Depth=1
	s_and_not1_saveexec_b32 s17, s17
	s_cbranch_execz .LBB62_540
; %bb.535:                              ;   in Loop: Header=BB62_418 Depth=1
	s_mov_b32 s18, exec_lo
                                        ; implicit-def: $vgpr19
	v_cmpx_nlt_f32_e64 |v12|, 1.0
	s_xor_b32 s18, exec_lo, s18
	s_cbranch_execz .LBB62_537
; %bb.536:                              ;   in Loop: Header=BB62_418 Depth=1
	v_mul_f32_e32 v9, v28, v29
	s_delay_alu instid0(VALU_DEP_1) | instskip(SKIP_1) | instid1(VALU_DEP_2)
	v_mul_f32_e32 v11, 0x4f800000, v9
	v_cmp_gt_f32_e32 vcc_lo, 0xf800000, v9
	v_cndmask_b32_e32 v9, v9, v11, vcc_lo
	s_delay_alu instid0(VALU_DEP_1) | instskip(SKIP_1) | instid1(TRANS32_DEP_1)
	v_sqrt_f32_e32 v11, v9
	v_nop
	v_dual_add_nc_u32 v19, -1, v11 :: v_dual_add_nc_u32 v23, 1, v11
	s_delay_alu instid0(VALU_DEP_1) | instskip(NEXT) | instid1(VALU_DEP_2)
	v_fma_f32 v32, -v19, v11, v9
	v_fma_f32 v33, -v23, v11, v9
	s_delay_alu instid0(VALU_DEP_2) | instskip(NEXT) | instid1(VALU_DEP_1)
	v_cmp_ge_f32_e64 s0, 0, v32
	v_cndmask_b32_e64 v11, v11, v19, s0
	s_delay_alu instid0(VALU_DEP_3) | instskip(NEXT) | instid1(VALU_DEP_1)
	v_cmp_lt_f32_e64 s0, 0, v33
	v_cndmask_b32_e64 v11, v11, v23, s0
	s_delay_alu instid0(VALU_DEP_1) | instskip(NEXT) | instid1(VALU_DEP_1)
	v_mul_f32_e32 v19, 0x37800000, v11
	v_cndmask_b32_e32 v11, v11, v19, vcc_lo
	v_cmp_class_f32_e64 vcc_lo, v9, 0x260
	s_delay_alu instid0(VALU_DEP_2) | instskip(NEXT) | instid1(VALU_DEP_1)
	v_cndmask_b32_e32 v9, v11, v9, vcc_lo
	v_add_f32_e32 v32, v28, v9
	s_delay_alu instid0(VALU_DEP_1) | instskip(NEXT) | instid1(VALU_DEP_1)
	v_add_f32_e32 v35, 1.0, v32
	v_cvt_f64_f32_e32 v[36:37], v35
	v_frexp_mant_f32_e32 v11, v35
	v_add_f32_e32 v33, -1.0, v35
	s_delay_alu instid0(VALU_DEP_2) | instskip(NEXT) | instid1(VALU_DEP_2)
	v_cmp_gt_f32_e32 vcc_lo, 0x3f2aaaab, v11
	v_mov_b32_e32 v34, v33
	v_frexp_exp_i32_f64_e32 v9, v[36:37]
	s_delay_alu instid0(VALU_DEP_2) | instskip(NEXT) | instid1(VALU_DEP_1)
	v_pk_add_f32 v[36:37], v[32:33], v[34:35] neg_lo:[0,1] neg_hi:[0,1]
	v_add_f32_e32 v23, 1.0, v37
	s_delay_alu instid0(VALU_DEP_1) | instskip(NEXT) | instid1(VALU_DEP_4)
	v_add_f32_e32 v23, v36, v23
	v_subrev_co_ci_u32_e64 v9, null, 0, v9, vcc_lo
	v_cmp_neq_f32_e32 vcc_lo, 0x7f800000, v32
	s_delay_alu instid0(VALU_DEP_2) | instskip(NEXT) | instid1(VALU_DEP_1)
	v_sub_nc_u32_e32 v11, 0, v9
	v_ldexp_f32 v19, v35, v11
	s_delay_alu instid0(VALU_DEP_1) | instskip(SKIP_1) | instid1(VALU_DEP_2)
	v_dual_add_f32 v33, 1.0, v19 :: v_dual_add_f32 v39, -1.0, v19
	v_ldexp_f32 v11, v23, v11
	v_add_f32_e32 v34, -1.0, v33
	s_delay_alu instid0(VALU_DEP_1) | instskip(NEXT) | instid1(VALU_DEP_1)
	v_dual_sub_f32 v23, v19, v34 :: v_dual_add_f32 v34, 1.0, v39
	v_add_f32_e32 v23, v11, v23
	s_delay_alu instid0(VALU_DEP_1) | instskip(NEXT) | instid1(VALU_DEP_1)
	v_dual_sub_f32 v19, v19, v34 :: v_dual_add_f32 v40, v33, v23
	v_add_f32_e32 v11, v11, v19
	s_delay_alu instid0(VALU_DEP_2) | instskip(NEXT) | instid1(VALU_DEP_1)
	v_rcp_f32_e32 v19, v40
	v_dual_add_f32 v35, v39, v11 :: v_dual_sub_f32 v33, v40, v33
	s_delay_alu instid0(VALU_DEP_1)
	v_sub_f32_e32 v23, v23, v33
	s_delay_alu instid0(TRANS32_DEP_1) | instid1(VALU_DEP_2)
	v_mul_f32_e32 v41, v35, v19
	s_delay_alu instid0(VALU_DEP_1) | instskip(NEXT) | instid1(VALU_DEP_1)
	v_mul_f32_e32 v36, v40, v41
	v_dual_fma_f32 v38, v41, v40, -v36 :: v_dual_sub_f32 v33, v35, v39
	s_delay_alu instid0(VALU_DEP_1) | instskip(NEXT) | instid1(VALU_DEP_1)
	v_dual_fmac_f32 v38, v41, v23 :: v_dual_sub_f32 v11, v11, v33
	v_add_f32_e32 v34, v36, v38
	s_delay_alu instid0(VALU_DEP_1) | instskip(NEXT) | instid1(VALU_DEP_1)
	v_dual_sub_f32 v37, v35, v34 :: v_dual_mov_b32 v39, v34
	v_pk_add_f32 v[34:35], v[34:35], v[36:37] neg_lo:[0,1] neg_hi:[0,1]
	s_delay_alu instid0(VALU_DEP_1) | instskip(NEXT) | instid1(VALU_DEP_1)
	v_pk_add_f32 v[34:35], v[34:35], v[38:39] neg_lo:[0,1] neg_hi:[0,1]
	v_add_f32_e32 v11, v11, v35
	s_delay_alu instid0(VALU_DEP_1) | instskip(NEXT) | instid1(VALU_DEP_1)
	v_add_f32_e32 v11, v34, v11
	v_add_f32_e32 v35, v37, v11
	s_delay_alu instid0(VALU_DEP_1) | instskip(NEXT) | instid1(VALU_DEP_1)
	v_mul_f32_e32 v33, v19, v35
	v_mul_f32_e32 v38, v40, v33
	s_delay_alu instid0(VALU_DEP_1) | instskip(NEXT) | instid1(VALU_DEP_1)
	v_fma_f32 v36, v33, v40, -v38
	v_fmac_f32_e32 v36, v33, v23
	v_sub_f32_e32 v23, v37, v35
	s_delay_alu instid0(VALU_DEP_2) | instskip(NEXT) | instid1(VALU_DEP_1)
	v_dual_add_f32 v40, v41, v33 :: v_dual_add_f32 v34, v38, v36
	v_dual_mov_b32 v37, v34 :: v_dual_sub_f32 v39, v35, v34
	s_delay_alu instid0(VALU_DEP_2) | instskip(NEXT) | instid1(VALU_DEP_2)
	v_dual_add_f32 v11, v11, v23 :: v_dual_sub_f32 v23, v40, v41
	v_pk_add_f32 v[34:35], v[34:35], v[38:39] neg_lo:[0,1] neg_hi:[0,1]
	s_delay_alu instid0(VALU_DEP_2) | instskip(NEXT) | instid1(VALU_DEP_2)
	v_sub_f32_e32 v23, v33, v23
	v_pk_add_f32 v[34:35], v[34:35], v[36:37] neg_lo:[0,1] neg_hi:[0,1]
	s_delay_alu instid0(VALU_DEP_1) | instskip(NEXT) | instid1(VALU_DEP_1)
	v_add_f32_e32 v11, v11, v35
	v_add_f32_e32 v11, v34, v11
	v_cvt_f32_i32_e32 v34, v9
	s_delay_alu instid0(VALU_DEP_2) | instskip(NEXT) | instid1(VALU_DEP_1)
	v_add_f32_e32 v11, v39, v11
	v_mul_f32_e32 v11, v19, v11
	s_delay_alu instid0(VALU_DEP_1) | instskip(NEXT) | instid1(VALU_DEP_1)
	v_add_f32_e32 v11, v23, v11
	v_add_f32_e32 v19, v40, v11
	s_delay_alu instid0(VALU_DEP_1) | instskip(NEXT) | instid1(VALU_DEP_1)
	v_sub_f32_e32 v9, v19, v40
	v_sub_f32_e32 v9, v11, v9
	v_mul_f32_e32 v23, v19, v19
	v_ldexp_f32 v39, v19, 1
	s_delay_alu instid0(VALU_DEP_3) | instskip(NEXT) | instid1(VALU_DEP_3)
	v_ldexp_f32 v9, v9, 1
	v_fmaak_f32 v33, s7, v23, 0x3ecc95a3
	v_mul_f32_e32 v35, v19, v23
	s_delay_alu instid0(VALU_DEP_2) | instskip(NEXT) | instid1(VALU_DEP_1)
	v_fmaak_f32 v23, v23, v33, 0x3f2aaada
	v_pk_mul_f32 v[36:37], v[34:35], v[22:23]
	s_delay_alu instid0(VALU_DEP_1) | instskip(SKIP_1) | instid1(VALU_DEP_2)
	v_fma_f32 v38, 0x3f317218, v34, -v36
	v_mov_b32_e32 v40, v36
	v_fmac_f32_e32 v38, 0xb102e308, v34
	s_delay_alu instid0(VALU_DEP_1) | instskip(NEXT) | instid1(VALU_DEP_1)
	v_pk_add_f32 v[34:35], v[36:37], v[38:39]
	v_dual_sub_f32 v11, v35, v39 :: v_dual_mov_b32 v39, v34
	s_delay_alu instid0(VALU_DEP_1) | instskip(SKIP_1) | instid1(VALU_DEP_2)
	v_dual_mov_b32 v48, v35 :: v_dual_sub_f32 v11, v37, v11
	v_pk_add_f32 v[36:37], v[34:35], v[36:37] neg_lo:[0,1] neg_hi:[0,1]
	v_add_f32_e32 v41, v9, v11
	s_delay_alu instid0(VALU_DEP_1) | instskip(NEXT) | instid1(VALU_DEP_1)
	v_pk_add_f32 v[42:43], v[34:35], v[40:41]
	v_mov_b32_e32 v37, v43
	s_delay_alu instid0(VALU_DEP_1) | instskip(SKIP_2) | instid1(VALU_DEP_3)
	v_pk_add_f32 v[44:45], v[38:39], v[36:37]
	v_mov_b32_e32 v44, v43
	v_pk_add_f32 v[36:37], v[38:39], v[36:37] neg_lo:[0,1] neg_hi:[0,1]
	v_dual_mov_b32 v40, v45 :: v_dual_mov_b32 v37, v45
	s_delay_alu instid0(VALU_DEP_1) | instskip(SKIP_1) | instid1(VALU_DEP_2)
	v_pk_add_f32 v[46:47], v[40:41], v[34:35] neg_lo:[0,1] neg_hi:[0,1]
	v_dual_mov_b32 v35, v34 :: v_dual_mov_b32 v34, v41
	v_dual_mov_b32 v49, v46 :: v_dual_mov_b32 v9, v46
	s_delay_alu instid0(VALU_DEP_1) | instskip(NEXT) | instid1(VALU_DEP_2)
	v_pk_add_f32 v[46:47], v[44:45], v[48:49] neg_lo:[0,1] neg_hi:[0,1]
	v_pk_add_f32 v[38:39], v[42:43], v[8:9] neg_lo:[0,1] neg_hi:[0,1]
	v_mov_b32_e32 v38, v36
	s_delay_alu instid0(VALU_DEP_3) | instskip(NEXT) | instid1(VALU_DEP_1)
	v_pk_add_f32 v[34:35], v[34:35], v[46:47] neg_lo:[0,1] neg_hi:[0,1]
	v_pk_add_f32 v[38:39], v[38:39], v[34:35]
	s_delay_alu instid0(VALU_DEP_1) | instskip(NEXT) | instid1(VALU_DEP_1)
	v_mov_b32_e32 v42, v39
	v_pk_add_f32 v[42:43], v[38:39], v[42:43]
	s_delay_alu instid0(VALU_DEP_1) | instskip(NEXT) | instid1(VALU_DEP_1)
	v_pk_add_f32 v[40:41], v[40:41], v[42:43]
	v_dual_mov_b32 v35, v42 :: v_dual_mov_b32 v39, v40
	s_delay_alu instid0(VALU_DEP_1) | instskip(NEXT) | instid1(VALU_DEP_1)
	v_pk_add_f32 v[44:45], v[38:39], v[36:37] neg_lo:[0,1] neg_hi:[0,1]
	v_sub_f32_e32 v9, v38, v44
	s_delay_alu instid0(VALU_DEP_2) | instskip(NEXT) | instid1(VALU_DEP_2)
	v_pk_add_f32 v[34:35], v[34:35], v[44:45] neg_lo:[0,1] neg_hi:[0,1]
	v_sub_f32_e32 v9, v36, v9
	s_delay_alu instid0(VALU_DEP_1) | instskip(NEXT) | instid1(VALU_DEP_1)
	v_add_f32_e32 v9, v34, v9
	v_add_f32_e32 v9, v9, v35
	s_delay_alu instid0(VALU_DEP_1) | instskip(NEXT) | instid1(VALU_DEP_1)
	v_add_f32_e32 v9, v40, v9
	v_cndmask_b32_e32 v9, 0x7f800000, v9, vcc_lo
	v_cmp_ngt_f32_e32 vcc_lo, -1.0, v32
	s_delay_alu instid0(VALU_DEP_2) | instskip(SKIP_1) | instid1(VALU_DEP_2)
	v_cndmask_b32_e32 v9, 0x7fc00000, v9, vcc_lo
	v_cmp_neq_f32_e32 vcc_lo, -1.0, v32
	v_cndmask_b32_e32 v9, 0xff800000, v9, vcc_lo
	v_cmp_gt_f32_e64 vcc_lo, 0x33800000, |v32|
	s_delay_alu instid0(VALU_DEP_2)
	v_cndmask_b32_e32 v19, v9, v32, vcc_lo
.LBB62_537:                             ;   in Loop: Header=BB62_418 Depth=1
	s_and_not1_saveexec_b32 s18, s18
	s_cbranch_execz .LBB62_539
; %bb.538:                              ;   in Loop: Header=BB62_418 Depth=1
	v_sub_f32_e64 v9, 1.0, |v12|
	s_delay_alu instid0(VALU_DEP_1) | instskip(NEXT) | instid1(VALU_DEP_1)
	v_mul_f32_e32 v9, v9, v29
	v_mul_f32_e32 v11, 0x4f800000, v9
	v_cmp_gt_f32_e32 vcc_lo, 0xf800000, v9
	s_delay_alu instid0(VALU_DEP_2) | instskip(NEXT) | instid1(VALU_DEP_1)
	v_cndmask_b32_e32 v9, v9, v11, vcc_lo
	v_sqrt_f32_e32 v11, v9
	v_nop
	s_delay_alu instid0(TRANS32_DEP_1) | instskip(NEXT) | instid1(VALU_DEP_1)
	v_dual_add_nc_u32 v19, -1, v11 :: v_dual_add_nc_u32 v23, 1, v11
	v_fma_f32 v32, -v19, v11, v9
	s_delay_alu instid0(VALU_DEP_2) | instskip(NEXT) | instid1(VALU_DEP_2)
	v_fma_f32 v33, -v23, v11, v9
	v_cmp_ge_f32_e64 s0, 0, v32
	s_delay_alu instid0(VALU_DEP_1) | instskip(NEXT) | instid1(VALU_DEP_3)
	v_cndmask_b32_e64 v11, v11, v19, s0
	v_cmp_lt_f32_e64 s0, 0, v33
	s_delay_alu instid0(VALU_DEP_1) | instskip(NEXT) | instid1(VALU_DEP_1)
	v_cndmask_b32_e64 v11, v11, v23, s0
	v_mul_f32_e32 v19, 0x37800000, v11
	s_delay_alu instid0(VALU_DEP_1) | instskip(SKIP_2) | instid1(VALU_DEP_3)
	v_cndmask_b32_e32 v11, v11, v19, vcc_lo
	v_cmp_class_f32_e64 vcc_lo, v9, 0x260
	v_and_b32_e32 v19, 0x7fffffff, v13
	v_cndmask_b32_e32 v9, v11, v9, vcc_lo
	s_delay_alu instid0(VALU_DEP_1) | instskip(SKIP_1) | instid1(VALU_DEP_2)
	v_div_scale_f32 v11, null, v9, v9, v19
	v_div_scale_f32 v19, vcc_lo, v19, v9, v19
	v_rcp_f32_e32 v23, v11
	v_nop
	s_delay_alu instid0(TRANS32_DEP_1) | instskip(NEXT) | instid1(VALU_DEP_1)
	v_fma_f32 v32, -v11, v23, 1.0
	v_fmac_f32_e32 v23, v32, v23
	s_delay_alu instid0(VALU_DEP_1) | instskip(NEXT) | instid1(VALU_DEP_1)
	v_mul_f32_e32 v32, v19, v23
	v_fma_f32 v33, -v11, v32, v19
	s_delay_alu instid0(VALU_DEP_1) | instskip(NEXT) | instid1(VALU_DEP_1)
	v_fmac_f32_e32 v32, v33, v23
	v_fma_f32 v11, -v11, v32, v19
	s_delay_alu instid0(VALU_DEP_1) | instskip(NEXT) | instid1(VALU_DEP_1)
	v_div_fmas_f32 v11, v11, v23, v32
	v_div_fixup_f32 v19, v11, v9, |v13|
.LBB62_539:                             ;   in Loop: Header=BB62_418 Depth=1
	s_or_b32 exec_lo, exec_lo, s18
.LBB62_540:                             ;   in Loop: Header=BB62_418 Depth=1
	s_delay_alu instid0(SALU_CYCLE_1)
	s_or_b32 exec_lo, exec_lo, s17
.LBB62_541:                             ;   in Loop: Header=BB62_418 Depth=1
	s_and_not1_saveexec_b32 s16, s16
	s_cbranch_execz .LBB62_543
; %bb.542:                              ;   in Loop: Header=BB62_418 Depth=1
	v_mul_f32_e64 v9, 0x4f800000, |v13|
	v_cmp_gt_f32_e64 vcc_lo, 0xf800000, |v13|
	s_delay_alu instid0(VALU_DEP_1) | instskip(NEXT) | instid1(VALU_DEP_1)
	v_cndmask_b32_e64 v9, |v13|, v9, vcc_lo
	v_sqrt_f32_e32 v11, v9
	v_nop
	s_delay_alu instid0(TRANS32_DEP_1) | instskip(NEXT) | instid1(VALU_DEP_1)
	v_dual_add_nc_u32 v19, -1, v11 :: v_dual_add_nc_u32 v23, 1, v11
	v_fma_f32 v32, -v19, v11, v9
	s_delay_alu instid0(VALU_DEP_2) | instskip(NEXT) | instid1(VALU_DEP_2)
	v_fma_f32 v33, -v23, v11, v9
	v_cmp_ge_f32_e64 s0, 0, v32
	s_delay_alu instid0(VALU_DEP_1) | instskip(NEXT) | instid1(VALU_DEP_3)
	v_cndmask_b32_e64 v11, v11, v19, s0
	v_cmp_lt_f32_e64 s0, 0, v33
	s_delay_alu instid0(VALU_DEP_1) | instskip(NEXT) | instid1(VALU_DEP_1)
	v_cndmask_b32_e64 v11, v11, v23, s0
	v_mul_f32_e32 v19, 0x37800000, v11
	s_delay_alu instid0(VALU_DEP_1) | instskip(SKIP_1) | instid1(VALU_DEP_2)
	v_cndmask_b32_e32 v11, v11, v19, vcc_lo
	v_cmp_class_f32_e64 vcc_lo, v9, 0x260
	v_cndmask_b32_e32 v19, v11, v9, vcc_lo
.LBB62_543:                             ;   in Loop: Header=BB62_418 Depth=1
	s_or_b32 exec_lo, exec_lo, s16
.LBB62_544:                             ;   in Loop: Header=BB62_418 Depth=1
	s_delay_alu instid0(SALU_CYCLE_1) | instskip(NEXT) | instid1(SALU_CYCLE_1)
	s_or_b32 exec_lo, exec_lo, s1
	s_mov_b32 s16, exec_lo
                                        ; implicit-def: $sgpr0
                                        ; implicit-def: $vgpr11
                                        ; implicit-def: $vgpr23
	v_cmpx_ngt_f32_e64 0x21000000, |v12|
	s_xor_b32 s16, exec_lo, s16
	s_cbranch_execz .LBB62_568
; %bb.545:                              ;   in Loop: Header=BB62_418 Depth=1
	v_and_b32_e32 v11, 0x7fffffff, v12
	s_mov_b32 s0, 0
	s_mov_b32 s17, exec_lo
	s_delay_alu instid0(VALU_DEP_1) | instskip(NEXT) | instid1(VALU_DEP_1)
	v_div_scale_f32 v9, null, v8, v8, v11
	v_rcp_f32_e32 v23, v9
	v_nop
	s_delay_alu instid0(TRANS32_DEP_1) | instskip(NEXT) | instid1(VALU_DEP_1)
	v_fma_f32 v32, -v9, v23, 1.0
	v_fmac_f32_e32 v23, v32, v23
	v_div_scale_f32 v32, vcc_lo, v11, v8, v11
	s_delay_alu instid0(VALU_DEP_1) | instskip(NEXT) | instid1(VALU_DEP_1)
	v_mul_f32_e32 v33, v32, v23
	v_fma_f32 v34, -v9, v33, v32
	s_delay_alu instid0(VALU_DEP_1) | instskip(NEXT) | instid1(VALU_DEP_1)
	v_fmac_f32_e32 v33, v34, v23
	v_fma_f32 v9, -v9, v33, v32
	s_delay_alu instid0(VALU_DEP_1) | instskip(NEXT) | instid1(VALU_DEP_1)
	v_div_fmas_f32 v9, v9, v23, v33
	v_div_fixup_f32 v23, v9, v8, |v12|
	s_delay_alu instid0(VALU_DEP_1)
	v_cmpx_lt_f32_e32 0x3f244674, v23
	s_cbranch_execz .LBB62_567
; %bb.546:                              ;   in Loop: Header=BB62_418 Depth=1
	v_cmp_neq_f32_e64 s0, |v12|, 1.0
	v_cmp_ngt_f32_e64 s1, 0x30800000, |v13|
	s_or_b32 s0, s0, s1
	s_delay_alu instid0(SALU_CYCLE_1) | instskip(NEXT) | instid1(SALU_CYCLE_1)
	s_and_saveexec_b32 s1, s0
	s_xor_b32 s1, exec_lo, s1
	s_cbranch_execz .LBB62_564
; %bb.547:                              ;   in Loop: Header=BB62_418 Depth=1
	v_mul_f32_e64 v9, 0x34000000, |v28|
	s_mov_b32 s18, exec_lo
	s_delay_alu instid0(VALU_DEP_1)
	v_cmpx_ge_f32_e64 |v13|, v9
	s_xor_b32 s18, exec_lo, s18
	s_cbranch_execz .LBB62_557
; %bb.548:                              ;   in Loop: Header=BB62_418 Depth=1
	v_mov_b32_e32 v9, v30
	s_mov_b32 s0, exec_lo
	v_cmpx_neq_f32_e32 0, v29
	s_cbranch_execz .LBB62_550
; %bb.549:                              ;   in Loop: Header=BB62_418 Depth=1
	v_mul_f32_e32 v9, v13, v13
	v_add_f32_e32 v29, v29, v31
	s_delay_alu instid0(VALU_DEP_1) | instskip(NEXT) | instid1(VALU_DEP_1)
	v_div_scale_f32 v31, null, v29, v29, v9
	v_rcp_f32_e32 v32, v31
	v_nop
	s_delay_alu instid0(TRANS32_DEP_1) | instskip(NEXT) | instid1(VALU_DEP_1)
	v_fma_f32 v33, -v31, v32, 1.0
	v_fmac_f32_e32 v32, v33, v32
	v_div_scale_f32 v33, vcc_lo, v9, v29, v9
	s_delay_alu instid0(VALU_DEP_1) | instskip(NEXT) | instid1(VALU_DEP_1)
	v_mul_f32_e32 v34, v33, v32
	v_fma_f32 v35, -v31, v34, v33
	s_delay_alu instid0(VALU_DEP_1) | instskip(NEXT) | instid1(VALU_DEP_1)
	v_fmac_f32_e32 v34, v35, v32
	v_fma_f32 v31, -v31, v34, v33
	s_delay_alu instid0(VALU_DEP_1) | instskip(NEXT) | instid1(VALU_DEP_1)
	v_div_fmas_f32 v31, v31, v32, v34
	v_div_fixup_f32 v9, v31, v29, v9
.LBB62_550:                             ;   in Loop: Header=BB62_418 Depth=1
	s_or_b32 exec_lo, exec_lo, s0
	s_delay_alu instid0(SALU_CYCLE_1)
	s_mov_b32 s0, exec_lo
	v_cmpx_ngt_f32_e32 0, v28
	s_xor_b32 s0, exec_lo, s0
	s_cbranch_execz .LBB62_554
; %bb.551:                              ;   in Loop: Header=BB62_418 Depth=1
	s_mov_b32 s19, exec_lo
	v_cmpx_neq_f32_e32 0, v28
	s_cbranch_execz .LBB62_553
; %bb.552:                              ;   in Loop: Header=BB62_418 Depth=1
	v_dual_mul_f32 v29, v13, v13 :: v_dual_add_f32 v10, v28, v10
	s_delay_alu instid0(VALU_DEP_1) | instskip(NEXT) | instid1(VALU_DEP_1)
	v_div_scale_f32 v28, null, v10, v10, v29
	v_rcp_f32_e32 v30, v28
	v_nop
	s_delay_alu instid0(TRANS32_DEP_1) | instskip(NEXT) | instid1(VALU_DEP_1)
	v_fma_f32 v31, -v28, v30, 1.0
	v_fmac_f32_e32 v30, v31, v30
	v_div_scale_f32 v31, vcc_lo, v29, v10, v29
	s_delay_alu instid0(VALU_DEP_1) | instskip(NEXT) | instid1(VALU_DEP_1)
	v_mul_f32_e32 v32, v31, v30
	v_fma_f32 v33, -v28, v32, v31
	s_delay_alu instid0(VALU_DEP_1) | instskip(NEXT) | instid1(VALU_DEP_1)
	v_fmac_f32_e32 v32, v33, v30
	v_fma_f32 v28, -v28, v32, v31
	s_delay_alu instid0(VALU_DEP_1) | instskip(NEXT) | instid1(VALU_DEP_1)
	v_div_fmas_f32 v28, v28, v30, v32
	v_div_fixup_f32 v30, v28, v10, v29
.LBB62_553:                             ;   in Loop: Header=BB62_418 Depth=1
	s_or_b32 exec_lo, exec_lo, s19
                                        ; implicit-def: $vgpr10
                                        ; implicit-def: $vgpr28
.LBB62_554:                             ;   in Loop: Header=BB62_418 Depth=1
	s_and_not1_saveexec_b32 s0, s0
; %bb.555:                              ;   in Loop: Header=BB62_418 Depth=1
	v_sub_f32_e32 v30, v10, v28
; %bb.556:                              ;   in Loop: Header=BB62_418 Depth=1
	s_or_b32 exec_lo, exec_lo, s0
	s_delay_alu instid0(VALU_DEP_1) | instskip(SKIP_1) | instid1(VALU_DEP_1)
	v_dual_mul_f32 v29, 0.5, v9 :: v_dual_mul_f32 v9, 0.5, v30
	v_and_b32_e32 v28, 0x7fffffff, v12
	v_pk_add_f32 v[8:9], v[28:29], v[8:9]
	s_delay_alu instid0(VALU_DEP_1) | instskip(NEXT) | instid1(VALU_DEP_1)
	v_mul_f32_e32 v8, v8, v9
	v_mul_f32_e32 v9, 0x4f800000, v8
	v_cmp_gt_f32_e32 vcc_lo, 0xf800000, v8
	s_delay_alu instid0(VALU_DEP_2) | instskip(NEXT) | instid1(VALU_DEP_1)
	v_cndmask_b32_e32 v8, v8, v9, vcc_lo
	v_sqrt_f32_e32 v9, v8
	v_nop
	s_delay_alu instid0(TRANS32_DEP_1) | instskip(NEXT) | instid1(VALU_DEP_1)
	v_dual_add_nc_u32 v10, -1, v9 :: v_dual_add_nc_u32 v28, 1, v9
	v_dual_fma_f32 v29, -v10, v9, v8 :: v_dual_fma_f32 v30, -v28, v9, v8
	s_delay_alu instid0(VALU_DEP_1) | instskip(NEXT) | instid1(VALU_DEP_1)
	v_cmp_ge_f32_e64 s0, 0, v29
                                        ; implicit-def: $vgpr29
	v_cndmask_b32_e64 v9, v9, v10, s0
	s_delay_alu instid0(VALU_DEP_3) | instskip(NEXT) | instid1(VALU_DEP_1)
	v_cmp_lt_f32_e64 s0, 0, v30
	v_cndmask_b32_e64 v9, v9, v28, s0
                                        ; implicit-def: $vgpr28
	s_delay_alu instid0(VALU_DEP_1) | instskip(NEXT) | instid1(VALU_DEP_1)
	v_mul_f32_e32 v10, 0x37800000, v9
	v_cndmask_b32_e32 v9, v9, v10, vcc_lo
	v_cmp_class_f32_e64 vcc_lo, v8, 0x260
	s_delay_alu instid0(VALU_DEP_2)
	v_cndmask_b32_e32 v10, v9, v8, vcc_lo
.LBB62_557:                             ;   in Loop: Header=BB62_418 Depth=1
	s_and_not1_saveexec_b32 s18, s18
	s_cbranch_execz .LBB62_563
; %bb.558:                              ;   in Loop: Header=BB62_418 Depth=1
	s_mov_b32 s19, exec_lo
	v_cmpx_ngt_f32_e64 |v12|, 1.0
	s_xor_b32 s19, exec_lo, s19
	s_cbranch_execz .LBB62_560
; %bb.559:                              ;   in Loop: Header=BB62_418 Depth=1
	v_sub_f32_e64 v8, 1.0, |v12|
	s_delay_alu instid0(VALU_DEP_1) | instskip(NEXT) | instid1(VALU_DEP_1)
	v_mul_f32_e32 v8, v8, v29
	v_mul_f32_e32 v9, 0x4f800000, v8
	v_cmp_gt_f32_e32 vcc_lo, 0xf800000, v8
	s_delay_alu instid0(VALU_DEP_2) | instskip(NEXT) | instid1(VALU_DEP_1)
	v_cndmask_b32_e32 v8, v8, v9, vcc_lo
	v_sqrt_f32_e32 v9, v8
	v_nop
	s_delay_alu instid0(TRANS32_DEP_1) | instskip(NEXT) | instid1(VALU_DEP_1)
	v_dual_add_nc_u32 v10, -1, v9 :: v_dual_add_nc_u32 v28, 1, v9
	v_dual_fma_f32 v29, -v10, v9, v8 :: v_dual_fma_f32 v30, -v28, v9, v8
	s_delay_alu instid0(VALU_DEP_1) | instskip(NEXT) | instid1(VALU_DEP_1)
	v_cmp_ge_f32_e64 s0, 0, v29
                                        ; implicit-def: $vgpr29
	v_cndmask_b32_e64 v9, v9, v10, s0
	s_delay_alu instid0(VALU_DEP_3) | instskip(NEXT) | instid1(VALU_DEP_1)
	v_cmp_lt_f32_e64 s0, 0, v30
	v_cndmask_b32_e64 v9, v9, v28, s0
                                        ; implicit-def: $vgpr28
	s_delay_alu instid0(VALU_DEP_1) | instskip(NEXT) | instid1(VALU_DEP_1)
	v_mul_f32_e32 v10, 0x37800000, v9
	v_cndmask_b32_e32 v9, v9, v10, vcc_lo
	v_cmp_class_f32_e64 vcc_lo, v8, 0x260
	s_delay_alu instid0(VALU_DEP_2)
	v_cndmask_b32_e32 v10, v9, v8, vcc_lo
.LBB62_560:                             ;   in Loop: Header=BB62_418 Depth=1
	s_and_not1_saveexec_b32 s19, s19
	s_cbranch_execz .LBB62_562
; %bb.561:                              ;   in Loop: Header=BB62_418 Depth=1
	v_mul_f32_e32 v8, v29, v28
	s_delay_alu instid0(VALU_DEP_1) | instskip(SKIP_1) | instid1(VALU_DEP_2)
	v_mul_f32_e32 v9, 0x4f800000, v8
	v_cmp_gt_f32_e32 vcc_lo, 0xf800000, v8
	v_cndmask_b32_e32 v8, v8, v9, vcc_lo
	s_delay_alu instid0(VALU_DEP_1) | instskip(SKIP_1) | instid1(TRANS32_DEP_1)
	v_sqrt_f32_e32 v9, v8
	v_nop
	v_dual_add_nc_u32 v10, -1, v9 :: v_dual_add_nc_u32 v11, 1, v9
	s_delay_alu instid0(VALU_DEP_1) | instskip(NEXT) | instid1(VALU_DEP_1)
	v_dual_fma_f32 v28, -v10, v9, v8 :: v_dual_fma_f32 v29, -v11, v9, v8
	v_cmp_ge_f32_e64 s0, 0, v28
	s_delay_alu instid0(VALU_DEP_1) | instskip(NEXT) | instid1(VALU_DEP_3)
	v_cndmask_b32_e64 v9, v9, v10, s0
	v_cmp_lt_f32_e64 s0, 0, v29
	s_delay_alu instid0(VALU_DEP_1) | instskip(SKIP_1) | instid1(VALU_DEP_2)
	v_cndmask_b32_e64 v9, v9, v11, s0
	v_mul_f32_e64 v11, 0x57800000, |v13|
	v_mul_f32_e32 v10, 0x37800000, v9
	s_delay_alu instid0(VALU_DEP_1) | instskip(SKIP_1) | instid1(VALU_DEP_4)
	v_cndmask_b32_e32 v9, v9, v10, vcc_lo
	v_cmp_class_f32_e64 vcc_lo, v8, 0x260
	v_mul_f32_e64 v10, |v12|, v11
	s_delay_alu instid0(VALU_DEP_3) | instskip(NEXT) | instid1(VALU_DEP_1)
	v_cndmask_b32_e32 v8, v9, v8, vcc_lo
	v_div_scale_f32 v9, null, v8, v8, v10
	v_div_scale_f32 v29, vcc_lo, v10, v8, v10
	s_delay_alu instid0(VALU_DEP_2) | instskip(SKIP_1) | instid1(TRANS32_DEP_1)
	v_rcp_f32_e32 v11, v9
	v_nop
	v_fma_f32 v28, -v9, v11, 1.0
	s_delay_alu instid0(VALU_DEP_1) | instskip(NEXT) | instid1(VALU_DEP_1)
	v_fmac_f32_e32 v11, v28, v11
	v_mul_f32_e32 v28, v29, v11
	s_delay_alu instid0(VALU_DEP_1) | instskip(NEXT) | instid1(VALU_DEP_1)
	v_fma_f32 v30, -v9, v28, v29
	v_fmac_f32_e32 v28, v30, v11
	s_delay_alu instid0(VALU_DEP_1) | instskip(NEXT) | instid1(VALU_DEP_1)
	v_fma_f32 v9, -v9, v28, v29
	v_div_fmas_f32 v9, v9, v11, v28
	v_mul_f32_e64 v11, 0x57800000, |v12|
	s_delay_alu instid0(VALU_DEP_2)
	v_div_fixup_f32 v10, v9, v8, v10
.LBB62_562:                             ;   in Loop: Header=BB62_418 Depth=1
	s_or_b32 exec_lo, exec_lo, s19
.LBB62_563:                             ;   in Loop: Header=BB62_418 Depth=1
	s_delay_alu instid0(SALU_CYCLE_1)
	s_or_b32 exec_lo, exec_lo, s18
                                        ; implicit-def: $vgpr8
.LBB62_564:                             ;   in Loop: Header=BB62_418 Depth=1
	s_and_not1_saveexec_b32 s18, s1
	s_cbranch_execz .LBB62_566
; %bb.565:                              ;   in Loop: Header=BB62_418 Depth=1
	v_add_f32_e32 v8, 1.0, v8
	v_mul_f32_e64 v9, 0x4f800000, |v13|
	v_cmp_gt_f32_e64 vcc_lo, 0xf800000, |v13|
	s_delay_alu instid0(VALU_DEP_3) | instskip(NEXT) | instid1(VALU_DEP_2)
	v_mul_f32_e32 v8, 0.5, v8
	v_cndmask_b32_e64 v9, |v13|, v9, vcc_lo
	s_delay_alu instid0(VALU_DEP_2) | instskip(SKIP_1) | instid1(VALU_DEP_1)
	v_mul_f32_e32 v10, 0x4f800000, v8
	v_cmp_gt_f32_e64 s0, 0xf800000, v8
	v_cndmask_b32_e64 v8, v8, v10, s0
	s_delay_alu instid0(VALU_DEP_4) | instskip(SKIP_1) | instid1(TRANS32_DEP_1)
	v_sqrt_f32_e32 v10, v9
	v_nop
	v_add_nc_u32_e32 v30, 1, v10
	s_delay_alu instid0(VALU_DEP_3) | instskip(NEXT) | instid1(VALU_DEP_1)
	v_sqrt_f32_e32 v11, v8
	v_dual_add_nc_u32 v28, -1, v10 :: v_dual_fma_f32 v34, -v30, v10, v9
	s_delay_alu instid0(TRANS32_DEP_1) | instid1(VALU_DEP_1)
	v_dual_fma_f32 v31, -v28, v10, v9 :: v_dual_add_nc_u32 v32, 1, v11
	v_add_nc_u32_e32 v29, -1, v11
	s_delay_alu instid0(VALU_DEP_2) | instskip(NEXT) | instid1(VALU_DEP_1)
	v_cmp_ge_f32_e64 s1, 0, v31
	v_dual_fma_f32 v33, -v29, v11, v8 :: v_dual_cndmask_b32 v10, v10, v28, s1
	s_delay_alu instid0(VALU_DEP_4) | instskip(NEXT) | instid1(VALU_DEP_2)
	v_fma_f32 v28, -v32, v11, v8
	v_cmp_ge_f32_e64 s1, 0, v33
	s_delay_alu instid0(VALU_DEP_1) | instskip(SKIP_1) | instid1(VALU_DEP_1)
	v_cndmask_b32_e64 v11, v11, v29, s1
	v_cmp_lt_f32_e64 s1, 0, v34
	v_cndmask_b32_e64 v10, v10, v30, s1
	v_cmp_lt_f32_e64 s1, 0, v28
	s_delay_alu instid0(VALU_DEP_2) | instskip(NEXT) | instid1(VALU_DEP_1)
	v_mul_f32_e32 v28, 0x37800000, v10
	v_cndmask_b32_e32 v10, v10, v28, vcc_lo
	v_cmp_class_f32_e64 vcc_lo, v9, 0x260
	s_delay_alu instid0(VALU_DEP_1) | instskip(NEXT) | instid1(VALU_DEP_1)
	v_dual_cndmask_b32 v11, v11, v32, s1 :: v_dual_cndmask_b32 v9, v10, v9, vcc_lo
	v_mul_f32_e32 v29, 0x37800000, v11
	v_cmp_class_f32_e64 vcc_lo, v8, 0x260
	s_delay_alu instid0(VALU_DEP_2) | instskip(NEXT) | instid1(VALU_DEP_1)
	v_cndmask_b32_e64 v11, v11, v29, s0
	v_dual_cndmask_b32 v8, v11, v8 :: v_dual_mov_b32 v11, 1.0
	s_delay_alu instid0(VALU_DEP_1)
	v_mul_f32_e32 v10, v9, v8
.LBB62_566:                             ;   in Loop: Header=BB62_418 Depth=1
	s_or_b32 exec_lo, exec_lo, s18
	s_delay_alu instid0(SALU_CYCLE_1)
	s_mov_b32 s0, exec_lo
.LBB62_567:                             ;   in Loop: Header=BB62_418 Depth=1
	s_or_b32 exec_lo, exec_lo, s17
                                        ; implicit-def: $vgpr8
.LBB62_568:                             ;   in Loop: Header=BB62_418 Depth=1
	s_and_not1_saveexec_b32 s1, s16
; %bb.569:                              ;   in Loop: Header=BB62_418 Depth=1
	v_and_b32_e32 v9, 0x7fffffff, v12
	s_or_b32 s0, s0, exec_lo
                                        ; implicit-def: $vgpr23
	s_delay_alu instid0(VALU_DEP_1)
	v_pk_mul_f32 v[10:11], v[8:9], s[6:7] op_sel_hi:[1,0]
; %bb.570:                              ;   in Loop: Header=BB62_418 Depth=1
	s_or_b32 exec_lo, exec_lo, s1
	s_xor_b32 s0, s0, -1
                                        ; implicit-def: $vgpr8
	s_delay_alu instid0(SALU_CYCLE_1) | instskip(NEXT) | instid1(SALU_CYCLE_1)
	s_and_saveexec_b32 s1, s0
	s_xor_b32 s0, exec_lo, s1
	s_cbranch_execz .LBB62_572
; %bb.571:                              ;   in Loop: Header=BB62_418 Depth=1
	v_fma_f32 v8, |v23|, -0.5, 0.5
	v_mul_f32_e32 v9, v23, v23
	v_cmp_ge_f32_e64 vcc_lo, |v23|, 0.5
	s_delay_alu instid0(VALU_DEP_2) | instskip(SKIP_1) | instid1(VALU_DEP_2)
	v_cndmask_b32_e32 v8, v9, v8, vcc_lo
	v_cmp_lt_f32_e64 vcc_lo, |v23|, 0.5
	v_fmaak_f32 v9, s10, v8, 0x3c5fc5da
	v_sqrt_f32_e32 v10, v8
	s_delay_alu instid0(VALU_DEP_1) | instskip(NEXT) | instid1(VALU_DEP_1)
	v_fmaak_f32 v9, v8, v9, 0x3d034c3c
	v_fmaak_f32 v9, v8, v9, 0x3d3641b1
	s_delay_alu instid0(VALU_DEP_1) | instskip(NEXT) | instid1(VALU_DEP_1)
	v_fmaak_f32 v9, v8, v9, 0x3d999bc8
	v_fmaak_f32 v9, v8, v9, 0x3e2aaaac
	s_delay_alu instid0(VALU_DEP_1)
	v_mul_f32_e32 v8, v8, v9
	s_delay_alu instid0(TRANS32_DEP_1) | instid1(VALU_DEP_1)
	v_fmac_f32_e32 v10, v10, v8
	s_delay_alu instid0(VALU_DEP_1) | instskip(NEXT) | instid1(VALU_DEP_1)
	v_add_f32_e32 v9, v10, v10
                                        ; implicit-def: $vgpr11
	v_sub_f32_e32 v9, 0x3fc90fdb, v9
	v_fma_f32 v8, |v23|, v8, |v23|
	s_delay_alu instid0(VALU_DEP_1) | instskip(NEXT) | instid1(VALU_DEP_1)
	v_cndmask_b32_e32 v8, v9, v8, vcc_lo
	v_bfi_b32 v8, 0x7fffffff, v8, v23
.LBB62_572:                             ;   in Loop: Header=BB62_418 Depth=1
	s_and_not1_saveexec_b32 s1, s0
	s_cbranch_execz .LBB62_574
; %bb.573:                              ;   in Loop: Header=BB62_418 Depth=1
	v_max_num_f32_e32 v8, v11, v11
	v_max_num_f32_e64 v9, |v10|, |v10|
	v_cmp_gt_f32_e64 vcc_lo, v11, |v10|
	v_cmp_gt_i32_e64 s0, 0, v10
	v_cmp_class_f32_e64 s16, v10, 0x204
	s_delay_alu instid0(VALU_DEP_4) | instskip(NEXT) | instid1(VALU_DEP_1)
	v_dual_max_num_f32 v23, v9, v8 :: v_dual_min_num_f32 v8, v9, v8
	v_frexp_mant_f32_e32 v28, v23
	v_frexp_exp_i32_f32_e32 v9, v23
	s_delay_alu instid0(VALU_DEP_2) | instskip(SKIP_3) | instid1(VALU_DEP_2)
	v_rcp_f32_e32 v23, v28
	v_nop
	v_frexp_exp_i32_f32_e32 v28, v8
	v_frexp_mant_f32_e32 v8, v8
	v_sub_nc_u32_e32 v9, v28, v9
	s_delay_alu instid0(TRANS32_DEP_1) | instid1(VALU_DEP_2)
	v_mul_f32_e32 v8, v8, v23
	s_delay_alu instid0(VALU_DEP_1) | instskip(NEXT) | instid1(VALU_DEP_1)
	v_ldexp_f32 v8, v8, v9
	v_mul_f32_e32 v9, v8, v8
	s_delay_alu instid0(VALU_DEP_1) | instskip(NEXT) | instid1(VALU_DEP_1)
	v_fmaak_f32 v23, s11, v9, 0xbc7a590c
	v_fmaak_f32 v23, v9, v23, 0x3d29fb3f
	s_delay_alu instid0(VALU_DEP_1) | instskip(NEXT) | instid1(VALU_DEP_1)
	v_fmaak_f32 v23, v9, v23, 0xbd97d4d7
	v_fmaak_f32 v23, v9, v23, 0x3dd931b2
	;; [unrolled: 3-line block ×3, first 2 shown]
	s_delay_alu instid0(VALU_DEP_1) | instskip(NEXT) | instid1(VALU_DEP_1)
	v_fmaak_f32 v23, v9, v23, 0xbeaaaa62
	v_mul_f32_e32 v9, v9, v23
	s_delay_alu instid0(VALU_DEP_1) | instskip(NEXT) | instid1(VALU_DEP_1)
	v_fmac_f32_e32 v8, v8, v9
	v_sub_f32_e32 v9, 0x3fc90fdb, v8
	s_delay_alu instid0(VALU_DEP_1) | instskip(SKIP_1) | instid1(VALU_DEP_2)
	v_cndmask_b32_e32 v8, v8, v9, vcc_lo
	v_cmp_gt_f32_e32 vcc_lo, 0, v10
	v_sub_f32_e32 v9, 0x40490fdb, v8
	v_cndmask_b32_e32 v23, 0x3f490fdb, v27, vcc_lo
	s_delay_alu instid0(VALU_DEP_2) | instskip(SKIP_3) | instid1(VALU_DEP_2)
	v_cndmask_b32_e32 v8, v8, v9, vcc_lo
	v_cndmask_b32_e64 v9, 0, 0x40490fdb, s0
	v_cmp_eq_f32_e64 s0, 0, v11
	v_cmp_eq_f32_e32 vcc_lo, 0x7f800000, v11
	v_cndmask_b32_e64 v8, |v8|, v9, s0
	s_and_b32 vcc_lo, vcc_lo, s16
	s_delay_alu instid0(VALU_DEP_1) | instskip(SKIP_1) | instid1(VALU_DEP_2)
	v_cndmask_b32_e32 v8, v8, v23, vcc_lo
	v_cmp_o_f32_e32 vcc_lo, v10, v10
	v_cndmask_b32_e32 v8, 0x7fc00000, v8, vcc_lo
.LBB62_574:                             ;   in Loop: Header=BB62_418 Depth=1
	s_or_b32 exec_lo, exec_lo, s1
	s_delay_alu instid0(VALU_DEP_1)
	v_bfi_b32 v12, 0x7fffffff, v8, v12
	v_bfi_b32 v13, 0x7fffffff, v19, v13
.LBB62_575:                             ;   in Loop: Header=BB62_418 Depth=1
	s_or_b32 exec_lo, exec_lo, s15
.LBB62_576:                             ;   in Loop: Header=BB62_418 Depth=1
	s_delay_alu instid0(SALU_CYCLE_1) | instskip(SKIP_1) | instid1(VALU_DEP_1)
	s_or_b32 exec_lo, exec_lo, s14
	s_wait_dscnt 0x0
	v_dual_mov_b32 v9, v13 :: v_dual_mov_b32 v8, v12
                                        ; implicit-def: $vgpr10_vgpr11_vgpr12_vgpr13
                                        ; implicit-def: $vgpr10
                                        ; implicit-def: $vgpr11
                                        ; implicit-def: $vgpr19
.LBB62_577:                             ;   in Loop: Header=BB62_418 Depth=1
	s_and_not1_saveexec_b32 s13, s13
	s_cbranch_execz .LBB62_599
; %bb.578:                              ;   in Loop: Header=BB62_418 Depth=1
                                        ; implicit-def: $sgpr14
                                        ; implicit-def: $vgpr8
                                        ; implicit-def: $vgpr9
	s_mov_b32 s0, exec_lo
	v_cmpx_lt_i32_e32 -1, v13
	s_xor_b32 s15, exec_lo, s0
	s_cbranch_execz .LBB62_588
; %bb.579:                              ;   in Loop: Header=BB62_418 Depth=1
	v_cmp_lt_f32_e64 s0, |v13|, |v12|
                                        ; implicit-def: $vgpr8
                                        ; implicit-def: $vgpr9
	s_mov_b32 s1, exec_lo
	v_cndmask_b32_e64 v23, |v13|, |v12|, s0
	s_delay_alu instid0(VALU_DEP_1)
	v_cmpx_nlt_f32_e32 0x7effffff, v23
	s_xor_b32 s14, exec_lo, s1
	s_cbranch_execz .LBB62_585
; %bb.580:                              ;   in Loop: Header=BB62_418 Depth=1
	v_cndmask_b32_e64 v28, |v12|, |v13|, s0
	v_cmp_nlt_f32_e32 vcc_lo, 0x5e000000, v23
                                        ; implicit-def: $vgpr8
                                        ; implicit-def: $vgpr9
	s_delay_alu instid0(VALU_DEP_2) | instskip(SKIP_1) | instid1(SALU_CYCLE_1)
	v_cmp_ngt_f32_e64 s1, 0x20000000, v28
	s_and_b32 s1, vcc_lo, s1
	s_and_saveexec_b32 s16, s1
	s_delay_alu instid0(SALU_CYCLE_1)
	s_xor_b32 s16, exec_lo, s16
	s_cbranch_execz .LBB62_582
; %bb.581:                              ;   in Loop: Header=BB62_418 Depth=1
	v_frexp_mant_f32_e32 v8, v19
	v_min_num_f32_e32 v9, v11, v10
	v_frexp_exp_i32_f32_e32 v10, v19
	v_mul_f32_e32 v19, v28, v28
	s_delay_alu instid0(VALU_DEP_4) | instskip(NEXT) | instid1(VALU_DEP_3)
	v_rcp_f32_e32 v8, v8
	v_frexp_exp_i32_f32_e32 v11, v9
	v_frexp_mant_f32_e32 v9, v9
	s_delay_alu instid0(TRANS32_DEP_1) | instid1(VALU_DEP_1)
	v_dual_sub_nc_u32 v10, v11, v10 :: v_dual_mul_f32 v8, v9, v8
	s_delay_alu instid0(VALU_DEP_1) | instskip(NEXT) | instid1(VALU_DEP_1)
	v_ldexp_f32 v9, v8, v10
	v_dual_fmac_f32 v19, v23, v23 :: v_dual_mul_f32 v10, v9, v9
	s_delay_alu instid0(VALU_DEP_1) | instskip(SKIP_1) | instid1(VALU_DEP_1)
	v_cmp_gt_f32_e32 vcc_lo, 0x800000, v19
	v_cndmask_b32_e64 v8, 0, 32, vcc_lo
	v_ldexp_f32 v8, v19, v8
	s_delay_alu instid0(VALU_DEP_1) | instskip(SKIP_1) | instid1(TRANS32_DEP_1)
	v_log_f32_e32 v8, v8
	v_nop
	v_mul_f32_e32 v19, 0x3f317217, v8
	v_cmp_gt_f32_e64 s1, 0x7f800000, |v8|
	s_delay_alu instid0(VALU_DEP_2) | instskip(NEXT) | instid1(VALU_DEP_1)
	v_fma_f32 v19, 0x3f317217, v8, -v19
	v_fmac_f32_e32 v19, 0x3377d1cf, v8
	s_delay_alu instid0(VALU_DEP_1) | instskip(NEXT) | instid1(VALU_DEP_1)
	v_fmac_f32_e32 v19, 0x3f317217, v8
	v_cndmask_b32_e64 v8, v8, v19, s1
	v_cndmask_b32_e64 v19, 0, 0x41b17218, vcc_lo
	s_delay_alu instid0(VALU_DEP_1) | instskip(NEXT) | instid1(VALU_DEP_1)
	v_dual_fmaak_f32 v11, s11, v10, 0xbc7a590c :: v_dual_sub_f32 v8, v8, v19
	v_fmaak_f32 v11, v10, v11, 0x3d29fb3f
                                        ; implicit-def: $vgpr19
	s_delay_alu instid0(VALU_DEP_1) | instskip(NEXT) | instid1(VALU_DEP_1)
	v_dual_mul_f32 v8, 0.5, v8 :: v_dual_fmaak_f32 v11, v10, v11, 0xbd97d4d7
	v_fmaak_f32 v11, v10, v11, 0x3dd931b2
	s_delay_alu instid0(VALU_DEP_1) | instskip(NEXT) | instid1(VALU_DEP_1)
	v_fmaak_f32 v11, v10, v11, 0xbe1160e6
	v_fmaak_f32 v11, v10, v11, 0x3e4cb8bf
	s_delay_alu instid0(VALU_DEP_1) | instskip(NEXT) | instid1(VALU_DEP_1)
	v_fmaak_f32 v11, v10, v11, 0xbeaaaa62
	v_mul_f32_e32 v10, v10, v11
                                        ; implicit-def: $vgpr11
	s_delay_alu instid0(VALU_DEP_1)
	v_fmac_f32_e32 v9, v9, v10
                                        ; implicit-def: $vgpr10
.LBB62_582:                             ;   in Loop: Header=BB62_418 Depth=1
	s_and_not1_saveexec_b32 s1, s16
	s_cbranch_execz .LBB62_584
; %bb.583:                              ;   in Loop: Header=BB62_418 Depth=1
	v_cvt_f64_f32_e32 v[8:9], v19
	v_frexp_mant_f32_e32 v28, v19
	v_cmp_neq_f32_e32 vcc_lo, 0x7f800000, v19
	s_delay_alu instid0(VALU_DEP_3) | instskip(NEXT) | instid1(VALU_DEP_1)
	v_frexp_exp_i32_f64_e32 v8, v[8:9]
	v_sub_nc_u32_e32 v9, 0, v8
	s_delay_alu instid0(VALU_DEP_1) | instskip(NEXT) | instid1(VALU_DEP_1)
	v_ldexp_f32 v23, |v12|, v9
	v_mul_f32_e32 v23, v23, v23
	v_ldexp_f32 v9, |v13|, v9
	v_min_num_f32_e32 v10, v11, v10
	v_rcp_f32_e32 v11, v28
	s_delay_alu instid0(VALU_DEP_2) | instskip(SKIP_1) | instid1(VALU_DEP_3)
	v_fmac_f32_e32 v23, v9, v9
	v_frexp_exp_i32_f32_e32 v9, v19
	v_frexp_exp_i32_f32_e32 v28, v10
	v_frexp_mant_f32_e32 v10, v10
	s_delay_alu instid0(VALU_DEP_4)
	v_sqrt_f32_e32 v23, v23
	s_delay_alu instid0(TRANS32_DEP_2) | instid1(VALU_DEP_1)
	v_dual_mul_f32 v10, v10, v11 :: v_dual_sub_nc_u32 v9, v28, v9
	s_delay_alu instid0(TRANS32_DEP_1) | instskip(NEXT) | instid1(VALU_DEP_2)
	v_ldexp_f32 v8, v23, v8
	v_ldexp_f32 v9, v10, v9
	s_delay_alu instid0(VALU_DEP_2) | instskip(NEXT) | instid1(VALU_DEP_1)
	v_cndmask_b32_e32 v8, 0x7f800000, v8, vcc_lo
	v_cmp_gt_f32_e32 vcc_lo, 0x800000, v8
	v_cndmask_b32_e64 v11, 0, 32, vcc_lo
	v_cndmask_b32_e64 v23, 0, 0x41b17218, vcc_lo
	s_delay_alu instid0(VALU_DEP_2) | instskip(NEXT) | instid1(VALU_DEP_1)
	v_ldexp_f32 v8, v8, v11
	v_log_f32_e32 v8, v8
	v_mul_f32_e32 v10, v9, v9
	s_delay_alu instid0(VALU_DEP_1) | instskip(NEXT) | instid1(TRANS32_DEP_1)
	v_fmaak_f32 v19, s11, v10, 0xbc7a590c
	v_cmp_gt_f32_e64 vcc_lo, 0x7f800000, |v8|
	s_delay_alu instid0(VALU_DEP_2) | instskip(SKIP_1) | instid1(VALU_DEP_1)
	v_fmaak_f32 v11, v10, v19, 0x3d29fb3f
	v_mul_f32_e32 v19, 0x3f317217, v8
	v_fma_f32 v19, 0x3f317217, v8, -v19
	s_delay_alu instid0(VALU_DEP_1) | instskip(NEXT) | instid1(VALU_DEP_1)
	v_fmac_f32_e32 v19, 0x3377d1cf, v8
	v_fmac_f32_e32 v19, 0x3f317217, v8
	s_delay_alu instid0(VALU_DEP_1) | instskip(SKIP_1) | instid1(VALU_DEP_2)
	v_cndmask_b32_e32 v8, v8, v19, vcc_lo
	v_fmaak_f32 v11, v10, v11, 0xbd97d4d7
	v_sub_f32_e32 v8, v8, v23
	s_delay_alu instid0(VALU_DEP_2) | instskip(NEXT) | instid1(VALU_DEP_1)
	v_fmaak_f32 v11, v10, v11, 0x3dd931b2
	v_fmaak_f32 v11, v10, v11, 0xbe1160e6
	s_delay_alu instid0(VALU_DEP_1) | instskip(NEXT) | instid1(VALU_DEP_1)
	v_fmaak_f32 v11, v10, v11, 0x3e4cb8bf
	v_fmaak_f32 v11, v10, v11, 0xbeaaaa62
	s_delay_alu instid0(VALU_DEP_1) | instskip(NEXT) | instid1(VALU_DEP_1)
	v_mul_f32_e32 v10, v10, v11
	v_fmac_f32_e32 v9, v9, v10
.LBB62_584:                             ;   in Loop: Header=BB62_418 Depth=1
	s_or_b32 exec_lo, exec_lo, s1
                                        ; implicit-def: $vgpr11
                                        ; implicit-def: $vgpr10
                                        ; implicit-def: $vgpr19
.LBB62_585:                             ;   in Loop: Header=BB62_418 Depth=1
	s_and_not1_saveexec_b32 s14, s14
	s_cbranch_execz .LBB62_587
; %bb.586:                              ;   in Loop: Header=BB62_418 Depth=1
	v_div_scale_f32 v8, null, 0x402df854, 0x402df854, v13
	v_div_scale_f32 v9, null, 0x402df854, 0x402df854, v12
	v_div_scale_f32 v31, vcc_lo, v13, 0x402df854, v13
	s_delay_alu instid0(VALU_DEP_3) | instskip(NEXT) | instid1(VALU_DEP_2)
	v_rcp_f32_e32 v23, v8
	v_rcp_f32_e32 v28, v9
	v_min_num_f32_e32 v10, v11, v10
	s_delay_alu instid0(TRANS32_DEP_2) | instskip(NEXT) | instid1(TRANS32_DEP_1)
	v_fma_f32 v29, -v8, v23, 1.0
	v_fma_f32 v30, -v9, v28, 1.0
	s_delay_alu instid0(VALU_DEP_1) | instskip(SKIP_1) | instid1(VALU_DEP_1)
	v_dual_fmac_f32 v23, v29, v23 :: v_dual_fmac_f32 v28, v30, v28
	v_div_scale_f32 v29, s1, v12, 0x402df854, v12
	v_dual_mul_f32 v30, v31, v23 :: v_dual_mul_f32 v32, v29, v28
	s_delay_alu instid0(VALU_DEP_1) | instskip(NEXT) | instid1(VALU_DEP_1)
	v_dual_fma_f32 v33, -v8, v30, v31 :: v_dual_fma_f32 v34, -v9, v32, v29
	v_dual_fmac_f32 v30, v33, v23 :: v_dual_fmac_f32 v32, v34, v28
	s_delay_alu instid0(VALU_DEP_1) | instskip(NEXT) | instid1(VALU_DEP_1)
	v_dual_fma_f32 v8, -v8, v30, v31 :: v_dual_fma_f32 v9, -v9, v32, v29
	v_div_fmas_f32 v8, v8, v23, v30
	s_mov_b32 vcc_lo, s1
	s_delay_alu instid0(VALU_DEP_2) | instskip(NEXT) | instid1(VALU_DEP_2)
	v_div_fmas_f32 v9, v9, v28, v32
	v_div_fixup_f32 v23, v8, 0x402df854, v13
	s_delay_alu instid0(VALU_DEP_2) | instskip(NEXT) | instid1(VALU_DEP_1)
	v_div_fixup_f32 v28, v9, 0x402df854, v12
	v_max_num_f32_e64 v29, v23, |v28|
	s_delay_alu instid0(VALU_DEP_1) | instskip(SKIP_1) | instid1(VALU_DEP_2)
	v_cvt_f64_f32_e32 v[8:9], v29
	v_cmp_neq_f32_e32 vcc_lo, 0x7f800000, v29
	v_frexp_exp_i32_f64_e32 v8, v[8:9]
	s_delay_alu instid0(VALU_DEP_1) | instskip(NEXT) | instid1(VALU_DEP_1)
	v_sub_nc_u32_e32 v9, 0, v8
	v_ldexp_f32 v28, |v28|, v9
	v_ldexp_f32 v9, v23, v9
	s_delay_alu instid0(VALU_DEP_2) | instskip(NEXT) | instid1(VALU_DEP_1)
	v_mul_f32_e32 v23, v28, v28
	v_fmac_f32_e32 v23, v9, v9
	v_frexp_mant_f32_e32 v9, v19
	v_frexp_exp_i32_f32_e32 v19, v19
	s_delay_alu instid0(VALU_DEP_3) | instskip(NEXT) | instid1(VALU_DEP_2)
	v_sqrt_f32_e32 v11, v23
	v_rcp_f32_e32 v9, v9
	v_frexp_exp_i32_f32_e32 v23, v10
	v_frexp_mant_f32_e32 v10, v10
	s_delay_alu instid0(TRANS32_DEP_2)
	v_ldexp_f32 v8, v11, v8
	s_delay_alu instid0(TRANS32_DEP_1) | instid1(VALU_DEP_1)
	v_dual_mul_f32 v9, v10, v9 :: v_dual_cndmask_b32 v8, 0x7f800000, v8
	s_delay_alu instid0(VALU_DEP_1) | instskip(SKIP_1) | instid1(VALU_DEP_1)
	v_cmp_gt_f32_e32 vcc_lo, 0x800000, v8
	v_cndmask_b32_e64 v10, 0, 32, vcc_lo
	v_ldexp_f32 v8, v8, v10
	s_delay_alu instid0(VALU_DEP_1) | instskip(SKIP_2) | instid1(TRANS32_DEP_1)
	v_log_f32_e32 v8, v8
	v_sub_nc_u32_e32 v11, v23, v19
	v_cndmask_b32_e64 v23, 0, 0x41b17218, vcc_lo
	v_mul_f32_e32 v19, 0x3f317217, v8
	v_cmp_gt_f32_e64 vcc_lo, 0x7f800000, |v8|
	s_delay_alu instid0(VALU_DEP_2) | instskip(NEXT) | instid1(VALU_DEP_1)
	v_fma_f32 v19, 0x3f317217, v8, -v19
	v_fmac_f32_e32 v19, 0x3377d1cf, v8
	s_delay_alu instid0(VALU_DEP_1) | instskip(NEXT) | instid1(VALU_DEP_1)
	v_fmac_f32_e32 v19, 0x3f317217, v8
	v_cndmask_b32_e32 v8, v8, v19, vcc_lo
	v_ldexp_f32 v9, v9, v11
	s_delay_alu instid0(VALU_DEP_1) | instskip(NEXT) | instid1(VALU_DEP_1)
	v_dual_sub_f32 v8, v8, v23 :: v_dual_mul_f32 v11, v9, v9
	v_add_f32_e32 v8, 1.0, v8
	s_delay_alu instid0(VALU_DEP_2) | instskip(NEXT) | instid1(VALU_DEP_1)
	v_fmaak_f32 v10, s11, v11, 0xbc7a590c
	v_fmaak_f32 v10, v11, v10, 0x3d29fb3f
	s_delay_alu instid0(VALU_DEP_1) | instskip(NEXT) | instid1(VALU_DEP_1)
	v_fmaak_f32 v10, v11, v10, 0xbd97d4d7
	v_fmaak_f32 v10, v11, v10, 0x3dd931b2
	s_delay_alu instid0(VALU_DEP_1) | instskip(NEXT) | instid1(VALU_DEP_1)
	v_fmaak_f32 v10, v11, v10, 0xbe1160e6
	v_fmaak_f32 v10, v11, v10, 0x3e4cb8bf
	s_delay_alu instid0(VALU_DEP_1) | instskip(NEXT) | instid1(VALU_DEP_1)
	v_fmaak_f32 v10, v11, v10, 0xbeaaaa62
	v_mul_f32_e32 v10, v11, v10
	s_delay_alu instid0(VALU_DEP_1)
	v_fmac_f32_e32 v9, v9, v10
.LBB62_587:                             ;   in Loop: Header=BB62_418 Depth=1
	s_or_b32 exec_lo, exec_lo, s14
	v_cmp_neq_f32_e32 vcc_lo, 0, v12
	s_delay_alu instid0(VALU_DEP_2) | instskip(SKIP_1) | instid1(VALU_DEP_2)
	v_sub_f32_e32 v10, 0x3fc90fdb, v9
	v_cmp_class_f32_e64 s14, v13, 0x204
	v_cndmask_b32_e64 v9, v9, v10, s0
                                        ; implicit-def: $vgpr10
	s_delay_alu instid0(VALU_DEP_1)
	v_cndmask_b32_e32 v9, 0, v9, vcc_lo
.LBB62_588:                             ;   in Loop: Header=BB62_418 Depth=1
	s_and_not1_saveexec_b32 s15, s15
	s_cbranch_execz .LBB62_598
; %bb.589:                              ;   in Loop: Header=BB62_418 Depth=1
	v_cmp_gt_f32_e64 s0, |v12|, -v13
                                        ; implicit-def: $vgpr8
                                        ; implicit-def: $vgpr9
	s_mov_b32 s1, exec_lo
	v_cndmask_b32_e64 v11, -v13, |v12|, s0
	s_delay_alu instid0(VALU_DEP_1)
	v_cmpx_nlt_f32_e32 0x7effffff, v11
	s_xor_b32 s16, exec_lo, s1
	s_cbranch_execz .LBB62_595
; %bb.590:                              ;   in Loop: Header=BB62_418 Depth=1
	v_xor_b32_e32 v8, 0x80000000, v13
	v_cmp_nlt_f32_e32 vcc_lo, 0x5e000000, v11
                                        ; implicit-def: $vgpr9
	s_delay_alu instid0(VALU_DEP_2) | instskip(NEXT) | instid1(VALU_DEP_1)
	v_cndmask_b32_e64 v19, |v12|, v8, s0
                                        ; implicit-def: $vgpr8
	v_cmp_ngt_f32_e64 s1, 0x20000000, v19
	s_and_b32 s1, vcc_lo, s1
	s_delay_alu instid0(SALU_CYCLE_1) | instskip(NEXT) | instid1(SALU_CYCLE_1)
	s_and_saveexec_b32 s17, s1
	s_xor_b32 s17, exec_lo, s17
	s_cbranch_execz .LBB62_592
; %bb.591:                              ;   in Loop: Header=BB62_418 Depth=1
	v_dual_max_num_f32 v8, -v13, -v13 :: v_dual_mul_f32 v19, v19, v19
	s_delay_alu instid0(VALU_DEP_1) | instskip(NEXT) | instid1(VALU_DEP_1)
	v_dual_max_num_f32 v9, v8, v10 :: v_dual_min_num_f32 v8, v8, v10
	v_frexp_mant_f32_e32 v23, v9
	v_frexp_exp_i32_f32_e32 v9, v9
	s_delay_alu instid0(VALU_DEP_2)
	v_rcp_f32_e32 v10, v23
	v_nop
	v_frexp_exp_i32_f32_e32 v23, v8
	v_frexp_mant_f32_e32 v8, v8
	s_delay_alu instid0(TRANS32_DEP_1) | instid1(VALU_DEP_1)
	v_dual_mul_f32 v8, v8, v10 :: v_dual_sub_nc_u32 v9, v23, v9
	s_delay_alu instid0(VALU_DEP_1) | instskip(NEXT) | instid1(VALU_DEP_1)
	v_ldexp_f32 v9, v8, v9
	v_dual_fmac_f32 v19, v11, v11 :: v_dual_mul_f32 v10, v9, v9
	s_delay_alu instid0(VALU_DEP_1) | instskip(SKIP_1) | instid1(VALU_DEP_1)
	v_cmp_gt_f32_e32 vcc_lo, 0x800000, v19
	v_cndmask_b32_e64 v8, 0, 32, vcc_lo
	v_ldexp_f32 v8, v19, v8
	s_delay_alu instid0(VALU_DEP_1) | instskip(SKIP_1) | instid1(TRANS32_DEP_1)
	v_log_f32_e32 v8, v8
	v_nop
	v_mul_f32_e32 v19, 0x3f317217, v8
	v_cmp_gt_f32_e64 s1, 0x7f800000, |v8|
	s_delay_alu instid0(VALU_DEP_2) | instskip(NEXT) | instid1(VALU_DEP_1)
	v_fma_f32 v19, 0x3f317217, v8, -v19
	v_fmac_f32_e32 v19, 0x3377d1cf, v8
	s_delay_alu instid0(VALU_DEP_1) | instskip(NEXT) | instid1(VALU_DEP_1)
	v_fmac_f32_e32 v19, 0x3f317217, v8
	v_cndmask_b32_e64 v8, v8, v19, s1
	v_cndmask_b32_e64 v19, 0, 0x41b17218, vcc_lo
	s_delay_alu instid0(VALU_DEP_1) | instskip(NEXT) | instid1(VALU_DEP_1)
	v_dual_fmaak_f32 v11, s11, v10, 0xbc7a590c :: v_dual_sub_f32 v8, v8, v19
	v_dual_fmaak_f32 v11, v10, v11, 0x3d29fb3f :: v_dual_mul_f32 v8, 0.5, v8
	s_delay_alu instid0(VALU_DEP_1) | instskip(NEXT) | instid1(VALU_DEP_1)
	v_fmaak_f32 v11, v10, v11, 0xbd97d4d7
	v_fmaak_f32 v11, v10, v11, 0x3dd931b2
	s_delay_alu instid0(VALU_DEP_1) | instskip(NEXT) | instid1(VALU_DEP_1)
	v_fmaak_f32 v11, v10, v11, 0xbe1160e6
	v_fmaak_f32 v11, v10, v11, 0x3e4cb8bf
	s_delay_alu instid0(VALU_DEP_1) | instskip(NEXT) | instid1(VALU_DEP_1)
	v_fmaak_f32 v11, v10, v11, 0xbeaaaa62
	v_mul_f32_e32 v10, v10, v11
	s_delay_alu instid0(VALU_DEP_1)
	v_fmac_f32_e32 v9, v9, v10
                                        ; implicit-def: $vgpr10
.LBB62_592:                             ;   in Loop: Header=BB62_418 Depth=1
	s_and_not1_saveexec_b32 s1, s17
	s_cbranch_execz .LBB62_594
; %bb.593:                              ;   in Loop: Header=BB62_418 Depth=1
	v_max_num_f32_e64 v11, -v13, -v13
	s_delay_alu instid0(VALU_DEP_1) | instskip(NEXT) | instid1(VALU_DEP_1)
	v_max_num_f32_e32 v19, v11, v10
	v_cvt_f64_f32_e32 v[8:9], v19
	s_delay_alu instid0(VALU_DEP_1) | instskip(NEXT) | instid1(VALU_DEP_1)
	v_frexp_exp_i32_f64_e32 v8, v[8:9]
	v_dual_min_num_f32 v10, v11, v10 :: v_dual_sub_nc_u32 v9, 0, v8
	v_frexp_mant_f32_e32 v11, v19
	v_cmp_neq_f32_e32 vcc_lo, 0x7f800000, v19
	s_delay_alu instid0(VALU_DEP_3)
	v_ldexp_f32 v23, |v12|, v9
	v_ldexp_f32 v9, -v13, v9
	v_frexp_exp_i32_f32_e32 v28, v10
	v_rcp_f32_e32 v11, v11
	v_frexp_mant_f32_e32 v10, v10
	v_mul_f32_e32 v23, v23, v23
	s_delay_alu instid0(TRANS32_DEP_1) | instid1(VALU_DEP_1)
	v_dual_fmac_f32 v23, v9, v9 :: v_dual_mul_f32 v10, v10, v11
	v_frexp_exp_i32_f32_e32 v9, v19
	s_delay_alu instid0(VALU_DEP_2) | instskip(NEXT) | instid1(VALU_DEP_1)
	v_sqrt_f32_e32 v23, v23
	v_sub_nc_u32_e32 v9, v28, v9
	s_delay_alu instid0(VALU_DEP_1) | instskip(NEXT) | instid1(TRANS32_DEP_1)
	v_ldexp_f32 v9, v10, v9
	v_ldexp_f32 v8, v23, v8
	s_delay_alu instid0(VALU_DEP_1) | instskip(NEXT) | instid1(VALU_DEP_1)
	v_cndmask_b32_e32 v8, 0x7f800000, v8, vcc_lo
	v_cmp_gt_f32_e32 vcc_lo, 0x800000, v8
	v_cndmask_b32_e64 v11, 0, 32, vcc_lo
	v_cndmask_b32_e64 v23, 0, 0x41b17218, vcc_lo
	s_delay_alu instid0(VALU_DEP_2) | instskip(NEXT) | instid1(VALU_DEP_1)
	v_ldexp_f32 v8, v8, v11
	v_log_f32_e32 v8, v8
	v_mul_f32_e32 v10, v9, v9
	s_delay_alu instid0(VALU_DEP_1) | instskip(NEXT) | instid1(TRANS32_DEP_1)
	v_fmaak_f32 v19, s11, v10, 0xbc7a590c
	v_cmp_gt_f32_e64 vcc_lo, 0x7f800000, |v8|
	s_delay_alu instid0(VALU_DEP_2) | instskip(SKIP_1) | instid1(VALU_DEP_1)
	v_fmaak_f32 v11, v10, v19, 0x3d29fb3f
	v_mul_f32_e32 v19, 0x3f317217, v8
	v_fma_f32 v19, 0x3f317217, v8, -v19
	s_delay_alu instid0(VALU_DEP_1) | instskip(NEXT) | instid1(VALU_DEP_1)
	v_fmac_f32_e32 v19, 0x3377d1cf, v8
	v_fmac_f32_e32 v19, 0x3f317217, v8
	s_delay_alu instid0(VALU_DEP_1) | instskip(SKIP_1) | instid1(VALU_DEP_2)
	v_cndmask_b32_e32 v8, v8, v19, vcc_lo
	v_fmaak_f32 v11, v10, v11, 0xbd97d4d7
	v_sub_f32_e32 v8, v8, v23
	s_delay_alu instid0(VALU_DEP_2) | instskip(NEXT) | instid1(VALU_DEP_1)
	v_fmaak_f32 v11, v10, v11, 0x3dd931b2
	v_fmaak_f32 v11, v10, v11, 0xbe1160e6
	s_delay_alu instid0(VALU_DEP_1) | instskip(NEXT) | instid1(VALU_DEP_1)
	v_fmaak_f32 v11, v10, v11, 0x3e4cb8bf
	v_fmaak_f32 v11, v10, v11, 0xbeaaaa62
	s_delay_alu instid0(VALU_DEP_1) | instskip(NEXT) | instid1(VALU_DEP_1)
	v_mul_f32_e32 v10, v10, v11
	v_fmac_f32_e32 v9, v9, v10
.LBB62_594:                             ;   in Loop: Header=BB62_418 Depth=1
	s_or_b32 exec_lo, exec_lo, s1
                                        ; implicit-def: $vgpr10
.LBB62_595:                             ;   in Loop: Header=BB62_418 Depth=1
	s_and_not1_saveexec_b32 s16, s16
	s_cbranch_execz .LBB62_597
; %bb.596:                              ;   in Loop: Header=BB62_418 Depth=1
	v_div_scale_f32 v8, null, 0xc02df854, 0xc02df854, v13
	v_div_scale_f32 v9, null, 0xc02df854, 0xc02df854, v12
	v_div_scale_f32 v29, vcc_lo, v13, 0xc02df854, v13
	s_delay_alu instid0(VALU_DEP_3) | instskip(NEXT) | instid1(VALU_DEP_2)
	v_rcp_f32_e32 v11, v8
	v_rcp_f32_e32 v19, v9
	s_delay_alu instid0(TRANS32_DEP_2) | instskip(NEXT) | instid1(TRANS32_DEP_1)
	v_fma_f32 v23, -v8, v11, 1.0
	v_fma_f32 v28, -v9, v19, 1.0
	s_delay_alu instid0(VALU_DEP_2) | instskip(NEXT) | instid1(VALU_DEP_2)
	v_fmac_f32_e32 v11, v23, v11
	v_fmac_f32_e32 v19, v28, v19
	v_div_scale_f32 v23, s1, v12, 0xc02df854, v12
	s_delay_alu instid0(VALU_DEP_3) | instskip(NEXT) | instid1(VALU_DEP_1)
	v_mul_f32_e32 v28, v29, v11
	v_fma_f32 v31, -v8, v28, v29
	s_delay_alu instid0(VALU_DEP_1) | instskip(NEXT) | instid1(VALU_DEP_1)
	v_fmac_f32_e32 v28, v31, v11
	v_dual_mul_f32 v30, v23, v19 :: v_dual_fma_f32 v8, -v8, v28, v29
	s_delay_alu instid0(VALU_DEP_1) | instskip(NEXT) | instid1(VALU_DEP_2)
	v_fma_f32 v32, -v9, v30, v23
	v_div_fmas_f32 v8, v8, v11, v28
	s_delay_alu instid0(VALU_DEP_2) | instskip(SKIP_1) | instid1(VALU_DEP_2)
	v_dual_fmac_f32 v30, v32, v19 :: v_dual_max_num_f32 v28, -v13, -v13
	s_mov_b32 vcc_lo, s1
	v_div_fixup_f32 v11, v8, 0xc02df854, v13
	s_delay_alu instid0(VALU_DEP_2) | instskip(NEXT) | instid1(VALU_DEP_1)
	v_fma_f32 v9, -v9, v30, v23
	v_div_fmas_f32 v9, v9, v19, v30
	s_delay_alu instid0(VALU_DEP_1) | instskip(NEXT) | instid1(VALU_DEP_1)
	v_div_fixup_f32 v19, v9, 0xc02df854, v12
	v_max_num_f32_e64 v23, |v11|, |v19|
	s_delay_alu instid0(VALU_DEP_1) | instskip(SKIP_1) | instid1(VALU_DEP_2)
	v_cvt_f64_f32_e32 v[8:9], v23
	v_cmp_neq_f32_e32 vcc_lo, 0x7f800000, v23
	v_frexp_exp_i32_f64_e32 v8, v[8:9]
	s_delay_alu instid0(VALU_DEP_1) | instskip(NEXT) | instid1(VALU_DEP_1)
	v_sub_nc_u32_e32 v9, 0, v8
	v_ldexp_f32 v19, |v19|, v9
	v_ldexp_f32 v9, |v11|, v9
	s_delay_alu instid0(VALU_DEP_2) | instskip(NEXT) | instid1(VALU_DEP_1)
	v_dual_mul_f32 v11, v19, v19 :: v_dual_max_num_f32 v19, v28, v10
	v_fmac_f32_e32 v11, v9, v9
	s_delay_alu instid0(VALU_DEP_2) | instskip(SKIP_2) | instid1(VALU_DEP_4)
	v_frexp_mant_f32_e32 v9, v19
	v_frexp_exp_i32_f32_e32 v19, v19
	v_min_num_f32_e32 v10, v28, v10
	v_sqrt_f32_e32 v11, v11
	s_delay_alu instid0(VALU_DEP_3) | instskip(NEXT) | instid1(VALU_DEP_1)
	v_rcp_f32_e32 v9, v9
	v_frexp_exp_i32_f32_e32 v28, v10
	s_delay_alu instid0(TRANS32_DEP_2) | instskip(NEXT) | instid1(VALU_DEP_2)
	v_ldexp_f32 v8, v11, v8
	v_sub_nc_u32_e32 v11, v28, v19
	v_frexp_mant_f32_e32 v10, v10
	s_delay_alu instid0(TRANS32_DEP_1) | instid1(VALU_DEP_1)
	v_mul_f32_e32 v9, v10, v9
	s_delay_alu instid0(VALU_DEP_1) | instskip(NEXT) | instid1(VALU_DEP_1)
	v_ldexp_f32 v9, v9, v11
	v_dual_cndmask_b32 v8, 0x7f800000, v8 :: v_dual_mul_f32 v11, v9, v9
	s_delay_alu instid0(VALU_DEP_1) | instskip(SKIP_2) | instid1(VALU_DEP_2)
	v_cmp_gt_f32_e32 vcc_lo, 0x800000, v8
	v_cndmask_b32_e64 v10, 0, 32, vcc_lo
	v_cndmask_b32_e64 v23, 0, 0x41b17218, vcc_lo
	v_ldexp_f32 v8, v8, v10
	v_fmaak_f32 v10, s11, v11, 0xbc7a590c
	s_delay_alu instid0(VALU_DEP_2) | instskip(NEXT) | instid1(VALU_DEP_1)
	v_log_f32_e32 v8, v8
	v_fmaak_f32 v10, v11, v10, 0x3d29fb3f
	s_delay_alu instid0(VALU_DEP_1) | instskip(NEXT) | instid1(TRANS32_DEP_1)
	v_fmaak_f32 v10, v11, v10, 0xbd97d4d7
	v_mul_f32_e32 v19, 0x3f317217, v8
	v_cmp_gt_f32_e64 vcc_lo, 0x7f800000, |v8|
	s_delay_alu instid0(VALU_DEP_3) | instskip(NEXT) | instid1(VALU_DEP_3)
	v_fmaak_f32 v10, v11, v10, 0x3dd931b2
	v_fma_f32 v19, 0x3f317217, v8, -v19
	s_delay_alu instid0(VALU_DEP_2) | instskip(NEXT) | instid1(VALU_DEP_1)
	v_fmaak_f32 v10, v11, v10, 0xbe1160e6
	v_fmaak_f32 v10, v11, v10, 0x3e4cb8bf
	s_delay_alu instid0(VALU_DEP_1) | instskip(NEXT) | instid1(VALU_DEP_1)
	v_fmaak_f32 v10, v11, v10, 0xbeaaaa62
	v_dual_fmac_f32 v19, 0x3377d1cf, v8 :: v_dual_mul_f32 v10, v11, v10
	s_delay_alu instid0(VALU_DEP_1) | instskip(NEXT) | instid1(VALU_DEP_1)
	v_fmac_f32_e32 v19, 0x3f317217, v8
	v_dual_fmac_f32 v9, v9, v10 :: v_dual_cndmask_b32 v8, v8, v19
	s_delay_alu instid0(VALU_DEP_1) | instskip(NEXT) | instid1(VALU_DEP_1)
	v_sub_f32_e32 v8, v8, v23
	v_add_f32_e32 v8, 1.0, v8
.LBB62_597:                             ;   in Loop: Header=BB62_418 Depth=1
	s_or_b32 exec_lo, exec_lo, s16
	s_delay_alu instid0(VALU_DEP_1) | instskip(SKIP_1) | instid1(VALU_DEP_2)
	v_sub_f32_e32 v10, 0x3fc90fdb, v9
	v_cmp_eq_f32_e32 vcc_lo, 0xff800000, v13
	v_cndmask_b32_e64 v9, v9, v10, s0
	v_cmp_neq_f32_e64 s0, 0, v12
	s_and_b32 s1, vcc_lo, exec_lo
	v_cndmask_b32_e64 v9, 0, v9, s0
	s_and_not1_b32 s0, s14, exec_lo
	s_delay_alu instid0(SALU_CYCLE_1)
	s_or_b32 s14, s0, s1
.LBB62_598:                             ;   in Loop: Header=BB62_418 Depth=1
	s_or_b32 exec_lo, exec_lo, s15
	v_cmp_class_f32_e64 s0, v12, 0x204
	v_add_f32_e32 v10, 0x3f317218, v8
	s_and_b32 s0, s0, s14
	s_delay_alu instid0(SALU_CYCLE_1) | instskip(NEXT) | instid1(VALU_DEP_1)
	v_cndmask_b32_e64 v9, v9, 0x3f490fdb, s0
	v_bfi_b32 v8, 0x7fffffff, v9, v12
	s_delay_alu instid0(VALU_DEP_3)
	v_bfi_b32 v9, 0x7fffffff, v10, v13
.LBB62_599:                             ;   in Loop: Header=BB62_418 Depth=1
	s_or_b32 exec_lo, exec_lo, s13
                                        ; implicit-def: $vgpr12_vgpr13
.LBB62_600:                             ;   in Loop: Header=BB62_418 Depth=1
	s_and_not1_saveexec_b32 s0, s4
	s_cbranch_execz .LBB62_614
; %bb.601:                              ;   in Loop: Header=BB62_418 Depth=1
	v_cmp_neq_f32_e64 s1, 0x7f800000, |v13|
	s_and_saveexec_b32 s4, s1
	s_delay_alu instid0(SALU_CYCLE_1)
	s_xor_b32 s1, exec_lo, s4
	s_cbranch_execz .LBB62_611
; %bb.602:                              ;   in Loop: Header=BB62_418 Depth=1
	v_cmp_neq_f32_e64 s4, 0x7f800000, |v12|
	s_and_saveexec_b32 s13, s4
	s_delay_alu instid0(SALU_CYCLE_1)
	s_xor_b32 s4, exec_lo, s13
	s_cbranch_execz .LBB62_608
; %bb.603:                              ;   in Loop: Header=BB62_418 Depth=1
	s_mov_b32 s13, exec_lo
	v_cmpx_neq_f32_e32 0, v12
	s_xor_b32 s13, exec_lo, s13
; %bb.604:                              ;   in Loop: Header=BB62_418 Depth=1
	v_add_f32_e32 v8, 0, v13
	s_delay_alu instid0(VALU_DEP_1)
	v_add_f32_e32 v9, v12, v8
                                        ; implicit-def: $vgpr12_vgpr13
; %bb.605:                              ;   in Loop: Header=BB62_418 Depth=1
	s_or_saveexec_b32 s13, s13
	s_delay_alu instid0(VALU_DEP_1)
	v_mov_b32_e32 v8, v9
	s_xor_b32 exec_lo, exec_lo, s13
; %bb.606:                              ;   in Loop: Header=BB62_418 Depth=1
	v_pk_add_f32 v[8:9], v[12:13], v[12:13]
	v_mov_b32_e32 v8, v12
; %bb.607:                              ;   in Loop: Header=BB62_418 Depth=1
	s_or_b32 exec_lo, exec_lo, s13
                                        ; implicit-def: $vgpr12_vgpr13
.LBB62_608:                             ;   in Loop: Header=BB62_418 Depth=1
	s_and_not1_saveexec_b32 s4, s4
; %bb.609:                              ;   in Loop: Header=BB62_418 Depth=1
	v_dual_add_f32 v8, v13, v13 :: v_dual_mov_b32 v9, v12
; %bb.610:                              ;   in Loop: Header=BB62_418 Depth=1
	s_or_b32 exec_lo, exec_lo, s4
                                        ; implicit-def: $vgpr12_vgpr13
.LBB62_611:                             ;   in Loop: Header=BB62_418 Depth=1
	s_and_not1_saveexec_b32 s1, s1
; %bb.612:                              ;   in Loop: Header=BB62_418 Depth=1
	v_dual_add_f32 v8, v12, v12 :: v_dual_mov_b32 v9, v13
; %bb.613:                              ;   in Loop: Header=BB62_418 Depth=1
	s_or_b32 exec_lo, exec_lo, s1
.LBB62_614:                             ;   in Loop: Header=BB62_418 Depth=1
	s_delay_alu instid0(SALU_CYCLE_1) | instskip(NEXT) | instid1(SALU_CYCLE_1)
	s_or_b32 exec_lo, exec_lo, s0
                                        ; implicit-def: $vgpr11
	s_mov_b32 s0, exec_lo
	s_wait_loadcnt 0x0
	v_cmpx_o_f32_e32 v3, v2
	s_xor_b32 s4, exec_lo, s0
	s_cbranch_execz .LBB62_698
; %bb.615:                              ;   in Loop: Header=BB62_418 Depth=1
	v_max_num_f32_e64 v13, |v3|, |v3|
	v_max_num_f32_e64 v12, |v2|, |v2|
                                        ; implicit-def: $vgpr11
	s_mov_b32 s0, exec_lo
	s_delay_alu instid0(VALU_DEP_1) | instskip(NEXT) | instid1(VALU_DEP_1)
	v_max_num_f32_e32 v19, v12, v13
	v_cmpx_nlt_f32_e32 0x4b000000, v19
	s_xor_b32 s13, exec_lo, s0
	s_cbranch_execz .LBB62_675
; %bb.616:                              ;   in Loop: Header=BB62_418 Depth=1
	v_cmp_neq_f32_e32 vcc_lo, 0, v3
	v_cmp_neq_f32_e64 s0, 0, v2
	v_dual_mov_b32 v11, v3 :: v_dual_mov_b32 v10, v2
	s_or_b32 s0, vcc_lo, s0
	s_delay_alu instid0(SALU_CYCLE_1)
	s_and_saveexec_b32 s14, s0
	s_cbranch_execz .LBB62_674
; %bb.617:                              ;   in Loop: Header=BB62_418 Depth=1
	flat_store_b32 v[16:17], v26 scope:SCOPE_SYS
	s_wait_storecnt 0x0
	flat_load_b32 v10, v[16:17] scope:SCOPE_SYS
	s_wait_loadcnt 0x0
	v_cmp_ngt_f32_e64 s0, 0x395db3d7, |v3|
	v_cmp_ngt_f32_e64 s1, 0x395db3d7, |v2|
	v_mov_b32_e32 v11, v3
	s_or_b32 s0, s1, s0
	s_wait_dscnt 0x0
	v_add_f32_e32 v10, 1.0, v10
	flat_store_b32 v[20:21], v10 scope:SCOPE_SYS
	s_wait_storecnt 0x0
	flat_load_b32 v10, v[20:21] scope:SCOPE_SYS
	s_wait_loadcnt_dscnt 0x0
	v_mov_b32_e32 v10, v2
	s_and_saveexec_b32 s15, s0
	s_cbranch_execz .LBB62_673
; %bb.618:                              ;   in Loop: Header=BB62_418 Depth=1
	v_add_f32_e64 v29, |v2|, 1.0
	v_add_f32_e64 v28, |v2|, -1.0
	s_mov_b32 s0, exec_lo
	s_delay_alu instid0(VALU_DEP_2) | instskip(NEXT) | instid1(VALU_DEP_2)
	v_max_num_f32_e32 v19, v13, v29
	v_max_num_f32_e64 v23, v13, |v28|
	s_delay_alu instid0(VALU_DEP_2) | instskip(NEXT) | instid1(VALU_DEP_2)
	v_cvt_f64_f32_e32 v[10:11], v19
	v_cvt_f64_f32_e32 v[12:13], v23
	s_delay_alu instid0(VALU_DEP_2) | instskip(NEXT) | instid1(VALU_DEP_2)
	v_frexp_exp_i32_f64_e32 v10, v[10:11]
	v_frexp_exp_i32_f64_e32 v11, v[12:13]
	s_delay_alu instid0(VALU_DEP_2) | instskip(SKIP_1) | instid1(VALU_DEP_2)
	v_sub_nc_u32_e32 v12, 0, v10
	v_cmp_neq_f32_e32 vcc_lo, 0x7f800000, v19
                                        ; implicit-def: $vgpr19
	v_ldexp_f32 v30, v29, v12
	s_delay_alu instid0(VALU_DEP_4) | instskip(SKIP_1) | instid1(VALU_DEP_3)
	v_sub_nc_u32_e32 v13, 0, v11
	v_ldexp_f32 v12, |v3|, v12
	v_mul_f32_e32 v30, v30, v30
	s_delay_alu instid0(VALU_DEP_3) | instskip(SKIP_1) | instid1(VALU_DEP_2)
	v_ldexp_f32 v31, |v28|, v13
	v_ldexp_f32 v13, |v3|, v13
	v_dual_fmac_f32 v30, v12, v12 :: v_dual_mul_f32 v31, v31, v31
	s_delay_alu instid0(VALU_DEP_1) | instskip(NEXT) | instid1(VALU_DEP_1)
	v_sqrt_f32_e32 v12, v30
	v_fmac_f32_e32 v31, v13, v13
	s_delay_alu instid0(VALU_DEP_1) | instskip(NEXT) | instid1(TRANS32_DEP_2)
	v_sqrt_f32_e32 v13, v31
	v_ldexp_f32 v10, v12, v10
	s_delay_alu instid0(VALU_DEP_1) | instskip(NEXT) | instid1(TRANS32_DEP_1)
	v_cndmask_b32_e32 v31, 0x7f800000, v10, vcc_lo
	v_ldexp_f32 v11, v13, v11
	v_cmp_neq_f32_e32 vcc_lo, 0x7f800000, v23
	s_delay_alu instid0(VALU_DEP_2) | instskip(NEXT) | instid1(VALU_DEP_1)
	v_cndmask_b32_e32 v12, 0x7f800000, v11, vcc_lo
	v_add_f32_e32 v10, v31, v12
	s_delay_alu instid0(VALU_DEP_1) | instskip(NEXT) | instid1(VALU_DEP_1)
	v_mul_f32_e32 v10, 0.5, v10
	v_cmp_ngt_f32_e32 vcc_lo, 1.0, v10
	v_cndmask_b32_e32 v10, 1.0, v10, vcc_lo
	s_delay_alu instid0(VALU_DEP_1)
	v_cmpx_ngt_f32_e32 0x41200000, v10
	s_xor_b32 s1, exec_lo, s0
	s_cbranch_execz .LBB62_620
; %bb.619:                              ;   in Loop: Header=BB62_418 Depth=1
	v_fma_f32 v11, v10, v10, -1.0
	s_delay_alu instid0(VALU_DEP_1) | instskip(SKIP_1) | instid1(VALU_DEP_2)
	v_mul_f32_e32 v13, 0x4f800000, v11
	v_cmp_gt_f32_e32 vcc_lo, 0xf800000, v11
	v_cndmask_b32_e32 v11, v11, v13, vcc_lo
	s_delay_alu instid0(VALU_DEP_1) | instskip(SKIP_1) | instid1(TRANS32_DEP_1)
	v_sqrt_f32_e32 v13, v11
	v_nop
	v_dual_add_nc_u32 v19, -1, v13 :: v_dual_add_nc_u32 v23, 1, v13
	s_delay_alu instid0(VALU_DEP_1) | instskip(NEXT) | instid1(VALU_DEP_1)
	v_fma_f32 v30, -v19, v13, v11
	v_cmp_ge_f32_e64 s0, 0, v30
	s_delay_alu instid0(VALU_DEP_1) | instskip(NEXT) | instid1(VALU_DEP_1)
	v_dual_fma_f32 v32, -v23, v13, v11 :: v_dual_cndmask_b32 v13, v13, v19, s0
	v_cmp_lt_f32_e64 s0, 0, v32
	s_delay_alu instid0(VALU_DEP_1) | instskip(NEXT) | instid1(VALU_DEP_1)
	v_cndmask_b32_e64 v13, v13, v23, s0
	v_mul_f32_e32 v19, 0x37800000, v13
	s_delay_alu instid0(VALU_DEP_1) | instskip(SKIP_1) | instid1(VALU_DEP_2)
	v_cndmask_b32_e32 v13, v13, v19, vcc_lo
	v_cmp_class_f32_e64 vcc_lo, v11, 0x260
	v_cndmask_b32_e32 v11, v13, v11, vcc_lo
	s_delay_alu instid0(VALU_DEP_1) | instskip(NEXT) | instid1(VALU_DEP_1)
	v_add_f32_e32 v11, v10, v11
	v_cmp_gt_f32_e32 vcc_lo, 0x800000, v11
	s_delay_alu instid0(VALU_DEP_4) | instskip(NEXT) | instid1(VALU_DEP_1)
	v_cndmask_b32_e64 v13, 0, 32, vcc_lo
	v_ldexp_f32 v11, v11, v13
	s_delay_alu instid0(VALU_DEP_1) | instskip(SKIP_1) | instid1(TRANS32_DEP_1)
	v_log_f32_e32 v11, v11
	v_nop
	v_mul_f32_e32 v13, 0x3f317217, v11
	v_cmp_gt_f32_e64 s0, 0x7f800000, |v11|
	s_delay_alu instid0(VALU_DEP_2) | instskip(NEXT) | instid1(VALU_DEP_1)
	v_fma_f32 v13, 0x3f317217, v11, -v13
	v_fmac_f32_e32 v13, 0x3377d1cf, v11
	s_delay_alu instid0(VALU_DEP_1) | instskip(NEXT) | instid1(VALU_DEP_1)
	v_fmac_f32_e32 v13, 0x3f317217, v11
	v_cndmask_b32_e64 v11, v11, v13, s0
	v_cndmask_b32_e64 v13, 0, 0x41b17218, vcc_lo
	s_delay_alu instid0(VALU_DEP_1)
	v_sub_f32_e32 v19, v11, v13
.LBB62_620:                             ;   in Loop: Header=BB62_418 Depth=1
	s_or_saveexec_b32 s1, s1
	v_and_b32_e32 v30, 0x7fffffff, v3
	s_xor_b32 exec_lo, exec_lo, s1
	s_cbranch_execz .LBB62_642
; %bb.621:                              ;   in Loop: Header=BB62_418 Depth=1
	v_cmp_neq_f32_e64 s0, |v2|, 1.0
	v_cmp_ngt_f32_e64 s16, 0x25000000, |v3|
                                        ; implicit-def: $vgpr19
	s_or_b32 s0, s0, s16
	s_delay_alu instid0(SALU_CYCLE_1) | instskip(NEXT) | instid1(SALU_CYCLE_1)
	s_and_saveexec_b32 s16, s0
	s_xor_b32 s16, exec_lo, s16
	s_cbranch_execz .LBB62_639
; %bb.622:                              ;   in Loop: Header=BB62_418 Depth=1
	v_mul_f32_e64 v11, 0x34000000, |v28|
	s_mov_b32 s17, exec_lo
                                        ; implicit-def: $vgpr19
	s_delay_alu instid0(VALU_DEP_1)
	v_cmpx_ge_f32_e64 |v3|, v11
	s_xor_b32 s17, exec_lo, s17
	s_cbranch_execz .LBB62_632
; %bb.623:                              ;   in Loop: Header=BB62_418 Depth=1
	v_mov_b32_e32 v11, v30
	s_mov_b32 s0, exec_lo
	v_cmpx_neq_f32_e32 0, v29
	s_cbranch_execz .LBB62_625
; %bb.624:                              ;   in Loop: Header=BB62_418 Depth=1
	v_mul_f32_e32 v11, v3, v3
	v_add_f32_e32 v13, v29, v31
	s_delay_alu instid0(VALU_DEP_1) | instskip(NEXT) | instid1(VALU_DEP_1)
	v_div_scale_f32 v19, null, v13, v13, v11
	v_rcp_f32_e32 v23, v19
	v_nop
	s_delay_alu instid0(TRANS32_DEP_1) | instskip(NEXT) | instid1(VALU_DEP_1)
	v_fma_f32 v32, -v19, v23, 1.0
	v_fmac_f32_e32 v23, v32, v23
	v_div_scale_f32 v32, vcc_lo, v11, v13, v11
	s_delay_alu instid0(VALU_DEP_1) | instskip(NEXT) | instid1(VALU_DEP_1)
	v_mul_f32_e32 v33, v32, v23
	v_fma_f32 v34, -v19, v33, v32
	s_delay_alu instid0(VALU_DEP_1) | instskip(NEXT) | instid1(VALU_DEP_1)
	v_fmac_f32_e32 v33, v34, v23
	v_fma_f32 v19, -v19, v33, v32
	s_delay_alu instid0(VALU_DEP_1) | instskip(NEXT) | instid1(VALU_DEP_1)
	v_div_fmas_f32 v19, v19, v23, v33
	v_div_fixup_f32 v11, v19, v13, v11
.LBB62_625:                             ;   in Loop: Header=BB62_418 Depth=1
	s_or_b32 exec_lo, exec_lo, s0
	v_sub_f32_e64 v19, 1.0, |v2|
	s_mov_b32 s0, exec_lo
                                        ; implicit-def: $vgpr13
	s_delay_alu instid0(VALU_DEP_1)
	v_cmpx_ngt_f32_e32 0, v19
	s_xor_b32 s0, exec_lo, s0
	s_cbranch_execz .LBB62_629
; %bb.626:                              ;   in Loop: Header=BB62_418 Depth=1
	v_mov_b32_e32 v13, v30
	s_mov_b32 s18, exec_lo
	v_cmpx_neq_f32_e32 0, v19
	s_cbranch_execz .LBB62_628
; %bb.627:                              ;   in Loop: Header=BB62_418 Depth=1
	v_mul_f32_e32 v13, v3, v3
	v_add_f32_e32 v19, v19, v12
	s_delay_alu instid0(VALU_DEP_1) | instskip(NEXT) | instid1(VALU_DEP_1)
	v_div_scale_f32 v23, null, v19, v19, v13
	v_rcp_f32_e32 v32, v23
	v_nop
	s_delay_alu instid0(TRANS32_DEP_1) | instskip(NEXT) | instid1(VALU_DEP_1)
	v_fma_f32 v33, -v23, v32, 1.0
	v_fmac_f32_e32 v32, v33, v32
	v_div_scale_f32 v33, vcc_lo, v13, v19, v13
	s_delay_alu instid0(VALU_DEP_1) | instskip(NEXT) | instid1(VALU_DEP_1)
	v_mul_f32_e32 v34, v33, v32
	v_fma_f32 v35, -v23, v34, v33
	s_delay_alu instid0(VALU_DEP_1) | instskip(NEXT) | instid1(VALU_DEP_1)
	v_fmac_f32_e32 v34, v35, v32
	v_fma_f32 v23, -v23, v34, v33
	s_delay_alu instid0(VALU_DEP_1) | instskip(NEXT) | instid1(VALU_DEP_1)
	v_div_fmas_f32 v23, v23, v32, v34
	v_div_fixup_f32 v13, v23, v19, v13
.LBB62_628:                             ;   in Loop: Header=BB62_418 Depth=1
	s_or_b32 exec_lo, exec_lo, s18
                                        ; implicit-def: $vgpr19
.LBB62_629:                             ;   in Loop: Header=BB62_418 Depth=1
	s_and_not1_saveexec_b32 s0, s0
; %bb.630:                              ;   in Loop: Header=BB62_418 Depth=1
	v_sub_f32_e32 v13, v12, v19
; %bb.631:                              ;   in Loop: Header=BB62_418 Depth=1
	s_or_b32 exec_lo, exec_lo, s0
	s_delay_alu instid0(VALU_DEP_1) | instskip(NEXT) | instid1(VALU_DEP_1)
	v_dual_mul_f32 v11, 0.5, v11 :: v_dual_mul_f32 v19, 0.5, v13
	v_pk_add_f32 v[32:33], v[10:11], v[18:19]
	s_delay_alu instid0(VALU_DEP_1) | instskip(NEXT) | instid1(VALU_DEP_1)
	v_mul_f32_e32 v11, v32, v33
	v_mul_f32_e32 v13, 0x4f800000, v11
	v_cmp_gt_f32_e32 vcc_lo, 0xf800000, v11
	s_delay_alu instid0(VALU_DEP_2) | instskip(NEXT) | instid1(VALU_DEP_1)
	v_cndmask_b32_e32 v11, v11, v13, vcc_lo
	v_sqrt_f32_e32 v13, v11
	v_nop
	s_delay_alu instid0(TRANS32_DEP_1) | instskip(NEXT) | instid1(VALU_DEP_1)
	v_dual_add_nc_u32 v19, -1, v13 :: v_dual_add_nc_u32 v23, 1, v13
	v_fma_f32 v32, -v19, v13, v11
	s_delay_alu instid0(VALU_DEP_2) | instskip(NEXT) | instid1(VALU_DEP_2)
	v_fma_f32 v34, -v23, v13, v11
	v_cmp_ge_f32_e64 s0, 0, v32
	s_delay_alu instid0(VALU_DEP_1) | instskip(NEXT) | instid1(VALU_DEP_3)
	v_cndmask_b32_e64 v13, v13, v19, s0
	v_cmp_lt_f32_e64 s0, 0, v34
	s_delay_alu instid0(VALU_DEP_1) | instskip(NEXT) | instid1(VALU_DEP_1)
	v_cndmask_b32_e64 v13, v13, v23, s0
	v_mul_f32_e32 v19, 0x37800000, v13
	s_delay_alu instid0(VALU_DEP_1) | instskip(SKIP_1) | instid1(VALU_DEP_2)
	v_cndmask_b32_e32 v13, v13, v19, vcc_lo
	v_cmp_class_f32_e64 vcc_lo, v11, 0x260
	v_cndmask_b32_e32 v11, v13, v11, vcc_lo
	s_delay_alu instid0(VALU_DEP_1) | instskip(NEXT) | instid1(VALU_DEP_1)
	v_add_f32_e32 v32, v33, v11
	v_add_f32_e32 v35, 1.0, v32
	s_delay_alu instid0(VALU_DEP_1) | instskip(SKIP_1) | instid1(VALU_DEP_1)
	v_cvt_f64_f32_e32 v[36:37], v35
	v_frexp_mant_f32_e32 v13, v35
	v_cmp_gt_f32_e32 vcc_lo, 0x3f2aaaab, v13
	s_delay_alu instid0(VALU_DEP_3) | instskip(NEXT) | instid1(VALU_DEP_1)
	v_frexp_exp_i32_f64_e32 v11, v[36:37]
	v_subrev_co_ci_u32_e64 v11, null, 0, v11, vcc_lo
	v_cmp_neq_f32_e32 vcc_lo, 0x7f800000, v32
	s_delay_alu instid0(VALU_DEP_2) | instskip(NEXT) | instid1(VALU_DEP_1)
	v_sub_nc_u32_e32 v13, 0, v11
	v_ldexp_f32 v19, v35, v13
	v_add_f32_e32 v33, -1.0, v35
	s_delay_alu instid0(VALU_DEP_1) | instskip(NEXT) | instid1(VALU_DEP_1)
	v_dual_add_f32 v39, -1.0, v19 :: v_dual_mov_b32 v34, v33
	v_pk_add_f32 v[36:37], v[32:33], v[34:35] neg_lo:[0,1] neg_hi:[0,1]
	s_delay_alu instid0(VALU_DEP_1) | instskip(NEXT) | instid1(VALU_DEP_1)
	v_dual_add_f32 v33, 1.0, v19 :: v_dual_add_f32 v23, 1.0, v37
	v_dual_add_f32 v34, -1.0, v33 :: v_dual_add_f32 v23, v36, v23
	s_delay_alu instid0(VALU_DEP_1) | instskip(NEXT) | instid1(VALU_DEP_2)
	v_ldexp_f32 v13, v23, v13
	v_dual_sub_f32 v23, v19, v34 :: v_dual_add_f32 v34, 1.0, v39
	s_delay_alu instid0(VALU_DEP_1) | instskip(NEXT) | instid1(VALU_DEP_1)
	v_dual_add_f32 v23, v13, v23 :: v_dual_sub_f32 v19, v19, v34
	v_add_f32_e32 v40, v33, v23
	s_delay_alu instid0(VALU_DEP_1) | instskip(NEXT) | instid1(VALU_DEP_1)
	v_dual_add_f32 v13, v13, v19 :: v_dual_sub_f32 v33, v40, v33
	v_add_f32_e32 v35, v39, v13
	s_delay_alu instid0(VALU_DEP_2) | instskip(SKIP_1) | instid1(VALU_DEP_2)
	v_sub_f32_e32 v23, v23, v33
	v_rcp_f32_e32 v19, v40
	v_sub_f32_e32 v33, v35, v39
	s_delay_alu instid0(TRANS32_DEP_1) | instid1(VALU_DEP_1)
	v_dual_mul_f32 v41, v35, v19 :: v_dual_sub_f32 v13, v13, v33
	s_delay_alu instid0(VALU_DEP_1) | instskip(NEXT) | instid1(VALU_DEP_1)
	v_mul_f32_e32 v36, v40, v41
	v_fma_f32 v38, v41, v40, -v36
	s_delay_alu instid0(VALU_DEP_1) | instskip(NEXT) | instid1(VALU_DEP_1)
	v_fmac_f32_e32 v38, v41, v23
	v_add_f32_e32 v34, v36, v38
	s_delay_alu instid0(VALU_DEP_1) | instskip(NEXT) | instid1(VALU_DEP_1)
	v_dual_sub_f32 v37, v35, v34 :: v_dual_mov_b32 v39, v34
	v_pk_add_f32 v[34:35], v[34:35], v[36:37] neg_lo:[0,1] neg_hi:[0,1]
	s_delay_alu instid0(VALU_DEP_1) | instskip(NEXT) | instid1(VALU_DEP_1)
	v_pk_add_f32 v[34:35], v[34:35], v[38:39] neg_lo:[0,1] neg_hi:[0,1]
	v_add_f32_e32 v13, v13, v35
	s_delay_alu instid0(VALU_DEP_1) | instskip(NEXT) | instid1(VALU_DEP_1)
	v_add_f32_e32 v13, v34, v13
	v_add_f32_e32 v35, v37, v13
	s_delay_alu instid0(VALU_DEP_1) | instskip(NEXT) | instid1(VALU_DEP_1)
	v_mul_f32_e32 v33, v19, v35
	v_mul_f32_e32 v38, v40, v33
	s_delay_alu instid0(VALU_DEP_1) | instskip(SKIP_1) | instid1(VALU_DEP_2)
	v_fma_f32 v36, v33, v40, -v38
	v_add_f32_e32 v40, v41, v33
	v_fmac_f32_e32 v36, v33, v23
	s_delay_alu instid0(VALU_DEP_1) | instskip(NEXT) | instid1(VALU_DEP_1)
	v_dual_add_f32 v34, v38, v36 :: v_dual_sub_f32 v23, v37, v35
	v_dual_sub_f32 v39, v35, v34 :: v_dual_mov_b32 v37, v34
	s_delay_alu instid0(VALU_DEP_2) | instskip(NEXT) | instid1(VALU_DEP_2)
	v_dual_add_f32 v13, v13, v23 :: v_dual_sub_f32 v23, v40, v41
	v_pk_add_f32 v[34:35], v[34:35], v[38:39] neg_lo:[0,1] neg_hi:[0,1]
	s_delay_alu instid0(VALU_DEP_2) | instskip(NEXT) | instid1(VALU_DEP_2)
	v_sub_f32_e32 v23, v33, v23
	v_pk_add_f32 v[34:35], v[34:35], v[36:37] neg_lo:[0,1] neg_hi:[0,1]
	s_delay_alu instid0(VALU_DEP_1) | instskip(NEXT) | instid1(VALU_DEP_1)
	v_add_f32_e32 v13, v13, v35
	v_add_f32_e32 v13, v34, v13
	v_cvt_f32_i32_e32 v34, v11
	s_delay_alu instid0(VALU_DEP_2) | instskip(NEXT) | instid1(VALU_DEP_1)
	v_add_f32_e32 v13, v39, v13
	v_mul_f32_e32 v13, v19, v13
	s_delay_alu instid0(VALU_DEP_1) | instskip(NEXT) | instid1(VALU_DEP_1)
	v_add_f32_e32 v13, v23, v13
	v_add_f32_e32 v19, v40, v13
	s_delay_alu instid0(VALU_DEP_1) | instskip(NEXT) | instid1(VALU_DEP_1)
	v_mul_f32_e32 v23, v19, v19
	v_fmaak_f32 v33, s7, v23, 0x3ecc95a3
	v_mul_f32_e32 v35, v19, v23
	s_delay_alu instid0(VALU_DEP_2) | instskip(NEXT) | instid1(VALU_DEP_1)
	v_fmaak_f32 v23, v23, v33, 0x3f2aaada
	v_pk_mul_f32 v[36:37], v[34:35], v[22:23]
	v_sub_f32_e32 v11, v19, v40
	s_delay_alu instid0(VALU_DEP_2) | instskip(NEXT) | instid1(VALU_DEP_2)
	v_fma_f32 v38, 0x3f317218, v34, -v36
	v_dual_mov_b32 v40, v36 :: v_dual_sub_f32 v11, v13, v11
	v_ldexp_f32 v39, v19, 1
	s_delay_alu instid0(VALU_DEP_3) | instskip(NEXT) | instid1(VALU_DEP_3)
	v_fmac_f32_e32 v38, 0xb102e308, v34
	v_ldexp_f32 v11, v11, 1
	s_delay_alu instid0(VALU_DEP_2) | instskip(NEXT) | instid1(VALU_DEP_1)
	v_pk_add_f32 v[34:35], v[36:37], v[38:39]
	v_dual_sub_f32 v13, v35, v39 :: v_dual_mov_b32 v39, v34
	s_delay_alu instid0(VALU_DEP_1) | instskip(SKIP_1) | instid1(VALU_DEP_2)
	v_dual_mov_b32 v48, v35 :: v_dual_sub_f32 v13, v37, v13
	v_pk_add_f32 v[36:37], v[34:35], v[36:37] neg_lo:[0,1] neg_hi:[0,1]
	v_add_f32_e32 v41, v11, v13
	s_delay_alu instid0(VALU_DEP_1) | instskip(NEXT) | instid1(VALU_DEP_1)
	v_pk_add_f32 v[42:43], v[34:35], v[40:41]
	v_mov_b32_e32 v37, v43
	s_delay_alu instid0(VALU_DEP_1) | instskip(SKIP_2) | instid1(VALU_DEP_3)
	v_pk_add_f32 v[44:45], v[38:39], v[36:37]
	v_mov_b32_e32 v44, v43
	v_pk_add_f32 v[36:37], v[38:39], v[36:37] neg_lo:[0,1] neg_hi:[0,1]
	v_dual_mov_b32 v40, v45 :: v_dual_mov_b32 v37, v45
	s_delay_alu instid0(VALU_DEP_1) | instskip(NEXT) | instid1(VALU_DEP_1)
	v_pk_add_f32 v[46:47], v[40:41], v[34:35] neg_lo:[0,1] neg_hi:[0,1]
	v_dual_mov_b32 v35, v34 :: v_dual_mov_b32 v49, v46
	v_dual_mov_b32 v11, v46 :: v_dual_mov_b32 v34, v41
	s_delay_alu instid0(VALU_DEP_2) | instskip(NEXT) | instid1(VALU_DEP_2)
	v_pk_add_f32 v[46:47], v[44:45], v[48:49] neg_lo:[0,1] neg_hi:[0,1]
	v_pk_add_f32 v[38:39], v[42:43], v[10:11] neg_lo:[0,1] neg_hi:[0,1]
	v_mov_b32_e32 v38, v36
	s_delay_alu instid0(VALU_DEP_3) | instskip(NEXT) | instid1(VALU_DEP_1)
	v_pk_add_f32 v[34:35], v[34:35], v[46:47] neg_lo:[0,1] neg_hi:[0,1]
	v_pk_add_f32 v[38:39], v[38:39], v[34:35]
	s_delay_alu instid0(VALU_DEP_1) | instskip(NEXT) | instid1(VALU_DEP_1)
	v_mov_b32_e32 v42, v39
	v_pk_add_f32 v[42:43], v[38:39], v[42:43]
	s_delay_alu instid0(VALU_DEP_1) | instskip(NEXT) | instid1(VALU_DEP_1)
	v_pk_add_f32 v[40:41], v[40:41], v[42:43]
	v_dual_mov_b32 v35, v42 :: v_dual_mov_b32 v39, v40
	s_delay_alu instid0(VALU_DEP_1) | instskip(NEXT) | instid1(VALU_DEP_1)
	v_pk_add_f32 v[44:45], v[38:39], v[36:37] neg_lo:[0,1] neg_hi:[0,1]
	v_sub_f32_e32 v11, v38, v44
	s_delay_alu instid0(VALU_DEP_2) | instskip(NEXT) | instid1(VALU_DEP_2)
	v_pk_add_f32 v[34:35], v[34:35], v[44:45] neg_lo:[0,1] neg_hi:[0,1]
	v_sub_f32_e32 v11, v36, v11
	s_delay_alu instid0(VALU_DEP_1) | instskip(NEXT) | instid1(VALU_DEP_1)
	v_add_f32_e32 v11, v34, v11
	v_add_f32_e32 v11, v11, v35
	s_delay_alu instid0(VALU_DEP_1) | instskip(NEXT) | instid1(VALU_DEP_1)
	v_add_f32_e32 v11, v40, v11
	v_cndmask_b32_e32 v11, 0x7f800000, v11, vcc_lo
	v_cmp_ngt_f32_e32 vcc_lo, -1.0, v32
	s_delay_alu instid0(VALU_DEP_2) | instskip(SKIP_1) | instid1(VALU_DEP_2)
	v_cndmask_b32_e32 v11, 0x7fc00000, v11, vcc_lo
	v_cmp_neq_f32_e32 vcc_lo, -1.0, v32
	v_cndmask_b32_e32 v11, 0xff800000, v11, vcc_lo
	v_cmp_gt_f32_e64 vcc_lo, 0x33800000, |v32|
	s_delay_alu instid0(VALU_DEP_2)
	v_cndmask_b32_e32 v19, v11, v32, vcc_lo
.LBB62_632:                             ;   in Loop: Header=BB62_418 Depth=1
	s_and_not1_saveexec_b32 s17, s17
	s_cbranch_execz .LBB62_638
; %bb.633:                              ;   in Loop: Header=BB62_418 Depth=1
	s_mov_b32 s18, exec_lo
                                        ; implicit-def: $vgpr19
	v_cmpx_nlt_f32_e64 |v2|, 1.0
	s_xor_b32 s18, exec_lo, s18
	s_cbranch_execz .LBB62_635
; %bb.634:                              ;   in Loop: Header=BB62_418 Depth=1
	v_mul_f32_e32 v11, v28, v29
	s_delay_alu instid0(VALU_DEP_1) | instskip(SKIP_1) | instid1(VALU_DEP_2)
	v_mul_f32_e32 v13, 0x4f800000, v11
	v_cmp_gt_f32_e32 vcc_lo, 0xf800000, v11
	v_cndmask_b32_e32 v11, v11, v13, vcc_lo
	s_delay_alu instid0(VALU_DEP_1) | instskip(SKIP_1) | instid1(TRANS32_DEP_1)
	v_sqrt_f32_e32 v13, v11
	v_nop
	v_dual_add_nc_u32 v19, -1, v13 :: v_dual_add_nc_u32 v23, 1, v13
	s_delay_alu instid0(VALU_DEP_1) | instskip(NEXT) | instid1(VALU_DEP_2)
	v_fma_f32 v32, -v19, v13, v11
	v_fma_f32 v33, -v23, v13, v11
	s_delay_alu instid0(VALU_DEP_2) | instskip(NEXT) | instid1(VALU_DEP_1)
	v_cmp_ge_f32_e64 s0, 0, v32
	v_cndmask_b32_e64 v13, v13, v19, s0
	s_delay_alu instid0(VALU_DEP_3) | instskip(NEXT) | instid1(VALU_DEP_1)
	v_cmp_lt_f32_e64 s0, 0, v33
	v_cndmask_b32_e64 v13, v13, v23, s0
	s_delay_alu instid0(VALU_DEP_1) | instskip(NEXT) | instid1(VALU_DEP_1)
	v_mul_f32_e32 v19, 0x37800000, v13
	v_cndmask_b32_e32 v13, v13, v19, vcc_lo
	v_cmp_class_f32_e64 vcc_lo, v11, 0x260
	s_delay_alu instid0(VALU_DEP_2) | instskip(NEXT) | instid1(VALU_DEP_1)
	v_cndmask_b32_e32 v11, v13, v11, vcc_lo
	v_add_f32_e32 v32, v28, v11
	s_delay_alu instid0(VALU_DEP_1) | instskip(NEXT) | instid1(VALU_DEP_1)
	v_add_f32_e32 v35, 1.0, v32
	v_cvt_f64_f32_e32 v[36:37], v35
	v_frexp_mant_f32_e32 v13, v35
	s_delay_alu instid0(VALU_DEP_1) | instskip(NEXT) | instid1(VALU_DEP_3)
	v_cmp_gt_f32_e32 vcc_lo, 0x3f2aaaab, v13
	v_frexp_exp_i32_f64_e32 v11, v[36:37]
	s_delay_alu instid0(VALU_DEP_1) | instskip(SKIP_1) | instid1(VALU_DEP_2)
	v_subrev_co_ci_u32_e64 v11, null, 0, v11, vcc_lo
	v_cmp_neq_f32_e32 vcc_lo, 0x7f800000, v32
	v_sub_nc_u32_e32 v13, 0, v11
	s_delay_alu instid0(VALU_DEP_1) | instskip(SKIP_1) | instid1(VALU_DEP_1)
	v_ldexp_f32 v19, v35, v13
	v_add_f32_e32 v33, -1.0, v35
	v_dual_add_f32 v39, -1.0, v19 :: v_dual_mov_b32 v34, v33
	s_delay_alu instid0(VALU_DEP_1) | instskip(NEXT) | instid1(VALU_DEP_1)
	v_pk_add_f32 v[36:37], v[32:33], v[34:35] neg_lo:[0,1] neg_hi:[0,1]
	v_dual_add_f32 v33, 1.0, v19 :: v_dual_add_f32 v23, 1.0, v37
	s_delay_alu instid0(VALU_DEP_1) | instskip(NEXT) | instid1(VALU_DEP_1)
	v_dual_add_f32 v34, -1.0, v33 :: v_dual_add_f32 v23, v36, v23
	v_ldexp_f32 v13, v23, v13
	s_delay_alu instid0(VALU_DEP_2) | instskip(NEXT) | instid1(VALU_DEP_1)
	v_dual_sub_f32 v23, v19, v34 :: v_dual_add_f32 v34, 1.0, v39
	v_dual_add_f32 v23, v13, v23 :: v_dual_sub_f32 v19, v19, v34
	s_delay_alu instid0(VALU_DEP_1) | instskip(NEXT) | instid1(VALU_DEP_1)
	v_add_f32_e32 v40, v33, v23
	v_dual_add_f32 v13, v13, v19 :: v_dual_sub_f32 v33, v40, v33
	s_delay_alu instid0(VALU_DEP_1) | instskip(NEXT) | instid1(VALU_DEP_2)
	v_add_f32_e32 v35, v39, v13
	v_sub_f32_e32 v23, v23, v33
	v_rcp_f32_e32 v19, v40
	s_delay_alu instid0(VALU_DEP_2)
	v_sub_f32_e32 v33, v35, v39
	s_delay_alu instid0(TRANS32_DEP_1) | instid1(VALU_DEP_1)
	v_dual_mul_f32 v41, v35, v19 :: v_dual_sub_f32 v13, v13, v33
	s_delay_alu instid0(VALU_DEP_1) | instskip(NEXT) | instid1(VALU_DEP_1)
	v_mul_f32_e32 v36, v40, v41
	v_fma_f32 v38, v41, v40, -v36
	s_delay_alu instid0(VALU_DEP_1) | instskip(NEXT) | instid1(VALU_DEP_1)
	v_fmac_f32_e32 v38, v41, v23
	v_add_f32_e32 v34, v36, v38
	s_delay_alu instid0(VALU_DEP_1) | instskip(NEXT) | instid1(VALU_DEP_1)
	v_dual_sub_f32 v37, v35, v34 :: v_dual_mov_b32 v39, v34
	v_pk_add_f32 v[34:35], v[34:35], v[36:37] neg_lo:[0,1] neg_hi:[0,1]
	s_delay_alu instid0(VALU_DEP_1) | instskip(NEXT) | instid1(VALU_DEP_1)
	v_pk_add_f32 v[34:35], v[34:35], v[38:39] neg_lo:[0,1] neg_hi:[0,1]
	v_add_f32_e32 v13, v13, v35
	s_delay_alu instid0(VALU_DEP_1) | instskip(NEXT) | instid1(VALU_DEP_1)
	v_add_f32_e32 v13, v34, v13
	v_add_f32_e32 v35, v37, v13
	s_delay_alu instid0(VALU_DEP_1) | instskip(NEXT) | instid1(VALU_DEP_1)
	v_mul_f32_e32 v33, v19, v35
	v_mul_f32_e32 v38, v40, v33
	s_delay_alu instid0(VALU_DEP_1) | instskip(SKIP_1) | instid1(VALU_DEP_2)
	v_fma_f32 v36, v33, v40, -v38
	v_add_f32_e32 v40, v41, v33
	v_fmac_f32_e32 v36, v33, v23
	s_delay_alu instid0(VALU_DEP_1) | instskip(NEXT) | instid1(VALU_DEP_1)
	v_dual_add_f32 v34, v38, v36 :: v_dual_sub_f32 v23, v37, v35
	v_dual_sub_f32 v39, v35, v34 :: v_dual_mov_b32 v37, v34
	s_delay_alu instid0(VALU_DEP_2) | instskip(NEXT) | instid1(VALU_DEP_2)
	v_dual_add_f32 v13, v13, v23 :: v_dual_sub_f32 v23, v40, v41
	v_pk_add_f32 v[34:35], v[34:35], v[38:39] neg_lo:[0,1] neg_hi:[0,1]
	s_delay_alu instid0(VALU_DEP_2) | instskip(NEXT) | instid1(VALU_DEP_2)
	v_sub_f32_e32 v23, v33, v23
	v_pk_add_f32 v[34:35], v[34:35], v[36:37] neg_lo:[0,1] neg_hi:[0,1]
	s_delay_alu instid0(VALU_DEP_1) | instskip(NEXT) | instid1(VALU_DEP_1)
	v_add_f32_e32 v13, v13, v35
	v_add_f32_e32 v13, v34, v13
	v_cvt_f32_i32_e32 v34, v11
	s_delay_alu instid0(VALU_DEP_2) | instskip(NEXT) | instid1(VALU_DEP_1)
	v_add_f32_e32 v13, v39, v13
	v_mul_f32_e32 v13, v19, v13
	s_delay_alu instid0(VALU_DEP_1) | instskip(NEXT) | instid1(VALU_DEP_1)
	v_add_f32_e32 v13, v23, v13
	v_add_f32_e32 v19, v40, v13
	s_delay_alu instid0(VALU_DEP_1) | instskip(NEXT) | instid1(VALU_DEP_1)
	v_mul_f32_e32 v23, v19, v19
	v_fmaak_f32 v33, s7, v23, 0x3ecc95a3
	v_mul_f32_e32 v35, v19, v23
	s_delay_alu instid0(VALU_DEP_2) | instskip(NEXT) | instid1(VALU_DEP_1)
	v_fmaak_f32 v23, v23, v33, 0x3f2aaada
	v_pk_mul_f32 v[36:37], v[34:35], v[22:23]
	v_sub_f32_e32 v11, v19, v40
	s_delay_alu instid0(VALU_DEP_2) | instskip(NEXT) | instid1(VALU_DEP_2)
	v_fma_f32 v38, 0x3f317218, v34, -v36
	v_dual_mov_b32 v40, v36 :: v_dual_sub_f32 v11, v13, v11
	v_ldexp_f32 v39, v19, 1
	s_delay_alu instid0(VALU_DEP_3) | instskip(NEXT) | instid1(VALU_DEP_3)
	v_fmac_f32_e32 v38, 0xb102e308, v34
	v_ldexp_f32 v11, v11, 1
	s_delay_alu instid0(VALU_DEP_2) | instskip(NEXT) | instid1(VALU_DEP_1)
	v_pk_add_f32 v[34:35], v[36:37], v[38:39]
	v_dual_sub_f32 v13, v35, v39 :: v_dual_mov_b32 v39, v34
	s_delay_alu instid0(VALU_DEP_1) | instskip(SKIP_1) | instid1(VALU_DEP_2)
	v_dual_mov_b32 v48, v35 :: v_dual_sub_f32 v13, v37, v13
	v_pk_add_f32 v[36:37], v[34:35], v[36:37] neg_lo:[0,1] neg_hi:[0,1]
	v_add_f32_e32 v41, v11, v13
	s_delay_alu instid0(VALU_DEP_1) | instskip(NEXT) | instid1(VALU_DEP_1)
	v_pk_add_f32 v[42:43], v[34:35], v[40:41]
	v_mov_b32_e32 v37, v43
	s_delay_alu instid0(VALU_DEP_1) | instskip(SKIP_2) | instid1(VALU_DEP_3)
	v_pk_add_f32 v[44:45], v[38:39], v[36:37]
	v_mov_b32_e32 v44, v43
	v_pk_add_f32 v[36:37], v[38:39], v[36:37] neg_lo:[0,1] neg_hi:[0,1]
	v_dual_mov_b32 v40, v45 :: v_dual_mov_b32 v37, v45
	s_delay_alu instid0(VALU_DEP_1) | instskip(NEXT) | instid1(VALU_DEP_1)
	v_pk_add_f32 v[46:47], v[40:41], v[34:35] neg_lo:[0,1] neg_hi:[0,1]
	v_dual_mov_b32 v35, v34 :: v_dual_mov_b32 v49, v46
	v_dual_mov_b32 v11, v46 :: v_dual_mov_b32 v34, v41
	s_delay_alu instid0(VALU_DEP_2) | instskip(NEXT) | instid1(VALU_DEP_2)
	v_pk_add_f32 v[46:47], v[44:45], v[48:49] neg_lo:[0,1] neg_hi:[0,1]
	v_pk_add_f32 v[38:39], v[42:43], v[10:11] neg_lo:[0,1] neg_hi:[0,1]
	v_mov_b32_e32 v38, v36
	s_delay_alu instid0(VALU_DEP_3) | instskip(NEXT) | instid1(VALU_DEP_1)
	v_pk_add_f32 v[34:35], v[34:35], v[46:47] neg_lo:[0,1] neg_hi:[0,1]
	v_pk_add_f32 v[38:39], v[38:39], v[34:35]
	s_delay_alu instid0(VALU_DEP_1) | instskip(NEXT) | instid1(VALU_DEP_1)
	v_mov_b32_e32 v42, v39
	v_pk_add_f32 v[42:43], v[38:39], v[42:43]
	s_delay_alu instid0(VALU_DEP_1) | instskip(NEXT) | instid1(VALU_DEP_1)
	v_pk_add_f32 v[40:41], v[40:41], v[42:43]
	v_dual_mov_b32 v35, v42 :: v_dual_mov_b32 v39, v40
	s_delay_alu instid0(VALU_DEP_1) | instskip(NEXT) | instid1(VALU_DEP_1)
	v_pk_add_f32 v[44:45], v[38:39], v[36:37] neg_lo:[0,1] neg_hi:[0,1]
	v_sub_f32_e32 v11, v38, v44
	s_delay_alu instid0(VALU_DEP_2) | instskip(NEXT) | instid1(VALU_DEP_2)
	v_pk_add_f32 v[34:35], v[34:35], v[44:45] neg_lo:[0,1] neg_hi:[0,1]
	v_sub_f32_e32 v11, v36, v11
	s_delay_alu instid0(VALU_DEP_1) | instskip(NEXT) | instid1(VALU_DEP_1)
	v_add_f32_e32 v11, v34, v11
	v_add_f32_e32 v11, v11, v35
	s_delay_alu instid0(VALU_DEP_1) | instskip(NEXT) | instid1(VALU_DEP_1)
	v_add_f32_e32 v11, v40, v11
	v_cndmask_b32_e32 v11, 0x7f800000, v11, vcc_lo
	v_cmp_ngt_f32_e32 vcc_lo, -1.0, v32
	s_delay_alu instid0(VALU_DEP_2) | instskip(SKIP_1) | instid1(VALU_DEP_2)
	v_cndmask_b32_e32 v11, 0x7fc00000, v11, vcc_lo
	v_cmp_neq_f32_e32 vcc_lo, -1.0, v32
	v_cndmask_b32_e32 v11, 0xff800000, v11, vcc_lo
	v_cmp_gt_f32_e64 vcc_lo, 0x33800000, |v32|
	s_delay_alu instid0(VALU_DEP_2)
	v_cndmask_b32_e32 v19, v11, v32, vcc_lo
.LBB62_635:                             ;   in Loop: Header=BB62_418 Depth=1
	s_and_not1_saveexec_b32 s18, s18
	s_cbranch_execz .LBB62_637
; %bb.636:                              ;   in Loop: Header=BB62_418 Depth=1
	v_sub_f32_e64 v11, 1.0, |v2|
	s_delay_alu instid0(VALU_DEP_1) | instskip(NEXT) | instid1(VALU_DEP_1)
	v_mul_f32_e32 v11, v11, v29
	v_mul_f32_e32 v13, 0x4f800000, v11
	v_cmp_gt_f32_e32 vcc_lo, 0xf800000, v11
	s_delay_alu instid0(VALU_DEP_2) | instskip(NEXT) | instid1(VALU_DEP_1)
	v_cndmask_b32_e32 v11, v11, v13, vcc_lo
	v_sqrt_f32_e32 v13, v11
	v_nop
	s_delay_alu instid0(TRANS32_DEP_1) | instskip(NEXT) | instid1(VALU_DEP_1)
	v_dual_add_nc_u32 v19, -1, v13 :: v_dual_add_nc_u32 v23, 1, v13
	v_fma_f32 v32, -v19, v13, v11
	s_delay_alu instid0(VALU_DEP_2) | instskip(NEXT) | instid1(VALU_DEP_2)
	v_fma_f32 v33, -v23, v13, v11
	v_cmp_ge_f32_e64 s0, 0, v32
	s_delay_alu instid0(VALU_DEP_1) | instskip(NEXT) | instid1(VALU_DEP_3)
	v_cndmask_b32_e64 v13, v13, v19, s0
	v_cmp_lt_f32_e64 s0, 0, v33
	s_delay_alu instid0(VALU_DEP_1) | instskip(NEXT) | instid1(VALU_DEP_1)
	v_cndmask_b32_e64 v13, v13, v23, s0
	v_mul_f32_e32 v19, 0x37800000, v13
	s_delay_alu instid0(VALU_DEP_1) | instskip(SKIP_2) | instid1(VALU_DEP_3)
	v_cndmask_b32_e32 v13, v13, v19, vcc_lo
	v_cmp_class_f32_e64 vcc_lo, v11, 0x260
	v_and_b32_e32 v19, 0x7fffffff, v3
	v_cndmask_b32_e32 v11, v13, v11, vcc_lo
	s_delay_alu instid0(VALU_DEP_1) | instskip(SKIP_1) | instid1(VALU_DEP_2)
	v_div_scale_f32 v13, null, v11, v11, v19
	v_div_scale_f32 v19, vcc_lo, v19, v11, v19
	v_rcp_f32_e32 v23, v13
	v_nop
	s_delay_alu instid0(TRANS32_DEP_1) | instskip(NEXT) | instid1(VALU_DEP_1)
	v_fma_f32 v32, -v13, v23, 1.0
	v_fmac_f32_e32 v23, v32, v23
	s_delay_alu instid0(VALU_DEP_1) | instskip(NEXT) | instid1(VALU_DEP_1)
	v_mul_f32_e32 v32, v19, v23
	v_fma_f32 v33, -v13, v32, v19
	s_delay_alu instid0(VALU_DEP_1) | instskip(NEXT) | instid1(VALU_DEP_1)
	v_fmac_f32_e32 v32, v33, v23
	v_fma_f32 v13, -v13, v32, v19
	s_delay_alu instid0(VALU_DEP_1) | instskip(NEXT) | instid1(VALU_DEP_1)
	v_div_fmas_f32 v13, v13, v23, v32
	v_div_fixup_f32 v19, v13, v11, |v3|
.LBB62_637:                             ;   in Loop: Header=BB62_418 Depth=1
	s_or_b32 exec_lo, exec_lo, s18
.LBB62_638:                             ;   in Loop: Header=BB62_418 Depth=1
	s_delay_alu instid0(SALU_CYCLE_1)
	s_or_b32 exec_lo, exec_lo, s17
.LBB62_639:                             ;   in Loop: Header=BB62_418 Depth=1
	s_and_not1_saveexec_b32 s16, s16
	s_cbranch_execz .LBB62_641
; %bb.640:                              ;   in Loop: Header=BB62_418 Depth=1
	v_mul_f32_e64 v11, 0x4f800000, |v3|
	v_cmp_gt_f32_e64 vcc_lo, 0xf800000, |v3|
	s_delay_alu instid0(VALU_DEP_1) | instskip(NEXT) | instid1(VALU_DEP_1)
	v_cndmask_b32_e64 v11, |v3|, v11, vcc_lo
	v_sqrt_f32_e32 v13, v11
	v_nop
	s_delay_alu instid0(TRANS32_DEP_1) | instskip(NEXT) | instid1(VALU_DEP_1)
	v_dual_add_nc_u32 v19, -1, v13 :: v_dual_add_nc_u32 v23, 1, v13
	v_fma_f32 v32, -v19, v13, v11
	s_delay_alu instid0(VALU_DEP_2) | instskip(NEXT) | instid1(VALU_DEP_2)
	v_fma_f32 v33, -v23, v13, v11
	v_cmp_ge_f32_e64 s0, 0, v32
	s_delay_alu instid0(VALU_DEP_1) | instskip(NEXT) | instid1(VALU_DEP_3)
	v_cndmask_b32_e64 v13, v13, v19, s0
	v_cmp_lt_f32_e64 s0, 0, v33
	s_delay_alu instid0(VALU_DEP_1) | instskip(NEXT) | instid1(VALU_DEP_1)
	v_cndmask_b32_e64 v13, v13, v23, s0
	v_mul_f32_e32 v19, 0x37800000, v13
	s_delay_alu instid0(VALU_DEP_1) | instskip(SKIP_1) | instid1(VALU_DEP_2)
	v_cndmask_b32_e32 v13, v13, v19, vcc_lo
	v_cmp_class_f32_e64 vcc_lo, v11, 0x260
	v_cndmask_b32_e32 v19, v13, v11, vcc_lo
.LBB62_641:                             ;   in Loop: Header=BB62_418 Depth=1
	s_or_b32 exec_lo, exec_lo, s16
.LBB62_642:                             ;   in Loop: Header=BB62_418 Depth=1
	s_delay_alu instid0(SALU_CYCLE_1) | instskip(NEXT) | instid1(SALU_CYCLE_1)
	s_or_b32 exec_lo, exec_lo, s1
	s_mov_b32 s16, exec_lo
                                        ; implicit-def: $sgpr0
                                        ; implicit-def: $vgpr13
                                        ; implicit-def: $vgpr23
	v_cmpx_ngt_f32_e64 0x21000000, |v2|
	s_xor_b32 s16, exec_lo, s16
	s_cbranch_execz .LBB62_666
; %bb.643:                              ;   in Loop: Header=BB62_418 Depth=1
	v_and_b32_e32 v13, 0x7fffffff, v2
	s_mov_b32 s0, 0
	s_mov_b32 s17, exec_lo
	s_delay_alu instid0(VALU_DEP_1) | instskip(NEXT) | instid1(VALU_DEP_1)
	v_div_scale_f32 v11, null, v10, v10, v13
	v_rcp_f32_e32 v23, v11
	v_nop
	s_delay_alu instid0(TRANS32_DEP_1) | instskip(NEXT) | instid1(VALU_DEP_1)
	v_fma_f32 v32, -v11, v23, 1.0
	v_fmac_f32_e32 v23, v32, v23
	v_div_scale_f32 v32, vcc_lo, v13, v10, v13
	s_delay_alu instid0(VALU_DEP_1) | instskip(NEXT) | instid1(VALU_DEP_1)
	v_mul_f32_e32 v33, v32, v23
	v_fma_f32 v34, -v11, v33, v32
	s_delay_alu instid0(VALU_DEP_1) | instskip(NEXT) | instid1(VALU_DEP_1)
	v_fmac_f32_e32 v33, v34, v23
	v_fma_f32 v11, -v11, v33, v32
	s_delay_alu instid0(VALU_DEP_1) | instskip(NEXT) | instid1(VALU_DEP_1)
	v_div_fmas_f32 v11, v11, v23, v33
	v_div_fixup_f32 v23, v11, v10, |v2|
	s_delay_alu instid0(VALU_DEP_1)
	v_cmpx_lt_f32_e32 0x3f244674, v23
	s_cbranch_execz .LBB62_665
; %bb.644:                              ;   in Loop: Header=BB62_418 Depth=1
	v_cmp_neq_f32_e64 s0, |v2|, 1.0
	v_cmp_ngt_f32_e64 s1, 0x30800000, |v3|
	s_or_b32 s0, s0, s1
	s_delay_alu instid0(SALU_CYCLE_1) | instskip(NEXT) | instid1(SALU_CYCLE_1)
	s_and_saveexec_b32 s1, s0
	s_xor_b32 s1, exec_lo, s1
	s_cbranch_execz .LBB62_662
; %bb.645:                              ;   in Loop: Header=BB62_418 Depth=1
	v_mul_f32_e64 v11, 0x34000000, |v28|
	s_mov_b32 s18, exec_lo
	s_delay_alu instid0(VALU_DEP_1)
	v_cmpx_ge_f32_e64 |v3|, v11
	s_xor_b32 s18, exec_lo, s18
	s_cbranch_execz .LBB62_655
; %bb.646:                              ;   in Loop: Header=BB62_418 Depth=1
	v_mov_b32_e32 v11, v30
	s_mov_b32 s0, exec_lo
	v_cmpx_neq_f32_e32 0, v29
	s_cbranch_execz .LBB62_648
; %bb.647:                              ;   in Loop: Header=BB62_418 Depth=1
	v_mul_f32_e32 v11, v3, v3
	v_add_f32_e32 v29, v29, v31
	s_delay_alu instid0(VALU_DEP_1) | instskip(NEXT) | instid1(VALU_DEP_1)
	v_div_scale_f32 v31, null, v29, v29, v11
	v_rcp_f32_e32 v32, v31
	v_nop
	s_delay_alu instid0(TRANS32_DEP_1) | instskip(NEXT) | instid1(VALU_DEP_1)
	v_fma_f32 v33, -v31, v32, 1.0
	v_fmac_f32_e32 v32, v33, v32
	v_div_scale_f32 v33, vcc_lo, v11, v29, v11
	s_delay_alu instid0(VALU_DEP_1) | instskip(NEXT) | instid1(VALU_DEP_1)
	v_mul_f32_e32 v34, v33, v32
	v_fma_f32 v35, -v31, v34, v33
	s_delay_alu instid0(VALU_DEP_1) | instskip(NEXT) | instid1(VALU_DEP_1)
	v_fmac_f32_e32 v34, v35, v32
	v_fma_f32 v31, -v31, v34, v33
	s_delay_alu instid0(VALU_DEP_1) | instskip(NEXT) | instid1(VALU_DEP_1)
	v_div_fmas_f32 v31, v31, v32, v34
	v_div_fixup_f32 v11, v31, v29, v11
.LBB62_648:                             ;   in Loop: Header=BB62_418 Depth=1
	s_or_b32 exec_lo, exec_lo, s0
	s_delay_alu instid0(SALU_CYCLE_1)
	s_mov_b32 s0, exec_lo
	v_cmpx_ngt_f32_e32 0, v28
	s_xor_b32 s0, exec_lo, s0
	s_cbranch_execz .LBB62_652
; %bb.649:                              ;   in Loop: Header=BB62_418 Depth=1
	s_mov_b32 s19, exec_lo
	v_cmpx_neq_f32_e32 0, v28
	s_cbranch_execz .LBB62_651
; %bb.650:                              ;   in Loop: Header=BB62_418 Depth=1
	v_dual_mul_f32 v29, v3, v3 :: v_dual_add_f32 v12, v28, v12
	s_delay_alu instid0(VALU_DEP_1) | instskip(NEXT) | instid1(VALU_DEP_1)
	v_div_scale_f32 v28, null, v12, v12, v29
	v_rcp_f32_e32 v30, v28
	v_nop
	s_delay_alu instid0(TRANS32_DEP_1) | instskip(NEXT) | instid1(VALU_DEP_1)
	v_fma_f32 v31, -v28, v30, 1.0
	v_fmac_f32_e32 v30, v31, v30
	v_div_scale_f32 v31, vcc_lo, v29, v12, v29
	s_delay_alu instid0(VALU_DEP_1) | instskip(NEXT) | instid1(VALU_DEP_1)
	v_mul_f32_e32 v32, v31, v30
	v_fma_f32 v33, -v28, v32, v31
	s_delay_alu instid0(VALU_DEP_1) | instskip(NEXT) | instid1(VALU_DEP_1)
	v_fmac_f32_e32 v32, v33, v30
	v_fma_f32 v28, -v28, v32, v31
	s_delay_alu instid0(VALU_DEP_1) | instskip(NEXT) | instid1(VALU_DEP_1)
	v_div_fmas_f32 v28, v28, v30, v32
	v_div_fixup_f32 v30, v28, v12, v29
.LBB62_651:                             ;   in Loop: Header=BB62_418 Depth=1
	s_or_b32 exec_lo, exec_lo, s19
                                        ; implicit-def: $vgpr12
                                        ; implicit-def: $vgpr28
.LBB62_652:                             ;   in Loop: Header=BB62_418 Depth=1
	s_and_not1_saveexec_b32 s0, s0
; %bb.653:                              ;   in Loop: Header=BB62_418 Depth=1
	v_sub_f32_e32 v30, v12, v28
; %bb.654:                              ;   in Loop: Header=BB62_418 Depth=1
	s_or_b32 exec_lo, exec_lo, s0
	s_delay_alu instid0(VALU_DEP_1) | instskip(SKIP_1) | instid1(VALU_DEP_1)
	v_dual_mul_f32 v29, 0.5, v11 :: v_dual_mul_f32 v11, 0.5, v30
	v_and_b32_e32 v28, 0x7fffffff, v2
	v_pk_add_f32 v[10:11], v[28:29], v[10:11]
	s_delay_alu instid0(VALU_DEP_1) | instskip(NEXT) | instid1(VALU_DEP_1)
	v_mul_f32_e32 v10, v10, v11
	v_mul_f32_e32 v11, 0x4f800000, v10
	v_cmp_gt_f32_e32 vcc_lo, 0xf800000, v10
	s_delay_alu instid0(VALU_DEP_2) | instskip(NEXT) | instid1(VALU_DEP_1)
	v_cndmask_b32_e32 v10, v10, v11, vcc_lo
	v_sqrt_f32_e32 v11, v10
	v_nop
	s_delay_alu instid0(TRANS32_DEP_1) | instskip(NEXT) | instid1(VALU_DEP_1)
	v_dual_add_nc_u32 v12, -1, v11 :: v_dual_add_nc_u32 v28, 1, v11
	v_fma_f32 v29, -v12, v11, v10
	s_delay_alu instid0(VALU_DEP_2) | instskip(NEXT) | instid1(VALU_DEP_2)
	v_fma_f32 v30, -v28, v11, v10
	v_cmp_ge_f32_e64 s0, 0, v29
                                        ; implicit-def: $vgpr29
	s_delay_alu instid0(VALU_DEP_1) | instskip(NEXT) | instid1(VALU_DEP_3)
	v_cndmask_b32_e64 v11, v11, v12, s0
	v_cmp_lt_f32_e64 s0, 0, v30
	s_delay_alu instid0(VALU_DEP_1) | instskip(NEXT) | instid1(VALU_DEP_1)
	v_cndmask_b32_e64 v11, v11, v28, s0
                                        ; implicit-def: $vgpr28
	v_mul_f32_e32 v12, 0x37800000, v11
	s_delay_alu instid0(VALU_DEP_1) | instskip(SKIP_1) | instid1(VALU_DEP_2)
	v_cndmask_b32_e32 v11, v11, v12, vcc_lo
	v_cmp_class_f32_e64 vcc_lo, v10, 0x260
	v_cndmask_b32_e32 v12, v11, v10, vcc_lo
.LBB62_655:                             ;   in Loop: Header=BB62_418 Depth=1
	s_and_not1_saveexec_b32 s18, s18
	s_cbranch_execz .LBB62_661
; %bb.656:                              ;   in Loop: Header=BB62_418 Depth=1
	s_mov_b32 s19, exec_lo
	v_cmpx_ngt_f32_e64 |v2|, 1.0
	s_xor_b32 s19, exec_lo, s19
	s_cbranch_execz .LBB62_658
; %bb.657:                              ;   in Loop: Header=BB62_418 Depth=1
	v_sub_f32_e64 v10, 1.0, |v2|
	s_delay_alu instid0(VALU_DEP_1) | instskip(NEXT) | instid1(VALU_DEP_1)
	v_mul_f32_e32 v10, v10, v29
	v_mul_f32_e32 v11, 0x4f800000, v10
	v_cmp_gt_f32_e32 vcc_lo, 0xf800000, v10
	s_delay_alu instid0(VALU_DEP_2) | instskip(NEXT) | instid1(VALU_DEP_1)
	v_cndmask_b32_e32 v10, v10, v11, vcc_lo
	v_sqrt_f32_e32 v11, v10
	v_nop
	s_delay_alu instid0(TRANS32_DEP_1) | instskip(NEXT) | instid1(VALU_DEP_1)
	v_dual_add_nc_u32 v12, -1, v11 :: v_dual_add_nc_u32 v28, 1, v11
	v_fma_f32 v29, -v12, v11, v10
	s_delay_alu instid0(VALU_DEP_2) | instskip(NEXT) | instid1(VALU_DEP_2)
	v_fma_f32 v30, -v28, v11, v10
	v_cmp_ge_f32_e64 s0, 0, v29
                                        ; implicit-def: $vgpr29
	s_delay_alu instid0(VALU_DEP_1) | instskip(NEXT) | instid1(VALU_DEP_3)
	v_cndmask_b32_e64 v11, v11, v12, s0
	v_cmp_lt_f32_e64 s0, 0, v30
	s_delay_alu instid0(VALU_DEP_1) | instskip(NEXT) | instid1(VALU_DEP_1)
	v_cndmask_b32_e64 v11, v11, v28, s0
                                        ; implicit-def: $vgpr28
	v_mul_f32_e32 v12, 0x37800000, v11
	s_delay_alu instid0(VALU_DEP_1) | instskip(SKIP_1) | instid1(VALU_DEP_2)
	v_cndmask_b32_e32 v11, v11, v12, vcc_lo
	v_cmp_class_f32_e64 vcc_lo, v10, 0x260
	v_cndmask_b32_e32 v12, v11, v10, vcc_lo
.LBB62_658:                             ;   in Loop: Header=BB62_418 Depth=1
	s_and_not1_saveexec_b32 s19, s19
	s_cbranch_execz .LBB62_660
; %bb.659:                              ;   in Loop: Header=BB62_418 Depth=1
	v_mul_f32_e32 v10, v29, v28
	s_delay_alu instid0(VALU_DEP_1) | instskip(SKIP_1) | instid1(VALU_DEP_2)
	v_mul_f32_e32 v11, 0x4f800000, v10
	v_cmp_gt_f32_e32 vcc_lo, 0xf800000, v10
	v_cndmask_b32_e32 v10, v10, v11, vcc_lo
	s_delay_alu instid0(VALU_DEP_1) | instskip(SKIP_1) | instid1(TRANS32_DEP_1)
	v_sqrt_f32_e32 v11, v10
	v_nop
	v_dual_add_nc_u32 v12, -1, v11 :: v_dual_add_nc_u32 v13, 1, v11
	s_delay_alu instid0(VALU_DEP_1) | instskip(NEXT) | instid1(VALU_DEP_1)
	v_dual_fma_f32 v28, -v12, v11, v10 :: v_dual_fma_f32 v29, -v13, v11, v10
	v_cmp_ge_f32_e64 s0, 0, v28
	s_delay_alu instid0(VALU_DEP_1) | instskip(NEXT) | instid1(VALU_DEP_3)
	v_cndmask_b32_e64 v11, v11, v12, s0
	v_cmp_lt_f32_e64 s0, 0, v29
	s_delay_alu instid0(VALU_DEP_1) | instskip(SKIP_1) | instid1(VALU_DEP_2)
	v_cndmask_b32_e64 v11, v11, v13, s0
	v_mul_f32_e64 v13, 0x57800000, |v3|
	v_mul_f32_e32 v12, 0x37800000, v11
	s_delay_alu instid0(VALU_DEP_1) | instskip(SKIP_1) | instid1(VALU_DEP_4)
	v_cndmask_b32_e32 v11, v11, v12, vcc_lo
	v_cmp_class_f32_e64 vcc_lo, v10, 0x260
	v_mul_f32_e64 v12, |v2|, v13
	s_delay_alu instid0(VALU_DEP_3) | instskip(NEXT) | instid1(VALU_DEP_1)
	v_cndmask_b32_e32 v10, v11, v10, vcc_lo
	v_div_scale_f32 v11, null, v10, v10, v12
	v_div_scale_f32 v29, vcc_lo, v12, v10, v12
	s_delay_alu instid0(VALU_DEP_2) | instskip(SKIP_1) | instid1(TRANS32_DEP_1)
	v_rcp_f32_e32 v13, v11
	v_nop
	v_fma_f32 v28, -v11, v13, 1.0
	s_delay_alu instid0(VALU_DEP_1) | instskip(NEXT) | instid1(VALU_DEP_1)
	v_fmac_f32_e32 v13, v28, v13
	v_mul_f32_e32 v28, v29, v13
	s_delay_alu instid0(VALU_DEP_1) | instskip(NEXT) | instid1(VALU_DEP_1)
	v_fma_f32 v30, -v11, v28, v29
	v_fmac_f32_e32 v28, v30, v13
	s_delay_alu instid0(VALU_DEP_1) | instskip(NEXT) | instid1(VALU_DEP_1)
	v_fma_f32 v11, -v11, v28, v29
	v_div_fmas_f32 v11, v11, v13, v28
	v_mul_f32_e64 v13, 0x57800000, |v2|
	s_delay_alu instid0(VALU_DEP_2)
	v_div_fixup_f32 v12, v11, v10, v12
.LBB62_660:                             ;   in Loop: Header=BB62_418 Depth=1
	s_or_b32 exec_lo, exec_lo, s19
.LBB62_661:                             ;   in Loop: Header=BB62_418 Depth=1
	s_delay_alu instid0(SALU_CYCLE_1)
	s_or_b32 exec_lo, exec_lo, s18
                                        ; implicit-def: $vgpr10
.LBB62_662:                             ;   in Loop: Header=BB62_418 Depth=1
	s_and_not1_saveexec_b32 s18, s1
	s_cbranch_execz .LBB62_664
; %bb.663:                              ;   in Loop: Header=BB62_418 Depth=1
	v_add_f32_e32 v10, 1.0, v10
	v_mul_f32_e64 v11, 0x4f800000, |v3|
	v_cmp_gt_f32_e64 vcc_lo, 0xf800000, |v3|
	s_delay_alu instid0(VALU_DEP_3) | instskip(NEXT) | instid1(VALU_DEP_2)
	v_mul_f32_e32 v10, 0.5, v10
	v_cndmask_b32_e64 v11, |v3|, v11, vcc_lo
	s_delay_alu instid0(VALU_DEP_2) | instskip(SKIP_1) | instid1(VALU_DEP_1)
	v_mul_f32_e32 v12, 0x4f800000, v10
	v_cmp_gt_f32_e64 s0, 0xf800000, v10
	v_cndmask_b32_e64 v10, v10, v12, s0
	s_delay_alu instid0(VALU_DEP_4) | instskip(SKIP_1) | instid1(TRANS32_DEP_1)
	v_sqrt_f32_e32 v12, v11
	v_nop
	v_add_nc_u32_e32 v30, 1, v12
	s_delay_alu instid0(VALU_DEP_3) | instskip(NEXT) | instid1(VALU_DEP_1)
	v_sqrt_f32_e32 v13, v10
	v_dual_add_nc_u32 v28, -1, v12 :: v_dual_fma_f32 v34, -v30, v12, v11
	s_delay_alu instid0(TRANS32_DEP_1) | instid1(VALU_DEP_1)
	v_dual_fma_f32 v31, -v28, v12, v11 :: v_dual_add_nc_u32 v32, 1, v13
	v_add_nc_u32_e32 v29, -1, v13
	s_delay_alu instid0(VALU_DEP_2) | instskip(NEXT) | instid1(VALU_DEP_1)
	v_cmp_ge_f32_e64 s1, 0, v31
	v_dual_fma_f32 v33, -v29, v13, v10 :: v_dual_cndmask_b32 v12, v12, v28, s1
	s_delay_alu instid0(VALU_DEP_4) | instskip(NEXT) | instid1(VALU_DEP_2)
	v_fma_f32 v28, -v32, v13, v10
	v_cmp_ge_f32_e64 s1, 0, v33
	s_delay_alu instid0(VALU_DEP_1) | instskip(SKIP_1) | instid1(VALU_DEP_1)
	v_cndmask_b32_e64 v13, v13, v29, s1
	v_cmp_lt_f32_e64 s1, 0, v34
	v_cndmask_b32_e64 v12, v12, v30, s1
	v_cmp_lt_f32_e64 s1, 0, v28
	s_delay_alu instid0(VALU_DEP_1) | instskip(NEXT) | instid1(VALU_DEP_1)
	v_cndmask_b32_e64 v13, v13, v32, s1
	v_mul_f32_e32 v29, 0x37800000, v13
	s_delay_alu instid0(VALU_DEP_1) | instskip(SKIP_1) | instid1(VALU_DEP_1)
	v_cndmask_b32_e64 v13, v13, v29, s0
	v_mul_f32_e32 v28, 0x37800000, v12
	v_cndmask_b32_e32 v12, v12, v28, vcc_lo
	v_cmp_class_f32_e64 vcc_lo, v11, 0x260
	s_delay_alu instid0(VALU_DEP_2) | instskip(SKIP_2) | instid1(VALU_DEP_1)
	v_cndmask_b32_e32 v11, v12, v11, vcc_lo
	v_cmp_class_f32_e64 vcc_lo, v10, 0x260
	v_dual_cndmask_b32 v10, v13, v10 :: v_dual_mov_b32 v13, 1.0
	v_mul_f32_e32 v12, v11, v10
.LBB62_664:                             ;   in Loop: Header=BB62_418 Depth=1
	s_or_b32 exec_lo, exec_lo, s18
	s_delay_alu instid0(SALU_CYCLE_1)
	s_mov_b32 s0, exec_lo
.LBB62_665:                             ;   in Loop: Header=BB62_418 Depth=1
	s_or_b32 exec_lo, exec_lo, s17
                                        ; implicit-def: $vgpr10
.LBB62_666:                             ;   in Loop: Header=BB62_418 Depth=1
	s_and_not1_saveexec_b32 s1, s16
; %bb.667:                              ;   in Loop: Header=BB62_418 Depth=1
	v_and_b32_e32 v11, 0x7fffffff, v2
	s_or_b32 s0, s0, exec_lo
                                        ; implicit-def: $vgpr23
	s_delay_alu instid0(VALU_DEP_1)
	v_pk_mul_f32 v[12:13], v[10:11], s[6:7] op_sel_hi:[1,0]
; %bb.668:                              ;   in Loop: Header=BB62_418 Depth=1
	s_or_b32 exec_lo, exec_lo, s1
	s_xor_b32 s0, s0, -1
                                        ; implicit-def: $vgpr10
	s_delay_alu instid0(SALU_CYCLE_1) | instskip(NEXT) | instid1(SALU_CYCLE_1)
	s_and_saveexec_b32 s1, s0
	s_xor_b32 s0, exec_lo, s1
	s_cbranch_execz .LBB62_670
; %bb.669:                              ;   in Loop: Header=BB62_418 Depth=1
	v_fma_f32 v10, |v23|, -0.5, 0.5
	v_mul_f32_e32 v11, v23, v23
	v_cmp_ge_f32_e64 vcc_lo, |v23|, 0.5
	s_delay_alu instid0(VALU_DEP_2) | instskip(SKIP_1) | instid1(VALU_DEP_2)
	v_cndmask_b32_e32 v10, v11, v10, vcc_lo
	v_cmp_lt_f32_e64 vcc_lo, |v23|, 0.5
	v_fmaak_f32 v11, s10, v10, 0x3c5fc5da
	v_sqrt_f32_e32 v12, v10
	s_delay_alu instid0(VALU_DEP_1) | instskip(NEXT) | instid1(VALU_DEP_1)
	v_fmaak_f32 v11, v10, v11, 0x3d034c3c
	v_fmaak_f32 v11, v10, v11, 0x3d3641b1
	s_delay_alu instid0(VALU_DEP_1) | instskip(NEXT) | instid1(VALU_DEP_1)
	v_fmaak_f32 v11, v10, v11, 0x3d999bc8
	v_fmaak_f32 v11, v10, v11, 0x3e2aaaac
	s_delay_alu instid0(VALU_DEP_1)
	v_mul_f32_e32 v10, v10, v11
	s_delay_alu instid0(TRANS32_DEP_1) | instid1(VALU_DEP_1)
	v_fmac_f32_e32 v12, v12, v10
	s_delay_alu instid0(VALU_DEP_1) | instskip(NEXT) | instid1(VALU_DEP_1)
	v_add_f32_e32 v11, v12, v12
                                        ; implicit-def: $vgpr13
	v_sub_f32_e32 v11, 0x3fc90fdb, v11
	v_fma_f32 v10, |v23|, v10, |v23|
	s_delay_alu instid0(VALU_DEP_1) | instskip(NEXT) | instid1(VALU_DEP_1)
	v_cndmask_b32_e32 v10, v11, v10, vcc_lo
	v_bfi_b32 v10, 0x7fffffff, v10, v23
.LBB62_670:                             ;   in Loop: Header=BB62_418 Depth=1
	s_and_not1_saveexec_b32 s1, s0
	s_cbranch_execz .LBB62_672
; %bb.671:                              ;   in Loop: Header=BB62_418 Depth=1
	v_max_num_f32_e32 v10, v13, v13
	v_max_num_f32_e64 v11, |v12|, |v12|
	v_cmp_gt_f32_e64 vcc_lo, v13, |v12|
	v_cmp_gt_i32_e64 s0, 0, v12
	v_cmp_class_f32_e64 s16, v12, 0x204
	s_delay_alu instid0(VALU_DEP_4) | instskip(NEXT) | instid1(VALU_DEP_1)
	v_dual_max_num_f32 v23, v11, v10 :: v_dual_min_num_f32 v10, v11, v10
	v_frexp_mant_f32_e32 v28, v23
	v_frexp_exp_i32_f32_e32 v11, v23
	s_delay_alu instid0(VALU_DEP_2) | instskip(SKIP_3) | instid1(VALU_DEP_2)
	v_rcp_f32_e32 v23, v28
	v_nop
	v_frexp_exp_i32_f32_e32 v28, v10
	v_frexp_mant_f32_e32 v10, v10
	v_sub_nc_u32_e32 v11, v28, v11
	s_delay_alu instid0(TRANS32_DEP_1) | instid1(VALU_DEP_2)
	v_mul_f32_e32 v10, v10, v23
	s_delay_alu instid0(VALU_DEP_1) | instskip(NEXT) | instid1(VALU_DEP_1)
	v_ldexp_f32 v10, v10, v11
	v_mul_f32_e32 v11, v10, v10
	s_delay_alu instid0(VALU_DEP_1) | instskip(NEXT) | instid1(VALU_DEP_1)
	v_fmaak_f32 v23, s11, v11, 0xbc7a590c
	v_fmaak_f32 v23, v11, v23, 0x3d29fb3f
	s_delay_alu instid0(VALU_DEP_1) | instskip(NEXT) | instid1(VALU_DEP_1)
	v_fmaak_f32 v23, v11, v23, 0xbd97d4d7
	v_fmaak_f32 v23, v11, v23, 0x3dd931b2
	;; [unrolled: 3-line block ×3, first 2 shown]
	s_delay_alu instid0(VALU_DEP_1) | instskip(NEXT) | instid1(VALU_DEP_1)
	v_fmaak_f32 v23, v11, v23, 0xbeaaaa62
	v_mul_f32_e32 v11, v11, v23
	s_delay_alu instid0(VALU_DEP_1) | instskip(NEXT) | instid1(VALU_DEP_1)
	v_fmac_f32_e32 v10, v10, v11
	v_sub_f32_e32 v11, 0x3fc90fdb, v10
	s_delay_alu instid0(VALU_DEP_1) | instskip(SKIP_1) | instid1(VALU_DEP_2)
	v_cndmask_b32_e32 v10, v10, v11, vcc_lo
	v_cmp_gt_f32_e32 vcc_lo, 0, v12
	v_sub_f32_e32 v11, 0x40490fdb, v10
	v_cndmask_b32_e32 v23, 0x3f490fdb, v27, vcc_lo
	s_delay_alu instid0(VALU_DEP_2) | instskip(SKIP_3) | instid1(VALU_DEP_2)
	v_cndmask_b32_e32 v10, v10, v11, vcc_lo
	v_cndmask_b32_e64 v11, 0, 0x40490fdb, s0
	v_cmp_eq_f32_e64 s0, 0, v13
	v_cmp_eq_f32_e32 vcc_lo, 0x7f800000, v13
	v_cndmask_b32_e64 v10, |v10|, v11, s0
	s_and_b32 vcc_lo, vcc_lo, s16
	s_delay_alu instid0(VALU_DEP_1) | instskip(SKIP_1) | instid1(VALU_DEP_2)
	v_cndmask_b32_e32 v10, v10, v23, vcc_lo
	v_cmp_o_f32_e32 vcc_lo, v12, v12
	v_cndmask_b32_e32 v10, 0x7fc00000, v10, vcc_lo
.LBB62_672:                             ;   in Loop: Header=BB62_418 Depth=1
	s_or_b32 exec_lo, exec_lo, s1
	s_delay_alu instid0(VALU_DEP_1)
	v_bfi_b32 v10, 0x7fffffff, v10, v2
	v_bfi_b32 v11, 0x7fffffff, v19, v3
.LBB62_673:                             ;   in Loop: Header=BB62_418 Depth=1
	s_or_b32 exec_lo, exec_lo, s15
.LBB62_674:                             ;   in Loop: Header=BB62_418 Depth=1
	s_delay_alu instid0(SALU_CYCLE_1)
	s_or_b32 exec_lo, exec_lo, s14
                                        ; implicit-def: $vgpr12
                                        ; implicit-def: $vgpr13
                                        ; implicit-def: $vgpr19
.LBB62_675:                             ;   in Loop: Header=BB62_418 Depth=1
	s_and_not1_saveexec_b32 s13, s13
	s_cbranch_execz .LBB62_697
; %bb.676:                              ;   in Loop: Header=BB62_418 Depth=1
                                        ; implicit-def: $sgpr14
                                        ; implicit-def: $vgpr10
                                        ; implicit-def: $vgpr11
	s_mov_b32 s0, exec_lo
	v_cmpx_lt_i32_e32 -1, v3
	s_xor_b32 s15, exec_lo, s0
	s_cbranch_execz .LBB62_686
; %bb.677:                              ;   in Loop: Header=BB62_418 Depth=1
	v_cmp_lt_f32_e64 s0, |v3|, |v2|
                                        ; implicit-def: $vgpr10
                                        ; implicit-def: $vgpr11
	s_mov_b32 s1, exec_lo
	v_cndmask_b32_e64 v23, |v3|, |v2|, s0
	s_delay_alu instid0(VALU_DEP_1)
	v_cmpx_nlt_f32_e32 0x7effffff, v23
	s_xor_b32 s14, exec_lo, s1
	s_cbranch_execz .LBB62_683
; %bb.678:                              ;   in Loop: Header=BB62_418 Depth=1
	v_cndmask_b32_e64 v28, |v2|, |v3|, s0
	v_cmp_nlt_f32_e32 vcc_lo, 0x5e000000, v23
                                        ; implicit-def: $vgpr10
                                        ; implicit-def: $vgpr11
	s_delay_alu instid0(VALU_DEP_2) | instskip(SKIP_1) | instid1(SALU_CYCLE_1)
	v_cmp_ngt_f32_e64 s1, 0x20000000, v28
	s_and_b32 s1, vcc_lo, s1
	s_and_saveexec_b32 s16, s1
	s_delay_alu instid0(SALU_CYCLE_1)
	s_xor_b32 s16, exec_lo, s16
	s_cbranch_execz .LBB62_680
; %bb.679:                              ;   in Loop: Header=BB62_418 Depth=1
	v_min_num_f32_e32 v11, v13, v12
	v_frexp_mant_f32_e32 v10, v19
	v_frexp_exp_i32_f32_e32 v12, v19
	s_delay_alu instid0(VALU_DEP_3) | instskip(NEXT) | instid1(VALU_DEP_3)
	v_frexp_exp_i32_f32_e32 v13, v11
	v_rcp_f32_e32 v10, v10
	s_delay_alu instid0(VALU_DEP_1)
	v_sub_nc_u32_e32 v12, v13, v12
	v_frexp_mant_f32_e32 v11, v11
	s_delay_alu instid0(TRANS32_DEP_1) | instid1(VALU_DEP_1)
	v_dual_mul_f32 v19, v28, v28 :: v_dual_mul_f32 v10, v11, v10
	s_delay_alu instid0(VALU_DEP_1) | instskip(NEXT) | instid1(VALU_DEP_1)
	v_ldexp_f32 v11, v10, v12
	v_mul_f32_e32 v12, v11, v11
	s_delay_alu instid0(VALU_DEP_1) | instskip(NEXT) | instid1(VALU_DEP_1)
	v_fmaak_f32 v13, s11, v12, 0xbc7a590c
	v_fmaak_f32 v13, v12, v13, 0x3d29fb3f
	s_delay_alu instid0(VALU_DEP_1) | instskip(NEXT) | instid1(VALU_DEP_1)
	v_fmaak_f32 v13, v12, v13, 0xbd97d4d7
	v_fmaak_f32 v13, v12, v13, 0x3dd931b2
	;; [unrolled: 3-line block ×3, first 2 shown]
	s_delay_alu instid0(VALU_DEP_1) | instskip(NEXT) | instid1(VALU_DEP_1)
	v_fmaak_f32 v13, v12, v13, 0xbeaaaa62
	v_dual_fmac_f32 v19, v23, v23 :: v_dual_mul_f32 v12, v12, v13
	s_delay_alu instid0(VALU_DEP_1) | instskip(NEXT) | instid1(VALU_DEP_2)
	v_cmp_gt_f32_e32 vcc_lo, 0x800000, v19
                                        ; implicit-def: $vgpr13
	v_fmac_f32_e32 v11, v11, v12
	v_cndmask_b32_e64 v10, 0, 32, vcc_lo
                                        ; implicit-def: $vgpr12
	s_delay_alu instid0(VALU_DEP_1) | instskip(NEXT) | instid1(VALU_DEP_1)
	v_ldexp_f32 v10, v19, v10
	v_log_f32_e32 v10, v10
	v_nop
	s_delay_alu instid0(TRANS32_DEP_1) | instskip(SKIP_1) | instid1(VALU_DEP_2)
	v_mul_f32_e32 v19, 0x3f317217, v10
	v_cmp_gt_f32_e64 s1, 0x7f800000, |v10|
	v_fma_f32 v19, 0x3f317217, v10, -v19
	s_delay_alu instid0(VALU_DEP_1) | instskip(NEXT) | instid1(VALU_DEP_1)
	v_fmac_f32_e32 v19, 0x3377d1cf, v10
	v_fmac_f32_e32 v19, 0x3f317217, v10
	s_delay_alu instid0(VALU_DEP_1) | instskip(SKIP_1) | instid1(VALU_DEP_1)
	v_cndmask_b32_e64 v10, v10, v19, s1
	v_cndmask_b32_e64 v19, 0, 0x41b17218, vcc_lo
	v_sub_f32_e32 v10, v10, v19
                                        ; implicit-def: $vgpr19
	s_delay_alu instid0(VALU_DEP_1)
	v_mul_f32_e32 v10, 0.5, v10
.LBB62_680:                             ;   in Loop: Header=BB62_418 Depth=1
	s_and_not1_saveexec_b32 s1, s16
	s_cbranch_execz .LBB62_682
; %bb.681:                              ;   in Loop: Header=BB62_418 Depth=1
	v_cvt_f64_f32_e32 v[10:11], v19
	v_frexp_mant_f32_e32 v28, v19
	v_cmp_neq_f32_e32 vcc_lo, 0x7f800000, v19
	s_delay_alu instid0(VALU_DEP_3) | instskip(NEXT) | instid1(VALU_DEP_1)
	v_frexp_exp_i32_f64_e32 v10, v[10:11]
	v_sub_nc_u32_e32 v11, 0, v10
	s_delay_alu instid0(VALU_DEP_1) | instskip(NEXT) | instid1(VALU_DEP_1)
	v_ldexp_f32 v23, |v2|, v11
	v_mul_f32_e32 v23, v23, v23
	v_ldexp_f32 v11, |v3|, v11
	v_min_num_f32_e32 v12, v13, v12
	v_rcp_f32_e32 v13, v28
	s_delay_alu instid0(VALU_DEP_2) | instskip(SKIP_1) | instid1(VALU_DEP_3)
	v_fmac_f32_e32 v23, v11, v11
	v_frexp_exp_i32_f32_e32 v11, v19
	v_frexp_exp_i32_f32_e32 v28, v12
	v_frexp_mant_f32_e32 v12, v12
	s_delay_alu instid0(VALU_DEP_4)
	v_sqrt_f32_e32 v23, v23
	s_delay_alu instid0(TRANS32_DEP_2) | instid1(VALU_DEP_1)
	v_mul_f32_e32 v12, v12, v13
	s_delay_alu instid0(TRANS32_DEP_1) | instskip(NEXT) | instid1(VALU_DEP_1)
	v_ldexp_f32 v10, v23, v10
	v_dual_cndmask_b32 v10, 0x7f800000, v10 :: v_dual_sub_nc_u32 v11, v28, v11
	s_delay_alu instid0(VALU_DEP_1) | instskip(NEXT) | instid1(VALU_DEP_2)
	v_ldexp_f32 v11, v12, v11
	v_cmp_gt_f32_e32 vcc_lo, 0x800000, v10
	v_cndmask_b32_e64 v13, 0, 32, vcc_lo
	v_cndmask_b32_e64 v23, 0, 0x41b17218, vcc_lo
	s_delay_alu instid0(VALU_DEP_2) | instskip(NEXT) | instid1(VALU_DEP_1)
	v_ldexp_f32 v10, v10, v13
	v_log_f32_e32 v10, v10
	v_mul_f32_e32 v12, v11, v11
	s_delay_alu instid0(VALU_DEP_1) | instskip(NEXT) | instid1(TRANS32_DEP_1)
	v_fmaak_f32 v19, s11, v12, 0xbc7a590c
	v_cmp_gt_f32_e64 vcc_lo, 0x7f800000, |v10|
	s_delay_alu instid0(VALU_DEP_2) | instskip(SKIP_1) | instid1(VALU_DEP_1)
	v_fmaak_f32 v13, v12, v19, 0x3d29fb3f
	v_mul_f32_e32 v19, 0x3f317217, v10
	v_fma_f32 v19, 0x3f317217, v10, -v19
	s_delay_alu instid0(VALU_DEP_1) | instskip(NEXT) | instid1(VALU_DEP_1)
	v_fmac_f32_e32 v19, 0x3377d1cf, v10
	v_fmac_f32_e32 v19, 0x3f317217, v10
	s_delay_alu instid0(VALU_DEP_1) | instskip(NEXT) | instid1(VALU_DEP_1)
	v_dual_cndmask_b32 v10, v10, v19 :: v_dual_fmaak_f32 v13, v12, v13, 0xbd97d4d7
	v_dual_sub_f32 v10, v10, v23 :: v_dual_fmaak_f32 v13, v12, v13, 0x3dd931b2
	s_delay_alu instid0(VALU_DEP_1) | instskip(NEXT) | instid1(VALU_DEP_1)
	v_fmaak_f32 v13, v12, v13, 0xbe1160e6
	v_fmaak_f32 v13, v12, v13, 0x3e4cb8bf
	s_delay_alu instid0(VALU_DEP_1) | instskip(NEXT) | instid1(VALU_DEP_1)
	v_fmaak_f32 v13, v12, v13, 0xbeaaaa62
	v_mul_f32_e32 v12, v12, v13
	s_delay_alu instid0(VALU_DEP_1)
	v_fmac_f32_e32 v11, v11, v12
.LBB62_682:                             ;   in Loop: Header=BB62_418 Depth=1
	s_or_b32 exec_lo, exec_lo, s1
                                        ; implicit-def: $vgpr13
                                        ; implicit-def: $vgpr12
                                        ; implicit-def: $vgpr19
.LBB62_683:                             ;   in Loop: Header=BB62_418 Depth=1
	s_and_not1_saveexec_b32 s14, s14
	s_cbranch_execz .LBB62_685
; %bb.684:                              ;   in Loop: Header=BB62_418 Depth=1
	v_div_scale_f32 v10, null, 0x402df854, 0x402df854, v3
	v_div_scale_f32 v11, null, 0x402df854, 0x402df854, v2
	v_div_scale_f32 v31, vcc_lo, v3, 0x402df854, v3
	s_delay_alu instid0(VALU_DEP_3) | instskip(NEXT) | instid1(VALU_DEP_2)
	v_rcp_f32_e32 v23, v10
	v_rcp_f32_e32 v28, v11
	v_min_num_f32_e32 v12, v13, v12
	s_delay_alu instid0(TRANS32_DEP_2) | instskip(NEXT) | instid1(TRANS32_DEP_1)
	v_fma_f32 v29, -v10, v23, 1.0
	v_fma_f32 v30, -v11, v28, 1.0
	s_delay_alu instid0(VALU_DEP_1) | instskip(SKIP_1) | instid1(VALU_DEP_1)
	v_dual_fmac_f32 v23, v29, v23 :: v_dual_fmac_f32 v28, v30, v28
	v_div_scale_f32 v29, s1, v2, 0x402df854, v2
	v_dual_mul_f32 v30, v31, v23 :: v_dual_mul_f32 v32, v29, v28
	s_delay_alu instid0(VALU_DEP_1) | instskip(NEXT) | instid1(VALU_DEP_1)
	v_dual_fma_f32 v33, -v10, v30, v31 :: v_dual_fma_f32 v34, -v11, v32, v29
	v_dual_fmac_f32 v30, v33, v23 :: v_dual_fmac_f32 v32, v34, v28
	s_delay_alu instid0(VALU_DEP_1) | instskip(NEXT) | instid1(VALU_DEP_1)
	v_dual_fma_f32 v10, -v10, v30, v31 :: v_dual_fma_f32 v11, -v11, v32, v29
	v_div_fmas_f32 v10, v10, v23, v30
	s_mov_b32 vcc_lo, s1
	s_delay_alu instid0(VALU_DEP_2) | instskip(NEXT) | instid1(VALU_DEP_2)
	v_div_fmas_f32 v11, v11, v28, v32
	v_div_fixup_f32 v23, v10, 0x402df854, v3
	s_delay_alu instid0(VALU_DEP_2) | instskip(NEXT) | instid1(VALU_DEP_1)
	v_div_fixup_f32 v28, v11, 0x402df854, v2
	v_max_num_f32_e64 v29, v23, |v28|
	s_delay_alu instid0(VALU_DEP_1) | instskip(SKIP_1) | instid1(VALU_DEP_2)
	v_cvt_f64_f32_e32 v[10:11], v29
	v_cmp_neq_f32_e32 vcc_lo, 0x7f800000, v29
	v_frexp_exp_i32_f64_e32 v10, v[10:11]
	s_delay_alu instid0(VALU_DEP_1) | instskip(NEXT) | instid1(VALU_DEP_1)
	v_sub_nc_u32_e32 v11, 0, v10
	v_ldexp_f32 v28, |v28|, v11
	v_ldexp_f32 v11, v23, v11
	s_delay_alu instid0(VALU_DEP_2) | instskip(NEXT) | instid1(VALU_DEP_1)
	v_mul_f32_e32 v23, v28, v28
	v_fmac_f32_e32 v23, v11, v11
	v_frexp_mant_f32_e32 v11, v19
	v_frexp_exp_i32_f32_e32 v19, v19
	s_delay_alu instid0(VALU_DEP_3) | instskip(SKIP_4) | instid1(TRANS32_DEP_2)
	v_sqrt_f32_e32 v13, v23
	v_nop
	v_frexp_exp_i32_f32_e32 v23, v12
	v_rcp_f32_e32 v11, v11
	v_frexp_mant_f32_e32 v12, v12
	v_ldexp_f32 v10, v13, v10
	s_delay_alu instid0(VALU_DEP_3)
	v_sub_nc_u32_e32 v13, v23, v19
	s_delay_alu instid0(TRANS32_DEP_1) | instid1(VALU_DEP_2)
	v_dual_mul_f32 v11, v12, v11 :: v_dual_cndmask_b32 v10, 0x7f800000, v10
	s_delay_alu instid0(VALU_DEP_1) | instskip(NEXT) | instid1(VALU_DEP_2)
	v_ldexp_f32 v11, v11, v13
	v_cmp_gt_f32_e32 vcc_lo, 0x800000, v10
	v_cndmask_b32_e64 v12, 0, 32, vcc_lo
	v_cndmask_b32_e64 v23, 0, 0x41b17218, vcc_lo
	s_delay_alu instid0(VALU_DEP_2) | instskip(NEXT) | instid1(VALU_DEP_1)
	v_ldexp_f32 v10, v10, v12
	v_log_f32_e32 v10, v10
	v_nop
	s_delay_alu instid0(TRANS32_DEP_1) | instskip(SKIP_1) | instid1(VALU_DEP_2)
	v_mul_f32_e32 v19, 0x3f317217, v10
	v_cmp_gt_f32_e64 vcc_lo, 0x7f800000, |v10|
	v_fma_f32 v19, 0x3f317217, v10, -v19
	s_delay_alu instid0(VALU_DEP_1) | instskip(NEXT) | instid1(VALU_DEP_1)
	v_fmac_f32_e32 v19, 0x3377d1cf, v10
	v_fmac_f32_e32 v19, 0x3f317217, v10
	s_delay_alu instid0(VALU_DEP_1) | instskip(NEXT) | instid1(VALU_DEP_1)
	v_cndmask_b32_e32 v10, v10, v19, vcc_lo
	v_sub_f32_e32 v10, v10, v23
	s_delay_alu instid0(VALU_DEP_1) | instskip(NEXT) | instid1(VALU_DEP_1)
	v_dual_mul_f32 v13, v11, v11 :: v_dual_add_f32 v10, 1.0, v10
	v_fmaak_f32 v12, s11, v13, 0xbc7a590c
	s_delay_alu instid0(VALU_DEP_1) | instskip(NEXT) | instid1(VALU_DEP_1)
	v_fmaak_f32 v12, v13, v12, 0x3d29fb3f
	v_fmaak_f32 v12, v13, v12, 0xbd97d4d7
	s_delay_alu instid0(VALU_DEP_1) | instskip(NEXT) | instid1(VALU_DEP_1)
	v_fmaak_f32 v12, v13, v12, 0x3dd931b2
	;; [unrolled: 3-line block ×3, first 2 shown]
	v_fmaak_f32 v12, v13, v12, 0xbeaaaa62
	s_delay_alu instid0(VALU_DEP_1) | instskip(NEXT) | instid1(VALU_DEP_1)
	v_mul_f32_e32 v12, v13, v12
	v_fmac_f32_e32 v11, v11, v12
.LBB62_685:                             ;   in Loop: Header=BB62_418 Depth=1
	s_or_b32 exec_lo, exec_lo, s14
	v_cmp_neq_f32_e32 vcc_lo, 0, v2
	s_delay_alu instid0(VALU_DEP_2) | instskip(SKIP_1) | instid1(VALU_DEP_2)
	v_sub_f32_e32 v12, 0x3fc90fdb, v11
	v_cmp_class_f32_e64 s14, v3, 0x204
	v_cndmask_b32_e64 v11, v11, v12, s0
                                        ; implicit-def: $vgpr12
	s_delay_alu instid0(VALU_DEP_1)
	v_cndmask_b32_e32 v11, 0, v11, vcc_lo
.LBB62_686:                             ;   in Loop: Header=BB62_418 Depth=1
	s_and_not1_saveexec_b32 s15, s15
	s_cbranch_execz .LBB62_696
; %bb.687:                              ;   in Loop: Header=BB62_418 Depth=1
	v_cmp_gt_f32_e64 s0, |v2|, -v3
                                        ; implicit-def: $vgpr10
                                        ; implicit-def: $vgpr11
	s_mov_b32 s1, exec_lo
	v_cndmask_b32_e64 v13, -v3, |v2|, s0
	s_delay_alu instid0(VALU_DEP_1)
	v_cmpx_nlt_f32_e32 0x7effffff, v13
	s_xor_b32 s16, exec_lo, s1
	s_cbranch_execz .LBB62_693
; %bb.688:                              ;   in Loop: Header=BB62_418 Depth=1
	v_xor_b32_e32 v10, 0x80000000, v3
	v_cmp_nlt_f32_e32 vcc_lo, 0x5e000000, v13
                                        ; implicit-def: $vgpr11
	s_delay_alu instid0(VALU_DEP_2) | instskip(NEXT) | instid1(VALU_DEP_1)
	v_cndmask_b32_e64 v19, |v2|, v10, s0
                                        ; implicit-def: $vgpr10
	v_cmp_ngt_f32_e64 s1, 0x20000000, v19
	s_and_b32 s1, vcc_lo, s1
	s_delay_alu instid0(SALU_CYCLE_1) | instskip(NEXT) | instid1(SALU_CYCLE_1)
	s_and_saveexec_b32 s17, s1
	s_xor_b32 s17, exec_lo, s17
	s_cbranch_execz .LBB62_690
; %bb.689:                              ;   in Loop: Header=BB62_418 Depth=1
	v_mul_f32_e32 v19, v19, v19
	s_delay_alu instid0(VALU_DEP_1) | instskip(NEXT) | instid1(VALU_DEP_1)
	v_dual_max_num_f32 v10, -v3, -v3 :: v_dual_fmac_f32 v19, v13, v13
	v_dual_max_num_f32 v11, v10, v12 :: v_dual_min_num_f32 v10, v10, v12
	s_delay_alu instid0(VALU_DEP_2) | instskip(NEXT) | instid1(VALU_DEP_2)
	v_cmp_gt_f32_e32 vcc_lo, 0x800000, v19
	v_frexp_mant_f32_e32 v23, v11
	v_frexp_exp_i32_f32_e32 v11, v11
	s_delay_alu instid0(VALU_DEP_2)
	v_rcp_f32_e32 v12, v23
	v_nop
	v_frexp_exp_i32_f32_e32 v23, v10
	v_frexp_mant_f32_e32 v10, v10
	s_delay_alu instid0(TRANS32_DEP_1) | instid1(VALU_DEP_1)
	v_dual_mul_f32 v10, v10, v12 :: v_dual_sub_nc_u32 v11, v23, v11
	s_delay_alu instid0(VALU_DEP_1) | instskip(SKIP_1) | instid1(VALU_DEP_1)
	v_ldexp_f32 v11, v10, v11
	v_cndmask_b32_e64 v10, 0, 32, vcc_lo
	v_ldexp_f32 v10, v19, v10
	s_delay_alu instid0(VALU_DEP_1) | instskip(SKIP_1) | instid1(TRANS32_DEP_1)
	v_log_f32_e32 v10, v10
	v_nop
	v_dual_mul_f32 v12, v11, v11 :: v_dual_mul_f32 v19, 0x3f317217, v10
	v_cmp_gt_f32_e64 s1, 0x7f800000, |v10|
	s_delay_alu instid0(VALU_DEP_2) | instskip(NEXT) | instid1(VALU_DEP_1)
	v_fma_f32 v19, 0x3f317217, v10, -v19
	v_fmac_f32_e32 v19, 0x3377d1cf, v10
	s_delay_alu instid0(VALU_DEP_1) | instskip(NEXT) | instid1(VALU_DEP_1)
	v_fmac_f32_e32 v19, 0x3f317217, v10
	v_cndmask_b32_e64 v10, v10, v19, s1
	v_cndmask_b32_e64 v19, 0, 0x41b17218, vcc_lo
	s_delay_alu instid0(VALU_DEP_1) | instskip(NEXT) | instid1(VALU_DEP_1)
	v_dual_fmaak_f32 v13, s11, v12, 0xbc7a590c :: v_dual_sub_f32 v10, v10, v19
	v_dual_fmaak_f32 v13, v12, v13, 0x3d29fb3f :: v_dual_mul_f32 v10, 0.5, v10
	s_delay_alu instid0(VALU_DEP_1) | instskip(NEXT) | instid1(VALU_DEP_1)
	v_fmaak_f32 v13, v12, v13, 0xbd97d4d7
	v_fmaak_f32 v13, v12, v13, 0x3dd931b2
	s_delay_alu instid0(VALU_DEP_1) | instskip(NEXT) | instid1(VALU_DEP_1)
	v_fmaak_f32 v13, v12, v13, 0xbe1160e6
	v_fmaak_f32 v13, v12, v13, 0x3e4cb8bf
	s_delay_alu instid0(VALU_DEP_1) | instskip(NEXT) | instid1(VALU_DEP_1)
	v_fmaak_f32 v13, v12, v13, 0xbeaaaa62
	v_mul_f32_e32 v12, v12, v13
	s_delay_alu instid0(VALU_DEP_1)
	v_fmac_f32_e32 v11, v11, v12
                                        ; implicit-def: $vgpr12
.LBB62_690:                             ;   in Loop: Header=BB62_418 Depth=1
	s_and_not1_saveexec_b32 s1, s17
	s_cbranch_execz .LBB62_692
; %bb.691:                              ;   in Loop: Header=BB62_418 Depth=1
	v_max_num_f32_e64 v13, -v3, -v3
	s_delay_alu instid0(VALU_DEP_1) | instskip(NEXT) | instid1(VALU_DEP_1)
	v_max_num_f32_e32 v19, v13, v12
	v_cvt_f64_f32_e32 v[10:11], v19
	s_delay_alu instid0(VALU_DEP_1) | instskip(NEXT) | instid1(VALU_DEP_1)
	v_frexp_exp_i32_f64_e32 v10, v[10:11]
	v_sub_nc_u32_e32 v11, 0, v10
	s_delay_alu instid0(VALU_DEP_1) | instskip(SKIP_1) | instid1(VALU_DEP_2)
	v_ldexp_f32 v23, |v2|, v11
	v_ldexp_f32 v11, -v3, v11
	v_dual_mul_f32 v23, v23, v23 :: v_dual_min_num_f32 v12, v13, v12
	v_cmp_neq_f32_e32 vcc_lo, 0x7f800000, v19
	v_frexp_mant_f32_e32 v13, v19
	s_delay_alu instid0(VALU_DEP_3) | instskip(SKIP_2) | instid1(VALU_DEP_4)
	v_fmac_f32_e32 v23, v11, v11
	v_frexp_exp_i32_f32_e32 v11, v19
	v_frexp_exp_i32_f32_e32 v28, v12
	v_rcp_f32_e32 v13, v13
	v_frexp_mant_f32_e32 v12, v12
	v_sqrt_f32_e32 v23, v23
	s_delay_alu instid0(TRANS32_DEP_2) | instid1(VALU_DEP_1)
	v_mul_f32_e32 v12, v12, v13
	s_delay_alu instid0(TRANS32_DEP_1) | instskip(NEXT) | instid1(VALU_DEP_1)
	v_ldexp_f32 v10, v23, v10
	v_dual_cndmask_b32 v10, 0x7f800000, v10 :: v_dual_sub_nc_u32 v11, v28, v11
	s_delay_alu instid0(VALU_DEP_1) | instskip(NEXT) | instid1(VALU_DEP_2)
	v_ldexp_f32 v11, v12, v11
	v_cmp_gt_f32_e32 vcc_lo, 0x800000, v10
	v_cndmask_b32_e64 v13, 0, 32, vcc_lo
	v_cndmask_b32_e64 v23, 0, 0x41b17218, vcc_lo
	s_delay_alu instid0(VALU_DEP_2) | instskip(NEXT) | instid1(VALU_DEP_1)
	v_ldexp_f32 v10, v10, v13
	v_log_f32_e32 v10, v10
	v_mul_f32_e32 v12, v11, v11
	s_delay_alu instid0(VALU_DEP_1) | instskip(NEXT) | instid1(TRANS32_DEP_1)
	v_fmaak_f32 v19, s11, v12, 0xbc7a590c
	v_cmp_gt_f32_e64 vcc_lo, 0x7f800000, |v10|
	s_delay_alu instid0(VALU_DEP_2) | instskip(SKIP_1) | instid1(VALU_DEP_1)
	v_fmaak_f32 v13, v12, v19, 0x3d29fb3f
	v_mul_f32_e32 v19, 0x3f317217, v10
	v_fma_f32 v19, 0x3f317217, v10, -v19
	s_delay_alu instid0(VALU_DEP_1) | instskip(NEXT) | instid1(VALU_DEP_1)
	v_fmac_f32_e32 v19, 0x3377d1cf, v10
	v_fmac_f32_e32 v19, 0x3f317217, v10
	s_delay_alu instid0(VALU_DEP_1) | instskip(NEXT) | instid1(VALU_DEP_1)
	v_dual_cndmask_b32 v10, v10, v19 :: v_dual_fmaak_f32 v13, v12, v13, 0xbd97d4d7
	v_dual_sub_f32 v10, v10, v23 :: v_dual_fmaak_f32 v13, v12, v13, 0x3dd931b2
	s_delay_alu instid0(VALU_DEP_1) | instskip(NEXT) | instid1(VALU_DEP_1)
	v_fmaak_f32 v13, v12, v13, 0xbe1160e6
	v_fmaak_f32 v13, v12, v13, 0x3e4cb8bf
	s_delay_alu instid0(VALU_DEP_1) | instskip(NEXT) | instid1(VALU_DEP_1)
	v_fmaak_f32 v13, v12, v13, 0xbeaaaa62
	v_mul_f32_e32 v12, v12, v13
	s_delay_alu instid0(VALU_DEP_1)
	v_fmac_f32_e32 v11, v11, v12
.LBB62_692:                             ;   in Loop: Header=BB62_418 Depth=1
	s_or_b32 exec_lo, exec_lo, s1
                                        ; implicit-def: $vgpr12
.LBB62_693:                             ;   in Loop: Header=BB62_418 Depth=1
	s_and_not1_saveexec_b32 s16, s16
	s_cbranch_execz .LBB62_695
; %bb.694:                              ;   in Loop: Header=BB62_418 Depth=1
	v_div_scale_f32 v10, null, 0xc02df854, 0xc02df854, v3
	v_div_scale_f32 v11, null, 0xc02df854, 0xc02df854, v2
	v_div_scale_f32 v29, vcc_lo, v3, 0xc02df854, v3
	s_delay_alu instid0(VALU_DEP_3) | instskip(NEXT) | instid1(VALU_DEP_2)
	v_rcp_f32_e32 v13, v10
	v_rcp_f32_e32 v19, v11
	s_delay_alu instid0(TRANS32_DEP_2) | instskip(NEXT) | instid1(TRANS32_DEP_1)
	v_fma_f32 v23, -v10, v13, 1.0
	v_fma_f32 v28, -v11, v19, 1.0
	s_delay_alu instid0(VALU_DEP_1) | instskip(SKIP_1) | instid1(VALU_DEP_1)
	v_dual_fmac_f32 v13, v23, v13 :: v_dual_fmac_f32 v19, v28, v19
	v_div_scale_f32 v23, s1, v2, 0xc02df854, v2
	v_dual_mul_f32 v28, v29, v13 :: v_dual_mul_f32 v30, v23, v19
	s_delay_alu instid0(VALU_DEP_1) | instskip(NEXT) | instid1(VALU_DEP_1)
	v_dual_fma_f32 v31, -v10, v28, v29 :: v_dual_fma_f32 v32, -v11, v30, v23
	v_dual_fmac_f32 v28, v31, v13 :: v_dual_fmac_f32 v30, v32, v19
	s_delay_alu instid0(VALU_DEP_1) | instskip(NEXT) | instid1(VALU_DEP_1)
	v_dual_fma_f32 v10, -v10, v28, v29 :: v_dual_fma_f32 v11, -v11, v30, v23
	v_div_fmas_f32 v10, v10, v13, v28
	s_mov_b32 vcc_lo, s1
	v_max_num_f32_e64 v28, -v3, -v3
	s_delay_alu instid0(VALU_DEP_3) | instskip(NEXT) | instid1(VALU_DEP_3)
	v_div_fmas_f32 v11, v11, v19, v30
	v_div_fixup_f32 v13, v10, 0xc02df854, v3
	s_delay_alu instid0(VALU_DEP_2) | instskip(NEXT) | instid1(VALU_DEP_1)
	v_div_fixup_f32 v19, v11, 0xc02df854, v2
	v_max_num_f32_e64 v23, |v13|, |v19|
	s_delay_alu instid0(VALU_DEP_1) | instskip(SKIP_1) | instid1(VALU_DEP_2)
	v_cvt_f64_f32_e32 v[10:11], v23
	v_cmp_neq_f32_e32 vcc_lo, 0x7f800000, v23
	v_frexp_exp_i32_f64_e32 v10, v[10:11]
	s_delay_alu instid0(VALU_DEP_1) | instskip(NEXT) | instid1(VALU_DEP_1)
	v_sub_nc_u32_e32 v11, 0, v10
	v_ldexp_f32 v19, |v19|, v11
	v_ldexp_f32 v11, |v13|, v11
	s_delay_alu instid0(VALU_DEP_2) | instskip(NEXT) | instid1(VALU_DEP_1)
	v_dual_mul_f32 v13, v19, v19 :: v_dual_max_num_f32 v19, v28, v12
	v_dual_min_num_f32 v12, v28, v12 :: v_dual_fmac_f32 v13, v11, v11
	s_delay_alu instid0(VALU_DEP_2) | instskip(SKIP_1) | instid1(VALU_DEP_3)
	v_frexp_mant_f32_e32 v11, v19
	v_frexp_exp_i32_f32_e32 v19, v19
	v_frexp_exp_i32_f32_e32 v28, v12
	v_frexp_mant_f32_e32 v12, v12
	v_sqrt_f32_e32 v13, v13
	v_rcp_f32_e32 v11, v11
	s_delay_alu instid0(TRANS32_DEP_2)
	v_ldexp_f32 v10, v13, v10
	v_sub_nc_u32_e32 v13, v28, v19
	s_delay_alu instid0(TRANS32_DEP_1) | instid1(VALU_DEP_2)
	v_dual_mul_f32 v11, v12, v11 :: v_dual_cndmask_b32 v10, 0x7f800000, v10
	s_delay_alu instid0(VALU_DEP_1) | instskip(NEXT) | instid1(VALU_DEP_2)
	v_ldexp_f32 v11, v11, v13
	v_cmp_gt_f32_e32 vcc_lo, 0x800000, v10
	v_cndmask_b32_e64 v12, 0, 32, vcc_lo
	v_cndmask_b32_e64 v23, 0, 0x41b17218, vcc_lo
	s_delay_alu instid0(VALU_DEP_2) | instskip(NEXT) | instid1(VALU_DEP_1)
	v_ldexp_f32 v10, v10, v12
	v_log_f32_e32 v10, v10
	v_nop
	s_delay_alu instid0(TRANS32_DEP_1) | instskip(SKIP_1) | instid1(VALU_DEP_2)
	v_mul_f32_e32 v19, 0x3f317217, v10
	v_cmp_gt_f32_e64 vcc_lo, 0x7f800000, |v10|
	v_fma_f32 v19, 0x3f317217, v10, -v19
	s_delay_alu instid0(VALU_DEP_1) | instskip(NEXT) | instid1(VALU_DEP_1)
	v_fmac_f32_e32 v19, 0x3377d1cf, v10
	v_fmac_f32_e32 v19, 0x3f317217, v10
	s_delay_alu instid0(VALU_DEP_1) | instskip(NEXT) | instid1(VALU_DEP_1)
	v_cndmask_b32_e32 v10, v10, v19, vcc_lo
	v_sub_f32_e32 v10, v10, v23
	s_delay_alu instid0(VALU_DEP_1) | instskip(NEXT) | instid1(VALU_DEP_1)
	v_dual_mul_f32 v13, v11, v11 :: v_dual_add_f32 v10, 1.0, v10
	v_fmaak_f32 v12, s11, v13, 0xbc7a590c
	s_delay_alu instid0(VALU_DEP_1) | instskip(NEXT) | instid1(VALU_DEP_1)
	v_fmaak_f32 v12, v13, v12, 0x3d29fb3f
	v_fmaak_f32 v12, v13, v12, 0xbd97d4d7
	s_delay_alu instid0(VALU_DEP_1) | instskip(NEXT) | instid1(VALU_DEP_1)
	v_fmaak_f32 v12, v13, v12, 0x3dd931b2
	;; [unrolled: 3-line block ×3, first 2 shown]
	v_fmaak_f32 v12, v13, v12, 0xbeaaaa62
	s_delay_alu instid0(VALU_DEP_1) | instskip(NEXT) | instid1(VALU_DEP_1)
	v_mul_f32_e32 v12, v13, v12
	v_fmac_f32_e32 v11, v11, v12
.LBB62_695:                             ;   in Loop: Header=BB62_418 Depth=1
	s_or_b32 exec_lo, exec_lo, s16
	s_delay_alu instid0(VALU_DEP_1) | instskip(SKIP_1) | instid1(VALU_DEP_2)
	v_sub_f32_e32 v12, 0x3fc90fdb, v11
	v_cmp_eq_f32_e32 vcc_lo, 0xff800000, v3
	v_cndmask_b32_e64 v11, v11, v12, s0
	v_cmp_neq_f32_e64 s0, 0, v2
	s_and_b32 s1, vcc_lo, exec_lo
	v_cndmask_b32_e64 v11, 0, v11, s0
	s_and_not1_b32 s0, s14, exec_lo
	s_delay_alu instid0(SALU_CYCLE_1)
	s_or_b32 s14, s0, s1
.LBB62_696:                             ;   in Loop: Header=BB62_418 Depth=1
	s_or_b32 exec_lo, exec_lo, s15
	v_cmp_class_f32_e64 s0, v2, 0x204
	v_add_f32_e32 v12, 0x3f317218, v10
	s_and_b32 s0, s0, s14
	s_delay_alu instid0(SALU_CYCLE_1) | instskip(NEXT) | instid1(VALU_DEP_1)
	v_cndmask_b32_e64 v11, v11, 0x3f490fdb, s0
	v_bfi_b32 v10, 0x7fffffff, v11, v2
	s_delay_alu instid0(VALU_DEP_3)
	v_bfi_b32 v11, 0x7fffffff, v12, v3
.LBB62_697:                             ;   in Loop: Header=BB62_418 Depth=1
	s_or_b32 exec_lo, exec_lo, s13
.LBB62_698:                             ;   in Loop: Header=BB62_418 Depth=1
	s_and_not1_saveexec_b32 s0, s4
	s_cbranch_execz .LBB62_712
; %bb.699:                              ;   in Loop: Header=BB62_418 Depth=1
	v_cmp_neq_f32_e64 s1, 0x7f800000, |v3|
                                        ; implicit-def: $vgpr11
	s_and_saveexec_b32 s4, s1
	s_delay_alu instid0(SALU_CYCLE_1)
	s_xor_b32 s1, exec_lo, s4
	s_cbranch_execz .LBB62_709
; %bb.700:                              ;   in Loop: Header=BB62_418 Depth=1
	v_cmp_neq_f32_e64 s4, 0x7f800000, |v2|
                                        ; implicit-def: $vgpr11
	s_and_saveexec_b32 s13, s4
	s_delay_alu instid0(SALU_CYCLE_1)
	s_xor_b32 s4, exec_lo, s13
	s_cbranch_execz .LBB62_706
; %bb.701:                              ;   in Loop: Header=BB62_418 Depth=1
	s_mov_b32 s13, exec_lo
                                        ; implicit-def: $vgpr11
	v_cmpx_neq_f32_e32 0, v2
	s_xor_b32 s13, exec_lo, s13
; %bb.702:                              ;   in Loop: Header=BB62_418 Depth=1
	v_add_f32_e32 v10, 0, v3
	s_delay_alu instid0(VALU_DEP_1)
	v_add_f32_e32 v11, v2, v10
; %bb.703:                              ;   in Loop: Header=BB62_418 Depth=1
	s_or_saveexec_b32 s13, s13
	s_delay_alu instid0(VALU_DEP_1)
	v_mov_b32_e32 v10, v11
	s_xor_b32 exec_lo, exec_lo, s13
; %bb.704:                              ;   in Loop: Header=BB62_418 Depth=1
	v_pk_add_f32 v[10:11], v[2:3], v[2:3]
	v_mov_b32_e32 v10, v2
; %bb.705:                              ;   in Loop: Header=BB62_418 Depth=1
	s_or_b32 exec_lo, exec_lo, s13
.LBB62_706:                             ;   in Loop: Header=BB62_418 Depth=1
	s_and_not1_saveexec_b32 s4, s4
; %bb.707:                              ;   in Loop: Header=BB62_418 Depth=1
	v_dual_add_f32 v10, v3, v3 :: v_dual_mov_b32 v11, v2
; %bb.708:                              ;   in Loop: Header=BB62_418 Depth=1
	s_or_b32 exec_lo, exec_lo, s4
.LBB62_709:                             ;   in Loop: Header=BB62_418 Depth=1
	s_and_not1_saveexec_b32 s1, s1
; %bb.710:                              ;   in Loop: Header=BB62_418 Depth=1
	v_dual_add_f32 v10, v2, v2 :: v_dual_mov_b32 v11, v3
; %bb.711:                              ;   in Loop: Header=BB62_418 Depth=1
	s_or_b32 exec_lo, exec_lo, s1
.LBB62_712:                             ;   in Loop: Header=BB62_418 Depth=1
	s_delay_alu instid0(SALU_CYCLE_1) | instskip(NEXT) | instid1(SALU_CYCLE_1)
	s_or_b32 exec_lo, exec_lo, s0
	s_mov_b32 s0, exec_lo
	v_cmpx_o_f32_e32 v5, v4
	s_xor_b32 s4, exec_lo, s0
	s_cbranch_execz .LBB62_796
; %bb.713:                              ;   in Loop: Header=BB62_418 Depth=1
	v_max_num_f32_e64 v3, |v5|, |v5|
	v_max_num_f32_e64 v2, |v4|, |v4|
	s_mov_b32 s0, exec_lo
	s_delay_alu instid0(VALU_DEP_1) | instskip(NEXT) | instid1(VALU_DEP_1)
	v_max_num_f32_e32 v19, v2, v3
	v_cmpx_nlt_f32_e32 0x4b000000, v19
	s_xor_b32 s13, exec_lo, s0
	s_cbranch_execz .LBB62_773
; %bb.714:                              ;   in Loop: Header=BB62_418 Depth=1
	v_cmp_neq_f32_e32 vcc_lo, 0, v5
	v_cmp_neq_f32_e64 s0, 0, v4
	s_or_b32 s0, vcc_lo, s0
	s_delay_alu instid0(SALU_CYCLE_1)
	s_and_saveexec_b32 s14, s0
	s_cbranch_execz .LBB62_772
; %bb.715:                              ;   in Loop: Header=BB62_418 Depth=1
	flat_store_b32 v[16:17], v26 scope:SCOPE_SYS
	s_wait_storecnt 0x0
	flat_load_b32 v2, v[16:17] scope:SCOPE_SYS
	s_wait_loadcnt 0x0
	v_cmp_ngt_f32_e64 s0, 0x395db3d7, |v5|
	v_cmp_ngt_f32_e64 s1, 0x395db3d7, |v4|
	s_or_b32 s0, s1, s0
	s_wait_dscnt 0x0
	v_add_f32_e32 v2, 1.0, v2
	flat_store_b32 v[20:21], v2 scope:SCOPE_SYS
	s_wait_storecnt 0x0
	flat_load_b32 v2, v[20:21] scope:SCOPE_SYS
	s_wait_loadcnt 0x0
	s_wait_xcnt 0x0
	s_and_saveexec_b32 s15, s0
	s_cbranch_execz .LBB62_771
; %bb.716:                              ;   in Loop: Header=BB62_418 Depth=1
	v_add_f32_e64 v29, |v4|, 1.0
	v_add_f32_e64 v28, |v4|, -1.0
	s_mov_b32 s0, exec_lo
	s_delay_alu instid0(VALU_DEP_2) | instskip(NEXT) | instid1(VALU_DEP_2)
	v_max_num_f32_e32 v19, v3, v29
	v_max_num_f32_e64 v23, v3, |v28|
	s_wait_dscnt 0x0
	s_delay_alu instid0(VALU_DEP_2) | instskip(NEXT) | instid1(VALU_DEP_2)
	v_cvt_f64_f32_e32 v[2:3], v19
	v_cvt_f64_f32_e32 v[12:13], v23
	s_delay_alu instid0(VALU_DEP_2) | instskip(NEXT) | instid1(VALU_DEP_2)
	v_frexp_exp_i32_f64_e32 v2, v[2:3]
	v_frexp_exp_i32_f64_e32 v3, v[12:13]
	s_delay_alu instid0(VALU_DEP_2) | instskip(SKIP_1) | instid1(VALU_DEP_2)
	v_sub_nc_u32_e32 v12, 0, v2
	v_cmp_neq_f32_e32 vcc_lo, 0x7f800000, v19
                                        ; implicit-def: $vgpr19
	v_ldexp_f32 v30, v29, v12
	s_delay_alu instid0(VALU_DEP_4) | instskip(SKIP_1) | instid1(VALU_DEP_3)
	v_sub_nc_u32_e32 v13, 0, v3
	v_ldexp_f32 v12, |v5|, v12
	v_mul_f32_e32 v30, v30, v30
	s_delay_alu instid0(VALU_DEP_3) | instskip(SKIP_1) | instid1(VALU_DEP_2)
	v_ldexp_f32 v31, |v28|, v13
	v_ldexp_f32 v13, |v5|, v13
	v_dual_fmac_f32 v30, v12, v12 :: v_dual_mul_f32 v31, v31, v31
	s_delay_alu instid0(VALU_DEP_1) | instskip(NEXT) | instid1(VALU_DEP_1)
	v_sqrt_f32_e32 v12, v30
	v_fmac_f32_e32 v31, v13, v13
	s_delay_alu instid0(VALU_DEP_1) | instskip(NEXT) | instid1(TRANS32_DEP_2)
	v_sqrt_f32_e32 v13, v31
	v_ldexp_f32 v2, v12, v2
	s_delay_alu instid0(VALU_DEP_1) | instskip(NEXT) | instid1(TRANS32_DEP_1)
	v_cndmask_b32_e32 v31, 0x7f800000, v2, vcc_lo
	v_ldexp_f32 v3, v13, v3
	v_cmp_neq_f32_e32 vcc_lo, 0x7f800000, v23
	s_delay_alu instid0(VALU_DEP_2) | instskip(NEXT) | instid1(VALU_DEP_1)
	v_cndmask_b32_e32 v12, 0x7f800000, v3, vcc_lo
	v_add_f32_e32 v2, v31, v12
	s_delay_alu instid0(VALU_DEP_1) | instskip(NEXT) | instid1(VALU_DEP_1)
	v_mul_f32_e32 v2, 0.5, v2
	v_cmp_ngt_f32_e32 vcc_lo, 1.0, v2
	v_cndmask_b32_e32 v2, 1.0, v2, vcc_lo
	s_delay_alu instid0(VALU_DEP_1)
	v_cmpx_ngt_f32_e32 0x41200000, v2
	s_xor_b32 s1, exec_lo, s0
	s_cbranch_execz .LBB62_718
; %bb.717:                              ;   in Loop: Header=BB62_418 Depth=1
	v_fma_f32 v3, v2, v2, -1.0
	s_delay_alu instid0(VALU_DEP_1) | instskip(SKIP_1) | instid1(VALU_DEP_2)
	v_mul_f32_e32 v13, 0x4f800000, v3
	v_cmp_gt_f32_e32 vcc_lo, 0xf800000, v3
	v_cndmask_b32_e32 v3, v3, v13, vcc_lo
	s_delay_alu instid0(VALU_DEP_1) | instskip(SKIP_1) | instid1(TRANS32_DEP_1)
	v_sqrt_f32_e32 v13, v3
	v_nop
	v_dual_add_nc_u32 v19, -1, v13 :: v_dual_add_nc_u32 v23, 1, v13
	s_delay_alu instid0(VALU_DEP_1) | instskip(NEXT) | instid1(VALU_DEP_1)
	v_fma_f32 v30, -v19, v13, v3
	v_cmp_ge_f32_e64 s0, 0, v30
	s_delay_alu instid0(VALU_DEP_1) | instskip(NEXT) | instid1(VALU_DEP_1)
	v_dual_fma_f32 v32, -v23, v13, v3 :: v_dual_cndmask_b32 v13, v13, v19, s0
	v_cmp_lt_f32_e64 s0, 0, v32
	s_delay_alu instid0(VALU_DEP_1) | instskip(NEXT) | instid1(VALU_DEP_1)
	v_cndmask_b32_e64 v13, v13, v23, s0
	v_mul_f32_e32 v19, 0x37800000, v13
	s_delay_alu instid0(VALU_DEP_1) | instskip(SKIP_1) | instid1(VALU_DEP_2)
	v_cndmask_b32_e32 v13, v13, v19, vcc_lo
	v_cmp_class_f32_e64 vcc_lo, v3, 0x260
	v_cndmask_b32_e32 v3, v13, v3, vcc_lo
	s_delay_alu instid0(VALU_DEP_1) | instskip(NEXT) | instid1(VALU_DEP_1)
	v_add_f32_e32 v3, v2, v3
	v_cmp_gt_f32_e32 vcc_lo, 0x800000, v3
	s_delay_alu instid0(VALU_DEP_4) | instskip(NEXT) | instid1(VALU_DEP_1)
	v_cndmask_b32_e64 v13, 0, 32, vcc_lo
	v_ldexp_f32 v3, v3, v13
	s_delay_alu instid0(VALU_DEP_1) | instskip(SKIP_1) | instid1(TRANS32_DEP_1)
	v_log_f32_e32 v3, v3
	v_nop
	v_mul_f32_e32 v13, 0x3f317217, v3
	v_cmp_gt_f32_e64 s0, 0x7f800000, |v3|
	s_delay_alu instid0(VALU_DEP_2) | instskip(NEXT) | instid1(VALU_DEP_1)
	v_fma_f32 v13, 0x3f317217, v3, -v13
	v_fmac_f32_e32 v13, 0x3377d1cf, v3
	s_delay_alu instid0(VALU_DEP_1) | instskip(NEXT) | instid1(VALU_DEP_1)
	v_fmac_f32_e32 v13, 0x3f317217, v3
	v_cndmask_b32_e64 v3, v3, v13, s0
	v_cndmask_b32_e64 v13, 0, 0x41b17218, vcc_lo
	s_delay_alu instid0(VALU_DEP_1)
	v_sub_f32_e32 v19, v3, v13
.LBB62_718:                             ;   in Loop: Header=BB62_418 Depth=1
	s_or_saveexec_b32 s1, s1
	v_and_b32_e32 v30, 0x7fffffff, v5
	s_xor_b32 exec_lo, exec_lo, s1
	s_cbranch_execz .LBB62_740
; %bb.719:                              ;   in Loop: Header=BB62_418 Depth=1
	v_cmp_neq_f32_e64 s0, |v4|, 1.0
	v_cmp_ngt_f32_e64 s16, 0x25000000, |v5|
                                        ; implicit-def: $vgpr19
	s_or_b32 s0, s0, s16
	s_delay_alu instid0(SALU_CYCLE_1) | instskip(NEXT) | instid1(SALU_CYCLE_1)
	s_and_saveexec_b32 s16, s0
	s_xor_b32 s16, exec_lo, s16
	s_cbranch_execz .LBB62_737
; %bb.720:                              ;   in Loop: Header=BB62_418 Depth=1
	v_mul_f32_e64 v3, 0x34000000, |v28|
	s_mov_b32 s17, exec_lo
                                        ; implicit-def: $vgpr19
	s_delay_alu instid0(VALU_DEP_1)
	v_cmpx_ge_f32_e64 |v5|, v3
	s_xor_b32 s17, exec_lo, s17
	s_cbranch_execz .LBB62_730
; %bb.721:                              ;   in Loop: Header=BB62_418 Depth=1
	v_mov_b32_e32 v3, v30
	s_mov_b32 s0, exec_lo
	v_cmpx_neq_f32_e32 0, v29
	s_cbranch_execz .LBB62_723
; %bb.722:                              ;   in Loop: Header=BB62_418 Depth=1
	v_mul_f32_e32 v3, v5, v5
	v_add_f32_e32 v13, v29, v31
	s_delay_alu instid0(VALU_DEP_1) | instskip(NEXT) | instid1(VALU_DEP_1)
	v_div_scale_f32 v19, null, v13, v13, v3
	v_rcp_f32_e32 v23, v19
	v_nop
	s_delay_alu instid0(TRANS32_DEP_1) | instskip(NEXT) | instid1(VALU_DEP_1)
	v_fma_f32 v32, -v19, v23, 1.0
	v_fmac_f32_e32 v23, v32, v23
	v_div_scale_f32 v32, vcc_lo, v3, v13, v3
	s_delay_alu instid0(VALU_DEP_1) | instskip(NEXT) | instid1(VALU_DEP_1)
	v_mul_f32_e32 v33, v32, v23
	v_fma_f32 v34, -v19, v33, v32
	s_delay_alu instid0(VALU_DEP_1) | instskip(NEXT) | instid1(VALU_DEP_1)
	v_fmac_f32_e32 v33, v34, v23
	v_fma_f32 v19, -v19, v33, v32
	s_delay_alu instid0(VALU_DEP_1) | instskip(NEXT) | instid1(VALU_DEP_1)
	v_div_fmas_f32 v19, v19, v23, v33
	v_div_fixup_f32 v3, v19, v13, v3
.LBB62_723:                             ;   in Loop: Header=BB62_418 Depth=1
	s_or_b32 exec_lo, exec_lo, s0
	v_sub_f32_e64 v19, 1.0, |v4|
	s_mov_b32 s0, exec_lo
                                        ; implicit-def: $vgpr13
	s_delay_alu instid0(VALU_DEP_1)
	v_cmpx_ngt_f32_e32 0, v19
	s_xor_b32 s0, exec_lo, s0
	s_cbranch_execz .LBB62_727
; %bb.724:                              ;   in Loop: Header=BB62_418 Depth=1
	v_mov_b32_e32 v13, v30
	s_mov_b32 s18, exec_lo
	v_cmpx_neq_f32_e32 0, v19
	s_cbranch_execz .LBB62_726
; %bb.725:                              ;   in Loop: Header=BB62_418 Depth=1
	v_dual_mul_f32 v13, v5, v5 :: v_dual_add_f32 v19, v19, v12
	s_delay_alu instid0(VALU_DEP_1) | instskip(NEXT) | instid1(VALU_DEP_1)
	v_div_scale_f32 v23, null, v19, v19, v13
	v_rcp_f32_e32 v32, v23
	v_nop
	s_delay_alu instid0(TRANS32_DEP_1) | instskip(NEXT) | instid1(VALU_DEP_1)
	v_fma_f32 v33, -v23, v32, 1.0
	v_fmac_f32_e32 v32, v33, v32
	v_div_scale_f32 v33, vcc_lo, v13, v19, v13
	s_delay_alu instid0(VALU_DEP_1) | instskip(NEXT) | instid1(VALU_DEP_1)
	v_mul_f32_e32 v34, v33, v32
	v_fma_f32 v35, -v23, v34, v33
	s_delay_alu instid0(VALU_DEP_1) | instskip(NEXT) | instid1(VALU_DEP_1)
	v_fmac_f32_e32 v34, v35, v32
	v_fma_f32 v23, -v23, v34, v33
	s_delay_alu instid0(VALU_DEP_1) | instskip(NEXT) | instid1(VALU_DEP_1)
	v_div_fmas_f32 v23, v23, v32, v34
	v_div_fixup_f32 v13, v23, v19, v13
.LBB62_726:                             ;   in Loop: Header=BB62_418 Depth=1
	s_or_b32 exec_lo, exec_lo, s18
                                        ; implicit-def: $vgpr19
.LBB62_727:                             ;   in Loop: Header=BB62_418 Depth=1
	s_and_not1_saveexec_b32 s0, s0
; %bb.728:                              ;   in Loop: Header=BB62_418 Depth=1
	v_sub_f32_e32 v13, v12, v19
; %bb.729:                              ;   in Loop: Header=BB62_418 Depth=1
	s_or_b32 exec_lo, exec_lo, s0
	s_delay_alu instid0(VALU_DEP_1) | instskip(NEXT) | instid1(VALU_DEP_1)
	v_dual_mul_f32 v3, 0.5, v3 :: v_dual_mul_f32 v19, 0.5, v13
	v_pk_add_f32 v[32:33], v[2:3], v[18:19]
	s_delay_alu instid0(VALU_DEP_1) | instskip(NEXT) | instid1(VALU_DEP_1)
	v_mul_f32_e32 v3, v32, v33
	v_mul_f32_e32 v13, 0x4f800000, v3
	v_cmp_gt_f32_e32 vcc_lo, 0xf800000, v3
	s_delay_alu instid0(VALU_DEP_2) | instskip(NEXT) | instid1(VALU_DEP_1)
	v_cndmask_b32_e32 v3, v3, v13, vcc_lo
	v_sqrt_f32_e32 v13, v3
	v_nop
	s_delay_alu instid0(TRANS32_DEP_1) | instskip(NEXT) | instid1(VALU_DEP_1)
	v_dual_add_nc_u32 v19, -1, v13 :: v_dual_add_nc_u32 v23, 1, v13
	v_fma_f32 v32, -v19, v13, v3
	s_delay_alu instid0(VALU_DEP_2) | instskip(NEXT) | instid1(VALU_DEP_2)
	v_fma_f32 v34, -v23, v13, v3
	v_cmp_ge_f32_e64 s0, 0, v32
	s_delay_alu instid0(VALU_DEP_1) | instskip(NEXT) | instid1(VALU_DEP_3)
	v_cndmask_b32_e64 v13, v13, v19, s0
	v_cmp_lt_f32_e64 s0, 0, v34
	s_delay_alu instid0(VALU_DEP_1) | instskip(NEXT) | instid1(VALU_DEP_1)
	v_cndmask_b32_e64 v13, v13, v23, s0
	v_mul_f32_e32 v19, 0x37800000, v13
	s_delay_alu instid0(VALU_DEP_1) | instskip(SKIP_1) | instid1(VALU_DEP_2)
	v_cndmask_b32_e32 v13, v13, v19, vcc_lo
	v_cmp_class_f32_e64 vcc_lo, v3, 0x260
	v_cndmask_b32_e32 v3, v13, v3, vcc_lo
	s_delay_alu instid0(VALU_DEP_1) | instskip(NEXT) | instid1(VALU_DEP_1)
	v_add_f32_e32 v32, v33, v3
	v_add_f32_e32 v35, 1.0, v32
	s_delay_alu instid0(VALU_DEP_1) | instskip(SKIP_1) | instid1(VALU_DEP_1)
	v_cvt_f64_f32_e32 v[36:37], v35
	v_frexp_mant_f32_e32 v13, v35
	v_cmp_gt_f32_e32 vcc_lo, 0x3f2aaaab, v13
	s_delay_alu instid0(VALU_DEP_3) | instskip(NEXT) | instid1(VALU_DEP_1)
	v_frexp_exp_i32_f64_e32 v3, v[36:37]
	v_subrev_co_ci_u32_e64 v3, null, 0, v3, vcc_lo
	v_cmp_neq_f32_e32 vcc_lo, 0x7f800000, v32
	s_delay_alu instid0(VALU_DEP_2) | instskip(NEXT) | instid1(VALU_DEP_1)
	v_sub_nc_u32_e32 v13, 0, v3
	v_ldexp_f32 v19, v35, v13
	v_add_f32_e32 v33, -1.0, v35
	s_delay_alu instid0(VALU_DEP_1) | instskip(NEXT) | instid1(VALU_DEP_1)
	v_dual_add_f32 v39, -1.0, v19 :: v_dual_mov_b32 v34, v33
	v_pk_add_f32 v[36:37], v[32:33], v[34:35] neg_lo:[0,1] neg_hi:[0,1]
	s_delay_alu instid0(VALU_DEP_1) | instskip(NEXT) | instid1(VALU_DEP_1)
	v_dual_add_f32 v33, 1.0, v19 :: v_dual_add_f32 v23, 1.0, v37
	v_dual_add_f32 v34, -1.0, v33 :: v_dual_add_f32 v23, v36, v23
	s_delay_alu instid0(VALU_DEP_1) | instskip(NEXT) | instid1(VALU_DEP_2)
	v_ldexp_f32 v13, v23, v13
	v_dual_sub_f32 v23, v19, v34 :: v_dual_add_f32 v34, 1.0, v39
	s_delay_alu instid0(VALU_DEP_1) | instskip(NEXT) | instid1(VALU_DEP_1)
	v_dual_add_f32 v23, v13, v23 :: v_dual_sub_f32 v19, v19, v34
	v_add_f32_e32 v40, v33, v23
	s_delay_alu instid0(VALU_DEP_1) | instskip(NEXT) | instid1(VALU_DEP_1)
	v_dual_add_f32 v13, v13, v19 :: v_dual_sub_f32 v33, v40, v33
	v_add_f32_e32 v35, v39, v13
	s_delay_alu instid0(VALU_DEP_2) | instskip(SKIP_1) | instid1(VALU_DEP_2)
	v_sub_f32_e32 v23, v23, v33
	v_rcp_f32_e32 v19, v40
	v_sub_f32_e32 v33, v35, v39
	s_delay_alu instid0(TRANS32_DEP_1) | instid1(VALU_DEP_1)
	v_dual_mul_f32 v41, v35, v19 :: v_dual_sub_f32 v13, v13, v33
	s_delay_alu instid0(VALU_DEP_1) | instskip(NEXT) | instid1(VALU_DEP_1)
	v_mul_f32_e32 v36, v40, v41
	v_fma_f32 v38, v41, v40, -v36
	s_delay_alu instid0(VALU_DEP_1) | instskip(NEXT) | instid1(VALU_DEP_1)
	v_fmac_f32_e32 v38, v41, v23
	v_add_f32_e32 v34, v36, v38
	s_delay_alu instid0(VALU_DEP_1) | instskip(NEXT) | instid1(VALU_DEP_1)
	v_dual_sub_f32 v37, v35, v34 :: v_dual_mov_b32 v39, v34
	v_pk_add_f32 v[34:35], v[34:35], v[36:37] neg_lo:[0,1] neg_hi:[0,1]
	s_delay_alu instid0(VALU_DEP_1) | instskip(NEXT) | instid1(VALU_DEP_1)
	v_pk_add_f32 v[34:35], v[34:35], v[38:39] neg_lo:[0,1] neg_hi:[0,1]
	v_add_f32_e32 v13, v13, v35
	s_delay_alu instid0(VALU_DEP_1) | instskip(NEXT) | instid1(VALU_DEP_1)
	v_add_f32_e32 v13, v34, v13
	v_add_f32_e32 v35, v37, v13
	s_delay_alu instid0(VALU_DEP_1) | instskip(NEXT) | instid1(VALU_DEP_1)
	v_mul_f32_e32 v33, v19, v35
	v_mul_f32_e32 v38, v40, v33
	s_delay_alu instid0(VALU_DEP_1) | instskip(SKIP_1) | instid1(VALU_DEP_2)
	v_fma_f32 v36, v33, v40, -v38
	v_add_f32_e32 v40, v41, v33
	v_fmac_f32_e32 v36, v33, v23
	s_delay_alu instid0(VALU_DEP_1) | instskip(NEXT) | instid1(VALU_DEP_1)
	v_dual_add_f32 v34, v38, v36 :: v_dual_sub_f32 v23, v37, v35
	v_dual_sub_f32 v39, v35, v34 :: v_dual_mov_b32 v37, v34
	s_delay_alu instid0(VALU_DEP_2) | instskip(NEXT) | instid1(VALU_DEP_2)
	v_dual_add_f32 v13, v13, v23 :: v_dual_sub_f32 v23, v40, v41
	v_pk_add_f32 v[34:35], v[34:35], v[38:39] neg_lo:[0,1] neg_hi:[0,1]
	s_delay_alu instid0(VALU_DEP_2) | instskip(NEXT) | instid1(VALU_DEP_2)
	v_sub_f32_e32 v23, v33, v23
	v_pk_add_f32 v[34:35], v[34:35], v[36:37] neg_lo:[0,1] neg_hi:[0,1]
	s_delay_alu instid0(VALU_DEP_1) | instskip(NEXT) | instid1(VALU_DEP_1)
	v_add_f32_e32 v13, v13, v35
	v_add_f32_e32 v13, v34, v13
	v_cvt_f32_i32_e32 v34, v3
	s_delay_alu instid0(VALU_DEP_2) | instskip(NEXT) | instid1(VALU_DEP_1)
	v_add_f32_e32 v13, v39, v13
	v_mul_f32_e32 v13, v19, v13
	s_delay_alu instid0(VALU_DEP_1) | instskip(NEXT) | instid1(VALU_DEP_1)
	v_add_f32_e32 v13, v23, v13
	v_add_f32_e32 v19, v40, v13
	s_delay_alu instid0(VALU_DEP_1) | instskip(NEXT) | instid1(VALU_DEP_1)
	v_mul_f32_e32 v23, v19, v19
	v_fmaak_f32 v33, s7, v23, 0x3ecc95a3
	v_mul_f32_e32 v35, v19, v23
	s_delay_alu instid0(VALU_DEP_2) | instskip(NEXT) | instid1(VALU_DEP_1)
	v_fmaak_f32 v23, v23, v33, 0x3f2aaada
	v_pk_mul_f32 v[36:37], v[34:35], v[22:23]
	v_sub_f32_e32 v3, v19, v40
	s_delay_alu instid0(VALU_DEP_2) | instskip(NEXT) | instid1(VALU_DEP_2)
	v_fma_f32 v38, 0x3f317218, v34, -v36
	v_dual_mov_b32 v40, v36 :: v_dual_sub_f32 v3, v13, v3
	v_ldexp_f32 v39, v19, 1
	s_delay_alu instid0(VALU_DEP_3) | instskip(NEXT) | instid1(VALU_DEP_3)
	v_fmac_f32_e32 v38, 0xb102e308, v34
	v_ldexp_f32 v3, v3, 1
	s_delay_alu instid0(VALU_DEP_2) | instskip(NEXT) | instid1(VALU_DEP_1)
	v_pk_add_f32 v[34:35], v[36:37], v[38:39]
	v_dual_sub_f32 v13, v35, v39 :: v_dual_mov_b32 v39, v34
	s_delay_alu instid0(VALU_DEP_1) | instskip(SKIP_1) | instid1(VALU_DEP_2)
	v_dual_mov_b32 v48, v35 :: v_dual_sub_f32 v13, v37, v13
	v_pk_add_f32 v[36:37], v[34:35], v[36:37] neg_lo:[0,1] neg_hi:[0,1]
	v_add_f32_e32 v41, v3, v13
	s_delay_alu instid0(VALU_DEP_1) | instskip(NEXT) | instid1(VALU_DEP_1)
	v_pk_add_f32 v[42:43], v[34:35], v[40:41]
	v_mov_b32_e32 v37, v43
	s_delay_alu instid0(VALU_DEP_1) | instskip(SKIP_2) | instid1(VALU_DEP_3)
	v_pk_add_f32 v[44:45], v[38:39], v[36:37]
	v_mov_b32_e32 v44, v43
	v_pk_add_f32 v[36:37], v[38:39], v[36:37] neg_lo:[0,1] neg_hi:[0,1]
	v_dual_mov_b32 v40, v45 :: v_dual_mov_b32 v37, v45
	s_delay_alu instid0(VALU_DEP_1) | instskip(NEXT) | instid1(VALU_DEP_1)
	v_pk_add_f32 v[46:47], v[40:41], v[34:35] neg_lo:[0,1] neg_hi:[0,1]
	v_dual_mov_b32 v35, v34 :: v_dual_mov_b32 v49, v46
	v_dual_mov_b32 v3, v46 :: v_dual_mov_b32 v34, v41
	s_delay_alu instid0(VALU_DEP_2) | instskip(NEXT) | instid1(VALU_DEP_2)
	v_pk_add_f32 v[46:47], v[44:45], v[48:49] neg_lo:[0,1] neg_hi:[0,1]
	v_pk_add_f32 v[38:39], v[42:43], v[2:3] neg_lo:[0,1] neg_hi:[0,1]
	v_mov_b32_e32 v38, v36
	s_delay_alu instid0(VALU_DEP_3) | instskip(NEXT) | instid1(VALU_DEP_1)
	v_pk_add_f32 v[34:35], v[34:35], v[46:47] neg_lo:[0,1] neg_hi:[0,1]
	v_pk_add_f32 v[38:39], v[38:39], v[34:35]
	s_delay_alu instid0(VALU_DEP_1) | instskip(NEXT) | instid1(VALU_DEP_1)
	v_mov_b32_e32 v42, v39
	v_pk_add_f32 v[42:43], v[38:39], v[42:43]
	s_delay_alu instid0(VALU_DEP_1) | instskip(NEXT) | instid1(VALU_DEP_1)
	v_pk_add_f32 v[40:41], v[40:41], v[42:43]
	v_dual_mov_b32 v35, v42 :: v_dual_mov_b32 v39, v40
	s_delay_alu instid0(VALU_DEP_1) | instskip(NEXT) | instid1(VALU_DEP_1)
	v_pk_add_f32 v[44:45], v[38:39], v[36:37] neg_lo:[0,1] neg_hi:[0,1]
	v_sub_f32_e32 v3, v38, v44
	s_delay_alu instid0(VALU_DEP_2) | instskip(NEXT) | instid1(VALU_DEP_2)
	v_pk_add_f32 v[34:35], v[34:35], v[44:45] neg_lo:[0,1] neg_hi:[0,1]
	v_sub_f32_e32 v3, v36, v3
	s_delay_alu instid0(VALU_DEP_1) | instskip(NEXT) | instid1(VALU_DEP_1)
	v_add_f32_e32 v3, v34, v3
	v_add_f32_e32 v3, v3, v35
	s_delay_alu instid0(VALU_DEP_1) | instskip(NEXT) | instid1(VALU_DEP_1)
	v_add_f32_e32 v3, v40, v3
	v_cndmask_b32_e32 v3, 0x7f800000, v3, vcc_lo
	v_cmp_ngt_f32_e32 vcc_lo, -1.0, v32
	s_delay_alu instid0(VALU_DEP_2) | instskip(SKIP_1) | instid1(VALU_DEP_2)
	v_cndmask_b32_e32 v3, 0x7fc00000, v3, vcc_lo
	v_cmp_neq_f32_e32 vcc_lo, -1.0, v32
	v_cndmask_b32_e32 v3, 0xff800000, v3, vcc_lo
	v_cmp_gt_f32_e64 vcc_lo, 0x33800000, |v32|
	s_delay_alu instid0(VALU_DEP_2)
	v_cndmask_b32_e32 v19, v3, v32, vcc_lo
.LBB62_730:                             ;   in Loop: Header=BB62_418 Depth=1
	s_and_not1_saveexec_b32 s17, s17
	s_cbranch_execz .LBB62_736
; %bb.731:                              ;   in Loop: Header=BB62_418 Depth=1
	s_mov_b32 s18, exec_lo
                                        ; implicit-def: $vgpr19
	v_cmpx_nlt_f32_e64 |v4|, 1.0
	s_xor_b32 s18, exec_lo, s18
	s_cbranch_execz .LBB62_733
; %bb.732:                              ;   in Loop: Header=BB62_418 Depth=1
	v_mul_f32_e32 v3, v28, v29
	s_delay_alu instid0(VALU_DEP_1) | instskip(SKIP_1) | instid1(VALU_DEP_2)
	v_mul_f32_e32 v13, 0x4f800000, v3
	v_cmp_gt_f32_e32 vcc_lo, 0xf800000, v3
	v_cndmask_b32_e32 v3, v3, v13, vcc_lo
	s_delay_alu instid0(VALU_DEP_1) | instskip(SKIP_1) | instid1(TRANS32_DEP_1)
	v_sqrt_f32_e32 v13, v3
	v_nop
	v_dual_add_nc_u32 v19, -1, v13 :: v_dual_add_nc_u32 v23, 1, v13
	s_delay_alu instid0(VALU_DEP_1) | instskip(NEXT) | instid1(VALU_DEP_2)
	v_fma_f32 v32, -v19, v13, v3
	v_fma_f32 v33, -v23, v13, v3
	s_delay_alu instid0(VALU_DEP_2) | instskip(NEXT) | instid1(VALU_DEP_1)
	v_cmp_ge_f32_e64 s0, 0, v32
	v_cndmask_b32_e64 v13, v13, v19, s0
	s_delay_alu instid0(VALU_DEP_3) | instskip(NEXT) | instid1(VALU_DEP_1)
	v_cmp_lt_f32_e64 s0, 0, v33
	v_cndmask_b32_e64 v13, v13, v23, s0
	s_delay_alu instid0(VALU_DEP_1) | instskip(NEXT) | instid1(VALU_DEP_1)
	v_mul_f32_e32 v19, 0x37800000, v13
	v_cndmask_b32_e32 v13, v13, v19, vcc_lo
	v_cmp_class_f32_e64 vcc_lo, v3, 0x260
	s_delay_alu instid0(VALU_DEP_2) | instskip(NEXT) | instid1(VALU_DEP_1)
	v_cndmask_b32_e32 v3, v13, v3, vcc_lo
	v_add_f32_e32 v32, v28, v3
	s_delay_alu instid0(VALU_DEP_1) | instskip(NEXT) | instid1(VALU_DEP_1)
	v_add_f32_e32 v35, 1.0, v32
	v_cvt_f64_f32_e32 v[36:37], v35
	v_frexp_mant_f32_e32 v13, v35
	s_delay_alu instid0(VALU_DEP_1) | instskip(NEXT) | instid1(VALU_DEP_3)
	v_cmp_gt_f32_e32 vcc_lo, 0x3f2aaaab, v13
	v_frexp_exp_i32_f64_e32 v3, v[36:37]
	s_delay_alu instid0(VALU_DEP_1) | instskip(SKIP_1) | instid1(VALU_DEP_2)
	v_subrev_co_ci_u32_e64 v3, null, 0, v3, vcc_lo
	v_cmp_neq_f32_e32 vcc_lo, 0x7f800000, v32
	v_sub_nc_u32_e32 v13, 0, v3
	s_delay_alu instid0(VALU_DEP_1) | instskip(SKIP_1) | instid1(VALU_DEP_1)
	v_ldexp_f32 v19, v35, v13
	v_add_f32_e32 v33, -1.0, v35
	v_dual_add_f32 v39, -1.0, v19 :: v_dual_mov_b32 v34, v33
	s_delay_alu instid0(VALU_DEP_1) | instskip(NEXT) | instid1(VALU_DEP_1)
	v_pk_add_f32 v[36:37], v[32:33], v[34:35] neg_lo:[0,1] neg_hi:[0,1]
	v_dual_add_f32 v33, 1.0, v19 :: v_dual_add_f32 v23, 1.0, v37
	s_delay_alu instid0(VALU_DEP_1) | instskip(NEXT) | instid1(VALU_DEP_1)
	v_dual_add_f32 v34, -1.0, v33 :: v_dual_add_f32 v23, v36, v23
	v_ldexp_f32 v13, v23, v13
	s_delay_alu instid0(VALU_DEP_2) | instskip(NEXT) | instid1(VALU_DEP_1)
	v_dual_sub_f32 v23, v19, v34 :: v_dual_add_f32 v34, 1.0, v39
	v_dual_add_f32 v23, v13, v23 :: v_dual_sub_f32 v19, v19, v34
	s_delay_alu instid0(VALU_DEP_1) | instskip(NEXT) | instid1(VALU_DEP_1)
	v_add_f32_e32 v40, v33, v23
	v_dual_add_f32 v13, v13, v19 :: v_dual_sub_f32 v33, v40, v33
	s_delay_alu instid0(VALU_DEP_1) | instskip(NEXT) | instid1(VALU_DEP_2)
	v_add_f32_e32 v35, v39, v13
	v_sub_f32_e32 v23, v23, v33
	v_rcp_f32_e32 v19, v40
	s_delay_alu instid0(VALU_DEP_2)
	v_sub_f32_e32 v33, v35, v39
	s_delay_alu instid0(TRANS32_DEP_1) | instid1(VALU_DEP_1)
	v_dual_mul_f32 v41, v35, v19 :: v_dual_sub_f32 v13, v13, v33
	s_delay_alu instid0(VALU_DEP_1) | instskip(NEXT) | instid1(VALU_DEP_1)
	v_mul_f32_e32 v36, v40, v41
	v_fma_f32 v38, v41, v40, -v36
	s_delay_alu instid0(VALU_DEP_1) | instskip(NEXT) | instid1(VALU_DEP_1)
	v_fmac_f32_e32 v38, v41, v23
	v_add_f32_e32 v34, v36, v38
	s_delay_alu instid0(VALU_DEP_1) | instskip(NEXT) | instid1(VALU_DEP_1)
	v_dual_sub_f32 v37, v35, v34 :: v_dual_mov_b32 v39, v34
	v_pk_add_f32 v[34:35], v[34:35], v[36:37] neg_lo:[0,1] neg_hi:[0,1]
	s_delay_alu instid0(VALU_DEP_1) | instskip(NEXT) | instid1(VALU_DEP_1)
	v_pk_add_f32 v[34:35], v[34:35], v[38:39] neg_lo:[0,1] neg_hi:[0,1]
	v_add_f32_e32 v13, v13, v35
	s_delay_alu instid0(VALU_DEP_1) | instskip(NEXT) | instid1(VALU_DEP_1)
	v_add_f32_e32 v13, v34, v13
	v_add_f32_e32 v35, v37, v13
	s_delay_alu instid0(VALU_DEP_1) | instskip(NEXT) | instid1(VALU_DEP_1)
	v_mul_f32_e32 v33, v19, v35
	v_mul_f32_e32 v38, v40, v33
	s_delay_alu instid0(VALU_DEP_1) | instskip(SKIP_1) | instid1(VALU_DEP_2)
	v_fma_f32 v36, v33, v40, -v38
	v_add_f32_e32 v40, v41, v33
	v_fmac_f32_e32 v36, v33, v23
	s_delay_alu instid0(VALU_DEP_1) | instskip(NEXT) | instid1(VALU_DEP_1)
	v_dual_add_f32 v34, v38, v36 :: v_dual_sub_f32 v23, v37, v35
	v_dual_sub_f32 v39, v35, v34 :: v_dual_mov_b32 v37, v34
	s_delay_alu instid0(VALU_DEP_2) | instskip(NEXT) | instid1(VALU_DEP_2)
	v_dual_add_f32 v13, v13, v23 :: v_dual_sub_f32 v23, v40, v41
	v_pk_add_f32 v[34:35], v[34:35], v[38:39] neg_lo:[0,1] neg_hi:[0,1]
	s_delay_alu instid0(VALU_DEP_2) | instskip(NEXT) | instid1(VALU_DEP_2)
	v_sub_f32_e32 v23, v33, v23
	v_pk_add_f32 v[34:35], v[34:35], v[36:37] neg_lo:[0,1] neg_hi:[0,1]
	s_delay_alu instid0(VALU_DEP_1) | instskip(NEXT) | instid1(VALU_DEP_1)
	v_add_f32_e32 v13, v13, v35
	v_add_f32_e32 v13, v34, v13
	v_cvt_f32_i32_e32 v34, v3
	s_delay_alu instid0(VALU_DEP_2) | instskip(NEXT) | instid1(VALU_DEP_1)
	v_add_f32_e32 v13, v39, v13
	v_mul_f32_e32 v13, v19, v13
	s_delay_alu instid0(VALU_DEP_1) | instskip(NEXT) | instid1(VALU_DEP_1)
	v_add_f32_e32 v13, v23, v13
	v_add_f32_e32 v19, v40, v13
	s_delay_alu instid0(VALU_DEP_1) | instskip(NEXT) | instid1(VALU_DEP_1)
	v_mul_f32_e32 v23, v19, v19
	v_fmaak_f32 v33, s7, v23, 0x3ecc95a3
	v_mul_f32_e32 v35, v19, v23
	s_delay_alu instid0(VALU_DEP_2) | instskip(NEXT) | instid1(VALU_DEP_1)
	v_fmaak_f32 v23, v23, v33, 0x3f2aaada
	v_pk_mul_f32 v[36:37], v[34:35], v[22:23]
	v_sub_f32_e32 v3, v19, v40
	s_delay_alu instid0(VALU_DEP_2) | instskip(NEXT) | instid1(VALU_DEP_2)
	v_fma_f32 v38, 0x3f317218, v34, -v36
	v_dual_mov_b32 v40, v36 :: v_dual_sub_f32 v3, v13, v3
	v_ldexp_f32 v39, v19, 1
	s_delay_alu instid0(VALU_DEP_3) | instskip(NEXT) | instid1(VALU_DEP_3)
	v_fmac_f32_e32 v38, 0xb102e308, v34
	v_ldexp_f32 v3, v3, 1
	s_delay_alu instid0(VALU_DEP_2) | instskip(NEXT) | instid1(VALU_DEP_1)
	v_pk_add_f32 v[34:35], v[36:37], v[38:39]
	v_dual_sub_f32 v13, v35, v39 :: v_dual_mov_b32 v39, v34
	s_delay_alu instid0(VALU_DEP_1) | instskip(SKIP_1) | instid1(VALU_DEP_2)
	v_dual_mov_b32 v48, v35 :: v_dual_sub_f32 v13, v37, v13
	v_pk_add_f32 v[36:37], v[34:35], v[36:37] neg_lo:[0,1] neg_hi:[0,1]
	v_add_f32_e32 v41, v3, v13
	s_delay_alu instid0(VALU_DEP_1) | instskip(NEXT) | instid1(VALU_DEP_1)
	v_pk_add_f32 v[42:43], v[34:35], v[40:41]
	v_mov_b32_e32 v37, v43
	s_delay_alu instid0(VALU_DEP_1) | instskip(SKIP_2) | instid1(VALU_DEP_3)
	v_pk_add_f32 v[44:45], v[38:39], v[36:37]
	v_mov_b32_e32 v44, v43
	v_pk_add_f32 v[36:37], v[38:39], v[36:37] neg_lo:[0,1] neg_hi:[0,1]
	v_dual_mov_b32 v40, v45 :: v_dual_mov_b32 v37, v45
	s_delay_alu instid0(VALU_DEP_1) | instskip(NEXT) | instid1(VALU_DEP_1)
	v_pk_add_f32 v[46:47], v[40:41], v[34:35] neg_lo:[0,1] neg_hi:[0,1]
	v_dual_mov_b32 v35, v34 :: v_dual_mov_b32 v49, v46
	v_dual_mov_b32 v3, v46 :: v_dual_mov_b32 v34, v41
	s_delay_alu instid0(VALU_DEP_2) | instskip(NEXT) | instid1(VALU_DEP_2)
	v_pk_add_f32 v[46:47], v[44:45], v[48:49] neg_lo:[0,1] neg_hi:[0,1]
	v_pk_add_f32 v[38:39], v[42:43], v[2:3] neg_lo:[0,1] neg_hi:[0,1]
	v_mov_b32_e32 v38, v36
	s_delay_alu instid0(VALU_DEP_3) | instskip(NEXT) | instid1(VALU_DEP_1)
	v_pk_add_f32 v[34:35], v[34:35], v[46:47] neg_lo:[0,1] neg_hi:[0,1]
	v_pk_add_f32 v[38:39], v[38:39], v[34:35]
	s_delay_alu instid0(VALU_DEP_1) | instskip(NEXT) | instid1(VALU_DEP_1)
	v_mov_b32_e32 v42, v39
	v_pk_add_f32 v[42:43], v[38:39], v[42:43]
	s_delay_alu instid0(VALU_DEP_1) | instskip(NEXT) | instid1(VALU_DEP_1)
	v_pk_add_f32 v[40:41], v[40:41], v[42:43]
	v_dual_mov_b32 v35, v42 :: v_dual_mov_b32 v39, v40
	s_delay_alu instid0(VALU_DEP_1) | instskip(NEXT) | instid1(VALU_DEP_1)
	v_pk_add_f32 v[44:45], v[38:39], v[36:37] neg_lo:[0,1] neg_hi:[0,1]
	v_sub_f32_e32 v3, v38, v44
	s_delay_alu instid0(VALU_DEP_2) | instskip(NEXT) | instid1(VALU_DEP_2)
	v_pk_add_f32 v[34:35], v[34:35], v[44:45] neg_lo:[0,1] neg_hi:[0,1]
	v_sub_f32_e32 v3, v36, v3
	s_delay_alu instid0(VALU_DEP_1) | instskip(NEXT) | instid1(VALU_DEP_1)
	v_add_f32_e32 v3, v34, v3
	v_add_f32_e32 v3, v3, v35
	s_delay_alu instid0(VALU_DEP_1) | instskip(NEXT) | instid1(VALU_DEP_1)
	v_add_f32_e32 v3, v40, v3
	v_cndmask_b32_e32 v3, 0x7f800000, v3, vcc_lo
	v_cmp_ngt_f32_e32 vcc_lo, -1.0, v32
	s_delay_alu instid0(VALU_DEP_2) | instskip(SKIP_1) | instid1(VALU_DEP_2)
	v_cndmask_b32_e32 v3, 0x7fc00000, v3, vcc_lo
	v_cmp_neq_f32_e32 vcc_lo, -1.0, v32
	v_cndmask_b32_e32 v3, 0xff800000, v3, vcc_lo
	v_cmp_gt_f32_e64 vcc_lo, 0x33800000, |v32|
	s_delay_alu instid0(VALU_DEP_2)
	v_cndmask_b32_e32 v19, v3, v32, vcc_lo
.LBB62_733:                             ;   in Loop: Header=BB62_418 Depth=1
	s_and_not1_saveexec_b32 s18, s18
	s_cbranch_execz .LBB62_735
; %bb.734:                              ;   in Loop: Header=BB62_418 Depth=1
	v_sub_f32_e64 v3, 1.0, |v4|
	s_delay_alu instid0(VALU_DEP_1) | instskip(NEXT) | instid1(VALU_DEP_1)
	v_mul_f32_e32 v3, v3, v29
	v_mul_f32_e32 v13, 0x4f800000, v3
	v_cmp_gt_f32_e32 vcc_lo, 0xf800000, v3
	s_delay_alu instid0(VALU_DEP_2) | instskip(NEXT) | instid1(VALU_DEP_1)
	v_cndmask_b32_e32 v3, v3, v13, vcc_lo
	v_sqrt_f32_e32 v13, v3
	v_nop
	s_delay_alu instid0(TRANS32_DEP_1) | instskip(NEXT) | instid1(VALU_DEP_1)
	v_dual_add_nc_u32 v19, -1, v13 :: v_dual_add_nc_u32 v23, 1, v13
	v_fma_f32 v32, -v19, v13, v3
	s_delay_alu instid0(VALU_DEP_2) | instskip(NEXT) | instid1(VALU_DEP_2)
	v_fma_f32 v33, -v23, v13, v3
	v_cmp_ge_f32_e64 s0, 0, v32
	s_delay_alu instid0(VALU_DEP_1) | instskip(NEXT) | instid1(VALU_DEP_3)
	v_cndmask_b32_e64 v13, v13, v19, s0
	v_cmp_lt_f32_e64 s0, 0, v33
	s_delay_alu instid0(VALU_DEP_1) | instskip(NEXT) | instid1(VALU_DEP_1)
	v_cndmask_b32_e64 v13, v13, v23, s0
	v_mul_f32_e32 v19, 0x37800000, v13
	s_delay_alu instid0(VALU_DEP_1) | instskip(SKIP_2) | instid1(VALU_DEP_3)
	v_cndmask_b32_e32 v13, v13, v19, vcc_lo
	v_cmp_class_f32_e64 vcc_lo, v3, 0x260
	v_and_b32_e32 v19, 0x7fffffff, v5
	v_cndmask_b32_e32 v3, v13, v3, vcc_lo
	s_delay_alu instid0(VALU_DEP_1) | instskip(SKIP_1) | instid1(VALU_DEP_2)
	v_div_scale_f32 v13, null, v3, v3, v19
	v_div_scale_f32 v19, vcc_lo, v19, v3, v19
	v_rcp_f32_e32 v23, v13
	v_nop
	s_delay_alu instid0(TRANS32_DEP_1) | instskip(NEXT) | instid1(VALU_DEP_1)
	v_fma_f32 v32, -v13, v23, 1.0
	v_fmac_f32_e32 v23, v32, v23
	s_delay_alu instid0(VALU_DEP_1) | instskip(NEXT) | instid1(VALU_DEP_1)
	v_mul_f32_e32 v32, v19, v23
	v_fma_f32 v33, -v13, v32, v19
	s_delay_alu instid0(VALU_DEP_1) | instskip(NEXT) | instid1(VALU_DEP_1)
	v_fmac_f32_e32 v32, v33, v23
	v_fma_f32 v13, -v13, v32, v19
	s_delay_alu instid0(VALU_DEP_1) | instskip(NEXT) | instid1(VALU_DEP_1)
	v_div_fmas_f32 v13, v13, v23, v32
	v_div_fixup_f32 v19, v13, v3, |v5|
.LBB62_735:                             ;   in Loop: Header=BB62_418 Depth=1
	s_or_b32 exec_lo, exec_lo, s18
.LBB62_736:                             ;   in Loop: Header=BB62_418 Depth=1
	s_delay_alu instid0(SALU_CYCLE_1)
	s_or_b32 exec_lo, exec_lo, s17
.LBB62_737:                             ;   in Loop: Header=BB62_418 Depth=1
	s_and_not1_saveexec_b32 s16, s16
	s_cbranch_execz .LBB62_739
; %bb.738:                              ;   in Loop: Header=BB62_418 Depth=1
	v_mul_f32_e64 v3, 0x4f800000, |v5|
	v_cmp_gt_f32_e64 vcc_lo, 0xf800000, |v5|
	s_delay_alu instid0(VALU_DEP_1) | instskip(NEXT) | instid1(VALU_DEP_1)
	v_cndmask_b32_e64 v3, |v5|, v3, vcc_lo
	v_sqrt_f32_e32 v13, v3
	v_nop
	s_delay_alu instid0(TRANS32_DEP_1) | instskip(NEXT) | instid1(VALU_DEP_1)
	v_dual_add_nc_u32 v19, -1, v13 :: v_dual_add_nc_u32 v23, 1, v13
	v_fma_f32 v32, -v19, v13, v3
	s_delay_alu instid0(VALU_DEP_2) | instskip(NEXT) | instid1(VALU_DEP_2)
	v_fma_f32 v33, -v23, v13, v3
	v_cmp_ge_f32_e64 s0, 0, v32
	s_delay_alu instid0(VALU_DEP_1) | instskip(NEXT) | instid1(VALU_DEP_3)
	v_cndmask_b32_e64 v13, v13, v19, s0
	v_cmp_lt_f32_e64 s0, 0, v33
	s_delay_alu instid0(VALU_DEP_1) | instskip(NEXT) | instid1(VALU_DEP_1)
	v_cndmask_b32_e64 v13, v13, v23, s0
	v_mul_f32_e32 v19, 0x37800000, v13
	s_delay_alu instid0(VALU_DEP_1) | instskip(SKIP_1) | instid1(VALU_DEP_2)
	v_cndmask_b32_e32 v13, v13, v19, vcc_lo
	v_cmp_class_f32_e64 vcc_lo, v3, 0x260
	v_cndmask_b32_e32 v19, v13, v3, vcc_lo
.LBB62_739:                             ;   in Loop: Header=BB62_418 Depth=1
	s_or_b32 exec_lo, exec_lo, s16
.LBB62_740:                             ;   in Loop: Header=BB62_418 Depth=1
	s_delay_alu instid0(SALU_CYCLE_1) | instskip(NEXT) | instid1(SALU_CYCLE_1)
	s_or_b32 exec_lo, exec_lo, s1
	s_mov_b32 s16, exec_lo
                                        ; implicit-def: $sgpr0
                                        ; implicit-def: $vgpr13
                                        ; implicit-def: $vgpr23
	v_cmpx_ngt_f32_e64 0x21000000, |v4|
	s_xor_b32 s16, exec_lo, s16
	s_cbranch_execz .LBB62_764
; %bb.741:                              ;   in Loop: Header=BB62_418 Depth=1
	v_and_b32_e32 v13, 0x7fffffff, v4
	s_mov_b32 s0, 0
	s_mov_b32 s17, exec_lo
	s_delay_alu instid0(VALU_DEP_1) | instskip(NEXT) | instid1(VALU_DEP_1)
	v_div_scale_f32 v3, null, v2, v2, v13
	v_rcp_f32_e32 v23, v3
	v_nop
	s_delay_alu instid0(TRANS32_DEP_1) | instskip(NEXT) | instid1(VALU_DEP_1)
	v_fma_f32 v32, -v3, v23, 1.0
	v_fmac_f32_e32 v23, v32, v23
	v_div_scale_f32 v32, vcc_lo, v13, v2, v13
	s_delay_alu instid0(VALU_DEP_1) | instskip(NEXT) | instid1(VALU_DEP_1)
	v_mul_f32_e32 v33, v32, v23
	v_fma_f32 v34, -v3, v33, v32
	s_delay_alu instid0(VALU_DEP_1) | instskip(NEXT) | instid1(VALU_DEP_1)
	v_fmac_f32_e32 v33, v34, v23
	v_fma_f32 v3, -v3, v33, v32
	s_delay_alu instid0(VALU_DEP_1) | instskip(NEXT) | instid1(VALU_DEP_1)
	v_div_fmas_f32 v3, v3, v23, v33
	v_div_fixup_f32 v23, v3, v2, |v4|
	s_delay_alu instid0(VALU_DEP_1)
	v_cmpx_lt_f32_e32 0x3f244674, v23
	s_cbranch_execz .LBB62_763
; %bb.742:                              ;   in Loop: Header=BB62_418 Depth=1
	v_cmp_neq_f32_e64 s0, |v4|, 1.0
	v_cmp_ngt_f32_e64 s1, 0x30800000, |v5|
	s_or_b32 s0, s0, s1
	s_delay_alu instid0(SALU_CYCLE_1) | instskip(NEXT) | instid1(SALU_CYCLE_1)
	s_and_saveexec_b32 s1, s0
	s_xor_b32 s1, exec_lo, s1
	s_cbranch_execz .LBB62_760
; %bb.743:                              ;   in Loop: Header=BB62_418 Depth=1
	v_mul_f32_e64 v3, 0x34000000, |v28|
	s_mov_b32 s18, exec_lo
	s_delay_alu instid0(VALU_DEP_1)
	v_cmpx_ge_f32_e64 |v5|, v3
	s_xor_b32 s18, exec_lo, s18
	s_cbranch_execz .LBB62_753
; %bb.744:                              ;   in Loop: Header=BB62_418 Depth=1
	v_mov_b32_e32 v3, v30
	s_mov_b32 s0, exec_lo
	v_cmpx_neq_f32_e32 0, v29
	s_cbranch_execz .LBB62_746
; %bb.745:                              ;   in Loop: Header=BB62_418 Depth=1
	v_mul_f32_e32 v3, v5, v5
	v_add_f32_e32 v29, v29, v31
	s_delay_alu instid0(VALU_DEP_1) | instskip(NEXT) | instid1(VALU_DEP_1)
	v_div_scale_f32 v31, null, v29, v29, v3
	v_rcp_f32_e32 v32, v31
	v_nop
	s_delay_alu instid0(TRANS32_DEP_1) | instskip(NEXT) | instid1(VALU_DEP_1)
	v_fma_f32 v33, -v31, v32, 1.0
	v_fmac_f32_e32 v32, v33, v32
	v_div_scale_f32 v33, vcc_lo, v3, v29, v3
	s_delay_alu instid0(VALU_DEP_1) | instskip(NEXT) | instid1(VALU_DEP_1)
	v_mul_f32_e32 v34, v33, v32
	v_fma_f32 v35, -v31, v34, v33
	s_delay_alu instid0(VALU_DEP_1) | instskip(NEXT) | instid1(VALU_DEP_1)
	v_fmac_f32_e32 v34, v35, v32
	v_fma_f32 v31, -v31, v34, v33
	s_delay_alu instid0(VALU_DEP_1) | instskip(NEXT) | instid1(VALU_DEP_1)
	v_div_fmas_f32 v31, v31, v32, v34
	v_div_fixup_f32 v3, v31, v29, v3
.LBB62_746:                             ;   in Loop: Header=BB62_418 Depth=1
	s_or_b32 exec_lo, exec_lo, s0
	s_delay_alu instid0(SALU_CYCLE_1)
	s_mov_b32 s0, exec_lo
	v_cmpx_ngt_f32_e32 0, v28
	s_xor_b32 s0, exec_lo, s0
	s_cbranch_execz .LBB62_750
; %bb.747:                              ;   in Loop: Header=BB62_418 Depth=1
	s_mov_b32 s19, exec_lo
	v_cmpx_neq_f32_e32 0, v28
	s_cbranch_execz .LBB62_749
; %bb.748:                              ;   in Loop: Header=BB62_418 Depth=1
	v_dual_mul_f32 v29, v5, v5 :: v_dual_add_f32 v12, v28, v12
	s_delay_alu instid0(VALU_DEP_1) | instskip(NEXT) | instid1(VALU_DEP_1)
	v_div_scale_f32 v28, null, v12, v12, v29
	v_rcp_f32_e32 v30, v28
	v_nop
	s_delay_alu instid0(TRANS32_DEP_1) | instskip(NEXT) | instid1(VALU_DEP_1)
	v_fma_f32 v31, -v28, v30, 1.0
	v_fmac_f32_e32 v30, v31, v30
	v_div_scale_f32 v31, vcc_lo, v29, v12, v29
	s_delay_alu instid0(VALU_DEP_1) | instskip(NEXT) | instid1(VALU_DEP_1)
	v_mul_f32_e32 v32, v31, v30
	v_fma_f32 v33, -v28, v32, v31
	s_delay_alu instid0(VALU_DEP_1) | instskip(NEXT) | instid1(VALU_DEP_1)
	v_fmac_f32_e32 v32, v33, v30
	v_fma_f32 v28, -v28, v32, v31
	s_delay_alu instid0(VALU_DEP_1) | instskip(NEXT) | instid1(VALU_DEP_1)
	v_div_fmas_f32 v28, v28, v30, v32
	v_div_fixup_f32 v30, v28, v12, v29
.LBB62_749:                             ;   in Loop: Header=BB62_418 Depth=1
	s_or_b32 exec_lo, exec_lo, s19
                                        ; implicit-def: $vgpr12
                                        ; implicit-def: $vgpr28
.LBB62_750:                             ;   in Loop: Header=BB62_418 Depth=1
	s_and_not1_saveexec_b32 s0, s0
; %bb.751:                              ;   in Loop: Header=BB62_418 Depth=1
	v_sub_f32_e32 v30, v12, v28
; %bb.752:                              ;   in Loop: Header=BB62_418 Depth=1
	s_or_b32 exec_lo, exec_lo, s0
	s_delay_alu instid0(VALU_DEP_1) | instskip(SKIP_1) | instid1(VALU_DEP_1)
	v_dual_mul_f32 v29, 0.5, v3 :: v_dual_mul_f32 v3, 0.5, v30
	v_and_b32_e32 v28, 0x7fffffff, v4
	v_pk_add_f32 v[2:3], v[28:29], v[2:3]
	s_delay_alu instid0(VALU_DEP_1) | instskip(NEXT) | instid1(VALU_DEP_1)
	v_mul_f32_e32 v2, v2, v3
	v_mul_f32_e32 v3, 0x4f800000, v2
	v_cmp_gt_f32_e32 vcc_lo, 0xf800000, v2
	s_delay_alu instid0(VALU_DEP_2) | instskip(NEXT) | instid1(VALU_DEP_1)
	v_cndmask_b32_e32 v2, v2, v3, vcc_lo
	v_sqrt_f32_e32 v3, v2
	v_nop
	s_delay_alu instid0(TRANS32_DEP_1) | instskip(NEXT) | instid1(VALU_DEP_1)
	v_dual_add_nc_u32 v12, -1, v3 :: v_dual_add_nc_u32 v28, 1, v3
	v_fma_f32 v29, -v12, v3, v2
	s_delay_alu instid0(VALU_DEP_2) | instskip(NEXT) | instid1(VALU_DEP_2)
	v_fma_f32 v30, -v28, v3, v2
	v_cmp_ge_f32_e64 s0, 0, v29
                                        ; implicit-def: $vgpr29
	s_delay_alu instid0(VALU_DEP_1) | instskip(NEXT) | instid1(VALU_DEP_3)
	v_cndmask_b32_e64 v3, v3, v12, s0
	v_cmp_lt_f32_e64 s0, 0, v30
	s_delay_alu instid0(VALU_DEP_1) | instskip(NEXT) | instid1(VALU_DEP_1)
	v_cndmask_b32_e64 v3, v3, v28, s0
                                        ; implicit-def: $vgpr28
	v_mul_f32_e32 v12, 0x37800000, v3
	s_delay_alu instid0(VALU_DEP_1) | instskip(SKIP_1) | instid1(VALU_DEP_2)
	v_cndmask_b32_e32 v3, v3, v12, vcc_lo
	v_cmp_class_f32_e64 vcc_lo, v2, 0x260
	v_cndmask_b32_e32 v12, v3, v2, vcc_lo
.LBB62_753:                             ;   in Loop: Header=BB62_418 Depth=1
	s_and_not1_saveexec_b32 s18, s18
	s_cbranch_execz .LBB62_759
; %bb.754:                              ;   in Loop: Header=BB62_418 Depth=1
	s_mov_b32 s19, exec_lo
	v_cmpx_ngt_f32_e64 |v4|, 1.0
	s_xor_b32 s19, exec_lo, s19
	s_cbranch_execz .LBB62_756
; %bb.755:                              ;   in Loop: Header=BB62_418 Depth=1
	v_sub_f32_e64 v2, 1.0, |v4|
	s_delay_alu instid0(VALU_DEP_1) | instskip(NEXT) | instid1(VALU_DEP_1)
	v_mul_f32_e32 v2, v2, v29
	v_mul_f32_e32 v3, 0x4f800000, v2
	v_cmp_gt_f32_e32 vcc_lo, 0xf800000, v2
	s_delay_alu instid0(VALU_DEP_2) | instskip(NEXT) | instid1(VALU_DEP_1)
	v_cndmask_b32_e32 v2, v2, v3, vcc_lo
	v_sqrt_f32_e32 v3, v2
	v_nop
	s_delay_alu instid0(TRANS32_DEP_1) | instskip(NEXT) | instid1(VALU_DEP_1)
	v_dual_add_nc_u32 v12, -1, v3 :: v_dual_add_nc_u32 v28, 1, v3
	v_fma_f32 v29, -v12, v3, v2
	s_delay_alu instid0(VALU_DEP_2) | instskip(NEXT) | instid1(VALU_DEP_2)
	v_fma_f32 v30, -v28, v3, v2
	v_cmp_ge_f32_e64 s0, 0, v29
                                        ; implicit-def: $vgpr29
	s_delay_alu instid0(VALU_DEP_1) | instskip(NEXT) | instid1(VALU_DEP_3)
	v_cndmask_b32_e64 v3, v3, v12, s0
	v_cmp_lt_f32_e64 s0, 0, v30
	s_delay_alu instid0(VALU_DEP_1) | instskip(NEXT) | instid1(VALU_DEP_1)
	v_cndmask_b32_e64 v3, v3, v28, s0
                                        ; implicit-def: $vgpr28
	v_mul_f32_e32 v12, 0x37800000, v3
	s_delay_alu instid0(VALU_DEP_1) | instskip(SKIP_1) | instid1(VALU_DEP_2)
	v_cndmask_b32_e32 v3, v3, v12, vcc_lo
	v_cmp_class_f32_e64 vcc_lo, v2, 0x260
	v_cndmask_b32_e32 v12, v3, v2, vcc_lo
.LBB62_756:                             ;   in Loop: Header=BB62_418 Depth=1
	s_and_not1_saveexec_b32 s19, s19
	s_cbranch_execz .LBB62_758
; %bb.757:                              ;   in Loop: Header=BB62_418 Depth=1
	v_mul_f32_e32 v2, v29, v28
	s_delay_alu instid0(VALU_DEP_1) | instskip(SKIP_1) | instid1(VALU_DEP_2)
	v_mul_f32_e32 v3, 0x4f800000, v2
	v_cmp_gt_f32_e32 vcc_lo, 0xf800000, v2
	v_cndmask_b32_e32 v2, v2, v3, vcc_lo
	s_delay_alu instid0(VALU_DEP_1) | instskip(SKIP_1) | instid1(TRANS32_DEP_1)
	v_sqrt_f32_e32 v3, v2
	v_nop
	v_dual_add_nc_u32 v12, -1, v3 :: v_dual_add_nc_u32 v13, 1, v3
	s_delay_alu instid0(VALU_DEP_1) | instskip(NEXT) | instid1(VALU_DEP_1)
	v_dual_fma_f32 v28, -v12, v3, v2 :: v_dual_fma_f32 v29, -v13, v3, v2
	v_cmp_ge_f32_e64 s0, 0, v28
	s_delay_alu instid0(VALU_DEP_1) | instskip(NEXT) | instid1(VALU_DEP_3)
	v_cndmask_b32_e64 v3, v3, v12, s0
	v_cmp_lt_f32_e64 s0, 0, v29
	s_delay_alu instid0(VALU_DEP_1) | instskip(SKIP_1) | instid1(VALU_DEP_2)
	v_cndmask_b32_e64 v3, v3, v13, s0
	v_mul_f32_e64 v13, 0x57800000, |v5|
	v_mul_f32_e32 v12, 0x37800000, v3
	s_delay_alu instid0(VALU_DEP_1) | instskip(SKIP_1) | instid1(VALU_DEP_4)
	v_cndmask_b32_e32 v3, v3, v12, vcc_lo
	v_cmp_class_f32_e64 vcc_lo, v2, 0x260
	v_mul_f32_e64 v12, |v4|, v13
	s_delay_alu instid0(VALU_DEP_3) | instskip(NEXT) | instid1(VALU_DEP_1)
	v_cndmask_b32_e32 v2, v3, v2, vcc_lo
	v_div_scale_f32 v3, null, v2, v2, v12
	v_div_scale_f32 v29, vcc_lo, v12, v2, v12
	s_delay_alu instid0(VALU_DEP_2) | instskip(SKIP_1) | instid1(TRANS32_DEP_1)
	v_rcp_f32_e32 v13, v3
	v_nop
	v_fma_f32 v28, -v3, v13, 1.0
	s_delay_alu instid0(VALU_DEP_1) | instskip(NEXT) | instid1(VALU_DEP_1)
	v_fmac_f32_e32 v13, v28, v13
	v_mul_f32_e32 v28, v29, v13
	s_delay_alu instid0(VALU_DEP_1) | instskip(NEXT) | instid1(VALU_DEP_1)
	v_fma_f32 v30, -v3, v28, v29
	v_fmac_f32_e32 v28, v30, v13
	s_delay_alu instid0(VALU_DEP_1) | instskip(NEXT) | instid1(VALU_DEP_1)
	v_fma_f32 v3, -v3, v28, v29
	v_div_fmas_f32 v3, v3, v13, v28
	v_mul_f32_e64 v13, 0x57800000, |v4|
	s_delay_alu instid0(VALU_DEP_2)
	v_div_fixup_f32 v12, v3, v2, v12
.LBB62_758:                             ;   in Loop: Header=BB62_418 Depth=1
	s_or_b32 exec_lo, exec_lo, s19
.LBB62_759:                             ;   in Loop: Header=BB62_418 Depth=1
	s_delay_alu instid0(SALU_CYCLE_1)
	s_or_b32 exec_lo, exec_lo, s18
                                        ; implicit-def: $vgpr2
.LBB62_760:                             ;   in Loop: Header=BB62_418 Depth=1
	s_and_not1_saveexec_b32 s18, s1
	s_cbranch_execz .LBB62_762
; %bb.761:                              ;   in Loop: Header=BB62_418 Depth=1
	v_add_f32_e32 v2, 1.0, v2
	v_mul_f32_e64 v3, 0x4f800000, |v5|
	v_cmp_gt_f32_e64 vcc_lo, 0xf800000, |v5|
	s_delay_alu instid0(VALU_DEP_3) | instskip(NEXT) | instid1(VALU_DEP_2)
	v_mul_f32_e32 v2, 0.5, v2
	v_cndmask_b32_e64 v3, |v5|, v3, vcc_lo
	s_delay_alu instid0(VALU_DEP_2) | instskip(SKIP_1) | instid1(VALU_DEP_1)
	v_mul_f32_e32 v12, 0x4f800000, v2
	v_cmp_gt_f32_e64 s0, 0xf800000, v2
	v_cndmask_b32_e64 v2, v2, v12, s0
	s_delay_alu instid0(VALU_DEP_4) | instskip(SKIP_1) | instid1(TRANS32_DEP_1)
	v_sqrt_f32_e32 v12, v3
	v_nop
	v_add_nc_u32_e32 v30, 1, v12
	s_delay_alu instid0(VALU_DEP_3) | instskip(NEXT) | instid1(VALU_DEP_1)
	v_sqrt_f32_e32 v13, v2
	v_dual_add_nc_u32 v28, -1, v12 :: v_dual_fma_f32 v34, -v30, v12, v3
	s_delay_alu instid0(TRANS32_DEP_1) | instid1(VALU_DEP_1)
	v_dual_fma_f32 v31, -v28, v12, v3 :: v_dual_add_nc_u32 v32, 1, v13
	v_add_nc_u32_e32 v29, -1, v13
	s_delay_alu instid0(VALU_DEP_2) | instskip(NEXT) | instid1(VALU_DEP_1)
	v_cmp_ge_f32_e64 s1, 0, v31
	v_dual_fma_f32 v33, -v29, v13, v2 :: v_dual_cndmask_b32 v12, v12, v28, s1
	s_delay_alu instid0(VALU_DEP_4) | instskip(NEXT) | instid1(VALU_DEP_2)
	v_fma_f32 v28, -v32, v13, v2
	v_cmp_ge_f32_e64 s1, 0, v33
	s_delay_alu instid0(VALU_DEP_1) | instskip(SKIP_1) | instid1(VALU_DEP_1)
	v_cndmask_b32_e64 v13, v13, v29, s1
	v_cmp_lt_f32_e64 s1, 0, v34
	v_cndmask_b32_e64 v12, v12, v30, s1
	v_cmp_lt_f32_e64 s1, 0, v28
	s_delay_alu instid0(VALU_DEP_1) | instskip(NEXT) | instid1(VALU_DEP_1)
	v_cndmask_b32_e64 v13, v13, v32, s1
	v_mul_f32_e32 v29, 0x37800000, v13
	s_delay_alu instid0(VALU_DEP_1) | instskip(SKIP_1) | instid1(VALU_DEP_1)
	v_cndmask_b32_e64 v13, v13, v29, s0
	v_mul_f32_e32 v28, 0x37800000, v12
	v_cndmask_b32_e32 v12, v12, v28, vcc_lo
	v_cmp_class_f32_e64 vcc_lo, v3, 0x260
	s_delay_alu instid0(VALU_DEP_2) | instskip(SKIP_2) | instid1(VALU_DEP_1)
	v_cndmask_b32_e32 v3, v12, v3, vcc_lo
	v_cmp_class_f32_e64 vcc_lo, v2, 0x260
	v_dual_cndmask_b32 v2, v13, v2 :: v_dual_mov_b32 v13, 1.0
	v_mul_f32_e32 v12, v3, v2
.LBB62_762:                             ;   in Loop: Header=BB62_418 Depth=1
	s_or_b32 exec_lo, exec_lo, s18
	s_delay_alu instid0(SALU_CYCLE_1)
	s_mov_b32 s0, exec_lo
.LBB62_763:                             ;   in Loop: Header=BB62_418 Depth=1
	s_or_b32 exec_lo, exec_lo, s17
                                        ; implicit-def: $vgpr2
.LBB62_764:                             ;   in Loop: Header=BB62_418 Depth=1
	s_and_not1_saveexec_b32 s1, s16
; %bb.765:                              ;   in Loop: Header=BB62_418 Depth=1
	v_and_b32_e32 v3, 0x7fffffff, v4
	s_or_b32 s0, s0, exec_lo
                                        ; implicit-def: $vgpr23
	s_delay_alu instid0(VALU_DEP_1)
	v_pk_mul_f32 v[12:13], v[2:3], s[6:7] op_sel_hi:[1,0]
; %bb.766:                              ;   in Loop: Header=BB62_418 Depth=1
	s_or_b32 exec_lo, exec_lo, s1
	s_xor_b32 s0, s0, -1
                                        ; implicit-def: $vgpr2
	s_delay_alu instid0(SALU_CYCLE_1) | instskip(NEXT) | instid1(SALU_CYCLE_1)
	s_and_saveexec_b32 s1, s0
	s_xor_b32 s0, exec_lo, s1
	s_cbranch_execz .LBB62_768
; %bb.767:                              ;   in Loop: Header=BB62_418 Depth=1
	v_fma_f32 v2, |v23|, -0.5, 0.5
	v_mul_f32_e32 v3, v23, v23
	v_cmp_ge_f32_e64 vcc_lo, |v23|, 0.5
	s_delay_alu instid0(VALU_DEP_2) | instskip(SKIP_1) | instid1(VALU_DEP_2)
	v_cndmask_b32_e32 v2, v3, v2, vcc_lo
	v_cmp_lt_f32_e64 vcc_lo, |v23|, 0.5
	v_fmaak_f32 v3, s10, v2, 0x3c5fc5da
	v_sqrt_f32_e32 v12, v2
	s_delay_alu instid0(VALU_DEP_1) | instskip(NEXT) | instid1(VALU_DEP_1)
	v_fmaak_f32 v3, v2, v3, 0x3d034c3c
	v_fmaak_f32 v3, v2, v3, 0x3d3641b1
	s_delay_alu instid0(VALU_DEP_1) | instskip(NEXT) | instid1(VALU_DEP_1)
	v_fmaak_f32 v3, v2, v3, 0x3d999bc8
	v_fmaak_f32 v3, v2, v3, 0x3e2aaaac
	s_delay_alu instid0(VALU_DEP_1)
	v_mul_f32_e32 v2, v2, v3
	s_delay_alu instid0(TRANS32_DEP_1) | instid1(VALU_DEP_1)
	v_fmac_f32_e32 v12, v12, v2
	s_delay_alu instid0(VALU_DEP_1) | instskip(NEXT) | instid1(VALU_DEP_1)
	v_add_f32_e32 v3, v12, v12
                                        ; implicit-def: $vgpr13
	v_sub_f32_e32 v3, 0x3fc90fdb, v3
	v_fma_f32 v2, |v23|, v2, |v23|
	s_delay_alu instid0(VALU_DEP_1) | instskip(NEXT) | instid1(VALU_DEP_1)
	v_cndmask_b32_e32 v2, v3, v2, vcc_lo
	v_bfi_b32 v2, 0x7fffffff, v2, v23
.LBB62_768:                             ;   in Loop: Header=BB62_418 Depth=1
	s_and_not1_saveexec_b32 s1, s0
	s_cbranch_execz .LBB62_770
; %bb.769:                              ;   in Loop: Header=BB62_418 Depth=1
	v_max_num_f32_e32 v2, v13, v13
	v_max_num_f32_e64 v3, |v12|, |v12|
	v_cmp_gt_f32_e64 vcc_lo, v13, |v12|
	v_cmp_gt_i32_e64 s0, 0, v12
	v_cmp_class_f32_e64 s16, v12, 0x204
	s_delay_alu instid0(VALU_DEP_4) | instskip(NEXT) | instid1(VALU_DEP_1)
	v_dual_max_num_f32 v23, v3, v2 :: v_dual_min_num_f32 v2, v3, v2
	v_frexp_mant_f32_e32 v28, v23
	v_frexp_exp_i32_f32_e32 v3, v23
	s_delay_alu instid0(VALU_DEP_2) | instskip(SKIP_3) | instid1(VALU_DEP_2)
	v_rcp_f32_e32 v23, v28
	v_nop
	v_frexp_exp_i32_f32_e32 v28, v2
	v_frexp_mant_f32_e32 v2, v2
	v_sub_nc_u32_e32 v3, v28, v3
	s_delay_alu instid0(TRANS32_DEP_1) | instid1(VALU_DEP_2)
	v_mul_f32_e32 v2, v2, v23
	s_delay_alu instid0(VALU_DEP_1) | instskip(NEXT) | instid1(VALU_DEP_1)
	v_ldexp_f32 v2, v2, v3
	v_mul_f32_e32 v3, v2, v2
	s_delay_alu instid0(VALU_DEP_1) | instskip(NEXT) | instid1(VALU_DEP_1)
	v_fmaak_f32 v23, s11, v3, 0xbc7a590c
	v_fmaak_f32 v23, v3, v23, 0x3d29fb3f
	s_delay_alu instid0(VALU_DEP_1) | instskip(NEXT) | instid1(VALU_DEP_1)
	v_fmaak_f32 v23, v3, v23, 0xbd97d4d7
	v_fmaak_f32 v23, v3, v23, 0x3dd931b2
	;; [unrolled: 3-line block ×3, first 2 shown]
	s_delay_alu instid0(VALU_DEP_1) | instskip(NEXT) | instid1(VALU_DEP_1)
	v_fmaak_f32 v23, v3, v23, 0xbeaaaa62
	v_mul_f32_e32 v3, v3, v23
	s_delay_alu instid0(VALU_DEP_1) | instskip(NEXT) | instid1(VALU_DEP_1)
	v_fmac_f32_e32 v2, v2, v3
	v_sub_f32_e32 v3, 0x3fc90fdb, v2
	s_delay_alu instid0(VALU_DEP_1) | instskip(SKIP_1) | instid1(VALU_DEP_2)
	v_cndmask_b32_e32 v2, v2, v3, vcc_lo
	v_cmp_gt_f32_e32 vcc_lo, 0, v12
	v_sub_f32_e32 v3, 0x40490fdb, v2
	v_cndmask_b32_e32 v23, 0x3f490fdb, v27, vcc_lo
	s_delay_alu instid0(VALU_DEP_2) | instskip(SKIP_3) | instid1(VALU_DEP_2)
	v_cndmask_b32_e32 v2, v2, v3, vcc_lo
	v_cndmask_b32_e64 v3, 0, 0x40490fdb, s0
	v_cmp_eq_f32_e64 s0, 0, v13
	v_cmp_eq_f32_e32 vcc_lo, 0x7f800000, v13
	v_cndmask_b32_e64 v2, |v2|, v3, s0
	s_and_b32 vcc_lo, vcc_lo, s16
	s_delay_alu instid0(VALU_DEP_1) | instskip(SKIP_1) | instid1(VALU_DEP_2)
	v_cndmask_b32_e32 v2, v2, v23, vcc_lo
	v_cmp_o_f32_e32 vcc_lo, v12, v12
	v_cndmask_b32_e32 v2, 0x7fc00000, v2, vcc_lo
.LBB62_770:                             ;   in Loop: Header=BB62_418 Depth=1
	s_or_b32 exec_lo, exec_lo, s1
	s_delay_alu instid0(VALU_DEP_1)
	v_bfi_b32 v4, 0x7fffffff, v2, v4
	v_bfi_b32 v5, 0x7fffffff, v19, v5
.LBB62_771:                             ;   in Loop: Header=BB62_418 Depth=1
	s_or_b32 exec_lo, exec_lo, s15
.LBB62_772:                             ;   in Loop: Header=BB62_418 Depth=1
	s_delay_alu instid0(SALU_CYCLE_1) | instskip(NEXT) | instid1(VALU_DEP_1)
	s_or_b32 exec_lo, exec_lo, s14
	v_dual_mov_b32 v13, v5 :: v_dual_mov_b32 v12, v4
                                        ; implicit-def: $vgpr2_vgpr3_vgpr4_vgpr5
                                        ; implicit-def: $vgpr2
                                        ; implicit-def: $vgpr3
                                        ; implicit-def: $vgpr19
.LBB62_773:                             ;   in Loop: Header=BB62_418 Depth=1
	s_and_not1_saveexec_b32 s13, s13
	s_cbranch_execz .LBB62_795
; %bb.774:                              ;   in Loop: Header=BB62_418 Depth=1
                                        ; implicit-def: $sgpr14
                                        ; implicit-def: $vgpr12
                                        ; implicit-def: $vgpr13
	s_mov_b32 s0, exec_lo
	v_cmpx_lt_i32_e32 -1, v5
	s_xor_b32 s15, exec_lo, s0
	s_cbranch_execz .LBB62_784
; %bb.775:                              ;   in Loop: Header=BB62_418 Depth=1
	v_cmp_lt_f32_e64 s0, |v5|, |v4|
                                        ; implicit-def: $vgpr12
                                        ; implicit-def: $vgpr13
	s_mov_b32 s1, exec_lo
	v_cndmask_b32_e64 v23, |v5|, |v4|, s0
	s_delay_alu instid0(VALU_DEP_1)
	v_cmpx_nlt_f32_e32 0x7effffff, v23
	s_xor_b32 s14, exec_lo, s1
	s_cbranch_execz .LBB62_781
; %bb.776:                              ;   in Loop: Header=BB62_418 Depth=1
	v_cndmask_b32_e64 v28, |v4|, |v5|, s0
	v_cmp_nlt_f32_e32 vcc_lo, 0x5e000000, v23
                                        ; implicit-def: $vgpr12
                                        ; implicit-def: $vgpr13
	s_delay_alu instid0(VALU_DEP_2) | instskip(SKIP_1) | instid1(SALU_CYCLE_1)
	v_cmp_ngt_f32_e64 s1, 0x20000000, v28
	s_and_b32 s1, vcc_lo, s1
	s_and_saveexec_b32 s16, s1
	s_delay_alu instid0(SALU_CYCLE_1)
	s_xor_b32 s16, exec_lo, s16
	s_cbranch_execz .LBB62_778
; %bb.777:                              ;   in Loop: Header=BB62_418 Depth=1
	v_frexp_mant_f32_e32 v12, v19
	s_wait_dscnt 0x0
	v_min_num_f32_e32 v2, v3, v2
	v_frexp_exp_i32_f32_e32 v3, v19
	v_mul_f32_e32 v19, v28, v28
	v_rcp_f32_e32 v12, v12
	s_delay_alu instid0(VALU_DEP_3)
	v_frexp_exp_i32_f32_e32 v13, v2
	v_frexp_mant_f32_e32 v2, v2
	s_delay_alu instid0(TRANS32_DEP_1) | instid1(VALU_DEP_1)
	v_dual_mul_f32 v2, v2, v12 :: v_dual_sub_nc_u32 v3, v13, v3
	s_delay_alu instid0(VALU_DEP_1) | instskip(NEXT) | instid1(VALU_DEP_1)
	v_ldexp_f32 v13, v2, v3
	v_dual_fmac_f32 v19, v23, v23 :: v_dual_mul_f32 v3, v13, v13
	s_delay_alu instid0(VALU_DEP_1) | instskip(NEXT) | instid1(VALU_DEP_2)
	v_cmp_gt_f32_e32 vcc_lo, 0x800000, v19
	v_fmaak_f32 v12, s11, v3, 0xbc7a590c
	v_cndmask_b32_e64 v2, 0, 32, vcc_lo
	s_delay_alu instid0(VALU_DEP_2) | instskip(NEXT) | instid1(VALU_DEP_2)
	v_fmaak_f32 v12, v3, v12, 0x3d29fb3f
	v_ldexp_f32 v2, v19, v2
	s_delay_alu instid0(VALU_DEP_2) | instskip(NEXT) | instid1(VALU_DEP_2)
	v_fmaak_f32 v12, v3, v12, 0xbd97d4d7
	v_log_f32_e32 v2, v2
	s_delay_alu instid0(VALU_DEP_1) | instskip(NEXT) | instid1(TRANS32_DEP_1)
	v_fmaak_f32 v12, v3, v12, 0x3dd931b2
	v_mul_f32_e32 v19, 0x3f317217, v2
	v_cmp_gt_f32_e64 s1, 0x7f800000, |v2|
	s_delay_alu instid0(VALU_DEP_3) | instskip(NEXT) | instid1(VALU_DEP_3)
	v_fmaak_f32 v12, v3, v12, 0xbe1160e6
	v_fma_f32 v19, 0x3f317217, v2, -v19
	s_delay_alu instid0(VALU_DEP_2) | instskip(NEXT) | instid1(VALU_DEP_2)
	v_fmaak_f32 v12, v3, v12, 0x3e4cb8bf
	v_fmac_f32_e32 v19, 0x3377d1cf, v2
	s_delay_alu instid0(VALU_DEP_2) | instskip(NEXT) | instid1(VALU_DEP_2)
	v_fmaak_f32 v12, v3, v12, 0xbeaaaa62
	v_fmac_f32_e32 v19, 0x3f317217, v2
	s_delay_alu instid0(VALU_DEP_1) | instskip(SKIP_1) | instid1(VALU_DEP_2)
	v_dual_mul_f32 v3, v3, v12 :: v_dual_cndmask_b32 v2, v2, v19, s1
	v_cndmask_b32_e64 v19, 0, 0x41b17218, vcc_lo
	v_fmac_f32_e32 v13, v13, v3
                                        ; implicit-def: $vgpr3
	s_delay_alu instid0(VALU_DEP_2) | instskip(NEXT) | instid1(VALU_DEP_1)
	v_sub_f32_e32 v2, v2, v19
                                        ; implicit-def: $vgpr19
	v_mul_f32_e32 v12, 0.5, v2
                                        ; implicit-def: $vgpr2
.LBB62_778:                             ;   in Loop: Header=BB62_418 Depth=1
	s_and_not1_saveexec_b32 s1, s16
	s_cbranch_execz .LBB62_780
; %bb.779:                              ;   in Loop: Header=BB62_418 Depth=1
	v_cvt_f64_f32_e32 v[12:13], v19
	v_frexp_mant_f32_e32 v28, v19
	v_cmp_neq_f32_e32 vcc_lo, 0x7f800000, v19
	s_delay_alu instid0(VALU_DEP_3) | instskip(NEXT) | instid1(VALU_DEP_1)
	v_frexp_exp_i32_f64_e32 v12, v[12:13]
	v_sub_nc_u32_e32 v13, 0, v12
	s_delay_alu instid0(VALU_DEP_1) | instskip(NEXT) | instid1(VALU_DEP_1)
	v_ldexp_f32 v23, |v4|, v13
	v_mul_f32_e32 v23, v23, v23
	v_ldexp_f32 v13, |v5|, v13
	s_wait_dscnt 0x0
	v_min_num_f32_e32 v2, v3, v2
	v_frexp_exp_i32_f32_e32 v3, v19
	s_delay_alu instid0(VALU_DEP_3)
	v_fmac_f32_e32 v23, v13, v13
	v_rcp_f32_e32 v13, v28
	v_nop
	v_frexp_exp_i32_f32_e32 v28, v2
	v_frexp_mant_f32_e32 v2, v2
	v_sqrt_f32_e32 v23, v23
	s_delay_alu instid0(TRANS32_DEP_2) | instid1(VALU_DEP_1)
	v_dual_mul_f32 v2, v2, v13 :: v_dual_sub_nc_u32 v3, v28, v3
	s_delay_alu instid0(TRANS32_DEP_1) | instskip(NEXT) | instid1(VALU_DEP_2)
	v_ldexp_f32 v12, v23, v12
	v_ldexp_f32 v13, v2, v3
	s_delay_alu instid0(VALU_DEP_1) | instskip(NEXT) | instid1(VALU_DEP_1)
	v_dual_cndmask_b32 v2, 0x7f800000, v12 :: v_dual_mul_f32 v3, v13, v13
	v_cmp_gt_f32_e32 vcc_lo, 0x800000, v2
	s_delay_alu instid0(VALU_DEP_2) | instskip(SKIP_2) | instid1(VALU_DEP_2)
	v_fmaak_f32 v19, s11, v3, 0xbc7a590c
	v_cndmask_b32_e64 v12, 0, 32, vcc_lo
	v_cndmask_b32_e64 v23, 0, 0x41b17218, vcc_lo
	v_ldexp_f32 v2, v2, v12
	s_delay_alu instid0(VALU_DEP_4) | instskip(NEXT) | instid1(VALU_DEP_2)
	v_fmaak_f32 v12, v3, v19, 0x3d29fb3f
	v_log_f32_e32 v2, v2
	s_delay_alu instid0(VALU_DEP_1) | instskip(NEXT) | instid1(VALU_DEP_1)
	v_fmaak_f32 v12, v3, v12, 0xbd97d4d7
	v_fmaak_f32 v12, v3, v12, 0x3dd931b2
	s_delay_alu instid0(TRANS32_DEP_1) | instskip(SKIP_1) | instid1(VALU_DEP_3)
	v_mul_f32_e32 v19, 0x3f317217, v2
	v_cmp_gt_f32_e64 vcc_lo, 0x7f800000, |v2|
	v_fmaak_f32 v12, v3, v12, 0xbe1160e6
	s_delay_alu instid0(VALU_DEP_3) | instskip(NEXT) | instid1(VALU_DEP_2)
	v_fma_f32 v19, 0x3f317217, v2, -v19
	v_fmaak_f32 v12, v3, v12, 0x3e4cb8bf
	s_delay_alu instid0(VALU_DEP_2) | instskip(NEXT) | instid1(VALU_DEP_2)
	v_fmac_f32_e32 v19, 0x3377d1cf, v2
	v_fmaak_f32 v12, v3, v12, 0xbeaaaa62
	s_delay_alu instid0(VALU_DEP_2) | instskip(NEXT) | instid1(VALU_DEP_1)
	v_fmac_f32_e32 v19, 0x3f317217, v2
	v_dual_mul_f32 v3, v3, v12 :: v_dual_cndmask_b32 v2, v2, v19
	s_delay_alu instid0(VALU_DEP_1) | instskip(NEXT) | instid1(VALU_DEP_2)
	v_fmac_f32_e32 v13, v13, v3
	v_sub_f32_e32 v12, v2, v23
.LBB62_780:                             ;   in Loop: Header=BB62_418 Depth=1
	s_or_b32 exec_lo, exec_lo, s1
                                        ; implicit-def: $vgpr3
                                        ; implicit-def: $vgpr2
                                        ; implicit-def: $vgpr19
.LBB62_781:                             ;   in Loop: Header=BB62_418 Depth=1
	s_and_not1_saveexec_b32 s14, s14
	s_cbranch_execz .LBB62_783
; %bb.782:                              ;   in Loop: Header=BB62_418 Depth=1
	v_div_scale_f32 v12, null, 0x402df854, 0x402df854, v5
	v_div_scale_f32 v13, null, 0x402df854, 0x402df854, v4
	v_div_scale_f32 v31, vcc_lo, v5, 0x402df854, v5
	s_delay_alu instid0(VALU_DEP_3) | instskip(NEXT) | instid1(VALU_DEP_2)
	v_rcp_f32_e32 v23, v12
	v_rcp_f32_e32 v28, v13
	s_wait_dscnt 0x0
	v_min_num_f32_e32 v2, v3, v2
	s_delay_alu instid0(TRANS32_DEP_2) | instskip(NEXT) | instid1(TRANS32_DEP_1)
	v_fma_f32 v29, -v12, v23, 1.0
	v_fma_f32 v30, -v13, v28, 1.0
	s_delay_alu instid0(VALU_DEP_1) | instskip(SKIP_1) | instid1(VALU_DEP_1)
	v_dual_fmac_f32 v23, v29, v23 :: v_dual_fmac_f32 v28, v30, v28
	v_div_scale_f32 v29, s1, v4, 0x402df854, v4
	v_dual_mul_f32 v30, v31, v23 :: v_dual_mul_f32 v32, v29, v28
	s_delay_alu instid0(VALU_DEP_1) | instskip(NEXT) | instid1(VALU_DEP_1)
	v_dual_fma_f32 v33, -v12, v30, v31 :: v_dual_fma_f32 v34, -v13, v32, v29
	v_dual_fmac_f32 v30, v33, v23 :: v_dual_fmac_f32 v32, v34, v28
	s_delay_alu instid0(VALU_DEP_1) | instskip(NEXT) | instid1(VALU_DEP_1)
	v_dual_fma_f32 v12, -v12, v30, v31 :: v_dual_fma_f32 v13, -v13, v32, v29
	v_div_fmas_f32 v12, v12, v23, v30
	s_mov_b32 vcc_lo, s1
	s_delay_alu instid0(VALU_DEP_2) | instskip(NEXT) | instid1(VALU_DEP_2)
	v_div_fmas_f32 v13, v13, v28, v32
	v_div_fixup_f32 v23, v12, 0x402df854, v5
	s_delay_alu instid0(VALU_DEP_2) | instskip(NEXT) | instid1(VALU_DEP_1)
	v_div_fixup_f32 v28, v13, 0x402df854, v4
	v_max_num_f32_e64 v29, v23, |v28|
	s_delay_alu instid0(VALU_DEP_1) | instskip(SKIP_1) | instid1(VALU_DEP_2)
	v_cvt_f64_f32_e32 v[12:13], v29
	v_cmp_neq_f32_e32 vcc_lo, 0x7f800000, v29
	v_frexp_exp_i32_f64_e32 v12, v[12:13]
	s_delay_alu instid0(VALU_DEP_1) | instskip(NEXT) | instid1(VALU_DEP_1)
	v_sub_nc_u32_e32 v13, 0, v12
	v_ldexp_f32 v28, |v28|, v13
	v_ldexp_f32 v13, v23, v13
	s_delay_alu instid0(VALU_DEP_2) | instskip(NEXT) | instid1(VALU_DEP_1)
	v_mul_f32_e32 v23, v28, v28
	v_fmac_f32_e32 v23, v13, v13
	v_frexp_mant_f32_e32 v13, v19
	v_frexp_exp_i32_f32_e32 v19, v19
	s_delay_alu instid0(VALU_DEP_3) | instskip(NEXT) | instid1(VALU_DEP_2)
	v_sqrt_f32_e32 v3, v23
	v_rcp_f32_e32 v13, v13
	v_frexp_exp_i32_f32_e32 v23, v2
	v_frexp_mant_f32_e32 v2, v2
	s_delay_alu instid0(TRANS32_DEP_2)
	v_ldexp_f32 v3, v3, v12
	s_delay_alu instid0(TRANS32_DEP_1) | instid1(VALU_DEP_2)
	v_dual_sub_nc_u32 v12, v23, v19 :: v_dual_mul_f32 v2, v2, v13
	s_delay_alu instid0(VALU_DEP_2) | instskip(NEXT) | instid1(VALU_DEP_2)
	v_cndmask_b32_e32 v3, 0x7f800000, v3, vcc_lo
	v_ldexp_f32 v13, v2, v12
	s_delay_alu instid0(VALU_DEP_2) | instskip(NEXT) | instid1(VALU_DEP_2)
	v_cmp_gt_f32_e32 vcc_lo, 0x800000, v3
	v_mul_f32_e32 v12, v13, v13
	v_cndmask_b32_e64 v2, 0, 32, vcc_lo
	v_cndmask_b32_e64 v23, 0, 0x41b17218, vcc_lo
	s_delay_alu instid0(VALU_DEP_2) | instskip(NEXT) | instid1(VALU_DEP_1)
	v_ldexp_f32 v2, v3, v2
	v_log_f32_e32 v2, v2
	v_nop
	s_delay_alu instid0(TRANS32_DEP_1) | instskip(SKIP_1) | instid1(VALU_DEP_2)
	v_mul_f32_e32 v19, 0x3f317217, v2
	v_cmp_gt_f32_e64 vcc_lo, 0x7f800000, |v2|
	v_fma_f32 v19, 0x3f317217, v2, -v19
	s_delay_alu instid0(VALU_DEP_1) | instskip(NEXT) | instid1(VALU_DEP_1)
	v_fmac_f32_e32 v19, 0x3377d1cf, v2
	v_fmac_f32_e32 v19, 0x3f317217, v2
	s_delay_alu instid0(VALU_DEP_1) | instskip(NEXT) | instid1(VALU_DEP_1)
	v_cndmask_b32_e32 v2, v2, v19, vcc_lo
	v_dual_fmaak_f32 v3, s11, v12, 0xbc7a590c :: v_dual_sub_f32 v2, v2, v23
	s_delay_alu instid0(VALU_DEP_1) | instskip(NEXT) | instid1(VALU_DEP_1)
	v_fmaak_f32 v3, v12, v3, 0x3d29fb3f
	v_fmaak_f32 v3, v12, v3, 0xbd97d4d7
	s_delay_alu instid0(VALU_DEP_1) | instskip(NEXT) | instid1(VALU_DEP_1)
	v_fmaak_f32 v3, v12, v3, 0x3dd931b2
	v_fmaak_f32 v3, v12, v3, 0xbe1160e6
	;; [unrolled: 3-line block ×3, first 2 shown]
	s_delay_alu instid0(VALU_DEP_1) | instskip(NEXT) | instid1(VALU_DEP_1)
	v_dual_mul_f32 v3, v12, v3 :: v_dual_add_f32 v12, 1.0, v2
	v_fmac_f32_e32 v13, v13, v3
.LBB62_783:                             ;   in Loop: Header=BB62_418 Depth=1
	s_or_b32 exec_lo, exec_lo, s14
	s_wait_dscnt 0x0
	s_delay_alu instid0(VALU_DEP_1) | instskip(SKIP_2) | instid1(VALU_DEP_3)
	v_sub_f32_e32 v2, 0x3fc90fdb, v13
	v_cmp_neq_f32_e32 vcc_lo, 0, v4
	v_cmp_class_f32_e64 s14, v5, 0x204
	v_cndmask_b32_e64 v2, v13, v2, s0
	s_delay_alu instid0(VALU_DEP_1)
	v_cndmask_b32_e32 v13, 0, v2, vcc_lo
                                        ; implicit-def: $vgpr2
.LBB62_784:                             ;   in Loop: Header=BB62_418 Depth=1
	s_and_not1_saveexec_b32 s15, s15
	s_cbranch_execz .LBB62_794
; %bb.785:                              ;   in Loop: Header=BB62_418 Depth=1
	v_cmp_gt_f32_e64 s0, |v4|, -v5
                                        ; implicit-def: $vgpr12
                                        ; implicit-def: $vgpr3
	s_mov_b32 s1, exec_lo
	v_cndmask_b32_e64 v13, -v5, |v4|, s0
	s_delay_alu instid0(VALU_DEP_1)
	v_cmpx_nlt_f32_e32 0x7effffff, v13
	s_xor_b32 s16, exec_lo, s1
	s_cbranch_execz .LBB62_791
; %bb.786:                              ;   in Loop: Header=BB62_418 Depth=1
	v_xor_b32_e32 v3, 0x80000000, v5
	v_cmp_nlt_f32_e32 vcc_lo, 0x5e000000, v13
                                        ; implicit-def: $vgpr12
	s_delay_alu instid0(VALU_DEP_2) | instskip(NEXT) | instid1(VALU_DEP_1)
	v_cndmask_b32_e64 v19, |v4|, v3, s0
                                        ; implicit-def: $vgpr3
	v_cmp_ngt_f32_e64 s1, 0x20000000, v19
	s_and_b32 s1, vcc_lo, s1
	s_delay_alu instid0(SALU_CYCLE_1) | instskip(NEXT) | instid1(SALU_CYCLE_1)
	s_and_saveexec_b32 s17, s1
	s_xor_b32 s17, exec_lo, s17
	s_cbranch_execz .LBB62_788
; %bb.787:                              ;   in Loop: Header=BB62_418 Depth=1
	v_dual_max_num_f32 v3, -v5, -v5 :: v_dual_mul_f32 v19, v19, v19
	s_wait_dscnt 0x0
	s_delay_alu instid0(VALU_DEP_1) | instskip(NEXT) | instid1(VALU_DEP_1)
	v_dual_max_num_f32 v12, v3, v2 :: v_dual_min_num_f32 v2, v3, v2
	v_frexp_mant_f32_e32 v23, v12
	v_frexp_exp_i32_f32_e32 v3, v12
	s_delay_alu instid0(VALU_DEP_2)
	v_rcp_f32_e32 v12, v23
	v_nop
	v_frexp_exp_i32_f32_e32 v23, v2
	v_frexp_mant_f32_e32 v2, v2
	s_delay_alu instid0(TRANS32_DEP_1) | instid1(VALU_DEP_1)
	v_dual_mul_f32 v2, v2, v12 :: v_dual_sub_nc_u32 v3, v23, v3
	s_delay_alu instid0(VALU_DEP_1) | instskip(NEXT) | instid1(VALU_DEP_1)
	v_ldexp_f32 v3, v2, v3
	v_dual_fmac_f32 v19, v13, v13 :: v_dual_mul_f32 v12, v3, v3
	s_delay_alu instid0(VALU_DEP_1) | instskip(SKIP_1) | instid1(VALU_DEP_1)
	v_cmp_gt_f32_e32 vcc_lo, 0x800000, v19
	v_cndmask_b32_e64 v2, 0, 32, vcc_lo
	v_ldexp_f32 v2, v19, v2
	s_delay_alu instid0(VALU_DEP_1) | instskip(SKIP_1) | instid1(TRANS32_DEP_1)
	v_log_f32_e32 v2, v2
	v_nop
	v_mul_f32_e32 v19, 0x3f317217, v2
	v_cmp_gt_f32_e64 s1, 0x7f800000, |v2|
	s_delay_alu instid0(VALU_DEP_2) | instskip(NEXT) | instid1(VALU_DEP_1)
	v_fma_f32 v19, 0x3f317217, v2, -v19
	v_fmac_f32_e32 v19, 0x3377d1cf, v2
	s_delay_alu instid0(VALU_DEP_1) | instskip(NEXT) | instid1(VALU_DEP_1)
	v_fmac_f32_e32 v19, 0x3f317217, v2
	v_cndmask_b32_e64 v2, v2, v19, s1
	v_cndmask_b32_e64 v19, 0, 0x41b17218, vcc_lo
	s_delay_alu instid0(VALU_DEP_1) | instskip(NEXT) | instid1(VALU_DEP_1)
	v_dual_fmaak_f32 v13, s11, v12, 0xbc7a590c :: v_dual_sub_f32 v2, v2, v19
	v_fmaak_f32 v13, v12, v13, 0x3d29fb3f
	s_delay_alu instid0(VALU_DEP_1) | instskip(NEXT) | instid1(VALU_DEP_1)
	v_fmaak_f32 v13, v12, v13, 0xbd97d4d7
	v_fmaak_f32 v13, v12, v13, 0x3dd931b2
	s_delay_alu instid0(VALU_DEP_1) | instskip(NEXT) | instid1(VALU_DEP_1)
	v_fmaak_f32 v13, v12, v13, 0xbe1160e6
	;; [unrolled: 3-line block ×3, first 2 shown]
	v_dual_mul_f32 v13, v12, v13 :: v_dual_mul_f32 v12, 0.5, v2
                                        ; implicit-def: $vgpr2
	s_delay_alu instid0(VALU_DEP_1)
	v_fmac_f32_e32 v3, v3, v13
.LBB62_788:                             ;   in Loop: Header=BB62_418 Depth=1
	s_and_not1_saveexec_b32 s1, s17
	s_cbranch_execz .LBB62_790
; %bb.789:                              ;   in Loop: Header=BB62_418 Depth=1
	v_max_num_f32_e64 v3, -v5, -v5
	s_wait_dscnt 0x0
	s_delay_alu instid0(VALU_DEP_1) | instskip(NEXT) | instid1(VALU_DEP_1)
	v_max_num_f32_e32 v19, v3, v2
	v_cvt_f64_f32_e32 v[12:13], v19
	s_delay_alu instid0(VALU_DEP_1) | instskip(NEXT) | instid1(VALU_DEP_1)
	v_frexp_exp_i32_f64_e32 v12, v[12:13]
	v_dual_min_num_f32 v2, v3, v2 :: v_dual_sub_nc_u32 v13, 0, v12
	v_frexp_mant_f32_e32 v3, v19
	v_cmp_neq_f32_e32 vcc_lo, 0x7f800000, v19
	s_delay_alu instid0(VALU_DEP_3)
	v_ldexp_f32 v23, |v4|, v13
	v_ldexp_f32 v13, -v5, v13
	v_frexp_exp_i32_f32_e32 v28, v2
	v_rcp_f32_e32 v3, v3
	v_frexp_mant_f32_e32 v2, v2
	v_mul_f32_e32 v23, v23, v23
	s_delay_alu instid0(TRANS32_DEP_1) | instid1(VALU_DEP_1)
	v_dual_fmac_f32 v23, v13, v13 :: v_dual_mul_f32 v2, v2, v3
	v_frexp_exp_i32_f32_e32 v13, v19
	s_delay_alu instid0(VALU_DEP_2) | instskip(NEXT) | instid1(VALU_DEP_1)
	v_sqrt_f32_e32 v23, v23
	v_sub_nc_u32_e32 v13, v28, v13
	s_delay_alu instid0(VALU_DEP_1) | instskip(NEXT) | instid1(TRANS32_DEP_1)
	v_ldexp_f32 v3, v2, v13
	v_ldexp_f32 v12, v23, v12
	s_delay_alu instid0(VALU_DEP_1) | instskip(NEXT) | instid1(VALU_DEP_1)
	v_cndmask_b32_e32 v2, 0x7f800000, v12, vcc_lo
	v_cmp_gt_f32_e32 vcc_lo, 0x800000, v2
	v_cndmask_b32_e64 v13, 0, 32, vcc_lo
	v_cndmask_b32_e64 v23, 0, 0x41b17218, vcc_lo
	s_delay_alu instid0(VALU_DEP_2) | instskip(NEXT) | instid1(VALU_DEP_1)
	v_ldexp_f32 v2, v2, v13
	v_log_f32_e32 v2, v2
	v_mul_f32_e32 v12, v3, v3
	s_delay_alu instid0(VALU_DEP_1) | instskip(NEXT) | instid1(TRANS32_DEP_1)
	v_fmaak_f32 v19, s11, v12, 0xbc7a590c
	v_cmp_gt_f32_e64 vcc_lo, 0x7f800000, |v2|
	s_delay_alu instid0(VALU_DEP_2) | instskip(SKIP_1) | instid1(VALU_DEP_1)
	v_fmaak_f32 v13, v12, v19, 0x3d29fb3f
	v_mul_f32_e32 v19, 0x3f317217, v2
	v_fma_f32 v19, 0x3f317217, v2, -v19
	s_delay_alu instid0(VALU_DEP_1) | instskip(NEXT) | instid1(VALU_DEP_1)
	v_fmac_f32_e32 v19, 0x3377d1cf, v2
	v_fmac_f32_e32 v19, 0x3f317217, v2
	s_delay_alu instid0(VALU_DEP_1) | instskip(NEXT) | instid1(VALU_DEP_1)
	v_dual_cndmask_b32 v2, v2, v19 :: v_dual_fmaak_f32 v13, v12, v13, 0xbd97d4d7
	v_fmaak_f32 v13, v12, v13, 0x3dd931b2
	s_delay_alu instid0(VALU_DEP_1) | instskip(NEXT) | instid1(VALU_DEP_1)
	v_fmaak_f32 v13, v12, v13, 0xbe1160e6
	v_fmaak_f32 v13, v12, v13, 0x3e4cb8bf
	s_delay_alu instid0(VALU_DEP_1) | instskip(NEXT) | instid1(VALU_DEP_1)
	v_fmaak_f32 v13, v12, v13, 0xbeaaaa62
	v_dual_mul_f32 v13, v12, v13 :: v_dual_sub_f32 v12, v2, v23
	s_delay_alu instid0(VALU_DEP_1)
	v_fmac_f32_e32 v3, v3, v13
.LBB62_790:                             ;   in Loop: Header=BB62_418 Depth=1
	s_or_b32 exec_lo, exec_lo, s1
                                        ; implicit-def: $vgpr2
.LBB62_791:                             ;   in Loop: Header=BB62_418 Depth=1
	s_and_not1_saveexec_b32 s16, s16
	s_cbranch_execz .LBB62_793
; %bb.792:                              ;   in Loop: Header=BB62_418 Depth=1
	v_div_scale_f32 v3, null, 0xc02df854, 0xc02df854, v5
	v_div_scale_f32 v12, null, 0xc02df854, 0xc02df854, v4
	v_div_scale_f32 v29, vcc_lo, v5, 0xc02df854, v5
	s_delay_alu instid0(VALU_DEP_3) | instskip(NEXT) | instid1(VALU_DEP_2)
	v_rcp_f32_e32 v13, v3
	v_rcp_f32_e32 v19, v12
	s_delay_alu instid0(TRANS32_DEP_2) | instskip(NEXT) | instid1(TRANS32_DEP_1)
	v_fma_f32 v23, -v3, v13, 1.0
	v_fma_f32 v28, -v12, v19, 1.0
	s_delay_alu instid0(VALU_DEP_1) | instskip(SKIP_1) | instid1(VALU_DEP_1)
	v_dual_fmac_f32 v13, v23, v13 :: v_dual_fmac_f32 v19, v28, v19
	v_div_scale_f32 v23, s1, v4, 0xc02df854, v4
	v_dual_mul_f32 v28, v29, v13 :: v_dual_mul_f32 v30, v23, v19
	s_delay_alu instid0(VALU_DEP_1) | instskip(NEXT) | instid1(VALU_DEP_1)
	v_dual_fma_f32 v31, -v3, v28, v29 :: v_dual_fma_f32 v32, -v12, v30, v23
	v_dual_fmac_f32 v28, v31, v13 :: v_dual_fmac_f32 v30, v32, v19
	s_delay_alu instid0(VALU_DEP_1) | instskip(NEXT) | instid1(VALU_DEP_1)
	v_dual_fma_f32 v3, -v3, v28, v29 :: v_dual_fma_f32 v12, -v12, v30, v23
	v_div_fmas_f32 v3, v3, v13, v28
	s_mov_b32 vcc_lo, s1
	v_max_num_f32_e64 v28, -v5, -v5
	s_delay_alu instid0(VALU_DEP_3) | instskip(NEXT) | instid1(VALU_DEP_3)
	v_div_fmas_f32 v12, v12, v19, v30
	v_div_fixup_f32 v3, v3, 0xc02df854, v5
	s_delay_alu instid0(VALU_DEP_2) | instskip(NEXT) | instid1(VALU_DEP_1)
	v_div_fixup_f32 v19, v12, 0xc02df854, v4
	v_max_num_f32_e64 v23, |v3|, |v19|
	s_delay_alu instid0(VALU_DEP_1) | instskip(SKIP_1) | instid1(VALU_DEP_2)
	v_cvt_f64_f32_e32 v[12:13], v23
	v_cmp_neq_f32_e32 vcc_lo, 0x7f800000, v23
	v_frexp_exp_i32_f64_e32 v12, v[12:13]
	s_delay_alu instid0(VALU_DEP_1) | instskip(NEXT) | instid1(VALU_DEP_1)
	v_sub_nc_u32_e32 v13, 0, v12
	v_ldexp_f32 v19, |v19|, v13
	v_ldexp_f32 v3, |v3|, v13
	s_wait_dscnt 0x0
	s_delay_alu instid0(VALU_DEP_2) | instskip(NEXT) | instid1(VALU_DEP_1)
	v_dual_mul_f32 v13, v19, v19 :: v_dual_max_num_f32 v19, v28, v2
	v_dual_min_num_f32 v2, v28, v2 :: v_dual_fmac_f32 v13, v3, v3
	s_delay_alu instid0(VALU_DEP_2) | instskip(SKIP_1) | instid1(VALU_DEP_3)
	v_frexp_mant_f32_e32 v3, v19
	v_frexp_exp_i32_f32_e32 v19, v19
	v_frexp_exp_i32_f32_e32 v28, v2
	v_frexp_mant_f32_e32 v2, v2
	v_sqrt_f32_e32 v13, v13
	v_rcp_f32_e32 v3, v3
	s_delay_alu instid0(TRANS32_DEP_2) | instskip(SKIP_1) | instid1(TRANS32_DEP_1)
	v_ldexp_f32 v12, v13, v12
	v_sub_nc_u32_e32 v13, v28, v19
	v_mul_f32_e32 v2, v2, v3
	s_delay_alu instid0(VALU_DEP_3) | instskip(NEXT) | instid1(VALU_DEP_2)
	v_cndmask_b32_e32 v12, 0x7f800000, v12, vcc_lo
	v_ldexp_f32 v3, v2, v13
	s_delay_alu instid0(VALU_DEP_2) | instskip(NEXT) | instid1(VALU_DEP_2)
	v_cmp_gt_f32_e32 vcc_lo, 0x800000, v12
	v_mul_f32_e32 v13, v3, v3
	v_cndmask_b32_e64 v2, 0, 32, vcc_lo
	v_cndmask_b32_e64 v23, 0, 0x41b17218, vcc_lo
	s_delay_alu instid0(VALU_DEP_2) | instskip(NEXT) | instid1(VALU_DEP_4)
	v_ldexp_f32 v2, v12, v2
	v_fmaak_f32 v12, s11, v13, 0xbc7a590c
	s_delay_alu instid0(VALU_DEP_2) | instskip(NEXT) | instid1(VALU_DEP_1)
	v_log_f32_e32 v2, v2
	v_fmaak_f32 v12, v13, v12, 0x3d29fb3f
	s_delay_alu instid0(VALU_DEP_1) | instskip(NEXT) | instid1(TRANS32_DEP_1)
	v_fmaak_f32 v12, v13, v12, 0xbd97d4d7
	v_mul_f32_e32 v19, 0x3f317217, v2
	v_cmp_gt_f32_e64 vcc_lo, 0x7f800000, |v2|
	s_delay_alu instid0(VALU_DEP_3) | instskip(NEXT) | instid1(VALU_DEP_3)
	v_fmaak_f32 v12, v13, v12, 0x3dd931b2
	v_fma_f32 v19, 0x3f317217, v2, -v19
	s_delay_alu instid0(VALU_DEP_2) | instskip(NEXT) | instid1(VALU_DEP_2)
	v_fmaak_f32 v12, v13, v12, 0xbe1160e6
	v_fmac_f32_e32 v19, 0x3377d1cf, v2
	s_delay_alu instid0(VALU_DEP_2) | instskip(NEXT) | instid1(VALU_DEP_2)
	v_fmaak_f32 v12, v13, v12, 0x3e4cb8bf
	v_fmac_f32_e32 v19, 0x3f317217, v2
	s_delay_alu instid0(VALU_DEP_2) | instskip(NEXT) | instid1(VALU_DEP_1)
	v_fmaak_f32 v12, v13, v12, 0xbeaaaa62
	v_dual_cndmask_b32 v2, v2, v19 :: v_dual_mul_f32 v13, v13, v12
	s_delay_alu instid0(VALU_DEP_1) | instskip(NEXT) | instid1(VALU_DEP_1)
	v_dual_sub_f32 v2, v2, v23 :: v_dual_fmac_f32 v3, v3, v13
	v_add_f32_e32 v12, 1.0, v2
.LBB62_793:                             ;   in Loop: Header=BB62_418 Depth=1
	s_or_b32 exec_lo, exec_lo, s16
	s_wait_dscnt 0x0
	s_delay_alu instid0(VALU_DEP_1) | instskip(SKIP_1) | instid1(VALU_DEP_2)
	v_sub_f32_e32 v2, 0x3fc90fdb, v3
	v_cmp_eq_f32_e32 vcc_lo, 0xff800000, v5
	v_cndmask_b32_e64 v2, v3, v2, s0
	v_cmp_neq_f32_e64 s0, 0, v4
	s_and_b32 s1, vcc_lo, exec_lo
	v_cndmask_b32_e64 v13, 0, v2, s0
	s_and_not1_b32 s0, s14, exec_lo
	s_delay_alu instid0(SALU_CYCLE_1)
	s_or_b32 s14, s0, s1
.LBB62_794:                             ;   in Loop: Header=BB62_418 Depth=1
	s_or_b32 exec_lo, exec_lo, s15
	v_cmp_class_f32_e64 s0, v4, 0x204
	v_add_f32_e32 v3, 0x3f317218, v12
	s_and_b32 s0, s0, s14
	s_wait_dscnt 0x0
	v_cndmask_b32_e64 v2, v13, 0x3f490fdb, s0
	s_delay_alu instid0(VALU_DEP_2) | instskip(NEXT) | instid1(VALU_DEP_2)
	v_bfi_b32 v13, 0x7fffffff, v3, v5
	v_bfi_b32 v12, 0x7fffffff, v2, v4
.LBB62_795:                             ;   in Loop: Header=BB62_418 Depth=1
	s_or_b32 exec_lo, exec_lo, s13
                                        ; implicit-def: $vgpr4_vgpr5
.LBB62_796:                             ;   in Loop: Header=BB62_418 Depth=1
	s_and_not1_saveexec_b32 s0, s4
	s_cbranch_execz .LBB62_417
; %bb.797:                              ;   in Loop: Header=BB62_418 Depth=1
	v_cmp_neq_f32_e64 s1, 0x7f800000, |v5|
	s_and_saveexec_b32 s4, s1
	s_delay_alu instid0(SALU_CYCLE_1)
	s_xor_b32 s1, exec_lo, s4
	s_cbranch_execz .LBB62_807
; %bb.798:                              ;   in Loop: Header=BB62_418 Depth=1
	v_cmp_neq_f32_e64 s4, 0x7f800000, |v4|
	s_and_saveexec_b32 s13, s4
	s_delay_alu instid0(SALU_CYCLE_1)
	s_xor_b32 s4, exec_lo, s13
	s_cbranch_execz .LBB62_804
; %bb.799:                              ;   in Loop: Header=BB62_418 Depth=1
	s_mov_b32 s13, exec_lo
	v_cmpx_neq_f32_e32 0, v4
	s_xor_b32 s13, exec_lo, s13
	s_cbranch_execz .LBB62_801
; %bb.800:                              ;   in Loop: Header=BB62_418 Depth=1
	s_wait_dscnt 0x0
	v_add_f32_e32 v2, 0, v5
	s_delay_alu instid0(VALU_DEP_1)
	v_add_f32_e32 v13, v4, v2
                                        ; implicit-def: $vgpr4_vgpr5
.LBB62_801:                             ;   in Loop: Header=BB62_418 Depth=1
	s_or_saveexec_b32 s13, s13
	s_delay_alu instid0(VALU_DEP_1)
	v_mov_b32_e32 v12, v13
	s_xor_b32 exec_lo, exec_lo, s13
; %bb.802:                              ;   in Loop: Header=BB62_418 Depth=1
	v_pk_add_f32 v[12:13], v[4:5], v[4:5]
	v_mov_b32_e32 v12, v4
; %bb.803:                              ;   in Loop: Header=BB62_418 Depth=1
	s_or_b32 exec_lo, exec_lo, s13
                                        ; implicit-def: $vgpr4_vgpr5
.LBB62_804:                             ;   in Loop: Header=BB62_418 Depth=1
	s_and_not1_saveexec_b32 s4, s4
; %bb.805:                              ;   in Loop: Header=BB62_418 Depth=1
	v_dual_add_f32 v12, v5, v5 :: v_dual_mov_b32 v13, v4
; %bb.806:                              ;   in Loop: Header=BB62_418 Depth=1
	s_or_b32 exec_lo, exec_lo, s4
                                        ; implicit-def: $vgpr4_vgpr5
.LBB62_807:                             ;   in Loop: Header=BB62_418 Depth=1
	s_and_not1_saveexec_b32 s1, s1
	s_cbranch_execz .LBB62_416
; %bb.808:                              ;   in Loop: Header=BB62_418 Depth=1
	v_dual_add_f32 v12, v4, v4 :: v_dual_mov_b32 v13, v5
	s_branch .LBB62_416
.LBB62_809:
	s_endpgm
	.section	.rodata,"a",@progbits
	.p2align	6, 0x0
	.amdhsa_kernel _ZN2at6native12_GLOBAL__N_125multi_tensor_apply_kernelINS1_18TensorListMetadataILi1EEENS1_14UnaryOpFunctorIN3c107complexIfEELi1ELi1ELi0EEEJNS0_4AsinIS8_EEEEEvT_T0_DpT1_
		.amdhsa_group_segment_fixed_size 0
		.amdhsa_private_segment_fixed_size 12
		.amdhsa_kernarg_size 3632
		.amdhsa_user_sgpr_count 2
		.amdhsa_user_sgpr_dispatch_ptr 0
		.amdhsa_user_sgpr_queue_ptr 0
		.amdhsa_user_sgpr_kernarg_segment_ptr 1
		.amdhsa_user_sgpr_dispatch_id 0
		.amdhsa_user_sgpr_kernarg_preload_length 0
		.amdhsa_user_sgpr_kernarg_preload_offset 0
		.amdhsa_user_sgpr_private_segment_size 0
		.amdhsa_wavefront_size32 1
		.amdhsa_uses_dynamic_stack 0
		.amdhsa_enable_private_segment 1
		.amdhsa_system_sgpr_workgroup_id_x 1
		.amdhsa_system_sgpr_workgroup_id_y 0
		.amdhsa_system_sgpr_workgroup_id_z 0
		.amdhsa_system_sgpr_workgroup_info 0
		.amdhsa_system_vgpr_workitem_id 0
		.amdhsa_next_free_vgpr 64
		.amdhsa_next_free_sgpr 35
		.amdhsa_named_barrier_count 0
		.amdhsa_reserve_vcc 1
		.amdhsa_float_round_mode_32 0
		.amdhsa_float_round_mode_16_64 0
		.amdhsa_float_denorm_mode_32 3
		.amdhsa_float_denorm_mode_16_64 3
		.amdhsa_fp16_overflow 0
		.amdhsa_memory_ordered 1
		.amdhsa_forward_progress 1
		.amdhsa_inst_pref_size 255
		.amdhsa_round_robin_scheduling 0
		.amdhsa_exception_fp_ieee_invalid_op 0
		.amdhsa_exception_fp_denorm_src 0
		.amdhsa_exception_fp_ieee_div_zero 0
		.amdhsa_exception_fp_ieee_overflow 0
		.amdhsa_exception_fp_ieee_underflow 0
		.amdhsa_exception_fp_ieee_inexact 0
		.amdhsa_exception_int_div_zero 0
	.end_amdhsa_kernel
	.section	.text._ZN2at6native12_GLOBAL__N_125multi_tensor_apply_kernelINS1_18TensorListMetadataILi1EEENS1_14UnaryOpFunctorIN3c107complexIfEELi1ELi1ELi0EEEJNS0_4AsinIS8_EEEEEvT_T0_DpT1_,"axG",@progbits,_ZN2at6native12_GLOBAL__N_125multi_tensor_apply_kernelINS1_18TensorListMetadataILi1EEENS1_14UnaryOpFunctorIN3c107complexIfEELi1ELi1ELi0EEEJNS0_4AsinIS8_EEEEEvT_T0_DpT1_,comdat
.Lfunc_end62:
	.size	_ZN2at6native12_GLOBAL__N_125multi_tensor_apply_kernelINS1_18TensorListMetadataILi1EEENS1_14UnaryOpFunctorIN3c107complexIfEELi1ELi1ELi0EEEJNS0_4AsinIS8_EEEEEvT_T0_DpT1_, .Lfunc_end62-_ZN2at6native12_GLOBAL__N_125multi_tensor_apply_kernelINS1_18TensorListMetadataILi1EEENS1_14UnaryOpFunctorIN3c107complexIfEELi1ELi1ELi0EEEJNS0_4AsinIS8_EEEEEvT_T0_DpT1_
                                        ; -- End function
	.set _ZN2at6native12_GLOBAL__N_125multi_tensor_apply_kernelINS1_18TensorListMetadataILi1EEENS1_14UnaryOpFunctorIN3c107complexIfEELi1ELi1ELi0EEEJNS0_4AsinIS8_EEEEEvT_T0_DpT1_.num_vgpr, 64
	.set _ZN2at6native12_GLOBAL__N_125multi_tensor_apply_kernelINS1_18TensorListMetadataILi1EEENS1_14UnaryOpFunctorIN3c107complexIfEELi1ELi1ELi0EEEJNS0_4AsinIS8_EEEEEvT_T0_DpT1_.num_agpr, 0
	.set _ZN2at6native12_GLOBAL__N_125multi_tensor_apply_kernelINS1_18TensorListMetadataILi1EEENS1_14UnaryOpFunctorIN3c107complexIfEELi1ELi1ELi0EEEJNS0_4AsinIS8_EEEEEvT_T0_DpT1_.numbered_sgpr, 35
	.set _ZN2at6native12_GLOBAL__N_125multi_tensor_apply_kernelINS1_18TensorListMetadataILi1EEENS1_14UnaryOpFunctorIN3c107complexIfEELi1ELi1ELi0EEEJNS0_4AsinIS8_EEEEEvT_T0_DpT1_.num_named_barrier, 0
	.set _ZN2at6native12_GLOBAL__N_125multi_tensor_apply_kernelINS1_18TensorListMetadataILi1EEENS1_14UnaryOpFunctorIN3c107complexIfEELi1ELi1ELi0EEEJNS0_4AsinIS8_EEEEEvT_T0_DpT1_.private_seg_size, 12
	.set _ZN2at6native12_GLOBAL__N_125multi_tensor_apply_kernelINS1_18TensorListMetadataILi1EEENS1_14UnaryOpFunctorIN3c107complexIfEELi1ELi1ELi0EEEJNS0_4AsinIS8_EEEEEvT_T0_DpT1_.uses_vcc, 1
	.set _ZN2at6native12_GLOBAL__N_125multi_tensor_apply_kernelINS1_18TensorListMetadataILi1EEENS1_14UnaryOpFunctorIN3c107complexIfEELi1ELi1ELi0EEEJNS0_4AsinIS8_EEEEEvT_T0_DpT1_.uses_flat_scratch, 0
	.set _ZN2at6native12_GLOBAL__N_125multi_tensor_apply_kernelINS1_18TensorListMetadataILi1EEENS1_14UnaryOpFunctorIN3c107complexIfEELi1ELi1ELi0EEEJNS0_4AsinIS8_EEEEEvT_T0_DpT1_.has_dyn_sized_stack, 0
	.set _ZN2at6native12_GLOBAL__N_125multi_tensor_apply_kernelINS1_18TensorListMetadataILi1EEENS1_14UnaryOpFunctorIN3c107complexIfEELi1ELi1ELi0EEEJNS0_4AsinIS8_EEEEEvT_T0_DpT1_.has_recursion, 0
	.set _ZN2at6native12_GLOBAL__N_125multi_tensor_apply_kernelINS1_18TensorListMetadataILi1EEENS1_14UnaryOpFunctorIN3c107complexIfEELi1ELi1ELi0EEEJNS0_4AsinIS8_EEEEEvT_T0_DpT1_.has_indirect_call, 0
	.section	.AMDGPU.csdata,"",@progbits
; Kernel info:
; codeLenInByte = 70316
; TotalNumSgprs: 37
; NumVgprs: 64
; ScratchSize: 12
; MemoryBound: 1
; FloatMode: 240
; IeeeMode: 1
; LDSByteSize: 0 bytes/workgroup (compile time only)
; SGPRBlocks: 0
; VGPRBlocks: 3
; NumSGPRsForWavesPerEU: 37
; NumVGPRsForWavesPerEU: 64
; NamedBarCnt: 0
; Occupancy: 16
; WaveLimiterHint : 0
; COMPUTE_PGM_RSRC2:SCRATCH_EN: 1
; COMPUTE_PGM_RSRC2:USER_SGPR: 2
; COMPUTE_PGM_RSRC2:TRAP_HANDLER: 0
; COMPUTE_PGM_RSRC2:TGID_X_EN: 1
; COMPUTE_PGM_RSRC2:TGID_Y_EN: 0
; COMPUTE_PGM_RSRC2:TGID_Z_EN: 0
; COMPUTE_PGM_RSRC2:TIDIG_COMP_CNT: 0
	.section	.text._ZN2at6native12_GLOBAL__N_125multi_tensor_apply_kernelINS1_18TensorListMetadataILi1EEENS1_14UnaryOpFunctorIN3c104HalfELi1ELi1ELi0EEEJNS0_4AsinIfEEEEEvT_T0_DpT1_,"axG",@progbits,_ZN2at6native12_GLOBAL__N_125multi_tensor_apply_kernelINS1_18TensorListMetadataILi1EEENS1_14UnaryOpFunctorIN3c104HalfELi1ELi1ELi0EEEJNS0_4AsinIfEEEEEvT_T0_DpT1_,comdat
	.globl	_ZN2at6native12_GLOBAL__N_125multi_tensor_apply_kernelINS1_18TensorListMetadataILi1EEENS1_14UnaryOpFunctorIN3c104HalfELi1ELi1ELi0EEEJNS0_4AsinIfEEEEEvT_T0_DpT1_ ; -- Begin function _ZN2at6native12_GLOBAL__N_125multi_tensor_apply_kernelINS1_18TensorListMetadataILi1EEENS1_14UnaryOpFunctorIN3c104HalfELi1ELi1ELi0EEEJNS0_4AsinIfEEEEEvT_T0_DpT1_
	.p2align	8
	.type	_ZN2at6native12_GLOBAL__N_125multi_tensor_apply_kernelINS1_18TensorListMetadataILi1EEENS1_14UnaryOpFunctorIN3c104HalfELi1ELi1ELi0EEEJNS0_4AsinIfEEEEEvT_T0_DpT1_,@function
_ZN2at6native12_GLOBAL__N_125multi_tensor_apply_kernelINS1_18TensorListMetadataILi1EEENS1_14UnaryOpFunctorIN3c104HalfELi1ELi1ELi0EEEJNS0_4AsinIfEEEEEvT_T0_DpT1_: ; @_ZN2at6native12_GLOBAL__N_125multi_tensor_apply_kernelINS1_18TensorListMetadataILi1EEENS1_14UnaryOpFunctorIN3c104HalfELi1ELi1ELi0EEEJNS0_4AsinIfEEEEEvT_T0_DpT1_
; %bb.0:
	s_bfe_u32 s2, ttmp6, 0x4000c
	s_and_b32 s3, ttmp6, 15
	s_add_co_i32 s2, s2, 1
	s_getreg_b32 s4, hwreg(HW_REG_IB_STS2, 6, 4)
	s_mul_i32 s2, ttmp9, s2
	s_delay_alu instid0(SALU_CYCLE_1)
	s_add_co_i32 s3, s3, s2
	s_cmp_eq_u32 s4, 0
	s_cselect_b32 s2, ttmp9, s3
	s_mov_b32 s3, 0
	s_load_u8 s8, s[0:1], s2 offset:0x6e0
	s_add_nc_u64 s[4:5], s[0:1], s[2:3]
	s_mul_u64 s[6:7], s[2:3], 3
	s_delay_alu instid0(SALU_CYCLE_1)
	s_add_nc_u64 s[4:5], s[4:5], s[6:7]
	s_load_b32 s10, s[4:5], 0x820
	s_wait_kmcnt 0x0
	s_clause 0x1
	s_load_b64 s[6:7], s[0:1], s8 offset:0x0 scale_offset
	s_load_b64 s[12:13], s[0:1], s8 offset:0x370 scale_offset
	s_ashr_i32 s11, s10, 31
	s_wait_kmcnt 0x0
	s_and_b64 s[4:5], s[6:7], 7
	s_and_b32 s2, s12, 3
	s_lshl_b64 s[8:9], s[10:11], 17
	s_or_b64 s[2:3], s[4:5], s[2:3]
	s_lshl_b64 s[4:5], s[10:11], 16
	s_cmp_eq_u64 s[2:3], 0
	s_sub_nc_u64 s[10:11], s[12:13], s[4:5]
	s_cbranch_scc1 .LBB63_21
; %bb.1:
	v_cmp_lt_i64_e64 s2, s[10:11], 1
	s_and_b32 vcc_lo, exec_lo, s2
	s_cbranch_vccnz .LBB63_20
; %bb.2:
	s_load_b32 s2, s[0:1], 0xd3c
	v_min_i64 v[2:3], 0x10000, s[10:11]
	v_min_u64 v[4:5], 0x10000, s[10:11]
	v_dual_mov_b32 v1, 0 :: v_dual_lshlrev_b32 v8, 1, v0
	s_mov_b32 s3, 0
	s_add_nc_u64 s[4:5], s[6:7], s[8:9]
	s_mov_b32 s15, s3
	s_delay_alu instid0(VALU_DEP_1)
	v_mov_b32_e32 v15, v1
	s_mov_b32 s17, s3
	s_mov_b32 s13, s3
	s_mov_b64 s[18:19], 0
	s_wait_kmcnt 0x0
	s_and_b32 s2, s2, 0xffff
	s_delay_alu instid0(SALU_CYCLE_1)
	v_add_nc_u64_e32 v[6:7], s[2:3], v[0:1]
	v_mov_b32_e32 v9, v1
	s_lshl_b32 s14, s2, 1
	s_mul_i32 s16, s2, 3
	v_add_nc_u64_e32 v[12:13], s[14:15], v[0:1]
	v_add_nc_u64_e32 v[10:11], s[16:17], v[0:1]
	s_lshl_b32 s12, s2, 2
	v_lshlrev_b32_e32 v14, 1, v6
	v_add_nc_u64_e32 v[8:9], s[4:5], v[8:9]
	s_lshl_b32 s14, s2, 3
	s_mul_u64 s[16:17], s[2:3], 6
	s_delay_alu instid0(VALU_DEP_2)
	v_add_nc_u64_e32 v[14:15], s[4:5], v[14:15]
	s_mov_b32 s5, 0x3d1c21a7
	s_branch .LBB63_4
.LBB63_3:                               ;   in Loop: Header=BB63_4 Depth=1
	s_wait_xcnt 0x0
	s_or_b32 exec_lo, exec_lo, s2
	s_add_nc_u64 s[18:19], s[18:19], s[12:13]
	v_add_nc_u64_e32 v[8:9], s[14:15], v[8:9]
	v_cmp_lt_i64_e32 vcc_lo, s[18:19], v[2:3]
	v_add_nc_u64_e32 v[14:15], s[14:15], v[14:15]
	s_cbranch_vccz .LBB63_20
.LBB63_4:                               ; =>This Inner Loop Header: Depth=1
	v_add_nc_u64_e32 v[16:17], s[18:19], v[0:1]
	v_mov_b32_e32 v23, 0
	s_delay_alu instid0(VALU_DEP_2)
	v_cmp_lt_u64_e64 s4, v[16:17], v[4:5]
	s_and_saveexec_b32 s2, s4
	s_cbranch_execz .LBB63_6
; %bb.5:                                ;   in Loop: Header=BB63_4 Depth=1
	global_load_u16 v16, v[8:9], off
	s_wait_loadcnt 0x0
	v_cvt_f32_f16_e32 v23, v16
.LBB63_6:                               ;   in Loop: Header=BB63_4 Depth=1
	s_wait_xcnt 0x0
	s_or_b32 exec_lo, exec_lo, s2
	v_add_nc_u64_e32 v[16:17], s[18:19], v[6:7]
	v_dual_mov_b32 v20, 0 :: v_dual_mov_b32 v22, 0
	s_delay_alu instid0(VALU_DEP_2)
	v_cmp_lt_u64_e64 s3, v[16:17], v[4:5]
	s_and_saveexec_b32 s2, s3
	s_cbranch_execz .LBB63_8
; %bb.7:                                ;   in Loop: Header=BB63_4 Depth=1
	global_load_u16 v16, v[14:15], off
	s_wait_loadcnt 0x0
	v_cvt_f32_f16_e32 v22, v16
.LBB63_8:                               ;   in Loop: Header=BB63_4 Depth=1
	s_wait_xcnt 0x0
	s_or_b32 exec_lo, exec_lo, s2
	v_add_nc_u64_e32 v[16:17], s[18:19], v[12:13]
	v_add_nc_u64_e32 v[18:19], s[12:13], v[8:9]
	s_delay_alu instid0(VALU_DEP_2)
	v_cmp_lt_u64_e64 s2, v[16:17], v[4:5]
	s_and_saveexec_b32 s20, s2
	s_cbranch_execz .LBB63_10
; %bb.9:                                ;   in Loop: Header=BB63_4 Depth=1
	global_load_u16 v16, v[18:19], off
	s_wait_loadcnt 0x0
	v_cvt_f32_f16_e32 v20, v16
.LBB63_10:                              ;   in Loop: Header=BB63_4 Depth=1
	s_wait_xcnt 0x0
	s_or_b32 exec_lo, exec_lo, s20
	v_add_nc_u64_e32 v[16:17], s[18:19], v[10:11]
	v_mov_b32_e32 v21, 0
	s_delay_alu instid0(VALU_DEP_2)
	v_cmp_lt_u64_e32 vcc_lo, v[16:17], v[4:5]
	v_add_nc_u64_e32 v[16:17], s[16:17], v[8:9]
	s_and_saveexec_b32 s20, vcc_lo
	s_cbranch_execnz .LBB63_15
; %bb.11:                               ;   in Loop: Header=BB63_4 Depth=1
	s_or_b32 exec_lo, exec_lo, s20
	s_and_saveexec_b32 s20, s4
	s_cbranch_execnz .LBB63_16
.LBB63_12:                              ;   in Loop: Header=BB63_4 Depth=1
	s_or_b32 exec_lo, exec_lo, s20
	s_and_saveexec_b32 s4, s3
	s_cbranch_execnz .LBB63_17
.LBB63_13:                              ;   in Loop: Header=BB63_4 Depth=1
	s_or_b32 exec_lo, exec_lo, s4
	s_and_saveexec_b32 s3, s2
	s_cbranch_execnz .LBB63_18
.LBB63_14:                              ;   in Loop: Header=BB63_4 Depth=1
	s_or_b32 exec_lo, exec_lo, s3
	s_and_saveexec_b32 s2, vcc_lo
	s_cbranch_execz .LBB63_3
	s_branch .LBB63_19
.LBB63_15:                              ;   in Loop: Header=BB63_4 Depth=1
	global_load_u16 v21, v[16:17], off
	s_wait_loadcnt 0x0
	v_cvt_f32_f16_e32 v21, v21
	s_wait_xcnt 0x0
	s_or_b32 exec_lo, exec_lo, s20
	s_and_saveexec_b32 s20, s4
	s_cbranch_execz .LBB63_12
.LBB63_16:                              ;   in Loop: Header=BB63_4 Depth=1
	v_fma_f32 v24, |v23|, -0.5, 0.5
	v_mul_f32_e32 v25, v23, v23
	v_cmp_ge_f32_e64 s4, |v23|, 0.5
	s_delay_alu instid0(VALU_DEP_1) | instskip(SKIP_1) | instid1(VALU_DEP_2)
	v_cndmask_b32_e64 v24, v25, v24, s4
	v_cmp_lt_f32_e64 s4, |v23|, 0.5
	v_fmaak_f32 v25, s5, v24, 0x3c5fc5da
	v_sqrt_f32_e32 v26, v24
	s_delay_alu instid0(VALU_DEP_1) | instskip(NEXT) | instid1(VALU_DEP_1)
	v_fmaak_f32 v25, v24, v25, 0x3d034c3c
	v_fmaak_f32 v25, v24, v25, 0x3d3641b1
	s_delay_alu instid0(VALU_DEP_1) | instskip(NEXT) | instid1(VALU_DEP_1)
	v_fmaak_f32 v25, v24, v25, 0x3d999bc8
	v_fmaak_f32 v25, v24, v25, 0x3e2aaaac
	s_delay_alu instid0(VALU_DEP_1)
	v_mul_f32_e32 v24, v24, v25
	s_delay_alu instid0(TRANS32_DEP_1) | instid1(VALU_DEP_1)
	v_fmac_f32_e32 v26, v26, v24
	s_delay_alu instid0(VALU_DEP_1) | instskip(NEXT) | instid1(VALU_DEP_1)
	v_add_f32_e32 v25, v26, v26
	v_sub_f32_e32 v25, 0x3fc90fdb, v25
	v_fma_f32 v24, |v23|, v24, |v23|
	s_delay_alu instid0(VALU_DEP_1) | instskip(NEXT) | instid1(VALU_DEP_1)
	v_dual_lshrrev_b32 v23, 16, v23 :: v_dual_cndmask_b32 v24, v25, v24, s4
	v_cvt_f16_f32_e32 v24, v24
	s_delay_alu instid0(VALU_DEP_1)
	v_bfi_b32 v23, 0x7fff, v24, v23
	global_store_b16 v[8:9], v23, off
	s_wait_xcnt 0x0
	s_or_b32 exec_lo, exec_lo, s20
	s_and_saveexec_b32 s4, s3
	s_cbranch_execz .LBB63_13
.LBB63_17:                              ;   in Loop: Header=BB63_4 Depth=1
	v_fma_f32 v23, |v22|, -0.5, 0.5
	v_mul_f32_e32 v24, v22, v22
	v_cmp_ge_f32_e64 s3, |v22|, 0.5
	s_delay_alu instid0(VALU_DEP_1) | instskip(SKIP_1) | instid1(VALU_DEP_2)
	v_cndmask_b32_e64 v23, v24, v23, s3
	v_cmp_lt_f32_e64 s3, |v22|, 0.5
	v_fmaak_f32 v24, s5, v23, 0x3c5fc5da
	v_sqrt_f32_e32 v25, v23
	s_delay_alu instid0(VALU_DEP_1) | instskip(NEXT) | instid1(VALU_DEP_1)
	v_fmaak_f32 v24, v23, v24, 0x3d034c3c
	v_fmaak_f32 v24, v23, v24, 0x3d3641b1
	s_delay_alu instid0(VALU_DEP_1) | instskip(NEXT) | instid1(VALU_DEP_1)
	v_fmaak_f32 v24, v23, v24, 0x3d999bc8
	v_fmaak_f32 v24, v23, v24, 0x3e2aaaac
	s_delay_alu instid0(VALU_DEP_1)
	v_mul_f32_e32 v23, v23, v24
	s_delay_alu instid0(TRANS32_DEP_1) | instid1(VALU_DEP_1)
	v_fmac_f32_e32 v25, v25, v23
	s_delay_alu instid0(VALU_DEP_1) | instskip(NEXT) | instid1(VALU_DEP_1)
	v_add_f32_e32 v24, v25, v25
	v_sub_f32_e32 v24, 0x3fc90fdb, v24
	v_fma_f32 v23, |v22|, v23, |v22|
	s_delay_alu instid0(VALU_DEP_1) | instskip(NEXT) | instid1(VALU_DEP_1)
	v_dual_lshrrev_b32 v22, 16, v22 :: v_dual_cndmask_b32 v23, v24, v23, s3
	v_cvt_f16_f32_e32 v23, v23
	s_delay_alu instid0(VALU_DEP_1)
	v_bfi_b32 v22, 0x7fff, v23, v22
	global_store_b16 v[14:15], v22, off
	s_wait_xcnt 0x0
	s_or_b32 exec_lo, exec_lo, s4
	s_and_saveexec_b32 s3, s2
	s_cbranch_execz .LBB63_14
.LBB63_18:                              ;   in Loop: Header=BB63_4 Depth=1
	v_fma_f32 v22, |v20|, -0.5, 0.5
	v_mul_f32_e32 v23, v20, v20
	v_cmp_ge_f32_e64 s2, |v20|, 0.5
	s_delay_alu instid0(VALU_DEP_1) | instskip(SKIP_1) | instid1(VALU_DEP_2)
	v_cndmask_b32_e64 v22, v23, v22, s2
	v_cmp_lt_f32_e64 s2, |v20|, 0.5
	v_sqrt_f32_e32 v24, v22
	v_fmaak_f32 v23, s5, v22, 0x3c5fc5da
	s_delay_alu instid0(VALU_DEP_1) | instskip(NEXT) | instid1(VALU_DEP_1)
	v_fmaak_f32 v23, v22, v23, 0x3d034c3c
	v_fmaak_f32 v23, v22, v23, 0x3d3641b1
	s_delay_alu instid0(VALU_DEP_1) | instskip(NEXT) | instid1(VALU_DEP_1)
	v_fmaak_f32 v23, v22, v23, 0x3d999bc8
	v_fmaak_f32 v23, v22, v23, 0x3e2aaaac
	s_delay_alu instid0(VALU_DEP_1) | instskip(NEXT) | instid1(VALU_DEP_1)
	v_mul_f32_e32 v22, v22, v23
	v_fmac_f32_e32 v24, v24, v22
	s_delay_alu instid0(VALU_DEP_1) | instskip(NEXT) | instid1(VALU_DEP_1)
	v_add_f32_e32 v23, v24, v24
	v_sub_f32_e32 v23, 0x3fc90fdb, v23
	v_fma_f32 v22, |v20|, v22, |v20|
	s_delay_alu instid0(VALU_DEP_1) | instskip(NEXT) | instid1(VALU_DEP_1)
	v_dual_lshrrev_b32 v20, 16, v20 :: v_dual_cndmask_b32 v22, v23, v22, s2
	v_cvt_f16_f32_e32 v22, v22
	s_delay_alu instid0(VALU_DEP_1)
	v_bfi_b32 v20, 0x7fff, v22, v20
	global_store_b16 v[18:19], v20, off
	s_wait_xcnt 0x0
	s_or_b32 exec_lo, exec_lo, s3
	s_and_saveexec_b32 s2, vcc_lo
	s_cbranch_execz .LBB63_3
.LBB63_19:                              ;   in Loop: Header=BB63_4 Depth=1
	v_fma_f32 v18, |v21|, -0.5, 0.5
	v_mul_f32_e32 v19, v21, v21
	v_cmp_ge_f32_e64 vcc_lo, |v21|, 0.5
	s_delay_alu instid0(VALU_DEP_2) | instskip(SKIP_1) | instid1(VALU_DEP_2)
	v_cndmask_b32_e32 v18, v19, v18, vcc_lo
	v_cmp_lt_f32_e64 vcc_lo, |v21|, 0.5
	v_fmaak_f32 v19, s5, v18, 0x3c5fc5da
	v_sqrt_f32_e32 v20, v18
	s_delay_alu instid0(VALU_DEP_1) | instskip(NEXT) | instid1(VALU_DEP_1)
	v_fmaak_f32 v19, v18, v19, 0x3d034c3c
	v_fmaak_f32 v19, v18, v19, 0x3d3641b1
	s_delay_alu instid0(VALU_DEP_1) | instskip(NEXT) | instid1(VALU_DEP_1)
	v_fmaak_f32 v19, v18, v19, 0x3d999bc8
	v_fmaak_f32 v19, v18, v19, 0x3e2aaaac
	s_delay_alu instid0(VALU_DEP_1)
	v_mul_f32_e32 v18, v18, v19
	s_delay_alu instid0(TRANS32_DEP_1) | instid1(VALU_DEP_1)
	v_fmac_f32_e32 v20, v20, v18
	s_delay_alu instid0(VALU_DEP_1) | instskip(NEXT) | instid1(VALU_DEP_1)
	v_add_f32_e32 v19, v20, v20
	v_sub_f32_e32 v19, 0x3fc90fdb, v19
	v_fma_f32 v18, |v21|, v18, |v21|
	s_delay_alu instid0(VALU_DEP_1) | instskip(NEXT) | instid1(VALU_DEP_1)
	v_dual_cndmask_b32 v18, v19, v18 :: v_dual_lshrrev_b32 v19, 16, v21
	v_cvt_f16_f32_e32 v18, v18
	s_delay_alu instid0(VALU_DEP_1)
	v_bfi_b32 v18, 0x7fff, v18, v19
	global_store_b16 v[16:17], v18, off
	s_branch .LBB63_3
.LBB63_20:
	s_cbranch_execz .LBB63_22
	s_branch .LBB63_25
.LBB63_21:
.LBB63_22:
	v_min_i64 v[2:3], 0x10000, s[10:11]
	v_dual_mov_b32 v5, 0 :: v_dual_lshlrev_b32 v4, 2, v0
	s_mov_b32 s2, exec_lo
	s_delay_alu instid0(VALU_DEP_1)
	v_cmpx_lt_i64_e64 v[4:5], v[2:3]
	s_cbranch_execz .LBB63_25
; %bb.23:
	s_load_b32 s0, s[0:1], 0xd3c
	v_dual_mov_b32 v1, v5 :: v_dual_lshlrev_b32 v4, 3, v0
	s_add_nc_u64 s[12:13], s[6:7], s[8:9]
	s_wait_xcnt 0x0
	s_mov_b32 s1, 0
	s_mov_b32 s2, 0x3c5fc5da
	;; [unrolled: 1-line block ×3, first 2 shown]
	v_add_nc_u64_e32 v[4:5], s[12:13], v[4:5]
	s_mov_b32 s6, 0x3d034c3c
	s_mov_b32 s8, 0x3d3641b1
	;; [unrolled: 1-line block ×6, first 2 shown]
	s_wait_kmcnt 0x0
	s_and_b32 s0, s0, 0xffff
	s_delay_alu instid0(SALU_CYCLE_1)
	s_lshl_b32 s14, s0, 3
.LBB63_24:                              ; =>This Inner Loop Header: Depth=1
	global_load_b64 v[6:7], v[4:5], off
	v_add_nc_u64_e32 v[0:1], s[0:1], v[0:1]
	s_wait_loadcnt 0x0
	v_dual_lshrrev_b32 v28, 16, v7 :: v_dual_lshrrev_b32 v29, 16, v6
	v_cvt_f32_f16_e32 v8, v7
	v_cvt_f32_f16_e32 v10, v6
	s_delay_alu instid0(VALU_DEP_3) | instskip(NEXT) | instid1(VALU_DEP_4)
	v_cvt_f32_f16_e32 v9, v28
	v_cvt_f32_f16_e32 v11, v29
	s_delay_alu instid0(VALU_DEP_4) | instskip(NEXT) | instid1(VALU_DEP_4)
	v_and_b32_e32 v12, 0x7fffffff, v8
	v_and_b32_e32 v14, 0x7fffffff, v10
	s_delay_alu instid0(VALU_DEP_4)
	v_and_b32_e32 v13, 0x7fffffff, v9
	v_pk_mul_f32 v[16:17], v[8:9], v[8:9]
	v_cmp_ge_f32_e64 vcc_lo, |v9|, 0.5
	v_and_b32_e32 v15, 0x7fffffff, v11
	v_pk_mul_f32 v[20:21], v[10:11], v[10:11]
	v_pk_fma_f32 v[18:19], v[12:13], -0.5, 0.5 op_sel_hi:[1,0,0]
	s_delay_alu instid0(VALU_DEP_3) | instskip(NEXT) | instid1(VALU_DEP_2)
	v_pk_fma_f32 v[22:23], v[14:15], -0.5, 0.5 op_sel_hi:[1,0,0]
	v_cndmask_b32_e32 v17, v17, v19, vcc_lo
	v_cmp_ge_f32_e64 vcc_lo, |v8|, 0.5
	s_delay_alu instid0(VALU_DEP_4) | instskip(SKIP_1) | instid1(VALU_DEP_4)
	v_cndmask_b32_e32 v16, v16, v18, vcc_lo
	v_cmp_ge_f32_e64 vcc_lo, |v11|, 0.5
	v_sqrt_f32_e32 v27, v17
	s_delay_alu instid0(VALU_DEP_2) | instskip(SKIP_4) | instid1(VALU_DEP_4)
	v_sqrt_f32_e32 v26, v16
	v_cndmask_b32_e32 v19, v21, v23, vcc_lo
	v_cmp_ge_f32_e64 vcc_lo, |v10|, 0.5
	v_cndmask_b32_e32 v18, v20, v22, vcc_lo
	v_pk_fma_f32 v[20:21], v[16:17], s[4:5], s[2:3] op_sel_hi:[1,0,0]
	v_sqrt_f32_e32 v25, v19
	v_cmp_lt_f32_e64 vcc_lo, |v8|, 0.5
	s_delay_alu instid0(VALU_DEP_3) | instskip(NEXT) | instid1(VALU_DEP_3)
	v_pk_fma_f32 v[22:23], v[18:19], s[4:5], s[2:3] op_sel_hi:[1,0,0]
	v_pk_fma_f32 v[20:21], v[16:17], v[20:21], s[6:7] op_sel_hi:[1,1,0]
	v_sqrt_f32_e32 v24, v18
	s_delay_alu instid0(VALU_DEP_2) | instskip(NEXT) | instid1(VALU_DEP_2)
	v_pk_fma_f32 v[22:23], v[18:19], v[22:23], s[6:7] op_sel_hi:[1,1,0]
	v_pk_fma_f32 v[20:21], v[16:17], v[20:21], s[8:9] op_sel_hi:[1,1,0]
	s_delay_alu instid0(VALU_DEP_2) | instskip(NEXT) | instid1(VALU_DEP_2)
	v_pk_fma_f32 v[22:23], v[18:19], v[22:23], s[8:9] op_sel_hi:[1,1,0]
	v_pk_fma_f32 v[20:21], v[16:17], v[20:21], s[10:11] op_sel_hi:[1,1,0]
	;; [unrolled: 3-line block ×3, first 2 shown]
	s_delay_alu instid0(VALU_DEP_2) | instskip(NEXT) | instid1(VALU_DEP_2)
	v_pk_fma_f32 v[22:23], v[18:19], v[22:23], s[12:13] op_sel_hi:[1,1,0]
	v_pk_mul_f32 v[16:17], v[16:17], v[20:21]
	s_delay_alu instid0(VALU_DEP_2) | instskip(NEXT) | instid1(VALU_DEP_2)
	v_pk_mul_f32 v[18:19], v[18:19], v[22:23]
	v_pk_fma_f32 v[20:21], v[26:27], v[16:17], v[26:27]
	v_pk_fma_f32 v[12:13], v[12:13], v[16:17], v[12:13]
	v_lshlrev_b32_e32 v26, 16, v29
	s_delay_alu instid0(VALU_DEP_4) | instskip(SKIP_3) | instid1(VALU_DEP_4)
	v_pk_fma_f32 v[22:23], v[24:25], v[18:19], v[24:25]
	v_dual_lshlrev_b32 v24, 16, v6 :: v_dual_lshlrev_b32 v25, 16, v7
	v_pk_add_f32 v[6:7], v[20:21], v[20:21]
	v_pk_fma_f32 v[14:15], v[14:15], v[18:19], v[14:15]
	v_pk_add_f32 v[20:21], v[22:23], v[22:23]
	v_lshlrev_b32_e32 v22, 16, v28
	s_delay_alu instid0(VALU_DEP_4) | instskip(NEXT) | instid1(VALU_DEP_3)
	v_dual_sub_f32 v6, 0x3fc90fdb, v6 :: v_dual_sub_f32 v7, 0x3fc90fdb, v7
	v_dual_sub_f32 v16, 0x3fc90fdb, v21 :: v_dual_sub_f32 v17, 0x3fc90fdb, v20
	s_delay_alu instid0(VALU_DEP_2) | instskip(SKIP_1) | instid1(VALU_DEP_3)
	v_cndmask_b32_e32 v6, v6, v12, vcc_lo
	v_cmp_lt_f32_e64 vcc_lo, |v11|, 0.5
	v_cndmask_b32_e32 v8, v16, v15, vcc_lo
	v_cmp_lt_f32_e64 vcc_lo, |v9|, 0.5
	s_delay_alu instid0(VALU_DEP_4) | instskip(NEXT) | instid1(VALU_DEP_3)
	v_bfi_b32 v11, 0x7fffffff, v6, v25
	v_bfi_b32 v8, 0x7fffffff, v8, v26
	v_cndmask_b32_e32 v7, v7, v13, vcc_lo
	v_cmp_lt_f32_e64 vcc_lo, |v10|, 0.5
	v_cndmask_b32_e32 v9, v17, v14, vcc_lo
	s_delay_alu instid0(VALU_DEP_3) | instskip(SKIP_1) | instid1(VALU_DEP_3)
	v_bfi_b32 v10, 0x7fffffff, v7, v22
	v_lshlrev_b64_e32 v[6:7], 2, v[0:1]
	v_bfi_b32 v12, 0x7fffffff, v9, v24
	s_delay_alu instid0(VALU_DEP_3) | instskip(NEXT) | instid1(VALU_DEP_3)
	v_cvt_pk_f16_f32 v9, v11, v10
	v_cmp_ge_i64_e32 vcc_lo, v[6:7], v[2:3]
	s_delay_alu instid0(VALU_DEP_3) | instskip(SKIP_4) | instid1(SALU_CYCLE_1)
	v_cvt_pk_f16_f32 v8, v12, v8
	global_store_b64 v[4:5], v[8:9], off
	s_wait_xcnt 0x0
	v_add_nc_u64_e32 v[4:5], s[14:15], v[4:5]
	s_or_b32 s3, vcc_lo, s3
	s_and_not1_b32 exec_lo, exec_lo, s3
	s_cbranch_execnz .LBB63_24
.LBB63_25:
	s_endpgm
	.section	.rodata,"a",@progbits
	.p2align	6, 0x0
	.amdhsa_kernel _ZN2at6native12_GLOBAL__N_125multi_tensor_apply_kernelINS1_18TensorListMetadataILi1EEENS1_14UnaryOpFunctorIN3c104HalfELi1ELi1ELi0EEEJNS0_4AsinIfEEEEEvT_T0_DpT1_
		.amdhsa_group_segment_fixed_size 0
		.amdhsa_private_segment_fixed_size 0
		.amdhsa_kernarg_size 3632
		.amdhsa_user_sgpr_count 2
		.amdhsa_user_sgpr_dispatch_ptr 0
		.amdhsa_user_sgpr_queue_ptr 0
		.amdhsa_user_sgpr_kernarg_segment_ptr 1
		.amdhsa_user_sgpr_dispatch_id 0
		.amdhsa_user_sgpr_kernarg_preload_length 0
		.amdhsa_user_sgpr_kernarg_preload_offset 0
		.amdhsa_user_sgpr_private_segment_size 0
		.amdhsa_wavefront_size32 1
		.amdhsa_uses_dynamic_stack 0
		.amdhsa_enable_private_segment 0
		.amdhsa_system_sgpr_workgroup_id_x 1
		.amdhsa_system_sgpr_workgroup_id_y 0
		.amdhsa_system_sgpr_workgroup_id_z 0
		.amdhsa_system_sgpr_workgroup_info 0
		.amdhsa_system_vgpr_workitem_id 0
		.amdhsa_next_free_vgpr 30
		.amdhsa_next_free_sgpr 21
		.amdhsa_named_barrier_count 0
		.amdhsa_reserve_vcc 1
		.amdhsa_float_round_mode_32 0
		.amdhsa_float_round_mode_16_64 0
		.amdhsa_float_denorm_mode_32 3
		.amdhsa_float_denorm_mode_16_64 3
		.amdhsa_fp16_overflow 0
		.amdhsa_memory_ordered 1
		.amdhsa_forward_progress 1
		.amdhsa_inst_pref_size 17
		.amdhsa_round_robin_scheduling 0
		.amdhsa_exception_fp_ieee_invalid_op 0
		.amdhsa_exception_fp_denorm_src 0
		.amdhsa_exception_fp_ieee_div_zero 0
		.amdhsa_exception_fp_ieee_overflow 0
		.amdhsa_exception_fp_ieee_underflow 0
		.amdhsa_exception_fp_ieee_inexact 0
		.amdhsa_exception_int_div_zero 0
	.end_amdhsa_kernel
	.section	.text._ZN2at6native12_GLOBAL__N_125multi_tensor_apply_kernelINS1_18TensorListMetadataILi1EEENS1_14UnaryOpFunctorIN3c104HalfELi1ELi1ELi0EEEJNS0_4AsinIfEEEEEvT_T0_DpT1_,"axG",@progbits,_ZN2at6native12_GLOBAL__N_125multi_tensor_apply_kernelINS1_18TensorListMetadataILi1EEENS1_14UnaryOpFunctorIN3c104HalfELi1ELi1ELi0EEEJNS0_4AsinIfEEEEEvT_T0_DpT1_,comdat
.Lfunc_end63:
	.size	_ZN2at6native12_GLOBAL__N_125multi_tensor_apply_kernelINS1_18TensorListMetadataILi1EEENS1_14UnaryOpFunctorIN3c104HalfELi1ELi1ELi0EEEJNS0_4AsinIfEEEEEvT_T0_DpT1_, .Lfunc_end63-_ZN2at6native12_GLOBAL__N_125multi_tensor_apply_kernelINS1_18TensorListMetadataILi1EEENS1_14UnaryOpFunctorIN3c104HalfELi1ELi1ELi0EEEJNS0_4AsinIfEEEEEvT_T0_DpT1_
                                        ; -- End function
	.set _ZN2at6native12_GLOBAL__N_125multi_tensor_apply_kernelINS1_18TensorListMetadataILi1EEENS1_14UnaryOpFunctorIN3c104HalfELi1ELi1ELi0EEEJNS0_4AsinIfEEEEEvT_T0_DpT1_.num_vgpr, 30
	.set _ZN2at6native12_GLOBAL__N_125multi_tensor_apply_kernelINS1_18TensorListMetadataILi1EEENS1_14UnaryOpFunctorIN3c104HalfELi1ELi1ELi0EEEJNS0_4AsinIfEEEEEvT_T0_DpT1_.num_agpr, 0
	.set _ZN2at6native12_GLOBAL__N_125multi_tensor_apply_kernelINS1_18TensorListMetadataILi1EEENS1_14UnaryOpFunctorIN3c104HalfELi1ELi1ELi0EEEJNS0_4AsinIfEEEEEvT_T0_DpT1_.numbered_sgpr, 21
	.set _ZN2at6native12_GLOBAL__N_125multi_tensor_apply_kernelINS1_18TensorListMetadataILi1EEENS1_14UnaryOpFunctorIN3c104HalfELi1ELi1ELi0EEEJNS0_4AsinIfEEEEEvT_T0_DpT1_.num_named_barrier, 0
	.set _ZN2at6native12_GLOBAL__N_125multi_tensor_apply_kernelINS1_18TensorListMetadataILi1EEENS1_14UnaryOpFunctorIN3c104HalfELi1ELi1ELi0EEEJNS0_4AsinIfEEEEEvT_T0_DpT1_.private_seg_size, 0
	.set _ZN2at6native12_GLOBAL__N_125multi_tensor_apply_kernelINS1_18TensorListMetadataILi1EEENS1_14UnaryOpFunctorIN3c104HalfELi1ELi1ELi0EEEJNS0_4AsinIfEEEEEvT_T0_DpT1_.uses_vcc, 1
	.set _ZN2at6native12_GLOBAL__N_125multi_tensor_apply_kernelINS1_18TensorListMetadataILi1EEENS1_14UnaryOpFunctorIN3c104HalfELi1ELi1ELi0EEEJNS0_4AsinIfEEEEEvT_T0_DpT1_.uses_flat_scratch, 0
	.set _ZN2at6native12_GLOBAL__N_125multi_tensor_apply_kernelINS1_18TensorListMetadataILi1EEENS1_14UnaryOpFunctorIN3c104HalfELi1ELi1ELi0EEEJNS0_4AsinIfEEEEEvT_T0_DpT1_.has_dyn_sized_stack, 0
	.set _ZN2at6native12_GLOBAL__N_125multi_tensor_apply_kernelINS1_18TensorListMetadataILi1EEENS1_14UnaryOpFunctorIN3c104HalfELi1ELi1ELi0EEEJNS0_4AsinIfEEEEEvT_T0_DpT1_.has_recursion, 0
	.set _ZN2at6native12_GLOBAL__N_125multi_tensor_apply_kernelINS1_18TensorListMetadataILi1EEENS1_14UnaryOpFunctorIN3c104HalfELi1ELi1ELi0EEEJNS0_4AsinIfEEEEEvT_T0_DpT1_.has_indirect_call, 0
	.section	.AMDGPU.csdata,"",@progbits
; Kernel info:
; codeLenInByte = 2140
; TotalNumSgprs: 23
; NumVgprs: 30
; ScratchSize: 0
; MemoryBound: 0
; FloatMode: 240
; IeeeMode: 1
; LDSByteSize: 0 bytes/workgroup (compile time only)
; SGPRBlocks: 0
; VGPRBlocks: 1
; NumSGPRsForWavesPerEU: 23
; NumVGPRsForWavesPerEU: 30
; NamedBarCnt: 0
; Occupancy: 16
; WaveLimiterHint : 0
; COMPUTE_PGM_RSRC2:SCRATCH_EN: 0
; COMPUTE_PGM_RSRC2:USER_SGPR: 2
; COMPUTE_PGM_RSRC2:TRAP_HANDLER: 0
; COMPUTE_PGM_RSRC2:TGID_X_EN: 1
; COMPUTE_PGM_RSRC2:TGID_Y_EN: 0
; COMPUTE_PGM_RSRC2:TGID_Z_EN: 0
; COMPUTE_PGM_RSRC2:TIDIG_COMP_CNT: 0
	.section	.text._ZN2at6native12_GLOBAL__N_125multi_tensor_apply_kernelINS1_18TensorListMetadataILi1EEENS1_14UnaryOpFunctorIN3c108BFloat16ELi1ELi1ELi0EEEJNS0_4AsinIfEEEEEvT_T0_DpT1_,"axG",@progbits,_ZN2at6native12_GLOBAL__N_125multi_tensor_apply_kernelINS1_18TensorListMetadataILi1EEENS1_14UnaryOpFunctorIN3c108BFloat16ELi1ELi1ELi0EEEJNS0_4AsinIfEEEEEvT_T0_DpT1_,comdat
	.globl	_ZN2at6native12_GLOBAL__N_125multi_tensor_apply_kernelINS1_18TensorListMetadataILi1EEENS1_14UnaryOpFunctorIN3c108BFloat16ELi1ELi1ELi0EEEJNS0_4AsinIfEEEEEvT_T0_DpT1_ ; -- Begin function _ZN2at6native12_GLOBAL__N_125multi_tensor_apply_kernelINS1_18TensorListMetadataILi1EEENS1_14UnaryOpFunctorIN3c108BFloat16ELi1ELi1ELi0EEEJNS0_4AsinIfEEEEEvT_T0_DpT1_
	.p2align	8
	.type	_ZN2at6native12_GLOBAL__N_125multi_tensor_apply_kernelINS1_18TensorListMetadataILi1EEENS1_14UnaryOpFunctorIN3c108BFloat16ELi1ELi1ELi0EEEJNS0_4AsinIfEEEEEvT_T0_DpT1_,@function
_ZN2at6native12_GLOBAL__N_125multi_tensor_apply_kernelINS1_18TensorListMetadataILi1EEENS1_14UnaryOpFunctorIN3c108BFloat16ELi1ELi1ELi0EEEJNS0_4AsinIfEEEEEvT_T0_DpT1_: ; @_ZN2at6native12_GLOBAL__N_125multi_tensor_apply_kernelINS1_18TensorListMetadataILi1EEENS1_14UnaryOpFunctorIN3c108BFloat16ELi1ELi1ELi0EEEJNS0_4AsinIfEEEEEvT_T0_DpT1_
; %bb.0:
	s_bfe_u32 s2, ttmp6, 0x4000c
	s_and_b32 s3, ttmp6, 15
	s_add_co_i32 s2, s2, 1
	s_getreg_b32 s4, hwreg(HW_REG_IB_STS2, 6, 4)
	s_mul_i32 s2, ttmp9, s2
	s_delay_alu instid0(SALU_CYCLE_1)
	s_add_co_i32 s3, s3, s2
	s_cmp_eq_u32 s4, 0
	s_cselect_b32 s2, ttmp9, s3
	s_mov_b32 s3, 0
	s_load_u8 s8, s[0:1], s2 offset:0x6e0
	s_add_nc_u64 s[4:5], s[0:1], s[2:3]
	s_mul_u64 s[6:7], s[2:3], 3
	s_delay_alu instid0(SALU_CYCLE_1)
	s_add_nc_u64 s[4:5], s[4:5], s[6:7]
	s_load_b32 s10, s[4:5], 0x820
	s_wait_kmcnt 0x0
	s_clause 0x1
	s_load_b64 s[6:7], s[0:1], s8 offset:0x0 scale_offset
	s_load_b64 s[12:13], s[0:1], s8 offset:0x370 scale_offset
	s_ashr_i32 s11, s10, 31
	s_wait_kmcnt 0x0
	s_and_b64 s[4:5], s[6:7], 7
	s_and_b32 s2, s12, 3
	s_lshl_b64 s[8:9], s[10:11], 17
	s_or_b64 s[2:3], s[4:5], s[2:3]
	s_lshl_b64 s[4:5], s[10:11], 16
	s_cmp_eq_u64 s[2:3], 0
	s_sub_nc_u64 s[10:11], s[12:13], s[4:5]
	s_cbranch_scc1 .LBB64_21
; %bb.1:
	v_cmp_lt_i64_e64 s2, s[10:11], 1
	s_and_b32 vcc_lo, exec_lo, s2
	s_cbranch_vccnz .LBB64_20
; %bb.2:
	s_load_b32 s2, s[0:1], 0xd3c
	v_min_i64 v[2:3], 0x10000, s[10:11]
	v_min_u64 v[4:5], 0x10000, s[10:11]
	v_dual_mov_b32 v1, 0 :: v_dual_lshlrev_b32 v8, 1, v0
	s_mov_b32 s3, 0
	s_add_nc_u64 s[4:5], s[6:7], s[8:9]
	s_mov_b32 s23, s3
	s_delay_alu instid0(VALU_DEP_1) | instskip(SKIP_3) | instid1(VALU_DEP_1)
	v_dual_mov_b32 v9, v1 :: v_dual_mov_b32 v15, v1
	s_mov_b32 s25, s3
	s_mov_b64 s[12:13], 0
	s_mov_b32 s14, 0x3d1c21a7
	v_add_nc_u64_e32 v[8:9], s[4:5], v[8:9]
	s_mov_b32 s17, s3
	s_mov_b32 s19, s3
	;; [unrolled: 1-line block ×6, first 2 shown]
	s_wait_kmcnt 0x0
	s_and_b32 s2, s2, 0xffff
	s_delay_alu instid0(SALU_CYCLE_1)
	v_add_nc_u64_e32 v[6:7], s[2:3], v[0:1]
	s_lshl_b32 s22, s2, 1
	s_mul_i32 s24, s2, 3
	v_add_nc_u64_e32 v[12:13], s[22:23], v[0:1]
	v_add_nc_u64_e32 v[10:11], s[24:25], v[0:1]
	s_lshl_b32 s16, s2, 2
	s_lshl_b32 s18, s2, 3
	v_lshlrev_b32_e32 v14, 1, v6
	s_mul_u64 s[20:21], s[2:3], 6
	s_mov_b32 s22, 0x3fc90fdb
	s_mov_b32 s24, 0x3c5fc5da
	s_delay_alu instid0(VALU_DEP_1)
	v_add_nc_u64_e32 v[14:15], s[4:5], v[14:15]
	s_branch .LBB64_4
.LBB64_3:                               ;   in Loop: Header=BB64_4 Depth=1
	s_wait_xcnt 0x0
	s_or_b32 exec_lo, exec_lo, s4
	s_add_nc_u64 s[12:13], s[12:13], s[16:17]
	v_add_nc_u64_e32 v[8:9], s[18:19], v[8:9]
	v_cmp_lt_i64_e32 vcc_lo, s[12:13], v[2:3]
	v_add_nc_u64_e32 v[14:15], s[18:19], v[14:15]
	s_cbranch_vccz .LBB64_20
.LBB64_4:                               ; =>This Inner Loop Header: Depth=1
	v_add_nc_u64_e32 v[16:17], s[12:13], v[0:1]
	v_mov_b32_e32 v23, 0
	s_delay_alu instid0(VALU_DEP_2)
	v_cmp_lt_u64_e64 s4, v[16:17], v[4:5]
	s_and_saveexec_b32 s2, s4
	s_cbranch_execz .LBB64_6
; %bb.5:                                ;   in Loop: Header=BB64_4 Depth=1
	global_load_u16 v16, v[8:9], off
	s_wait_loadcnt 0x0
	v_lshlrev_b32_e32 v23, 16, v16
.LBB64_6:                               ;   in Loop: Header=BB64_4 Depth=1
	s_wait_xcnt 0x0
	s_or_b32 exec_lo, exec_lo, s2
	v_add_nc_u64_e32 v[16:17], s[12:13], v[6:7]
	v_mov_b32_e32 v22, 0
	s_delay_alu instid0(VALU_DEP_2)
	v_cmp_lt_u64_e64 s3, v[16:17], v[4:5]
	v_mov_b32_e32 v17, 0
	s_and_saveexec_b32 s2, s3
	s_cbranch_execz .LBB64_8
; %bb.7:                                ;   in Loop: Header=BB64_4 Depth=1
	global_load_u16 v16, v[14:15], off
	s_wait_loadcnt 0x0
	v_lshlrev_b32_e32 v22, 16, v16
.LBB64_8:                               ;   in Loop: Header=BB64_4 Depth=1
	s_wait_xcnt 0x0
	s_or_b32 exec_lo, exec_lo, s2
	v_add_nc_u64_e32 v[18:19], s[12:13], v[12:13]
	s_delay_alu instid0(VALU_DEP_1)
	v_cmp_lt_u64_e32 vcc_lo, v[18:19], v[4:5]
	v_add_nc_u64_e32 v[18:19], s[16:17], v[8:9]
	s_and_saveexec_b32 s2, vcc_lo
	s_cbranch_execz .LBB64_10
; %bb.9:                                ;   in Loop: Header=BB64_4 Depth=1
	global_load_u16 v16, v[18:19], off
	s_wait_loadcnt 0x0
	v_lshlrev_b32_e32 v17, 16, v16
.LBB64_10:                              ;   in Loop: Header=BB64_4 Depth=1
	s_wait_xcnt 0x0
	s_or_b32 exec_lo, exec_lo, s2
	v_add_nc_u64_e32 v[20:21], s[12:13], v[10:11]
	v_mov_b32_e32 v16, 0
	s_delay_alu instid0(VALU_DEP_2)
	v_cmp_lt_u64_e64 s2, v[20:21], v[4:5]
	v_add_nc_u64_e32 v[20:21], s[20:21], v[8:9]
	s_and_saveexec_b32 s5, s2
	s_cbranch_execnz .LBB64_18
; %bb.11:                               ;   in Loop: Header=BB64_4 Depth=1
	s_or_b32 exec_lo, exec_lo, s5
	s_and_saveexec_b32 s5, s4
	s_cbranch_execnz .LBB64_19
.LBB64_12:                              ;   in Loop: Header=BB64_4 Depth=1
	s_or_b32 exec_lo, exec_lo, s5
	s_and_saveexec_b32 s4, s3
	s_cbranch_execz .LBB64_14
.LBB64_13:                              ;   in Loop: Header=BB64_4 Depth=1
	v_fma_f32 v23, |v22|, -0.5, 0.5
	v_mul_f32_e32 v24, v22, v22
	v_cmp_ge_f32_e64 s3, |v22|, 0.5
	s_delay_alu instid0(VALU_DEP_1) | instskip(SKIP_1) | instid1(VALU_DEP_2)
	v_cndmask_b32_e64 v23, v24, v23, s3
	v_cmp_lt_f32_e64 s3, |v22|, 0.5
	v_fmaak_f32 v24, s14, v23, 0x3c5fc5da
	v_sqrt_f32_e32 v25, v23
	s_delay_alu instid0(VALU_DEP_1) | instskip(NEXT) | instid1(VALU_DEP_1)
	v_fmaak_f32 v24, v23, v24, 0x3d034c3c
	v_fmaak_f32 v24, v23, v24, 0x3d3641b1
	s_delay_alu instid0(VALU_DEP_1) | instskip(NEXT) | instid1(VALU_DEP_1)
	v_fmaak_f32 v24, v23, v24, 0x3d999bc8
	v_fmaak_f32 v24, v23, v24, 0x3e2aaaac
	s_delay_alu instid0(VALU_DEP_1)
	v_mul_f32_e32 v23, v23, v24
	s_delay_alu instid0(TRANS32_DEP_1) | instid1(VALU_DEP_1)
	v_fmac_f32_e32 v25, v25, v23
	s_delay_alu instid0(VALU_DEP_1) | instskip(NEXT) | instid1(VALU_DEP_1)
	v_add_f32_e32 v24, v25, v25
	v_sub_f32_e32 v24, 0x3fc90fdb, v24
	v_fma_f32 v23, |v22|, v23, |v22|
	s_delay_alu instid0(VALU_DEP_1) | instskip(NEXT) | instid1(VALU_DEP_1)
	v_cndmask_b32_e64 v23, v24, v23, s3
	v_bfi_b32 v22, 0x7fffffff, v23, v22
	s_delay_alu instid0(VALU_DEP_1) | instskip(SKIP_1) | instid1(VALU_DEP_2)
	v_bfe_u32 v23, v22, 16, 1
	v_cmp_o_f32_e64 s3, v22, v22
	v_add3_u32 v23, v22, v23, 0x7fff
	s_delay_alu instid0(VALU_DEP_1) | instskip(NEXT) | instid1(VALU_DEP_1)
	v_lshrrev_b32_e32 v23, 16, v23
	v_cndmask_b32_e64 v22, 0x7fc0, v23, s3
	global_store_b16 v[14:15], v22, off
.LBB64_14:                              ;   in Loop: Header=BB64_4 Depth=1
	s_wait_xcnt 0x0
	s_or_b32 exec_lo, exec_lo, s4
	v_and_b32_e32 v23, 0x7fffffff, v17
	v_and_b32_e32 v22, 0x7fffffff, v16
	v_pk_mul_f32 v[24:25], v[16:17], v[16:17]
	v_cmp_ge_f32_e64 s3, |v17|, 0.5
	s_delay_alu instid0(VALU_DEP_3) | instskip(NEXT) | instid1(VALU_DEP_1)
	v_pk_fma_f32 v[26:27], v[22:23], -0.5, 0.5 op_sel_hi:[1,0,0]
	v_cndmask_b32_e64 v25, v25, v27, s3
	v_cmp_ge_f32_e64 s3, |v16|, 0.5
	s_delay_alu instid0(VALU_DEP_1) | instskip(NEXT) | instid1(VALU_DEP_3)
	v_cndmask_b32_e64 v24, v24, v26, s3
	v_sqrt_f32_e32 v29, v25
	v_cmp_lt_f32_e64 s3, |v17|, 0.5
	s_delay_alu instid0(VALU_DEP_2) | instskip(SKIP_1) | instid1(VALU_DEP_1)
	v_pk_fma_f32 v[26:27], v[24:25], s[14:15], s[24:25] op_sel_hi:[1,0,0]
	v_sqrt_f32_e32 v28, v24
	v_pk_fma_f32 v[26:27], v[24:25], v[26:27], s[26:27] op_sel_hi:[1,1,0]
	s_delay_alu instid0(VALU_DEP_1) | instskip(NEXT) | instid1(VALU_DEP_1)
	v_pk_fma_f32 v[26:27], v[24:25], v[26:27], s[28:29] op_sel_hi:[1,1,0]
	v_pk_fma_f32 v[26:27], v[24:25], v[26:27], s[30:31] op_sel_hi:[1,1,0]
	s_delay_alu instid0(VALU_DEP_1) | instskip(NEXT) | instid1(VALU_DEP_1)
	v_pk_fma_f32 v[26:27], v[24:25], v[26:27], s[34:35] op_sel_hi:[1,1,0]
	v_pk_mul_f32 v[24:25], v[24:25], v[26:27]
	s_delay_alu instid0(TRANS32_DEP_1) | instid1(VALU_DEP_1)
	v_pk_fma_f32 v[26:27], v[28:29], v[24:25], v[28:29]
	v_pk_fma_f32 v[22:23], v[22:23], v[24:25], v[22:23]
	s_delay_alu instid0(VALU_DEP_2) | instskip(NEXT) | instid1(VALU_DEP_1)
	v_pk_add_f32 v[26:27], v[26:27], v[26:27]
	v_pk_add_f32 v[24:25], v[26:27], s[22:23] op_sel_hi:[1,0] neg_lo:[1,0] neg_hi:[1,0]
	s_delay_alu instid0(VALU_DEP_1) | instskip(SKIP_1) | instid1(VALU_DEP_1)
	v_cndmask_b32_e64 v23, v25, v23, s3
	v_cmp_lt_f32_e64 s3, |v16|, 0.5
	v_cndmask_b32_e64 v22, v24, v22, s3
	s_delay_alu instid0(VALU_DEP_3) | instskip(NEXT) | instid1(VALU_DEP_2)
	v_bfi_b32 v17, 0x7fffffff, v23, v17
	v_bfi_b32 v16, 0x7fffffff, v22, v16
	s_delay_alu instid0(VALU_DEP_2) | instskip(NEXT) | instid1(VALU_DEP_2)
	v_cmp_u_f32_e64 s4, v17, v17
	v_cmp_u_f32_e64 s3, v16, v16
	s_and_saveexec_b32 s5, vcc_lo
	s_cbranch_execz .LBB64_16
; %bb.15:                               ;   in Loop: Header=BB64_4 Depth=1
	v_bfe_u32 v22, v17, 16, 1
	s_delay_alu instid0(VALU_DEP_1) | instskip(NEXT) | instid1(VALU_DEP_1)
	v_add3_u32 v17, v17, v22, 0x7fff
	v_lshrrev_b32_e32 v17, 16, v17
	s_delay_alu instid0(VALU_DEP_1)
	v_cndmask_b32_e64 v17, v17, 0x7fc0, s4
	global_store_b16 v[18:19], v17, off
.LBB64_16:                              ;   in Loop: Header=BB64_4 Depth=1
	s_wait_xcnt 0x0
	s_or_b32 exec_lo, exec_lo, s5
	s_and_saveexec_b32 s4, s2
	s_cbranch_execz .LBB64_3
; %bb.17:                               ;   in Loop: Header=BB64_4 Depth=1
	v_bfe_u32 v17, v16, 16, 1
	s_delay_alu instid0(VALU_DEP_1) | instskip(NEXT) | instid1(VALU_DEP_1)
	v_add3_u32 v16, v16, v17, 0x7fff
	v_lshrrev_b32_e32 v16, 16, v16
	s_delay_alu instid0(VALU_DEP_1)
	v_cndmask_b32_e64 v16, v16, 0x7fc0, s3
	global_store_b16 v[20:21], v16, off
	s_branch .LBB64_3
.LBB64_18:                              ;   in Loop: Header=BB64_4 Depth=1
	global_load_u16 v16, v[20:21], off
	s_wait_loadcnt 0x0
	v_lshlrev_b32_e32 v16, 16, v16
	s_wait_xcnt 0x0
	s_or_b32 exec_lo, exec_lo, s5
	s_and_saveexec_b32 s5, s4
	s_cbranch_execz .LBB64_12
.LBB64_19:                              ;   in Loop: Header=BB64_4 Depth=1
	v_fma_f32 v24, |v23|, -0.5, 0.5
	v_mul_f32_e32 v25, v23, v23
	v_cmp_ge_f32_e64 s4, |v23|, 0.5
	s_delay_alu instid0(VALU_DEP_1) | instskip(SKIP_1) | instid1(VALU_DEP_2)
	v_cndmask_b32_e64 v24, v25, v24, s4
	v_cmp_lt_f32_e64 s4, |v23|, 0.5
	v_fmaak_f32 v25, s14, v24, 0x3c5fc5da
	v_sqrt_f32_e32 v26, v24
	s_delay_alu instid0(VALU_DEP_1) | instskip(NEXT) | instid1(VALU_DEP_1)
	v_fmaak_f32 v25, v24, v25, 0x3d034c3c
	v_fmaak_f32 v25, v24, v25, 0x3d3641b1
	s_delay_alu instid0(VALU_DEP_1) | instskip(NEXT) | instid1(VALU_DEP_1)
	v_fmaak_f32 v25, v24, v25, 0x3d999bc8
	v_fmaak_f32 v25, v24, v25, 0x3e2aaaac
	s_delay_alu instid0(VALU_DEP_1)
	v_mul_f32_e32 v24, v24, v25
	s_delay_alu instid0(TRANS32_DEP_1) | instid1(VALU_DEP_1)
	v_fmac_f32_e32 v26, v26, v24
	s_delay_alu instid0(VALU_DEP_1) | instskip(NEXT) | instid1(VALU_DEP_1)
	v_add_f32_e32 v25, v26, v26
	v_sub_f32_e32 v25, 0x3fc90fdb, v25
	v_fma_f32 v24, |v23|, v24, |v23|
	s_delay_alu instid0(VALU_DEP_1) | instskip(NEXT) | instid1(VALU_DEP_1)
	v_cndmask_b32_e64 v24, v25, v24, s4
	v_bfi_b32 v23, 0x7fffffff, v24, v23
	s_delay_alu instid0(VALU_DEP_1) | instskip(SKIP_1) | instid1(VALU_DEP_2)
	v_bfe_u32 v24, v23, 16, 1
	v_cmp_o_f32_e64 s4, v23, v23
	v_add3_u32 v24, v23, v24, 0x7fff
	s_delay_alu instid0(VALU_DEP_1) | instskip(NEXT) | instid1(VALU_DEP_1)
	v_lshrrev_b32_e32 v24, 16, v24
	v_cndmask_b32_e64 v23, 0x7fc0, v24, s4
	global_store_b16 v[8:9], v23, off
	s_wait_xcnt 0x0
	s_or_b32 exec_lo, exec_lo, s5
	s_and_saveexec_b32 s4, s3
	s_cbranch_execnz .LBB64_13
	s_branch .LBB64_14
.LBB64_20:
	s_cbranch_execz .LBB64_22
	s_branch .LBB64_25
.LBB64_21:
.LBB64_22:
	v_min_i64 v[2:3], 0x10000, s[10:11]
	v_dual_mov_b32 v5, 0 :: v_dual_lshlrev_b32 v4, 2, v0
	s_mov_b32 s2, exec_lo
	s_delay_alu instid0(VALU_DEP_1)
	v_cmpx_lt_i64_e64 v[4:5], v[2:3]
	s_cbranch_execz .LBB64_25
; %bb.23:
	s_load_b32 s0, s[0:1], 0xd3c
	v_dual_mov_b32 v1, v5 :: v_dual_lshlrev_b32 v4, 3, v0
	s_add_nc_u64 s[12:13], s[6:7], s[8:9]
	s_wait_xcnt 0x0
	s_mov_b32 s1, 0
	s_mov_b32 s2, 0x3c5fc5da
	;; [unrolled: 1-line block ×3, first 2 shown]
	v_add_nc_u64_e32 v[4:5], s[12:13], v[4:5]
	s_mov_b32 s6, 0x3d034c3c
	s_mov_b32 s8, 0x3d3641b1
	;; [unrolled: 1-line block ×6, first 2 shown]
	s_wait_kmcnt 0x0
	s_and_b32 s0, s0, 0xffff
	s_delay_alu instid0(SALU_CYCLE_1)
	s_lshl_b32 s14, s0, 3
.LBB64_24:                              ; =>This Inner Loop Header: Depth=1
	global_load_b64 v[6:7], v[4:5], off
	v_add_nc_u64_e32 v[0:1], s[0:1], v[0:1]
	s_wait_loadcnt 0x0
	v_and_b32_e32 v9, 0xffff0000, v6
	v_alignbit_b32 v10, v7, v6, 16
	v_and_b32_e32 v7, 0xffff0000, v7
	s_delay_alu instid0(VALU_DEP_3) | instskip(SKIP_1) | instid1(VALU_DEP_4)
	v_cmp_ge_f32_e64 vcc_lo, |v9|, 0.5
	v_lshlrev_b32_e32 v8, 16, v6
	v_and_b32_e32 v6, 0xffff0000, v10
	v_and_b32_e32 v11, 0x7fffffff, v9
	v_and_b32_e32 v13, 0x7fffffff, v7
	s_delay_alu instid0(VALU_DEP_4) | instskip(SKIP_3) | instid1(VALU_DEP_4)
	v_and_b32_e32 v10, 0x7fffffff, v8
	v_pk_mul_f32 v[14:15], v[8:9], v[8:9]
	v_and_b32_e32 v12, 0x7fffffff, v6
	v_pk_mul_f32 v[18:19], v[6:7], v[6:7]
	v_pk_fma_f32 v[16:17], v[10:11], -0.5, 0.5 op_sel_hi:[1,0,0]
	s_delay_alu instid0(VALU_DEP_3) | instskip(NEXT) | instid1(VALU_DEP_2)
	v_pk_fma_f32 v[20:21], v[12:13], -0.5, 0.5 op_sel_hi:[1,0,0]
	v_cndmask_b32_e32 v15, v15, v17, vcc_lo
	v_cmp_ge_f32_e64 vcc_lo, |v8|, 0.5
	s_delay_alu instid0(VALU_DEP_2)
	v_sqrt_f32_e32 v23, v15
	v_cndmask_b32_e32 v14, v14, v16, vcc_lo
	v_cmp_ge_f32_e64 vcc_lo, |v6|, 0.5
	v_cndmask_b32_e32 v16, v18, v20, vcc_lo
	v_cmp_ge_f32_e64 vcc_lo, |v7|, 0.5
	v_cndmask_b32_e32 v17, v19, v21, vcc_lo
	v_pk_fma_f32 v[18:19], v[14:15], s[4:5], s[2:3] op_sel_hi:[1,0,0]
	v_sqrt_f32_e32 v22, v14
	v_cmp_lt_f32_e64 vcc_lo, |v9|, 0.5
	s_delay_alu instid0(VALU_DEP_3) | instskip(NEXT) | instid1(VALU_DEP_2)
	v_sqrt_f32_e32 v25, v17
	v_pk_fma_f32 v[18:19], v[14:15], v[18:19], s[6:7] op_sel_hi:[1,1,0]
	s_delay_alu instid0(VALU_DEP_1) | instskip(NEXT) | instid1(VALU_DEP_1)
	v_pk_fma_f32 v[18:19], v[14:15], v[18:19], s[8:9] op_sel_hi:[1,1,0]
	v_pk_fma_f32 v[18:19], v[14:15], v[18:19], s[10:11] op_sel_hi:[1,1,0]
	s_delay_alu instid0(VALU_DEP_1) | instskip(NEXT) | instid1(VALU_DEP_1)
	v_pk_fma_f32 v[18:19], v[14:15], v[18:19], s[12:13] op_sel_hi:[1,1,0]
	v_pk_mul_f32 v[14:15], v[14:15], v[18:19]
	s_delay_alu instid0(VALU_DEP_1) | instskip(SKIP_1) | instid1(VALU_DEP_2)
	v_pk_fma_f32 v[18:19], v[22:23], v[14:15], v[22:23]
	v_pk_fma_f32 v[10:11], v[10:11], v[14:15], v[10:11]
	v_pk_add_f32 v[18:19], v[18:19], v[18:19]
	s_delay_alu instid0(VALU_DEP_1) | instskip(SKIP_2) | instid1(VALU_DEP_1)
	v_sub_f32_e32 v15, 0x3fc90fdb, v18
	v_pk_fma_f32 v[20:21], v[16:17], s[4:5], s[2:3] op_sel_hi:[1,0,0]
	v_sqrt_f32_e32 v24, v16
	v_pk_fma_f32 v[20:21], v[16:17], v[20:21], s[6:7] op_sel_hi:[1,1,0]
	s_delay_alu instid0(VALU_DEP_1) | instskip(NEXT) | instid1(VALU_DEP_1)
	v_pk_fma_f32 v[20:21], v[16:17], v[20:21], s[8:9] op_sel_hi:[1,1,0]
	v_pk_fma_f32 v[20:21], v[16:17], v[20:21], s[10:11] op_sel_hi:[1,1,0]
	s_delay_alu instid0(VALU_DEP_1) | instskip(NEXT) | instid1(VALU_DEP_1)
	v_pk_fma_f32 v[20:21], v[16:17], v[20:21], s[12:13] op_sel_hi:[1,1,0]
	v_pk_mul_f32 v[16:17], v[16:17], v[20:21]
	s_delay_alu instid0(TRANS32_DEP_1) | instid1(VALU_DEP_1)
	v_pk_fma_f32 v[20:21], v[24:25], v[16:17], v[24:25]
	v_pk_fma_f32 v[12:13], v[12:13], v[16:17], v[12:13]
	s_delay_alu instid0(VALU_DEP_2) | instskip(NEXT) | instid1(VALU_DEP_1)
	v_pk_add_f32 v[20:21], v[20:21], v[20:21]
	v_dual_sub_f32 v14, 0x3fc90fdb, v19 :: v_dual_sub_f32 v17, 0x3fc90fdb, v21
	s_delay_alu instid0(VALU_DEP_1) | instskip(SKIP_1) | instid1(VALU_DEP_2)
	v_dual_sub_f32 v16, 0x3fc90fdb, v20 :: v_dual_cndmask_b32 v11, v14, v11
	v_cmp_lt_f32_e64 vcc_lo, |v8|, 0.5
	v_bfi_b32 v9, 0x7fffffff, v11, v9
	v_cndmask_b32_e32 v10, v15, v10, vcc_lo
	v_cmp_lt_f32_e64 vcc_lo, |v6|, 0.5
	v_cndmask_b32_e32 v12, v16, v12, vcc_lo
	v_cmp_lt_f32_e64 vcc_lo, |v7|, 0.5
	s_delay_alu instid0(VALU_DEP_4) | instskip(NEXT) | instid1(VALU_DEP_3)
	v_bfi_b32 v8, 0x7fffffff, v10, v8
	v_bfi_b32 v6, 0x7fffffff, v12, v6
	s_delay_alu instid0(VALU_DEP_2) | instskip(SKIP_2) | instid1(VALU_DEP_4)
	v_dual_cndmask_b32 v13, v17, v13 :: v_dual_lshrrev_b32 v10, 16, v8
	v_lshrrev_b32_e32 v12, 16, v9
	v_cmp_o_f32_e32 vcc_lo, v8, v8
	v_lshrrev_b32_e32 v11, 16, v6
	s_delay_alu instid0(VALU_DEP_4) | instskip(NEXT) | instid1(VALU_DEP_1)
	v_bfi_b32 v7, 0x7fffffff, v13, v7
	v_dual_lshrrev_b32 v13, 16, v7 :: v_dual_bitop2_b32 v10, 1, v10 bitop3:0x40
	s_delay_alu instid0(VALU_DEP_1) | instskip(NEXT) | instid1(VALU_DEP_4)
	v_add3_u32 v10, v8, v10, 0x7fff
	v_and_b32_e32 v11, 1, v11
	s_delay_alu instid0(VALU_DEP_2) | instskip(NEXT) | instid1(VALU_DEP_2)
	v_dual_lshrrev_b32 v10, 16, v10 :: v_dual_bitop2_b32 v13, 1, v13 bitop3:0x40
	v_add3_u32 v11, v6, v11, 0x7fff
	v_and_b32_e32 v12, 1, v12
	s_delay_alu instid0(VALU_DEP_3) | instskip(NEXT) | instid1(VALU_DEP_3)
	v_add3_u32 v13, v7, v13, 0x7fff
	v_dual_cndmask_b32 v8, 0x7fc0, v10 :: v_dual_lshrrev_b32 v11, 16, v11
	s_delay_alu instid0(VALU_DEP_3) | instskip(SKIP_1) | instid1(VALU_DEP_4)
	v_add3_u32 v12, v9, v12, 0x7fff
	v_cmp_o_f32_e32 vcc_lo, v9, v9
	v_and_b32_e32 v13, 0xffff0000, v13
	s_delay_alu instid0(VALU_DEP_4) | instskip(NEXT) | instid1(VALU_DEP_4)
	v_and_b32_e32 v10, 0xffff, v11
	v_and_b32_e32 v12, 0xffff0000, v12
	s_delay_alu instid0(VALU_DEP_1) | instskip(SKIP_1) | instid1(VALU_DEP_2)
	v_cndmask_b32_e32 v9, 0x7fc00000, v12, vcc_lo
	v_cmp_o_f32_e32 vcc_lo, v7, v7
	v_or3_b32 v8, v8, 0, v9
	v_cndmask_b32_e32 v11, 0x7fc00000, v13, vcc_lo
	v_cmp_o_f32_e32 vcc_lo, v6, v6
	v_lshlrev_b64_e32 v[6:7], 2, v[0:1]
	v_cndmask_b32_e32 v10, 0x7fc0, v10, vcc_lo
	s_delay_alu instid0(VALU_DEP_2) | instskip(NEXT) | instid1(VALU_DEP_2)
	v_cmp_ge_i64_e32 vcc_lo, v[6:7], v[2:3]
	v_or3_b32 v9, 0, v10, v11
	global_store_b64 v[4:5], v[8:9], off
	s_wait_xcnt 0x0
	v_add_nc_u64_e32 v[4:5], s[14:15], v[4:5]
	s_or_b32 s3, vcc_lo, s3
	s_delay_alu instid0(SALU_CYCLE_1)
	s_and_not1_b32 exec_lo, exec_lo, s3
	s_cbranch_execnz .LBB64_24
.LBB64_25:
	s_endpgm
	.section	.rodata,"a",@progbits
	.p2align	6, 0x0
	.amdhsa_kernel _ZN2at6native12_GLOBAL__N_125multi_tensor_apply_kernelINS1_18TensorListMetadataILi1EEENS1_14UnaryOpFunctorIN3c108BFloat16ELi1ELi1ELi0EEEJNS0_4AsinIfEEEEEvT_T0_DpT1_
		.amdhsa_group_segment_fixed_size 0
		.amdhsa_private_segment_fixed_size 0
		.amdhsa_kernarg_size 3632
		.amdhsa_user_sgpr_count 2
		.amdhsa_user_sgpr_dispatch_ptr 0
		.amdhsa_user_sgpr_queue_ptr 0
		.amdhsa_user_sgpr_kernarg_segment_ptr 1
		.amdhsa_user_sgpr_dispatch_id 0
		.amdhsa_user_sgpr_kernarg_preload_length 0
		.amdhsa_user_sgpr_kernarg_preload_offset 0
		.amdhsa_user_sgpr_private_segment_size 0
		.amdhsa_wavefront_size32 1
		.amdhsa_uses_dynamic_stack 0
		.amdhsa_enable_private_segment 0
		.amdhsa_system_sgpr_workgroup_id_x 1
		.amdhsa_system_sgpr_workgroup_id_y 0
		.amdhsa_system_sgpr_workgroup_id_z 0
		.amdhsa_system_sgpr_workgroup_info 0
		.amdhsa_system_vgpr_workitem_id 0
		.amdhsa_next_free_vgpr 30
		.amdhsa_next_free_sgpr 36
		.amdhsa_named_barrier_count 0
		.amdhsa_reserve_vcc 1
		.amdhsa_float_round_mode_32 0
		.amdhsa_float_round_mode_16_64 0
		.amdhsa_float_denorm_mode_32 3
		.amdhsa_float_denorm_mode_16_64 3
		.amdhsa_fp16_overflow 0
		.amdhsa_memory_ordered 1
		.amdhsa_forward_progress 1
		.amdhsa_inst_pref_size 20
		.amdhsa_round_robin_scheduling 0
		.amdhsa_exception_fp_ieee_invalid_op 0
		.amdhsa_exception_fp_denorm_src 0
		.amdhsa_exception_fp_ieee_div_zero 0
		.amdhsa_exception_fp_ieee_overflow 0
		.amdhsa_exception_fp_ieee_underflow 0
		.amdhsa_exception_fp_ieee_inexact 0
		.amdhsa_exception_int_div_zero 0
	.end_amdhsa_kernel
	.section	.text._ZN2at6native12_GLOBAL__N_125multi_tensor_apply_kernelINS1_18TensorListMetadataILi1EEENS1_14UnaryOpFunctorIN3c108BFloat16ELi1ELi1ELi0EEEJNS0_4AsinIfEEEEEvT_T0_DpT1_,"axG",@progbits,_ZN2at6native12_GLOBAL__N_125multi_tensor_apply_kernelINS1_18TensorListMetadataILi1EEENS1_14UnaryOpFunctorIN3c108BFloat16ELi1ELi1ELi0EEEJNS0_4AsinIfEEEEEvT_T0_DpT1_,comdat
.Lfunc_end64:
	.size	_ZN2at6native12_GLOBAL__N_125multi_tensor_apply_kernelINS1_18TensorListMetadataILi1EEENS1_14UnaryOpFunctorIN3c108BFloat16ELi1ELi1ELi0EEEJNS0_4AsinIfEEEEEvT_T0_DpT1_, .Lfunc_end64-_ZN2at6native12_GLOBAL__N_125multi_tensor_apply_kernelINS1_18TensorListMetadataILi1EEENS1_14UnaryOpFunctorIN3c108BFloat16ELi1ELi1ELi0EEEJNS0_4AsinIfEEEEEvT_T0_DpT1_
                                        ; -- End function
	.set _ZN2at6native12_GLOBAL__N_125multi_tensor_apply_kernelINS1_18TensorListMetadataILi1EEENS1_14UnaryOpFunctorIN3c108BFloat16ELi1ELi1ELi0EEEJNS0_4AsinIfEEEEEvT_T0_DpT1_.num_vgpr, 30
	.set _ZN2at6native12_GLOBAL__N_125multi_tensor_apply_kernelINS1_18TensorListMetadataILi1EEENS1_14UnaryOpFunctorIN3c108BFloat16ELi1ELi1ELi0EEEJNS0_4AsinIfEEEEEvT_T0_DpT1_.num_agpr, 0
	.set _ZN2at6native12_GLOBAL__N_125multi_tensor_apply_kernelINS1_18TensorListMetadataILi1EEENS1_14UnaryOpFunctorIN3c108BFloat16ELi1ELi1ELi0EEEJNS0_4AsinIfEEEEEvT_T0_DpT1_.numbered_sgpr, 36
	.set _ZN2at6native12_GLOBAL__N_125multi_tensor_apply_kernelINS1_18TensorListMetadataILi1EEENS1_14UnaryOpFunctorIN3c108BFloat16ELi1ELi1ELi0EEEJNS0_4AsinIfEEEEEvT_T0_DpT1_.num_named_barrier, 0
	.set _ZN2at6native12_GLOBAL__N_125multi_tensor_apply_kernelINS1_18TensorListMetadataILi1EEENS1_14UnaryOpFunctorIN3c108BFloat16ELi1ELi1ELi0EEEJNS0_4AsinIfEEEEEvT_T0_DpT1_.private_seg_size, 0
	.set _ZN2at6native12_GLOBAL__N_125multi_tensor_apply_kernelINS1_18TensorListMetadataILi1EEENS1_14UnaryOpFunctorIN3c108BFloat16ELi1ELi1ELi0EEEJNS0_4AsinIfEEEEEvT_T0_DpT1_.uses_vcc, 1
	.set _ZN2at6native12_GLOBAL__N_125multi_tensor_apply_kernelINS1_18TensorListMetadataILi1EEENS1_14UnaryOpFunctorIN3c108BFloat16ELi1ELi1ELi0EEEJNS0_4AsinIfEEEEEvT_T0_DpT1_.uses_flat_scratch, 0
	.set _ZN2at6native12_GLOBAL__N_125multi_tensor_apply_kernelINS1_18TensorListMetadataILi1EEENS1_14UnaryOpFunctorIN3c108BFloat16ELi1ELi1ELi0EEEJNS0_4AsinIfEEEEEvT_T0_DpT1_.has_dyn_sized_stack, 0
	.set _ZN2at6native12_GLOBAL__N_125multi_tensor_apply_kernelINS1_18TensorListMetadataILi1EEENS1_14UnaryOpFunctorIN3c108BFloat16ELi1ELi1ELi0EEEJNS0_4AsinIfEEEEEvT_T0_DpT1_.has_recursion, 0
	.set _ZN2at6native12_GLOBAL__N_125multi_tensor_apply_kernelINS1_18TensorListMetadataILi1EEENS1_14UnaryOpFunctorIN3c108BFloat16ELi1ELi1ELi0EEEJNS0_4AsinIfEEEEEvT_T0_DpT1_.has_indirect_call, 0
	.section	.AMDGPU.csdata,"",@progbits
; Kernel info:
; codeLenInByte = 2460
; TotalNumSgprs: 38
; NumVgprs: 30
; ScratchSize: 0
; MemoryBound: 0
; FloatMode: 240
; IeeeMode: 1
; LDSByteSize: 0 bytes/workgroup (compile time only)
; SGPRBlocks: 0
; VGPRBlocks: 1
; NumSGPRsForWavesPerEU: 38
; NumVGPRsForWavesPerEU: 30
; NamedBarCnt: 0
; Occupancy: 16
; WaveLimiterHint : 0
; COMPUTE_PGM_RSRC2:SCRATCH_EN: 0
; COMPUTE_PGM_RSRC2:USER_SGPR: 2
; COMPUTE_PGM_RSRC2:TRAP_HANDLER: 0
; COMPUTE_PGM_RSRC2:TGID_X_EN: 1
; COMPUTE_PGM_RSRC2:TGID_Y_EN: 0
; COMPUTE_PGM_RSRC2:TGID_Z_EN: 0
; COMPUTE_PGM_RSRC2:TIDIG_COMP_CNT: 0
	.section	.text._ZN2at6native12_GLOBAL__N_125multi_tensor_apply_kernelINS1_18TensorListMetadataILi2EEENS1_14UnaryOpFunctorIdLi2ELi1ELi1EEEJNS0_4AtanIdEEEEEvT_T0_DpT1_,"axG",@progbits,_ZN2at6native12_GLOBAL__N_125multi_tensor_apply_kernelINS1_18TensorListMetadataILi2EEENS1_14UnaryOpFunctorIdLi2ELi1ELi1EEEJNS0_4AtanIdEEEEEvT_T0_DpT1_,comdat
	.globl	_ZN2at6native12_GLOBAL__N_125multi_tensor_apply_kernelINS1_18TensorListMetadataILi2EEENS1_14UnaryOpFunctorIdLi2ELi1ELi1EEEJNS0_4AtanIdEEEEEvT_T0_DpT1_ ; -- Begin function _ZN2at6native12_GLOBAL__N_125multi_tensor_apply_kernelINS1_18TensorListMetadataILi2EEENS1_14UnaryOpFunctorIdLi2ELi1ELi1EEEJNS0_4AtanIdEEEEEvT_T0_DpT1_
	.p2align	8
	.type	_ZN2at6native12_GLOBAL__N_125multi_tensor_apply_kernelINS1_18TensorListMetadataILi2EEENS1_14UnaryOpFunctorIdLi2ELi1ELi1EEEJNS0_4AtanIdEEEEEvT_T0_DpT1_,@function
_ZN2at6native12_GLOBAL__N_125multi_tensor_apply_kernelINS1_18TensorListMetadataILi2EEENS1_14UnaryOpFunctorIdLi2ELi1ELi1EEEJNS0_4AtanIdEEEEEvT_T0_DpT1_: ; @_ZN2at6native12_GLOBAL__N_125multi_tensor_apply_kernelINS1_18TensorListMetadataILi2EEENS1_14UnaryOpFunctorIdLi2ELi1ELi1EEEJNS0_4AtanIdEEEEEvT_T0_DpT1_
; %bb.0:
	s_bfe_u32 s2, ttmp6, 0x4000c
	s_and_b32 s3, ttmp6, 15
	s_add_co_i32 s2, s2, 1
	s_getreg_b32 s4, hwreg(HW_REG_IB_STS2, 6, 4)
	s_mul_i32 s2, ttmp9, s2
	s_delay_alu instid0(SALU_CYCLE_1)
	s_add_co_i32 s3, s3, s2
	s_cmp_eq_u32 s4, 0
	s_cselect_b32 s2, ttmp9, s3
	s_mov_b32 s3, 0
	s_load_u8 s13, s[0:1], s2 offset:0x600
	s_add_nc_u64 s[4:5], s[0:1], s[2:3]
	s_mul_u64 s[6:7], s[2:3], 3
	s_delay_alu instid0(SALU_CYCLE_1)
	s_add_nc_u64 s[4:5], s[4:5], s[6:7]
	s_load_b32 s12, s[4:5], 0x740
	s_wait_kmcnt 0x0
	s_clause 0x2
	s_load_b64 s[8:9], s[0:1], s13 offset:0x0 scale_offset
	s_load_b64 s[10:11], s[0:1], s13 offset:0x200 scale_offset
	;; [unrolled: 1-line block ×3, first 2 shown]
	s_mov_b32 s5, s3
	s_wait_xcnt 0x0
	s_ashr_i32 s13, s12, 31
	s_delay_alu instid0(SALU_CYCLE_1)
	s_lshl_b64 s[6:7], s[12:13], 19
	s_wait_kmcnt 0x0
	s_and_b64 s[18:19], s[10:11], 31
	s_add_nc_u64 s[16:17], s[8:9], s[6:7]
	s_and_b32 s4, s14, 3
	s_and_b32 s2, s16, 31
	s_or_b64 s[4:5], s[18:19], s[4:5]
	s_lshl_b64 s[12:13], s[12:13], 16
	s_or_b64 s[2:3], s[4:5], s[2:3]
	s_sub_nc_u64 s[12:13], s[14:15], s[12:13]
	s_cmp_eq_u64 s[2:3], 0
	s_mov_b32 s2, -1
	s_cbranch_scc0 .LBB65_5
; %bb.1:
	v_min_i64 v[10:11], 0x10000, s[12:13]
	v_dual_mov_b32 v3, 0 :: v_dual_lshlrev_b32 v2, 2, v0
	s_mov_b32 s22, exec_lo
	s_delay_alu instid0(VALU_DEP_1)
	v_cmpx_lt_i64_e64 v[2:3], v[10:11]
	s_cbranch_execz .LBB65_4
; %bb.2:
	s_load_b32 s2, s[0:1], 0xc5c
	v_dual_mov_b32 v1, v3 :: v_dual_lshlrev_b32 v2, 5, v0
	v_mov_b64_e32 v[12:13], 0xbf23e260bd3237f4
	s_mov_b32 s15, 0
	s_mov_b64 s[16:17], 0x3ffaf154eeb562d6
	s_delay_alu instid0(VALU_DEP_2)
	v_mov_b64_e32 v[16:17], v[0:1]
	v_add_nc_u64_e32 v[14:15], s[6:7], v[2:3]
	s_mov_b64 s[18:19], 0x3fedd9ad336a0500
	s_mov_b32 s21, s15
	s_mov_b32 s23, s15
                                        ; implicit-def: $vgpr2_vgpr3
                                        ; implicit-def: $vgpr2_vgpr3
	;; [unrolled: 1-line block ×18, first 2 shown]
	s_wait_kmcnt 0x0
	s_and_b32 s14, s2, 0xffff
	s_delay_alu instid0(SALU_CYCLE_1)
	s_lshl_b32 s20, s14, 5
.LBB65_3:                               ; =>This Inner Loop Header: Depth=1
	v_add_nc_u64_e32 v[18:19], s[8:9], v[14:15]
	v_add_nc_u64_e32 v[16:17], s[14:15], v[16:17]
	s_clause 0x1
	global_load_b128 v[6:9], v[18:19], off
	global_load_b128 v[2:5], v[18:19], off offset:16
	s_wait_loadcnt 0x1
	s_wait_xcnt 0x0
	v_and_b32_e32 v19, 0x7fffffff, v7
	v_dual_mov_b32 v18, v6 :: v_dual_mov_b32 v20, v8
	v_and_b32_e32 v21, 0x7fffffff, v9
	s_wait_loadcnt 0x0
	v_and_b32_e32 v23, 0x7fffffff, v3
	v_dual_mov_b32 v22, v2 :: v_dual_mov_b32 v24, v4
	v_div_scale_f64 v[26:27], null, v[18:19], v[18:19], 1.0
	v_div_scale_f64 v[28:29], null, v[20:21], v[20:21], 1.0
	v_div_scale_f64 v[50:51], vcc_lo, 1.0, v[18:19], 1.0
	s_delay_alu instid0(VALU_DEP_4) | instskip(SKIP_3) | instid1(VALU_DEP_3)
	v_div_scale_f64 v[30:31], null, v[22:23], v[22:23], 1.0
	v_and_b32_e32 v25, 0x7fffffff, v5
	v_div_scale_f64 v[52:53], s2, 1.0, v[20:21], 1.0
	v_div_scale_f64 v[54:55], s3, 1.0, v[22:23], 1.0
	v_div_scale_f64 v[32:33], null, v[24:25], v[24:25], 1.0
	v_div_scale_f64 v[56:57], s4, 1.0, v[24:25], 1.0
	v_rcp_f64_e32 v[34:35], v[26:27]
	v_rcp_f64_e32 v[36:37], v[28:29]
	;; [unrolled: 1-line block ×3, first 2 shown]
	s_delay_alu instid0(VALU_DEP_2) | instskip(SKIP_1) | instid1(TRANS32_DEP_3)
	v_rcp_f64_e32 v[40:41], v[32:33]
	v_fma_f64 v[42:43], -v[26:27], v[34:35], 1.0
	v_fma_f64 v[44:45], -v[28:29], v[36:37], 1.0
	s_delay_alu instid0(TRANS32_DEP_2) | instskip(NEXT) | instid1(TRANS32_DEP_1)
	v_fma_f64 v[46:47], -v[30:31], v[38:39], 1.0
	v_fma_f64 v[48:49], -v[32:33], v[40:41], 1.0
	s_delay_alu instid0(VALU_DEP_4) | instskip(NEXT) | instid1(VALU_DEP_4)
	v_fmac_f64_e32 v[34:35], v[34:35], v[42:43]
	v_fmac_f64_e32 v[36:37], v[36:37], v[44:45]
	s_delay_alu instid0(VALU_DEP_4) | instskip(NEXT) | instid1(VALU_DEP_4)
	v_fmac_f64_e32 v[38:39], v[38:39], v[46:47]
	v_fmac_f64_e32 v[40:41], v[40:41], v[48:49]
	s_delay_alu instid0(VALU_DEP_4) | instskip(NEXT) | instid1(VALU_DEP_4)
	v_fma_f64 v[42:43], -v[26:27], v[34:35], 1.0
	v_fma_f64 v[44:45], -v[28:29], v[36:37], 1.0
	s_delay_alu instid0(VALU_DEP_4) | instskip(NEXT) | instid1(VALU_DEP_4)
	v_fma_f64 v[46:47], -v[30:31], v[38:39], 1.0
	v_fma_f64 v[48:49], -v[32:33], v[40:41], 1.0
	s_delay_alu instid0(VALU_DEP_4) | instskip(NEXT) | instid1(VALU_DEP_4)
	v_fmac_f64_e32 v[34:35], v[34:35], v[42:43]
	v_fmac_f64_e32 v[36:37], v[36:37], v[44:45]
	s_delay_alu instid0(VALU_DEP_4) | instskip(NEXT) | instid1(VALU_DEP_4)
	v_fmac_f64_e32 v[38:39], v[38:39], v[46:47]
	v_fmac_f64_e32 v[40:41], v[40:41], v[48:49]
	s_delay_alu instid0(VALU_DEP_4) | instskip(NEXT) | instid1(VALU_DEP_1)
	v_mul_f64_e32 v[42:43], v[50:51], v[34:35]
	v_fma_f64 v[26:27], -v[26:27], v[42:43], v[50:51]
	s_delay_alu instid0(VALU_DEP_1) | instskip(SKIP_2) | instid1(VALU_DEP_2)
	v_div_fmas_f64 v[26:27], v[26:27], v[34:35], v[42:43]
	s_mov_b32 vcc_lo, s2
	v_cmp_gt_f64_e64 s2, |v[8:9]|, 1.0
	v_div_fixup_f64 v[26:27], v[26:27], |v[6:7]|, 1.0
	v_mul_f64_e32 v[44:45], v[52:53], v[36:37]
	v_mul_f64_e32 v[48:49], v[56:57], v[40:41]
	s_delay_alu instid0(VALU_DEP_2) | instskip(NEXT) | instid1(VALU_DEP_1)
	v_fma_f64 v[28:29], -v[28:29], v[44:45], v[52:53]
	v_div_fmas_f64 v[28:29], v[28:29], v[36:37], v[44:45]
	s_mov_b32 vcc_lo, s3
	v_cmp_gt_f64_e64 s3, |v[2:3]|, 1.0
	s_delay_alu instid0(VALU_DEP_2) | instskip(NEXT) | instid1(VALU_DEP_1)
	v_div_fixup_f64 v[28:29], v[28:29], |v[8:9]|, 1.0
	v_dual_mul_f64 v[46:47], v[54:55], v[38:39] :: v_dual_cndmask_b32 v20, v8, v28, s2
	s_delay_alu instid0(VALU_DEP_1) | instskip(NEXT) | instid1(VALU_DEP_1)
	v_dual_fma_f64 v[30:31], -v[30:31], v[46:47], v[54:55] :: v_dual_cndmask_b32 v21, v21, v29, s2
	v_div_fmas_f64 v[30:31], v[30:31], v[38:39], v[46:47]
	s_mov_b32 vcc_lo, s4
	v_cmp_gt_f64_e64 s4, |v[4:5]|, 1.0
	s_delay_alu instid0(VALU_DEP_2) | instskip(NEXT) | instid1(VALU_DEP_1)
	v_div_fixup_f64 v[30:31], v[30:31], |v[2:3]|, 1.0
	v_dual_fma_f64 v[32:33], -v[32:33], v[48:49], v[56:57] :: v_dual_cndmask_b32 v22, v2, v30, s3
	s_delay_alu instid0(VALU_DEP_1) | instskip(SKIP_1) | instid1(VALU_DEP_4)
	v_div_fmas_f64 v[32:33], v[32:33], v[40:41], v[48:49]
	v_cmp_gt_f64_e64 vcc_lo, |v[6:7]|, 1.0
	v_dual_mul_f64 v[28:29], v[20:21], v[20:21] :: v_dual_cndmask_b32 v23, v23, v31, s3
	s_delay_alu instid0(VALU_DEP_3) | instskip(SKIP_1) | instid1(VALU_DEP_3)
	v_div_fixup_f64 v[32:33], v[32:33], |v[4:5]|, 1.0
	v_cndmask_b32_e32 v19, v19, v27, vcc_lo
	v_fmamk_f64 v[36:37], v[28:29], 0x3eeba404b5e68a13, v[12:13]
	v_cndmask_b32_e32 v18, v6, v26, vcc_lo
	s_delay_alu instid0(VALU_DEP_2) | instskip(NEXT) | instid1(VALU_DEP_1)
	v_fmaak_f64 v[36:37], v[28:29], v[36:37], 0x3f4b2bb069efb384
	v_fmaak_f64 v[36:37], v[28:29], v[36:37], 0xbf67952daf56de9b
	s_delay_alu instid0(VALU_DEP_1) | instskip(NEXT) | instid1(VALU_DEP_1)
	v_fmaak_f64 v[36:37], v[28:29], v[36:37], 0x3f7d6d43a595c56f
	v_fmaak_f64 v[36:37], v[28:29], v[36:37], 0xbf8c6ea4a57d9582
	v_dual_cndmask_b32 v25, v25, v33, s4 :: v_dual_cndmask_b32 v24, v4, v32, s4
	s_delay_alu instid0(VALU_DEP_2) | instskip(NEXT) | instid1(VALU_DEP_1)
	v_fmaak_f64 v[36:37], v[28:29], v[36:37], 0x3f967e295f08b19f
	v_fmaak_f64 v[36:37], v[28:29], v[36:37], 0xbf9e9ae6fc27006a
	s_delay_alu instid0(VALU_DEP_1) | instskip(NEXT) | instid1(VALU_DEP_1)
	v_fmaak_f64 v[36:37], v[28:29], v[36:37], 0x3fa2c15b5711927a
	v_fmaak_f64 v[36:37], v[28:29], v[36:37], 0xbfa59976e82d3ff0
	s_delay_alu instid0(VALU_DEP_1) | instskip(NEXT) | instid1(VALU_DEP_1)
	;; [unrolled: 3-line block ×6, first 2 shown]
	v_fmaak_f64 v[36:37], v[28:29], v[36:37], 0x3fc99999999952cc
	v_fmaak_f64 v[36:37], v[28:29], v[36:37], 0xbfd5555555555523
	s_delay_alu instid0(VALU_DEP_1) | instskip(SKIP_1) | instid1(VALU_DEP_1)
	v_mul_f64_e32 v[28:29], v[28:29], v[36:37]
	v_lshlrev_b64_e32 v[36:37], 2, v[16:17]
	v_cmp_ge_i64_e64 s5, v[36:37], v[10:11]
	s_or_b32 s23, s5, s23
	v_fmac_f64_e32 v[20:21], v[20:21], v[28:29]
	s_delay_alu instid0(VALU_DEP_1) | instskip(SKIP_1) | instid1(VALU_DEP_2)
	v_fma_f64 v[28:29], s[18:19], s[16:17], -v[20:21]
	v_mul_f64_e32 v[26:27], v[18:19], v[18:19]
	v_dual_mul_f64 v[30:31], v[22:23], v[22:23] :: v_dual_cndmask_b32 v8, v20, v28, s2
	s_delay_alu instid0(VALU_DEP_2) | instskip(NEXT) | instid1(VALU_DEP_1)
	v_fmamk_f64 v[34:35], v[26:27], 0x3eeba404b5e68a13, v[12:13]
	v_fmaak_f64 v[34:35], v[26:27], v[34:35], 0x3f4b2bb069efb384
	s_delay_alu instid0(VALU_DEP_1) | instskip(NEXT) | instid1(VALU_DEP_1)
	v_fmaak_f64 v[34:35], v[26:27], v[34:35], 0xbf67952daf56de9b
	v_fmaak_f64 v[34:35], v[26:27], v[34:35], 0x3f7d6d43a595c56f
	s_delay_alu instid0(VALU_DEP_1) | instskip(NEXT) | instid1(VALU_DEP_1)
	v_fmaak_f64 v[34:35], v[26:27], v[34:35], 0xbf8c6ea4a57d9582
	;; [unrolled: 3-line block ×9, first 2 shown]
	v_mul_f64_e32 v[26:27], v[26:27], v[34:35]
	v_add_nc_u64_e32 v[34:35], s[10:11], v[14:15]
	v_add_nc_u64_e32 v[14:15], s[20:21], v[14:15]
	s_delay_alu instid0(VALU_DEP_3) | instskip(NEXT) | instid1(VALU_DEP_1)
	v_fmac_f64_e32 v[18:19], v[18:19], v[26:27]
	v_fma_f64 v[26:27], s[18:19], s[16:17], -v[18:19]
	s_delay_alu instid0(VALU_DEP_1) | instskip(NEXT) | instid1(VALU_DEP_1)
	v_dual_mul_f64 v[32:33], v[24:25], v[24:25] :: v_dual_cndmask_b32 v1, v19, v27, vcc_lo
	v_fmamk_f64 v[40:41], v[32:33], 0x3eeba404b5e68a13, v[12:13]
	s_delay_alu instid0(VALU_DEP_3) | instskip(SKIP_1) | instid1(VALU_DEP_4)
	v_dual_cndmask_b32 v6, v18, v26, vcc_lo :: v_dual_cndmask_b32 v18, v21, v29, s2
	v_fmamk_f64 v[38:39], v[30:31], 0x3eeba404b5e68a13, v[12:13]
	v_bfi_b32 v7, 0x7fffffff, v1, v7
	s_delay_alu instid0(VALU_DEP_4) | instskip(NEXT) | instid1(VALU_DEP_4)
	v_fmaak_f64 v[40:41], v[32:33], v[40:41], 0x3f4b2bb069efb384
	v_bfi_b32 v9, 0x7fffffff, v18, v9
	s_delay_alu instid0(VALU_DEP_4) | instskip(NEXT) | instid1(VALU_DEP_3)
	v_fmaak_f64 v[38:39], v[30:31], v[38:39], 0x3f4b2bb069efb384
	v_fmaak_f64 v[40:41], v[32:33], v[40:41], 0xbf67952daf56de9b
	s_delay_alu instid0(VALU_DEP_2) | instskip(NEXT) | instid1(VALU_DEP_2)
	v_fmaak_f64 v[38:39], v[30:31], v[38:39], 0xbf67952daf56de9b
	v_fmaak_f64 v[40:41], v[32:33], v[40:41], 0x3f7d6d43a595c56f
	s_delay_alu instid0(VALU_DEP_2) | instskip(NEXT) | instid1(VALU_DEP_2)
	v_fmaak_f64 v[38:39], v[30:31], v[38:39], 0x3f7d6d43a595c56f
	v_fmaak_f64 v[40:41], v[32:33], v[40:41], 0xbf8c6ea4a57d9582
	s_delay_alu instid0(VALU_DEP_2) | instskip(NEXT) | instid1(VALU_DEP_2)
	v_fmaak_f64 v[38:39], v[30:31], v[38:39], 0xbf8c6ea4a57d9582
	v_fmaak_f64 v[40:41], v[32:33], v[40:41], 0x3f967e295f08b19f
	s_delay_alu instid0(VALU_DEP_2) | instskip(NEXT) | instid1(VALU_DEP_2)
	v_fmaak_f64 v[38:39], v[30:31], v[38:39], 0x3f967e295f08b19f
	v_fmaak_f64 v[40:41], v[32:33], v[40:41], 0xbf9e9ae6fc27006a
	s_delay_alu instid0(VALU_DEP_2) | instskip(NEXT) | instid1(VALU_DEP_2)
	v_fmaak_f64 v[38:39], v[30:31], v[38:39], 0xbf9e9ae6fc27006a
	v_fmaak_f64 v[40:41], v[32:33], v[40:41], 0x3fa2c15b5711927a
	s_delay_alu instid0(VALU_DEP_2) | instskip(NEXT) | instid1(VALU_DEP_2)
	v_fmaak_f64 v[38:39], v[30:31], v[38:39], 0x3fa2c15b5711927a
	v_fmaak_f64 v[40:41], v[32:33], v[40:41], 0xbfa59976e82d3ff0
	s_delay_alu instid0(VALU_DEP_2) | instskip(NEXT) | instid1(VALU_DEP_2)
	v_fmaak_f64 v[38:39], v[30:31], v[38:39], 0xbfa59976e82d3ff0
	v_fmaak_f64 v[40:41], v[32:33], v[40:41], 0x3fa82d5d6ef28734
	s_delay_alu instid0(VALU_DEP_2) | instskip(NEXT) | instid1(VALU_DEP_2)
	v_fmaak_f64 v[38:39], v[30:31], v[38:39], 0x3fa82d5d6ef28734
	v_fmaak_f64 v[40:41], v[32:33], v[40:41], 0xbfaae5ce6a214619
	s_delay_alu instid0(VALU_DEP_2) | instskip(NEXT) | instid1(VALU_DEP_2)
	v_fmaak_f64 v[38:39], v[30:31], v[38:39], 0xbfaae5ce6a214619
	v_fmaak_f64 v[40:41], v[32:33], v[40:41], 0x3fae1bb48427b883
	s_delay_alu instid0(VALU_DEP_2) | instskip(NEXT) | instid1(VALU_DEP_2)
	v_fmaak_f64 v[38:39], v[30:31], v[38:39], 0x3fae1bb48427b883
	v_fmaak_f64 v[40:41], v[32:33], v[40:41], 0xbfb110e48b207f05
	s_delay_alu instid0(VALU_DEP_2) | instskip(NEXT) | instid1(VALU_DEP_2)
	v_fmaak_f64 v[38:39], v[30:31], v[38:39], 0xbfb110e48b207f05
	v_fmaak_f64 v[40:41], v[32:33], v[40:41], 0x3fb3b13657b87036
	s_delay_alu instid0(VALU_DEP_2) | instskip(NEXT) | instid1(VALU_DEP_2)
	v_fmaak_f64 v[38:39], v[30:31], v[38:39], 0x3fb3b13657b87036
	v_fmaak_f64 v[40:41], v[32:33], v[40:41], 0xbfb745d119378e4f
	s_delay_alu instid0(VALU_DEP_2) | instskip(NEXT) | instid1(VALU_DEP_2)
	v_fmaak_f64 v[38:39], v[30:31], v[38:39], 0xbfb745d119378e4f
	v_fmaak_f64 v[40:41], v[32:33], v[40:41], 0x3fbc71c717e1913c
	s_delay_alu instid0(VALU_DEP_2) | instskip(NEXT) | instid1(VALU_DEP_2)
	v_fmaak_f64 v[38:39], v[30:31], v[38:39], 0x3fbc71c717e1913c
	v_fmaak_f64 v[40:41], v[32:33], v[40:41], 0xbfc2492492376b7d
	s_delay_alu instid0(VALU_DEP_2) | instskip(NEXT) | instid1(VALU_DEP_2)
	v_fmaak_f64 v[38:39], v[30:31], v[38:39], 0xbfc2492492376b7d
	v_fmaak_f64 v[40:41], v[32:33], v[40:41], 0x3fc99999999952cc
	s_delay_alu instid0(VALU_DEP_2) | instskip(NEXT) | instid1(VALU_DEP_2)
	v_fmaak_f64 v[38:39], v[30:31], v[38:39], 0x3fc99999999952cc
	v_fmaak_f64 v[40:41], v[32:33], v[40:41], 0xbfd5555555555523
	s_delay_alu instid0(VALU_DEP_2) | instskip(NEXT) | instid1(VALU_DEP_2)
	v_fmaak_f64 v[38:39], v[30:31], v[38:39], 0xbfd5555555555523
	v_mul_f64_e32 v[32:33], v[32:33], v[40:41]
	s_delay_alu instid0(VALU_DEP_1) | instskip(NEXT) | instid1(VALU_DEP_1)
	v_fmac_f64_e32 v[24:25], v[24:25], v[32:33]
	v_fma_f64 v[32:33], s[18:19], s[16:17], -v[24:25]
	s_delay_alu instid0(VALU_DEP_1) | instskip(NEXT) | instid1(VALU_DEP_1)
	v_dual_mul_f64 v[30:31], v[30:31], v[38:39] :: v_dual_cndmask_b32 v4, v24, v32, s4
	v_fmac_f64_e32 v[22:23], v[22:23], v[30:31]
	s_delay_alu instid0(VALU_DEP_3) | instskip(NEXT) | instid1(VALU_DEP_1)
	v_cndmask_b32_e64 v20, v25, v33, s4
	v_bfi_b32 v5, 0x7fffffff, v20, v5
	s_delay_alu instid0(VALU_DEP_3) | instskip(NEXT) | instid1(VALU_DEP_1)
	v_fma_f64 v[30:31], s[18:19], s[16:17], -v[22:23]
	v_dual_cndmask_b32 v19, v23, v31, s3 :: v_dual_cndmask_b32 v2, v22, v30, s3
	s_delay_alu instid0(VALU_DEP_1)
	v_bfi_b32 v3, 0x7fffffff, v19, v3
	s_clause 0x1
	global_store_b128 v[34:35], v[6:9], off
	global_store_b128 v[34:35], v[2:5], off offset:16
	s_wait_xcnt 0x0
	s_and_not1_b32 exec_lo, exec_lo, s23
	s_cbranch_execnz .LBB65_3
.LBB65_4:
	s_or_b32 exec_lo, exec_lo, s22
	s_mov_b32 s2, 0
.LBB65_5:
	s_delay_alu instid0(SALU_CYCLE_1)
	s_and_not1_b32 vcc_lo, exec_lo, s2
	s_cbranch_vccnz .LBB65_25
; %bb.6:
	v_cmp_lt_i64_e64 s2, s[12:13], 1
	s_and_b32 vcc_lo, exec_lo, s2
	s_cbranch_vccnz .LBB65_25
; %bb.7:
	s_load_b32 s0, s[0:1], 0xc5c
	v_min_i64 v[2:3], 0x10000, s[12:13]
	v_min_u64 v[4:5], 0x10000, s[12:13]
	v_dual_mov_b32 v1, 0 :: v_dual_lshlrev_b32 v12, 3, v0
	s_wait_xcnt 0x0
	s_mov_b32 s1, 0
	v_mov_b64_e32 v[6:7], 0xbf23e260bd3237f4
	s_mov_b32 s15, s1
	v_dual_mov_b32 v13, v1 :: v_dual_mov_b32 v29, v1
	s_mov_b32 s3, s1
	s_mov_b32 s13, s1
	s_mov_b64 s[4:5], 0x3ffaf154eeb562d6
	s_delay_alu instid0(VALU_DEP_1) | instskip(SKIP_2) | instid1(SALU_CYCLE_1)
	v_add_nc_u64_e32 v[8:9], s[8:9], v[12:13]
                                        ; implicit-def: $vgpr30_vgpr31
                                        ; implicit-def: $vgpr30_vgpr31
	;; [unrolled: 1-line block ×18, first 2 shown]
	s_wait_kmcnt 0x0
	s_and_b32 s0, s0, 0xffff
	v_add_nc_u64_e32 v[10:11], s[0:1], v[0:1]
	v_mad_nc_u64_u32 v[24:25], s0, 24, v[12:13]
	s_lshl_b32 s14, s0, 4
	s_mul_i32 s12, s0, 3
	v_add_nc_u64_e32 v[20:21], s[14:15], v[12:13]
	s_lshl_b32 s2, s0, 1
	v_add_nc_u64_e32 v[12:13], s[10:11], v[12:13]
	v_lshlrev_b32_e32 v28, 3, v10
	v_add_nc_u64_e32 v[14:15], s[12:13], v[0:1]
	v_add_nc_u64_e32 v[16:17], s[2:3], v[0:1]
	s_lshl_b32 s12, s0, 5
	v_add_nc_u64_e32 v[18:19], s[8:9], v[20:21]
	v_add_nc_u64_e32 v[20:21], s[10:11], v[20:21]
	;; [unrolled: 1-line block ×6, first 2 shown]
	s_mov_b64 s[8:9], 0x3fedd9ad336a0500
	s_lshl_b32 s10, s0, 2
	s_mov_b32 s11, s1
	s_mov_b64 s[14:15], 0
	s_branch .LBB65_9
.LBB65_8:                               ;   in Loop: Header=BB65_9 Depth=1
	s_wait_xcnt 0x0
	s_or_b32 exec_lo, exec_lo, s1
	s_add_nc_u64 s[14:15], s[14:15], s[10:11]
	v_add_nc_u64_e32 v[8:9], s[12:13], v[8:9]
	v_cmp_ge_i64_e32 vcc_lo, s[14:15], v[2:3]
	v_add_nc_u64_e32 v[12:13], s[12:13], v[12:13]
	v_add_nc_u64_e32 v[22:23], s[12:13], v[22:23]
	;; [unrolled: 1-line block ×7, first 2 shown]
	s_cbranch_vccnz .LBB65_25
.LBB65_9:                               ; =>This Inner Loop Header: Depth=1
	s_wait_loadcnt 0x0
	v_add_nc_u64_e32 v[30:31], s[14:15], v[0:1]
	v_mov_b64_e32 v[34:35], 0
	v_mov_b64_e32 v[36:37], 0
	s_delay_alu instid0(VALU_DEP_3)
	v_cmp_lt_u64_e32 vcc_lo, v[30:31], v[4:5]
	s_and_saveexec_b32 s0, vcc_lo
	s_cbranch_execz .LBB65_11
; %bb.10:                               ;   in Loop: Header=BB65_9 Depth=1
	v_add_nc_u64_e32 v[30:31], s[6:7], v[8:9]
	global_load_b64 v[36:37], v[30:31], off
.LBB65_11:                              ;   in Loop: Header=BB65_9 Depth=1
	s_wait_xcnt 0x0
	s_or_b32 exec_lo, exec_lo, s0
	v_add_nc_u64_e32 v[30:31], s[14:15], v[10:11]
	s_delay_alu instid0(VALU_DEP_1)
	v_cmp_lt_u64_e64 s2, v[30:31], v[4:5]
	s_and_saveexec_b32 s0, s2
	s_cbranch_execz .LBB65_13
; %bb.12:                               ;   in Loop: Header=BB65_9 Depth=1
	v_add_nc_u64_e32 v[30:31], s[6:7], v[26:27]
	global_load_b64 v[34:35], v[30:31], off
.LBB65_13:                              ;   in Loop: Header=BB65_9 Depth=1
	s_wait_xcnt 0x0
	s_or_b32 exec_lo, exec_lo, s0
	v_add_nc_u64_e32 v[32:33], s[14:15], v[16:17]
	v_mov_b64_e32 v[30:31], 0
	s_delay_alu instid0(VALU_DEP_2)
	v_cmp_lt_u64_e64 s1, v[32:33], v[4:5]
	v_mov_b64_e32 v[32:33], 0
	s_and_saveexec_b32 s0, s1
	s_cbranch_execz .LBB65_15
; %bb.14:                               ;   in Loop: Header=BB65_9 Depth=1
	v_add_nc_u64_e32 v[32:33], s[6:7], v[18:19]
	global_load_b64 v[32:33], v[32:33], off
.LBB65_15:                              ;   in Loop: Header=BB65_9 Depth=1
	s_wait_xcnt 0x0
	s_or_b32 exec_lo, exec_lo, s0
	v_add_nc_u64_e32 v[38:39], s[14:15], v[14:15]
	s_delay_alu instid0(VALU_DEP_1)
	v_cmp_lt_u64_e64 s0, v[38:39], v[4:5]
	s_and_saveexec_b32 s3, s0
	s_cbranch_execnz .LBB65_20
; %bb.16:                               ;   in Loop: Header=BB65_9 Depth=1
	s_or_b32 exec_lo, exec_lo, s3
	s_and_saveexec_b32 s3, vcc_lo
	s_cbranch_execnz .LBB65_21
.LBB65_17:                              ;   in Loop: Header=BB65_9 Depth=1
	s_or_b32 exec_lo, exec_lo, s3
	s_and_saveexec_b32 s3, s2
	s_cbranch_execnz .LBB65_22
.LBB65_18:                              ;   in Loop: Header=BB65_9 Depth=1
	s_or_b32 exec_lo, exec_lo, s3
	s_and_saveexec_b32 s2, s1
	s_cbranch_execnz .LBB65_23
.LBB65_19:                              ;   in Loop: Header=BB65_9 Depth=1
	s_or_b32 exec_lo, exec_lo, s2
	s_and_saveexec_b32 s1, s0
	s_cbranch_execz .LBB65_8
	s_branch .LBB65_24
.LBB65_20:                              ;   in Loop: Header=BB65_9 Depth=1
	v_add_nc_u64_e32 v[30:31], s[6:7], v[22:23]
	global_load_b64 v[30:31], v[30:31], off
	s_wait_xcnt 0x0
	s_or_b32 exec_lo, exec_lo, s3
	s_and_saveexec_b32 s3, vcc_lo
	s_cbranch_execz .LBB65_17
.LBB65_21:                              ;   in Loop: Header=BB65_9 Depth=1
	s_wait_loadcnt 0x0
	v_and_b32_e32 v39, 0x7fffffff, v37
	v_mov_b32_e32 v38, v36
	s_delay_alu instid0(VALU_DEP_1) | instskip(SKIP_1) | instid1(VALU_DEP_2)
	v_div_scale_f64 v[40:41], null, v[38:39], v[38:39], 1.0
	v_div_scale_f64 v[46:47], vcc_lo, 1.0, v[38:39], 1.0
	v_rcp_f64_e32 v[42:43], v[40:41]
	v_nop
	s_delay_alu instid0(TRANS32_DEP_1) | instskip(NEXT) | instid1(VALU_DEP_1)
	v_fma_f64 v[44:45], -v[40:41], v[42:43], 1.0
	v_fmac_f64_e32 v[42:43], v[42:43], v[44:45]
	s_delay_alu instid0(VALU_DEP_1) | instskip(NEXT) | instid1(VALU_DEP_1)
	v_fma_f64 v[44:45], -v[40:41], v[42:43], 1.0
	v_fmac_f64_e32 v[42:43], v[42:43], v[44:45]
	s_delay_alu instid0(VALU_DEP_1) | instskip(NEXT) | instid1(VALU_DEP_1)
	v_mul_f64_e32 v[44:45], v[46:47], v[42:43]
	v_fma_f64 v[40:41], -v[40:41], v[44:45], v[46:47]
	s_delay_alu instid0(VALU_DEP_1) | instskip(SKIP_1) | instid1(VALU_DEP_2)
	v_div_fmas_f64 v[40:41], v[40:41], v[42:43], v[44:45]
	v_cmp_gt_f64_e64 vcc_lo, |v[36:37]|, 1.0
	v_div_fixup_f64 v[40:41], v[40:41], |v[36:37]|, 1.0
	s_delay_alu instid0(VALU_DEP_1) | instskip(NEXT) | instid1(VALU_DEP_1)
	v_dual_cndmask_b32 v39, v39, v41 :: v_dual_cndmask_b32 v38, v36, v40
	v_mul_f64_e32 v[40:41], v[38:39], v[38:39]
	s_delay_alu instid0(VALU_DEP_1) | instskip(NEXT) | instid1(VALU_DEP_1)
	v_fmamk_f64 v[42:43], v[40:41], 0x3eeba404b5e68a13, v[6:7]
	v_fmaak_f64 v[42:43], v[40:41], v[42:43], 0x3f4b2bb069efb384
	s_delay_alu instid0(VALU_DEP_1) | instskip(NEXT) | instid1(VALU_DEP_1)
	v_fmaak_f64 v[42:43], v[40:41], v[42:43], 0xbf67952daf56de9b
	v_fmaak_f64 v[42:43], v[40:41], v[42:43], 0x3f7d6d43a595c56f
	s_delay_alu instid0(VALU_DEP_1) | instskip(NEXT) | instid1(VALU_DEP_1)
	v_fmaak_f64 v[42:43], v[40:41], v[42:43], 0xbf8c6ea4a57d9582
	;; [unrolled: 3-line block ×9, first 2 shown]
	v_mul_f64_e32 v[40:41], v[40:41], v[42:43]
	v_add_nc_u64_e32 v[42:43], s[6:7], v[12:13]
	s_delay_alu instid0(VALU_DEP_2) | instskip(NEXT) | instid1(VALU_DEP_1)
	v_fmac_f64_e32 v[38:39], v[38:39], v[40:41]
	v_fma_f64 v[40:41], s[8:9], s[4:5], -v[38:39]
	s_delay_alu instid0(VALU_DEP_1) | instskip(NEXT) | instid1(VALU_DEP_1)
	v_dual_cndmask_b32 v39, v39, v41 :: v_dual_cndmask_b32 v36, v38, v40
	v_bfi_b32 v37, 0x7fffffff, v39, v37
	global_store_b64 v[42:43], v[36:37], off
	s_wait_xcnt 0x0
	s_or_b32 exec_lo, exec_lo, s3
	s_and_saveexec_b32 s3, s2
	s_cbranch_execz .LBB65_18
.LBB65_22:                              ;   in Loop: Header=BB65_9 Depth=1
	s_wait_loadcnt 0x0
	v_and_b32_e32 v37, 0x7fffffff, v35
	v_mov_b32_e32 v36, v34
	s_delay_alu instid0(VALU_DEP_1) | instskip(SKIP_1) | instid1(VALU_DEP_2)
	v_div_scale_f64 v[38:39], null, v[36:37], v[36:37], 1.0
	v_div_scale_f64 v[44:45], vcc_lo, 1.0, v[36:37], 1.0
	v_rcp_f64_e32 v[40:41], v[38:39]
	v_nop
	s_delay_alu instid0(TRANS32_DEP_1) | instskip(NEXT) | instid1(VALU_DEP_1)
	v_fma_f64 v[42:43], -v[38:39], v[40:41], 1.0
	v_fmac_f64_e32 v[40:41], v[40:41], v[42:43]
	s_delay_alu instid0(VALU_DEP_1) | instskip(NEXT) | instid1(VALU_DEP_1)
	v_fma_f64 v[42:43], -v[38:39], v[40:41], 1.0
	v_fmac_f64_e32 v[40:41], v[40:41], v[42:43]
	s_delay_alu instid0(VALU_DEP_1) | instskip(NEXT) | instid1(VALU_DEP_1)
	v_mul_f64_e32 v[42:43], v[44:45], v[40:41]
	v_fma_f64 v[38:39], -v[38:39], v[42:43], v[44:45]
	s_delay_alu instid0(VALU_DEP_1) | instskip(SKIP_1) | instid1(VALU_DEP_2)
	v_div_fmas_f64 v[38:39], v[38:39], v[40:41], v[42:43]
	v_cmp_gt_f64_e64 vcc_lo, |v[34:35]|, 1.0
	v_div_fixup_f64 v[38:39], v[38:39], |v[34:35]|, 1.0
	s_delay_alu instid0(VALU_DEP_1) | instskip(NEXT) | instid1(VALU_DEP_1)
	v_dual_cndmask_b32 v37, v37, v39 :: v_dual_cndmask_b32 v36, v34, v38
	v_mul_f64_e32 v[38:39], v[36:37], v[36:37]
	s_delay_alu instid0(VALU_DEP_1) | instskip(NEXT) | instid1(VALU_DEP_1)
	v_fmamk_f64 v[40:41], v[38:39], 0x3eeba404b5e68a13, v[6:7]
	v_fmaak_f64 v[40:41], v[38:39], v[40:41], 0x3f4b2bb069efb384
	s_delay_alu instid0(VALU_DEP_1) | instskip(NEXT) | instid1(VALU_DEP_1)
	v_fmaak_f64 v[40:41], v[38:39], v[40:41], 0xbf67952daf56de9b
	v_fmaak_f64 v[40:41], v[38:39], v[40:41], 0x3f7d6d43a595c56f
	s_delay_alu instid0(VALU_DEP_1) | instskip(NEXT) | instid1(VALU_DEP_1)
	v_fmaak_f64 v[40:41], v[38:39], v[40:41], 0xbf8c6ea4a57d9582
	v_fmaak_f64 v[40:41], v[38:39], v[40:41], 0x3f967e295f08b19f
	s_delay_alu instid0(VALU_DEP_1) | instskip(NEXT) | instid1(VALU_DEP_1)
	v_fmaak_f64 v[40:41], v[38:39], v[40:41], 0xbf9e9ae6fc27006a
	v_fmaak_f64 v[40:41], v[38:39], v[40:41], 0x3fa2c15b5711927a
	s_delay_alu instid0(VALU_DEP_1) | instskip(NEXT) | instid1(VALU_DEP_1)
	v_fmaak_f64 v[40:41], v[38:39], v[40:41], 0xbfa59976e82d3ff0
	v_fmaak_f64 v[40:41], v[38:39], v[40:41], 0x3fa82d5d6ef28734
	s_delay_alu instid0(VALU_DEP_1) | instskip(NEXT) | instid1(VALU_DEP_1)
	v_fmaak_f64 v[40:41], v[38:39], v[40:41], 0xbfaae5ce6a214619
	v_fmaak_f64 v[40:41], v[38:39], v[40:41], 0x3fae1bb48427b883
	s_delay_alu instid0(VALU_DEP_1) | instskip(NEXT) | instid1(VALU_DEP_1)
	v_fmaak_f64 v[40:41], v[38:39], v[40:41], 0xbfb110e48b207f05
	v_fmaak_f64 v[40:41], v[38:39], v[40:41], 0x3fb3b13657b87036
	s_delay_alu instid0(VALU_DEP_1) | instskip(NEXT) | instid1(VALU_DEP_1)
	v_fmaak_f64 v[40:41], v[38:39], v[40:41], 0xbfb745d119378e4f
	v_fmaak_f64 v[40:41], v[38:39], v[40:41], 0x3fbc71c717e1913c
	s_delay_alu instid0(VALU_DEP_1) | instskip(NEXT) | instid1(VALU_DEP_1)
	v_fmaak_f64 v[40:41], v[38:39], v[40:41], 0xbfc2492492376b7d
	v_fmaak_f64 v[40:41], v[38:39], v[40:41], 0x3fc99999999952cc
	s_delay_alu instid0(VALU_DEP_1) | instskip(NEXT) | instid1(VALU_DEP_1)
	v_fmaak_f64 v[40:41], v[38:39], v[40:41], 0xbfd5555555555523
	v_mul_f64_e32 v[38:39], v[38:39], v[40:41]
	v_add_nc_u64_e32 v[40:41], s[6:7], v[28:29]
	s_delay_alu instid0(VALU_DEP_2) | instskip(NEXT) | instid1(VALU_DEP_1)
	v_fmac_f64_e32 v[36:37], v[36:37], v[38:39]
	v_fma_f64 v[38:39], s[8:9], s[4:5], -v[36:37]
	s_delay_alu instid0(VALU_DEP_1) | instskip(NEXT) | instid1(VALU_DEP_1)
	v_dual_cndmask_b32 v37, v37, v39 :: v_dual_cndmask_b32 v34, v36, v38
	v_bfi_b32 v35, 0x7fffffff, v37, v35
	global_store_b64 v[40:41], v[34:35], off
	s_wait_xcnt 0x0
	s_or_b32 exec_lo, exec_lo, s3
	s_and_saveexec_b32 s2, s1
	s_cbranch_execz .LBB65_19
.LBB65_23:                              ;   in Loop: Header=BB65_9 Depth=1
	s_wait_loadcnt 0x0
	v_and_b32_e32 v35, 0x7fffffff, v33
	v_mov_b32_e32 v34, v32
	s_delay_alu instid0(VALU_DEP_1) | instskip(SKIP_1) | instid1(VALU_DEP_2)
	v_div_scale_f64 v[36:37], null, v[34:35], v[34:35], 1.0
	v_div_scale_f64 v[42:43], vcc_lo, 1.0, v[34:35], 1.0
	v_rcp_f64_e32 v[38:39], v[36:37]
	v_nop
	s_delay_alu instid0(TRANS32_DEP_1) | instskip(NEXT) | instid1(VALU_DEP_1)
	v_fma_f64 v[40:41], -v[36:37], v[38:39], 1.0
	v_fmac_f64_e32 v[38:39], v[38:39], v[40:41]
	s_delay_alu instid0(VALU_DEP_1) | instskip(NEXT) | instid1(VALU_DEP_1)
	v_fma_f64 v[40:41], -v[36:37], v[38:39], 1.0
	v_fmac_f64_e32 v[38:39], v[38:39], v[40:41]
	s_delay_alu instid0(VALU_DEP_1) | instskip(NEXT) | instid1(VALU_DEP_1)
	v_mul_f64_e32 v[40:41], v[42:43], v[38:39]
	v_fma_f64 v[36:37], -v[36:37], v[40:41], v[42:43]
	s_delay_alu instid0(VALU_DEP_1) | instskip(SKIP_1) | instid1(VALU_DEP_2)
	v_div_fmas_f64 v[36:37], v[36:37], v[38:39], v[40:41]
	v_cmp_gt_f64_e64 vcc_lo, |v[32:33]|, 1.0
	v_div_fixup_f64 v[36:37], v[36:37], |v[32:33]|, 1.0
	s_delay_alu instid0(VALU_DEP_1) | instskip(NEXT) | instid1(VALU_DEP_1)
	v_dual_cndmask_b32 v35, v35, v37 :: v_dual_cndmask_b32 v34, v32, v36
	v_mul_f64_e32 v[36:37], v[34:35], v[34:35]
	s_delay_alu instid0(VALU_DEP_1) | instskip(NEXT) | instid1(VALU_DEP_1)
	v_fmamk_f64 v[38:39], v[36:37], 0x3eeba404b5e68a13, v[6:7]
	v_fmaak_f64 v[38:39], v[36:37], v[38:39], 0x3f4b2bb069efb384
	s_delay_alu instid0(VALU_DEP_1) | instskip(NEXT) | instid1(VALU_DEP_1)
	v_fmaak_f64 v[38:39], v[36:37], v[38:39], 0xbf67952daf56de9b
	v_fmaak_f64 v[38:39], v[36:37], v[38:39], 0x3f7d6d43a595c56f
	s_delay_alu instid0(VALU_DEP_1) | instskip(NEXT) | instid1(VALU_DEP_1)
	v_fmaak_f64 v[38:39], v[36:37], v[38:39], 0xbf8c6ea4a57d9582
	;; [unrolled: 3-line block ×9, first 2 shown]
	v_mul_f64_e32 v[36:37], v[36:37], v[38:39]
	v_add_nc_u64_e32 v[38:39], s[6:7], v[20:21]
	s_delay_alu instid0(VALU_DEP_2) | instskip(NEXT) | instid1(VALU_DEP_1)
	v_fmac_f64_e32 v[34:35], v[34:35], v[36:37]
	v_fma_f64 v[36:37], s[8:9], s[4:5], -v[34:35]
	s_delay_alu instid0(VALU_DEP_1) | instskip(NEXT) | instid1(VALU_DEP_1)
	v_dual_cndmask_b32 v35, v35, v37 :: v_dual_cndmask_b32 v32, v34, v36
	v_bfi_b32 v33, 0x7fffffff, v35, v33
	global_store_b64 v[38:39], v[32:33], off
	s_wait_xcnt 0x0
	s_or_b32 exec_lo, exec_lo, s2
	s_and_saveexec_b32 s1, s0
	s_cbranch_execz .LBB65_8
.LBB65_24:                              ;   in Loop: Header=BB65_9 Depth=1
	s_wait_loadcnt 0x0
	v_and_b32_e32 v33, 0x7fffffff, v31
	v_mov_b32_e32 v32, v30
	s_delay_alu instid0(VALU_DEP_1) | instskip(SKIP_1) | instid1(VALU_DEP_2)
	v_div_scale_f64 v[34:35], null, v[32:33], v[32:33], 1.0
	v_div_scale_f64 v[40:41], vcc_lo, 1.0, v[32:33], 1.0
	v_rcp_f64_e32 v[36:37], v[34:35]
	v_nop
	s_delay_alu instid0(TRANS32_DEP_1) | instskip(NEXT) | instid1(VALU_DEP_1)
	v_fma_f64 v[38:39], -v[34:35], v[36:37], 1.0
	v_fmac_f64_e32 v[36:37], v[36:37], v[38:39]
	s_delay_alu instid0(VALU_DEP_1) | instskip(NEXT) | instid1(VALU_DEP_1)
	v_fma_f64 v[38:39], -v[34:35], v[36:37], 1.0
	v_fmac_f64_e32 v[36:37], v[36:37], v[38:39]
	s_delay_alu instid0(VALU_DEP_1) | instskip(NEXT) | instid1(VALU_DEP_1)
	v_mul_f64_e32 v[38:39], v[40:41], v[36:37]
	v_fma_f64 v[34:35], -v[34:35], v[38:39], v[40:41]
	s_delay_alu instid0(VALU_DEP_1) | instskip(SKIP_1) | instid1(VALU_DEP_2)
	v_div_fmas_f64 v[34:35], v[34:35], v[36:37], v[38:39]
	v_cmp_gt_f64_e64 vcc_lo, |v[30:31]|, 1.0
	v_div_fixup_f64 v[34:35], v[34:35], |v[30:31]|, 1.0
	s_delay_alu instid0(VALU_DEP_1) | instskip(NEXT) | instid1(VALU_DEP_1)
	v_dual_cndmask_b32 v33, v33, v35 :: v_dual_cndmask_b32 v32, v30, v34
	v_mul_f64_e32 v[34:35], v[32:33], v[32:33]
	s_delay_alu instid0(VALU_DEP_1) | instskip(NEXT) | instid1(VALU_DEP_1)
	v_fmamk_f64 v[36:37], v[34:35], 0x3eeba404b5e68a13, v[6:7]
	v_fmaak_f64 v[36:37], v[34:35], v[36:37], 0x3f4b2bb069efb384
	s_delay_alu instid0(VALU_DEP_1) | instskip(NEXT) | instid1(VALU_DEP_1)
	v_fmaak_f64 v[36:37], v[34:35], v[36:37], 0xbf67952daf56de9b
	v_fmaak_f64 v[36:37], v[34:35], v[36:37], 0x3f7d6d43a595c56f
	s_delay_alu instid0(VALU_DEP_1) | instskip(NEXT) | instid1(VALU_DEP_1)
	v_fmaak_f64 v[36:37], v[34:35], v[36:37], 0xbf8c6ea4a57d9582
	v_fmaak_f64 v[36:37], v[34:35], v[36:37], 0x3f967e295f08b19f
	s_delay_alu instid0(VALU_DEP_1) | instskip(NEXT) | instid1(VALU_DEP_1)
	v_fmaak_f64 v[36:37], v[34:35], v[36:37], 0xbf9e9ae6fc27006a
	v_fmaak_f64 v[36:37], v[34:35], v[36:37], 0x3fa2c15b5711927a
	s_delay_alu instid0(VALU_DEP_1) | instskip(NEXT) | instid1(VALU_DEP_1)
	v_fmaak_f64 v[36:37], v[34:35], v[36:37], 0xbfa59976e82d3ff0
	v_fmaak_f64 v[36:37], v[34:35], v[36:37], 0x3fa82d5d6ef28734
	s_delay_alu instid0(VALU_DEP_1) | instskip(NEXT) | instid1(VALU_DEP_1)
	v_fmaak_f64 v[36:37], v[34:35], v[36:37], 0xbfaae5ce6a214619
	v_fmaak_f64 v[36:37], v[34:35], v[36:37], 0x3fae1bb48427b883
	s_delay_alu instid0(VALU_DEP_1) | instskip(NEXT) | instid1(VALU_DEP_1)
	v_fmaak_f64 v[36:37], v[34:35], v[36:37], 0xbfb110e48b207f05
	v_fmaak_f64 v[36:37], v[34:35], v[36:37], 0x3fb3b13657b87036
	s_delay_alu instid0(VALU_DEP_1) | instskip(NEXT) | instid1(VALU_DEP_1)
	v_fmaak_f64 v[36:37], v[34:35], v[36:37], 0xbfb745d119378e4f
	v_fmaak_f64 v[36:37], v[34:35], v[36:37], 0x3fbc71c717e1913c
	s_delay_alu instid0(VALU_DEP_1) | instskip(NEXT) | instid1(VALU_DEP_1)
	v_fmaak_f64 v[36:37], v[34:35], v[36:37], 0xbfc2492492376b7d
	v_fmaak_f64 v[36:37], v[34:35], v[36:37], 0x3fc99999999952cc
	s_delay_alu instid0(VALU_DEP_1) | instskip(NEXT) | instid1(VALU_DEP_1)
	v_fmaak_f64 v[36:37], v[34:35], v[36:37], 0xbfd5555555555523
	v_mul_f64_e32 v[34:35], v[34:35], v[36:37]
	v_add_nc_u64_e32 v[36:37], s[6:7], v[24:25]
	s_delay_alu instid0(VALU_DEP_2) | instskip(NEXT) | instid1(VALU_DEP_1)
	v_fmac_f64_e32 v[32:33], v[32:33], v[34:35]
	v_fma_f64 v[34:35], s[8:9], s[4:5], -v[32:33]
	s_delay_alu instid0(VALU_DEP_1) | instskip(NEXT) | instid1(VALU_DEP_1)
	v_dual_cndmask_b32 v33, v33, v35 :: v_dual_cndmask_b32 v30, v32, v34
	v_bfi_b32 v31, 0x7fffffff, v33, v31
	global_store_b64 v[36:37], v[30:31], off
	s_branch .LBB65_8
.LBB65_25:
	s_endpgm
	.section	.rodata,"a",@progbits
	.p2align	6, 0x0
	.amdhsa_kernel _ZN2at6native12_GLOBAL__N_125multi_tensor_apply_kernelINS1_18TensorListMetadataILi2EEENS1_14UnaryOpFunctorIdLi2ELi1ELi1EEEJNS0_4AtanIdEEEEEvT_T0_DpT1_
		.amdhsa_group_segment_fixed_size 0
		.amdhsa_private_segment_fixed_size 0
		.amdhsa_kernarg_size 3408
		.amdhsa_user_sgpr_count 2
		.amdhsa_user_sgpr_dispatch_ptr 0
		.amdhsa_user_sgpr_queue_ptr 0
		.amdhsa_user_sgpr_kernarg_segment_ptr 1
		.amdhsa_user_sgpr_dispatch_id 0
		.amdhsa_user_sgpr_kernarg_preload_length 0
		.amdhsa_user_sgpr_kernarg_preload_offset 0
		.amdhsa_user_sgpr_private_segment_size 0
		.amdhsa_wavefront_size32 1
		.amdhsa_uses_dynamic_stack 0
		.amdhsa_enable_private_segment 0
		.amdhsa_system_sgpr_workgroup_id_x 1
		.amdhsa_system_sgpr_workgroup_id_y 0
		.amdhsa_system_sgpr_workgroup_id_z 0
		.amdhsa_system_sgpr_workgroup_info 0
		.amdhsa_system_vgpr_workitem_id 0
		.amdhsa_next_free_vgpr 58
		.amdhsa_next_free_sgpr 24
		.amdhsa_named_barrier_count 0
		.amdhsa_reserve_vcc 1
		.amdhsa_float_round_mode_32 0
		.amdhsa_float_round_mode_16_64 0
		.amdhsa_float_denorm_mode_32 3
		.amdhsa_float_denorm_mode_16_64 3
		.amdhsa_fp16_overflow 0
		.amdhsa_memory_ordered 1
		.amdhsa_forward_progress 1
		.amdhsa_inst_pref_size 37
		.amdhsa_round_robin_scheduling 0
		.amdhsa_exception_fp_ieee_invalid_op 0
		.amdhsa_exception_fp_denorm_src 0
		.amdhsa_exception_fp_ieee_div_zero 0
		.amdhsa_exception_fp_ieee_overflow 0
		.amdhsa_exception_fp_ieee_underflow 0
		.amdhsa_exception_fp_ieee_inexact 0
		.amdhsa_exception_int_div_zero 0
	.end_amdhsa_kernel
	.section	.text._ZN2at6native12_GLOBAL__N_125multi_tensor_apply_kernelINS1_18TensorListMetadataILi2EEENS1_14UnaryOpFunctorIdLi2ELi1ELi1EEEJNS0_4AtanIdEEEEEvT_T0_DpT1_,"axG",@progbits,_ZN2at6native12_GLOBAL__N_125multi_tensor_apply_kernelINS1_18TensorListMetadataILi2EEENS1_14UnaryOpFunctorIdLi2ELi1ELi1EEEJNS0_4AtanIdEEEEEvT_T0_DpT1_,comdat
.Lfunc_end65:
	.size	_ZN2at6native12_GLOBAL__N_125multi_tensor_apply_kernelINS1_18TensorListMetadataILi2EEENS1_14UnaryOpFunctorIdLi2ELi1ELi1EEEJNS0_4AtanIdEEEEEvT_T0_DpT1_, .Lfunc_end65-_ZN2at6native12_GLOBAL__N_125multi_tensor_apply_kernelINS1_18TensorListMetadataILi2EEENS1_14UnaryOpFunctorIdLi2ELi1ELi1EEEJNS0_4AtanIdEEEEEvT_T0_DpT1_
                                        ; -- End function
	.set _ZN2at6native12_GLOBAL__N_125multi_tensor_apply_kernelINS1_18TensorListMetadataILi2EEENS1_14UnaryOpFunctorIdLi2ELi1ELi1EEEJNS0_4AtanIdEEEEEvT_T0_DpT1_.num_vgpr, 58
	.set _ZN2at6native12_GLOBAL__N_125multi_tensor_apply_kernelINS1_18TensorListMetadataILi2EEENS1_14UnaryOpFunctorIdLi2ELi1ELi1EEEJNS0_4AtanIdEEEEEvT_T0_DpT1_.num_agpr, 0
	.set _ZN2at6native12_GLOBAL__N_125multi_tensor_apply_kernelINS1_18TensorListMetadataILi2EEENS1_14UnaryOpFunctorIdLi2ELi1ELi1EEEJNS0_4AtanIdEEEEEvT_T0_DpT1_.numbered_sgpr, 24
	.set _ZN2at6native12_GLOBAL__N_125multi_tensor_apply_kernelINS1_18TensorListMetadataILi2EEENS1_14UnaryOpFunctorIdLi2ELi1ELi1EEEJNS0_4AtanIdEEEEEvT_T0_DpT1_.num_named_barrier, 0
	.set _ZN2at6native12_GLOBAL__N_125multi_tensor_apply_kernelINS1_18TensorListMetadataILi2EEENS1_14UnaryOpFunctorIdLi2ELi1ELi1EEEJNS0_4AtanIdEEEEEvT_T0_DpT1_.private_seg_size, 0
	.set _ZN2at6native12_GLOBAL__N_125multi_tensor_apply_kernelINS1_18TensorListMetadataILi2EEENS1_14UnaryOpFunctorIdLi2ELi1ELi1EEEJNS0_4AtanIdEEEEEvT_T0_DpT1_.uses_vcc, 1
	.set _ZN2at6native12_GLOBAL__N_125multi_tensor_apply_kernelINS1_18TensorListMetadataILi2EEENS1_14UnaryOpFunctorIdLi2ELi1ELi1EEEJNS0_4AtanIdEEEEEvT_T0_DpT1_.uses_flat_scratch, 0
	.set _ZN2at6native12_GLOBAL__N_125multi_tensor_apply_kernelINS1_18TensorListMetadataILi2EEENS1_14UnaryOpFunctorIdLi2ELi1ELi1EEEJNS0_4AtanIdEEEEEvT_T0_DpT1_.has_dyn_sized_stack, 0
	.set _ZN2at6native12_GLOBAL__N_125multi_tensor_apply_kernelINS1_18TensorListMetadataILi2EEENS1_14UnaryOpFunctorIdLi2ELi1ELi1EEEJNS0_4AtanIdEEEEEvT_T0_DpT1_.has_recursion, 0
	.set _ZN2at6native12_GLOBAL__N_125multi_tensor_apply_kernelINS1_18TensorListMetadataILi2EEENS1_14UnaryOpFunctorIdLi2ELi1ELi1EEEJNS0_4AtanIdEEEEEvT_T0_DpT1_.has_indirect_call, 0
	.section	.AMDGPU.csdata,"",@progbits
; Kernel info:
; codeLenInByte = 4696
; TotalNumSgprs: 26
; NumVgprs: 58
; ScratchSize: 0
; MemoryBound: 0
; FloatMode: 240
; IeeeMode: 1
; LDSByteSize: 0 bytes/workgroup (compile time only)
; SGPRBlocks: 0
; VGPRBlocks: 3
; NumSGPRsForWavesPerEU: 26
; NumVGPRsForWavesPerEU: 58
; NamedBarCnt: 0
; Occupancy: 16
; WaveLimiterHint : 0
; COMPUTE_PGM_RSRC2:SCRATCH_EN: 0
; COMPUTE_PGM_RSRC2:USER_SGPR: 2
; COMPUTE_PGM_RSRC2:TRAP_HANDLER: 0
; COMPUTE_PGM_RSRC2:TGID_X_EN: 1
; COMPUTE_PGM_RSRC2:TGID_Y_EN: 0
; COMPUTE_PGM_RSRC2:TGID_Z_EN: 0
; COMPUTE_PGM_RSRC2:TIDIG_COMP_CNT: 0
	.section	.text._ZN2at6native12_GLOBAL__N_125multi_tensor_apply_kernelINS1_18TensorListMetadataILi2EEENS1_14UnaryOpFunctorIfLi2ELi1ELi1EEEJNS0_4AtanIfEEEEEvT_T0_DpT1_,"axG",@progbits,_ZN2at6native12_GLOBAL__N_125multi_tensor_apply_kernelINS1_18TensorListMetadataILi2EEENS1_14UnaryOpFunctorIfLi2ELi1ELi1EEEJNS0_4AtanIfEEEEEvT_T0_DpT1_,comdat
	.globl	_ZN2at6native12_GLOBAL__N_125multi_tensor_apply_kernelINS1_18TensorListMetadataILi2EEENS1_14UnaryOpFunctorIfLi2ELi1ELi1EEEJNS0_4AtanIfEEEEEvT_T0_DpT1_ ; -- Begin function _ZN2at6native12_GLOBAL__N_125multi_tensor_apply_kernelINS1_18TensorListMetadataILi2EEENS1_14UnaryOpFunctorIfLi2ELi1ELi1EEEJNS0_4AtanIfEEEEEvT_T0_DpT1_
	.p2align	8
	.type	_ZN2at6native12_GLOBAL__N_125multi_tensor_apply_kernelINS1_18TensorListMetadataILi2EEENS1_14UnaryOpFunctorIfLi2ELi1ELi1EEEJNS0_4AtanIfEEEEEvT_T0_DpT1_,@function
_ZN2at6native12_GLOBAL__N_125multi_tensor_apply_kernelINS1_18TensorListMetadataILi2EEENS1_14UnaryOpFunctorIfLi2ELi1ELi1EEEJNS0_4AtanIfEEEEEvT_T0_DpT1_: ; @_ZN2at6native12_GLOBAL__N_125multi_tensor_apply_kernelINS1_18TensorListMetadataILi2EEENS1_14UnaryOpFunctorIfLi2ELi1ELi1EEEJNS0_4AtanIfEEEEEvT_T0_DpT1_
; %bb.0:
	s_bfe_u32 s2, ttmp6, 0x4000c
	s_and_b32 s3, ttmp6, 15
	s_add_co_i32 s2, s2, 1
	s_getreg_b32 s4, hwreg(HW_REG_IB_STS2, 6, 4)
	s_mul_i32 s2, ttmp9, s2
	s_delay_alu instid0(SALU_CYCLE_1)
	s_add_co_i32 s3, s3, s2
	s_cmp_eq_u32 s4, 0
	s_cselect_b32 s2, ttmp9, s3
	s_mov_b32 s3, 0
	s_load_u8 s13, s[0:1], s2 offset:0x600
	s_add_nc_u64 s[4:5], s[0:1], s[2:3]
	s_mul_u64 s[6:7], s[2:3], 3
	s_delay_alu instid0(SALU_CYCLE_1)
	s_add_nc_u64 s[4:5], s[4:5], s[6:7]
	s_load_b32 s12, s[4:5], 0x740
	s_wait_kmcnt 0x0
	s_clause 0x2
	s_load_b64 s[8:9], s[0:1], s13 offset:0x0 scale_offset
	s_load_b64 s[10:11], s[0:1], s13 offset:0x200 scale_offset
	;; [unrolled: 1-line block ×3, first 2 shown]
	s_mov_b32 s5, s3
	s_wait_xcnt 0x0
	s_ashr_i32 s13, s12, 31
	s_delay_alu instid0(SALU_CYCLE_1)
	s_lshl_b64 s[6:7], s[12:13], 18
	s_wait_kmcnt 0x0
	s_and_b64 s[18:19], s[10:11], 15
	s_add_nc_u64 s[16:17], s[8:9], s[6:7]
	s_and_b32 s4, s14, 3
	s_and_b32 s2, s16, 15
	s_or_b64 s[4:5], s[18:19], s[4:5]
	s_lshl_b64 s[12:13], s[12:13], 16
	s_or_b64 s[2:3], s[4:5], s[2:3]
	s_sub_nc_u64 s[12:13], s[14:15], s[12:13]
	s_cmp_eq_u64 s[2:3], 0
	s_mov_b32 s2, -1
	s_cbranch_scc0 .LBB66_5
; %bb.1:
	v_min_i64 v[2:3], 0x10000, s[12:13]
	v_dual_mov_b32 v5, 0 :: v_dual_lshlrev_b32 v4, 2, v0
	s_mov_b32 s5, exec_lo
	s_delay_alu instid0(VALU_DEP_1)
	v_cmpx_lt_i64_e64 v[4:5], v[2:3]
	s_cbranch_execz .LBB66_4
; %bb.2:
	s_load_b32 s2, s[0:1], 0xc5c
	v_dual_mov_b32 v1, v5 :: v_dual_lshlrev_b32 v4, 4, v0
	s_mov_b32 s15, 0
	s_add_nc_u64 s[16:17], s[8:9], 8
	s_mov_b32 s18, 0xbc7a590c
	s_delay_alu instid0(VALU_DEP_1)
	v_mov_b64_e32 v[6:7], v[0:1]
	v_add_nc_u64_e32 v[4:5], s[6:7], v[4:5]
	s_mov_b32 s20, 0x3b2d2a58
	s_mov_b32 s22, 0x3d29fb3f
	;; [unrolled: 1-line block ×10, first 2 shown]
	s_wait_kmcnt 0x0
	s_and_b32 s14, s2, 0xffff
	s_delay_alu instid0(SALU_CYCLE_1)
	s_lshl_b32 s38, s14, 4
.LBB66_3:                               ; =>This Inner Loop Header: Depth=1
	v_add_nc_u64_e32 v[8:9], s[16:17], v[4:5]
	v_add_nc_u64_e32 v[6:7], s[14:15], v[6:7]
	global_load_b128 v[8:11], v[8:9], off offset:-8
	s_wait_loadcnt 0x0
	v_rcp_f32_e64 v1, |v8|
	v_rcp_f32_e64 v12, |v9|
	;; [unrolled: 1-line block ×4, first 2 shown]
	v_cmp_gt_f32_e64 vcc_lo, |v8|, 1.0
	v_cmp_gt_f32_e64 s2, |v10|, 1.0
	v_cmp_gt_f32_e64 s3, |v11|, 1.0
	v_cmp_gt_f32_e64 s4, |v9|, 1.0
	s_delay_alu instid0(TRANS32_DEP_2) | instid1(VALU_DEP_2)
	v_cndmask_b32_e64 v15, |v11|, v14, s3
	s_delay_alu instid0(VALU_DEP_2) | instskip(SKIP_2) | instid1(VALU_DEP_2)
	v_cndmask_b32_e64 v13, |v9|, v12, s4
	v_cndmask_b32_e64 v12, |v8|, v1, vcc_lo
	v_cndmask_b32_e64 v14, |v10|, v16, s2
	v_pk_mul_f32 v[16:17], v[12:13], v[12:13]
	s_delay_alu instid0(VALU_DEP_2) | instskip(NEXT) | instid1(VALU_DEP_2)
	v_pk_mul_f32 v[18:19], v[14:15], v[14:15]
	v_pk_fma_f32 v[20:21], v[16:17], s[20:21], s[18:19] op_sel_hi:[1,0,0]
	s_delay_alu instid0(VALU_DEP_2) | instskip(NEXT) | instid1(VALU_DEP_2)
	v_pk_fma_f32 v[22:23], v[18:19], s[20:21], s[18:19] op_sel_hi:[1,0,0]
	v_pk_fma_f32 v[20:21], v[16:17], v[20:21], s[22:23] op_sel_hi:[1,1,0]
	s_delay_alu instid0(VALU_DEP_2) | instskip(NEXT) | instid1(VALU_DEP_2)
	v_pk_fma_f32 v[22:23], v[18:19], v[22:23], s[22:23] op_sel_hi:[1,1,0]
	;; [unrolled: 3-line block ×7, first 2 shown]
	v_pk_mul_f32 v[16:17], v[16:17], v[20:21]
	s_delay_alu instid0(VALU_DEP_2) | instskip(SKIP_2) | instid1(VALU_DEP_4)
	v_pk_mul_f32 v[18:19], v[18:19], v[22:23]
	v_add_nc_u64_e32 v[20:21], s[10:11], v[4:5]
	v_add_nc_u64_e32 v[4:5], s[38:39], v[4:5]
	v_pk_fma_f32 v[12:13], v[12:13], v[16:17], v[12:13]
	s_delay_alu instid0(VALU_DEP_4) | instskip(SKIP_1) | instid1(VALU_DEP_3)
	v_pk_fma_f32 v[14:15], v[14:15], v[18:19], v[14:15]
	v_lshlrev_b64_e32 v[16:17], 2, v[6:7]
	v_pk_add_f32 v[18:19], v[12:13], s[36:37] op_sel_hi:[1,0] neg_lo:[1,0] neg_hi:[1,0]
	s_delay_alu instid0(VALU_DEP_3) | instskip(NEXT) | instid1(VALU_DEP_2)
	v_pk_add_f32 v[22:23], v[14:15], s[36:37] op_sel_hi:[1,0] neg_lo:[1,0] neg_hi:[1,0]
	v_dual_cndmask_b32 v1, v13, v19, s4 :: v_dual_cndmask_b32 v12, v12, v18, vcc_lo
	s_delay_alu instid0(VALU_DEP_2) | instskip(SKIP_2) | instid1(VALU_DEP_3)
	v_dual_cndmask_b32 v13, v15, v23, s3 :: v_dual_cndmask_b32 v14, v14, v22, s2
	v_cmp_ge_i64_e32 vcc_lo, v[16:17], v[2:3]
	s_wait_xcnt 0x0
	v_bfi_b32 v9, 0x7fffffff, v1, v9
	v_bfi_b32 v8, 0x7fffffff, v12, v8
	;; [unrolled: 1-line block ×4, first 2 shown]
	s_or_b32 s19, vcc_lo, s19
	global_store_b128 v[20:21], v[8:11], off
	s_wait_xcnt 0x0
	s_and_not1_b32 exec_lo, exec_lo, s19
	s_cbranch_execnz .LBB66_3
.LBB66_4:
	s_or_b32 exec_lo, exec_lo, s5
	s_mov_b32 s2, 0
.LBB66_5:
	s_delay_alu instid0(SALU_CYCLE_1)
	s_and_not1_b32 vcc_lo, exec_lo, s2
	s_cbranch_vccnz .LBB66_25
; %bb.6:
	v_cmp_lt_i64_e64 s2, s[12:13], 1
	s_and_b32 vcc_lo, exec_lo, s2
	s_cbranch_vccnz .LBB66_25
; %bb.7:
	s_load_b32 s0, s[0:1], 0xc5c
	v_min_i64 v[2:3], 0x10000, s[12:13]
	v_min_u64 v[4:5], 0x10000, s[12:13]
	v_dual_mov_b32 v1, 0 :: v_dual_lshlrev_b32 v12, 2, v0
	s_wait_xcnt 0x0
	s_mov_b32 s1, 0
	s_delay_alu instid0(SALU_CYCLE_1) | instskip(NEXT) | instid1(VALU_DEP_1)
	s_mov_b32 s5, s1
	v_dual_mov_b32 v13, v1 :: v_dual_mov_b32 v27, v1
	s_mov_b32 s3, s1
	s_mov_b32 s13, s1
	s_delay_alu instid0(VALU_DEP_1) | instskip(SKIP_3) | instid1(SALU_CYCLE_1)
	v_add_nc_u64_e32 v[6:7], s[8:9], v[12:13]
	v_add_nc_u64_e32 v[8:9], s[10:11], v[12:13]
	s_wait_kmcnt 0x0
	s_and_b32 s0, s0, 0xffff
	v_add_nc_u64_e32 v[10:11], s[0:1], v[0:1]
	v_mad_nc_u64_u32 v[22:23], s0, 12, v[12:13]
	s_lshl_b32 s4, s0, 3
	s_lshl_b32 s2, s0, 1
	v_add_nc_u64_e32 v[18:19], s[4:5], v[12:13]
	s_mul_i32 s12, s0, 3
	v_add_nc_u64_e32 v[14:15], s[2:3], v[0:1]
	v_lshlrev_b32_e32 v26, 2, v10
	v_add_nc_u64_e32 v[12:13], s[12:13], v[0:1]
	s_lshl_b32 s4, s0, 2
	s_mov_b32 s3, 0x3b2d2a58
	v_add_nc_u64_e32 v[16:17], s[8:9], v[18:19]
	v_add_nc_u64_e32 v[18:19], s[10:11], v[18:19]
	;; [unrolled: 1-line block ×6, first 2 shown]
	s_lshl_b32 s8, s0, 4
	s_mov_b32 s9, s1
	s_mov_b64 s[10:11], 0
	s_branch .LBB66_9
.LBB66_8:                               ;   in Loop: Header=BB66_9 Depth=1
	s_wait_xcnt 0x0
	s_or_b32 exec_lo, exec_lo, s0
	s_add_nc_u64 s[10:11], s[10:11], s[4:5]
	v_add_nc_u64_e32 v[6:7], s[8:9], v[6:7]
	v_cmp_ge_i64_e32 vcc_lo, s[10:11], v[2:3]
	v_add_nc_u64_e32 v[8:9], s[8:9], v[8:9]
	v_add_nc_u64_e32 v[20:21], s[8:9], v[20:21]
	;; [unrolled: 1-line block ×7, first 2 shown]
	s_cbranch_vccnz .LBB66_25
.LBB66_9:                               ; =>This Inner Loop Header: Depth=1
	s_wait_loadcnt 0x0
	v_add_nc_u64_e32 v[28:29], s[10:11], v[0:1]
	v_mov_b32_e32 v31, 0
	s_delay_alu instid0(VALU_DEP_2)
	v_cmp_lt_u64_e64 s2, v[28:29], v[4:5]
	s_and_saveexec_b32 s0, s2
	s_cbranch_execz .LBB66_11
; %bb.10:                               ;   in Loop: Header=BB66_9 Depth=1
	v_add_nc_u64_e32 v[28:29], s[6:7], v[6:7]
	global_load_b32 v31, v[28:29], off
.LBB66_11:                              ;   in Loop: Header=BB66_9 Depth=1
	s_wait_xcnt 0x0
	s_or_b32 exec_lo, exec_lo, s0
	v_add_nc_u64_e32 v[28:29], s[10:11], v[10:11]
	v_mov_b32_e32 v30, 0
	s_delay_alu instid0(VALU_DEP_2)
	v_cmp_lt_u64_e64 s1, v[28:29], v[4:5]
	v_mov_b32_e32 v28, 0
	s_and_saveexec_b32 s0, s1
	s_cbranch_execz .LBB66_13
; %bb.12:                               ;   in Loop: Header=BB66_9 Depth=1
	v_add_nc_u64_e32 v[32:33], s[6:7], v[24:25]
	global_load_b32 v30, v[32:33], off
.LBB66_13:                              ;   in Loop: Header=BB66_9 Depth=1
	s_wait_xcnt 0x0
	s_or_b32 exec_lo, exec_lo, s0
	v_add_nc_u64_e32 v[32:33], s[10:11], v[14:15]
	s_delay_alu instid0(VALU_DEP_1)
	v_cmp_lt_u64_e64 s0, v[32:33], v[4:5]
	s_and_saveexec_b32 s12, s0
	s_cbranch_execz .LBB66_15
; %bb.14:                               ;   in Loop: Header=BB66_9 Depth=1
	v_add_nc_u64_e32 v[28:29], s[6:7], v[16:17]
	global_load_b32 v28, v[28:29], off
.LBB66_15:                              ;   in Loop: Header=BB66_9 Depth=1
	s_wait_xcnt 0x0
	s_or_b32 exec_lo, exec_lo, s12
	v_add_nc_u64_e32 v[32:33], s[10:11], v[12:13]
	v_mov_b32_e32 v29, 0
	s_delay_alu instid0(VALU_DEP_2)
	v_cmp_lt_u64_e32 vcc_lo, v[32:33], v[4:5]
	s_and_saveexec_b32 s12, vcc_lo
	s_cbranch_execnz .LBB66_20
; %bb.16:                               ;   in Loop: Header=BB66_9 Depth=1
	s_or_b32 exec_lo, exec_lo, s12
	s_and_saveexec_b32 s12, s2
	s_cbranch_execnz .LBB66_21
.LBB66_17:                              ;   in Loop: Header=BB66_9 Depth=1
	s_or_b32 exec_lo, exec_lo, s12
	s_and_saveexec_b32 s2, s1
	s_cbranch_execnz .LBB66_22
.LBB66_18:                              ;   in Loop: Header=BB66_9 Depth=1
	s_or_b32 exec_lo, exec_lo, s2
	s_and_saveexec_b32 s1, s0
	s_cbranch_execnz .LBB66_23
.LBB66_19:                              ;   in Loop: Header=BB66_9 Depth=1
	s_or_b32 exec_lo, exec_lo, s1
	s_and_saveexec_b32 s0, vcc_lo
	s_cbranch_execz .LBB66_8
	s_branch .LBB66_24
.LBB66_20:                              ;   in Loop: Header=BB66_9 Depth=1
	v_add_nc_u64_e32 v[32:33], s[6:7], v[20:21]
	global_load_b32 v29, v[32:33], off
	s_wait_xcnt 0x0
	s_or_b32 exec_lo, exec_lo, s12
	s_and_saveexec_b32 s12, s2
	s_cbranch_execz .LBB66_17
.LBB66_21:                              ;   in Loop: Header=BB66_9 Depth=1
	s_wait_loadcnt 0x0
	v_rcp_f32_e64 v32, |v31|
	v_cmp_gt_f32_e64 s2, |v31|, 1.0
	s_delay_alu instid0(TRANS32_DEP_1) | instid1(VALU_DEP_1)
	v_cndmask_b32_e64 v32, |v31|, v32, s2
	s_delay_alu instid0(VALU_DEP_1) | instskip(NEXT) | instid1(VALU_DEP_1)
	v_mul_f32_e32 v33, v32, v32
	v_fmaak_f32 v34, s3, v33, 0xbc7a590c
	s_delay_alu instid0(VALU_DEP_1) | instskip(NEXT) | instid1(VALU_DEP_1)
	v_fmaak_f32 v34, v33, v34, 0x3d29fb3f
	v_fmaak_f32 v34, v33, v34, 0xbd97d4d7
	s_delay_alu instid0(VALU_DEP_1) | instskip(NEXT) | instid1(VALU_DEP_1)
	v_fmaak_f32 v34, v33, v34, 0x3dd931b2
	v_fmaak_f32 v34, v33, v34, 0xbe1160e6
	s_delay_alu instid0(VALU_DEP_1) | instskip(NEXT) | instid1(VALU_DEP_1)
	v_fmaak_f32 v34, v33, v34, 0x3e4cb8bf
	v_fmaak_f32 v34, v33, v34, 0xbeaaaa62
	s_delay_alu instid0(VALU_DEP_1) | instskip(NEXT) | instid1(VALU_DEP_1)
	v_mul_f32_e32 v33, v33, v34
	v_fmac_f32_e32 v32, v32, v33
	s_delay_alu instid0(VALU_DEP_1) | instskip(NEXT) | instid1(VALU_DEP_1)
	v_sub_f32_e32 v33, 0x3fc90fdb, v32
	v_cndmask_b32_e64 v34, v32, v33, s2
	v_add_nc_u64_e32 v[32:33], s[6:7], v[8:9]
	s_delay_alu instid0(VALU_DEP_2)
	v_bfi_b32 v31, 0x7fffffff, v34, v31
	global_store_b32 v[32:33], v31, off
	s_wait_xcnt 0x0
	s_or_b32 exec_lo, exec_lo, s12
	s_and_saveexec_b32 s2, s1
	s_cbranch_execz .LBB66_18
.LBB66_22:                              ;   in Loop: Header=BB66_9 Depth=1
	s_wait_loadcnt 0x0
	v_rcp_f32_e64 v31, |v30|
	v_cmp_gt_f32_e64 s1, |v30|, 1.0
	s_delay_alu instid0(TRANS32_DEP_1) | instid1(VALU_DEP_1)
	v_cndmask_b32_e64 v31, |v30|, v31, s1
	s_delay_alu instid0(VALU_DEP_1) | instskip(NEXT) | instid1(VALU_DEP_1)
	v_mul_f32_e32 v32, v31, v31
	v_fmaak_f32 v33, s3, v32, 0xbc7a590c
	s_delay_alu instid0(VALU_DEP_1) | instskip(NEXT) | instid1(VALU_DEP_1)
	v_fmaak_f32 v33, v32, v33, 0x3d29fb3f
	v_fmaak_f32 v33, v32, v33, 0xbd97d4d7
	s_delay_alu instid0(VALU_DEP_1) | instskip(NEXT) | instid1(VALU_DEP_1)
	v_fmaak_f32 v33, v32, v33, 0x3dd931b2
	;; [unrolled: 3-line block ×3, first 2 shown]
	v_fmaak_f32 v33, v32, v33, 0xbeaaaa62
	s_delay_alu instid0(VALU_DEP_1) | instskip(NEXT) | instid1(VALU_DEP_1)
	v_mul_f32_e32 v32, v32, v33
	v_fmac_f32_e32 v31, v31, v32
	s_delay_alu instid0(VALU_DEP_1) | instskip(NEXT) | instid1(VALU_DEP_1)
	v_sub_f32_e32 v32, 0x3fc90fdb, v31
	v_cndmask_b32_e64 v31, v31, v32, s1
	v_add_nc_u64_e32 v[32:33], s[6:7], v[26:27]
	s_delay_alu instid0(VALU_DEP_2)
	v_bfi_b32 v30, 0x7fffffff, v31, v30
	global_store_b32 v[32:33], v30, off
	s_wait_xcnt 0x0
	s_or_b32 exec_lo, exec_lo, s2
	s_and_saveexec_b32 s1, s0
	s_cbranch_execz .LBB66_19
.LBB66_23:                              ;   in Loop: Header=BB66_9 Depth=1
	s_wait_loadcnt 0x0
	v_rcp_f32_e64 v30, |v28|
	v_cmp_gt_f32_e64 s0, |v28|, 1.0
	s_delay_alu instid0(TRANS32_DEP_1) | instid1(VALU_DEP_1)
	v_cndmask_b32_e64 v30, |v28|, v30, s0
	s_delay_alu instid0(VALU_DEP_1) | instskip(NEXT) | instid1(VALU_DEP_1)
	v_mul_f32_e32 v31, v30, v30
	v_fmaak_f32 v32, s3, v31, 0xbc7a590c
	s_delay_alu instid0(VALU_DEP_1) | instskip(NEXT) | instid1(VALU_DEP_1)
	v_fmaak_f32 v32, v31, v32, 0x3d29fb3f
	v_fmaak_f32 v32, v31, v32, 0xbd97d4d7
	s_delay_alu instid0(VALU_DEP_1) | instskip(NEXT) | instid1(VALU_DEP_1)
	v_fmaak_f32 v32, v31, v32, 0x3dd931b2
	;; [unrolled: 3-line block ×3, first 2 shown]
	v_fmaak_f32 v32, v31, v32, 0xbeaaaa62
	s_delay_alu instid0(VALU_DEP_1) | instskip(NEXT) | instid1(VALU_DEP_1)
	v_mul_f32_e32 v31, v31, v32
	v_fmac_f32_e32 v30, v30, v31
	s_delay_alu instid0(VALU_DEP_1) | instskip(NEXT) | instid1(VALU_DEP_1)
	v_sub_f32_e32 v31, 0x3fc90fdb, v30
	v_cndmask_b32_e64 v32, v30, v31, s0
	v_add_nc_u64_e32 v[30:31], s[6:7], v[18:19]
	s_delay_alu instid0(VALU_DEP_2)
	v_bfi_b32 v28, 0x7fffffff, v32, v28
	global_store_b32 v[30:31], v28, off
	s_wait_xcnt 0x0
	s_or_b32 exec_lo, exec_lo, s1
	s_and_saveexec_b32 s0, vcc_lo
	s_cbranch_execz .LBB66_8
.LBB66_24:                              ;   in Loop: Header=BB66_9 Depth=1
	s_wait_loadcnt 0x0
	v_rcp_f32_e64 v28, |v29|
	v_cmp_gt_f32_e64 vcc_lo, |v29|, 1.0
	s_delay_alu instid0(TRANS32_DEP_1) | instid1(VALU_DEP_1)
	v_cndmask_b32_e64 v28, |v29|, v28, vcc_lo
	s_delay_alu instid0(VALU_DEP_1) | instskip(NEXT) | instid1(VALU_DEP_1)
	v_mul_f32_e32 v30, v28, v28
	v_fmaak_f32 v31, s3, v30, 0xbc7a590c
	s_delay_alu instid0(VALU_DEP_1) | instskip(NEXT) | instid1(VALU_DEP_1)
	v_fmaak_f32 v31, v30, v31, 0x3d29fb3f
	v_fmaak_f32 v31, v30, v31, 0xbd97d4d7
	s_delay_alu instid0(VALU_DEP_1) | instskip(NEXT) | instid1(VALU_DEP_1)
	v_fmaak_f32 v31, v30, v31, 0x3dd931b2
	;; [unrolled: 3-line block ×3, first 2 shown]
	v_fmaak_f32 v31, v30, v31, 0xbeaaaa62
	s_delay_alu instid0(VALU_DEP_1) | instskip(NEXT) | instid1(VALU_DEP_1)
	v_mul_f32_e32 v30, v30, v31
	v_fmac_f32_e32 v28, v28, v30
	s_delay_alu instid0(VALU_DEP_1) | instskip(NEXT) | instid1(VALU_DEP_1)
	v_sub_f32_e32 v30, 0x3fc90fdb, v28
	v_cndmask_b32_e32 v28, v28, v30, vcc_lo
	v_add_nc_u64_e32 v[30:31], s[6:7], v[22:23]
	s_delay_alu instid0(VALU_DEP_2)
	v_bfi_b32 v28, 0x7fffffff, v28, v29
	global_store_b32 v[30:31], v28, off
	s_branch .LBB66_8
.LBB66_25:
	s_endpgm
	.section	.rodata,"a",@progbits
	.p2align	6, 0x0
	.amdhsa_kernel _ZN2at6native12_GLOBAL__N_125multi_tensor_apply_kernelINS1_18TensorListMetadataILi2EEENS1_14UnaryOpFunctorIfLi2ELi1ELi1EEEJNS0_4AtanIfEEEEEvT_T0_DpT1_
		.amdhsa_group_segment_fixed_size 0
		.amdhsa_private_segment_fixed_size 0
		.amdhsa_kernarg_size 3408
		.amdhsa_user_sgpr_count 2
		.amdhsa_user_sgpr_dispatch_ptr 0
		.amdhsa_user_sgpr_queue_ptr 0
		.amdhsa_user_sgpr_kernarg_segment_ptr 1
		.amdhsa_user_sgpr_dispatch_id 0
		.amdhsa_user_sgpr_kernarg_preload_length 0
		.amdhsa_user_sgpr_kernarg_preload_offset 0
		.amdhsa_user_sgpr_private_segment_size 0
		.amdhsa_wavefront_size32 1
		.amdhsa_uses_dynamic_stack 0
		.amdhsa_enable_private_segment 0
		.amdhsa_system_sgpr_workgroup_id_x 1
		.amdhsa_system_sgpr_workgroup_id_y 0
		.amdhsa_system_sgpr_workgroup_id_z 0
		.amdhsa_system_sgpr_workgroup_info 0
		.amdhsa_system_vgpr_workitem_id 0
		.amdhsa_next_free_vgpr 35
		.amdhsa_next_free_sgpr 40
		.amdhsa_named_barrier_count 0
		.amdhsa_reserve_vcc 1
		.amdhsa_float_round_mode_32 0
		.amdhsa_float_round_mode_16_64 0
		.amdhsa_float_denorm_mode_32 3
		.amdhsa_float_denorm_mode_16_64 3
		.amdhsa_fp16_overflow 0
		.amdhsa_memory_ordered 1
		.amdhsa_forward_progress 1
		.amdhsa_inst_pref_size 17
		.amdhsa_round_robin_scheduling 0
		.amdhsa_exception_fp_ieee_invalid_op 0
		.amdhsa_exception_fp_denorm_src 0
		.amdhsa_exception_fp_ieee_div_zero 0
		.amdhsa_exception_fp_ieee_overflow 0
		.amdhsa_exception_fp_ieee_underflow 0
		.amdhsa_exception_fp_ieee_inexact 0
		.amdhsa_exception_int_div_zero 0
	.end_amdhsa_kernel
	.section	.text._ZN2at6native12_GLOBAL__N_125multi_tensor_apply_kernelINS1_18TensorListMetadataILi2EEENS1_14UnaryOpFunctorIfLi2ELi1ELi1EEEJNS0_4AtanIfEEEEEvT_T0_DpT1_,"axG",@progbits,_ZN2at6native12_GLOBAL__N_125multi_tensor_apply_kernelINS1_18TensorListMetadataILi2EEENS1_14UnaryOpFunctorIfLi2ELi1ELi1EEEJNS0_4AtanIfEEEEEvT_T0_DpT1_,comdat
.Lfunc_end66:
	.size	_ZN2at6native12_GLOBAL__N_125multi_tensor_apply_kernelINS1_18TensorListMetadataILi2EEENS1_14UnaryOpFunctorIfLi2ELi1ELi1EEEJNS0_4AtanIfEEEEEvT_T0_DpT1_, .Lfunc_end66-_ZN2at6native12_GLOBAL__N_125multi_tensor_apply_kernelINS1_18TensorListMetadataILi2EEENS1_14UnaryOpFunctorIfLi2ELi1ELi1EEEJNS0_4AtanIfEEEEEvT_T0_DpT1_
                                        ; -- End function
	.set _ZN2at6native12_GLOBAL__N_125multi_tensor_apply_kernelINS1_18TensorListMetadataILi2EEENS1_14UnaryOpFunctorIfLi2ELi1ELi1EEEJNS0_4AtanIfEEEEEvT_T0_DpT1_.num_vgpr, 35
	.set _ZN2at6native12_GLOBAL__N_125multi_tensor_apply_kernelINS1_18TensorListMetadataILi2EEENS1_14UnaryOpFunctorIfLi2ELi1ELi1EEEJNS0_4AtanIfEEEEEvT_T0_DpT1_.num_agpr, 0
	.set _ZN2at6native12_GLOBAL__N_125multi_tensor_apply_kernelINS1_18TensorListMetadataILi2EEENS1_14UnaryOpFunctorIfLi2ELi1ELi1EEEJNS0_4AtanIfEEEEEvT_T0_DpT1_.numbered_sgpr, 40
	.set _ZN2at6native12_GLOBAL__N_125multi_tensor_apply_kernelINS1_18TensorListMetadataILi2EEENS1_14UnaryOpFunctorIfLi2ELi1ELi1EEEJNS0_4AtanIfEEEEEvT_T0_DpT1_.num_named_barrier, 0
	.set _ZN2at6native12_GLOBAL__N_125multi_tensor_apply_kernelINS1_18TensorListMetadataILi2EEENS1_14UnaryOpFunctorIfLi2ELi1ELi1EEEJNS0_4AtanIfEEEEEvT_T0_DpT1_.private_seg_size, 0
	.set _ZN2at6native12_GLOBAL__N_125multi_tensor_apply_kernelINS1_18TensorListMetadataILi2EEENS1_14UnaryOpFunctorIfLi2ELi1ELi1EEEJNS0_4AtanIfEEEEEvT_T0_DpT1_.uses_vcc, 1
	.set _ZN2at6native12_GLOBAL__N_125multi_tensor_apply_kernelINS1_18TensorListMetadataILi2EEENS1_14UnaryOpFunctorIfLi2ELi1ELi1EEEJNS0_4AtanIfEEEEEvT_T0_DpT1_.uses_flat_scratch, 0
	.set _ZN2at6native12_GLOBAL__N_125multi_tensor_apply_kernelINS1_18TensorListMetadataILi2EEENS1_14UnaryOpFunctorIfLi2ELi1ELi1EEEJNS0_4AtanIfEEEEEvT_T0_DpT1_.has_dyn_sized_stack, 0
	.set _ZN2at6native12_GLOBAL__N_125multi_tensor_apply_kernelINS1_18TensorListMetadataILi2EEENS1_14UnaryOpFunctorIfLi2ELi1ELi1EEEJNS0_4AtanIfEEEEEvT_T0_DpT1_.has_recursion, 0
	.set _ZN2at6native12_GLOBAL__N_125multi_tensor_apply_kernelINS1_18TensorListMetadataILi2EEENS1_14UnaryOpFunctorIfLi2ELi1ELi1EEEJNS0_4AtanIfEEEEEvT_T0_DpT1_.has_indirect_call, 0
	.section	.AMDGPU.csdata,"",@progbits
; Kernel info:
; codeLenInByte = 2112
; TotalNumSgprs: 42
; NumVgprs: 35
; ScratchSize: 0
; MemoryBound: 0
; FloatMode: 240
; IeeeMode: 1
; LDSByteSize: 0 bytes/workgroup (compile time only)
; SGPRBlocks: 0
; VGPRBlocks: 2
; NumSGPRsForWavesPerEU: 42
; NumVGPRsForWavesPerEU: 35
; NamedBarCnt: 0
; Occupancy: 16
; WaveLimiterHint : 0
; COMPUTE_PGM_RSRC2:SCRATCH_EN: 0
; COMPUTE_PGM_RSRC2:USER_SGPR: 2
; COMPUTE_PGM_RSRC2:TRAP_HANDLER: 0
; COMPUTE_PGM_RSRC2:TGID_X_EN: 1
; COMPUTE_PGM_RSRC2:TGID_Y_EN: 0
; COMPUTE_PGM_RSRC2:TGID_Z_EN: 0
; COMPUTE_PGM_RSRC2:TIDIG_COMP_CNT: 0
	.section	.text._ZN2at6native12_GLOBAL__N_125multi_tensor_apply_kernelINS1_18TensorListMetadataILi2EEENS1_14UnaryOpFunctorIN3c107complexIdEELi2ELi1ELi1EEEJNS0_4AtanIS8_EEEEEvT_T0_DpT1_,"axG",@progbits,_ZN2at6native12_GLOBAL__N_125multi_tensor_apply_kernelINS1_18TensorListMetadataILi2EEENS1_14UnaryOpFunctorIN3c107complexIdEELi2ELi1ELi1EEEJNS0_4AtanIS8_EEEEEvT_T0_DpT1_,comdat
	.globl	_ZN2at6native12_GLOBAL__N_125multi_tensor_apply_kernelINS1_18TensorListMetadataILi2EEENS1_14UnaryOpFunctorIN3c107complexIdEELi2ELi1ELi1EEEJNS0_4AtanIS8_EEEEEvT_T0_DpT1_ ; -- Begin function _ZN2at6native12_GLOBAL__N_125multi_tensor_apply_kernelINS1_18TensorListMetadataILi2EEENS1_14UnaryOpFunctorIN3c107complexIdEELi2ELi1ELi1EEEJNS0_4AtanIS8_EEEEEvT_T0_DpT1_
	.p2align	8
	.type	_ZN2at6native12_GLOBAL__N_125multi_tensor_apply_kernelINS1_18TensorListMetadataILi2EEENS1_14UnaryOpFunctorIN3c107complexIdEELi2ELi1ELi1EEEJNS0_4AtanIS8_EEEEEvT_T0_DpT1_,@function
_ZN2at6native12_GLOBAL__N_125multi_tensor_apply_kernelINS1_18TensorListMetadataILi2EEENS1_14UnaryOpFunctorIN3c107complexIdEELi2ELi1ELi1EEEJNS0_4AtanIS8_EEEEEvT_T0_DpT1_: ; @_ZN2at6native12_GLOBAL__N_125multi_tensor_apply_kernelINS1_18TensorListMetadataILi2EEENS1_14UnaryOpFunctorIN3c107complexIdEELi2ELi1ELi1EEEJNS0_4AtanIS8_EEEEEvT_T0_DpT1_
; %bb.0:
	s_bfe_u32 s2, ttmp6, 0x4000c
	s_and_b32 s3, ttmp6, 15
	s_add_co_i32 s2, s2, 1
	s_getreg_b32 s4, hwreg(HW_REG_IB_STS2, 6, 4)
	s_mul_i32 s2, ttmp9, s2
	s_delay_alu instid0(SALU_CYCLE_1)
	s_add_co_i32 s3, s3, s2
	s_cmp_eq_u32 s4, 0
	s_cselect_b32 s2, ttmp9, s3
	s_mov_b32 s3, 0
	s_load_u8 s14, s[0:1], s2 offset:0x600
	s_add_nc_u64 s[4:5], s[0:1], s[2:3]
	s_mul_u64 s[6:7], s[2:3], 3
	s_delay_alu instid0(SALU_CYCLE_1)
	s_add_nc_u64 s[4:5], s[4:5], s[6:7]
	s_load_b32 s6, s[4:5], 0x740
	s_wait_kmcnt 0x0
	s_clause 0x2
	s_load_b64 s[8:9], s[0:1], s14 offset:0x0 scale_offset
	s_load_b64 s[10:11], s[0:1], s14 offset:0x200 scale_offset
	;; [unrolled: 1-line block ×3, first 2 shown]
	s_ashr_i32 s7, s6, 31
	s_delay_alu instid0(SALU_CYCLE_1)
	s_lshl_b64 s[4:5], s[6:7], 20
	s_lshl_b64 s[6:7], s[6:7], 16
	s_wait_kmcnt 0x0
	s_add_nc_u64 s[20:21], s[10:11], s[4:5]
	s_add_nc_u64 s[18:19], s[8:9], s[4:5]
	s_and_b32 s4, s12, 3
	s_and_b64 s[8:9], s[20:21], 63
	s_mov_b32 s5, s3
	s_and_b32 s2, s18, 63
	s_or_b64 s[4:5], s[8:9], s[4:5]
	s_sub_nc_u64 s[22:23], s[12:13], s[6:7]
	s_or_b64 s[2:3], s[4:5], s[2:3]
	s_delay_alu instid0(SALU_CYCLE_1)
	s_cmp_eq_u64 s[2:3], 0
	s_mov_b32 s2, -1
	s_cbranch_scc0 .LBB67_5
; %bb.1:
	v_min_i64 v[18:19], 0x10000, s[22:23]
	v_dual_mov_b32 v21, 0 :: v_dual_lshlrev_b32 v20, 2, v0
	s_mov_b32 s17, exec_lo
	s_delay_alu instid0(VALU_DEP_1)
	v_cmpx_lt_i64_e64 v[20:21], v[18:19]
	s_cbranch_execz .LBB67_4
; %bb.2:
	s_load_b32 s2, s[0:1], 0xc5c
	v_dual_mov_b32 v1, v21 :: v_dual_lshlrev_b32 v20, 6, v0
	v_mov_b64_e32 v[22:23], 0x3fc385386b47b09a
	v_mov_b64_e32 v[24:25], 0xbf23e260bd3237f4
	v_mov_b32_e32 v108, 0x7f3321d2
	s_delay_alu instid0(VALU_DEP_4)
	v_mov_b64_e32 v[26:27], v[0:1]
	v_mov_b32_e32 v109, 0x4002d97c
	s_mov_b32 s25, 0
	s_mov_b64 s[26:27], 0x3fe5555555555555
	s_mov_b64 s[28:29], 0x3fe62e42fefa39ef
	;; [unrolled: 1-line block ×5, first 2 shown]
	s_mov_b32 s39, s25
	s_mov_b32 s33, s25
	s_mov_b64 s[40:41], s[20:21]
                                        ; implicit-def: $vgpr2_vgpr3
                                        ; implicit-def: $vgpr2_vgpr3
	;; [unrolled: 1-line block ×23, first 2 shown]
	s_wait_kmcnt 0x0
	s_and_b32 s24, s2, 0xffff
	s_delay_alu instid0(SALU_CYCLE_1)
	s_lshl_b32 s38, s24, 6
.LBB67_3:                               ; =>This Inner Loop Header: Depth=1
	v_add_nc_u64_e32 v[28:29], s[36:37], v[20:21]
	v_add_nc_u64_e32 v[26:27], s[24:25], v[26:27]
	s_add_nc_u64 s[36:37], s[36:37], s[38:39]
	s_clause 0x3
	global_load_b128 v[10:13], v[28:29], off
	global_load_b128 v[6:9], v[28:29], off offset:16
	global_load_b128 v[2:5], v[28:29], off offset:32
	;; [unrolled: 1-line block ×3, first 2 shown]
	s_wait_loadcnt 0x3
	v_fma_f64 v[34:35], v[10:11], 0, -v[12:13]
	s_wait_loadcnt 0x2
	v_fma_f64 v[30:31], v[6:7], 0, -v[8:9]
	s_wait_loadcnt 0x1
	s_wait_xcnt 0x0
	v_fma_f64 v[28:29], v[2:3], 0, -v[4:5]
	s_wait_loadcnt 0x0
	v_fma_f64 v[36:37], v[14:15], 0, -v[16:17]
	v_fmac_f64_e32 v[10:11], 0, v[12:13]
	v_fmac_f64_e32 v[6:7], 0, v[8:9]
	;; [unrolled: 1-line block ×4, first 2 shown]
	v_fma_f64 v[38:39], -v[34:35], v[34:35], 1.0
	v_fma_f64 v[40:41], -v[30:31], v[30:31], 1.0
	;; [unrolled: 1-line block ×4, first 2 shown]
	v_add_f64_e32 v[46:47], 1.0, v[34:35]
	v_add_f64_e64 v[48:49], -v[34:35], 1.0
	v_mul_f64_e32 v[34:35], v[6:7], v[6:7]
	v_add_f64_e32 v[58:59], 1.0, v[36:37]
	v_add_f64_e64 v[60:61], -v[36:37], 1.0
	v_add_f64_e32 v[12:13], v[10:11], v[10:11]
	v_add_f64_e32 v[4:5], v[6:7], v[6:7]
	v_add_f64_e32 v[50:51], 1.0, v[30:31]
	v_add_f64_e64 v[52:53], -v[30:31], 1.0
	v_add_f64_e32 v[8:9], v[2:3], v[2:3]
	v_add_f64_e64 v[56:57], -v[28:29], 1.0
	v_fma_f64 v[36:37], -v[10:11], v[10:11], v[38:39]
	v_mul_f64_e32 v[32:33], v[10:11], v[10:11]
	v_fma_f64 v[10:11], -v[6:7], v[6:7], v[40:41]
	v_fma_f64 v[6:7], -v[2:3], v[2:3], v[42:43]
	v_add_f64_e32 v[54:55], 1.0, v[28:29]
	v_fma_f64 v[40:41], v[50:51], v[50:51], v[34:35]
	v_add_f64_e32 v[16:17], v[14:15], v[14:15]
	v_fmac_f64_e32 v[34:35], v[52:53], v[52:53]
	v_max_num_f64_e64 v[76:77], |v[36:37]|, |v[12:13]|
	v_min_num_f64_e64 v[106:107], |v[36:37]|, |v[12:13]|
	v_max_num_f64_e64 v[78:79], |v[10:11]|, |v[4:5]|
	v_cmp_gt_i32_e64 s3, 0, v7
	v_mul_f64_e32 v[30:31], v[2:3], v[2:3]
	v_fma_f64 v[2:3], -v[14:15], v[14:15], v[44:45]
	v_mul_f64_e32 v[28:29], v[14:15], v[14:15]
	v_ashrrev_i32_e32 v62, 31, v7
	v_min_num_f64_e64 v[104:105], |v[10:11]|, |v[4:5]|
	v_max_num_f64_e64 v[80:81], |v[6:7]|, |v[8:9]|
	v_min_num_f64_e64 v[102:103], |v[6:7]|, |v[8:9]|
	v_frexp_exp_i32_f64_e32 v72, v[40:41]
	v_and_b32_e32 v122, 0x54442d18, v62
	v_and_b32_e32 v117, 0x400921fb, v62
	v_frexp_mant_f64_e32 v[50:51], v[34:35]
	v_frexp_exp_i32_f64_e32 v73, v[34:35]
	v_cndmask_b32_e64 v114, 0x3fe921fb, v109, s3
	v_cndmask_b32_e64 v110, 0x54442d18, v108, s3
	v_div_scale_f64 v[64:65], s12, v[106:107], v[76:77], v[106:107]
	v_cmp_gt_i32_e64 s2, 0, v3
	v_max_num_f64_e64 v[82:83], |v[2:3]|, |v[16:17]|
	v_min_num_f64_e64 v[100:101], |v[2:3]|, |v[16:17]|
	v_div_scale_f64 v[66:67], s14, v[104:105], v[78:79], v[104:105]
	s_delay_alu instid0(VALU_DEP_4)
	v_cndmask_b32_e64 v1, 0x54442d18, v108, s2
	v_fma_f64 v[14:15], v[58:59], v[58:59], v[28:29]
	v_fmac_f64_e32 v[28:29], v[60:61], v[60:61]
	v_dual_ashrrev_i32 v60, 31, v37 :: v_dual_ashrrev_i32 v61, 31, v11
	v_fma_f64 v[38:39], v[54:55], v[54:55], v[30:31]
	v_fmac_f64_e32 v[30:31], v[56:57], v[56:57]
	v_fma_f64 v[42:43], v[46:47], v[46:47], v[32:33]
	s_delay_alu instid0(VALU_DEP_4)
	v_and_b32_e32 v124, 0x54442d18, v60
	v_and_b32_e32 v123, 0x54442d18, v61
	;; [unrolled: 1-line block ×4, first 2 shown]
	v_div_scale_f64 v[60:61], null, v[76:77], v[76:77], v[106:107]
	v_fmac_f64_e32 v[32:33], v[48:49], v[48:49]
	v_frexp_mant_f64_e32 v[48:49], v[40:41]
	v_cmp_gt_f64_e64 s8, s[26:27], v[50:51]
	v_div_scale_f64 v[126:127], null, v[80:81], v[80:81], v[102:103]
	v_div_scale_f64 v[130:131], s15, v[102:103], v[80:81], v[102:103]
	v_cndmask_b32_e64 v113, 0x3fe921fb, v109, s2
	v_div_scale_f64 v[128:129], null, v[82:83], v[82:83], v[100:101]
	v_div_scale_f64 v[132:133], s16, v[100:101], v[82:83], v[100:101]
	v_frexp_mant_f64_e32 v[56:57], v[14:15]
	v_frexp_mant_f64_e32 v[58:59], v[28:29]
	v_frexp_exp_i32_f64_e32 v84, v[14:15]
	v_frexp_exp_i32_f64_e32 v85, v[28:29]
	v_frexp_mant_f64_e32 v[52:53], v[38:39]
	v_frexp_mant_f64_e32 v[54:55], v[30:31]
	v_frexp_mant_f64_e32 v[44:45], v[42:43]
	v_frexp_exp_i32_f64_e32 v70, v[42:43]
	v_frexp_exp_i32_f64_e32 v74, v[38:39]
	;; [unrolled: 1-line block ×3, first 2 shown]
	v_frexp_mant_f64_e32 v[46:47], v[32:33]
	v_cmp_gt_f64_e64 s7, s[26:27], v[48:49]
	v_frexp_exp_i32_f64_e32 v71, v[32:33]
	v_cndmask_b32_e64 v87, 0, 1, s8
	v_rcp_f64_e32 v[136:137], v[126:127]
	s_delay_alu instid0(VALU_DEP_1)
	v_ldexp_f64 v[50:51], v[50:51], v87
	v_rcp_f64_e32 v[138:139], v[128:129]
	v_cmp_gt_f64_e64 s11, s[26:27], v[56:57]
	v_cmp_gt_f64_e64 s13, s[26:27], v[58:59]
	;; [unrolled: 1-line block ×4, first 2 shown]
	v_cmp_gt_f64_e32 vcc_lo, s[26:27], v[44:45]
	v_cmp_gt_f64_e64 s6, s[26:27], v[46:47]
	v_cndmask_b32_e64 v86, 0, 1, s7
	v_subrev_co_ci_u32_e64 v87, null, 0, v72, s7
	v_cmp_lt_f64_e64 s7, |v[6:7]|, |v[8:9]|
	s_delay_alu instid0(VALU_DEP_3) | instskip(SKIP_4) | instid1(VALU_DEP_3)
	v_ldexp_f64 v[48:49], v[48:49], v86
	v_add_f64_e32 v[172:173], -1.0, v[50:51]
	v_subrev_co_ci_u32_e64 v84, null, 0, v84, s11
	v_cndmask_b32_e64 v91, 0, 1, s13
	v_subrev_co_ci_u32_e64 v85, null, 0, v85, s13
	v_cvt_f64_i32_e32 v[146:147], v84
	v_cndmask_b32_e64 v68, 0, 1, vcc_lo
	s_delay_alu instid0(VALU_DEP_4)
	v_ldexp_f64 v[134:135], v[58:59], v91
	v_rcp_f64_e32 v[58:59], v[60:61]
	v_cvt_f64_i32_e32 v[158:159], v85
	v_subrev_co_ci_u32_e64 v70, null, 0, v70, vcc_lo
	v_ldexp_f64 v[44:45], v[44:45], v68
	v_ashrrev_i32_e32 v63, 31, v3
	v_cndmask_b32_e64 v69, 0, 1, s6
	s_mov_b32 vcc_lo, s12
	v_cndmask_b32_e64 v89, 0, 1, s10
	v_cndmask_b32_e64 v88, 0, 1, s9
	;; [unrolled: 1-line block ×3, first 2 shown]
	v_ldexp_f64 v[46:47], v[46:47], v69
	v_subrev_co_ci_u32_e64 v86, null, 0, v71, s6
	v_ldexp_f64 v[54:55], v[54:55], v89
	v_subrev_co_ci_u32_e64 v89, null, 0, v74, s9
	v_cmp_class_f64_e64 s9, v[38:39], 0x204
	v_ldexp_f64 v[52:53], v[52:53], v88
	v_subrev_co_ci_u32_e64 v88, null, 0, v73, s8
	v_ldexp_f64 v[56:57], v[56:57], v90
	v_subrev_co_ci_u32_e64 v90, null, 0, v75, s10
	v_cvt_f64_i32_e32 v[72:73], v86
	v_cvt_f64_i32_e32 v[74:75], v87
	;; [unrolled: 1-line block ×4, first 2 shown]
	v_add_f64_e32 v[152:153], 1.0, v[48:49]
	v_cvt_f64_i32_e32 v[144:145], v90
	v_cmp_lt_f64_e64 s8, |v[2:3]|, |v[16:17]|
	v_add_f64_e32 v[154:155], 1.0, v[50:51]
	v_cmp_class_f64_e64 s12, v[28:29], 0x204
	v_cmp_class_f64_e64 s10, v[30:31], 0x204
	v_add_f64_e32 v[164:165], 1.0, v[134:135]
	v_cvt_f64_i32_e32 v[70:71], v70
	v_add_f64_e32 v[148:149], 1.0, v[44:45]
	v_and_b32_e32 v121, 0x54442d18, v63
	s_delay_alu instid0(TRANS32_DEP_1)
	v_fma_f64 v[84:85], -v[60:61], v[58:59], 1.0
	v_and_b32_e32 v118, 0x400921fb, v63
	v_div_scale_f64 v[62:63], null, v[78:79], v[78:79], v[104:105]
	v_add_f64_e32 v[166:167], -1.0, v[44:45]
	v_add_f64_e32 v[150:151], 1.0, v[46:47]
	v_add_f64_e32 v[168:169], -1.0, v[46:47]
	v_cmp_eq_f64_e64 s13, 0, v[16:17]
	v_add_f64_e32 v[160:161], 1.0, v[54:55]
	v_add_f64_e32 v[170:171], -1.0, v[48:49]
	v_cmp_class_f64_e64 s11, v[14:15], 0x204
	v_add_f64_e32 v[176:177], -1.0, v[54:55]
	v_add_f64_e32 v[156:157], 1.0, v[52:53]
	v_add_f64_e32 v[174:175], -1.0, v[52:53]
	v_mul_f64_e32 v[192:193], 0x3fe62e42fefa39ef, v[146:147]
	v_add_f64_e32 v[162:163], 1.0, v[56:57]
	v_add_f64_e32 v[178:179], -1.0, v[56:57]
	v_mul_f64_e32 v[196:197], 0x3fe62e42fefa39ef, v[158:159]
	v_mul_f64_e32 v[182:183], 0x3fe62e42fefa39ef, v[72:73]
	;; [unrolled: 1-line block ×5, first 2 shown]
	v_add_f64_e32 v[92:93], -1.0, v[152:153]
	v_mul_f64_e32 v[190:191], 0x3fe62e42fefa39ef, v[144:145]
	v_add_f64_e32 v[94:95], -1.0, v[154:155]
	v_rcp_f64_e32 v[98:99], v[164:165]
	v_mul_f64_e32 v[180:181], 0x3fe62e42fefa39ef, v[70:71]
	v_add_f64_e32 v[88:89], -1.0, v[148:149]
	v_fmac_f64_e32 v[58:59], v[58:59], v[84:85]
	v_rcp_f64_e32 v[68:69], v[62:63]
	v_rcp_f64_e32 v[86:87], v[150:151]
	v_add_f64_e32 v[90:91], -1.0, v[150:151]
	v_add_f64_e32 v[96:97], -1.0, v[156:157]
	v_add_f64_e64 v[204:205], v[48:49], -v[92:93]
	v_rcp_f64_e32 v[92:93], v[156:157]
	v_fma_f64 v[48:49], v[74:75], s[28:29], -v[184:185]
	v_add_f64_e64 v[206:207], v[50:51], -v[94:95]
	v_rcp_f64_e32 v[94:95], v[160:161]
	v_fma_f64 v[50:51], v[140:141], s[28:29], -v[186:187]
	v_add_f64_e64 v[200:201], v[44:45], -v[88:89]
	v_rcp_f64_e32 v[88:89], v[152:153]
	v_fma_f64 v[84:85], -v[60:61], v[58:59], 1.0
	v_fma_f64 v[44:45], -v[126:127], v[136:137], 1.0
	v_add_f64_e64 v[202:203], v[46:47], -v[90:91]
	v_rcp_f64_e32 v[90:91], v[154:155]
	v_fma_f64 v[46:47], v[72:73], s[28:29], -v[182:183]
	v_add_f64_e64 v[208:209], v[52:53], -v[96:97]
	v_rcp_f64_e32 v[96:97], v[162:163]
	v_fma_f64 v[52:53], v[142:143], s[28:29], -v[188:189]
	v_fmac_f64_e32 v[48:49], 0x3c7abc9e3b39803f, v[74:75]
	v_fmac_f64_e32 v[50:51], 0x3c7abc9e3b39803f, v[140:141]
	;; [unrolled: 1-line block ×4, first 2 shown]
	v_fma_f64 v[44:45], -v[128:129], v[138:139], 1.0
	v_fmac_f64_e32 v[46:47], 0x3c7abc9e3b39803f, v[72:73]
	v_fmac_f64_e32 v[52:53], 0x3c7abc9e3b39803f, v[142:143]
	v_mul_f64_e32 v[84:85], v[64:65], v[58:59]
	s_delay_alu instid0(VALU_DEP_4) | instskip(SKIP_1) | instid1(VALU_DEP_3)
	v_fmac_f64_e32 v[138:139], v[138:139], v[44:45]
	v_fma_f64 v[44:45], v[70:71], s[28:29], -v[180:181]
	v_fma_f64 v[60:61], -v[60:61], v[84:85], v[64:65]
	v_add_f64_e32 v[64:65], -1.0, v[160:161]
	s_delay_alu instid0(VALU_DEP_3) | instskip(NEXT) | instid1(VALU_DEP_3)
	v_fmac_f64_e32 v[44:45], 0x3c7abc9e3b39803f, v[70:71]
	v_div_fmas_f64 v[194:195], v[60:61], v[58:59], v[84:85]
	v_fma_f64 v[60:61], -v[62:63], v[68:69], 1.0
	v_rcp_f64_e32 v[84:85], v[148:149]
	s_mov_b32 vcc_lo, s14
	s_delay_alu instid0(VALU_DEP_4) | instskip(SKIP_4) | instid1(VALU_DEP_4)
	v_add_f64_e64 v[210:211], v[54:55], -v[64:65]
	v_fma_f64 v[54:55], v[144:145], s[28:29], -v[190:191]
	v_add_f64_e32 v[58:59], -1.0, v[162:163]
	v_div_fixup_f64 v[76:77], v[194:195], v[76:77], v[106:107]
	v_fmac_f64_e32 v[68:69], v[68:69], v[60:61]
	v_fmac_f64_e32 v[54:55], 0x3c7abc9e3b39803f, v[144:145]
	s_delay_alu instid0(VALU_DEP_4) | instskip(SKIP_3) | instid1(VALU_DEP_3)
	v_add_f64_e64 v[212:213], v[56:57], -v[58:59]
	v_fma_f64 v[56:57], v[146:147], s[28:29], -v[192:193]
	v_fma_f64 v[58:59], v[158:159], s[28:29], -v[196:197]
	v_fma_f64 v[60:61], -v[62:63], v[68:69], 1.0
	v_fmac_f64_e32 v[56:57], 0x3c7abc9e3b39803f, v[146:147]
	s_delay_alu instid0(VALU_DEP_3) | instskip(NEXT) | instid1(VALU_DEP_3)
	v_fmac_f64_e32 v[58:59], 0x3c7abc9e3b39803f, v[158:159]
	v_fmac_f64_e32 v[68:69], v[68:69], v[60:61]
	s_delay_alu instid0(VALU_DEP_1) | instskip(NEXT) | instid1(VALU_DEP_1)
	v_mul_f64_e32 v[60:61], v[66:67], v[68:69]
	v_fma_f64 v[62:63], -v[62:63], v[60:61], v[66:67]
	s_delay_alu instid0(VALU_DEP_1) | instskip(NEXT) | instid1(TRANS32_DEP_1)
	v_div_fmas_f64 v[198:199], v[62:63], v[68:69], v[60:61]
	v_fma_f64 v[60:61], -v[148:149], v[84:85], 1.0
	s_mov_b32 vcc_lo, s15
	s_delay_alu instid0(VALU_DEP_2) | instskip(NEXT) | instid1(VALU_DEP_2)
	v_div_fixup_f64 v[78:79], v[198:199], v[78:79], v[104:105]
	v_fmac_f64_e32 v[84:85], v[60:61], v[84:85]
	v_fma_f64 v[60:61], -v[150:151], v[86:87], 1.0
	s_delay_alu instid0(VALU_DEP_1) | instskip(SKIP_1) | instid1(VALU_DEP_1)
	v_fmac_f64_e32 v[86:87], v[60:61], v[86:87]
	v_fma_f64 v[60:61], -v[152:153], v[88:89], 1.0
	v_fmac_f64_e32 v[88:89], v[60:61], v[88:89]
	v_fma_f64 v[60:61], -v[154:155], v[90:91], 1.0
	s_delay_alu instid0(VALU_DEP_1) | instskip(SKIP_1) | instid1(VALU_DEP_1)
	v_fmac_f64_e32 v[90:91], v[60:61], v[90:91]
	v_fma_f64 v[60:61], -v[156:157], v[92:93], 1.0
	;; [unrolled: 5-line block ×7, first 2 shown]
	v_fmac_f64_e32 v[92:93], v[60:61], v[92:93]
	v_fma_f64 v[60:61], -v[160:161], v[94:95], 1.0
	s_delay_alu instid0(VALU_DEP_2) | instskip(NEXT) | instid1(VALU_DEP_2)
	v_mul_f64_e32 v[106:107], v[174:175], v[92:93]
	v_fmac_f64_e32 v[94:95], v[60:61], v[94:95]
	v_fma_f64 v[60:61], -v[162:163], v[96:97], 1.0
	s_delay_alu instid0(VALU_DEP_2) | instskip(NEXT) | instid1(VALU_DEP_2)
	v_mul_f64_e32 v[142:143], v[176:177], v[94:95]
	v_fmac_f64_e32 v[96:97], v[60:61], v[96:97]
	v_fma_f64 v[60:61], -v[164:165], v[98:99], 1.0
	s_delay_alu instid0(VALU_DEP_3) | instskip(NEXT) | instid1(VALU_DEP_3)
	v_mul_f64_e32 v[158:159], v[160:161], v[142:143]
	v_mul_f64_e32 v[104:105], v[178:179], v[96:97]
	s_delay_alu instid0(VALU_DEP_3) | instskip(SKIP_1) | instid1(VALU_DEP_4)
	v_fmac_f64_e32 v[98:99], v[60:61], v[98:99]
	v_add_f64_e32 v[60:61], v[180:181], v[44:45]
	v_fma_f64 v[160:161], v[142:143], v[160:161], -v[158:159]
	s_delay_alu instid0(VALU_DEP_2) | instskip(SKIP_1) | instid1(VALU_DEP_3)
	v_add_f64_e64 v[62:63], v[60:61], -v[180:181]
	v_mul_f64_e32 v[180:181], v[162:163], v[104:105]
	v_fmac_f64_e32 v[160:161], v[142:143], v[210:211]
	s_delay_alu instid0(VALU_DEP_3) | instskip(SKIP_1) | instid1(VALU_DEP_4)
	v_add_f64_e64 v[44:45], v[44:45], -v[62:63]
	v_add_f64_e32 v[62:63], v[182:183], v[46:47]
	v_fma_f64 v[162:163], v[104:105], v[162:163], -v[180:181]
	s_delay_alu instid0(VALU_DEP_2) | instskip(NEXT) | instid1(VALU_DEP_2)
	v_add_f64_e64 v[64:65], v[62:63], -v[182:183]
	v_fmac_f64_e32 v[162:163], v[104:105], v[212:213]
	s_delay_alu instid0(VALU_DEP_2) | instskip(SKIP_1) | instid1(VALU_DEP_1)
	v_add_f64_e64 v[46:47], v[46:47], -v[64:65]
	v_add_f64_e32 v[64:65], v[184:185], v[48:49]
	v_add_f64_e64 v[66:67], v[64:65], -v[184:185]
	v_mul_f64_e32 v[184:185], v[76:77], v[76:77]
	s_delay_alu instid0(VALU_DEP_2) | instskip(SKIP_1) | instid1(VALU_DEP_1)
	v_add_f64_e64 v[48:49], v[48:49], -v[66:67]
	v_add_f64_e32 v[66:67], v[186:187], v[50:51]
	v_add_f64_e64 v[68:69], v[66:67], -v[186:187]
	v_mul_f64_e32 v[186:187], v[78:79], v[78:79]
	s_delay_alu instid0(VALU_DEP_2) | instskip(SKIP_1) | instid1(VALU_DEP_1)
	v_add_f64_e64 v[50:51], v[50:51], -v[68:69]
	v_add_f64_e32 v[68:69], v[188:189], v[52:53]
	v_add_f64_e64 v[70:71], v[68:69], -v[188:189]
	s_delay_alu instid0(VALU_DEP_1) | instskip(SKIP_1) | instid1(VALU_DEP_1)
	v_add_f64_e64 v[52:53], v[52:53], -v[70:71]
	v_add_f64_e32 v[70:71], v[190:191], v[54:55]
	v_add_f64_e64 v[72:73], v[70:71], -v[190:191]
	s_delay_alu instid0(VALU_DEP_1) | instskip(SKIP_1) | instid1(VALU_DEP_1)
	v_add_f64_e64 v[54:55], v[54:55], -v[72:73]
	v_add_f64_e32 v[72:73], v[192:193], v[56:57]
	v_add_f64_e64 v[74:75], v[72:73], -v[192:193]
	s_delay_alu instid0(VALU_DEP_1) | instskip(SKIP_1) | instid1(VALU_DEP_1)
	v_add_f64_e64 v[56:57], v[56:57], -v[74:75]
	v_add_f64_e32 v[74:75], v[196:197], v[58:59]
	v_add_f64_e64 v[140:141], v[74:75], -v[196:197]
	s_delay_alu instid0(VALU_DEP_1) | instskip(SKIP_1) | instid1(VALU_DEP_1)
	v_add_f64_e64 v[58:59], v[58:59], -v[140:141]
	v_mul_f64_e32 v[140:141], v[130:131], v[136:137]
	v_fma_f64 v[126:127], -v[126:127], v[140:141], v[130:131]
	v_mul_f64_e32 v[130:131], v[132:133], v[138:139]
	s_delay_alu instid0(VALU_DEP_2) | instskip(NEXT) | instid1(VALU_DEP_2)
	v_div_fmas_f64 v[126:127], v[126:127], v[136:137], v[140:141]
	v_fma_f64 v[128:129], -v[128:129], v[130:131], v[132:133]
	v_add_f64_e32 v[132:133], -1.0, v[164:165]
	v_mul_f64_e32 v[136:137], v[166:167], v[84:85]
	v_mul_f64_e32 v[140:141], v[168:169], v[86:87]
	s_mov_b32 vcc_lo, s16
	v_div_fixup_f64 v[80:81], v[126:127], v[80:81], v[102:103]
	v_div_fmas_f64 v[128:129], v[128:129], v[138:139], v[130:131]
	v_add_f64_e64 v[132:133], v[134:135], -v[132:133]
	v_add_f64_e32 v[134:135], -1.0, v[134:135]
	v_mul_f64_e32 v[102:103], v[148:149], v[136:137]
	v_mul_f64_e32 v[126:127], v[150:151], v[140:141]
	;; [unrolled: 1-line block ×4, first 2 shown]
	v_cmp_lt_f64_e64 vcc_lo, |v[36:37]|, |v[12:13]|
	v_mul_f64_e32 v[188:189], v[80:81], v[80:81]
	v_div_fixup_f64 v[82:83], v[128:129], v[82:83], v[100:101]
	v_mul_f64_e32 v[144:145], v[134:135], v[98:99]
	v_fma_f64 v[146:147], v[136:137], v[148:149], -v[102:103]
	v_fma_f64 v[150:151], v[140:141], v[150:151], -v[126:127]
	v_mul_f64_e32 v[100:101], v[152:153], v[130:131]
	v_mul_f64_e32 v[128:129], v[154:155], v[138:139]
	v_mul_f64_e32 v[148:149], v[156:157], v[106:107]
	v_mul_f64_e32 v[182:183], v[164:165], v[144:145]
	v_fmac_f64_e32 v[146:147], v[136:137], v[200:201]
	v_fmac_f64_e32 v[150:151], v[140:141], v[202:203]
	v_fma_f64 v[152:153], v[130:131], v[152:153], -v[100:101]
	v_fma_f64 v[154:155], v[138:139], v[154:155], -v[128:129]
	;; [unrolled: 1-line block ×4, first 2 shown]
	s_delay_alu instid0(VALU_DEP_4) | instskip(NEXT) | instid1(VALU_DEP_4)
	v_fmac_f64_e32 v[152:153], v[130:131], v[204:205]
	v_fmac_f64_e32 v[154:155], v[138:139], v[206:207]
	s_delay_alu instid0(VALU_DEP_4) | instskip(NEXT) | instid1(VALU_DEP_4)
	v_fmac_f64_e32 v[156:157], v[106:107], v[208:209]
	v_fmac_f64_e32 v[164:165], v[144:145], v[132:133]
	v_add_f64_e32 v[132:133], v[102:103], v[146:147]
	s_delay_alu instid0(VALU_DEP_1) | instskip(NEXT) | instid1(VALU_DEP_1)
	v_add_f64_e64 v[102:103], v[132:133], -v[102:103]
	v_add_f64_e64 v[102:103], v[102:103], -v[146:147]
	v_add_f64_e32 v[146:147], v[126:127], v[150:151]
	s_delay_alu instid0(VALU_DEP_1) | instskip(NEXT) | instid1(VALU_DEP_1)
	v_add_f64_e64 v[126:127], v[146:147], -v[126:127]
	v_add_f64_e64 v[126:127], v[126:127], -v[150:151]
	;; [unrolled: 4-line block ×8, first 2 shown]
	v_add_f64_e64 v[182:183], v[166:167], -v[132:133]
	s_delay_alu instid0(VALU_DEP_1) | instskip(NEXT) | instid1(VALU_DEP_1)
	v_add_f64_e64 v[166:167], v[166:167], -v[182:183]
	v_add_f64_e64 v[132:133], v[166:167], -v[132:133]
	;; [unrolled: 1-line block ×3, first 2 shown]
	s_delay_alu instid0(VALU_DEP_2) | instskip(NEXT) | instid1(VALU_DEP_2)
	v_add_f64_e32 v[102:103], v[102:103], v[132:133]
	v_add_f64_e64 v[168:169], v[168:169], -v[166:167]
	v_fmamk_f64 v[132:133], v[184:185], 0x3eeba404b5e68a13, v[24:25]
	s_delay_alu instid0(VALU_DEP_1) | instskip(NEXT) | instid1(VALU_DEP_1)
	v_fmaak_f64 v[132:133], v[184:185], v[132:133], 0x3f4b2bb069efb384
	v_fmaak_f64 v[132:133], v[184:185], v[132:133], 0xbf67952daf56de9b
	s_delay_alu instid0(VALU_DEP_1) | instskip(NEXT) | instid1(VALU_DEP_1)
	v_fmaak_f64 v[132:133], v[184:185], v[132:133], 0x3f7d6d43a595c56f
	v_fmaak_f64 v[132:133], v[184:185], v[132:133], 0xbf8c6ea4a57d9582
	v_add_f64_e32 v[102:103], v[182:183], v[102:103]
	v_add_f64_e64 v[146:147], v[168:169], -v[146:147]
	v_add_f64_e64 v[168:169], v[170:171], -v[150:151]
	s_delay_alu instid0(VALU_DEP_4) | instskip(NEXT) | instid1(VALU_DEP_1)
	v_fmaak_f64 v[132:133], v[184:185], v[132:133], 0x3f967e295f08b19f
	v_fmaak_f64 v[132:133], v[184:185], v[132:133], 0xbf9e9ae6fc27006a
	s_delay_alu instid0(VALU_DEP_1) | instskip(NEXT) | instid1(VALU_DEP_1)
	v_fmaak_f64 v[132:133], v[184:185], v[132:133], 0x3fa2c15b5711927a
	v_fmaak_f64 v[132:133], v[184:185], v[132:133], 0xbfa59976e82d3ff0
	v_mul_f64_e32 v[84:85], v[84:85], v[102:103]
	v_add_f64_e32 v[126:127], v[126:127], v[146:147]
	v_add_f64_e64 v[170:171], v[170:171], -v[168:169]
	v_fmamk_f64 v[146:147], v[186:187], 0x3eeba404b5e68a13, v[24:25]
	v_fmaak_f64 v[132:133], v[184:185], v[132:133], 0x3fa82d5d6ef28734
	s_delay_alu instid0(VALU_DEP_2) | instskip(NEXT) | instid1(VALU_DEP_2)
	v_fmaak_f64 v[146:147], v[186:187], v[146:147], 0x3f4b2bb069efb384
	v_fmaak_f64 v[132:133], v[184:185], v[132:133], 0xbfaae5ce6a214619
	s_delay_alu instid0(VALU_DEP_2) | instskip(NEXT) | instid1(VALU_DEP_2)
	v_fmaak_f64 v[146:147], v[186:187], v[146:147], 0xbf67952daf56de9b
	;; [unrolled: 3-line block ×4, first 2 shown]
	v_fmaak_f64 v[132:133], v[184:185], v[132:133], 0x3fb3b13657b87036
	v_add_f64_e32 v[126:127], v[166:167], v[126:127]
	v_add_f64_e64 v[150:151], v[170:171], -v[150:151]
	v_add_f64_e64 v[170:171], v[172:173], -v[152:153]
	v_fmaak_f64 v[146:147], v[186:187], v[146:147], 0x3f967e295f08b19f
	v_fmaak_f64 v[132:133], v[184:185], v[132:133], 0xbfb745d119378e4f
	s_delay_alu instid0(VALU_DEP_2) | instskip(NEXT) | instid1(VALU_DEP_2)
	v_fmaak_f64 v[146:147], v[186:187], v[146:147], 0xbf9e9ae6fc27006a
	v_fmaak_f64 v[132:133], v[184:185], v[132:133], 0x3fbc71c717e1913c
	s_delay_alu instid0(VALU_DEP_2) | instskip(NEXT) | instid1(VALU_DEP_2)
	;; [unrolled: 3-line block ×3, first 2 shown]
	v_fmaak_f64 v[146:147], v[186:187], v[146:147], 0xbfa59976e82d3ff0
	v_fmaak_f64 v[132:133], v[184:185], v[132:133], 0x3fc99999999952cc
	v_mul_f64_e32 v[86:87], v[86:87], v[126:127]
	v_add_f64_e32 v[100:101], v[100:101], v[150:151]
	v_add_f64_e64 v[172:173], v[172:173], -v[170:171]
	v_fmamk_f64 v[150:151], v[188:189], 0x3eeba404b5e68a13, v[24:25]
	v_fmaak_f64 v[146:147], v[186:187], v[146:147], 0x3fa82d5d6ef28734
	v_fmaak_f64 v[132:133], v[184:185], v[132:133], 0xbfd5555555555523
	s_delay_alu instid0(VALU_DEP_3) | instskip(NEXT) | instid1(VALU_DEP_3)
	v_fmaak_f64 v[150:151], v[188:189], v[150:151], 0x3f4b2bb069efb384
	v_fmaak_f64 v[146:147], v[186:187], v[146:147], 0xbfaae5ce6a214619
	s_delay_alu instid0(VALU_DEP_3) | instskip(NEXT) | instid1(VALU_DEP_3)
	v_mul_f64_e32 v[132:133], v[184:185], v[132:133]
	v_fmaak_f64 v[150:151], v[188:189], v[150:151], 0xbf67952daf56de9b
	s_delay_alu instid0(VALU_DEP_3) | instskip(NEXT) | instid1(VALU_DEP_2)
	v_fmaak_f64 v[146:147], v[186:187], v[146:147], 0x3fae1bb48427b883
	v_fmaak_f64 v[150:151], v[188:189], v[150:151], 0x3f7d6d43a595c56f
	s_delay_alu instid0(VALU_DEP_2) | instskip(NEXT) | instid1(VALU_DEP_2)
	v_fmaak_f64 v[146:147], v[186:187], v[146:147], 0xbfb110e48b207f05
	v_fmaak_f64 v[150:151], v[188:189], v[150:151], 0xbf8c6ea4a57d9582
	v_add_f64_e32 v[102:103], v[140:141], v[86:87]
	v_add_f64_e32 v[100:101], v[168:169], v[100:101]
	v_add_f64_e64 v[152:153], v[172:173], -v[152:153]
	v_add_f64_e64 v[172:173], v[174:175], -v[154:155]
	v_fmaak_f64 v[146:147], v[186:187], v[146:147], 0x3fb3b13657b87036
	v_fmaak_f64 v[150:151], v[188:189], v[150:151], 0x3f967e295f08b19f
	s_delay_alu instid0(VALU_DEP_2) | instskip(SKIP_1) | instid1(VALU_DEP_3)
	v_fmaak_f64 v[146:147], v[186:187], v[146:147], 0xbfb745d119378e4f
	v_fmac_f64_e32 v[76:77], v[76:77], v[132:133]
	v_fmaak_f64 v[150:151], v[188:189], v[150:151], 0xbf9e9ae6fc27006a
	s_delay_alu instid0(VALU_DEP_3) | instskip(NEXT) | instid1(VALU_DEP_2)
	v_fmaak_f64 v[146:147], v[186:187], v[146:147], 0x3fbc71c717e1913c
	v_fmaak_f64 v[150:151], v[188:189], v[150:151], 0x3fa2c15b5711927a
	s_delay_alu instid0(VALU_DEP_2) | instskip(NEXT) | instid1(VALU_DEP_2)
	v_fmaak_f64 v[146:147], v[186:187], v[146:147], 0xbfc2492492376b7d
	v_fmaak_f64 v[150:151], v[188:189], v[150:151], 0xbfa59976e82d3ff0
	v_add_f64_e64 v[140:141], v[102:103], -v[140:141]
	v_mul_f64_e32 v[88:89], v[88:89], v[100:101]
	v_add_f64_e32 v[128:129], v[128:129], v[152:153]
	v_add_f64_e64 v[174:175], v[174:175], -v[172:173]
	v_add_f64_e32 v[100:101], v[136:137], v[84:85]
	v_fmaak_f64 v[150:151], v[188:189], v[150:151], 0x3fa82d5d6ef28734
	v_fmaak_f64 v[146:147], v[186:187], v[146:147], 0x3fc99999999952cc
	s_delay_alu instid0(VALU_DEP_2) | instskip(NEXT) | instid1(VALU_DEP_2)
	v_fmaak_f64 v[150:151], v[188:189], v[150:151], 0xbfaae5ce6a214619
	v_fmaak_f64 v[146:147], v[186:187], v[146:147], 0xbfd5555555555523
	v_add_f64_e64 v[132:133], -v[76:77], s[30:31]
	s_delay_alu instid0(VALU_DEP_3) | instskip(NEXT) | instid1(VALU_DEP_3)
	v_fmaak_f64 v[150:151], v[188:189], v[150:151], 0x3fae1bb48427b883
	v_mul_f64_e32 v[146:147], v[186:187], v[146:147]
	s_delay_alu instid0(VALU_DEP_2)
	v_fmaak_f64 v[150:151], v[188:189], v[150:151], 0xbfb110e48b207f05
	v_add_f64_e64 v[86:87], v[86:87], -v[140:141]
	v_add_f64_e32 v[126:127], v[130:131], v[88:89]
	v_add_f64_e32 v[128:129], v[170:171], v[128:129]
	v_add_f64_e64 v[154:155], v[174:175], -v[154:155]
	v_add_f64_e64 v[174:175], v[176:177], -v[156:157]
	;; [unrolled: 1-line block ×3, first 2 shown]
	v_fmaak_f64 v[150:151], v[188:189], v[150:151], 0x3fb3b13657b87036
	s_delay_alu instid0(VALU_DEP_1) | instskip(NEXT) | instid1(VALU_DEP_1)
	v_fmaak_f64 v[150:151], v[188:189], v[150:151], 0xbfb745d119378e4f
	v_fmaak_f64 v[150:151], v[188:189], v[150:151], 0x3fbc71c717e1913c
	v_fmac_f64_e32 v[78:79], v[78:79], v[146:147]
	s_delay_alu instid0(VALU_DEP_2)
	v_fmaak_f64 v[150:151], v[188:189], v[150:151], 0xbfc2492492376b7d
	v_ldexp_f64 v[86:87], v[86:87], 1
	v_add_f64_e64 v[130:131], v[126:127], -v[130:131]
	v_mul_f64_e32 v[90:91], v[90:91], v[128:129]
	v_add_f64_e32 v[148:149], v[148:149], v[154:155]
	v_add_f64_e64 v[176:177], v[176:177], -v[174:175]
	v_add_f64_e64 v[84:85], v[84:85], -v[136:137]
	v_fmaak_f64 v[150:151], v[188:189], v[150:151], 0x3fc99999999952cc
	s_delay_alu instid0(VALU_DEP_1) | instskip(NEXT) | instid1(VALU_DEP_1)
	v_fmaak_f64 v[150:151], v[188:189], v[150:151], 0xbfd5555555555523
	v_mul_f64_e32 v[150:151], v[188:189], v[150:151]
	v_add_f64_e64 v[88:89], v[88:89], -v[130:131]
	v_add_f64_e32 v[128:129], v[138:139], v[90:91]
	v_add_f64_e32 v[148:149], v[172:173], v[148:149]
	v_add_f64_e64 v[156:157], v[176:177], -v[156:157]
	v_add_f64_e64 v[176:177], v[178:179], -v[160:161]
	v_ldexp_f64 v[84:85], v[84:85], 1
	v_fmac_f64_e32 v[80:81], v[80:81], v[150:151]
	v_ldexp_f64 v[88:89], v[88:89], 1
	v_add_f64_e64 v[138:139], v[128:129], -v[138:139]
	v_mul_f64_e32 v[92:93], v[92:93], v[148:149]
	v_add_f64_e32 v[154:155], v[158:159], v[156:157]
	v_add_f64_e64 v[178:179], v[178:179], -v[176:177]
	v_mul_f64_e32 v[158:159], v[100:101], v[100:101]
	v_add_f64_e64 v[90:91], v[90:91], -v[138:139]
	s_delay_alu instid0(VALU_DEP_4) | instskip(NEXT) | instid1(VALU_DEP_4)
	v_add_f64_e32 v[154:155], v[174:175], v[154:155]
	v_add_f64_e64 v[160:161], v[178:179], -v[160:161]
	v_add_f64_e64 v[178:179], v[134:135], -v[180:181]
	v_ldexp_f64 v[174:175], v[100:101], 1
	v_mul_f64_e32 v[100:101], v[100:101], v[158:159]
	v_ldexp_f64 v[90:91], v[90:91], 1
	v_mul_f64_e32 v[94:95], v[94:95], v[154:155]
	v_add_f64_e32 v[156:157], v[162:163], v[160:161]
	v_add_f64_e64 v[134:135], v[134:135], -v[178:179]
	v_mul_f64_e32 v[162:163], v[126:127], v[126:127]
	v_mul_f64_e32 v[160:161], v[102:103], v[102:103]
	v_add_f64_e32 v[148:149], v[142:143], v[94:95]
	v_add_f64_e32 v[156:157], v[176:177], v[156:157]
	v_add_f64_e64 v[134:135], v[134:135], -v[180:181]
	v_mul_f64_e32 v[180:181], v[82:83], v[82:83]
	v_fmamk_f64 v[130:131], v[162:163], 0x3fc3ab76bf559e2b, v[22:23]
	v_ldexp_f64 v[176:177], v[102:103], 1
	v_mul_f64_e32 v[102:103], v[102:103], v[160:161]
	s_delay_alu instid0(VALU_DEP_3) | instskip(NEXT) | instid1(VALU_DEP_1)
	v_fmaak_f64 v[130:131], v[162:163], v[130:131], 0x3fc7474dd7f4df2e
	v_fmaak_f64 v[130:131], v[162:163], v[130:131], 0x3fcc71c016291751
	s_delay_alu instid0(VALU_DEP_1)
	v_fmaak_f64 v[130:131], v[162:163], v[130:131], 0x3fd249249b27acf1
	v_mul_f64_e32 v[168:169], v[148:149], v[148:149]
	v_mul_f64_e32 v[96:97], v[96:97], v[156:157]
	v_add_f64_e32 v[134:135], v[164:165], v[134:135]
	v_fmamk_f64 v[152:153], v[180:181], 0x3eeba404b5e68a13, v[24:25]
	v_mul_f64_e32 v[164:165], v[128:129], v[128:129]
	v_add_f64_e64 v[142:143], v[148:149], -v[142:143]
	v_fmaak_f64 v[130:131], v[162:163], v[130:131], 0x3fd99999998ef7b6
	v_ldexp_f64 v[184:185], v[148:149], 1
	v_fmaak_f64 v[152:153], v[180:181], v[152:153], 0x3f4b2bb069efb384
	s_delay_alu instid0(VALU_DEP_3) | instskip(NEXT) | instid1(VALU_DEP_2)
	v_fmaak_f64 v[130:131], v[162:163], v[130:131], 0x3fe5555555555780
	v_fmaak_f64 v[152:153], v[180:181], v[152:153], 0xbf67952daf56de9b
	s_delay_alu instid0(VALU_DEP_1) | instskip(NEXT) | instid1(VALU_DEP_1)
	v_fmaak_f64 v[152:153], v[180:181], v[152:153], 0x3f7d6d43a595c56f
	v_fmaak_f64 v[152:153], v[180:181], v[152:153], 0xbf8c6ea4a57d9582
	v_fmamk_f64 v[140:141], v[168:169], 0x3fc3ab76bf559e2b, v[22:23]
	v_add_f64_e32 v[154:155], v[104:105], v[96:97]
	v_add_f64_e32 v[134:135], v[178:179], v[134:135]
	v_ldexp_f64 v[178:179], v[126:127], 1
	v_mul_f64_e32 v[126:127], v[126:127], v[162:163]
	v_fmamk_f64 v[136:137], v[164:165], 0x3fc3ab76bf559e2b, v[22:23]
	v_fmaak_f64 v[152:153], v[180:181], v[152:153], 0x3f967e295f08b19f
	v_fmaak_f64 v[140:141], v[168:169], v[140:141], 0x3fc7474dd7f4df2e
	v_add_f64_e64 v[94:95], v[94:95], -v[142:143]
	v_mul_f64_e32 v[142:143], v[148:149], v[168:169]
	v_fmaak_f64 v[136:137], v[164:165], v[136:137], 0x3fc7474dd7f4df2e
	v_fmaak_f64 v[152:153], v[180:181], v[152:153], 0xbf9e9ae6fc27006a
	;; [unrolled: 1-line block ×3, first 2 shown]
	s_delay_alu instid0(VALU_DEP_3) | instskip(NEXT) | instid1(VALU_DEP_3)
	v_fmaak_f64 v[136:137], v[164:165], v[136:137], 0x3fcc71c016291751
	v_fmaak_f64 v[152:153], v[180:181], v[152:153], 0x3fa2c15b5711927a
	s_delay_alu instid0(VALU_DEP_3) | instskip(NEXT) | instid1(VALU_DEP_3)
	v_fmaak_f64 v[140:141], v[168:169], v[140:141], 0x3fd249249b27acf1
	v_fmaak_f64 v[136:137], v[164:165], v[136:137], 0x3fd249249b27acf1
	;; [unrolled: 3-line block ×3, first 2 shown]
	v_add_f64_e64 v[104:105], v[154:155], -v[104:105]
	v_mul_f64_e32 v[98:99], v[98:99], v[134:135]
	v_add_f64_e32 v[134:135], v[106:107], v[92:93]
	v_fmaak_f64 v[152:153], v[180:181], v[152:153], 0x3fa82d5d6ef28734
	v_mul_f64_e32 v[170:171], v[154:155], v[154:155]
	v_fmaak_f64 v[136:137], v[164:165], v[136:137], 0x3fd99999998ef7b6
	v_ldexp_f64 v[186:187], v[154:155], 1
	v_fmaak_f64 v[140:141], v[168:169], v[140:141], 0x3fe5555555555780
	v_ldexp_f64 v[94:95], v[94:95], 1
	v_fmaak_f64 v[152:153], v[180:181], v[152:153], 0xbfaae5ce6a214619
	v_fmaak_f64 v[136:137], v[164:165], v[136:137], 0x3fe5555555555780
	s_delay_alu instid0(VALU_DEP_2) | instskip(NEXT) | instid1(VALU_DEP_1)
	v_fmaak_f64 v[152:153], v[180:181], v[152:153], 0x3fae1bb48427b883
	v_fmaak_f64 v[152:153], v[180:181], v[152:153], 0xbfb110e48b207f05
	s_delay_alu instid0(VALU_DEP_1)
	v_fmaak_f64 v[152:153], v[180:181], v[152:153], 0x3fb3b13657b87036
	v_add_f64_e64 v[96:97], v[96:97], -v[104:105]
	v_add_f64_e32 v[156:157], v[144:145], v[98:99]
	v_add_f64_e64 v[106:107], v[134:135], -v[106:107]
	v_fmamk_f64 v[104:105], v[158:159], 0x3fc3ab76bf559e2b, v[22:23]
	v_mul_f64_e32 v[166:167], v[134:135], v[134:135]
	v_mul_f64_e32 v[148:149], v[154:155], v[170:171]
	v_fmaak_f64 v[152:153], v[180:181], v[152:153], 0xbfb745d119378e4f
	v_ldexp_f64 v[182:183], v[134:135], 1
	v_fmaak_f64 v[104:105], v[158:159], v[104:105], 0x3fc7474dd7f4df2e
	s_delay_alu instid0(VALU_DEP_3) | instskip(NEXT) | instid1(VALU_DEP_2)
	v_fmaak_f64 v[152:153], v[180:181], v[152:153], 0x3fbc71c717e1913c
	v_fmaak_f64 v[104:105], v[158:159], v[104:105], 0x3fcc71c016291751
	s_delay_alu instid0(VALU_DEP_2) | instskip(NEXT) | instid1(VALU_DEP_2)
	v_fmaak_f64 v[152:153], v[180:181], v[152:153], 0xbfc2492492376b7d
	v_fmaak_f64 v[104:105], v[158:159], v[104:105], 0x3fd249249b27acf1
	s_delay_alu instid0(VALU_DEP_2) | instskip(NEXT) | instid1(VALU_DEP_2)
	v_fmaak_f64 v[152:153], v[180:181], v[152:153], 0x3fc99999999952cc
	v_fmaak_f64 v[104:105], v[158:159], v[104:105], 0x3fd99999998ef7b6
	v_ldexp_f64 v[96:97], v[96:97], 1
	v_add_f64_e64 v[144:145], v[156:157], -v[144:145]
	v_add_f64_e64 v[92:93], v[92:93], -v[106:107]
	v_fmamk_f64 v[106:107], v[160:161], 0x3fc3ab76bf559e2b, v[22:23]
	v_mul_f64_e32 v[172:173], v[156:157], v[156:157]
	v_fmaak_f64 v[152:153], v[180:181], v[152:153], 0xbfd5555555555523
	v_fmaak_f64 v[104:105], v[158:159], v[104:105], 0x3fe5555555555780
	v_fmamk_f64 v[138:139], v[166:167], 0x3fc3ab76bf559e2b, v[22:23]
	v_mul_f64_e32 v[134:135], v[134:135], v[166:167]
	v_ldexp_f64 v[188:189], v[156:157], 1
	v_fmaak_f64 v[106:107], v[160:161], v[106:107], 0x3fc7474dd7f4df2e
	v_mul_f64_e32 v[152:153], v[180:181], v[152:153]
	v_ldexp_f64 v[180:181], v[128:129], 1
	v_mul_f64_e32 v[128:129], v[128:129], v[164:165]
	v_mul_f64_e32 v[100:101], v[100:101], v[104:105]
	;; [unrolled: 1-line block ×3, first 2 shown]
	v_fmaak_f64 v[106:107], v[160:161], v[106:107], 0x3fcc71c016291751
	v_fmaak_f64 v[138:139], v[166:167], v[138:139], 0x3fc7474dd7f4df2e
	s_delay_alu instid0(VALU_DEP_2) | instskip(NEXT) | instid1(VALU_DEP_2)
	v_fmaak_f64 v[106:107], v[160:161], v[106:107], 0x3fd249249b27acf1
	v_fmaak_f64 v[138:139], v[166:167], v[138:139], 0x3fcc71c016291751
	s_delay_alu instid0(VALU_DEP_2) | instskip(NEXT) | instid1(VALU_DEP_2)
	v_fmaak_f64 v[106:107], v[160:161], v[106:107], 0x3fd99999998ef7b6
	v_fmaak_f64 v[138:139], v[166:167], v[138:139], 0x3fd249249b27acf1
	v_add_f64_e64 v[98:99], v[98:99], -v[144:145]
	v_fmamk_f64 v[144:145], v[170:171], 0x3fc3ab76bf559e2b, v[22:23]
	v_ldexp_f64 v[92:93], v[92:93], 1
	v_fmamk_f64 v[154:155], v[172:173], 0x3fc3ab76bf559e2b, v[22:23]
	v_mul_f64_e32 v[156:157], v[156:157], v[172:173]
	v_fmaak_f64 v[106:107], v[160:161], v[106:107], 0x3fe5555555555780
	v_fmaak_f64 v[138:139], v[166:167], v[138:139], 0x3fd99999998ef7b6
	;; [unrolled: 1-line block ×4, first 2 shown]
	v_fmac_f64_e32 v[82:83], v[82:83], v[152:153]
	v_mul_f64_e32 v[102:103], v[102:103], v[106:107]
	v_fmaak_f64 v[138:139], v[166:167], v[138:139], 0x3fe5555555555780
	v_mul_f64_e32 v[106:107], v[128:129], v[136:137]
	v_fmaak_f64 v[144:145], v[170:171], v[144:145], 0x3fcc71c016291751
	v_mul_f64_e32 v[128:129], v[142:143], v[140:141]
	v_add_f64_e32 v[140:141], v[178:179], v[104:105]
	v_fmaak_f64 v[154:155], v[172:173], v[154:155], 0x3fcc71c016291751
	v_add_f64_e32 v[136:137], v[174:175], v[100:101]
	v_mul_f64_e32 v[126:127], v[134:135], v[138:139]
	v_fmaak_f64 v[144:145], v[170:171], v[144:145], 0x3fd249249b27acf1
	s_delay_alu instid0(VALU_DEP_4) | instskip(NEXT) | instid1(VALU_DEP_2)
	v_fmaak_f64 v[154:155], v[172:173], v[154:155], 0x3fd249249b27acf1
	v_fmaak_f64 v[144:145], v[170:171], v[144:145], 0x3fd99999998ef7b6
	s_delay_alu instid0(VALU_DEP_2) | instskip(SKIP_1) | instid1(VALU_DEP_3)
	v_fmaak_f64 v[154:155], v[172:173], v[154:155], 0x3fd99999998ef7b6
	v_ldexp_f64 v[98:99], v[98:99], 1
	v_fmaak_f64 v[144:145], v[170:171], v[144:145], 0x3fe5555555555780
	s_delay_alu instid0(VALU_DEP_3) | instskip(NEXT) | instid1(VALU_DEP_2)
	v_fmaak_f64 v[154:155], v[172:173], v[154:155], 0x3fe5555555555780
	v_mul_f64_e32 v[130:131], v[148:149], v[144:145]
	v_add_f64_e32 v[138:139], v[176:177], v[102:103]
	s_delay_alu instid0(VALU_DEP_3)
	v_mul_f64_e32 v[134:135], v[156:157], v[154:155]
	v_add_f64_e32 v[142:143], v[180:181], v[106:107]
	v_add_f64_e32 v[148:149], v[184:185], v[128:129]
	v_add_f64_e64 v[162:163], v[140:141], -v[178:179]
	v_add_f64_e64 v[158:159], v[136:137], -v[174:175]
	v_add_f64_e32 v[144:145], v[182:183], v[126:127]
	v_add_f64_e32 v[154:155], v[186:187], v[130:131]
	v_add_f64_e64 v[160:161], v[138:139], -v[176:177]
	v_add_f64_e32 v[156:157], v[188:189], v[134:135]
	v_add_f64_e64 v[164:165], v[142:143], -v[180:181]
	v_add_f64_e64 v[168:169], v[148:149], -v[184:185]
	;; [unrolled: 1-line block ×10, first 2 shown]
	v_add_f64_e32 v[88:89], v[88:89], v[104:105]
	v_add_f64_e64 v[104:105], -v[82:83], s[30:31]
	v_add_f64_e32 v[84:85], v[84:85], v[100:101]
	v_add_f64_e64 v[126:127], v[126:127], -v[166:167]
	v_add_f64_e64 v[100:101], -v[78:79], s[30:31]
	v_add_f64_e64 v[130:131], v[130:131], -v[170:171]
	v_add_f64_e32 v[86:87], v[86:87], v[102:103]
	v_add_f64_e64 v[102:103], -v[80:81], s[30:31]
	v_add_f64_e64 v[134:135], v[134:135], -v[172:173]
	v_add_f64_e32 v[90:91], v[90:91], v[106:107]
	v_add_f64_e32 v[94:95], v[94:95], v[128:129]
	v_dual_cndmask_b32 v107, v77, v133 :: v_dual_cndmask_b32 v106, v76, v132
	v_dual_add_f64 v[92:93], v[92:93], v[126:127] :: v_dual_cndmask_b32 v77, v83, v105, s8
	v_add_f64_e32 v[126:127], v[136:137], v[84:85]
	v_cndmask_b32_e64 v76, v82, v104, s8
	v_cmp_eq_f64_e32 vcc_lo, 0, v[12:13]
	v_cmp_class_f64_e64 s8, v[34:35], 0x204
	v_add_f64_e32 v[96:97], v[96:97], v[130:131]
	v_add_f64_e32 v[130:131], v[140:141], v[88:89]
	;; [unrolled: 1-line block ×3, first 2 shown]
	v_dual_cndmask_b32 v81, v81, v103, s7 :: v_dual_cndmask_b32 v80, v80, v102, s7
	v_add_f64_e32 v[150:151], v[148:149], v[94:95]
	v_add_f64_e32 v[98:99], v[98:99], v[134:135]
	v_add_f64_e32 v[134:135], v[142:143], v[90:91]
	v_cmp_class_f64_e64 s7, v[40:41], 0x204
	v_add_f64_e32 v[146:147], v[144:145], v[92:93]
	v_add_f64_e32 v[82:83], v[60:61], v[126:127]
	v_add_f64_e64 v[136:137], v[126:127], -v[136:137]
	v_add_f64_e32 v[152:153], v[154:155], v[96:97]
	v_add_f64_e32 v[104:105], v[64:65], v[130:131]
	;; [unrolled: 1-line block ×3, first 2 shown]
	v_add_f64_e64 v[140:141], v[130:131], -v[140:141]
	v_add_f64_e64 v[138:139], v[128:129], -v[138:139]
	v_add_f64_e32 v[162:163], v[70:71], v[150:151]
	v_add_f64_e64 v[148:149], v[150:151], -v[148:149]
	v_add_f64_e32 v[132:133], v[66:67], v[134:135]
	v_add_f64_e32 v[158:159], v[156:157], v[98:99]
	;; [unrolled: 1-line block ×3, first 2 shown]
	v_add_f64_e64 v[168:169], v[82:83], -v[60:61]
	v_add_f64_e64 v[144:145], v[146:147], -v[144:145]
	;; [unrolled: 1-line block ×4, first 2 shown]
	v_add_f64_e32 v[164:165], v[72:73], v[152:153]
	v_add_f64_e64 v[172:173], v[104:105], -v[64:65]
	v_add_f64_e64 v[170:171], v[102:103], -v[62:63]
	;; [unrolled: 1-line block ×12, first 2 shown]
	v_add_f64_e32 v[166:167], v[74:75], v[158:159]
	v_add_f64_e64 v[90:91], v[90:91], -v[142:143]
	v_add_f64_e32 v[168:169], v[44:45], v[84:85]
	v_add_f64_e64 v[156:157], v[158:159], -v[156:157]
	v_add_f64_e64 v[180:181], v[164:165], -v[72:73]
	;; [unrolled: 1-line block ×8, first 2 shown]
	v_add_f64_e32 v[170:171], v[46:47], v[86:87]
	v_add_f64_e32 v[172:173], v[48:49], v[88:89]
	;; [unrolled: 1-line block ×3, first 2 shown]
	v_add_f64_e64 v[60:61], v[60:61], -v[136:137]
	v_add_f64_e64 v[142:143], v[132:133], -v[174:175]
	;; [unrolled: 1-line block ×4, first 2 shown]
	v_add_f64_e32 v[176:177], v[52:53], v[92:93]
	v_add_f64_e64 v[96:97], v[96:97], -v[154:155]
	v_add_f64_e64 v[182:183], v[166:167], -v[74:75]
	;; [unrolled: 1-line block ×5, first 2 shown]
	v_add_f64_e32 v[174:175], v[50:51], v[90:91]
	v_add_f64_e64 v[154:155], v[164:165], -v[180:181]
	v_add_f64_e64 v[64:65], v[64:65], -v[140:141]
	;; [unrolled: 1-line block ×8, first 2 shown]
	v_add_f64_e32 v[60:61], v[126:127], v[60:61]
	v_add_f64_e64 v[66:67], v[66:67], -v[142:143]
	v_add_f64_e64 v[68:69], v[68:69], -v[144:145]
	;; [unrolled: 1-line block ×3, first 2 shown]
	v_add_f64_e32 v[180:181], v[56:57], v[96:97]
	v_add_f64_e64 v[156:157], v[166:167], -v[182:183]
	v_add_f64_e64 v[158:159], v[158:159], -v[182:183]
	;; [unrolled: 1-line block ×4, first 2 shown]
	v_add_f64_e32 v[182:183], v[58:59], v[98:99]
	v_add_f64_e64 v[142:143], v[174:175], -v[50:51]
	v_add_f64_e64 v[72:73], v[72:73], -v[154:155]
	v_add_f64_e32 v[64:65], v[130:131], v[64:65]
	v_add_f64_e32 v[62:63], v[128:129], v[62:63]
	v_add_f64_e32 v[70:71], v[150:151], v[70:71]
	v_add_f64_e64 v[86:87], v[86:87], -v[138:139]
	v_add_f64_e64 v[128:129], v[170:171], -v[138:139]
	;; [unrolled: 1-line block ×3, first 2 shown]
	v_add_f64_e32 v[60:61], v[168:169], v[60:61]
	v_add_f64_e64 v[94:95], v[94:95], -v[148:149]
	v_add_f64_e64 v[138:139], v[178:179], -v[148:149]
	v_add_f64_e32 v[66:67], v[134:135], v[66:67]
	v_add_f64_e32 v[68:69], v[146:147], v[68:69]
	v_add_f64_e64 v[92:93], v[92:93], -v[144:145]
	v_add_f64_e64 v[136:137], v[176:177], -v[144:145]
	;; [unrolled: 1-line block ×9, first 2 shown]
	v_add_f64_e32 v[72:73], v[152:153], v[72:73]
	v_add_f64_e32 v[64:65], v[172:173], v[64:65]
	;; [unrolled: 1-line block ×4, first 2 shown]
	v_add_f64_e64 v[46:47], v[46:47], -v[128:129]
	v_add_f64_e64 v[48:49], v[48:49], -v[130:131]
	v_add_f64_e32 v[144:145], v[82:83], v[60:61]
	v_add_f64_e64 v[54:55], v[54:55], -v[138:139]
	v_add_f64_e32 v[66:67], v[174:175], v[66:67]
	v_add_f64_e32 v[68:69], v[176:177], v[68:69]
	v_add_f64_e64 v[52:53], v[52:53], -v[136:137]
	v_add_f64_e32 v[74:75], v[158:159], v[74:75]
	v_add_f64_e32 v[44:45], v[84:85], v[44:45]
	v_add_f64_e64 v[96:97], v[96:97], -v[154:155]
	v_add_f64_e64 v[140:141], v[180:181], -v[154:155]
	;; [unrolled: 1-line block ×5, first 2 shown]
	v_add_f64_e64 v[84:85], -v[80:81], s[34:35]
	v_add_f64_e32 v[72:73], v[180:181], v[72:73]
	v_add_f64_e32 v[148:149], v[104:105], v[64:65]
	v_add_f64_e32 v[146:147], v[102:103], v[62:63]
	v_add_f64_e32 v[154:155], v[162:163], v[70:71]
	v_add_f64_e32 v[46:47], v[86:87], v[46:47]
	v_add_f64_e32 v[48:49], v[88:89], v[48:49]
	v_add_f64_e64 v[82:83], v[144:145], -v[82:83]
	v_add_f64_e64 v[86:87], -v[76:77], s[34:35]
	v_add_f64_e32 v[54:55], v[94:95], v[54:55]
	v_add_f64_e32 v[150:151], v[132:133], v[66:67]
	;; [unrolled: 1-line block ×5, first 2 shown]
	v_add_f64_e64 v[56:57], v[56:57], -v[140:141]
	v_add_f64_e64 v[58:59], v[58:59], -v[142:143]
	v_add_f64_e32 v[50:51], v[90:91], v[50:51]
	v_add_f64_e32 v[156:157], v[164:165], v[72:73]
	v_add_f64_e64 v[104:105], v[148:149], -v[104:105]
	v_add_f64_e64 v[102:103], v[146:147], -v[102:103]
	;; [unrolled: 1-line block ×6, first 2 shown]
	v_add_f64_e32 v[158:159], v[166:167], v[74:75]
	v_add_f64_e32 v[56:57], v[96:97], v[56:57]
	;; [unrolled: 1-line block ×3, first 2 shown]
	v_add_f64_e64 v[132:133], v[156:157], -v[164:165]
	v_add_f64_e64 v[64:65], v[64:65], -v[104:105]
	;; [unrolled: 1-line block ×4, first 2 shown]
	v_add_f64_e32 v[44:45], v[44:45], v[60:61]
	v_add_f64_e64 v[66:67], v[66:67], -v[126:127]
	v_add_f64_e64 v[68:69], v[68:69], -v[128:129]
	;; [unrolled: 1-line block ×4, first 2 shown]
	v_add_f64_e32 v[48:49], v[48:49], v[64:65]
	v_cndmask_b32_e64 v65, v76, v86, s2
	v_dual_add_f64 v[46:47], v[46:47], v[62:63] :: v_dual_cndmask_b32 v62, v80, v84, s3
	v_cndmask_b32_e64 v63, v81, v85, s3
	v_cmp_class_f64_e64 s3, v[42:43], 0x204
	s_delay_alu instid0(VALU_DEP_4)
	v_cndmask_b32_e64 v65, v65, v121, s13
	v_cmp_lt_f64_e64 s6, |v[10:11]|, |v[4:5]|
	v_add_f64_e32 v[54:55], v[54:55], v[70:71]
	v_add_f64_e32 v[44:45], v[144:145], v[44:45]
	v_cmp_class_f64_e64 s44, v[4:5], 0x204
	v_add_f64_e32 v[50:51], v[50:51], v[66:67]
	v_cndmask_b32_e64 v66, v77, v87, s2
	v_cmp_neq_f64_e64 s2, 0, v[42:43]
	v_add_f64_e32 v[52:53], v[52:53], v[68:69]
	v_add_f64_e64 v[74:75], v[74:75], -v[134:135]
	v_add_f64_e32 v[56:57], v[56:57], v[72:73]
	v_add_f64_e32 v[48:49], v[148:149], v[48:49]
	;; [unrolled: 1-line block ×3, first 2 shown]
	v_dual_cndmask_b32 v79, v79, v101, s6 :: v_dual_cndmask_b32 v78, v78, v100, s6
	v_cmp_class_f64_e64 s6, v[32:33], 0x204
	v_add_f64_e64 v[100:101], -v[106:107], s[34:35]
	v_dual_cndmask_b32 v44, v44, v42, s3 :: v_dual_cndmask_b32 v45, v45, v43, s3
	v_cmp_neq_f64_e64 s3, 0, v[32:33]
	v_add_f64_e64 v[82:83], -v[78:79], s[34:35]
	v_add_f64_e32 v[50:51], v[150:151], v[50:51]
	v_add_f64_e32 v[52:53], v[152:153], v[52:53]
	;; [unrolled: 1-line block ×5, first 2 shown]
	v_cndmask_b32_e64 v43, v47, v33, s6
	v_cndmask_b32_e64 v33, v49, v41, s7
	v_cmp_gt_i32_e64 s5, 0, v37
	v_cmp_class_f64_e64 s49, v[36:37], 0x204
	v_cndmask_b32_e64 v42, v46, v32, s6
	v_cndmask_b32_e64 v32, v48, v40, s7
	v_cmp_neq_f64_e64 s6, 0, v[34:35]
	v_cndmask_b32_e64 v88, v106, v100, s5
	v_cndmask_b32_e64 v112, 0x54442d18, v108, s5
	v_cndmask_b32_e64 v116, 0x3fe921fb, v109, s5
	v_cndmask_b32_e64 v89, v107, v101, s5
	v_cmp_eq_f64_e64 s5, 0, v[4:5]
	v_cndmask_b32_e32 v64, v88, v124, vcc_lo
	v_cmp_class_f64_e64 s45, v[12:13], 0x204
	v_cmp_neq_f64_e64 s7, 0, v[38:39]
	v_cndmask_b32_e32 v67, v89, v120, vcc_lo
	v_cmp_class_f64_e64 s42, v[16:17], 0x204
	v_add_f64_e32 v[58:59], v[158:159], v[58:59]
	v_cmp_class_f64_e64 s43, v[8:9], 0x204
	v_cndmask_b32_e64 v46, v56, v14, s11
	s_and_b32 vcc_lo, s45, s49
	v_cndmask_b32_e32 v49, v64, v112, vcc_lo
	v_cmp_gt_i32_e64 s4, 0, v11
	v_cmp_class_f64_e64 s46, v[10:11], 0x204
	v_cndmask_b32_e32 v48, v67, v116, vcc_lo
	v_cmp_o_f64_e32 vcc_lo, v[36:37], v[12:13]
	v_cndmask_b32_e64 v12, v66, v118, s13
	v_dual_cndmask_b32 v60, v78, v82, s4 :: v_dual_cndmask_b32 v61, v79, v83, s4
	v_cndmask_b32_e64 v111, 0x54442d18, v108, s4
	v_cndmask_b32_e64 v115, 0x3fe921fb, v109, s4
	v_cmp_eq_f64_e64 s4, 0, v[8:9]
	s_delay_alu instid0(VALU_DEP_4)
	v_cndmask_b32_e64 v60, v60, v123, s5
	v_cndmask_b32_e64 v61, v61, v119, s5
	v_cmp_neq_f64_e64 s5, 0, v[40:41]
	v_dual_cndmask_b32 v40, v50, v34, s8 :: v_dual_cndmask_b32 v41, v51, v35, s8
	v_cndmask_b32_e64 v34, v52, v38, s9
	v_cndmask_b32_e64 v38, v54, v30, s10
	v_cmp_neq_f64_e64 s8, 0, v[30:31]
	v_cndmask_b32_e64 v30, v57, v15, s11
	v_cndmask_b32_e64 v35, v53, v39, s9
	v_cmp_neq_f64_e64 s9, 0, v[14:15]
	v_dual_cndmask_b32 v47, v58, v28, s12 :: v_dual_cndmask_b32 v14, v59, v29, s12
	v_cndmask_b32_e64 v39, v55, v31, s10
	v_cmp_neq_f64_e64 s10, 0, v[28:29]
	v_cndmask_b32_e64 v29, 0xfff00000, v35, s7
	v_cndmask_b32_e64 v28, 0, v34, s7
	s_and_b32 s11, s44, s46
	s_delay_alu instid0(SALU_CYCLE_1)
	v_cndmask_b32_e64 v36, v61, v115, s11
	v_cndmask_b32_e64 v37, v60, v111, s11
	v_cmp_o_f64_e64 s11, v[10:11], v[4:5]
	v_dual_cndmask_b32 v62, v62, v122, s4 :: v_dual_cndmask_b32 v15, v63, v117, s4
	v_cndmask_b32_e64 v10, 0, v32, s5
	v_cmp_class_f64_e64 s48, v[2:3], 0x204
	v_cmp_o_f64_e64 s13, v[2:3], v[16:17]
	v_cndmask_b32_e64 v3, 0xfff00000, v45, s2
	v_cndmask_b32_e64 v2, 0, v44, s2
	;; [unrolled: 1-line block ×7, first 2 shown]
	v_add_nc_u64_e32 v[38:39], s[40:41], v[20:21]
	v_cndmask_b32_e64 v35, 0xfff00000, v14, s10
	v_dual_cndmask_b32 v14, 0, v40, s6 :: v_dual_cndmask_b32 v34, 0, v47, s10
	s_add_nc_u64 s[40:41], s[40:41], s[38:39]
	v_cndmask_b32_e64 v4, 0, v37, s11
	s_and_b32 s12, s42, s48
	s_delay_alu instid0(SALU_CYCLE_1) | instskip(SKIP_3) | instid1(VALU_DEP_4)
	v_cndmask_b32_e64 v52, v12, v113, s12
	v_cmp_class_f64_e64 s47, v[6:7], 0x204
	v_cndmask_b32_e64 v1, v65, v1, s12
	v_cndmask_b32_e32 v12, 0, v49, vcc_lo
	v_cndmask_b32_e64 v16, 0x7ff80000, v52, s13
	s_delay_alu instid0(VALU_DEP_1) | instskip(SKIP_1) | instid1(VALU_DEP_1)
	v_bfi_b32 v17, 0x7fffffff, v16, v17
	v_cndmask_b32_e32 v16, 0x7ff80000, v48, vcc_lo
	v_bfi_b32 v13, 0x7fffffff, v16, v13
	v_cndmask_b32_e64 v16, 0, v1, s13
	s_and_b32 s4, s43, s47
	s_delay_alu instid0(SALU_CYCLE_1)
	v_cndmask_b32_e64 v50, v15, v114, s4
	v_cndmask_b32_e64 v51, v62, v110, s4
	v_cmp_o_f64_e64 s4, v[6:7], v[8:9]
	v_cndmask_b32_e64 v7, 0xfff00000, v43, s3
	v_cndmask_b32_e64 v6, 0, v42, s3
	v_cndmask_b32_e64 v15, 0xfff00000, v41, s6
	s_delay_alu instid0(VALU_DEP_2) | instskip(NEXT) | instid1(VALU_DEP_2)
	v_add_f64_e64 v[2:3], v[2:3], -v[6:7]
	v_add_f64_e64 v[6:7], v[10:11], -v[14:15]
	;; [unrolled: 1-line block ×4, first 2 shown]
	v_cndmask_b32_e64 v28, 0x7ff80000, v36, s11
	v_mul_f64_e32 v[30:31], 0.5, v[16:17]
	v_lshlrev_b64_e32 v[36:37], 2, v[26:27]
	s_delay_alu instid0(VALU_DEP_3) | instskip(NEXT) | instid1(VALU_DEP_2)
	v_bfi_b32 v5, 0x7fffffff, v28, v5
	v_cmp_ge_i64_e32 vcc_lo, v[36:37], v[18:19]
	s_delay_alu instid0(VALU_DEP_2) | instskip(SKIP_3) | instid1(VALU_DEP_2)
	v_mul_f64_e32 v[32:33], 0.5, v[4:5]
	s_or_b32 s33, vcc_lo, s33
	v_cndmask_b32_e64 v29, 0x7ff80000, v50, s4
	v_cndmask_b32_e64 v8, 0, v51, s4
	v_bfi_b32 v9, 0x7fffffff, v29, v9
	v_mul_f64_e32 v[28:29], 0.5, v[12:13]
	v_ldexp_f64 v[2:3], v[2:3], -2
	v_ldexp_f64 v[6:7], v[6:7], -2
	;; [unrolled: 1-line block ×3, first 2 shown]
	v_mul_f64_e32 v[34:35], 0.5, v[8:9]
	v_ldexp_f64 v[14:15], v[14:15], -2
	v_fma_f64 v[4:5], 0x80000000, v[28:29], -v[2:3]
	v_fma_f64 v[8:9], 0x80000000, v[32:33], -v[6:7]
	v_fmamk_f64 v[2:3], v[2:3], 0x80000000, v[28:29]
	v_fma_f64 v[12:13], 0x80000000, v[34:35], -v[10:11]
	v_fma_f64 v[16:17], 0x80000000, v[30:31], -v[14:15]
	v_fmamk_f64 v[6:7], v[6:7], 0x80000000, v[32:33]
	v_fmamk_f64 v[10:11], v[10:11], 0x80000000, v[34:35]
	;; [unrolled: 1-line block ×3, first 2 shown]
	s_clause 0x3
	global_store_b128 v[38:39], v[2:5], off
	global_store_b128 v[38:39], v[6:9], off offset:16
	global_store_b128 v[38:39], v[10:13], off offset:32
	;; [unrolled: 1-line block ×3, first 2 shown]
	s_wait_xcnt 0x0
	s_and_not1_b32 exec_lo, exec_lo, s33
	s_cbranch_execnz .LBB67_3
.LBB67_4:
	s_or_b32 exec_lo, exec_lo, s17
	s_mov_b32 s2, 0
.LBB67_5:
	s_delay_alu instid0(SALU_CYCLE_1)
	s_and_not1_b32 vcc_lo, exec_lo, s2
	s_cbranch_vccnz .LBB67_25
; %bb.6:
	v_cmp_lt_i64_e64 s2, s[22:23], 1
	s_and_b32 vcc_lo, exec_lo, s2
	s_cbranch_vccnz .LBB67_25
; %bb.7:
	v_min_i64 v[18:19], 0x10000, s[22:23]
	v_min_u64 v[20:21], 0x10000, s[22:23]
	s_load_b32 s0, s[0:1], 0xc5c
	v_mov_b64_e32 v[22:23], 0xbf23e260bd3237f4
	v_mov_b64_e32 v[24:25], 0x3fc385386b47b09a
	v_dual_mov_b32 v1, 0 :: v_dual_mov_b32 v34, 0x7f3321d2
	v_mov_b32_e32 v35, 0x4002d97c
	s_mov_b32 s7, 0
	s_mov_b64 s[8:9], 0x3ff921fb54442d18
	s_mov_b64 s[10:11], 0x400921fb54442d18
	s_mov_b32 s13, s7
	s_mov_b32 s15, s7
	s_mov_b64 s[16:17], 0x3fe5555555555555
	s_mov_b64 s[22:23], 0x3fe62e42fefa39ef
	s_mov_b32 s25, s7
	s_mov_b64 s[26:27], 0
                                        ; implicit-def: $vgpr2_vgpr3
                                        ; implicit-def: $vgpr2_vgpr3
	;; [unrolled: 1-line block ×23, first 2 shown]
	s_wait_kmcnt 0x0
	s_and_b32 s6, s0, 0xffff
	s_delay_alu instid0(SALU_CYCLE_1)
	s_lshl_b32 s12, s6, 1
	s_mul_i32 s14, s6, 3
	s_lshl_b32 s24, s6, 2
	s_branch .LBB67_9
.LBB67_8:                               ;   in Loop: Header=BB67_9 Depth=1
	s_wait_xcnt 0x0
	s_or_b32 exec_lo, exec_lo, s3
	s_add_nc_u64 s[26:27], s[26:27], s[24:25]
	s_delay_alu instid0(SALU_CYCLE_1)
	v_cmp_ge_i64_e32 vcc_lo, s[26:27], v[18:19]
	s_cbranch_vccnz .LBB67_25
.LBB67_9:                               ; =>This Inner Loop Header: Depth=1
	v_add_nc_u64_e32 v[32:33], s[26:27], v[0:1]
	s_wait_loadcnt 0x0
	v_mov_b64_e32 v[12:13], 0
	v_mov_b64_e32 v[16:17], 0
	v_mov_b64_e32 v[14:15], 0
	s_delay_alu instid0(VALU_DEP_4)
	v_cmp_lt_u64_e32 vcc_lo, v[32:33], v[20:21]
	s_and_saveexec_b32 s0, vcc_lo
	s_cbranch_execz .LBB67_11
; %bb.10:                               ;   in Loop: Header=BB67_9 Depth=1
	v_lshl_add_u64 v[2:3], v[32:33], 4, s[18:19]
	global_load_b128 v[14:17], v[2:3], off
.LBB67_11:                              ;   in Loop: Header=BB67_9 Depth=1
	s_wait_xcnt 0x0
	s_or_b32 exec_lo, exec_lo, s0
	v_add_nc_u64_e32 v[30:31], s[6:7], v[32:33]
	v_mov_b64_e32 v[10:11], 0
	s_delay_alu instid0(VALU_DEP_2)
	v_cmp_lt_u64_e64 s2, v[30:31], v[20:21]
	s_and_saveexec_b32 s0, s2
	s_cbranch_execz .LBB67_13
; %bb.12:                               ;   in Loop: Header=BB67_9 Depth=1
	v_lshl_add_u64 v[2:3], v[30:31], 4, s[18:19]
	global_load_b128 v[10:13], v[2:3], off
.LBB67_13:                              ;   in Loop: Header=BB67_9 Depth=1
	s_wait_xcnt 0x0
	s_or_b32 exec_lo, exec_lo, s0
	v_add_nc_u64_e32 v[28:29], s[12:13], v[32:33]
	v_mov_b64_e32 v[4:5], 0
	v_mov_b64_e32 v[8:9], 0
	;; [unrolled: 1-line block ×3, first 2 shown]
	s_delay_alu instid0(VALU_DEP_4)
	v_cmp_lt_u64_e64 s1, v[28:29], v[20:21]
	s_and_saveexec_b32 s0, s1
	s_cbranch_execz .LBB67_15
; %bb.14:                               ;   in Loop: Header=BB67_9 Depth=1
	v_lshl_add_u64 v[2:3], v[28:29], 4, s[18:19]
	global_load_b128 v[6:9], v[2:3], off
.LBB67_15:                              ;   in Loop: Header=BB67_9 Depth=1
	s_wait_xcnt 0x0
	s_or_b32 exec_lo, exec_lo, s0
	v_add_nc_u64_e32 v[26:27], s[14:15], v[32:33]
	v_mov_b64_e32 v[2:3], 0
	s_delay_alu instid0(VALU_DEP_2)
	v_cmp_lt_u64_e64 s0, v[26:27], v[20:21]
	s_and_saveexec_b32 s3, s0
	s_cbranch_execnz .LBB67_20
; %bb.16:                               ;   in Loop: Header=BB67_9 Depth=1
	s_or_b32 exec_lo, exec_lo, s3
	s_and_saveexec_b32 s28, vcc_lo
	s_cbranch_execnz .LBB67_21
.LBB67_17:                              ;   in Loop: Header=BB67_9 Depth=1
	s_or_b32 exec_lo, exec_lo, s28
	s_and_saveexec_b32 s5, s2
	s_cbranch_execnz .LBB67_22
.LBB67_18:                              ;   in Loop: Header=BB67_9 Depth=1
	s_or_b32 exec_lo, exec_lo, s5
	s_and_saveexec_b32 s4, s1
	s_cbranch_execnz .LBB67_23
.LBB67_19:                              ;   in Loop: Header=BB67_9 Depth=1
	s_or_b32 exec_lo, exec_lo, s4
	s_and_saveexec_b32 s3, s0
	s_cbranch_execz .LBB67_8
	s_branch .LBB67_24
.LBB67_20:                              ;   in Loop: Header=BB67_9 Depth=1
	v_lshl_add_u64 v[2:3], v[26:27], 4, s[18:19]
	global_load_b128 v[2:5], v[2:3], off
	s_wait_xcnt 0x0
	s_or_b32 exec_lo, exec_lo, s3
	s_and_saveexec_b32 s28, vcc_lo
	s_cbranch_execz .LBB67_17
.LBB67_21:                              ;   in Loop: Header=BB67_9 Depth=1
	s_wait_loadcnt 0x0
	v_fma_f64 v[36:37], v[14:15], 0, -v[16:17]
	v_fmac_f64_e32 v[14:15], 0, v[16:17]
	v_lshl_add_u64 v[32:33], v[32:33], 4, s[20:21]
	s_delay_alu instid0(VALU_DEP_3) | instskip(NEXT) | instid1(VALU_DEP_3)
	v_add_f64_e32 v[38:39], 1.0, v[36:37]
	v_mul_f64_e32 v[16:17], v[14:15], v[14:15]
	v_add_f64_e64 v[40:41], -v[36:37], 1.0
	v_fma_f64 v[36:37], -v[36:37], v[36:37], 1.0
	s_delay_alu instid0(VALU_DEP_3) | instskip(NEXT) | instid1(VALU_DEP_3)
	v_fma_f64 v[38:39], v[38:39], v[38:39], v[16:17]
	v_fmac_f64_e32 v[16:17], v[40:41], v[40:41]
	s_delay_alu instid0(VALU_DEP_2) | instskip(NEXT) | instid1(VALU_DEP_2)
	v_frexp_mant_f64_e32 v[40:41], v[38:39]
	v_frexp_mant_f64_e32 v[42:43], v[16:17]
	v_frexp_exp_i32_f64_e32 v44, v[38:39]
	v_frexp_exp_i32_f64_e32 v45, v[16:17]
	s_delay_alu instid0(VALU_DEP_4) | instskip(NEXT) | instid1(VALU_DEP_4)
	v_cmp_gt_f64_e32 vcc_lo, s[16:17], v[40:41]
	v_cmp_gt_f64_e64 s3, s[16:17], v[42:43]
	s_delay_alu instid0(VALU_DEP_4) | instskip(NEXT) | instid1(VALU_DEP_2)
	v_subrev_co_ci_u32_e64 v74, null, 0, v44, vcc_lo
	v_subrev_co_ci_u32_e64 v75, null, 0, v45, s3
	v_cndmask_b32_e64 v44, 0, 1, vcc_lo
	v_cndmask_b32_e64 v45, 0, 1, s3
	v_cmp_class_f64_e64 s3, v[16:17], 0x204
	s_delay_alu instid0(VALU_DEP_3) | instskip(NEXT) | instid1(VALU_DEP_3)
	v_ldexp_f64 v[40:41], v[40:41], v44
	v_ldexp_f64 v[42:43], v[42:43], v45
	s_delay_alu instid0(VALU_DEP_2) | instskip(NEXT) | instid1(VALU_DEP_2)
	v_add_f64_e32 v[44:45], 1.0, v[40:41]
	v_add_f64_e32 v[46:47], 1.0, v[42:43]
	v_add_f64_e32 v[56:57], -1.0, v[40:41]
	v_add_f64_e32 v[58:59], -1.0, v[42:43]
	s_delay_alu instid0(VALU_DEP_4) | instskip(NEXT) | instid1(VALU_DEP_3)
	v_rcp_f64_e32 v[48:49], v[44:45]
	v_rcp_f64_e32 v[50:51], v[46:47]
	v_add_f64_e32 v[60:61], -1.0, v[44:45]
	v_add_f64_e32 v[62:63], -1.0, v[46:47]
	s_delay_alu instid0(VALU_DEP_2) | instskip(NEXT) | instid1(VALU_DEP_2)
	v_add_f64_e64 v[40:41], v[40:41], -v[60:61]
	v_add_f64_e64 v[42:43], v[42:43], -v[62:63]
	s_delay_alu instid0(TRANS32_DEP_2) | instskip(NEXT) | instid1(TRANS32_DEP_1)
	v_fma_f64 v[52:53], -v[44:45], v[48:49], 1.0
	v_fma_f64 v[54:55], -v[46:47], v[50:51], 1.0
	s_delay_alu instid0(VALU_DEP_2) | instskip(NEXT) | instid1(VALU_DEP_2)
	v_fmac_f64_e32 v[48:49], v[52:53], v[48:49]
	v_fmac_f64_e32 v[50:51], v[54:55], v[50:51]
	s_delay_alu instid0(VALU_DEP_2) | instskip(NEXT) | instid1(VALU_DEP_2)
	v_fma_f64 v[52:53], -v[44:45], v[48:49], 1.0
	v_fma_f64 v[54:55], -v[46:47], v[50:51], 1.0
	s_delay_alu instid0(VALU_DEP_2) | instskip(NEXT) | instid1(VALU_DEP_2)
	v_fmac_f64_e32 v[48:49], v[52:53], v[48:49]
	v_fmac_f64_e32 v[50:51], v[54:55], v[50:51]
	s_delay_alu instid0(VALU_DEP_2) | instskip(NEXT) | instid1(VALU_DEP_2)
	v_mul_f64_e32 v[52:53], v[56:57], v[48:49]
	v_mul_f64_e32 v[54:55], v[58:59], v[50:51]
	s_delay_alu instid0(VALU_DEP_2) | instskip(NEXT) | instid1(VALU_DEP_2)
	v_mul_f64_e32 v[64:65], v[44:45], v[52:53]
	v_mul_f64_e32 v[66:67], v[46:47], v[54:55]
	s_delay_alu instid0(VALU_DEP_2) | instskip(NEXT) | instid1(VALU_DEP_2)
	v_fma_f64 v[44:45], v[52:53], v[44:45], -v[64:65]
	v_fma_f64 v[46:47], v[54:55], v[46:47], -v[66:67]
	s_delay_alu instid0(VALU_DEP_2) | instskip(NEXT) | instid1(VALU_DEP_2)
	v_fmac_f64_e32 v[44:45], v[52:53], v[40:41]
	v_fmac_f64_e32 v[46:47], v[54:55], v[42:43]
	s_delay_alu instid0(VALU_DEP_2) | instskip(NEXT) | instid1(VALU_DEP_2)
	v_add_f64_e32 v[40:41], v[64:65], v[44:45]
	v_add_f64_e32 v[42:43], v[66:67], v[46:47]
	s_delay_alu instid0(VALU_DEP_2) | instskip(NEXT) | instid1(VALU_DEP_2)
	v_add_f64_e64 v[60:61], v[56:57], -v[40:41]
	v_add_f64_e64 v[62:63], v[58:59], -v[42:43]
	v_add_f64_e64 v[64:65], v[40:41], -v[64:65]
	v_add_f64_e64 v[66:67], v[42:43], -v[66:67]
	s_delay_alu instid0(VALU_DEP_4) | instskip(NEXT) | instid1(VALU_DEP_4)
	v_add_f64_e64 v[56:57], v[56:57], -v[60:61]
	v_add_f64_e64 v[58:59], v[58:59], -v[62:63]
	s_delay_alu instid0(VALU_DEP_4) | instskip(NEXT) | instid1(VALU_DEP_4)
	v_add_f64_e64 v[44:45], v[64:65], -v[44:45]
	v_add_f64_e64 v[46:47], v[66:67], -v[46:47]
	;; [unrolled: 3-line block ×3, first 2 shown]
	s_delay_alu instid0(VALU_DEP_2) | instskip(NEXT) | instid1(VALU_DEP_2)
	v_add_f64_e32 v[40:41], v[44:45], v[40:41]
	v_add_f64_e32 v[42:43], v[46:47], v[42:43]
	;; [unrolled: 1-line block ×3, first 2 shown]
	v_fma_f64 v[14:15], -v[14:15], v[14:15], v[36:37]
	s_delay_alu instid0(VALU_DEP_4) | instskip(NEXT) | instid1(VALU_DEP_4)
	v_add_f64_e32 v[40:41], v[60:61], v[40:41]
	v_add_f64_e32 v[42:43], v[62:63], v[42:43]
	s_delay_alu instid0(VALU_DEP_4) | instskip(NEXT) | instid1(VALU_DEP_4)
	v_cmp_eq_f64_e64 s5, 0, v[44:45]
	v_max_num_f64_e64 v[46:47], |v[14:15]|, |v[44:45]|
	v_cmp_class_f64_e64 s29, v[44:45], 0x204
	v_cmp_class_f64_e64 s30, v[14:15], 0x204
	v_cmp_gt_i32_e64 s4, 0, v15
	v_mul_f64_e32 v[36:37], v[48:49], v[40:41]
	v_mul_f64_e32 v[40:41], v[50:51], v[42:43]
	v_min_num_f64_e64 v[42:43], |v[14:15]|, |v[44:45]|
	s_delay_alu instid0(VALU_DEP_3) | instskip(NEXT) | instid1(VALU_DEP_3)
	v_add_f64_e32 v[48:49], v[52:53], v[36:37]
	v_add_f64_e32 v[50:51], v[54:55], v[40:41]
	s_delay_alu instid0(VALU_DEP_3) | instskip(NEXT) | instid1(VALU_DEP_3)
	v_div_scale_f64 v[56:57], null, v[46:47], v[46:47], v[42:43]
	v_mul_f64_e32 v[58:59], v[48:49], v[48:49]
	s_delay_alu instid0(VALU_DEP_3) | instskip(NEXT) | instid1(VALU_DEP_3)
	v_mul_f64_e32 v[60:61], v[50:51], v[50:51]
	v_rcp_f64_e32 v[62:63], v[56:57]
	s_delay_alu instid0(VALU_DEP_2) | instskip(NEXT) | instid1(VALU_DEP_2)
	v_fmamk_f64 v[64:65], v[58:59], 0x3fc3ab76bf559e2b, v[24:25]
	v_fmamk_f64 v[66:67], v[60:61], 0x3fc3ab76bf559e2b, v[24:25]
	v_mul_f64_e32 v[68:69], v[48:49], v[58:59]
	v_mul_f64_e32 v[70:71], v[50:51], v[60:61]
	s_delay_alu instid0(VALU_DEP_4) | instskip(NEXT) | instid1(VALU_DEP_4)
	v_fmaak_f64 v[64:65], v[58:59], v[64:65], 0x3fc7474dd7f4df2e
	v_fmaak_f64 v[66:67], v[60:61], v[66:67], 0x3fc7474dd7f4df2e
	s_delay_alu instid0(TRANS32_DEP_1) | instskip(NEXT) | instid1(VALU_DEP_3)
	v_fma_f64 v[72:73], -v[56:57], v[62:63], 1.0
	v_fmaak_f64 v[64:65], v[58:59], v[64:65], 0x3fcc71c016291751
	s_delay_alu instid0(VALU_DEP_3) | instskip(NEXT) | instid1(VALU_DEP_2)
	v_fmaak_f64 v[66:67], v[60:61], v[66:67], 0x3fcc71c016291751
	v_fmaak_f64 v[64:65], v[58:59], v[64:65], 0x3fd249249b27acf1
	s_delay_alu instid0(VALU_DEP_2) | instskip(NEXT) | instid1(VALU_DEP_2)
	v_fmaak_f64 v[66:67], v[60:61], v[66:67], 0x3fd249249b27acf1
	v_fmaak_f64 v[64:65], v[58:59], v[64:65], 0x3fd99999998ef7b6
	s_delay_alu instid0(VALU_DEP_2) | instskip(NEXT) | instid1(VALU_DEP_2)
	v_fmaak_f64 v[66:67], v[60:61], v[66:67], 0x3fd99999998ef7b6
	v_fmaak_f64 v[58:59], v[58:59], v[64:65], 0x3fe5555555555780
	s_delay_alu instid0(VALU_DEP_2)
	v_fmaak_f64 v[60:61], v[60:61], v[66:67], 0x3fe5555555555780
	v_ldexp_f64 v[64:65], v[48:49], 1
	v_ldexp_f64 v[66:67], v[50:51], 1
	v_add_f64_e64 v[48:49], v[48:49], -v[52:53]
	v_add_f64_e64 v[50:51], v[50:51], -v[54:55]
	v_fmac_f64_e32 v[62:63], v[62:63], v[72:73]
	v_mul_f64_e32 v[58:59], v[68:69], v[58:59]
	v_mul_f64_e32 v[60:61], v[70:71], v[60:61]
	v_cvt_f64_i32_e32 v[68:69], v74
	v_cvt_f64_i32_e32 v[70:71], v75
	v_add_f64_e64 v[36:37], v[36:37], -v[48:49]
	v_add_f64_e64 v[40:41], v[40:41], -v[50:51]
	v_fma_f64 v[72:73], -v[56:57], v[62:63], 1.0
	v_add_f64_e32 v[52:53], v[64:65], v[58:59]
	v_add_f64_e32 v[54:55], v[66:67], v[60:61]
	v_mul_f64_e32 v[74:75], 0x3fe62e42fefa39ef, v[68:69]
	v_mul_f64_e32 v[76:77], 0x3fe62e42fefa39ef, v[70:71]
	v_ldexp_f64 v[36:37], v[36:37], 1
	v_ldexp_f64 v[40:41], v[40:41], 1
	v_fmac_f64_e32 v[62:63], v[62:63], v[72:73]
	v_add_f64_e64 v[48:49], v[52:53], -v[64:65]
	v_add_f64_e64 v[50:51], v[54:55], -v[66:67]
	v_div_scale_f64 v[64:65], vcc_lo, v[42:43], v[46:47], v[42:43]
	v_fma_f64 v[66:67], v[68:69], s[22:23], -v[74:75]
	v_fma_f64 v[72:73], v[70:71], s[22:23], -v[76:77]
	v_add_f64_e64 v[48:49], v[58:59], -v[48:49]
	v_add_f64_e64 v[50:51], v[60:61], -v[50:51]
	v_mul_f64_e32 v[58:59], v[64:65], v[62:63]
	v_fmac_f64_e32 v[66:67], 0x3c7abc9e3b39803f, v[68:69]
	v_fmac_f64_e32 v[72:73], 0x3c7abc9e3b39803f, v[70:71]
	v_add_f64_e32 v[36:37], v[36:37], v[48:49]
	v_add_f64_e32 v[40:41], v[40:41], v[50:51]
	v_fma_f64 v[48:49], -v[56:57], v[58:59], v[64:65]
	v_add_f64_e32 v[50:51], v[74:75], v[66:67]
	v_add_f64_e32 v[56:57], v[76:77], v[72:73]
	;; [unrolled: 1-line block ×4, first 2 shown]
	v_div_fmas_f64 v[48:49], v[48:49], v[62:63], v[58:59]
	v_cmp_lt_f64_e64 vcc_lo, |v[14:15]|, |v[44:45]|
	v_add_f64_e64 v[70:71], v[50:51], -v[74:75]
	v_add_f64_e64 v[74:75], v[56:57], -v[76:77]
	v_add_f64_e32 v[58:59], v[50:51], v[60:61]
	v_add_f64_e32 v[62:63], v[56:57], v[64:65]
	v_div_fixup_f64 v[42:43], v[48:49], v[46:47], v[42:43]
	v_add_f64_e64 v[52:53], v[60:61], -v[52:53]
	v_add_f64_e64 v[54:55], v[64:65], -v[54:55]
	;; [unrolled: 1-line block ×6, first 2 shown]
	v_mul_f64_e32 v[68:69], v[42:43], v[42:43]
	v_add_f64_e64 v[36:37], v[36:37], -v[52:53]
	v_add_f64_e64 v[40:41], v[40:41], -v[54:55]
	;; [unrolled: 1-line block ×4, first 2 shown]
	v_fmamk_f64 v[80:81], v[68:69], 0x3eeba404b5e68a13, v[22:23]
	v_add_f64_e64 v[46:47], v[60:61], -v[46:47]
	v_add_f64_e64 v[48:49], v[64:65], -v[48:49]
	v_add_f64_e32 v[60:61], v[70:71], v[40:41]
	s_delay_alu instid0(VALU_DEP_4) | instskip(NEXT) | instid1(VALU_DEP_1)
	v_fmaak_f64 v[80:81], v[68:69], v[80:81], 0x3f4b2bb069efb384
	v_fmaak_f64 v[80:81], v[68:69], v[80:81], 0xbf67952daf56de9b
	s_delay_alu instid0(VALU_DEP_1) | instskip(NEXT) | instid1(VALU_DEP_1)
	v_fmaak_f64 v[72:73], v[68:69], v[80:81], 0x3f7d6d43a595c56f
	v_fmaak_f64 v[54:55], v[68:69], v[72:73], 0xbf8c6ea4a57d9582
	v_add_f64_e64 v[50:51], v[50:51], -v[76:77]
	v_add_f64_e64 v[52:53], v[56:57], -v[78:79]
	v_add_f64_e32 v[56:57], v[66:67], v[36:37]
	s_delay_alu instid0(VALU_DEP_4) | instskip(NEXT) | instid1(VALU_DEP_1)
	v_fmaak_f64 v[54:55], v[68:69], v[54:55], 0x3f967e295f08b19f
	v_fmaak_f64 v[54:55], v[68:69], v[54:55], 0xbf9e9ae6fc27006a
	s_delay_alu instid0(VALU_DEP_1) | instskip(SKIP_2) | instid1(VALU_DEP_3)
	v_fmaak_f64 v[54:55], v[68:69], v[54:55], 0x3fa2c15b5711927a
	v_add_f64_e32 v[46:47], v[46:47], v[50:51]
	v_add_f64_e32 v[48:49], v[48:49], v[52:53]
	v_fmaak_f64 v[50:51], v[68:69], v[54:55], 0xbfa59976e82d3ff0
	v_add_f64_e64 v[52:53], v[56:57], -v[66:67]
	v_add_f64_e64 v[54:55], v[60:61], -v[70:71]
	s_delay_alu instid0(VALU_DEP_3) | instskip(NEXT) | instid1(VALU_DEP_1)
	v_fmaak_f64 v[50:51], v[68:69], v[50:51], 0x3fa82d5d6ef28734
	v_fmaak_f64 v[50:51], v[68:69], v[50:51], 0xbfaae5ce6a214619
	s_delay_alu instid0(VALU_DEP_1) | instskip(NEXT) | instid1(VALU_DEP_1)
	v_fmaak_f64 v[50:51], v[68:69], v[50:51], 0x3fae1bb48427b883
	v_fmaak_f64 v[50:51], v[68:69], v[50:51], 0xbfb110e48b207f05
	v_add_f64_e32 v[46:47], v[56:57], v[46:47]
	v_add_f64_e32 v[48:49], v[60:61], v[48:49]
	v_add_f64_e64 v[56:57], v[56:57], -v[52:53]
	v_add_f64_e64 v[60:61], v[60:61], -v[54:55]
	v_fmaak_f64 v[50:51], v[68:69], v[50:51], 0x3fb3b13657b87036
	v_add_f64_e64 v[36:37], v[36:37], -v[52:53]
	v_add_f64_e64 v[40:41], v[40:41], -v[54:55]
	s_delay_alu instid0(VALU_DEP_3) | instskip(NEXT) | instid1(VALU_DEP_1)
	v_fmaak_f64 v[50:51], v[68:69], v[50:51], 0xbfb745d119378e4f
	v_fmaak_f64 v[50:51], v[68:69], v[50:51], 0x3fbc71c717e1913c
	s_delay_alu instid0(VALU_DEP_1) | instskip(SKIP_2) | instid1(VALU_DEP_3)
	v_fmaak_f64 v[50:51], v[68:69], v[50:51], 0xbfc2492492376b7d
	v_add_f64_e32 v[64:65], v[58:59], v[46:47]
	v_add_f64_e32 v[72:73], v[62:63], v[48:49]
	v_fmaak_f64 v[50:51], v[68:69], v[50:51], 0x3fc99999999952cc
	v_add_f64_e64 v[52:53], v[66:67], -v[56:57]
	v_add_f64_e64 v[54:55], v[70:71], -v[60:61]
	s_delay_alu instid0(VALU_DEP_3) | instskip(NEXT) | instid1(VALU_DEP_1)
	v_fmaak_f64 v[50:51], v[68:69], v[50:51], 0xbfd5555555555523
	v_mul_f64_e32 v[50:51], v[68:69], v[50:51]
	v_add_f64_e64 v[56:57], v[64:65], -v[58:59]
	v_add_f64_e64 v[58:59], v[72:73], -v[62:63]
	v_add_f64_e32 v[36:37], v[36:37], v[52:53]
	v_add_f64_e32 v[40:41], v[40:41], v[54:55]
	v_fmac_f64_e32 v[42:43], v[42:43], v[50:51]
	v_add_f64_e64 v[46:47], v[46:47], -v[56:57]
	v_add_f64_e64 v[48:49], v[48:49], -v[58:59]
	s_delay_alu instid0(VALU_DEP_3) | instskip(NEXT) | instid1(VALU_DEP_3)
	v_add_f64_e64 v[50:51], -v[42:43], s[8:9]
	v_add_f64_e32 v[36:37], v[36:37], v[46:47]
	s_delay_alu instid0(VALU_DEP_3) | instskip(SKIP_1) | instid1(VALU_DEP_4)
	v_dual_add_f64 v[40:41], v[40:41], v[48:49] :: v_dual_ashrrev_i32 v48, 31, v15
	v_cndmask_b32_e64 v49, 0x54442d18, v34, s4
	v_dual_cndmask_b32 v43, v43, v51 :: v_dual_cndmask_b32 v42, v42, v50
	v_cmp_class_f64_e64 vcc_lo, v[38:39], 0x204
	s_delay_alu instid0(VALU_DEP_4) | instskip(NEXT) | instid1(VALU_DEP_3)
	v_and_b32_e32 v50, 0x54442d18, v48
	v_add_f64_e64 v[46:47], -v[42:43], s[10:11]
	v_add_f64_e32 v[36:37], v[64:65], v[36:37]
	s_delay_alu instid0(VALU_DEP_2) | instskip(NEXT) | instid1(VALU_DEP_2)
	v_dual_add_f64 v[40:41], v[72:73], v[40:41] :: v_dual_cndmask_b32 v42, v42, v46, s4
	v_dual_cndmask_b32 v36, v36, v38 :: v_dual_cndmask_b32 v37, v37, v39
	v_cmp_neq_f64_e32 vcc_lo, 0, v[38:39]
	s_delay_alu instid0(VALU_DEP_3)
	v_dual_cndmask_b32 v38, v40, v16, s3 :: v_dual_cndmask_b32 v39, v41, v17, s3
	v_cmp_neq_f64_e64 s3, 0, v[16:17]
	v_and_b32_e32 v16, 0x400921fb, v48
	v_cndmask_b32_e64 v17, v43, v47, s4
	v_cndmask_b32_e64 v40, 0x3fe921fb, v35, s4
	;; [unrolled: 1-line block ×3, first 2 shown]
	s_and_b32 s4, s29, s30
	s_delay_alu instid0(VALU_DEP_3) | instskip(NEXT) | instid1(VALU_DEP_1)
	v_cndmask_b32_e64 v16, v17, v16, s5
	v_dual_cndmask_b32 v41, v41, v49, s4 :: v_dual_cndmask_b32 v40, v16, v40, s4
	v_cmp_o_f64_e64 s4, v[14:15], v[44:45]
	v_cndmask_b32_e32 v15, 0xfff00000, v37, vcc_lo
	v_cndmask_b32_e32 v14, 0, v36, vcc_lo
	v_cndmask_b32_e64 v17, 0xfff00000, v39, s3
	v_cndmask_b32_e64 v16, 0, v38, s3
	s_delay_alu instid0(VALU_DEP_1) | instskip(SKIP_2) | instid1(VALU_DEP_2)
	v_add_f64_e64 v[16:17], v[14:15], -v[16:17]
	v_cndmask_b32_e64 v15, 0x7ff80000, v40, s4
	v_cndmask_b32_e64 v14, 0, v41, s4
	v_bfi_b32 v15, 0x7fffffff, v15, v45
	s_delay_alu instid0(VALU_DEP_1) | instskip(SKIP_1) | instid1(VALU_DEP_1)
	v_mul_f64_e32 v[14:15], 0.5, v[14:15]
	v_ldexp_f64 v[36:37], v[16:17], -2
	v_fma_f64 v[16:17], 0x80000000, v[14:15], -v[36:37]
	v_fmac_f64_e32 v[14:15], 0x80000000, v[36:37]
	global_store_b128 v[32:33], v[14:17], off
	s_wait_xcnt 0x0
	s_or_b32 exec_lo, exec_lo, s28
	s_and_saveexec_b32 s5, s2
	s_cbranch_execz .LBB67_18
.LBB67_22:                              ;   in Loop: Header=BB67_9 Depth=1
	s_wait_loadcnt 0x0
	v_fma_f64 v[16:17], v[10:11], 0, -v[12:13]
	v_fmac_f64_e32 v[10:11], 0, v[12:13]
	s_delay_alu instid0(VALU_DEP_2) | instskip(NEXT) | instid1(VALU_DEP_2)
	v_add_f64_e32 v[14:15], 1.0, v[16:17]
	v_mul_f64_e32 v[12:13], v[10:11], v[10:11]
	v_add_f64_e64 v[32:33], -v[16:17], 1.0
	v_fma_f64 v[16:17], -v[16:17], v[16:17], 1.0
	s_delay_alu instid0(VALU_DEP_3) | instskip(NEXT) | instid1(VALU_DEP_3)
	v_fma_f64 v[14:15], v[14:15], v[14:15], v[12:13]
	v_fmac_f64_e32 v[12:13], v[32:33], v[32:33]
	s_delay_alu instid0(VALU_DEP_2) | instskip(NEXT) | instid1(VALU_DEP_2)
	v_frexp_mant_f64_e32 v[32:33], v[14:15]
	v_frexp_mant_f64_e32 v[36:37], v[12:13]
	v_frexp_exp_i32_f64_e32 v68, v[14:15]
	v_frexp_exp_i32_f64_e32 v69, v[12:13]
	s_delay_alu instid0(VALU_DEP_4) | instskip(NEXT) | instid1(VALU_DEP_4)
	v_cmp_gt_f64_e32 vcc_lo, s[16:17], v[32:33]
	v_cmp_gt_f64_e64 s2, s[16:17], v[36:37]
	v_cndmask_b32_e64 v38, 0, 1, vcc_lo
	s_delay_alu instid0(VALU_DEP_2) | instskip(NEXT) | instid1(VALU_DEP_2)
	v_cndmask_b32_e64 v39, 0, 1, s2
	v_ldexp_f64 v[32:33], v[32:33], v38
	s_delay_alu instid0(VALU_DEP_2) | instskip(NEXT) | instid1(VALU_DEP_2)
	v_ldexp_f64 v[36:37], v[36:37], v39
	v_add_f64_e32 v[38:39], 1.0, v[32:33]
	s_delay_alu instid0(VALU_DEP_2) | instskip(SKIP_1) | instid1(VALU_DEP_3)
	v_add_f64_e32 v[40:41], 1.0, v[36:37]
	v_add_f64_e32 v[50:51], -1.0, v[32:33]
	v_rcp_f64_e32 v[42:43], v[38:39]
	s_delay_alu instid0(VALU_DEP_2) | instskip(SKIP_2) | instid1(VALU_DEP_2)
	v_rcp_f64_e32 v[44:45], v[40:41]
	v_add_f64_e32 v[54:55], -1.0, v[38:39]
	v_add_f64_e32 v[58:59], -1.0, v[40:41]
	v_add_f64_e64 v[32:33], v[32:33], -v[54:55]
	s_delay_alu instid0(TRANS32_DEP_2) | instskip(NEXT) | instid1(TRANS32_DEP_1)
	v_fma_f64 v[46:47], -v[38:39], v[42:43], 1.0
	v_fma_f64 v[48:49], -v[40:41], v[44:45], 1.0
	s_delay_alu instid0(VALU_DEP_2) | instskip(NEXT) | instid1(VALU_DEP_2)
	v_fmac_f64_e32 v[42:43], v[46:47], v[42:43]
	v_fmac_f64_e32 v[44:45], v[48:49], v[44:45]
	s_delay_alu instid0(VALU_DEP_2) | instskip(NEXT) | instid1(VALU_DEP_2)
	v_fma_f64 v[46:47], -v[38:39], v[42:43], 1.0
	v_fma_f64 v[48:49], -v[40:41], v[44:45], 1.0
	s_delay_alu instid0(VALU_DEP_2) | instskip(NEXT) | instid1(VALU_DEP_2)
	v_fmac_f64_e32 v[42:43], v[46:47], v[42:43]
	v_fmac_f64_e32 v[44:45], v[48:49], v[44:45]
	v_add_f64_e32 v[46:47], -1.0, v[36:37]
	v_add_f64_e64 v[36:37], v[36:37], -v[58:59]
	s_delay_alu instid0(VALU_DEP_4) | instskip(NEXT) | instid1(VALU_DEP_3)
	v_mul_f64_e32 v[48:49], v[50:51], v[42:43]
	v_mul_f64_e32 v[52:53], v[46:47], v[44:45]
	s_delay_alu instid0(VALU_DEP_2) | instskip(NEXT) | instid1(VALU_DEP_2)
	v_mul_f64_e32 v[56:57], v[38:39], v[48:49]
	v_mul_f64_e32 v[60:61], v[40:41], v[52:53]
	s_delay_alu instid0(VALU_DEP_2) | instskip(NEXT) | instid1(VALU_DEP_2)
	v_fma_f64 v[38:39], v[48:49], v[38:39], -v[56:57]
	v_fma_f64 v[40:41], v[52:53], v[40:41], -v[60:61]
	s_delay_alu instid0(VALU_DEP_2) | instskip(NEXT) | instid1(VALU_DEP_2)
	v_fmac_f64_e32 v[38:39], v[48:49], v[32:33]
	v_fmac_f64_e32 v[40:41], v[52:53], v[36:37]
	s_delay_alu instid0(VALU_DEP_2) | instskip(NEXT) | instid1(VALU_DEP_2)
	v_add_f64_e32 v[32:33], v[56:57], v[38:39]
	v_add_f64_e32 v[36:37], v[60:61], v[40:41]
	s_delay_alu instid0(VALU_DEP_2) | instskip(SKIP_1) | instid1(VALU_DEP_3)
	v_add_f64_e64 v[54:55], v[50:51], -v[32:33]
	v_add_f64_e64 v[56:57], v[32:33], -v[56:57]
	;; [unrolled: 1-line block ×4, first 2 shown]
	s_delay_alu instid0(VALU_DEP_4) | instskip(NEXT) | instid1(VALU_DEP_4)
	v_add_f64_e64 v[50:51], v[50:51], -v[54:55]
	v_add_f64_e64 v[38:39], v[56:57], -v[38:39]
	s_delay_alu instid0(VALU_DEP_3) | instskip(NEXT) | instid1(VALU_DEP_3)
	v_add_f64_e64 v[40:41], v[60:61], -v[40:41]
	v_add_f64_e64 v[32:33], v[50:51], -v[32:33]
	s_delay_alu instid0(VALU_DEP_1) | instskip(SKIP_1) | instid1(VALU_DEP_2)
	v_add_f64_e32 v[32:33], v[38:39], v[32:33]
	v_add_f64_e32 v[38:39], v[10:11], v[10:11]
	;; [unrolled: 1-line block ×3, first 2 shown]
	s_delay_alu instid0(VALU_DEP_2) | instskip(SKIP_1) | instid1(VALU_DEP_3)
	v_cmp_eq_f64_e64 s4, 0, v[38:39]
	v_fma_f64 v[10:11], -v[10:11], v[10:11], v[16:17]
	v_mul_f64_e32 v[16:17], v[42:43], v[32:33]
	s_delay_alu instid0(VALU_DEP_2) | instskip(SKIP_1) | instid1(VALU_DEP_3)
	v_cmp_gt_i32_e64 s3, 0, v11
	v_add_f64_e64 v[46:47], v[46:47], -v[58:59]
	v_add_f64_e32 v[42:43], v[48:49], v[16:17]
	s_delay_alu instid0(VALU_DEP_2) | instskip(NEXT) | instid1(VALU_DEP_2)
	v_add_f64_e64 v[36:37], v[46:47], -v[36:37]
	v_mul_f64_e32 v[50:51], v[42:43], v[42:43]
	s_delay_alu instid0(VALU_DEP_2) | instskip(SKIP_1) | instid1(VALU_DEP_3)
	v_add_f64_e32 v[36:37], v[40:41], v[36:37]
	v_min_num_f64_e64 v[40:41], |v[10:11]|, |v[38:39]|
	v_mul_f64_e32 v[62:63], v[42:43], v[50:51]
	s_delay_alu instid0(VALU_DEP_3) | instskip(SKIP_1) | instid1(VALU_DEP_1)
	v_add_f64_e32 v[36:37], v[58:59], v[36:37]
	v_fmamk_f64 v[58:59], v[50:51], 0x3fc3ab76bf559e2b, v[24:25]
	v_fmaak_f64 v[58:59], v[50:51], v[58:59], 0x3fc7474dd7f4df2e
	s_delay_alu instid0(VALU_DEP_1) | instskip(NEXT) | instid1(VALU_DEP_1)
	v_fmaak_f64 v[58:59], v[50:51], v[58:59], 0x3fcc71c016291751
	v_fmaak_f64 v[58:59], v[50:51], v[58:59], 0x3fd249249b27acf1
	s_delay_alu instid0(VALU_DEP_1) | instskip(SKIP_2) | instid1(VALU_DEP_3)
	v_fmaak_f64 v[58:59], v[50:51], v[58:59], 0x3fd99999998ef7b6
	v_mul_f64_e32 v[32:33], v[44:45], v[36:37]
	v_max_num_f64_e64 v[36:37], |v[10:11]|, |v[38:39]|
	v_fmaak_f64 v[50:51], v[50:51], v[58:59], 0x3fe5555555555780
	v_ldexp_f64 v[58:59], v[42:43], 1
	v_add_f64_e64 v[42:43], v[42:43], -v[48:49]
	s_delay_alu instid0(VALU_DEP_3) | instskip(SKIP_1) | instid1(VALU_DEP_1)
	v_mul_f64_e32 v[50:51], v[62:63], v[50:51]
	v_subrev_co_ci_u32_e64 v62, null, 0, v68, vcc_lo
	v_cvt_f64_i32_e32 v[62:63], v62
	v_add_f64_e32 v[44:45], v[52:53], v[32:33]
	v_div_scale_f64 v[46:47], null, v[36:37], v[36:37], v[40:41]
	v_add_f64_e64 v[16:17], v[16:17], -v[42:43]
	v_add_f64_e32 v[48:49], v[58:59], v[50:51]
	s_delay_alu instid0(VALU_DEP_4) | instskip(NEXT) | instid1(VALU_DEP_4)
	v_mul_f64_e32 v[54:55], v[44:45], v[44:45]
	v_rcp_f64_e32 v[56:57], v[46:47]
	s_delay_alu instid0(VALU_DEP_3) | instskip(NEXT) | instid1(VALU_DEP_3)
	v_ldexp_f64 v[16:17], v[16:17], 1
	v_add_f64_e64 v[42:43], v[48:49], -v[58:59]
	s_delay_alu instid0(VALU_DEP_3) | instskip(SKIP_1) | instid1(TRANS32_DEP_1)
	v_fmamk_f64 v[60:61], v[54:55], 0x3fc3ab76bf559e2b, v[24:25]
	v_mul_f64_e32 v[64:65], v[44:45], v[54:55]
	v_fma_f64 v[66:67], -v[46:47], v[56:57], 1.0
	s_delay_alu instid0(VALU_DEP_3) | instskip(SKIP_1) | instid1(VALU_DEP_2)
	v_fmaak_f64 v[60:61], v[54:55], v[60:61], 0x3fc7474dd7f4df2e
	v_add_f64_e64 v[42:43], v[50:51], -v[42:43]
	v_fmaak_f64 v[60:61], v[54:55], v[60:61], 0x3fcc71c016291751
	s_delay_alu instid0(VALU_DEP_1) | instskip(NEXT) | instid1(VALU_DEP_1)
	v_fmaak_f64 v[60:61], v[54:55], v[60:61], 0x3fd249249b27acf1
	v_fmaak_f64 v[60:61], v[54:55], v[60:61], 0x3fd99999998ef7b6
	s_delay_alu instid0(VALU_DEP_1) | instskip(SKIP_3) | instid1(VALU_DEP_4)
	v_fmaak_f64 v[54:55], v[54:55], v[60:61], 0x3fe5555555555780
	v_ldexp_f64 v[60:61], v[44:45], 1
	v_add_f64_e64 v[44:45], v[44:45], -v[52:53]
	v_fmac_f64_e32 v[56:57], v[56:57], v[66:67]
	v_mul_f64_e32 v[54:55], v[64:65], v[54:55]
	v_subrev_co_ci_u32_e64 v64, null, 0, v69, s2
	v_mul_f64_e32 v[68:69], 0x3fe62e42fefa39ef, v[62:63]
	v_add_f64_e32 v[16:17], v[16:17], v[42:43]
	v_cmp_class_f64_e64 s2, v[12:13], 0x204
	s_delay_alu instid0(VALU_DEP_4) | instskip(SKIP_3) | instid1(VALU_DEP_4)
	v_cvt_f64_i32_e32 v[64:65], v64
	v_add_f64_e64 v[32:33], v[32:33], -v[44:45]
	v_fma_f64 v[66:67], -v[46:47], v[56:57], 1.0
	v_add_f64_e32 v[52:53], v[60:61], v[54:55]
	v_mul_f64_e32 v[58:59], 0x3fe62e42fefa39ef, v[64:65]
	s_delay_alu instid0(VALU_DEP_4) | instskip(NEXT) | instid1(VALU_DEP_4)
	v_ldexp_f64 v[32:33], v[32:33], 1
	v_fmac_f64_e32 v[56:57], v[56:57], v[66:67]
	v_fma_f64 v[66:67], v[62:63], s[22:23], -v[68:69]
	v_add_f64_e64 v[44:45], v[52:53], -v[60:61]
	v_div_scale_f64 v[60:61], vcc_lo, v[40:41], v[36:37], v[40:41]
	v_fma_f64 v[50:51], v[64:65], s[22:23], -v[58:59]
	s_delay_alu instid0(VALU_DEP_4) | instskip(NEXT) | instid1(VALU_DEP_4)
	v_fmac_f64_e32 v[66:67], 0x3c7abc9e3b39803f, v[62:63]
	v_add_f64_e64 v[44:45], v[54:55], -v[44:45]
	s_delay_alu instid0(VALU_DEP_4) | instskip(NEXT) | instid1(VALU_DEP_4)
	v_mul_f64_e32 v[54:55], v[60:61], v[56:57]
	v_fmac_f64_e32 v[50:51], 0x3c7abc9e3b39803f, v[64:65]
	s_delay_alu instid0(VALU_DEP_3) | instskip(NEXT) | instid1(VALU_DEP_3)
	v_add_f64_e32 v[32:33], v[32:33], v[44:45]
	v_fma_f64 v[42:43], -v[46:47], v[54:55], v[60:61]
	v_add_f64_e32 v[44:45], v[68:69], v[66:67]
	v_add_f64_e32 v[46:47], v[48:49], v[16:17]
	;; [unrolled: 1-line block ×4, first 2 shown]
	v_div_fmas_f64 v[42:43], v[42:43], v[56:57], v[54:55]
	v_add_f64_e64 v[68:69], v[44:45], -v[68:69]
	v_add_f64_e32 v[54:55], v[44:45], v[46:47]
	v_add_f64_e64 v[48:49], v[46:47], -v[48:49]
	v_cmp_lt_f64_e64 vcc_lo, |v[10:11]|, |v[38:39]|
	v_add_f64_e64 v[58:59], v[60:61], -v[58:59]
	v_add_f64_e32 v[56:57], v[60:61], v[62:63]
	v_div_fixup_f64 v[36:37], v[42:43], v[36:37], v[40:41]
	v_add_f64_e64 v[52:53], v[62:63], -v[52:53]
	v_add_f64_e64 v[40:41], v[54:55], -v[44:45]
	;; [unrolled: 1-line block ×6, first 2 shown]
	v_mul_f64_e32 v[64:65], v[36:37], v[36:37]
	v_add_f64_e64 v[32:33], v[32:33], -v[52:53]
	v_add_f64_e64 v[70:71], v[54:55], -v[40:41]
	;; [unrolled: 1-line block ×3, first 2 shown]
	v_add_f64_e32 v[52:53], v[66:67], v[16:17]
	v_add_f64_e64 v[72:73], v[56:57], -v[42:43]
	v_fmamk_f64 v[74:75], v[64:65], 0x3eeba404b5e68a13, v[22:23]
	v_add_f64_e64 v[42:43], v[62:63], -v[42:43]
	v_add_f64_e64 v[44:45], v[44:45], -v[70:71]
	s_delay_alu instid0(VALU_DEP_3) | instskip(NEXT) | instid1(VALU_DEP_1)
	v_fmaak_f64 v[74:75], v[64:65], v[74:75], 0x3f4b2bb069efb384
	v_fmaak_f64 v[74:75], v[64:65], v[74:75], 0xbf67952daf56de9b
	s_delay_alu instid0(VALU_DEP_1) | instskip(NEXT) | instid1(VALU_DEP_1)
	v_fmaak_f64 v[58:59], v[64:65], v[74:75], 0x3f7d6d43a595c56f
	v_fmaak_f64 v[48:49], v[64:65], v[58:59], 0xbf8c6ea4a57d9582
	v_add_f64_e64 v[46:47], v[60:61], -v[72:73]
	v_add_f64_e32 v[40:41], v[40:41], v[44:45]
	s_delay_alu instid0(VALU_DEP_3) | instskip(SKIP_1) | instid1(VALU_DEP_2)
	v_fmaak_f64 v[48:49], v[64:65], v[48:49], 0x3f967e295f08b19f
	v_add_f64_e32 v[44:45], v[50:51], v[32:33]
	v_fmaak_f64 v[48:49], v[64:65], v[48:49], 0xbf9e9ae6fc27006a
	s_delay_alu instid0(VALU_DEP_1) | instskip(SKIP_1) | instid1(VALU_DEP_2)
	v_fmaak_f64 v[48:49], v[64:65], v[48:49], 0x3fa2c15b5711927a
	v_add_f64_e32 v[42:43], v[42:43], v[46:47]
	v_fmaak_f64 v[46:47], v[64:65], v[48:49], 0xbfa59976e82d3ff0
	v_add_f64_e64 v[48:49], v[52:53], -v[66:67]
	v_add_f64_e32 v[40:41], v[52:53], v[40:41]
	v_add_f64_e64 v[58:59], v[44:45], -v[50:51]
	s_delay_alu instid0(VALU_DEP_4) | instskip(NEXT) | instid1(VALU_DEP_1)
	v_fmaak_f64 v[46:47], v[64:65], v[46:47], 0x3fa82d5d6ef28734
	v_fmaak_f64 v[46:47], v[64:65], v[46:47], 0xbfaae5ce6a214619
	s_delay_alu instid0(VALU_DEP_1) | instskip(NEXT) | instid1(VALU_DEP_1)
	v_fmaak_f64 v[46:47], v[64:65], v[46:47], 0x3fae1bb48427b883
	v_fmaak_f64 v[46:47], v[64:65], v[46:47], 0xbfb110e48b207f05
	v_add_f64_e32 v[42:43], v[44:45], v[42:43]
	v_add_f64_e64 v[52:53], v[52:53], -v[48:49]
	v_add_f64_e32 v[60:61], v[54:55], v[40:41]
	s_delay_alu instid0(VALU_DEP_4) | instskip(SKIP_3) | instid1(VALU_DEP_4)
	v_fmaak_f64 v[46:47], v[64:65], v[46:47], 0x3fb3b13657b87036
	v_add_f64_e64 v[44:45], v[44:45], -v[58:59]
	v_add_f64_e64 v[16:17], v[16:17], -v[48:49]
	;; [unrolled: 1-line block ×3, first 2 shown]
	v_fmaak_f64 v[46:47], v[64:65], v[46:47], 0xbfb745d119378e4f
	s_delay_alu instid0(VALU_DEP_1) | instskip(NEXT) | instid1(VALU_DEP_1)
	v_fmaak_f64 v[46:47], v[64:65], v[46:47], 0x3fbc71c717e1913c
	v_fmaak_f64 v[46:47], v[64:65], v[46:47], 0xbfc2492492376b7d
	s_delay_alu instid0(VALU_DEP_1)
	v_fmaak_f64 v[46:47], v[64:65], v[46:47], 0x3fc99999999952cc
	v_add_f64_e32 v[62:63], v[56:57], v[42:43]
	v_add_f64_e64 v[48:49], v[66:67], -v[52:53]
	v_add_f64_e64 v[52:53], v[60:61], -v[54:55]
	;; [unrolled: 1-line block ×3, first 2 shown]
	v_fmaak_f64 v[46:47], v[64:65], v[46:47], 0xbfd5555555555523
	s_delay_alu instid0(VALU_DEP_1)
	v_mul_f64_e32 v[46:47], v[64:65], v[46:47]
	v_add_f64_e64 v[50:51], v[62:63], -v[56:57]
	v_add_f64_e32 v[16:17], v[16:17], v[48:49]
	v_add_f64_e64 v[40:41], v[40:41], -v[52:53]
	v_add_f64_e32 v[32:33], v[32:33], v[44:45]
	v_fmac_f64_e32 v[36:37], v[36:37], v[46:47]
	v_add_f64_e64 v[42:43], v[42:43], -v[50:51]
	s_delay_alu instid0(VALU_DEP_4) | instskip(NEXT) | instid1(VALU_DEP_3)
	v_add_f64_e32 v[16:17], v[16:17], v[40:41]
	v_add_f64_e64 v[44:45], -v[36:37], s[8:9]
	s_delay_alu instid0(VALU_DEP_3) | instskip(NEXT) | instid1(VALU_DEP_3)
	v_add_f64_e32 v[32:33], v[32:33], v[42:43]
	v_dual_add_f64 v[16:17], v[60:61], v[16:17] :: v_dual_ashrrev_i32 v42, 31, v11
	v_cndmask_b32_e64 v43, 0x54442d18, v34, s3
	s_delay_alu instid0(VALU_DEP_4) | instskip(SKIP_1) | instid1(VALU_DEP_4)
	v_dual_cndmask_b32 v37, v37, v45 :: v_dual_cndmask_b32 v36, v36, v44
	v_cmp_class_f64_e64 vcc_lo, v[14:15], 0x204
	v_and_b32_e32 v44, 0x54442d18, v42
	s_delay_alu instid0(VALU_DEP_3) | instskip(NEXT) | instid1(VALU_DEP_3)
	v_add_f64_e64 v[40:41], -v[36:37], s[10:11]
	v_dual_add_f64 v[32:33], v[62:63], v[32:33] :: v_dual_cndmask_b32 v16, v16, v14, vcc_lo
	v_cndmask_b32_e32 v17, v17, v15, vcc_lo
	v_cmp_neq_f64_e32 vcc_lo, 0, v[14:15]
	s_delay_alu instid0(VALU_DEP_4) | instskip(NEXT) | instid1(VALU_DEP_4)
	v_cndmask_b32_e64 v36, v36, v40, s3
	v_dual_cndmask_b32 v14, v32, v12, s2 :: v_dual_cndmask_b32 v15, v33, v13, s2
	v_cmp_neq_f64_e64 s2, 0, v[12:13]
	v_and_b32_e32 v12, 0x400921fb, v42
	s_delay_alu instid0(VALU_DEP_4) | instskip(SKIP_2) | instid1(VALU_DEP_3)
	v_dual_cndmask_b32 v13, v37, v41, s3 :: v_dual_cndmask_b32 v33, v36, v44, s4
	v_cmp_class_f64_e64 s28, v[38:39], 0x204
	v_cndmask_b32_e64 v32, 0x3fe921fb, v35, s3
	v_cndmask_b32_e64 v12, v13, v12, s4
	v_cmp_class_f64_e64 s29, v[10:11], 0x204
	v_cndmask_b32_e64 v13, 0xfff00000, v15, s2
	s_and_b32 s3, s28, s29
	s_delay_alu instid0(SALU_CYCLE_1) | instskip(SKIP_3) | instid1(VALU_DEP_1)
	v_dual_cndmask_b32 v32, v12, v32, s3 :: v_dual_cndmask_b32 v33, v33, v43, s3
	v_cmp_o_f64_e64 s3, v[10:11], v[38:39]
	v_cndmask_b32_e32 v11, 0xfff00000, v17, vcc_lo
	v_dual_cndmask_b32 v10, 0, v16, vcc_lo :: v_dual_cndmask_b32 v12, 0, v14, s2
	v_add_f64_e64 v[10:11], v[10:11], -v[12:13]
	s_delay_alu instid0(VALU_DEP_4) | instskip(SKIP_1) | instid1(VALU_DEP_2)
	v_cndmask_b32_e64 v13, 0x7ff80000, v32, s3
	v_cndmask_b32_e64 v12, 0, v33, s3
	v_bfi_b32 v13, 0x7fffffff, v13, v39
	s_delay_alu instid0(VALU_DEP_4) | instskip(NEXT) | instid1(VALU_DEP_2)
	v_ldexp_f64 v[10:11], v[10:11], -2
	v_mul_f64_e32 v[14:15], 0.5, v[12:13]
	s_delay_alu instid0(VALU_DEP_1)
	v_fma_f64 v[12:13], 0x80000000, v[14:15], -v[10:11]
	v_fmamk_f64 v[10:11], v[10:11], 0x80000000, v[14:15]
	v_lshl_add_u64 v[14:15], v[30:31], 4, s[20:21]
	global_store_b128 v[14:15], v[10:13], off
	s_wait_xcnt 0x0
	s_or_b32 exec_lo, exec_lo, s5
	s_and_saveexec_b32 s4, s1
	s_cbranch_execz .LBB67_19
.LBB67_23:                              ;   in Loop: Header=BB67_9 Depth=1
	s_wait_loadcnt 0x0
	v_fma_f64 v[12:13], v[6:7], 0, -v[8:9]
	v_fmac_f64_e32 v[6:7], 0, v[8:9]
	s_delay_alu instid0(VALU_DEP_2) | instskip(NEXT) | instid1(VALU_DEP_2)
	v_add_f64_e32 v[10:11], 1.0, v[12:13]
	v_mul_f64_e32 v[8:9], v[6:7], v[6:7]
	v_add_f64_e64 v[14:15], -v[12:13], 1.0
	v_fma_f64 v[12:13], -v[12:13], v[12:13], 1.0
	s_delay_alu instid0(VALU_DEP_3) | instskip(NEXT) | instid1(VALU_DEP_3)
	v_fma_f64 v[10:11], v[10:11], v[10:11], v[8:9]
	v_fmac_f64_e32 v[8:9], v[14:15], v[14:15]
	s_delay_alu instid0(VALU_DEP_2) | instskip(NEXT) | instid1(VALU_DEP_2)
	v_frexp_mant_f64_e32 v[14:15], v[10:11]
	v_frexp_mant_f64_e32 v[16:17], v[8:9]
	v_frexp_exp_i32_f64_e32 v62, v[10:11]
	v_frexp_exp_i32_f64_e32 v63, v[8:9]
	s_delay_alu instid0(VALU_DEP_4) | instskip(NEXT) | instid1(VALU_DEP_4)
	v_cmp_gt_f64_e32 vcc_lo, s[16:17], v[14:15]
	v_cmp_gt_f64_e64 s1, s[16:17], v[16:17]
	v_cndmask_b32_e64 v30, 0, 1, vcc_lo
	s_delay_alu instid0(VALU_DEP_2) | instskip(NEXT) | instid1(VALU_DEP_2)
	v_cndmask_b32_e64 v31, 0, 1, s1
	v_ldexp_f64 v[14:15], v[14:15], v30
	s_delay_alu instid0(VALU_DEP_2) | instskip(NEXT) | instid1(VALU_DEP_2)
	v_ldexp_f64 v[16:17], v[16:17], v31
	v_add_f64_e32 v[30:31], 1.0, v[14:15]
	s_delay_alu instid0(VALU_DEP_2) | instskip(SKIP_1) | instid1(VALU_DEP_3)
	v_add_f64_e32 v[32:33], 1.0, v[16:17]
	v_add_f64_e32 v[44:45], -1.0, v[14:15]
	v_rcp_f64_e32 v[36:37], v[30:31]
	s_delay_alu instid0(VALU_DEP_2) | instskip(SKIP_2) | instid1(VALU_DEP_2)
	v_rcp_f64_e32 v[38:39], v[32:33]
	v_add_f64_e32 v[48:49], -1.0, v[30:31]
	v_add_f64_e32 v[52:53], -1.0, v[32:33]
	v_add_f64_e64 v[14:15], v[14:15], -v[48:49]
	s_delay_alu instid0(TRANS32_DEP_2) | instskip(NEXT) | instid1(TRANS32_DEP_1)
	v_fma_f64 v[40:41], -v[30:31], v[36:37], 1.0
	v_fma_f64 v[42:43], -v[32:33], v[38:39], 1.0
	s_delay_alu instid0(VALU_DEP_2) | instskip(NEXT) | instid1(VALU_DEP_2)
	v_fmac_f64_e32 v[36:37], v[40:41], v[36:37]
	v_fmac_f64_e32 v[38:39], v[42:43], v[38:39]
	s_delay_alu instid0(VALU_DEP_2) | instskip(NEXT) | instid1(VALU_DEP_2)
	v_fma_f64 v[40:41], -v[30:31], v[36:37], 1.0
	v_fma_f64 v[42:43], -v[32:33], v[38:39], 1.0
	s_delay_alu instid0(VALU_DEP_2) | instskip(NEXT) | instid1(VALU_DEP_2)
	v_fmac_f64_e32 v[36:37], v[40:41], v[36:37]
	v_fmac_f64_e32 v[38:39], v[42:43], v[38:39]
	s_delay_alu instid0(VALU_DEP_2) | instskip(NEXT) | instid1(VALU_DEP_1)
	v_mul_f64_e32 v[42:43], v[44:45], v[36:37]
	v_mul_f64_e32 v[50:51], v[30:31], v[42:43]
	s_delay_alu instid0(VALU_DEP_1) | instskip(NEXT) | instid1(VALU_DEP_1)
	v_fma_f64 v[30:31], v[42:43], v[30:31], -v[50:51]
	v_fmac_f64_e32 v[30:31], v[42:43], v[14:15]
	s_delay_alu instid0(VALU_DEP_1) | instskip(NEXT) | instid1(VALU_DEP_1)
	v_add_f64_e32 v[14:15], v[50:51], v[30:31]
	v_add_f64_e64 v[48:49], v[44:45], -v[14:15]
	v_add_f64_e64 v[50:51], v[14:15], -v[50:51]
	s_delay_alu instid0(VALU_DEP_2) | instskip(NEXT) | instid1(VALU_DEP_2)
	v_add_f64_e64 v[44:45], v[44:45], -v[48:49]
	v_add_f64_e64 v[30:31], v[50:51], -v[30:31]
	s_delay_alu instid0(VALU_DEP_2) | instskip(NEXT) | instid1(VALU_DEP_1)
	v_add_f64_e64 v[14:15], v[44:45], -v[14:15]
	v_add_f64_e32 v[14:15], v[30:31], v[14:15]
	v_add_f64_e32 v[30:31], v[6:7], v[6:7]
	v_fma_f64 v[6:7], -v[6:7], v[6:7], v[12:13]
	v_add_f64_e32 v[40:41], -1.0, v[16:17]
	v_add_f64_e64 v[16:17], v[16:17], -v[52:53]
	v_add_f64_e32 v[14:15], v[48:49], v[14:15]
	v_cmp_eq_f64_e64 s3, 0, v[30:31]
	v_cmp_class_f64_e64 s5, v[30:31], 0x204
	v_mul_f64_e32 v[46:47], v[40:41], v[38:39]
	v_cmp_class_f64_e64 s28, v[6:7], 0x204
	v_cmp_gt_i32_e64 s2, 0, v7
	v_mul_f64_e32 v[12:13], v[36:37], v[14:15]
	s_delay_alu instid0(VALU_DEP_4) | instskip(NEXT) | instid1(VALU_DEP_2)
	v_mul_f64_e32 v[54:55], v[32:33], v[46:47]
	v_add_f64_e32 v[36:37], v[42:43], v[12:13]
	s_delay_alu instid0(VALU_DEP_2) | instskip(NEXT) | instid1(VALU_DEP_2)
	v_fma_f64 v[32:33], v[46:47], v[32:33], -v[54:55]
	v_mul_f64_e32 v[44:45], v[36:37], v[36:37]
	s_delay_alu instid0(VALU_DEP_2) | instskip(NEXT) | instid1(VALU_DEP_2)
	v_fmac_f64_e32 v[32:33], v[46:47], v[16:17]
	v_mul_f64_e32 v[56:57], v[36:37], v[44:45]
	s_delay_alu instid0(VALU_DEP_2) | instskip(NEXT) | instid1(VALU_DEP_1)
	v_add_f64_e32 v[16:17], v[54:55], v[32:33]
	v_add_f64_e64 v[52:53], v[40:41], -v[16:17]
	v_add_f64_e64 v[54:55], v[16:17], -v[54:55]
	s_delay_alu instid0(VALU_DEP_2) | instskip(NEXT) | instid1(VALU_DEP_2)
	v_add_f64_e64 v[40:41], v[40:41], -v[52:53]
	v_add_f64_e64 v[32:33], v[54:55], -v[32:33]
	s_delay_alu instid0(VALU_DEP_2) | instskip(NEXT) | instid1(VALU_DEP_1)
	v_add_f64_e64 v[16:17], v[40:41], -v[16:17]
	v_add_f64_e32 v[16:17], v[32:33], v[16:17]
	v_min_num_f64_e64 v[32:33], |v[6:7]|, |v[30:31]|
	s_delay_alu instid0(VALU_DEP_2) | instskip(SKIP_1) | instid1(VALU_DEP_1)
	v_add_f64_e32 v[16:17], v[52:53], v[16:17]
	v_fmamk_f64 v[52:53], v[44:45], 0x3fc3ab76bf559e2b, v[24:25]
	v_fmaak_f64 v[52:53], v[44:45], v[52:53], 0x3fc7474dd7f4df2e
	s_delay_alu instid0(VALU_DEP_1) | instskip(NEXT) | instid1(VALU_DEP_1)
	v_fmaak_f64 v[52:53], v[44:45], v[52:53], 0x3fcc71c016291751
	v_fmaak_f64 v[52:53], v[44:45], v[52:53], 0x3fd249249b27acf1
	s_delay_alu instid0(VALU_DEP_1) | instskip(SKIP_2) | instid1(VALU_DEP_3)
	v_fmaak_f64 v[52:53], v[44:45], v[52:53], 0x3fd99999998ef7b6
	v_mul_f64_e32 v[14:15], v[38:39], v[16:17]
	v_max_num_f64_e64 v[16:17], |v[6:7]|, |v[30:31]|
	v_fmaak_f64 v[44:45], v[44:45], v[52:53], 0x3fe5555555555780
	v_ldexp_f64 v[52:53], v[36:37], 1
	v_add_f64_e64 v[36:37], v[36:37], -v[42:43]
	s_delay_alu instid0(VALU_DEP_3) | instskip(SKIP_1) | instid1(VALU_DEP_1)
	v_mul_f64_e32 v[44:45], v[56:57], v[44:45]
	v_subrev_co_ci_u32_e64 v56, null, 0, v62, vcc_lo
	v_cvt_f64_i32_e32 v[56:57], v56
	v_add_f64_e32 v[38:39], v[46:47], v[14:15]
	v_div_scale_f64 v[40:41], null, v[16:17], v[16:17], v[32:33]
	v_add_f64_e64 v[12:13], v[12:13], -v[36:37]
	v_add_f64_e32 v[42:43], v[52:53], v[44:45]
	s_delay_alu instid0(VALU_DEP_4) | instskip(NEXT) | instid1(VALU_DEP_4)
	v_mul_f64_e32 v[48:49], v[38:39], v[38:39]
	v_rcp_f64_e32 v[50:51], v[40:41]
	s_delay_alu instid0(VALU_DEP_3) | instskip(NEXT) | instid1(VALU_DEP_3)
	v_ldexp_f64 v[12:13], v[12:13], 1
	v_add_f64_e64 v[36:37], v[42:43], -v[52:53]
	s_delay_alu instid0(VALU_DEP_3) | instskip(SKIP_1) | instid1(TRANS32_DEP_1)
	v_fmamk_f64 v[54:55], v[48:49], 0x3fc3ab76bf559e2b, v[24:25]
	v_mul_f64_e32 v[58:59], v[38:39], v[48:49]
	v_fma_f64 v[60:61], -v[40:41], v[50:51], 1.0
	s_delay_alu instid0(VALU_DEP_3) | instskip(SKIP_1) | instid1(VALU_DEP_2)
	v_fmaak_f64 v[54:55], v[48:49], v[54:55], 0x3fc7474dd7f4df2e
	v_add_f64_e64 v[36:37], v[44:45], -v[36:37]
	v_fmaak_f64 v[54:55], v[48:49], v[54:55], 0x3fcc71c016291751
	s_delay_alu instid0(VALU_DEP_1) | instskip(NEXT) | instid1(VALU_DEP_1)
	v_fmaak_f64 v[54:55], v[48:49], v[54:55], 0x3fd249249b27acf1
	v_fmaak_f64 v[54:55], v[48:49], v[54:55], 0x3fd99999998ef7b6
	s_delay_alu instid0(VALU_DEP_1) | instskip(SKIP_3) | instid1(VALU_DEP_4)
	v_fmaak_f64 v[48:49], v[48:49], v[54:55], 0x3fe5555555555780
	v_ldexp_f64 v[54:55], v[38:39], 1
	v_add_f64_e64 v[38:39], v[38:39], -v[46:47]
	v_fmac_f64_e32 v[50:51], v[50:51], v[60:61]
	v_mul_f64_e32 v[48:49], v[58:59], v[48:49]
	v_subrev_co_ci_u32_e64 v58, null, 0, v63, s1
	v_mul_f64_e32 v[62:63], 0x3fe62e42fefa39ef, v[56:57]
	v_add_f64_e32 v[12:13], v[12:13], v[36:37]
	v_cmp_class_f64_e64 s1, v[8:9], 0x204
	s_delay_alu instid0(VALU_DEP_4) | instskip(SKIP_3) | instid1(VALU_DEP_4)
	v_cvt_f64_i32_e32 v[58:59], v58
	v_add_f64_e64 v[14:15], v[14:15], -v[38:39]
	v_fma_f64 v[60:61], -v[40:41], v[50:51], 1.0
	v_add_f64_e32 v[46:47], v[54:55], v[48:49]
	v_mul_f64_e32 v[52:53], 0x3fe62e42fefa39ef, v[58:59]
	s_delay_alu instid0(VALU_DEP_4) | instskip(NEXT) | instid1(VALU_DEP_4)
	v_ldexp_f64 v[14:15], v[14:15], 1
	v_fmac_f64_e32 v[50:51], v[50:51], v[60:61]
	v_fma_f64 v[60:61], v[56:57], s[22:23], -v[62:63]
	v_add_f64_e64 v[38:39], v[46:47], -v[54:55]
	v_div_scale_f64 v[54:55], vcc_lo, v[32:33], v[16:17], v[32:33]
	v_fma_f64 v[44:45], v[58:59], s[22:23], -v[52:53]
	s_delay_alu instid0(VALU_DEP_4) | instskip(NEXT) | instid1(VALU_DEP_4)
	v_fmac_f64_e32 v[60:61], 0x3c7abc9e3b39803f, v[56:57]
	v_add_f64_e64 v[38:39], v[48:49], -v[38:39]
	s_delay_alu instid0(VALU_DEP_4) | instskip(NEXT) | instid1(VALU_DEP_4)
	v_mul_f64_e32 v[48:49], v[54:55], v[50:51]
	v_fmac_f64_e32 v[44:45], 0x3c7abc9e3b39803f, v[58:59]
	s_delay_alu instid0(VALU_DEP_3) | instskip(NEXT) | instid1(VALU_DEP_3)
	v_add_f64_e32 v[14:15], v[14:15], v[38:39]
	v_fma_f64 v[36:37], -v[40:41], v[48:49], v[54:55]
	v_add_f64_e32 v[38:39], v[62:63], v[60:61]
	v_add_f64_e32 v[40:41], v[42:43], v[12:13]
	v_add_f64_e32 v[54:55], v[52:53], v[44:45]
	v_add_f64_e32 v[56:57], v[46:47], v[14:15]
	v_div_fmas_f64 v[36:37], v[36:37], v[50:51], v[48:49]
	v_add_f64_e64 v[62:63], v[38:39], -v[62:63]
	v_add_f64_e32 v[48:49], v[38:39], v[40:41]
	v_add_f64_e64 v[42:43], v[40:41], -v[42:43]
	v_cmp_lt_f64_e64 vcc_lo, |v[6:7]|, |v[30:31]|
	v_add_f64_e64 v[52:53], v[54:55], -v[52:53]
	v_add_f64_e32 v[50:51], v[54:55], v[56:57]
	v_div_fixup_f64 v[16:17], v[36:37], v[16:17], v[32:33]
	v_add_f64_e64 v[46:47], v[56:57], -v[46:47]
	v_add_f64_e64 v[32:33], v[48:49], -v[38:39]
	;; [unrolled: 1-line block ×6, first 2 shown]
	v_mul_f64_e32 v[58:59], v[16:17], v[16:17]
	v_add_f64_e64 v[14:15], v[14:15], -v[46:47]
	v_add_f64_e64 v[64:65], v[48:49], -v[32:33]
	;; [unrolled: 1-line block ×3, first 2 shown]
	v_add_f64_e32 v[46:47], v[60:61], v[12:13]
	v_add_f64_e64 v[66:67], v[50:51], -v[36:37]
	v_fmamk_f64 v[68:69], v[58:59], 0x3eeba404b5e68a13, v[22:23]
	v_add_f64_e64 v[36:37], v[56:57], -v[36:37]
	v_add_f64_e64 v[38:39], v[38:39], -v[64:65]
	s_delay_alu instid0(VALU_DEP_3) | instskip(NEXT) | instid1(VALU_DEP_1)
	v_fmaak_f64 v[68:69], v[58:59], v[68:69], 0x3f4b2bb069efb384
	v_fmaak_f64 v[68:69], v[58:59], v[68:69], 0xbf67952daf56de9b
	s_delay_alu instid0(VALU_DEP_1) | instskip(NEXT) | instid1(VALU_DEP_1)
	v_fmaak_f64 v[52:53], v[58:59], v[68:69], 0x3f7d6d43a595c56f
	v_fmaak_f64 v[42:43], v[58:59], v[52:53], 0xbf8c6ea4a57d9582
	v_add_f64_e64 v[40:41], v[54:55], -v[66:67]
	v_add_f64_e32 v[32:33], v[32:33], v[38:39]
	s_delay_alu instid0(VALU_DEP_3) | instskip(SKIP_1) | instid1(VALU_DEP_2)
	v_fmaak_f64 v[42:43], v[58:59], v[42:43], 0x3f967e295f08b19f
	v_add_f64_e32 v[38:39], v[44:45], v[14:15]
	v_fmaak_f64 v[42:43], v[58:59], v[42:43], 0xbf9e9ae6fc27006a
	s_delay_alu instid0(VALU_DEP_1) | instskip(SKIP_1) | instid1(VALU_DEP_2)
	v_fmaak_f64 v[42:43], v[58:59], v[42:43], 0x3fa2c15b5711927a
	v_add_f64_e32 v[36:37], v[36:37], v[40:41]
	v_fmaak_f64 v[40:41], v[58:59], v[42:43], 0xbfa59976e82d3ff0
	v_add_f64_e64 v[42:43], v[46:47], -v[60:61]
	v_add_f64_e32 v[32:33], v[46:47], v[32:33]
	v_add_f64_e64 v[52:53], v[38:39], -v[44:45]
	s_delay_alu instid0(VALU_DEP_4) | instskip(NEXT) | instid1(VALU_DEP_1)
	v_fmaak_f64 v[40:41], v[58:59], v[40:41], 0x3fa82d5d6ef28734
	v_fmaak_f64 v[40:41], v[58:59], v[40:41], 0xbfaae5ce6a214619
	s_delay_alu instid0(VALU_DEP_1) | instskip(NEXT) | instid1(VALU_DEP_1)
	v_fmaak_f64 v[40:41], v[58:59], v[40:41], 0x3fae1bb48427b883
	v_fmaak_f64 v[40:41], v[58:59], v[40:41], 0xbfb110e48b207f05
	v_add_f64_e32 v[36:37], v[38:39], v[36:37]
	v_add_f64_e64 v[46:47], v[46:47], -v[42:43]
	v_add_f64_e32 v[54:55], v[48:49], v[32:33]
	s_delay_alu instid0(VALU_DEP_4) | instskip(SKIP_3) | instid1(VALU_DEP_4)
	v_fmaak_f64 v[40:41], v[58:59], v[40:41], 0x3fb3b13657b87036
	v_add_f64_e64 v[38:39], v[38:39], -v[52:53]
	v_add_f64_e64 v[12:13], v[12:13], -v[42:43]
	;; [unrolled: 1-line block ×3, first 2 shown]
	v_fmaak_f64 v[40:41], v[58:59], v[40:41], 0xbfb745d119378e4f
	s_delay_alu instid0(VALU_DEP_1) | instskip(NEXT) | instid1(VALU_DEP_1)
	v_fmaak_f64 v[40:41], v[58:59], v[40:41], 0x3fbc71c717e1913c
	v_fmaak_f64 v[40:41], v[58:59], v[40:41], 0xbfc2492492376b7d
	s_delay_alu instid0(VALU_DEP_1)
	v_fmaak_f64 v[40:41], v[58:59], v[40:41], 0x3fc99999999952cc
	v_add_f64_e32 v[56:57], v[50:51], v[36:37]
	v_add_f64_e64 v[42:43], v[60:61], -v[46:47]
	v_add_f64_e64 v[46:47], v[54:55], -v[48:49]
	v_add_f64_e64 v[38:39], v[44:45], -v[38:39]
	v_fmaak_f64 v[40:41], v[58:59], v[40:41], 0xbfd5555555555523
	s_delay_alu instid0(VALU_DEP_1)
	v_mul_f64_e32 v[40:41], v[58:59], v[40:41]
	v_add_f64_e64 v[44:45], v[56:57], -v[50:51]
	v_add_f64_e32 v[12:13], v[12:13], v[42:43]
	v_add_f64_e64 v[32:33], v[32:33], -v[46:47]
	v_add_f64_e32 v[14:15], v[14:15], v[38:39]
	v_fmac_f64_e32 v[16:17], v[16:17], v[40:41]
	v_add_f64_e64 v[36:37], v[36:37], -v[44:45]
	s_delay_alu instid0(VALU_DEP_4) | instskip(NEXT) | instid1(VALU_DEP_3)
	v_add_f64_e32 v[12:13], v[12:13], v[32:33]
	v_add_f64_e64 v[38:39], -v[16:17], s[8:9]
	s_delay_alu instid0(VALU_DEP_3) | instskip(NEXT) | instid1(VALU_DEP_3)
	v_dual_add_f64 v[14:15], v[14:15], v[36:37] :: v_dual_ashrrev_i32 v36, 31, v7
	v_add_f64_e32 v[12:13], v[54:55], v[12:13]
	v_cndmask_b32_e64 v37, 0x54442d18, v34, s2
	s_delay_alu instid0(VALU_DEP_4) | instskip(SKIP_2) | instid1(VALU_DEP_3)
	v_dual_cndmask_b32 v17, v17, v39 :: v_dual_cndmask_b32 v16, v16, v38
	v_cmp_class_f64_e64 vcc_lo, v[10:11], 0x204
	v_and_b32_e32 v38, 0x54442d18, v36
	v_add_f64_e64 v[32:33], -v[16:17], s[10:11]
	v_add_f64_e32 v[14:15], v[56:57], v[14:15]
	v_dual_cndmask_b32 v12, v12, v10 :: v_dual_cndmask_b32 v13, v13, v11
	v_cmp_neq_f64_e32 vcc_lo, 0, v[10:11]
	s_delay_alu instid0(VALU_DEP_4) | instskip(NEXT) | instid1(VALU_DEP_4)
	v_cndmask_b32_e64 v16, v16, v32, s2
	v_dual_cndmask_b32 v10, v14, v8, s1 :: v_dual_cndmask_b32 v11, v15, v9, s1
	v_cmp_neq_f64_e64 s1, 0, v[8:9]
	v_and_b32_e32 v8, 0x400921fb, v36
	v_cndmask_b32_e64 v9, v17, v33, s2
	v_cndmask_b32_e64 v14, 0x3fe921fb, v35, s2
	;; [unrolled: 1-line block ×3, first 2 shown]
	s_and_b32 s2, s5, s28
	s_delay_alu instid0(VALU_DEP_1) | instid1(SALU_CYCLE_1)
	v_dual_cndmask_b32 v8, v9, v8, s3 :: v_dual_cndmask_b32 v15, v15, v37, s2
	s_delay_alu instid0(VALU_DEP_1)
	v_cndmask_b32_e64 v14, v8, v14, s2
	v_cmp_o_f64_e64 s2, v[6:7], v[30:31]
	v_cndmask_b32_e32 v7, 0xfff00000, v13, vcc_lo
	v_cndmask_b32_e32 v6, 0, v12, vcc_lo
	v_cndmask_b32_e64 v9, 0xfff00000, v11, s1
	v_cndmask_b32_e64 v8, 0, v10, s1
	s_delay_alu instid0(VALU_DEP_1) | instskip(SKIP_2) | instid1(VALU_DEP_2)
	v_add_f64_e64 v[6:7], v[6:7], -v[8:9]
	v_cndmask_b32_e64 v9, 0x7ff80000, v14, s2
	v_cndmask_b32_e64 v8, 0, v15, s2
	v_bfi_b32 v9, 0x7fffffff, v9, v31
	s_delay_alu instid0(VALU_DEP_1) | instskip(SKIP_1) | instid1(VALU_DEP_1)
	v_mul_f64_e32 v[10:11], 0.5, v[8:9]
	v_ldexp_f64 v[6:7], v[6:7], -2
	v_fma_f64 v[8:9], 0x80000000, v[10:11], -v[6:7]
	v_fmamk_f64 v[6:7], v[6:7], 0x80000000, v[10:11]
	v_lshl_add_u64 v[10:11], v[28:29], 4, s[20:21]
	global_store_b128 v[10:11], v[6:9], off
	s_wait_xcnt 0x0
	s_or_b32 exec_lo, exec_lo, s4
	s_and_saveexec_b32 s3, s0
	s_cbranch_execz .LBB67_8
.LBB67_24:                              ;   in Loop: Header=BB67_9 Depth=1
	s_wait_loadcnt 0x0
	v_fma_f64 v[8:9], v[2:3], 0, -v[4:5]
	v_fmac_f64_e32 v[2:3], 0, v[4:5]
	s_delay_alu instid0(VALU_DEP_2) | instskip(NEXT) | instid1(VALU_DEP_2)
	v_add_f64_e32 v[6:7], 1.0, v[8:9]
	v_mul_f64_e32 v[4:5], v[2:3], v[2:3]
	v_add_f64_e64 v[10:11], -v[8:9], 1.0
	v_fma_f64 v[8:9], -v[8:9], v[8:9], 1.0
	s_delay_alu instid0(VALU_DEP_3) | instskip(NEXT) | instid1(VALU_DEP_3)
	v_fma_f64 v[6:7], v[6:7], v[6:7], v[4:5]
	v_fmac_f64_e32 v[4:5], v[10:11], v[10:11]
	s_delay_alu instid0(VALU_DEP_2) | instskip(NEXT) | instid1(VALU_DEP_2)
	v_frexp_mant_f64_e32 v[10:11], v[6:7]
	v_frexp_mant_f64_e32 v[12:13], v[4:5]
	v_frexp_exp_i32_f64_e32 v56, v[6:7]
	v_frexp_exp_i32_f64_e32 v57, v[4:5]
	s_delay_alu instid0(VALU_DEP_4) | instskip(NEXT) | instid1(VALU_DEP_4)
	v_cmp_gt_f64_e32 vcc_lo, s[16:17], v[10:11]
	v_cmp_gt_f64_e64 s0, s[16:17], v[12:13]
	v_cndmask_b32_e64 v14, 0, 1, vcc_lo
	s_delay_alu instid0(VALU_DEP_2) | instskip(NEXT) | instid1(VALU_DEP_2)
	v_cndmask_b32_e64 v15, 0, 1, s0
	v_ldexp_f64 v[10:11], v[10:11], v14
	s_delay_alu instid0(VALU_DEP_2) | instskip(NEXT) | instid1(VALU_DEP_2)
	v_ldexp_f64 v[12:13], v[12:13], v15
	v_add_f64_e32 v[14:15], 1.0, v[10:11]
	s_delay_alu instid0(VALU_DEP_2) | instskip(SKIP_1) | instid1(VALU_DEP_3)
	v_add_f64_e32 v[16:17], 1.0, v[12:13]
	v_add_f64_e32 v[38:39], -1.0, v[10:11]
	v_rcp_f64_e32 v[28:29], v[14:15]
	s_delay_alu instid0(VALU_DEP_2) | instskip(SKIP_1) | instid1(VALU_DEP_1)
	v_rcp_f64_e32 v[30:31], v[16:17]
	v_add_f64_e32 v[42:43], -1.0, v[14:15]
	v_add_f64_e64 v[10:11], v[10:11], -v[42:43]
	s_delay_alu instid0(TRANS32_DEP_2) | instskip(NEXT) | instid1(TRANS32_DEP_1)
	v_fma_f64 v[32:33], -v[14:15], v[28:29], 1.0
	v_fma_f64 v[36:37], -v[16:17], v[30:31], 1.0
	s_delay_alu instid0(VALU_DEP_2) | instskip(NEXT) | instid1(VALU_DEP_2)
	v_fmac_f64_e32 v[28:29], v[32:33], v[28:29]
	v_fmac_f64_e32 v[30:31], v[36:37], v[30:31]
	s_delay_alu instid0(VALU_DEP_2) | instskip(NEXT) | instid1(VALU_DEP_2)
	v_fma_f64 v[32:33], -v[14:15], v[28:29], 1.0
	v_fma_f64 v[36:37], -v[16:17], v[30:31], 1.0
	s_delay_alu instid0(VALU_DEP_2) | instskip(NEXT) | instid1(VALU_DEP_2)
	v_fmac_f64_e32 v[28:29], v[32:33], v[28:29]
	v_fmac_f64_e32 v[30:31], v[36:37], v[30:31]
	s_delay_alu instid0(VALU_DEP_2) | instskip(NEXT) | instid1(VALU_DEP_1)
	v_mul_f64_e32 v[36:37], v[38:39], v[28:29]
	v_mul_f64_e32 v[44:45], v[14:15], v[36:37]
	s_delay_alu instid0(VALU_DEP_1) | instskip(NEXT) | instid1(VALU_DEP_1)
	v_fma_f64 v[14:15], v[36:37], v[14:15], -v[44:45]
	v_fmac_f64_e32 v[14:15], v[36:37], v[10:11]
	s_delay_alu instid0(VALU_DEP_1) | instskip(NEXT) | instid1(VALU_DEP_1)
	v_add_f64_e32 v[10:11], v[44:45], v[14:15]
	v_add_f64_e64 v[42:43], v[38:39], -v[10:11]
	v_add_f64_e64 v[44:45], v[10:11], -v[44:45]
	s_delay_alu instid0(VALU_DEP_2) | instskip(NEXT) | instid1(VALU_DEP_2)
	v_add_f64_e64 v[38:39], v[38:39], -v[42:43]
	v_add_f64_e64 v[14:15], v[44:45], -v[14:15]
	s_delay_alu instid0(VALU_DEP_2) | instskip(NEXT) | instid1(VALU_DEP_1)
	v_add_f64_e64 v[10:11], v[38:39], -v[10:11]
	v_add_f64_e32 v[10:11], v[14:15], v[10:11]
	v_add_f64_e32 v[14:15], v[2:3], v[2:3]
	v_fma_f64 v[2:3], -v[2:3], v[2:3], v[8:9]
	v_add_f64_e32 v[32:33], -1.0, v[12:13]
	s_delay_alu instid0(VALU_DEP_4) | instskip(NEXT) | instid1(VALU_DEP_4)
	v_add_f64_e32 v[10:11], v[42:43], v[10:11]
	v_cmp_eq_f64_e64 s2, 0, v[14:15]
	v_add_f64_e32 v[46:47], -1.0, v[16:17]
	s_delay_alu instid0(VALU_DEP_4)
	v_mul_f64_e32 v[40:41], v[32:33], v[30:31]
	v_cmp_class_f64_e64 s4, v[14:15], 0x204
	v_cmp_class_f64_e64 s5, v[2:3], 0x204
	v_cmp_gt_i32_e64 s1, 0, v3
	v_mul_f64_e32 v[8:9], v[28:29], v[10:11]
	v_add_f64_e64 v[12:13], v[12:13], -v[46:47]
	v_mul_f64_e32 v[48:49], v[16:17], v[40:41]
	s_delay_alu instid0(VALU_DEP_3) | instskip(NEXT) | instid1(VALU_DEP_2)
	v_add_f64_e32 v[28:29], v[36:37], v[8:9]
	v_fma_f64 v[16:17], v[40:41], v[16:17], -v[48:49]
	s_delay_alu instid0(VALU_DEP_2) | instskip(NEXT) | instid1(VALU_DEP_2)
	v_mul_f64_e32 v[38:39], v[28:29], v[28:29]
	v_fmac_f64_e32 v[16:17], v[40:41], v[12:13]
	s_delay_alu instid0(VALU_DEP_2) | instskip(NEXT) | instid1(VALU_DEP_2)
	v_mul_f64_e32 v[50:51], v[28:29], v[38:39]
	v_add_f64_e32 v[12:13], v[48:49], v[16:17]
	s_delay_alu instid0(VALU_DEP_1) | instskip(SKIP_1) | instid1(VALU_DEP_2)
	v_add_f64_e64 v[46:47], v[32:33], -v[12:13]
	v_add_f64_e64 v[48:49], v[12:13], -v[48:49]
	;; [unrolled: 1-line block ×3, first 2 shown]
	s_delay_alu instid0(VALU_DEP_2) | instskip(NEXT) | instid1(VALU_DEP_2)
	v_add_f64_e64 v[16:17], v[48:49], -v[16:17]
	v_add_f64_e64 v[12:13], v[32:33], -v[12:13]
	s_delay_alu instid0(VALU_DEP_1) | instskip(SKIP_1) | instid1(VALU_DEP_2)
	v_add_f64_e32 v[12:13], v[16:17], v[12:13]
	v_min_num_f64_e64 v[16:17], |v[2:3]|, |v[14:15]|
	v_add_f64_e32 v[12:13], v[46:47], v[12:13]
	v_fmamk_f64 v[46:47], v[38:39], 0x3fc3ab76bf559e2b, v[24:25]
	s_delay_alu instid0(VALU_DEP_1) | instskip(NEXT) | instid1(VALU_DEP_1)
	v_fmaak_f64 v[46:47], v[38:39], v[46:47], 0x3fc7474dd7f4df2e
	v_fmaak_f64 v[46:47], v[38:39], v[46:47], 0x3fcc71c016291751
	s_delay_alu instid0(VALU_DEP_1) | instskip(NEXT) | instid1(VALU_DEP_1)
	v_fmaak_f64 v[46:47], v[38:39], v[46:47], 0x3fd249249b27acf1
	v_fmaak_f64 v[46:47], v[38:39], v[46:47], 0x3fd99999998ef7b6
	v_mul_f64_e32 v[10:11], v[30:31], v[12:13]
	v_max_num_f64_e64 v[12:13], |v[2:3]|, |v[14:15]|
	s_delay_alu instid0(VALU_DEP_3) | instskip(SKIP_2) | instid1(VALU_DEP_3)
	v_fmaak_f64 v[38:39], v[38:39], v[46:47], 0x3fe5555555555780
	v_ldexp_f64 v[46:47], v[28:29], 1
	v_add_f64_e64 v[28:29], v[28:29], -v[36:37]
	v_mul_f64_e32 v[38:39], v[50:51], v[38:39]
	v_subrev_co_ci_u32_e64 v50, null, 0, v56, vcc_lo
	s_delay_alu instid0(VALU_DEP_1) | instskip(SKIP_4) | instid1(VALU_DEP_4)
	v_cvt_f64_i32_e32 v[50:51], v50
	v_add_f64_e32 v[30:31], v[40:41], v[10:11]
	v_div_scale_f64 v[32:33], null, v[12:13], v[12:13], v[16:17]
	v_add_f64_e64 v[8:9], v[8:9], -v[28:29]
	v_add_f64_e32 v[36:37], v[46:47], v[38:39]
	v_mul_f64_e32 v[42:43], v[30:31], v[30:31]
	s_delay_alu instid0(VALU_DEP_4) | instskip(NEXT) | instid1(VALU_DEP_3)
	v_rcp_f64_e32 v[44:45], v[32:33]
	v_ldexp_f64 v[8:9], v[8:9], 1
	s_delay_alu instid0(VALU_DEP_3) | instskip(NEXT) | instid1(VALU_DEP_3)
	v_add_f64_e64 v[28:29], v[36:37], -v[46:47]
	v_fmamk_f64 v[48:49], v[42:43], 0x3fc3ab76bf559e2b, v[24:25]
	v_mul_f64_e32 v[52:53], v[30:31], v[42:43]
	s_delay_alu instid0(TRANS32_DEP_1) | instskip(NEXT) | instid1(VALU_DEP_3)
	v_fma_f64 v[54:55], -v[32:33], v[44:45], 1.0
	v_fmaak_f64 v[48:49], v[42:43], v[48:49], 0x3fc7474dd7f4df2e
	v_add_f64_e64 v[28:29], v[38:39], -v[28:29]
	s_delay_alu instid0(VALU_DEP_2) | instskip(NEXT) | instid1(VALU_DEP_1)
	v_fmaak_f64 v[48:49], v[42:43], v[48:49], 0x3fcc71c016291751
	v_fmaak_f64 v[48:49], v[42:43], v[48:49], 0x3fd249249b27acf1
	s_delay_alu instid0(VALU_DEP_1) | instskip(NEXT) | instid1(VALU_DEP_1)
	v_fmaak_f64 v[48:49], v[42:43], v[48:49], 0x3fd99999998ef7b6
	v_fmaak_f64 v[42:43], v[42:43], v[48:49], 0x3fe5555555555780
	v_ldexp_f64 v[48:49], v[30:31], 1
	v_add_f64_e64 v[30:31], v[30:31], -v[40:41]
	v_fmac_f64_e32 v[44:45], v[44:45], v[54:55]
	s_delay_alu instid0(VALU_DEP_4) | instskip(SKIP_4) | instid1(VALU_DEP_4)
	v_mul_f64_e32 v[42:43], v[52:53], v[42:43]
	v_subrev_co_ci_u32_e64 v52, null, 0, v57, s0
	v_mul_f64_e32 v[56:57], 0x3fe62e42fefa39ef, v[50:51]
	v_add_f64_e32 v[8:9], v[8:9], v[28:29]
	v_cmp_class_f64_e64 s0, v[4:5], 0x204
	v_cvt_f64_i32_e32 v[52:53], v52
	v_add_f64_e64 v[10:11], v[10:11], -v[30:31]
	v_fma_f64 v[54:55], -v[32:33], v[44:45], 1.0
	v_add_f64_e32 v[40:41], v[48:49], v[42:43]
	s_delay_alu instid0(VALU_DEP_4) | instskip(NEXT) | instid1(VALU_DEP_4)
	v_mul_f64_e32 v[46:47], 0x3fe62e42fefa39ef, v[52:53]
	v_ldexp_f64 v[10:11], v[10:11], 1
	s_delay_alu instid0(VALU_DEP_4) | instskip(SKIP_4) | instid1(VALU_DEP_4)
	v_fmac_f64_e32 v[44:45], v[44:45], v[54:55]
	v_fma_f64 v[54:55], v[50:51], s[22:23], -v[56:57]
	v_add_f64_e64 v[30:31], v[40:41], -v[48:49]
	v_div_scale_f64 v[48:49], vcc_lo, v[16:17], v[12:13], v[16:17]
	v_fma_f64 v[38:39], v[52:53], s[22:23], -v[46:47]
	v_fmac_f64_e32 v[54:55], 0x3c7abc9e3b39803f, v[50:51]
	s_delay_alu instid0(VALU_DEP_4) | instskip(NEXT) | instid1(VALU_DEP_4)
	v_add_f64_e64 v[30:31], v[42:43], -v[30:31]
	v_mul_f64_e32 v[42:43], v[48:49], v[44:45]
	s_delay_alu instid0(VALU_DEP_4) | instskip(NEXT) | instid1(VALU_DEP_3)
	v_fmac_f64_e32 v[38:39], 0x3c7abc9e3b39803f, v[52:53]
	v_add_f64_e32 v[10:11], v[10:11], v[30:31]
	s_delay_alu instid0(VALU_DEP_3)
	v_fma_f64 v[28:29], -v[32:33], v[42:43], v[48:49]
	v_add_f64_e32 v[30:31], v[56:57], v[54:55]
	v_add_f64_e32 v[32:33], v[36:37], v[8:9]
	;; [unrolled: 1-line block ×4, first 2 shown]
	v_div_fmas_f64 v[28:29], v[28:29], v[44:45], v[42:43]
	v_add_f64_e64 v[56:57], v[30:31], -v[56:57]
	v_add_f64_e32 v[42:43], v[30:31], v[32:33]
	v_add_f64_e64 v[36:37], v[32:33], -v[36:37]
	v_cmp_lt_f64_e64 vcc_lo, |v[2:3]|, |v[14:15]|
	v_add_f64_e64 v[46:47], v[48:49], -v[46:47]
	v_add_f64_e32 v[44:45], v[48:49], v[50:51]
	v_div_fixup_f64 v[12:13], v[28:29], v[12:13], v[16:17]
	v_add_f64_e64 v[40:41], v[50:51], -v[40:41]
	v_add_f64_e64 v[16:17], v[42:43], -v[30:31]
	;; [unrolled: 1-line block ×6, first 2 shown]
	v_mul_f64_e32 v[52:53], v[12:13], v[12:13]
	v_add_f64_e64 v[10:11], v[10:11], -v[40:41]
	v_add_f64_e64 v[58:59], v[42:43], -v[16:17]
	;; [unrolled: 1-line block ×3, first 2 shown]
	v_add_f64_e32 v[40:41], v[54:55], v[8:9]
	v_add_f64_e64 v[60:61], v[44:45], -v[28:29]
	v_fmamk_f64 v[62:63], v[52:53], 0x3eeba404b5e68a13, v[22:23]
	v_add_f64_e64 v[28:29], v[50:51], -v[28:29]
	v_add_f64_e64 v[30:31], v[30:31], -v[58:59]
	s_delay_alu instid0(VALU_DEP_3) | instskip(NEXT) | instid1(VALU_DEP_1)
	v_fmaak_f64 v[62:63], v[52:53], v[62:63], 0x3f4b2bb069efb384
	v_fmaak_f64 v[62:63], v[52:53], v[62:63], 0xbf67952daf56de9b
	s_delay_alu instid0(VALU_DEP_1) | instskip(NEXT) | instid1(VALU_DEP_1)
	v_fmaak_f64 v[46:47], v[52:53], v[62:63], 0x3f7d6d43a595c56f
	v_fmaak_f64 v[36:37], v[52:53], v[46:47], 0xbf8c6ea4a57d9582
	v_add_f64_e64 v[32:33], v[48:49], -v[60:61]
	v_add_f64_e32 v[16:17], v[16:17], v[30:31]
	s_delay_alu instid0(VALU_DEP_3) | instskip(SKIP_1) | instid1(VALU_DEP_2)
	v_fmaak_f64 v[36:37], v[52:53], v[36:37], 0x3f967e295f08b19f
	v_add_f64_e32 v[30:31], v[38:39], v[10:11]
	v_fmaak_f64 v[36:37], v[52:53], v[36:37], 0xbf9e9ae6fc27006a
	s_delay_alu instid0(VALU_DEP_1) | instskip(SKIP_1) | instid1(VALU_DEP_2)
	v_fmaak_f64 v[36:37], v[52:53], v[36:37], 0x3fa2c15b5711927a
	v_add_f64_e32 v[28:29], v[28:29], v[32:33]
	v_fmaak_f64 v[32:33], v[52:53], v[36:37], 0xbfa59976e82d3ff0
	v_add_f64_e64 v[36:37], v[40:41], -v[54:55]
	v_add_f64_e32 v[16:17], v[40:41], v[16:17]
	v_add_f64_e64 v[46:47], v[30:31], -v[38:39]
	s_delay_alu instid0(VALU_DEP_4) | instskip(NEXT) | instid1(VALU_DEP_1)
	v_fmaak_f64 v[32:33], v[52:53], v[32:33], 0x3fa82d5d6ef28734
	v_fmaak_f64 v[32:33], v[52:53], v[32:33], 0xbfaae5ce6a214619
	s_delay_alu instid0(VALU_DEP_1) | instskip(NEXT) | instid1(VALU_DEP_1)
	v_fmaak_f64 v[32:33], v[52:53], v[32:33], 0x3fae1bb48427b883
	v_fmaak_f64 v[32:33], v[52:53], v[32:33], 0xbfb110e48b207f05
	v_add_f64_e32 v[28:29], v[30:31], v[28:29]
	v_add_f64_e64 v[40:41], v[40:41], -v[36:37]
	v_add_f64_e32 v[48:49], v[42:43], v[16:17]
	s_delay_alu instid0(VALU_DEP_4) | instskip(SKIP_3) | instid1(VALU_DEP_4)
	v_fmaak_f64 v[32:33], v[52:53], v[32:33], 0x3fb3b13657b87036
	v_add_f64_e64 v[30:31], v[30:31], -v[46:47]
	v_add_f64_e64 v[8:9], v[8:9], -v[36:37]
	;; [unrolled: 1-line block ×3, first 2 shown]
	v_fmaak_f64 v[32:33], v[52:53], v[32:33], 0xbfb745d119378e4f
	s_delay_alu instid0(VALU_DEP_1) | instskip(NEXT) | instid1(VALU_DEP_1)
	v_fmaak_f64 v[32:33], v[52:53], v[32:33], 0x3fbc71c717e1913c
	v_fmaak_f64 v[32:33], v[52:53], v[32:33], 0xbfc2492492376b7d
	s_delay_alu instid0(VALU_DEP_1)
	v_fmaak_f64 v[32:33], v[52:53], v[32:33], 0x3fc99999999952cc
	v_add_f64_e32 v[50:51], v[44:45], v[28:29]
	v_add_f64_e64 v[36:37], v[54:55], -v[40:41]
	v_add_f64_e64 v[40:41], v[48:49], -v[42:43]
	;; [unrolled: 1-line block ×3, first 2 shown]
	v_fmaak_f64 v[32:33], v[52:53], v[32:33], 0xbfd5555555555523
	s_delay_alu instid0(VALU_DEP_1)
	v_mul_f64_e32 v[32:33], v[52:53], v[32:33]
	v_add_f64_e64 v[38:39], v[50:51], -v[44:45]
	v_add_f64_e32 v[8:9], v[8:9], v[36:37]
	v_add_f64_e64 v[16:17], v[16:17], -v[40:41]
	v_add_f64_e32 v[10:11], v[10:11], v[30:31]
	v_fmac_f64_e32 v[12:13], v[12:13], v[32:33]
	v_add_f64_e64 v[28:29], v[28:29], -v[38:39]
	s_delay_alu instid0(VALU_DEP_4) | instskip(NEXT) | instid1(VALU_DEP_3)
	v_add_f64_e32 v[8:9], v[8:9], v[16:17]
	v_add_f64_e64 v[30:31], -v[12:13], s[8:9]
	s_delay_alu instid0(VALU_DEP_3) | instskip(NEXT) | instid1(VALU_DEP_3)
	v_dual_add_f64 v[10:11], v[10:11], v[28:29] :: v_dual_ashrrev_i32 v28, 31, v3
	v_add_f64_e32 v[8:9], v[48:49], v[8:9]
	v_cndmask_b32_e64 v29, 0x54442d18, v34, s1
	s_delay_alu instid0(VALU_DEP_4) | instskip(SKIP_2) | instid1(VALU_DEP_3)
	v_dual_cndmask_b32 v13, v13, v31 :: v_dual_cndmask_b32 v12, v12, v30
	v_cmp_class_f64_e64 vcc_lo, v[6:7], 0x204
	v_and_b32_e32 v30, 0x54442d18, v28
	v_add_f64_e64 v[16:17], -v[12:13], s[10:11]
	v_add_f64_e32 v[10:11], v[50:51], v[10:11]
	v_dual_cndmask_b32 v8, v8, v6 :: v_dual_cndmask_b32 v9, v9, v7
	v_cmp_neq_f64_e32 vcc_lo, 0, v[6:7]
	s_delay_alu instid0(VALU_DEP_4) | instskip(NEXT) | instid1(VALU_DEP_4)
	v_cndmask_b32_e64 v12, v12, v16, s1
	v_dual_cndmask_b32 v6, v10, v4, s0 :: v_dual_cndmask_b32 v7, v11, v5, s0
	v_cmp_neq_f64_e64 s0, 0, v[4:5]
	v_and_b32_e32 v4, 0x400921fb, v28
	v_cndmask_b32_e64 v5, v13, v17, s1
	v_cndmask_b32_e64 v10, 0x3fe921fb, v35, s1
	;; [unrolled: 1-line block ×3, first 2 shown]
	s_and_b32 s1, s4, s5
	s_delay_alu instid0(VALU_DEP_1) | instid1(SALU_CYCLE_1)
	v_dual_cndmask_b32 v4, v5, v4, s2 :: v_dual_cndmask_b32 v11, v11, v29, s1
	s_delay_alu instid0(VALU_DEP_1)
	v_cndmask_b32_e64 v10, v4, v10, s1
	v_cmp_o_f64_e64 s1, v[2:3], v[14:15]
	v_cndmask_b32_e32 v3, 0xfff00000, v9, vcc_lo
	v_cndmask_b32_e32 v2, 0, v8, vcc_lo
	v_cndmask_b32_e64 v5, 0xfff00000, v7, s0
	v_cndmask_b32_e64 v4, 0, v6, s0
	s_delay_alu instid0(VALU_DEP_1) | instskip(SKIP_2) | instid1(VALU_DEP_2)
	v_add_f64_e64 v[2:3], v[2:3], -v[4:5]
	v_cndmask_b32_e64 v5, 0x7ff80000, v10, s1
	v_cndmask_b32_e64 v4, 0, v11, s1
	v_bfi_b32 v5, 0x7fffffff, v5, v15
	s_delay_alu instid0(VALU_DEP_1) | instskip(SKIP_1) | instid1(VALU_DEP_1)
	v_mul_f64_e32 v[6:7], 0.5, v[4:5]
	v_ldexp_f64 v[2:3], v[2:3], -2
	v_fma_f64 v[4:5], 0x80000000, v[6:7], -v[2:3]
	v_fmamk_f64 v[2:3], v[2:3], 0x80000000, v[6:7]
	v_lshl_add_u64 v[6:7], v[26:27], 4, s[20:21]
	global_store_b128 v[6:7], v[2:5], off
	s_branch .LBB67_8
.LBB67_25:
	s_sendmsg sendmsg(MSG_DEALLOC_VGPRS)
	s_endpgm
	.section	.rodata,"a",@progbits
	.p2align	6, 0x0
	.amdhsa_kernel _ZN2at6native12_GLOBAL__N_125multi_tensor_apply_kernelINS1_18TensorListMetadataILi2EEENS1_14UnaryOpFunctorIN3c107complexIdEELi2ELi1ELi1EEEJNS0_4AtanIS8_EEEEEvT_T0_DpT1_
		.amdhsa_group_segment_fixed_size 0
		.amdhsa_private_segment_fixed_size 0
		.amdhsa_kernarg_size 3408
		.amdhsa_user_sgpr_count 2
		.amdhsa_user_sgpr_dispatch_ptr 0
		.amdhsa_user_sgpr_queue_ptr 0
		.amdhsa_user_sgpr_kernarg_segment_ptr 1
		.amdhsa_user_sgpr_dispatch_id 0
		.amdhsa_user_sgpr_kernarg_preload_length 0
		.amdhsa_user_sgpr_kernarg_preload_offset 0
		.amdhsa_user_sgpr_private_segment_size 0
		.amdhsa_wavefront_size32 1
		.amdhsa_uses_dynamic_stack 0
		.amdhsa_enable_private_segment 0
		.amdhsa_system_sgpr_workgroup_id_x 1
		.amdhsa_system_sgpr_workgroup_id_y 0
		.amdhsa_system_sgpr_workgroup_id_z 0
		.amdhsa_system_sgpr_workgroup_info 0
		.amdhsa_system_vgpr_workitem_id 0
		.amdhsa_next_free_vgpr 214
		.amdhsa_next_free_sgpr 50
		.amdhsa_named_barrier_count 0
		.amdhsa_reserve_vcc 1
		.amdhsa_float_round_mode_32 0
		.amdhsa_float_round_mode_16_64 0
		.amdhsa_float_denorm_mode_32 3
		.amdhsa_float_denorm_mode_16_64 3
		.amdhsa_fp16_overflow 0
		.amdhsa_memory_ordered 1
		.amdhsa_forward_progress 1
		.amdhsa_inst_pref_size 128
		.amdhsa_round_robin_scheduling 0
		.amdhsa_exception_fp_ieee_invalid_op 0
		.amdhsa_exception_fp_denorm_src 0
		.amdhsa_exception_fp_ieee_div_zero 0
		.amdhsa_exception_fp_ieee_overflow 0
		.amdhsa_exception_fp_ieee_underflow 0
		.amdhsa_exception_fp_ieee_inexact 0
		.amdhsa_exception_int_div_zero 0
	.end_amdhsa_kernel
	.section	.text._ZN2at6native12_GLOBAL__N_125multi_tensor_apply_kernelINS1_18TensorListMetadataILi2EEENS1_14UnaryOpFunctorIN3c107complexIdEELi2ELi1ELi1EEEJNS0_4AtanIS8_EEEEEvT_T0_DpT1_,"axG",@progbits,_ZN2at6native12_GLOBAL__N_125multi_tensor_apply_kernelINS1_18TensorListMetadataILi2EEENS1_14UnaryOpFunctorIN3c107complexIdEELi2ELi1ELi1EEEJNS0_4AtanIS8_EEEEEvT_T0_DpT1_,comdat
.Lfunc_end67:
	.size	_ZN2at6native12_GLOBAL__N_125multi_tensor_apply_kernelINS1_18TensorListMetadataILi2EEENS1_14UnaryOpFunctorIN3c107complexIdEELi2ELi1ELi1EEEJNS0_4AtanIS8_EEEEEvT_T0_DpT1_, .Lfunc_end67-_ZN2at6native12_GLOBAL__N_125multi_tensor_apply_kernelINS1_18TensorListMetadataILi2EEENS1_14UnaryOpFunctorIN3c107complexIdEELi2ELi1ELi1EEEJNS0_4AtanIS8_EEEEEvT_T0_DpT1_
                                        ; -- End function
	.set _ZN2at6native12_GLOBAL__N_125multi_tensor_apply_kernelINS1_18TensorListMetadataILi2EEENS1_14UnaryOpFunctorIN3c107complexIdEELi2ELi1ELi1EEEJNS0_4AtanIS8_EEEEEvT_T0_DpT1_.num_vgpr, 214
	.set _ZN2at6native12_GLOBAL__N_125multi_tensor_apply_kernelINS1_18TensorListMetadataILi2EEENS1_14UnaryOpFunctorIN3c107complexIdEELi2ELi1ELi1EEEJNS0_4AtanIS8_EEEEEvT_T0_DpT1_.num_agpr, 0
	.set _ZN2at6native12_GLOBAL__N_125multi_tensor_apply_kernelINS1_18TensorListMetadataILi2EEENS1_14UnaryOpFunctorIN3c107complexIdEELi2ELi1ELi1EEEJNS0_4AtanIS8_EEEEEvT_T0_DpT1_.numbered_sgpr, 50
	.set _ZN2at6native12_GLOBAL__N_125multi_tensor_apply_kernelINS1_18TensorListMetadataILi2EEENS1_14UnaryOpFunctorIN3c107complexIdEELi2ELi1ELi1EEEJNS0_4AtanIS8_EEEEEvT_T0_DpT1_.num_named_barrier, 0
	.set _ZN2at6native12_GLOBAL__N_125multi_tensor_apply_kernelINS1_18TensorListMetadataILi2EEENS1_14UnaryOpFunctorIN3c107complexIdEELi2ELi1ELi1EEEJNS0_4AtanIS8_EEEEEvT_T0_DpT1_.private_seg_size, 0
	.set _ZN2at6native12_GLOBAL__N_125multi_tensor_apply_kernelINS1_18TensorListMetadataILi2EEENS1_14UnaryOpFunctorIN3c107complexIdEELi2ELi1ELi1EEEJNS0_4AtanIS8_EEEEEvT_T0_DpT1_.uses_vcc, 1
	.set _ZN2at6native12_GLOBAL__N_125multi_tensor_apply_kernelINS1_18TensorListMetadataILi2EEENS1_14UnaryOpFunctorIN3c107complexIdEELi2ELi1ELi1EEEJNS0_4AtanIS8_EEEEEvT_T0_DpT1_.uses_flat_scratch, 0
	.set _ZN2at6native12_GLOBAL__N_125multi_tensor_apply_kernelINS1_18TensorListMetadataILi2EEENS1_14UnaryOpFunctorIN3c107complexIdEELi2ELi1ELi1EEEJNS0_4AtanIS8_EEEEEvT_T0_DpT1_.has_dyn_sized_stack, 0
	.set _ZN2at6native12_GLOBAL__N_125multi_tensor_apply_kernelINS1_18TensorListMetadataILi2EEENS1_14UnaryOpFunctorIN3c107complexIdEELi2ELi1ELi1EEEJNS0_4AtanIS8_EEEEEvT_T0_DpT1_.has_recursion, 0
	.set _ZN2at6native12_GLOBAL__N_125multi_tensor_apply_kernelINS1_18TensorListMetadataILi2EEENS1_14UnaryOpFunctorIN3c107complexIdEELi2ELi1ELi1EEEJNS0_4AtanIS8_EEEEEvT_T0_DpT1_.has_indirect_call, 0
	.section	.AMDGPU.csdata,"",@progbits
; Kernel info:
; codeLenInByte = 16348
; TotalNumSgprs: 52
; NumVgprs: 214
; ScratchSize: 0
; MemoryBound: 1
; FloatMode: 240
; IeeeMode: 1
; LDSByteSize: 0 bytes/workgroup (compile time only)
; SGPRBlocks: 0
; VGPRBlocks: 13
; NumSGPRsForWavesPerEU: 52
; NumVGPRsForWavesPerEU: 214
; NamedBarCnt: 0
; Occupancy: 4
; WaveLimiterHint : 0
; COMPUTE_PGM_RSRC2:SCRATCH_EN: 0
; COMPUTE_PGM_RSRC2:USER_SGPR: 2
; COMPUTE_PGM_RSRC2:TRAP_HANDLER: 0
; COMPUTE_PGM_RSRC2:TGID_X_EN: 1
; COMPUTE_PGM_RSRC2:TGID_Y_EN: 0
; COMPUTE_PGM_RSRC2:TGID_Z_EN: 0
; COMPUTE_PGM_RSRC2:TIDIG_COMP_CNT: 0
	.section	.text._ZN2at6native12_GLOBAL__N_125multi_tensor_apply_kernelINS1_18TensorListMetadataILi2EEENS1_14UnaryOpFunctorIN3c107complexIfEELi2ELi1ELi1EEEJNS0_4AtanIS8_EEEEEvT_T0_DpT1_,"axG",@progbits,_ZN2at6native12_GLOBAL__N_125multi_tensor_apply_kernelINS1_18TensorListMetadataILi2EEENS1_14UnaryOpFunctorIN3c107complexIfEELi2ELi1ELi1EEEJNS0_4AtanIS8_EEEEEvT_T0_DpT1_,comdat
	.globl	_ZN2at6native12_GLOBAL__N_125multi_tensor_apply_kernelINS1_18TensorListMetadataILi2EEENS1_14UnaryOpFunctorIN3c107complexIfEELi2ELi1ELi1EEEJNS0_4AtanIS8_EEEEEvT_T0_DpT1_ ; -- Begin function _ZN2at6native12_GLOBAL__N_125multi_tensor_apply_kernelINS1_18TensorListMetadataILi2EEENS1_14UnaryOpFunctorIN3c107complexIfEELi2ELi1ELi1EEEJNS0_4AtanIS8_EEEEEvT_T0_DpT1_
	.p2align	8
	.type	_ZN2at6native12_GLOBAL__N_125multi_tensor_apply_kernelINS1_18TensorListMetadataILi2EEENS1_14UnaryOpFunctorIN3c107complexIfEELi2ELi1ELi1EEEJNS0_4AtanIS8_EEEEEvT_T0_DpT1_,@function
_ZN2at6native12_GLOBAL__N_125multi_tensor_apply_kernelINS1_18TensorListMetadataILi2EEENS1_14UnaryOpFunctorIN3c107complexIfEELi2ELi1ELi1EEEJNS0_4AtanIS8_EEEEEvT_T0_DpT1_: ; @_ZN2at6native12_GLOBAL__N_125multi_tensor_apply_kernelINS1_18TensorListMetadataILi2EEENS1_14UnaryOpFunctorIN3c107complexIfEELi2ELi1ELi1EEEJNS0_4AtanIS8_EEEEEvT_T0_DpT1_
; %bb.0:
	s_bfe_u32 s2, ttmp6, 0x4000c
	s_and_b32 s3, ttmp6, 15
	s_add_co_i32 s2, s2, 1
	s_getreg_b32 s4, hwreg(HW_REG_IB_STS2, 6, 4)
	s_mul_i32 s2, ttmp9, s2
	s_delay_alu instid0(SALU_CYCLE_1)
	s_add_co_i32 s3, s3, s2
	s_cmp_eq_u32 s4, 0
	s_cselect_b32 s2, ttmp9, s3
	s_mov_b32 s3, 0
	s_load_u8 s9, s[0:1], s2 offset:0x600
	s_add_nc_u64 s[4:5], s[0:1], s[2:3]
	s_mul_u64 s[6:7], s[2:3], 3
	s_mov_b32 s19, s3
	s_add_nc_u64 s[6:7], s[4:5], s[6:7]
	s_load_b32 s8, s[6:7], 0x740
	s_wait_kmcnt 0x0
	s_clause 0x2
	s_load_b64 s[4:5], s[0:1], s9 offset:0x0 scale_offset
	s_load_b64 s[12:13], s[0:1], s9 offset:0x200 scale_offset
	;; [unrolled: 1-line block ×3, first 2 shown]
	s_wait_xcnt 0x0
	s_ashr_i32 s9, s8, 31
	s_delay_alu instid0(SALU_CYCLE_1)
	s_lshl_b64 s[6:7], s[8:9], 19
	s_wait_kmcnt 0x0
	s_and_b32 s18, s16, 3
	s_add_nc_u64 s[14:15], s[12:13], s[6:7]
	s_add_nc_u64 s[10:11], s[4:5], s[6:7]
	s_and_b64 s[20:21], s[14:15], 31
	s_and_b32 s2, s10, 31
	s_or_b64 s[18:19], s[20:21], s[18:19]
	s_lshl_b64 s[8:9], s[8:9], 16
	s_or_b64 s[2:3], s[18:19], s[2:3]
	s_sub_nc_u64 s[8:9], s[16:17], s[8:9]
	s_cmp_eq_u64 s[2:3], 0
	s_mov_b32 s2, -1
	s_cbranch_scc0 .LBB68_213
; %bb.1:
	v_min_i64 v[14:15], 0x10000, s[8:9]
	v_dual_mov_b32 v3, 0 :: v_dual_lshlrev_b32 v2, 2, v0
	s_mov_b32 s18, exec_lo
	s_delay_alu instid0(VALU_DEP_1)
	v_cmpx_lt_i64_e64 v[2:3], v[14:15]
	s_cbranch_execz .LBB68_212
; %bb.2:
	v_mbcnt_lo_u32_b32 v1, -1, 0
	v_mov_b32_e32 v4, 8
	v_mov_b32_e32 v30, 0x248d3132
	v_mov_b32_e32 v20, -1.0
	s_delay_alu instid0(VALU_DEP_4)
	v_dual_mov_b32 v24, 0x3f317218 :: v_dual_lshlrev_b32 v5, 20, v1
	v_mov_b32_e32 v32, 0x4016cbe4
	s_add_nc_u64 s[16:17], s[0:1], 0xc50
	s_mov_b32 s3, 0
	s_mov_b32 s19, 0x3e9b6dac
	v_add_nc_u64_e32 v[16:17], src_flat_scratch_base_lo, v[4:5]
	v_dual_mov_b32 v4, 0 :: v_dual_mov_b32 v1, v3
	s_mov_b32 s20, 0x3b2d2a58
	s_mov_b32 s21, 0
	v_mov_b32_e32 v31, 0xd800000
	s_delay_alu instid0(VALU_DEP_2) | instskip(SKIP_2) | instid1(VALU_DEP_2)
	v_add_nc_u64_e32 v[18:19], src_flat_scratch_base_lo, v[4:5]
	v_mov_b32_e32 v4, 4
	v_mov_b64_e32 v[26:27], v[0:1]
	v_add_nc_u64_e32 v[22:23], src_flat_scratch_base_lo, v[4:5]
	s_branch .LBB68_4
.LBB68_3:                               ;   in Loop: Header=BB68_4 Depth=1
	s_or_b32 exec_lo, exec_lo, s2
	v_add_nc_u64_e32 v[2:3], s[14:15], v[28:29]
	s_clause 0x1
	global_store_b128 v[2:3], v[6:9], off
	global_store_b128 v[2:3], v[10:13], off offset:16
	s_load_b32 s2, s[16:17], 0xc
	s_wait_kmcnt 0x0
	s_and_b32 s2, s2, 0xffff
	s_delay_alu instid0(SALU_CYCLE_1) | instskip(NEXT) | instid1(VALU_DEP_1)
	v_add_nc_u64_e32 v[26:27], s[2:3], v[26:27]
	v_lshlrev_b64_e32 v[2:3], 2, v[26:27]
	s_delay_alu instid0(VALU_DEP_1) | instskip(SKIP_1) | instid1(SALU_CYCLE_1)
	v_cmp_ge_i64_e32 vcc_lo, v[2:3], v[14:15]
	s_or_b32 s21, vcc_lo, s21
	s_and_not1_b32 exec_lo, exec_lo, s21
	s_cbranch_execz .LBB68_212
.LBB68_4:                               ; =>This Inner Loop Header: Depth=1
	s_delay_alu instid0(VALU_DEP_2) | instskip(NEXT) | instid1(VALU_DEP_1)
	v_lshlrev_b64_e32 v[28:29], 5, v[26:27]
	v_add_nc_u64_e32 v[6:7], s[10:11], v[28:29]
	s_clause 0x1
	global_load_b128 v[10:13], v[6:7], off
	global_load_b128 v[2:5], v[6:7], off offset:16
	flat_store_b32 v[16:17], v30 scope:SCOPE_SYS
	s_wait_storecnt 0x0
                                        ; implicit-def: $vgpr7
	s_wait_loadcnt 0x1
	v_cmp_neq_f32_e32 vcc_lo, 0, v10
	v_cmp_nle_f32_e64 s2, |v11|, 1.0
	s_or_b32 s2, vcc_lo, s2
	s_wait_xcnt 0x0
	s_and_saveexec_b32 s22, s2
	s_delay_alu instid0(SALU_CYCLE_1)
	s_xor_b32 s22, exec_lo, s22
	s_cbranch_execz .LBB68_54
; %bb.5:                                ;   in Loop: Header=BB68_4 Depth=1
                                        ; implicit-def: $vgpr7
	s_mov_b32 s2, exec_lo
	v_cmpx_neq_f32_e32 0, v11
	s_xor_b32 s23, exec_lo, s2
	s_cbranch_execz .LBB68_51
; %bb.6:                                ;   in Loop: Header=BB68_4 Depth=1
                                        ; implicit-def: $vgpr7
	s_mov_b32 s2, exec_lo
	v_cmpx_o_f32_e32 v11, v10
	s_xor_b32 s24, exec_lo, s2
	s_cbranch_execz .LBB68_40
; %bb.7:                                ;   in Loop: Header=BB68_4 Depth=1
	v_max_num_f32_e64 v6, |v11|, |v11|
	s_wait_dscnt 0x1
	v_max_num_f32_e64 v1, |v10|, |v10|
	s_delay_alu instid0(VALU_DEP_1) | instskip(NEXT) | instid1(VALU_DEP_1)
	v_max_num_f32_e32 v6, v1, v6
	v_cmp_nlt_f32_e32 vcc_lo, 0x4b000000, v6
                                        ; implicit-def: $vgpr7
	s_and_saveexec_b32 s2, vcc_lo
	s_delay_alu instid0(SALU_CYCLE_1)
	s_xor_b32 s25, exec_lo, s2
	s_cbranch_execz .LBB68_25
; %bb.8:                                ;   in Loop: Header=BB68_4 Depth=1
	v_cmp_ngt_f32_e64 s2, 0x399cc471, |v11|
	v_cmp_ngt_f32_e64 s26, 0x399cc471, |v10|
                                        ; implicit-def: $vgpr7
	s_or_b32 s2, s26, s2
	s_delay_alu instid0(SALU_CYCLE_1) | instskip(NEXT) | instid1(SALU_CYCLE_1)
	s_and_saveexec_b32 s26, s2
	s_xor_b32 s26, exec_lo, s26
	s_cbranch_execz .LBB68_22
; %bb.9:                                ;   in Loop: Header=BB68_4 Depth=1
	v_cmp_neq_f32_e64 s27, |v11|, 1.0
	v_cmp_ngt_f32_e64 s2, 0x34000000, |v10|
                                        ; implicit-def: $vgpr6
	s_or_b32 s28, s2, s27
	s_delay_alu instid0(SALU_CYCLE_1) | instskip(NEXT) | instid1(SALU_CYCLE_1)
	s_and_saveexec_b32 s29, s28
	s_xor_b32 s28, exec_lo, s29
	s_cbranch_execz .LBB68_11
; %bb.10:                               ;   in Loop: Header=BB68_4 Depth=1
	v_add_f32_e64 v7, |v11|, -1.0
	v_mov_b32_e32 v6, v10
	v_cmp_gt_f32_e64 vcc_lo, 0x20000000, |v10|
	v_mul_f32_e64 v8, |v11|, 4.0
	s_delay_alu instid0(VALU_DEP_3) | instskip(NEXT) | instid1(VALU_DEP_1)
	v_pk_mul_f32 v[6:7], v[6:7], v[6:7]
	v_add_f32_e32 v6, v6, v7
	s_delay_alu instid0(VALU_DEP_1) | instskip(NEXT) | instid1(VALU_DEP_1)
	v_cndmask_b32_e32 v6, v6, v7, vcc_lo
	v_div_scale_f32 v7, null, v6, v6, v8
	v_div_scale_f32 v25, vcc_lo, v8, v6, v8
	s_delay_alu instid0(VALU_DEP_2) | instskip(SKIP_1) | instid1(TRANS32_DEP_1)
	v_rcp_f32_e32 v9, v7
	v_nop
	v_fma_f32 v21, -v7, v9, 1.0
	s_delay_alu instid0(VALU_DEP_1) | instskip(NEXT) | instid1(VALU_DEP_1)
	v_fmac_f32_e32 v9, v21, v9
	v_mul_f32_e32 v21, v25, v9
	s_delay_alu instid0(VALU_DEP_1) | instskip(NEXT) | instid1(VALU_DEP_1)
	v_fma_f32 v33, -v7, v21, v25
	v_fmac_f32_e32 v21, v33, v9
	s_delay_alu instid0(VALU_DEP_1) | instskip(NEXT) | instid1(VALU_DEP_1)
	v_fma_f32 v7, -v7, v21, v25
	v_div_fmas_f32 v7, v7, v9, v21
	s_delay_alu instid0(VALU_DEP_1) | instskip(NEXT) | instid1(VALU_DEP_1)
	v_div_fixup_f32 v6, v7, v6, v8
	v_add_f32_e32 v9, 1.0, v6
	s_delay_alu instid0(VALU_DEP_1) | instskip(SKIP_2) | instid1(VALU_DEP_2)
	v_cvt_f64_f32_e32 v[34:35], v9
	v_frexp_mant_f32_e32 v21, v9
	v_add_f32_e32 v7, -1.0, v9
	v_cmp_gt_f32_e32 vcc_lo, 0x3f2aaaab, v21
	s_delay_alu instid0(VALU_DEP_4) | instskip(NEXT) | instid1(VALU_DEP_1)
	v_frexp_exp_i32_f64_e32 v8, v[34:35]
	v_subrev_co_ci_u32_e64 v21, null, 0, v8, vcc_lo
	s_delay_alu instid0(VALU_DEP_4) | instskip(SKIP_1) | instid1(VALU_DEP_3)
	v_mov_b32_e32 v8, v7
	v_cmp_neq_f32_e32 vcc_lo, 0x7f800000, v6
	v_sub_nc_u32_e32 v25, 0, v21
	s_delay_alu instid0(VALU_DEP_3) | instskip(NEXT) | instid1(VALU_DEP_2)
	v_pk_add_f32 v[34:35], v[6:7], v[8:9] neg_lo:[0,1] neg_hi:[0,1]
	v_ldexp_f32 v7, v9, v25
	s_delay_alu instid0(VALU_DEP_2) | instskip(NEXT) | instid1(VALU_DEP_1)
	v_add_f32_e32 v8, 1.0, v35
	v_dual_add_f32 v33, 1.0, v7 :: v_dual_add_f32 v8, v34, v8
	s_delay_alu instid0(VALU_DEP_1) | instskip(NEXT) | instid1(VALU_DEP_2)
	v_dual_add_f32 v9, -1.0, v33 :: v_dual_add_f32 v37, -1.0, v7
	v_ldexp_f32 v8, v8, v25
	s_delay_alu instid0(VALU_DEP_2) | instskip(NEXT) | instid1(VALU_DEP_3)
	v_sub_f32_e32 v9, v7, v9
	v_add_f32_e32 v25, 1.0, v37
	s_delay_alu instid0(VALU_DEP_1) | instskip(NEXT) | instid1(VALU_DEP_1)
	v_sub_f32_e32 v7, v7, v25
	v_dual_add_f32 v7, v8, v7 :: v_dual_add_f32 v35, v8, v9
	s_delay_alu instid0(VALU_DEP_1) | instskip(NEXT) | instid1(VALU_DEP_2)
	v_add_f32_e32 v9, v37, v7
	v_add_f32_e32 v25, v33, v35
	s_delay_alu instid0(VALU_DEP_2) | instskip(NEXT) | instid1(VALU_DEP_2)
	v_sub_f32_e32 v40, v9, v37
	v_rcp_f32_e32 v38, v25
	s_delay_alu instid0(VALU_DEP_1)
	v_dual_sub_f32 v8, v25, v33 :: v_dual_sub_f32 v7, v7, v40
	s_delay_alu instid0(TRANS32_DEP_1) | instid1(VALU_DEP_1)
	v_dual_sub_f32 v33, v35, v8 :: v_dual_mul_f32 v39, v9, v38
	s_delay_alu instid0(VALU_DEP_1) | instskip(NEXT) | instid1(VALU_DEP_1)
	v_mul_f32_e32 v34, v25, v39
	v_fma_f32 v36, v39, v25, -v34
	s_delay_alu instid0(VALU_DEP_1) | instskip(NEXT) | instid1(VALU_DEP_1)
	v_fmac_f32_e32 v36, v39, v33
	v_add_f32_e32 v8, v34, v36
	s_delay_alu instid0(VALU_DEP_1) | instskip(NEXT) | instid1(VALU_DEP_1)
	v_dual_sub_f32 v35, v9, v8 :: v_dual_mov_b32 v37, v8
	v_pk_add_f32 v[8:9], v[8:9], v[34:35] neg_lo:[0,1] neg_hi:[0,1]
	s_delay_alu instid0(VALU_DEP_1) | instskip(NEXT) | instid1(VALU_DEP_1)
	v_pk_add_f32 v[8:9], v[8:9], v[36:37] neg_lo:[0,1] neg_hi:[0,1]
	v_add_f32_e32 v7, v7, v9
	s_delay_alu instid0(VALU_DEP_1) | instskip(NEXT) | instid1(VALU_DEP_1)
	v_add_f32_e32 v7, v8, v7
	v_add_f32_e32 v9, v35, v7
	s_delay_alu instid0(VALU_DEP_1) | instskip(NEXT) | instid1(VALU_DEP_1)
	v_mul_f32_e32 v40, v38, v9
	v_mul_f32_e32 v36, v25, v40
	s_delay_alu instid0(VALU_DEP_1) | instskip(SKIP_1) | instid1(VALU_DEP_2)
	v_fma_f32 v34, v40, v25, -v36
	v_sub_f32_e32 v25, v35, v9
	v_dual_fmac_f32 v34, v40, v33 :: v_dual_add_f32 v33, v39, v40
	s_delay_alu instid0(VALU_DEP_1) | instskip(NEXT) | instid1(VALU_DEP_1)
	v_add_f32_e32 v8, v36, v34
	v_dual_sub_f32 v37, v9, v8 :: v_dual_mov_b32 v35, v8
	s_delay_alu instid0(VALU_DEP_4) | instskip(NEXT) | instid1(VALU_DEP_2)
	v_add_f32_e32 v7, v7, v25
	v_pk_add_f32 v[8:9], v[8:9], v[36:37] neg_lo:[0,1] neg_hi:[0,1]
	s_delay_alu instid0(VALU_DEP_1) | instskip(NEXT) | instid1(VALU_DEP_1)
	v_pk_add_f32 v[8:9], v[8:9], v[34:35] neg_lo:[0,1] neg_hi:[0,1]
	v_add_f32_e32 v7, v7, v9
	s_delay_alu instid0(VALU_DEP_1) | instskip(SKIP_1) | instid1(VALU_DEP_1)
	v_add_f32_e32 v7, v8, v7
	v_sub_f32_e32 v8, v33, v39
	v_dual_add_f32 v7, v37, v7 :: v_dual_sub_f32 v8, v40, v8
	s_delay_alu instid0(VALU_DEP_1) | instskip(NEXT) | instid1(VALU_DEP_1)
	v_mul_f32_e32 v7, v38, v7
	v_add_f32_e32 v7, v8, v7
	v_cvt_f32_i32_e32 v8, v21
	s_delay_alu instid0(VALU_DEP_2) | instskip(NEXT) | instid1(VALU_DEP_1)
	v_add_f32_e32 v38, v33, v7
	v_dual_mul_f32 v25, v38, v38 :: v_dual_sub_f32 v21, v38, v33
	s_delay_alu instid0(VALU_DEP_1) | instskip(NEXT) | instid1(VALU_DEP_2)
	v_dual_fmaak_f32 v34, s19, v25, 0x3ecc95a3 :: v_dual_mul_f32 v9, v38, v25
	v_sub_f32_e32 v7, v7, v21
	v_ldexp_f32 v37, v38, 1
	s_delay_alu instid0(VALU_DEP_3) | instskip(NEXT) | instid1(VALU_DEP_3)
	v_fmaak_f32 v25, v25, v34, 0x3f2aaada
	v_ldexp_f32 v7, v7, 1
	s_delay_alu instid0(VALU_DEP_2) | instskip(NEXT) | instid1(VALU_DEP_1)
	v_pk_mul_f32 v[34:35], v[8:9], v[24:25]
	v_fma_f32 v36, 0x3f317218, v8, -v34
	v_mov_b32_e32 v38, v34
	s_delay_alu instid0(VALU_DEP_2) | instskip(NEXT) | instid1(VALU_DEP_1)
	v_fmac_f32_e32 v36, 0xb102e308, v8
	v_pk_add_f32 v[8:9], v[34:35], v[36:37]
	s_delay_alu instid0(VALU_DEP_1) | instskip(NEXT) | instid1(VALU_DEP_1)
	v_dual_sub_f32 v21, v9, v37 :: v_dual_mov_b32 v37, v8
	v_dual_mov_b32 v46, v9 :: v_dual_sub_f32 v21, v35, v21
	v_pk_add_f32 v[34:35], v[8:9], v[34:35] neg_lo:[0,1] neg_hi:[0,1]
	s_delay_alu instid0(VALU_DEP_2) | instskip(NEXT) | instid1(VALU_DEP_1)
	v_add_f32_e32 v39, v7, v21
	v_pk_add_f32 v[40:41], v[8:9], v[38:39]
	s_delay_alu instid0(VALU_DEP_1) | instskip(NEXT) | instid1(VALU_DEP_1)
	v_mov_b32_e32 v35, v41
	v_pk_add_f32 v[42:43], v[36:37], v[34:35]
	v_pk_add_f32 v[34:35], v[36:37], v[34:35] neg_lo:[0,1] neg_hi:[0,1]
	s_delay_alu instid0(VALU_DEP_2) | instskip(NEXT) | instid1(VALU_DEP_1)
	v_dual_mov_b32 v42, v41 :: v_dual_mov_b32 v38, v43
	v_pk_add_f32 v[44:45], v[38:39], v[8:9] neg_lo:[0,1] neg_hi:[0,1]
	v_dual_mov_b32 v9, v8 :: v_dual_mov_b32 v8, v39
	s_delay_alu instid0(VALU_DEP_2) | instskip(NEXT) | instid1(VALU_DEP_1)
	v_dual_mov_b32 v7, v44 :: v_dual_mov_b32 v47, v44
	v_pk_add_f32 v[36:37], v[40:41], v[6:7] neg_lo:[0,1] neg_hi:[0,1]
	s_delay_alu instid0(VALU_DEP_2) | instskip(SKIP_1) | instid1(VALU_DEP_2)
	v_pk_add_f32 v[44:45], v[42:43], v[46:47] neg_lo:[0,1] neg_hi:[0,1]
	v_mov_b32_e32 v36, v34
	v_pk_add_f32 v[8:9], v[8:9], v[44:45] neg_lo:[0,1] neg_hi:[0,1]
	s_delay_alu instid0(VALU_DEP_1) | instskip(NEXT) | instid1(VALU_DEP_1)
	v_pk_add_f32 v[36:37], v[36:37], v[8:9]
	v_mov_b32_e32 v40, v37
	s_delay_alu instid0(VALU_DEP_1) | instskip(NEXT) | instid1(VALU_DEP_1)
	v_pk_add_f32 v[40:41], v[36:37], v[40:41]
	v_pk_add_f32 v[38:39], v[38:39], v[40:41]
	s_delay_alu instid0(VALU_DEP_1) | instskip(NEXT) | instid1(VALU_DEP_1)
	v_dual_mov_b32 v35, v43 :: v_dual_mov_b32 v37, v38
	v_pk_add_f32 v[42:43], v[36:37], v[34:35] neg_lo:[0,1] neg_hi:[0,1]
	s_delay_alu instid0(VALU_DEP_1) | instskip(NEXT) | instid1(VALU_DEP_1)
	v_sub_f32_e32 v7, v36, v42
	v_dual_mov_b32 v9, v40 :: v_dual_sub_f32 v7, v34, v7
	s_delay_alu instid0(VALU_DEP_1) | instskip(NEXT) | instid1(VALU_DEP_1)
	v_pk_add_f32 v[8:9], v[8:9], v[42:43] neg_lo:[0,1] neg_hi:[0,1]
	v_add_f32_e32 v7, v8, v7
	s_delay_alu instid0(VALU_DEP_1) | instskip(NEXT) | instid1(VALU_DEP_1)
	v_add_f32_e32 v7, v7, v9
	v_add_f32_e32 v7, v38, v7
	s_delay_alu instid0(VALU_DEP_1) | instskip(SKIP_1) | instid1(VALU_DEP_2)
	v_cndmask_b32_e32 v7, 0x7f800000, v7, vcc_lo
	v_cmp_ngt_f32_e32 vcc_lo, -1.0, v6
	v_cndmask_b32_e32 v7, 0x7fc00000, v7, vcc_lo
	v_cmp_neq_f32_e32 vcc_lo, -1.0, v6
	s_delay_alu instid0(VALU_DEP_2) | instskip(SKIP_1) | instid1(VALU_DEP_2)
	v_cndmask_b32_e32 v7, 0xff800000, v7, vcc_lo
	v_cmp_gt_f32_e64 vcc_lo, 0x33800000, |v6|
	v_cndmask_b32_e32 v6, v7, v6, vcc_lo
	s_delay_alu instid0(VALU_DEP_1)
	v_mul_f32_e32 v6, 0x3e800000, v6
	s_and_not1_saveexec_b32 s28, s28
	s_cbranch_execz .LBB68_13
	s_branch .LBB68_12
.LBB68_11:                              ;   in Loop: Header=BB68_4 Depth=1
	s_and_not1_saveexec_b32 s28, s28
	s_cbranch_execz .LBB68_13
.LBB68_12:                              ;   in Loop: Header=BB68_4 Depth=1
	v_cmp_gt_f32_e64 s29, 0x800000, |v10|
	s_delay_alu instid0(VALU_DEP_1) | instskip(NEXT) | instid1(VALU_DEP_1)
	v_cndmask_b32_e64 v6, 0, 32, s29
	v_ldexp_f32 v6, |v10|, v6
	s_delay_alu instid0(VALU_DEP_1) | instskip(SKIP_1) | instid1(TRANS32_DEP_1)
	v_log_f32_e32 v6, v6
	v_nop
	v_mul_f32_e32 v7, 0x3f317217, v6
	v_cmp_gt_f32_e64 vcc_lo, 0x7f800000, |v6|
	s_delay_alu instid0(VALU_DEP_2) | instskip(NEXT) | instid1(VALU_DEP_1)
	v_fma_f32 v7, 0x3f317217, v6, -v7
	v_fmac_f32_e32 v7, 0x3377d1cf, v6
	s_delay_alu instid0(VALU_DEP_1) | instskip(NEXT) | instid1(VALU_DEP_1)
	v_fmac_f32_e32 v7, 0x3f317217, v6
	v_cndmask_b32_e32 v6, v6, v7, vcc_lo
	v_cndmask_b32_e64 v7, 0, 0x41b17218, s29
	s_delay_alu instid0(VALU_DEP_1) | instskip(NEXT) | instid1(VALU_DEP_1)
	v_sub_f32_e32 v6, v6, v7
	v_sub_f32_e32 v6, 0x3f317218, v6
	s_delay_alu instid0(VALU_DEP_1)
	v_mul_f32_e32 v6, 0.5, v6
.LBB68_13:                              ;   in Loop: Header=BB68_4 Depth=1
	s_or_b32 exec_lo, exec_lo, s28
                                        ; implicit-def: $vgpr8
	s_and_saveexec_b32 s28, s27
	s_delay_alu instid0(SALU_CYCLE_1)
	s_xor_b32 s27, exec_lo, s28
	s_cbranch_execz .LBB68_19
; %bb.14:                               ;   in Loop: Header=BB68_4 Depth=1
	v_sub_f32_e64 v7, 1.0, |v11|
	v_add_f32_e64 v8, |v11|, 1.0
	v_add_f32_e64 v1, |v10|, |v10|
	s_delay_alu instid0(VALU_DEP_1) | instskip(SKIP_1) | instid1(SALU_CYCLE_1)
	v_dual_mul_f32 v7, v7, v8 :: v_dual_max_num_f32 v9, v1, v1
                                        ; implicit-def: $vgpr8
	s_and_saveexec_b32 s28, s2
	s_xor_b32 s28, exec_lo, s28
	s_cbranch_execz .LBB68_16
; %bb.15:                               ;   in Loop: Header=BB68_4 Depth=1
	s_delay_alu instid0(VALU_DEP_1) | instskip(NEXT) | instid1(VALU_DEP_1)
	v_fma_f32 v7, -v10, v10, v7
	v_max_num_f32_e64 v8, |v7|, v9
	v_min_num_f32_e64 v9, |v7|, v9
	s_delay_alu instid0(VALU_DEP_2) | instskip(SKIP_1) | instid1(VALU_DEP_3)
	v_frexp_mant_f32_e32 v21, v8
	v_frexp_exp_i32_f32_e32 v8, v8
	v_frexp_exp_i32_f32_e32 v25, v9
	v_frexp_mant_f32_e32 v9, v9
	s_delay_alu instid0(VALU_DEP_4) | instskip(NEXT) | instid1(VALU_DEP_2)
	v_rcp_f32_e32 v21, v21
	v_sub_nc_u32_e32 v8, v25, v8
	v_cmp_gt_f32_e64 vcc_lo, v1, |v7|
	v_cmp_gt_i32_e64 s2, 0, v7
	v_cmp_class_f32_e64 s29, v7, 0x204
	s_delay_alu instid0(TRANS32_DEP_1) | instskip(NEXT) | instid1(VALU_DEP_1)
	v_mul_f32_e32 v9, v9, v21
	v_ldexp_f32 v8, v9, v8
	s_delay_alu instid0(VALU_DEP_1) | instskip(NEXT) | instid1(VALU_DEP_1)
	v_mul_f32_e32 v9, v8, v8
	v_fmaak_f32 v21, s20, v9, 0xbc7a590c
	s_delay_alu instid0(VALU_DEP_1) | instskip(NEXT) | instid1(VALU_DEP_1)
	v_fmaak_f32 v21, v9, v21, 0x3d29fb3f
	v_fmaak_f32 v21, v9, v21, 0xbd97d4d7
	s_delay_alu instid0(VALU_DEP_1) | instskip(NEXT) | instid1(VALU_DEP_1)
	v_fmaak_f32 v21, v9, v21, 0x3dd931b2
	;; [unrolled: 3-line block ×3, first 2 shown]
	v_fmaak_f32 v21, v9, v21, 0xbeaaaa62
	s_delay_alu instid0(VALU_DEP_1) | instskip(NEXT) | instid1(VALU_DEP_1)
	v_mul_f32_e32 v9, v9, v21
	v_fmac_f32_e32 v8, v8, v9
	s_delay_alu instid0(VALU_DEP_1) | instskip(NEXT) | instid1(VALU_DEP_1)
	v_sub_f32_e32 v9, 0x3fc90fdb, v8
	v_cndmask_b32_e32 v8, v8, v9, vcc_lo
	v_cmp_gt_f32_e32 vcc_lo, 0, v7
	s_delay_alu instid0(VALU_DEP_2) | instskip(SKIP_1) | instid1(VALU_DEP_2)
	v_sub_f32_e32 v9, 0x40490fdb, v8
	v_cndmask_b32_e32 v21, 0x3f490fdb, v32, vcc_lo
	v_cndmask_b32_e32 v8, v8, v9, vcc_lo
	v_cndmask_b32_e64 v9, 0, 0x40490fdb, s2
	v_cmp_eq_f32_e64 s2, 0, v1
	v_cmp_eq_f32_e32 vcc_lo, 0x7f800000, v1
	s_delay_alu instid0(VALU_DEP_2) | instskip(SKIP_1) | instid1(VALU_DEP_1)
	v_cndmask_b32_e64 v1, |v8|, v9, s2
	s_and_b32 vcc_lo, vcc_lo, s29
                                        ; implicit-def: $vgpr9
	v_cndmask_b32_e32 v1, v1, v21, vcc_lo
	v_cmp_o_f32_e32 vcc_lo, v7, v7
                                        ; implicit-def: $vgpr7
	s_delay_alu instid0(VALU_DEP_2)
	v_cndmask_b32_e32 v8, 0x7fc00000, v1, vcc_lo
                                        ; implicit-def: $vgpr1
.LBB68_16:                              ;   in Loop: Header=BB68_4 Depth=1
	s_and_not1_saveexec_b32 s28, s28
	s_cbranch_execz .LBB68_18
; %bb.17:                               ;   in Loop: Header=BB68_4 Depth=1
	v_max_num_f32_e64 v8, |v7|, |v7|
	v_cmp_gt_f32_e64 vcc_lo, v1, |v7|
	v_cmp_gt_i32_e64 s2, 0, v7
	v_cmp_class_f32_e64 s29, v7, 0x204
	s_delay_alu instid0(VALU_DEP_4) | instskip(NEXT) | instid1(VALU_DEP_1)
	v_dual_max_num_f32 v21, v8, v9 :: v_dual_min_num_f32 v8, v8, v9
	v_frexp_mant_f32_e32 v25, v21
	v_frexp_exp_i32_f32_e32 v9, v21
	s_delay_alu instid0(VALU_DEP_2) | instskip(SKIP_3) | instid1(VALU_DEP_2)
	v_rcp_f32_e32 v21, v25
	v_nop
	v_frexp_exp_i32_f32_e32 v25, v8
	v_frexp_mant_f32_e32 v8, v8
	v_sub_nc_u32_e32 v9, v25, v9
	s_delay_alu instid0(TRANS32_DEP_1) | instid1(VALU_DEP_2)
	v_mul_f32_e32 v8, v8, v21
	s_delay_alu instid0(VALU_DEP_1) | instskip(NEXT) | instid1(VALU_DEP_1)
	v_ldexp_f32 v8, v8, v9
	v_mul_f32_e32 v9, v8, v8
	s_delay_alu instid0(VALU_DEP_1) | instskip(NEXT) | instid1(VALU_DEP_1)
	v_fmaak_f32 v21, s20, v9, 0xbc7a590c
	v_fmaak_f32 v21, v9, v21, 0x3d29fb3f
	s_delay_alu instid0(VALU_DEP_1) | instskip(NEXT) | instid1(VALU_DEP_1)
	v_fmaak_f32 v21, v9, v21, 0xbd97d4d7
	v_fmaak_f32 v21, v9, v21, 0x3dd931b2
	;; [unrolled: 3-line block ×3, first 2 shown]
	s_delay_alu instid0(VALU_DEP_1) | instskip(NEXT) | instid1(VALU_DEP_1)
	v_fmaak_f32 v21, v9, v21, 0xbeaaaa62
	v_mul_f32_e32 v9, v9, v21
	s_delay_alu instid0(VALU_DEP_1) | instskip(NEXT) | instid1(VALU_DEP_1)
	v_fmac_f32_e32 v8, v8, v9
	v_sub_f32_e32 v9, 0x3fc90fdb, v8
	s_delay_alu instid0(VALU_DEP_1) | instskip(SKIP_1) | instid1(VALU_DEP_2)
	v_cndmask_b32_e32 v8, v8, v9, vcc_lo
	v_cmp_gt_f32_e32 vcc_lo, 0, v7
	v_sub_f32_e32 v9, 0x40490fdb, v8
	v_cndmask_b32_e32 v21, 0x3f490fdb, v32, vcc_lo
	s_delay_alu instid0(VALU_DEP_2) | instskip(SKIP_3) | instid1(VALU_DEP_2)
	v_cndmask_b32_e32 v8, v8, v9, vcc_lo
	v_cndmask_b32_e64 v9, 0, 0x40490fdb, s2
	v_cmp_eq_f32_e64 s2, 0, v1
	v_cmp_eq_f32_e32 vcc_lo, 0x7f800000, v1
	v_cndmask_b32_e64 v1, |v8|, v9, s2
	s_and_b32 vcc_lo, vcc_lo, s29
	s_delay_alu instid0(VALU_DEP_1) | instskip(SKIP_1) | instid1(VALU_DEP_2)
	v_cndmask_b32_e32 v1, v1, v21, vcc_lo
	v_cmp_o_f32_e32 vcc_lo, v7, v7
	v_cndmask_b32_e32 v8, 0x7fc00000, v1, vcc_lo
.LBB68_18:                              ;   in Loop: Header=BB68_4 Depth=1
	s_or_b32 exec_lo, exec_lo, s28
                                        ; implicit-def: $vgpr1
	s_and_not1_saveexec_b32 s2, s27
	s_cbranch_execnz .LBB68_20
	s_branch .LBB68_21
.LBB68_19:                              ;   in Loop: Header=BB68_4 Depth=1
	s_and_not1_saveexec_b32 s2, s27
	s_cbranch_execz .LBB68_21
.LBB68_20:                              ;   in Loop: Header=BB68_4 Depth=1
	v_dual_max_num_f32 v7, 2.0, v1 :: v_dual_min_num_f32 v1, 2.0, v1
	v_cmp_lt_f32_e64 vcc_lo, |v10|, 2.0
	s_delay_alu instid0(VALU_DEP_2) | instskip(SKIP_1) | instid1(VALU_DEP_4)
	v_frexp_mant_f32_e32 v8, v7
	v_frexp_exp_i32_f32_e32 v7, v7
	v_frexp_mant_f32_e32 v9, v1
	v_frexp_exp_i32_f32_e32 v1, v1
	s_delay_alu instid0(VALU_DEP_4) | instskip(NEXT) | instid1(VALU_DEP_1)
	v_rcp_f32_e32 v8, v8
	v_sub_nc_u32_e32 v1, v1, v7
	s_delay_alu instid0(TRANS32_DEP_1) | instskip(NEXT) | instid1(VALU_DEP_1)
	v_mul_f32_e32 v8, v9, v8
	v_ldexp_f32 v1, v8, v1
	s_delay_alu instid0(VALU_DEP_1) | instskip(NEXT) | instid1(VALU_DEP_1)
	v_mul_f32_e32 v7, v1, v1
	v_fmaak_f32 v8, s20, v7, 0xbc7a590c
	s_delay_alu instid0(VALU_DEP_1) | instskip(NEXT) | instid1(VALU_DEP_1)
	v_fmaak_f32 v8, v7, v8, 0x3d29fb3f
	v_fmaak_f32 v8, v7, v8, 0xbd97d4d7
	s_delay_alu instid0(VALU_DEP_1) | instskip(NEXT) | instid1(VALU_DEP_1)
	v_fmaak_f32 v8, v7, v8, 0x3dd931b2
	;; [unrolled: 3-line block ×3, first 2 shown]
	v_fmaak_f32 v8, v7, v8, 0xbeaaaa62
	s_delay_alu instid0(VALU_DEP_1) | instskip(NEXT) | instid1(VALU_DEP_1)
	v_mul_f32_e32 v7, v7, v8
	v_fmac_f32_e32 v1, v1, v7
	s_delay_alu instid0(VALU_DEP_1) | instskip(NEXT) | instid1(VALU_DEP_1)
	v_sub_f32_e32 v7, 0x3fc90fdb, v1
	v_cndmask_b32_e32 v1, v1, v7, vcc_lo
	v_cmp_lg_f32_e32 vcc_lo, 0, v10
	s_delay_alu instid0(VALU_DEP_2) | instskip(NEXT) | instid1(VALU_DEP_1)
	v_sub_f32_e32 v7, 0x40490fdb, v1
	v_cndmask_b32_e32 v1, v1, v7, vcc_lo
	s_delay_alu instid0(VALU_DEP_1)
	v_and_b32_e32 v8, 0x7fffffff, v1
.LBB68_21:                              ;   in Loop: Header=BB68_4 Depth=1
	s_or_b32 exec_lo, exec_lo, s2
	s_delay_alu instid0(VALU_DEP_1) | instskip(SKIP_1) | instid1(VALU_DEP_2)
	v_mul_f32_e32 v1, 0.5, v8
	v_bfi_b32 v7, 0x7fffffff, v6, v11
	v_bfi_b32 v6, 0x7fffffff, v1, v10
.LBB68_22:                              ;   in Loop: Header=BB68_4 Depth=1
	s_and_not1_saveexec_b32 s2, s26
	s_cbranch_execz .LBB68_24
; %bb.23:                               ;   in Loop: Header=BB68_4 Depth=1
	flat_store_b32 v[18:19], v31 scope:SCOPE_SYS
	s_wait_storecnt 0x0
	flat_load_b32 v1, v[18:19] scope:SCOPE_SYS
	s_wait_loadcnt 0x0
	v_dual_mov_b32 v6, v10 :: v_dual_mov_b32 v7, v11
	s_wait_dscnt 0x0
	v_add_f32_e32 v1, 1.0, v1
	flat_store_b32 v[22:23], v1 scope:SCOPE_SYS
	s_wait_storecnt 0x0
	flat_load_b32 v1, v[22:23] scope:SCOPE_SYS
	s_wait_loadcnt 0x0
.LBB68_24:                              ;   in Loop: Header=BB68_4 Depth=1
	s_wait_xcnt 0x0
	s_or_b32 exec_lo, exec_lo, s2
.LBB68_25:                              ;   in Loop: Header=BB68_4 Depth=1
	s_and_not1_saveexec_b32 s2, s25
	s_cbranch_execz .LBB68_39
; %bb.26:                               ;   in Loop: Header=BB68_4 Depth=1
	s_wait_dscnt 0x0
	v_and_b32_e32 v1, 0x7f800000, v11
	v_and_b32_e32 v6, 0x7f800000, v10
	v_cmp_neq_f32_e64 s25, 0x7f800000, |v11|
	s_delay_alu instid0(VALU_DEP_2) | instskip(NEXT) | instid1(VALU_DEP_1)
	v_sub_nc_u32_e32 v7, v1, v6
	v_cmp_gt_i32_e32 vcc_lo, 0x6800000, v7
                                        ; implicit-def: $vgpr7
	s_and_b32 s25, s25, vcc_lo
	s_delay_alu instid0(SALU_CYCLE_1) | instskip(NEXT) | instid1(SALU_CYCLE_1)
	s_and_saveexec_b32 s26, s25
	s_xor_b32 s25, exec_lo, s26
	s_cbranch_execz .LBB68_36
; %bb.27:                               ;   in Loop: Header=BB68_4 Depth=1
	v_sub_nc_u32_e32 v6, v6, v1
	s_mov_b32 s26, exec_lo
                                        ; implicit-def: $vgpr7
	s_delay_alu instid0(VALU_DEP_1)
	v_cmpx_gt_i32_e32 0x6800000, v6
	s_xor_b32 s26, exec_lo, s26
	s_cbranch_execz .LBB68_33
; %bb.28:                               ;   in Loop: Header=BB68_4 Depth=1
	s_mov_b32 s27, exec_lo
                                        ; implicit-def: $vgpr7
	v_cmpx_lt_u32_e32 0x59000000, v1
	s_xor_b32 s27, exec_lo, s27
	s_cbranch_execz .LBB68_30
; %bb.29:                               ;   in Loop: Header=BB68_4 Depth=1
	v_sub_nc_u32_e32 v6, 0x7f800000, v1
	s_delay_alu instid0(VALU_DEP_1) | instskip(NEXT) | instid1(VALU_DEP_1)
	v_pk_mul_f32 v[8:9], v[10:11], v[6:7] op_sel_hi:[1,0]
	v_pk_mul_f32 v[34:35], v[8:9], v[8:9]
	s_delay_alu instid0(VALU_DEP_1) | instskip(NEXT) | instid1(VALU_DEP_1)
	v_add_f32_e32 v1, v35, v34
	v_div_scale_f32 v7, null, v1, v1, v9
	s_delay_alu instid0(VALU_DEP_1) | instskip(SKIP_1) | instid1(TRANS32_DEP_1)
	v_rcp_f32_e32 v8, v7
	v_nop
	v_fma_f32 v21, -v7, v8, 1.0
	s_delay_alu instid0(VALU_DEP_1) | instskip(SKIP_1) | instid1(VALU_DEP_1)
	v_fmac_f32_e32 v8, v21, v8
	v_div_scale_f32 v21, vcc_lo, v9, v1, v9
	v_mul_f32_e32 v25, v21, v8
	s_delay_alu instid0(VALU_DEP_1) | instskip(NEXT) | instid1(VALU_DEP_1)
	v_fma_f32 v33, -v7, v25, v21
	v_fmac_f32_e32 v25, v33, v8
	s_delay_alu instid0(VALU_DEP_1) | instskip(NEXT) | instid1(VALU_DEP_1)
	v_fma_f32 v7, -v7, v25, v21
	v_div_fmas_f32 v7, v7, v8, v25
	s_delay_alu instid0(VALU_DEP_1) | instskip(NEXT) | instid1(VALU_DEP_1)
	v_div_fixup_f32 v1, v7, v1, v9
	v_mul_f32_e32 v7, v1, v6
.LBB68_30:                              ;   in Loop: Header=BB68_4 Depth=1
	s_and_not1_saveexec_b32 s27, s27
	s_cbranch_execz .LBB68_32
; %bb.31:                               ;   in Loop: Header=BB68_4 Depth=1
	v_pk_mul_f32 v[6:7], v[10:11], v[10:11]
	s_delay_alu instid0(VALU_DEP_1) | instskip(NEXT) | instid1(VALU_DEP_1)
	v_add_f32_e32 v1, v6, v7
	v_div_scale_f32 v6, null, v1, v1, v11
	s_delay_alu instid0(VALU_DEP_1) | instskip(SKIP_1) | instid1(TRANS32_DEP_1)
	v_rcp_f32_e32 v7, v6
	v_nop
	v_fma_f32 v8, -v6, v7, 1.0
	s_delay_alu instid0(VALU_DEP_1) | instskip(SKIP_1) | instid1(VALU_DEP_1)
	v_fmac_f32_e32 v7, v8, v7
	v_div_scale_f32 v8, vcc_lo, v11, v1, v11
	v_mul_f32_e32 v9, v8, v7
	s_delay_alu instid0(VALU_DEP_1) | instskip(NEXT) | instid1(VALU_DEP_1)
	v_fma_f32 v21, -v6, v9, v8
	v_fmac_f32_e32 v9, v21, v7
	s_delay_alu instid0(VALU_DEP_1) | instskip(NEXT) | instid1(VALU_DEP_1)
	v_fma_f32 v6, -v6, v9, v8
	v_div_fmas_f32 v6, v6, v7, v9
	s_delay_alu instid0(VALU_DEP_1)
	v_div_fixup_f32 v7, v6, v1, v11
.LBB68_32:                              ;   in Loop: Header=BB68_4 Depth=1
	s_or_b32 exec_lo, exec_lo, s27
.LBB68_33:                              ;   in Loop: Header=BB68_4 Depth=1
	s_and_not1_saveexec_b32 s26, s26
	s_cbranch_execz .LBB68_35
; %bb.34:                               ;   in Loop: Header=BB68_4 Depth=1
	v_div_scale_f32 v1, null, v10, v10, v11
	v_div_scale_f32 v8, vcc_lo, v11, v10, v11
	s_delay_alu instid0(VALU_DEP_2) | instskip(SKIP_1) | instid1(TRANS32_DEP_1)
	v_rcp_f32_e32 v6, v1
	v_nop
	v_fma_f32 v7, -v1, v6, 1.0
	s_delay_alu instid0(VALU_DEP_1) | instskip(NEXT) | instid1(VALU_DEP_1)
	v_fmac_f32_e32 v6, v7, v6
	v_mul_f32_e32 v7, v8, v6
	s_delay_alu instid0(VALU_DEP_1) | instskip(NEXT) | instid1(VALU_DEP_1)
	v_fma_f32 v9, -v1, v7, v8
	v_fmac_f32_e32 v7, v9, v6
	s_delay_alu instid0(VALU_DEP_1) | instskip(NEXT) | instid1(VALU_DEP_1)
	v_fma_f32 v1, -v1, v7, v8
	v_div_fmas_f32 v1, v1, v6, v7
	s_delay_alu instid0(VALU_DEP_1) | instskip(NEXT) | instid1(VALU_DEP_1)
	v_div_fixup_f32 v1, v1, v10, v11
	v_div_scale_f32 v6, null, v10, v10, v1
	s_delay_alu instid0(VALU_DEP_1) | instskip(SKIP_1) | instid1(TRANS32_DEP_1)
	v_rcp_f32_e32 v7, v6
	v_nop
	v_fma_f32 v8, -v6, v7, 1.0
	s_delay_alu instid0(VALU_DEP_1) | instskip(SKIP_1) | instid1(VALU_DEP_1)
	v_fmac_f32_e32 v7, v8, v7
	v_div_scale_f32 v8, vcc_lo, v1, v10, v1
	v_mul_f32_e32 v9, v8, v7
	s_delay_alu instid0(VALU_DEP_1) | instskip(NEXT) | instid1(VALU_DEP_1)
	v_fma_f32 v21, -v6, v9, v8
	v_fmac_f32_e32 v9, v21, v7
	s_delay_alu instid0(VALU_DEP_1) | instskip(NEXT) | instid1(VALU_DEP_1)
	v_fma_f32 v6, -v6, v9, v8
	v_div_fmas_f32 v6, v6, v7, v9
	s_delay_alu instid0(VALU_DEP_1)
	v_div_fixup_f32 v7, v6, v10, v1
.LBB68_35:                              ;   in Loop: Header=BB68_4 Depth=1
	s_or_b32 exec_lo, exec_lo, s26
.LBB68_36:                              ;   in Loop: Header=BB68_4 Depth=1
	s_and_not1_saveexec_b32 s25, s25
	s_cbranch_execz .LBB68_38
; %bb.37:                               ;   in Loop: Header=BB68_4 Depth=1
	v_div_scale_f32 v1, null, v11, v11, 1.0
	s_delay_alu instid0(VALU_DEP_1) | instskip(SKIP_1) | instid1(TRANS32_DEP_1)
	v_rcp_f32_e32 v6, v1
	v_nop
	v_fma_f32 v7, -v1, v6, 1.0
	s_delay_alu instid0(VALU_DEP_1) | instskip(SKIP_1) | instid1(VALU_DEP_1)
	v_fmac_f32_e32 v6, v7, v6
	v_div_scale_f32 v7, vcc_lo, 1.0, v11, 1.0
	v_mul_f32_e32 v8, v7, v6
	s_delay_alu instid0(VALU_DEP_1) | instskip(NEXT) | instid1(VALU_DEP_1)
	v_fma_f32 v9, -v1, v8, v7
	v_fmac_f32_e32 v8, v9, v6
	s_delay_alu instid0(VALU_DEP_1) | instskip(NEXT) | instid1(VALU_DEP_1)
	v_fma_f32 v1, -v1, v8, v7
	v_div_fmas_f32 v1, v1, v6, v8
	s_delay_alu instid0(VALU_DEP_1)
	v_div_fixup_f32 v7, v1, v11, 1.0
.LBB68_38:                              ;   in Loop: Header=BB68_4 Depth=1
	s_or_b32 exec_lo, exec_lo, s25
	flat_load_b32 v1, v[16:17] scope:SCOPE_SYS
	s_wait_loadcnt_dscnt 0x0
	v_add_f32_e32 v1, 0x3fc90fdb, v1
	s_delay_alu instid0(VALU_DEP_1)
	v_bfi_b32 v6, 0x7fffffff, v1, v10
.LBB68_39:                              ;   in Loop: Header=BB68_4 Depth=1
	s_or_b32 exec_lo, exec_lo, s2
.LBB68_40:                              ;   in Loop: Header=BB68_4 Depth=1
	s_and_not1_saveexec_b32 s2, s24
	s_cbranch_execz .LBB68_50
; %bb.41:                               ;   in Loop: Header=BB68_4 Depth=1
	v_cmp_neq_f32_e64 s24, 0x7f800000, |v11|
                                        ; implicit-def: $vgpr7
	s_and_saveexec_b32 s25, s24
	s_delay_alu instid0(SALU_CYCLE_1)
	s_xor_b32 s24, exec_lo, s25
	s_cbranch_execz .LBB68_47
; %bb.42:                               ;   in Loop: Header=BB68_4 Depth=1
	v_cmp_neq_f32_e64 s25, 0x7f800000, |v10|
                                        ; implicit-def: $vgpr7
	s_and_saveexec_b32 s26, s25
	s_delay_alu instid0(SALU_CYCLE_1)
	s_xor_b32 s25, exec_lo, s26
	s_cbranch_execz .LBB68_44
; %bb.43:                               ;   in Loop: Header=BB68_4 Depth=1
	s_wait_dscnt 0x0
	v_add_f32_e32 v1, 0, v10
	s_delay_alu instid0(VALU_DEP_1)
	v_add_f32_e32 v7, v1, v11
.LBB68_44:                              ;   in Loop: Header=BB68_4 Depth=1
	s_or_saveexec_b32 s25, s25
	s_delay_alu instid0(VALU_DEP_1)
	v_mov_b32_e32 v6, v7
	s_xor_b32 exec_lo, exec_lo, s25
	s_cbranch_execz .LBB68_46
; %bb.45:                               ;   in Loop: Header=BB68_4 Depth=1
	s_wait_dscnt 0x0
	flat_load_b32 v1, v[16:17] scope:SCOPE_SYS
	s_wait_loadcnt 0x0
	v_bfi_b32 v7, 0x7fffffff, 0, v11
	s_wait_dscnt 0x0
	v_add_f32_e32 v1, 0x3fc90fdb, v1
	s_delay_alu instid0(VALU_DEP_1)
	v_bfi_b32 v6, 0x7fffffff, v1, v10
.LBB68_46:                              ;   in Loop: Header=BB68_4 Depth=1
	s_wait_xcnt 0x0
	s_or_b32 exec_lo, exec_lo, s25
.LBB68_47:                              ;   in Loop: Header=BB68_4 Depth=1
	s_and_not1_saveexec_b32 s24, s24
; %bb.48:                               ;   in Loop: Header=BB68_4 Depth=1
	v_bfi_b32 v7, 0x7fffffff, 0, v11
	v_add_f32_e32 v6, v10, v10
; %bb.49:                               ;   in Loop: Header=BB68_4 Depth=1
	s_or_b32 exec_lo, exec_lo, s24
.LBB68_50:                              ;   in Loop: Header=BB68_4 Depth=1
	s_delay_alu instid0(SALU_CYCLE_1)
	s_or_b32 exec_lo, exec_lo, s2
.LBB68_51:                              ;   in Loop: Header=BB68_4 Depth=1
	s_and_not1_saveexec_b32 s2, s23
	s_cbranch_execz .LBB68_53
; %bb.52:                               ;   in Loop: Header=BB68_4 Depth=1
	s_wait_dscnt 0x0
	v_rcp_f32_e64 v1, |v10|
	v_cmp_gt_f32_e64 vcc_lo, |v10|, 1.0
	s_delay_alu instid0(TRANS32_DEP_1) | instid1(VALU_DEP_1)
	v_cndmask_b32_e64 v1, |v10|, v1, vcc_lo
	s_delay_alu instid0(VALU_DEP_1) | instskip(NEXT) | instid1(VALU_DEP_1)
	v_mul_f32_e32 v6, v1, v1
	v_fmaak_f32 v7, s20, v6, 0xbc7a590c
	s_delay_alu instid0(VALU_DEP_1) | instskip(NEXT) | instid1(VALU_DEP_1)
	v_fmaak_f32 v7, v6, v7, 0x3d29fb3f
	v_fmaak_f32 v7, v6, v7, 0xbd97d4d7
	s_delay_alu instid0(VALU_DEP_1) | instskip(NEXT) | instid1(VALU_DEP_1)
	v_fmaak_f32 v7, v6, v7, 0x3dd931b2
	;; [unrolled: 3-line block ×3, first 2 shown]
	v_fmaak_f32 v7, v6, v7, 0xbeaaaa62
	s_delay_alu instid0(VALU_DEP_1) | instskip(NEXT) | instid1(VALU_DEP_1)
	v_dual_mul_f32 v6, v6, v7 :: v_dual_mov_b32 v7, v11
	v_fmac_f32_e32 v1, v1, v6
	s_delay_alu instid0(VALU_DEP_1) | instskip(NEXT) | instid1(VALU_DEP_1)
	v_sub_f32_e32 v6, 0x3fc90fdb, v1
	v_cndmask_b32_e32 v1, v1, v6, vcc_lo
	s_delay_alu instid0(VALU_DEP_1)
	v_bfi_b32 v6, 0x7fffffff, v1, v10
.LBB68_53:                              ;   in Loop: Header=BB68_4 Depth=1
	s_or_b32 exec_lo, exec_lo, s2
.LBB68_54:                              ;   in Loop: Header=BB68_4 Depth=1
	s_and_not1_saveexec_b32 s2, s22
	s_cbranch_execz .LBB68_56
; %bb.55:                               ;   in Loop: Header=BB68_4 Depth=1
	s_wait_dscnt 0x0
	v_sub_f32_e64 v1, 1.0, |v11|
	v_add_f32_e64 v6, |v11|, 1.0
	v_and_b32_e32 v34, 0x7fffffff, v11
	v_cmp_gt_f32_e64 s22, 0x39800000, |v11|
	s_delay_alu instid0(VALU_DEP_4) | instskip(SKIP_1) | instid1(TRANS32_DEP_1)
	v_rcp_f32_e32 v25, v1
	v_nop
	v_mul_f32_e32 v33, v6, v25
	s_delay_alu instid0(VALU_DEP_1) | instskip(NEXT) | instid1(VALU_DEP_1)
	v_mul_f32_e32 v7, v1, v33
	v_dual_sub_f32 v8, 1.0, v1 :: v_dual_fma_f32 v21, v33, v1, -v7
	s_delay_alu instid0(VALU_DEP_1) | instskip(NEXT) | instid1(VALU_DEP_1)
	v_sub_f32_e64 v8, v8, |v11|
	v_fmac_f32_e32 v21, v33, v8
	s_delay_alu instid0(VALU_DEP_1) | instskip(NEXT) | instid1(VALU_DEP_1)
	v_pk_add_f32 v[8:9], v[6:7], v[20:21]
	v_dual_sub_f32 v1, v6, v9 :: v_dual_sub_f32 v7, v9, v7
	s_delay_alu instid0(VALU_DEP_1) | instskip(NEXT) | instid1(VALU_DEP_2)
	v_sub_f32_e32 v21, v7, v21
	v_sub_f32_e32 v35, v6, v1
	s_delay_alu instid0(VALU_DEP_1) | instskip(NEXT) | instid1(VALU_DEP_1)
	v_pk_add_f32 v[6:7], v[34:35], v[8:9] neg_lo:[0,1] neg_hi:[0,1]
	v_add_f32_e32 v7, v21, v7
	s_delay_alu instid0(VALU_DEP_1) | instskip(NEXT) | instid1(VALU_DEP_1)
	v_add_f32_e32 v6, v6, v7
	v_add_f32_e32 v1, v1, v6
	s_delay_alu instid0(VALU_DEP_1) | instskip(NEXT) | instid1(VALU_DEP_1)
	v_mul_f32_e32 v1, v25, v1
	v_add_f32_e32 v8, v33, v1
	s_delay_alu instid0(VALU_DEP_1) | instskip(NEXT) | instid1(VALU_DEP_1)
	v_cvt_f64_f32_e32 v[6:7], v8
	v_frexp_exp_i32_f64_e32 v6, v[6:7]
	v_frexp_mant_f32_e32 v7, v8
	s_delay_alu instid0(VALU_DEP_1) | instskip(NEXT) | instid1(VALU_DEP_3)
	v_cmp_gt_f32_e32 vcc_lo, 0x3f2aaaab, v7
	v_subrev_co_ci_u32_e64 v21, null, 0, v6, vcc_lo
	v_cmp_neq_f32_e64 vcc_lo, |v11|, 1.0
	s_delay_alu instid0(VALU_DEP_2) | instskip(NEXT) | instid1(VALU_DEP_1)
	v_sub_nc_u32_e32 v6, 0, v21
	v_ldexp_f32 v7, v8, v6
	s_delay_alu instid0(VALU_DEP_1) | instskip(SKIP_1) | instid1(VALU_DEP_1)
	v_dual_add_f32 v9, 1.0, v7 :: v_dual_add_f32 v25, -1.0, v7
	v_sub_f32_e32 v8, v8, v33
	v_dual_sub_f32 v1, v1, v8 :: v_dual_add_f32 v8, -1.0, v9
	s_delay_alu instid0(VALU_DEP_1) | instskip(NEXT) | instid1(VALU_DEP_2)
	v_ldexp_f32 v1, v1, v6
	v_dual_sub_f32 v6, v7, v8 :: v_dual_add_f32 v8, 1.0, v25
	s_delay_alu instid0(VALU_DEP_1) | instskip(NEXT) | instid1(VALU_DEP_1)
	v_add_f32_e32 v6, v1, v6
	v_dual_add_f32 v33, v9, v6 :: v_dual_sub_f32 v7, v7, v8
	s_delay_alu instid0(VALU_DEP_1) | instskip(SKIP_1) | instid1(VALU_DEP_1)
	v_sub_f32_e32 v9, v33, v9
	v_rcp_f32_e32 v36, v33
	v_dual_add_f32 v1, v1, v7 :: v_dual_sub_f32 v38, v6, v9
	s_delay_alu instid0(VALU_DEP_1)
	v_add_f32_e32 v7, v25, v1
	s_delay_alu instid0(TRANS32_DEP_1) | instid1(VALU_DEP_1)
	v_mul_f32_e32 v37, v7, v36
	s_delay_alu instid0(VALU_DEP_1) | instskip(NEXT) | instid1(VALU_DEP_1)
	v_mul_f32_e32 v8, v33, v37
	v_fma_f32 v34, v37, v33, -v8
	s_delay_alu instid0(VALU_DEP_1) | instskip(NEXT) | instid1(VALU_DEP_1)
	v_fmac_f32_e32 v34, v37, v38
	v_dual_add_f32 v6, v8, v34 :: v_dual_sub_f32 v25, v7, v25
	s_delay_alu instid0(VALU_DEP_1) | instskip(NEXT) | instid1(VALU_DEP_2)
	v_dual_sub_f32 v9, v7, v6 :: v_dual_mov_b32 v35, v6
	v_sub_f32_e32 v1, v1, v25
	s_delay_alu instid0(VALU_DEP_2) | instskip(NEXT) | instid1(VALU_DEP_1)
	v_pk_add_f32 v[6:7], v[6:7], v[8:9] neg_lo:[0,1] neg_hi:[0,1]
	v_pk_add_f32 v[6:7], v[6:7], v[34:35] neg_lo:[0,1] neg_hi:[0,1]
	s_delay_alu instid0(VALU_DEP_1) | instskip(NEXT) | instid1(VALU_DEP_1)
	v_add_f32_e32 v1, v1, v7
	v_add_f32_e32 v1, v6, v1
	s_delay_alu instid0(VALU_DEP_1) | instskip(NEXT) | instid1(VALU_DEP_1)
	v_add_f32_e32 v7, v9, v1
	v_mul_f32_e32 v25, v36, v7
	s_delay_alu instid0(VALU_DEP_1) | instskip(NEXT) | instid1(VALU_DEP_1)
	v_mul_f32_e32 v34, v33, v25
	v_fma_f32 v8, v25, v33, -v34
	v_sub_f32_e32 v33, v9, v7
	s_delay_alu instid0(VALU_DEP_2) | instskip(NEXT) | instid1(VALU_DEP_2)
	v_fmac_f32_e32 v8, v25, v38
	v_add_f32_e32 v1, v1, v33
	s_delay_alu instid0(VALU_DEP_2) | instskip(NEXT) | instid1(VALU_DEP_1)
	v_dual_add_f32 v33, v37, v25 :: v_dual_add_f32 v6, v34, v8
	v_dual_mov_b32 v9, v6 :: v_dual_sub_f32 v35, v7, v6
	s_delay_alu instid0(VALU_DEP_1) | instskip(NEXT) | instid1(VALU_DEP_1)
	v_pk_add_f32 v[6:7], v[6:7], v[34:35] neg_lo:[0,1] neg_hi:[0,1]
	v_pk_add_f32 v[6:7], v[6:7], v[8:9] neg_lo:[0,1] neg_hi:[0,1]
	s_delay_alu instid0(VALU_DEP_1) | instskip(NEXT) | instid1(VALU_DEP_1)
	v_add_f32_e32 v1, v1, v7
	v_add_f32_e32 v1, v6, v1
	v_sub_f32_e32 v6, v33, v37
	s_delay_alu instid0(VALU_DEP_1) | instskip(NEXT) | instid1(VALU_DEP_1)
	v_dual_add_f32 v1, v35, v1 :: v_dual_sub_f32 v6, v25, v6
	v_mul_f32_e32 v1, v36, v1
	s_delay_alu instid0(VALU_DEP_1) | instskip(SKIP_1) | instid1(VALU_DEP_2)
	v_add_f32_e32 v1, v6, v1
	v_cvt_f32_i32_e32 v6, v21
	v_add_f32_e32 v36, v33, v1
	s_delay_alu instid0(VALU_DEP_1) | instskip(SKIP_1) | instid1(VALU_DEP_2)
	v_mul_f32_e32 v8, v36, v36
	v_ldexp_f32 v35, v36, 1
	v_fmaak_f32 v9, s19, v8, 0x3ecc95a3
	v_mul_f32_e32 v7, v36, v8
	s_delay_alu instid0(VALU_DEP_2) | instskip(NEXT) | instid1(VALU_DEP_1)
	v_fmaak_f32 v25, v8, v9, 0x3f2aaada
	v_pk_mul_f32 v[8:9], v[6:7], v[24:25]
	s_delay_alu instid0(VALU_DEP_1) | instskip(NEXT) | instid1(VALU_DEP_1)
	v_fma_f32 v34, 0x3f317218, v6, -v8
	v_fmac_f32_e32 v34, 0xb102e308, v6
	s_delay_alu instid0(VALU_DEP_1) | instskip(NEXT) | instid1(VALU_DEP_1)
	v_pk_add_f32 v[6:7], v[8:9], v[34:35]
	v_dual_mov_b32 v44, v7 :: v_dual_sub_f32 v21, v36, v33
	s_delay_alu instid0(VALU_DEP_1) | instskip(NEXT) | instid1(VALU_DEP_3)
	v_dual_mov_b32 v36, v8 :: v_dual_sub_f32 v1, v1, v21
	v_dual_sub_f32 v21, v7, v35 :: v_dual_mov_b32 v35, v6
	s_delay_alu instid0(VALU_DEP_2) | instskip(NEXT) | instid1(VALU_DEP_2)
	v_ldexp_f32 v1, v1, 1
	v_sub_f32_e32 v21, v9, v21
	v_pk_add_f32 v[8:9], v[6:7], v[8:9] neg_lo:[0,1] neg_hi:[0,1]
	s_delay_alu instid0(VALU_DEP_2) | instskip(NEXT) | instid1(VALU_DEP_1)
	v_add_f32_e32 v37, v1, v21
	v_pk_add_f32 v[38:39], v[6:7], v[36:37]
	s_delay_alu instid0(VALU_DEP_1) | instskip(NEXT) | instid1(VALU_DEP_1)
	v_mov_b32_e32 v9, v39
	v_pk_add_f32 v[40:41], v[34:35], v[8:9]
	v_mov_b32_e32 v40, v39
	v_pk_add_f32 v[8:9], v[34:35], v[8:9] neg_lo:[0,1] neg_hi:[0,1]
	s_delay_alu instid0(VALU_DEP_3) | instskip(NEXT) | instid1(VALU_DEP_1)
	v_dual_mov_b32 v36, v41 :: v_dual_mov_b32 v9, v41
	v_pk_add_f32 v[42:43], v[36:37], v[6:7] neg_lo:[0,1] neg_hi:[0,1]
	s_delay_alu instid0(VALU_DEP_1) | instskip(SKIP_1) | instid1(VALU_DEP_2)
	v_dual_mov_b32 v7, v6 :: v_dual_mov_b32 v45, v42
	v_dual_mov_b32 v1, v42 :: v_dual_mov_b32 v6, v37
	v_pk_add_f32 v[34:35], v[40:41], v[44:45] neg_lo:[0,1] neg_hi:[0,1]
	s_delay_alu instid0(VALU_DEP_2) | instskip(SKIP_1) | instid1(VALU_DEP_3)
	v_pk_add_f32 v[38:39], v[38:39], v[0:1] neg_lo:[0,1] neg_hi:[0,1]
	v_mov_b32_e32 v38, v8
	v_pk_add_f32 v[6:7], v[6:7], v[34:35] neg_lo:[0,1] neg_hi:[0,1]
	s_delay_alu instid0(VALU_DEP_1) | instskip(NEXT) | instid1(VALU_DEP_1)
	v_pk_add_f32 v[34:35], v[38:39], v[6:7]
	v_mov_b32_e32 v38, v35
	s_delay_alu instid0(VALU_DEP_1) | instskip(NEXT) | instid1(VALU_DEP_1)
	v_pk_add_f32 v[38:39], v[34:35], v[38:39]
	v_pk_add_f32 v[36:37], v[36:37], v[38:39]
	s_delay_alu instid0(VALU_DEP_1) | instskip(NEXT) | instid1(VALU_DEP_1)
	v_dual_mov_b32 v7, v38 :: v_dual_mov_b32 v35, v36
	v_pk_add_f32 v[40:41], v[34:35], v[8:9] neg_lo:[0,1] neg_hi:[0,1]
	s_delay_alu instid0(VALU_DEP_1) | instskip(NEXT) | instid1(VALU_DEP_2)
	v_sub_f32_e32 v1, v34, v40
	v_pk_add_f32 v[6:7], v[6:7], v[40:41] neg_lo:[0,1] neg_hi:[0,1]
	s_delay_alu instid0(VALU_DEP_2) | instskip(NEXT) | instid1(VALU_DEP_1)
	v_sub_f32_e32 v1, v8, v1
	v_add_f32_e32 v1, v6, v1
	s_delay_alu instid0(VALU_DEP_1) | instskip(NEXT) | instid1(VALU_DEP_1)
	v_dual_mov_b32 v6, v10 :: v_dual_add_f32 v1, v1, v7
	v_add_f32_e32 v1, v36, v1
	s_delay_alu instid0(VALU_DEP_1) | instskip(NEXT) | instid1(VALU_DEP_1)
	v_mul_f32_e32 v1, 0.5, v1
	v_cndmask_b32_e64 v1, v1, |v11|, s22
	s_delay_alu instid0(VALU_DEP_1) | instskip(NEXT) | instid1(VALU_DEP_1)
	v_cndmask_b32_e32 v1, 0x7f800000, v1, vcc_lo
	v_bfi_b32 v7, 0x7fffffff, v1, v11
.LBB68_56:                              ;   in Loop: Header=BB68_4 Depth=1
	s_or_b32 exec_lo, exec_lo, s2
	v_cmp_neq_f32_e32 vcc_lo, 0, v12
	v_cmp_nle_f32_e64 s2, |v13|, 1.0
	flat_store_b32 v[16:17], v30 scope:SCOPE_SYS
	s_wait_storecnt 0x0
	s_or_b32 s2, vcc_lo, s2
	s_wait_xcnt 0x0
	s_and_saveexec_b32 s22, s2
	s_delay_alu instid0(SALU_CYCLE_1)
	s_xor_b32 s22, exec_lo, s22
	s_cbranch_execz .LBB68_106
; %bb.57:                               ;   in Loop: Header=BB68_4 Depth=1
	s_mov_b32 s2, exec_lo
	v_cmpx_neq_f32_e32 0, v13
	s_xor_b32 s23, exec_lo, s2
	s_cbranch_execz .LBB68_103
; %bb.58:                               ;   in Loop: Header=BB68_4 Depth=1
	s_mov_b32 s2, exec_lo
	v_cmpx_o_f32_e32 v13, v12
	s_xor_b32 s24, exec_lo, s2
	s_cbranch_execz .LBB68_92
; %bb.59:                               ;   in Loop: Header=BB68_4 Depth=1
	v_max_num_f32_e64 v8, |v13|, |v13|
	s_wait_dscnt 0x1
	v_max_num_f32_e64 v1, |v12|, |v12|
	s_mov_b32 s2, exec_lo
	s_delay_alu instid0(VALU_DEP_1) | instskip(NEXT) | instid1(VALU_DEP_1)
	v_max_num_f32_e32 v8, v1, v8
	v_cmpx_nlt_f32_e32 0x4b000000, v8
	s_xor_b32 s25, exec_lo, s2
	s_cbranch_execz .LBB68_77
; %bb.60:                               ;   in Loop: Header=BB68_4 Depth=1
	v_cmp_ngt_f32_e64 s2, 0x399cc471, |v13|
	v_cmp_ngt_f32_e64 s26, 0x399cc471, |v12|
	s_or_b32 s2, s26, s2
	s_delay_alu instid0(SALU_CYCLE_1) | instskip(NEXT) | instid1(SALU_CYCLE_1)
	s_and_saveexec_b32 s26, s2
	s_xor_b32 s26, exec_lo, s26
	s_cbranch_execz .LBB68_74
; %bb.61:                               ;   in Loop: Header=BB68_4 Depth=1
	v_cmp_neq_f32_e64 s27, |v13|, 1.0
	v_cmp_ngt_f32_e64 s2, 0x34000000, |v12|
                                        ; implicit-def: $vgpr8
	s_or_b32 s28, s2, s27
	s_delay_alu instid0(SALU_CYCLE_1) | instskip(NEXT) | instid1(SALU_CYCLE_1)
	s_and_saveexec_b32 s29, s28
	s_xor_b32 s28, exec_lo, s29
	s_cbranch_execz .LBB68_63
; %bb.62:                               ;   in Loop: Header=BB68_4 Depth=1
	v_add_f32_e64 v9, |v13|, -1.0
	v_mov_b32_e32 v8, v12
	v_cmp_gt_f32_e64 vcc_lo, 0x20000000, |v12|
	v_mul_f32_e64 v10, |v13|, 4.0
	s_delay_alu instid0(VALU_DEP_3) | instskip(NEXT) | instid1(VALU_DEP_1)
	v_pk_mul_f32 v[8:9], v[8:9], v[8:9]
	v_add_f32_e32 v8, v8, v9
	s_delay_alu instid0(VALU_DEP_1) | instskip(NEXT) | instid1(VALU_DEP_1)
	v_cndmask_b32_e32 v8, v8, v9, vcc_lo
	v_div_scale_f32 v9, null, v8, v8, v10
	v_div_scale_f32 v25, vcc_lo, v10, v8, v10
	s_delay_alu instid0(VALU_DEP_2) | instskip(SKIP_1) | instid1(TRANS32_DEP_1)
	v_rcp_f32_e32 v11, v9
	v_nop
	v_fma_f32 v21, -v9, v11, 1.0
	s_delay_alu instid0(VALU_DEP_1) | instskip(NEXT) | instid1(VALU_DEP_1)
	v_fmac_f32_e32 v11, v21, v11
	v_mul_f32_e32 v21, v25, v11
	s_delay_alu instid0(VALU_DEP_1) | instskip(NEXT) | instid1(VALU_DEP_1)
	v_fma_f32 v33, -v9, v21, v25
	v_fmac_f32_e32 v21, v33, v11
	s_delay_alu instid0(VALU_DEP_1) | instskip(NEXT) | instid1(VALU_DEP_1)
	v_fma_f32 v9, -v9, v21, v25
	v_div_fmas_f32 v9, v9, v11, v21
	s_delay_alu instid0(VALU_DEP_1) | instskip(NEXT) | instid1(VALU_DEP_1)
	v_div_fixup_f32 v8, v9, v8, v10
	v_add_f32_e32 v11, 1.0, v8
	s_delay_alu instid0(VALU_DEP_1) | instskip(SKIP_1) | instid1(VALU_DEP_1)
	v_cvt_f64_f32_e32 v[34:35], v11
	v_frexp_mant_f32_e32 v21, v11
	v_cmp_gt_f32_e32 vcc_lo, 0x3f2aaaab, v21
	s_delay_alu instid0(VALU_DEP_3) | instskip(NEXT) | instid1(VALU_DEP_1)
	v_frexp_exp_i32_f64_e32 v10, v[34:35]
	v_subrev_co_ci_u32_e64 v21, null, 0, v10, vcc_lo
	v_add_f32_e32 v9, -1.0, v11
	v_cmp_neq_f32_e32 vcc_lo, 0x7f800000, v8
	s_delay_alu instid0(VALU_DEP_2) | instskip(NEXT) | instid1(VALU_DEP_1)
	v_dual_mov_b32 v10, v9 :: v_dual_sub_nc_u32 v25, 0, v21
	v_pk_add_f32 v[34:35], v[8:9], v[10:11] neg_lo:[0,1] neg_hi:[0,1]
	s_delay_alu instid0(VALU_DEP_2) | instskip(NEXT) | instid1(VALU_DEP_1)
	v_ldexp_f32 v9, v11, v25
	v_dual_add_f32 v10, 1.0, v35 :: v_dual_add_f32 v33, 1.0, v9
	s_delay_alu instid0(VALU_DEP_1) | instskip(SKIP_1) | instid1(VALU_DEP_2)
	v_dual_add_f32 v10, v34, v10 :: v_dual_add_f32 v11, -1.0, v33
	v_add_f32_e32 v37, -1.0, v9
	v_ldexp_f32 v10, v10, v25
	s_delay_alu instid0(VALU_DEP_2) | instskip(NEXT) | instid1(VALU_DEP_1)
	v_dual_sub_f32 v11, v9, v11 :: v_dual_add_f32 v25, 1.0, v37
	v_dual_add_f32 v35, v10, v11 :: v_dual_sub_f32 v9, v9, v25
	s_delay_alu instid0(VALU_DEP_1) | instskip(NEXT) | instid1(VALU_DEP_1)
	v_dual_add_f32 v25, v33, v35 :: v_dual_add_f32 v9, v10, v9
	v_rcp_f32_e32 v38, v25
	v_sub_f32_e32 v10, v25, v33
	s_delay_alu instid0(VALU_DEP_1)
	v_dual_add_f32 v11, v37, v9 :: v_dual_sub_f32 v33, v35, v10
	s_delay_alu instid0(TRANS32_DEP_1) | instid1(VALU_DEP_1)
	v_dual_mul_f32 v39, v11, v38 :: v_dual_sub_f32 v40, v11, v37
	s_delay_alu instid0(VALU_DEP_1) | instskip(NEXT) | instid1(VALU_DEP_1)
	v_mul_f32_e32 v34, v25, v39
	v_dual_sub_f32 v9, v9, v40 :: v_dual_fma_f32 v36, v39, v25, -v34
	s_delay_alu instid0(VALU_DEP_1) | instskip(NEXT) | instid1(VALU_DEP_1)
	v_fmac_f32_e32 v36, v39, v33
	v_add_f32_e32 v10, v34, v36
	s_delay_alu instid0(VALU_DEP_1) | instskip(NEXT) | instid1(VALU_DEP_1)
	v_dual_sub_f32 v35, v11, v10 :: v_dual_mov_b32 v37, v10
	v_pk_add_f32 v[10:11], v[10:11], v[34:35] neg_lo:[0,1] neg_hi:[0,1]
	s_delay_alu instid0(VALU_DEP_1) | instskip(NEXT) | instid1(VALU_DEP_1)
	v_pk_add_f32 v[10:11], v[10:11], v[36:37] neg_lo:[0,1] neg_hi:[0,1]
	v_add_f32_e32 v9, v9, v11
	s_delay_alu instid0(VALU_DEP_1) | instskip(NEXT) | instid1(VALU_DEP_1)
	v_add_f32_e32 v9, v10, v9
	v_add_f32_e32 v11, v35, v9
	s_delay_alu instid0(VALU_DEP_1) | instskip(NEXT) | instid1(VALU_DEP_1)
	v_mul_f32_e32 v40, v38, v11
	v_mul_f32_e32 v36, v25, v40
	s_delay_alu instid0(VALU_DEP_1) | instskip(NEXT) | instid1(VALU_DEP_1)
	v_dual_fma_f32 v34, v40, v25, -v36 :: v_dual_sub_f32 v25, v35, v11
	v_fmac_f32_e32 v34, v40, v33
	s_delay_alu instid0(VALU_DEP_1) | instskip(NEXT) | instid1(VALU_DEP_1)
	v_add_f32_e32 v10, v36, v34
	v_dual_sub_f32 v37, v11, v10 :: v_dual_mov_b32 v35, v10
	s_delay_alu instid0(VALU_DEP_4) | instskip(NEXT) | instid1(VALU_DEP_2)
	v_dual_add_f32 v9, v9, v25 :: v_dual_add_f32 v33, v39, v40
	v_pk_add_f32 v[10:11], v[10:11], v[36:37] neg_lo:[0,1] neg_hi:[0,1]
	s_delay_alu instid0(VALU_DEP_1) | instskip(NEXT) | instid1(VALU_DEP_1)
	v_pk_add_f32 v[10:11], v[10:11], v[34:35] neg_lo:[0,1] neg_hi:[0,1]
	v_add_f32_e32 v9, v9, v11
	s_delay_alu instid0(VALU_DEP_1) | instskip(NEXT) | instid1(VALU_DEP_1)
	v_dual_add_f32 v9, v10, v9 :: v_dual_sub_f32 v10, v33, v39
	v_dual_add_f32 v9, v37, v9 :: v_dual_sub_f32 v10, v40, v10
	s_delay_alu instid0(VALU_DEP_1) | instskip(NEXT) | instid1(VALU_DEP_1)
	v_mul_f32_e32 v9, v38, v9
	v_add_f32_e32 v9, v10, v9
	v_cvt_f32_i32_e32 v10, v21
	s_delay_alu instid0(VALU_DEP_2) | instskip(NEXT) | instid1(VALU_DEP_1)
	v_add_f32_e32 v38, v33, v9
	v_mul_f32_e32 v25, v38, v38
	v_ldexp_f32 v37, v38, 1
	s_delay_alu instid0(VALU_DEP_2) | instskip(NEXT) | instid1(VALU_DEP_1)
	v_dual_fmaak_f32 v34, s19, v25, 0x3ecc95a3 :: v_dual_mul_f32 v11, v38, v25
	v_fmaak_f32 v25, v25, v34, 0x3f2aaada
	s_delay_alu instid0(VALU_DEP_1) | instskip(NEXT) | instid1(VALU_DEP_1)
	v_pk_mul_f32 v[34:35], v[10:11], v[24:25]
	v_fma_f32 v36, 0x3f317218, v10, -v34
	s_delay_alu instid0(VALU_DEP_1) | instskip(NEXT) | instid1(VALU_DEP_1)
	v_fmac_f32_e32 v36, 0xb102e308, v10
	v_pk_add_f32 v[10:11], v[34:35], v[36:37]
	s_delay_alu instid0(VALU_DEP_1) | instskip(NEXT) | instid1(VALU_DEP_1)
	v_dual_mov_b32 v46, v11 :: v_dual_sub_f32 v21, v38, v33
	v_dual_mov_b32 v38, v34 :: v_dual_sub_f32 v9, v9, v21
	s_delay_alu instid0(VALU_DEP_3) | instskip(NEXT) | instid1(VALU_DEP_1)
	v_dual_sub_f32 v21, v11, v37 :: v_dual_mov_b32 v37, v10
	v_sub_f32_e32 v21, v35, v21
	s_delay_alu instid0(VALU_DEP_3) | instskip(SKIP_1) | instid1(VALU_DEP_2)
	v_ldexp_f32 v9, v9, 1
	v_pk_add_f32 v[34:35], v[10:11], v[34:35] neg_lo:[0,1] neg_hi:[0,1]
	v_add_f32_e32 v39, v9, v21
	s_delay_alu instid0(VALU_DEP_1) | instskip(NEXT) | instid1(VALU_DEP_1)
	v_pk_add_f32 v[40:41], v[10:11], v[38:39]
	v_mov_b32_e32 v35, v41
	s_delay_alu instid0(VALU_DEP_1) | instskip(SKIP_2) | instid1(VALU_DEP_3)
	v_pk_add_f32 v[42:43], v[36:37], v[34:35]
	v_mov_b32_e32 v42, v41
	v_pk_add_f32 v[34:35], v[36:37], v[34:35] neg_lo:[0,1] neg_hi:[0,1]
	v_mov_b32_e32 v38, v43
	s_delay_alu instid0(VALU_DEP_1) | instskip(SKIP_1) | instid1(VALU_DEP_2)
	v_pk_add_f32 v[44:45], v[38:39], v[10:11] neg_lo:[0,1] neg_hi:[0,1]
	v_dual_mov_b32 v11, v10 :: v_dual_mov_b32 v10, v39
	v_dual_mov_b32 v9, v44 :: v_dual_mov_b32 v47, v44
	s_delay_alu instid0(VALU_DEP_1) | instskip(NEXT) | instid1(VALU_DEP_2)
	v_pk_add_f32 v[36:37], v[40:41], v[8:9] neg_lo:[0,1] neg_hi:[0,1]
	v_pk_add_f32 v[44:45], v[42:43], v[46:47] neg_lo:[0,1] neg_hi:[0,1]
	v_mov_b32_e32 v36, v34
	s_delay_alu instid0(VALU_DEP_2) | instskip(NEXT) | instid1(VALU_DEP_1)
	v_pk_add_f32 v[10:11], v[10:11], v[44:45] neg_lo:[0,1] neg_hi:[0,1]
	v_pk_add_f32 v[36:37], v[36:37], v[10:11]
	s_delay_alu instid0(VALU_DEP_1) | instskip(NEXT) | instid1(VALU_DEP_1)
	v_mov_b32_e32 v40, v37
	v_pk_add_f32 v[40:41], v[36:37], v[40:41]
	s_delay_alu instid0(VALU_DEP_1) | instskip(NEXT) | instid1(VALU_DEP_1)
	v_pk_add_f32 v[38:39], v[38:39], v[40:41]
	v_dual_mov_b32 v35, v43 :: v_dual_mov_b32 v37, v38
	s_delay_alu instid0(VALU_DEP_1) | instskip(NEXT) | instid1(VALU_DEP_1)
	v_pk_add_f32 v[42:43], v[36:37], v[34:35] neg_lo:[0,1] neg_hi:[0,1]
	v_sub_f32_e32 v9, v36, v42
	s_delay_alu instid0(VALU_DEP_1) | instskip(NEXT) | instid1(VALU_DEP_1)
	v_dual_mov_b32 v11, v40 :: v_dual_sub_f32 v9, v34, v9
	v_pk_add_f32 v[10:11], v[10:11], v[42:43] neg_lo:[0,1] neg_hi:[0,1]
	s_delay_alu instid0(VALU_DEP_1) | instskip(NEXT) | instid1(VALU_DEP_1)
	v_add_f32_e32 v9, v10, v9
	v_add_f32_e32 v9, v9, v11
	s_delay_alu instid0(VALU_DEP_1) | instskip(NEXT) | instid1(VALU_DEP_1)
	v_add_f32_e32 v9, v38, v9
	v_cndmask_b32_e32 v9, 0x7f800000, v9, vcc_lo
	v_cmp_ngt_f32_e32 vcc_lo, -1.0, v8
	s_delay_alu instid0(VALU_DEP_2) | instskip(SKIP_1) | instid1(VALU_DEP_2)
	v_cndmask_b32_e32 v9, 0x7fc00000, v9, vcc_lo
	v_cmp_neq_f32_e32 vcc_lo, -1.0, v8
	v_cndmask_b32_e32 v9, 0xff800000, v9, vcc_lo
	v_cmp_gt_f32_e64 vcc_lo, 0x33800000, |v8|
	s_delay_alu instid0(VALU_DEP_2) | instskip(NEXT) | instid1(VALU_DEP_1)
	v_cndmask_b32_e32 v8, v9, v8, vcc_lo
	v_mul_f32_e32 v8, 0x3e800000, v8
	s_and_not1_saveexec_b32 s28, s28
	s_cbranch_execz .LBB68_65
	s_branch .LBB68_64
.LBB68_63:                              ;   in Loop: Header=BB68_4 Depth=1
	s_and_not1_saveexec_b32 s28, s28
	s_cbranch_execz .LBB68_65
.LBB68_64:                              ;   in Loop: Header=BB68_4 Depth=1
	v_cmp_gt_f32_e64 s29, 0x800000, |v12|
	s_delay_alu instid0(VALU_DEP_1) | instskip(NEXT) | instid1(VALU_DEP_1)
	v_cndmask_b32_e64 v8, 0, 32, s29
	v_ldexp_f32 v8, |v12|, v8
	s_delay_alu instid0(VALU_DEP_1) | instskip(SKIP_1) | instid1(TRANS32_DEP_1)
	v_log_f32_e32 v8, v8
	v_nop
	v_mul_f32_e32 v9, 0x3f317217, v8
	v_cmp_gt_f32_e64 vcc_lo, 0x7f800000, |v8|
	s_delay_alu instid0(VALU_DEP_2) | instskip(NEXT) | instid1(VALU_DEP_1)
	v_fma_f32 v9, 0x3f317217, v8, -v9
	v_fmac_f32_e32 v9, 0x3377d1cf, v8
	s_delay_alu instid0(VALU_DEP_1) | instskip(NEXT) | instid1(VALU_DEP_1)
	v_fmac_f32_e32 v9, 0x3f317217, v8
	v_cndmask_b32_e32 v8, v8, v9, vcc_lo
	v_cndmask_b32_e64 v9, 0, 0x41b17218, s29
	s_delay_alu instid0(VALU_DEP_1) | instskip(NEXT) | instid1(VALU_DEP_1)
	v_sub_f32_e32 v8, v8, v9
	v_sub_f32_e32 v8, 0x3f317218, v8
	s_delay_alu instid0(VALU_DEP_1)
	v_mul_f32_e32 v8, 0.5, v8
.LBB68_65:                              ;   in Loop: Header=BB68_4 Depth=1
	s_or_b32 exec_lo, exec_lo, s28
                                        ; implicit-def: $vgpr10
	s_and_saveexec_b32 s28, s27
	s_delay_alu instid0(SALU_CYCLE_1)
	s_xor_b32 s27, exec_lo, s28
	s_cbranch_execz .LBB68_71
; %bb.66:                               ;   in Loop: Header=BB68_4 Depth=1
	v_sub_f32_e64 v9, 1.0, |v13|
	v_add_f32_e64 v10, |v13|, 1.0
	v_add_f32_e64 v1, |v12|, |v12|
	s_delay_alu instid0(VALU_DEP_2) | instskip(NEXT) | instid1(VALU_DEP_2)
	v_mul_f32_e32 v9, v9, v10
	v_max_num_f32_e32 v11, v1, v1
                                        ; implicit-def: $vgpr10
	s_and_saveexec_b32 s28, s2
	s_delay_alu instid0(SALU_CYCLE_1)
	s_xor_b32 s28, exec_lo, s28
	s_cbranch_execz .LBB68_68
; %bb.67:                               ;   in Loop: Header=BB68_4 Depth=1
	v_fma_f32 v9, -v12, v12, v9
	s_delay_alu instid0(VALU_DEP_1) | instskip(SKIP_1) | instid1(VALU_DEP_2)
	v_max_num_f32_e64 v10, |v9|, v11
	v_min_num_f32_e64 v11, |v9|, v11
	v_frexp_mant_f32_e32 v21, v10
	v_frexp_exp_i32_f32_e32 v10, v10
	s_delay_alu instid0(VALU_DEP_3) | instskip(SKIP_1) | instid1(VALU_DEP_4)
	v_frexp_exp_i32_f32_e32 v25, v11
	v_frexp_mant_f32_e32 v11, v11
	v_rcp_f32_e32 v21, v21
	s_delay_alu instid0(VALU_DEP_2) | instskip(SKIP_3) | instid1(TRANS32_DEP_1)
	v_sub_nc_u32_e32 v10, v25, v10
	v_cmp_gt_f32_e64 vcc_lo, v1, |v9|
	v_cmp_gt_i32_e64 s2, 0, v9
	v_cmp_class_f32_e64 s29, v9, 0x204
	v_mul_f32_e32 v11, v11, v21
	s_delay_alu instid0(VALU_DEP_1) | instskip(NEXT) | instid1(VALU_DEP_1)
	v_ldexp_f32 v10, v11, v10
	v_mul_f32_e32 v11, v10, v10
	s_delay_alu instid0(VALU_DEP_1) | instskip(NEXT) | instid1(VALU_DEP_1)
	v_fmaak_f32 v21, s20, v11, 0xbc7a590c
	v_fmaak_f32 v21, v11, v21, 0x3d29fb3f
	s_delay_alu instid0(VALU_DEP_1) | instskip(NEXT) | instid1(VALU_DEP_1)
	v_fmaak_f32 v21, v11, v21, 0xbd97d4d7
	v_fmaak_f32 v21, v11, v21, 0x3dd931b2
	;; [unrolled: 3-line block ×3, first 2 shown]
	s_delay_alu instid0(VALU_DEP_1) | instskip(NEXT) | instid1(VALU_DEP_1)
	v_fmaak_f32 v21, v11, v21, 0xbeaaaa62
	v_mul_f32_e32 v11, v11, v21
	s_delay_alu instid0(VALU_DEP_1) | instskip(NEXT) | instid1(VALU_DEP_1)
	v_fmac_f32_e32 v10, v10, v11
	v_sub_f32_e32 v11, 0x3fc90fdb, v10
	s_delay_alu instid0(VALU_DEP_1) | instskip(SKIP_1) | instid1(VALU_DEP_2)
	v_cndmask_b32_e32 v10, v10, v11, vcc_lo
	v_cmp_gt_f32_e32 vcc_lo, 0, v9
	v_sub_f32_e32 v11, 0x40490fdb, v10
	v_cndmask_b32_e32 v21, 0x3f490fdb, v32, vcc_lo
	s_delay_alu instid0(VALU_DEP_2) | instskip(SKIP_3) | instid1(VALU_DEP_2)
	v_cndmask_b32_e32 v10, v10, v11, vcc_lo
	v_cndmask_b32_e64 v11, 0, 0x40490fdb, s2
	v_cmp_eq_f32_e64 s2, 0, v1
	v_cmp_eq_f32_e32 vcc_lo, 0x7f800000, v1
	v_cndmask_b32_e64 v1, |v10|, v11, s2
	s_and_b32 vcc_lo, vcc_lo, s29
                                        ; implicit-def: $vgpr11
	s_delay_alu instid0(VALU_DEP_1) | instskip(SKIP_1) | instid1(VALU_DEP_2)
	v_cndmask_b32_e32 v1, v1, v21, vcc_lo
	v_cmp_o_f32_e32 vcc_lo, v9, v9
                                        ; implicit-def: $vgpr9
	v_cndmask_b32_e32 v10, 0x7fc00000, v1, vcc_lo
                                        ; implicit-def: $vgpr1
.LBB68_68:                              ;   in Loop: Header=BB68_4 Depth=1
	s_and_not1_saveexec_b32 s28, s28
	s_cbranch_execz .LBB68_70
; %bb.69:                               ;   in Loop: Header=BB68_4 Depth=1
	v_max_num_f32_e64 v10, |v9|, |v9|
	v_cmp_gt_f32_e64 vcc_lo, v1, |v9|
	v_cmp_gt_i32_e64 s2, 0, v9
	v_cmp_class_f32_e64 s29, v9, 0x204
	s_delay_alu instid0(VALU_DEP_4) | instskip(NEXT) | instid1(VALU_DEP_1)
	v_dual_max_num_f32 v21, v10, v11 :: v_dual_min_num_f32 v10, v10, v11
	v_frexp_mant_f32_e32 v25, v21
	v_frexp_exp_i32_f32_e32 v11, v21
	s_delay_alu instid0(VALU_DEP_2)
	v_rcp_f32_e32 v21, v25
	v_nop
	v_frexp_exp_i32_f32_e32 v25, v10
	v_frexp_mant_f32_e32 v10, v10
	s_delay_alu instid0(TRANS32_DEP_1) | instid1(VALU_DEP_1)
	v_dual_mul_f32 v10, v10, v21 :: v_dual_sub_nc_u32 v11, v25, v11
	s_delay_alu instid0(VALU_DEP_1) | instskip(NEXT) | instid1(VALU_DEP_1)
	v_ldexp_f32 v10, v10, v11
	v_mul_f32_e32 v11, v10, v10
	s_delay_alu instid0(VALU_DEP_1) | instskip(NEXT) | instid1(VALU_DEP_1)
	v_fmaak_f32 v21, s20, v11, 0xbc7a590c
	v_fmaak_f32 v21, v11, v21, 0x3d29fb3f
	s_delay_alu instid0(VALU_DEP_1) | instskip(NEXT) | instid1(VALU_DEP_1)
	v_fmaak_f32 v21, v11, v21, 0xbd97d4d7
	v_fmaak_f32 v21, v11, v21, 0x3dd931b2
	;; [unrolled: 3-line block ×3, first 2 shown]
	s_delay_alu instid0(VALU_DEP_1) | instskip(NEXT) | instid1(VALU_DEP_1)
	v_fmaak_f32 v21, v11, v21, 0xbeaaaa62
	v_mul_f32_e32 v11, v11, v21
	s_delay_alu instid0(VALU_DEP_1) | instskip(NEXT) | instid1(VALU_DEP_1)
	v_fmac_f32_e32 v10, v10, v11
	v_sub_f32_e32 v11, 0x3fc90fdb, v10
	s_delay_alu instid0(VALU_DEP_1) | instskip(SKIP_1) | instid1(VALU_DEP_2)
	v_cndmask_b32_e32 v10, v10, v11, vcc_lo
	v_cmp_gt_f32_e32 vcc_lo, 0, v9
	v_sub_f32_e32 v11, 0x40490fdb, v10
	v_cndmask_b32_e32 v21, 0x3f490fdb, v32, vcc_lo
	s_delay_alu instid0(VALU_DEP_2) | instskip(SKIP_3) | instid1(VALU_DEP_2)
	v_cndmask_b32_e32 v10, v10, v11, vcc_lo
	v_cndmask_b32_e64 v11, 0, 0x40490fdb, s2
	v_cmp_eq_f32_e64 s2, 0, v1
	v_cmp_eq_f32_e32 vcc_lo, 0x7f800000, v1
	v_cndmask_b32_e64 v1, |v10|, v11, s2
	s_and_b32 vcc_lo, vcc_lo, s29
	s_delay_alu instid0(VALU_DEP_1) | instskip(SKIP_1) | instid1(VALU_DEP_2)
	v_cndmask_b32_e32 v1, v1, v21, vcc_lo
	v_cmp_o_f32_e32 vcc_lo, v9, v9
	v_cndmask_b32_e32 v10, 0x7fc00000, v1, vcc_lo
.LBB68_70:                              ;   in Loop: Header=BB68_4 Depth=1
	s_or_b32 exec_lo, exec_lo, s28
                                        ; implicit-def: $vgpr1
	s_and_not1_saveexec_b32 s2, s27
	s_cbranch_execnz .LBB68_72
	s_branch .LBB68_73
.LBB68_71:                              ;   in Loop: Header=BB68_4 Depth=1
	s_and_not1_saveexec_b32 s2, s27
	s_cbranch_execz .LBB68_73
.LBB68_72:                              ;   in Loop: Header=BB68_4 Depth=1
	v_dual_max_num_f32 v9, 2.0, v1 :: v_dual_min_num_f32 v1, 2.0, v1
	v_cmp_lt_f32_e64 vcc_lo, |v12|, 2.0
	s_delay_alu instid0(VALU_DEP_2) | instskip(SKIP_1) | instid1(VALU_DEP_4)
	v_frexp_mant_f32_e32 v10, v9
	v_frexp_exp_i32_f32_e32 v9, v9
	v_frexp_mant_f32_e32 v11, v1
	v_frexp_exp_i32_f32_e32 v1, v1
	s_delay_alu instid0(VALU_DEP_4) | instskip(SKIP_1) | instid1(TRANS32_DEP_1)
	v_rcp_f32_e32 v10, v10
	v_nop
	v_dual_mul_f32 v10, v11, v10 :: v_dual_sub_nc_u32 v1, v1, v9
	s_delay_alu instid0(VALU_DEP_1) | instskip(NEXT) | instid1(VALU_DEP_1)
	v_ldexp_f32 v1, v10, v1
	v_mul_f32_e32 v9, v1, v1
	s_delay_alu instid0(VALU_DEP_1) | instskip(NEXT) | instid1(VALU_DEP_1)
	v_fmaak_f32 v10, s20, v9, 0xbc7a590c
	v_fmaak_f32 v10, v9, v10, 0x3d29fb3f
	s_delay_alu instid0(VALU_DEP_1) | instskip(NEXT) | instid1(VALU_DEP_1)
	v_fmaak_f32 v10, v9, v10, 0xbd97d4d7
	v_fmaak_f32 v10, v9, v10, 0x3dd931b2
	;; [unrolled: 3-line block ×3, first 2 shown]
	s_delay_alu instid0(VALU_DEP_1) | instskip(NEXT) | instid1(VALU_DEP_1)
	v_fmaak_f32 v10, v9, v10, 0xbeaaaa62
	v_mul_f32_e32 v9, v9, v10
	s_delay_alu instid0(VALU_DEP_1) | instskip(NEXT) | instid1(VALU_DEP_1)
	v_fmac_f32_e32 v1, v1, v9
	v_sub_f32_e32 v9, 0x3fc90fdb, v1
	s_delay_alu instid0(VALU_DEP_1) | instskip(SKIP_1) | instid1(VALU_DEP_2)
	v_cndmask_b32_e32 v1, v1, v9, vcc_lo
	v_cmp_lg_f32_e32 vcc_lo, 0, v12
	v_sub_f32_e32 v9, 0x40490fdb, v1
	s_delay_alu instid0(VALU_DEP_1) | instskip(NEXT) | instid1(VALU_DEP_1)
	v_cndmask_b32_e32 v1, v1, v9, vcc_lo
	v_and_b32_e32 v10, 0x7fffffff, v1
.LBB68_73:                              ;   in Loop: Header=BB68_4 Depth=1
	s_or_b32 exec_lo, exec_lo, s2
	s_delay_alu instid0(VALU_DEP_1) | instskip(SKIP_1) | instid1(VALU_DEP_2)
	v_mul_f32_e32 v1, 0.5, v10
	v_bfi_b32 v9, 0x7fffffff, v8, v13
	v_bfi_b32 v8, 0x7fffffff, v1, v12
                                        ; implicit-def: $vgpr13
.LBB68_74:                              ;   in Loop: Header=BB68_4 Depth=1
	s_and_not1_saveexec_b32 s2, s26
	s_cbranch_execz .LBB68_76
; %bb.75:                               ;   in Loop: Header=BB68_4 Depth=1
	flat_store_b32 v[18:19], v31 scope:SCOPE_SYS
	s_wait_storecnt 0x0
	flat_load_b32 v1, v[18:19] scope:SCOPE_SYS
	s_wait_loadcnt 0x0
	v_dual_mov_b32 v8, v12 :: v_dual_mov_b32 v9, v13
	s_wait_dscnt 0x0
	v_add_f32_e32 v1, 1.0, v1
	flat_store_b32 v[22:23], v1 scope:SCOPE_SYS
	s_wait_storecnt 0x0
	flat_load_b32 v1, v[22:23] scope:SCOPE_SYS
	s_wait_loadcnt 0x0
.LBB68_76:                              ;   in Loop: Header=BB68_4 Depth=1
	s_wait_xcnt 0x0
	s_or_b32 exec_lo, exec_lo, s2
                                        ; implicit-def: $vgpr10_vgpr11_vgpr12_vgpr13
.LBB68_77:                              ;   in Loop: Header=BB68_4 Depth=1
	s_and_not1_saveexec_b32 s2, s25
	s_cbranch_execz .LBB68_91
; %bb.78:                               ;   in Loop: Header=BB68_4 Depth=1
	s_wait_dscnt 0x0
	v_and_b32_e32 v1, 0x7f800000, v13
	v_and_b32_e32 v8, 0x7f800000, v12
	v_cmp_neq_f32_e64 s25, 0x7f800000, |v13|
	s_delay_alu instid0(VALU_DEP_2) | instskip(NEXT) | instid1(VALU_DEP_1)
	v_sub_nc_u32_e32 v9, v1, v8
	v_cmp_gt_i32_e32 vcc_lo, 0x6800000, v9
	s_and_b32 s25, s25, vcc_lo
	s_delay_alu instid0(SALU_CYCLE_1) | instskip(NEXT) | instid1(SALU_CYCLE_1)
	s_and_saveexec_b32 s26, s25
	s_xor_b32 s25, exec_lo, s26
	s_cbranch_execz .LBB68_88
; %bb.79:                               ;   in Loop: Header=BB68_4 Depth=1
	v_sub_nc_u32_e32 v8, v8, v1
	s_mov_b32 s26, exec_lo
	s_delay_alu instid0(VALU_DEP_1)
	v_cmpx_gt_i32_e32 0x6800000, v8
	s_xor_b32 s26, exec_lo, s26
	s_cbranch_execz .LBB68_85
; %bb.80:                               ;   in Loop: Header=BB68_4 Depth=1
	s_mov_b32 s27, exec_lo
	v_cmpx_lt_u32_e32 0x59000000, v1
	s_xor_b32 s27, exec_lo, s27
	s_cbranch_execz .LBB68_82
; %bb.81:                               ;   in Loop: Header=BB68_4 Depth=1
	v_sub_nc_u32_e32 v8, 0x7f800000, v1
	s_delay_alu instid0(VALU_DEP_1) | instskip(NEXT) | instid1(VALU_DEP_1)
	v_pk_mul_f32 v[10:11], v[12:13], v[8:9] op_sel_hi:[1,0]
	v_pk_mul_f32 v[34:35], v[10:11], v[10:11]
	s_delay_alu instid0(VALU_DEP_1) | instskip(NEXT) | instid1(VALU_DEP_1)
	v_add_f32_e32 v1, v35, v34
	v_div_scale_f32 v9, null, v1, v1, v11
	s_delay_alu instid0(VALU_DEP_1) | instskip(SKIP_1) | instid1(TRANS32_DEP_1)
	v_rcp_f32_e32 v10, v9
	v_nop
	v_fma_f32 v21, -v9, v10, 1.0
	s_delay_alu instid0(VALU_DEP_1) | instskip(SKIP_1) | instid1(VALU_DEP_1)
	v_fmac_f32_e32 v10, v21, v10
	v_div_scale_f32 v21, vcc_lo, v11, v1, v11
	v_mul_f32_e32 v25, v21, v10
	s_delay_alu instid0(VALU_DEP_1) | instskip(NEXT) | instid1(VALU_DEP_1)
	v_fma_f32 v33, -v9, v25, v21
	v_fmac_f32_e32 v25, v33, v10
	s_delay_alu instid0(VALU_DEP_1) | instskip(NEXT) | instid1(VALU_DEP_1)
	v_fma_f32 v9, -v9, v25, v21
	v_div_fmas_f32 v9, v9, v10, v25
	s_delay_alu instid0(VALU_DEP_1) | instskip(NEXT) | instid1(VALU_DEP_1)
	v_div_fixup_f32 v1, v9, v1, v11
	v_mul_f32_e32 v9, v1, v8
.LBB68_82:                              ;   in Loop: Header=BB68_4 Depth=1
	s_and_not1_saveexec_b32 s27, s27
	s_cbranch_execz .LBB68_84
; %bb.83:                               ;   in Loop: Header=BB68_4 Depth=1
	v_pk_mul_f32 v[8:9], v[12:13], v[12:13]
	s_delay_alu instid0(VALU_DEP_1) | instskip(NEXT) | instid1(VALU_DEP_1)
	v_add_f32_e32 v1, v8, v9
	v_div_scale_f32 v8, null, v1, v1, v13
	s_delay_alu instid0(VALU_DEP_1) | instskip(SKIP_1) | instid1(TRANS32_DEP_1)
	v_rcp_f32_e32 v9, v8
	v_nop
	v_fma_f32 v10, -v8, v9, 1.0
	s_delay_alu instid0(VALU_DEP_1) | instskip(SKIP_1) | instid1(VALU_DEP_1)
	v_fmac_f32_e32 v9, v10, v9
	v_div_scale_f32 v10, vcc_lo, v13, v1, v13
	v_mul_f32_e32 v11, v10, v9
	s_delay_alu instid0(VALU_DEP_1) | instskip(NEXT) | instid1(VALU_DEP_1)
	v_fma_f32 v21, -v8, v11, v10
	v_fmac_f32_e32 v11, v21, v9
	s_delay_alu instid0(VALU_DEP_1) | instskip(NEXT) | instid1(VALU_DEP_1)
	v_fma_f32 v8, -v8, v11, v10
	v_div_fmas_f32 v8, v8, v9, v11
	s_delay_alu instid0(VALU_DEP_1)
	v_div_fixup_f32 v9, v8, v1, v13
.LBB68_84:                              ;   in Loop: Header=BB68_4 Depth=1
	s_or_b32 exec_lo, exec_lo, s27
.LBB68_85:                              ;   in Loop: Header=BB68_4 Depth=1
	s_and_not1_saveexec_b32 s26, s26
	s_cbranch_execz .LBB68_87
; %bb.86:                               ;   in Loop: Header=BB68_4 Depth=1
	v_div_scale_f32 v1, null, v12, v12, v13
	v_div_scale_f32 v10, vcc_lo, v13, v12, v13
	s_delay_alu instid0(VALU_DEP_2) | instskip(SKIP_1) | instid1(TRANS32_DEP_1)
	v_rcp_f32_e32 v8, v1
	v_nop
	v_fma_f32 v9, -v1, v8, 1.0
	s_delay_alu instid0(VALU_DEP_1) | instskip(NEXT) | instid1(VALU_DEP_1)
	v_fmac_f32_e32 v8, v9, v8
	v_mul_f32_e32 v9, v10, v8
	s_delay_alu instid0(VALU_DEP_1) | instskip(NEXT) | instid1(VALU_DEP_1)
	v_fma_f32 v11, -v1, v9, v10
	v_fmac_f32_e32 v9, v11, v8
	s_delay_alu instid0(VALU_DEP_1) | instskip(NEXT) | instid1(VALU_DEP_1)
	v_fma_f32 v1, -v1, v9, v10
	v_div_fmas_f32 v1, v1, v8, v9
	s_delay_alu instid0(VALU_DEP_1) | instskip(NEXT) | instid1(VALU_DEP_1)
	v_div_fixup_f32 v1, v1, v12, v13
	v_div_scale_f32 v8, null, v12, v12, v1
	s_delay_alu instid0(VALU_DEP_1) | instskip(SKIP_1) | instid1(TRANS32_DEP_1)
	v_rcp_f32_e32 v9, v8
	v_nop
	v_fma_f32 v10, -v8, v9, 1.0
	s_delay_alu instid0(VALU_DEP_1) | instskip(SKIP_1) | instid1(VALU_DEP_1)
	v_fmac_f32_e32 v9, v10, v9
	v_div_scale_f32 v10, vcc_lo, v1, v12, v1
	v_mul_f32_e32 v11, v10, v9
	s_delay_alu instid0(VALU_DEP_1) | instskip(NEXT) | instid1(VALU_DEP_1)
	v_fma_f32 v21, -v8, v11, v10
	v_fmac_f32_e32 v11, v21, v9
	s_delay_alu instid0(VALU_DEP_1) | instskip(NEXT) | instid1(VALU_DEP_1)
	v_fma_f32 v8, -v8, v11, v10
	v_div_fmas_f32 v8, v8, v9, v11
	s_delay_alu instid0(VALU_DEP_1)
	v_div_fixup_f32 v9, v8, v12, v1
.LBB68_87:                              ;   in Loop: Header=BB68_4 Depth=1
	s_or_b32 exec_lo, exec_lo, s26
.LBB68_88:                              ;   in Loop: Header=BB68_4 Depth=1
	s_and_not1_saveexec_b32 s25, s25
	s_cbranch_execz .LBB68_90
; %bb.89:                               ;   in Loop: Header=BB68_4 Depth=1
	v_div_scale_f32 v1, null, v13, v13, 1.0
	s_delay_alu instid0(VALU_DEP_1) | instskip(SKIP_1) | instid1(TRANS32_DEP_1)
	v_rcp_f32_e32 v8, v1
	v_nop
	v_fma_f32 v9, -v1, v8, 1.0
	s_delay_alu instid0(VALU_DEP_1) | instskip(SKIP_1) | instid1(VALU_DEP_1)
	v_fmac_f32_e32 v8, v9, v8
	v_div_scale_f32 v9, vcc_lo, 1.0, v13, 1.0
	v_mul_f32_e32 v10, v9, v8
	s_delay_alu instid0(VALU_DEP_1) | instskip(NEXT) | instid1(VALU_DEP_1)
	v_fma_f32 v11, -v1, v10, v9
	v_fmac_f32_e32 v10, v11, v8
	s_delay_alu instid0(VALU_DEP_1) | instskip(NEXT) | instid1(VALU_DEP_1)
	v_fma_f32 v1, -v1, v10, v9
	v_div_fmas_f32 v1, v1, v8, v10
	s_delay_alu instid0(VALU_DEP_1)
	v_div_fixup_f32 v9, v1, v13, 1.0
.LBB68_90:                              ;   in Loop: Header=BB68_4 Depth=1
	s_or_b32 exec_lo, exec_lo, s25
	flat_load_b32 v1, v[16:17] scope:SCOPE_SYS
	s_wait_loadcnt_dscnt 0x0
	v_add_f32_e32 v1, 0x3fc90fdb, v1
	s_delay_alu instid0(VALU_DEP_1)
	v_bfi_b32 v8, 0x7fffffff, v1, v12
.LBB68_91:                              ;   in Loop: Header=BB68_4 Depth=1
	s_or_b32 exec_lo, exec_lo, s2
                                        ; implicit-def: $vgpr10_vgpr11_vgpr12_vgpr13
.LBB68_92:                              ;   in Loop: Header=BB68_4 Depth=1
	s_and_not1_saveexec_b32 s2, s24
	s_cbranch_execz .LBB68_102
; %bb.93:                               ;   in Loop: Header=BB68_4 Depth=1
	v_cmp_neq_f32_e64 s24, 0x7f800000, |v13|
	s_and_saveexec_b32 s25, s24
	s_delay_alu instid0(SALU_CYCLE_1)
	s_xor_b32 s24, exec_lo, s25
	s_cbranch_execz .LBB68_99
; %bb.94:                               ;   in Loop: Header=BB68_4 Depth=1
	v_cmp_neq_f32_e64 s25, 0x7f800000, |v12|
	s_and_saveexec_b32 s26, s25
	s_delay_alu instid0(SALU_CYCLE_1)
	s_xor_b32 s25, exec_lo, s26
	s_cbranch_execz .LBB68_96
; %bb.95:                               ;   in Loop: Header=BB68_4 Depth=1
	s_wait_dscnt 0x0
	v_add_f32_e32 v1, 0, v12
	s_delay_alu instid0(VALU_DEP_1)
	v_add_f32_e32 v9, v1, v13
                                        ; implicit-def: $vgpr12_vgpr13
.LBB68_96:                              ;   in Loop: Header=BB68_4 Depth=1
	s_or_saveexec_b32 s25, s25
	s_delay_alu instid0(VALU_DEP_1)
	v_mov_b32_e32 v8, v9
	s_xor_b32 exec_lo, exec_lo, s25
	s_cbranch_execz .LBB68_98
; %bb.97:                               ;   in Loop: Header=BB68_4 Depth=1
	s_wait_dscnt 0x0
	flat_load_b32 v1, v[16:17] scope:SCOPE_SYS
	s_wait_loadcnt 0x0
	v_bfi_b32 v9, 0x7fffffff, 0, v13
	s_wait_dscnt 0x0
	v_add_f32_e32 v1, 0x3fc90fdb, v1
	s_delay_alu instid0(VALU_DEP_1)
	v_bfi_b32 v8, 0x7fffffff, v1, v12
.LBB68_98:                              ;   in Loop: Header=BB68_4 Depth=1
	s_wait_xcnt 0x0
	s_or_b32 exec_lo, exec_lo, s25
                                        ; implicit-def: $vgpr10_vgpr11_vgpr12_vgpr13
.LBB68_99:                              ;   in Loop: Header=BB68_4 Depth=1
	s_and_not1_saveexec_b32 s24, s24
; %bb.100:                              ;   in Loop: Header=BB68_4 Depth=1
	v_bfi_b32 v9, 0x7fffffff, 0, v13
	v_add_f32_e32 v8, v12, v12
; %bb.101:                              ;   in Loop: Header=BB68_4 Depth=1
	s_or_b32 exec_lo, exec_lo, s24
.LBB68_102:                             ;   in Loop: Header=BB68_4 Depth=1
	s_delay_alu instid0(SALU_CYCLE_1)
	s_or_b32 exec_lo, exec_lo, s2
                                        ; implicit-def: $vgpr10_vgpr11_vgpr12_vgpr13
.LBB68_103:                             ;   in Loop: Header=BB68_4 Depth=1
	s_and_not1_saveexec_b32 s2, s23
	s_cbranch_execz .LBB68_105
; %bb.104:                              ;   in Loop: Header=BB68_4 Depth=1
	s_wait_dscnt 0x0
	v_rcp_f32_e64 v1, |v12|
	v_cmp_gt_f32_e64 vcc_lo, |v12|, 1.0
	s_delay_alu instid0(TRANS32_DEP_1) | instid1(VALU_DEP_1)
	v_cndmask_b32_e64 v1, |v12|, v1, vcc_lo
	s_delay_alu instid0(VALU_DEP_1) | instskip(NEXT) | instid1(VALU_DEP_1)
	v_mul_f32_e32 v8, v1, v1
	v_fmaak_f32 v9, s20, v8, 0xbc7a590c
	s_delay_alu instid0(VALU_DEP_1) | instskip(NEXT) | instid1(VALU_DEP_1)
	v_fmaak_f32 v9, v8, v9, 0x3d29fb3f
	v_fmaak_f32 v9, v8, v9, 0xbd97d4d7
	s_delay_alu instid0(VALU_DEP_1) | instskip(NEXT) | instid1(VALU_DEP_1)
	v_fmaak_f32 v9, v8, v9, 0x3dd931b2
	;; [unrolled: 3-line block ×3, first 2 shown]
	v_fmaak_f32 v9, v8, v9, 0xbeaaaa62
	s_delay_alu instid0(VALU_DEP_1) | instskip(NEXT) | instid1(VALU_DEP_1)
	v_dual_mul_f32 v8, v8, v9 :: v_dual_mov_b32 v9, v13
	v_fmac_f32_e32 v1, v1, v8
	s_delay_alu instid0(VALU_DEP_1) | instskip(NEXT) | instid1(VALU_DEP_1)
	v_sub_f32_e32 v8, 0x3fc90fdb, v1
	v_cndmask_b32_e32 v1, v1, v8, vcc_lo
	s_delay_alu instid0(VALU_DEP_1)
	v_bfi_b32 v8, 0x7fffffff, v1, v12
.LBB68_105:                             ;   in Loop: Header=BB68_4 Depth=1
	s_or_b32 exec_lo, exec_lo, s2
                                        ; implicit-def: $vgpr10_vgpr11_vgpr12_vgpr13
.LBB68_106:                             ;   in Loop: Header=BB68_4 Depth=1
	s_and_not1_saveexec_b32 s2, s22
	s_cbranch_execz .LBB68_108
; %bb.107:                              ;   in Loop: Header=BB68_4 Depth=1
	s_wait_dscnt 0x0
	v_sub_f32_e64 v1, 1.0, |v13|
	v_add_f32_e64 v8, |v13|, 1.0
	v_and_b32_e32 v34, 0x7fffffff, v13
	v_cmp_gt_f32_e64 s22, 0x39800000, |v13|
	s_delay_alu instid0(VALU_DEP_4) | instskip(SKIP_1) | instid1(TRANS32_DEP_1)
	v_rcp_f32_e32 v25, v1
	v_nop
	v_mul_f32_e32 v33, v8, v25
	s_delay_alu instid0(VALU_DEP_1) | instskip(NEXT) | instid1(VALU_DEP_1)
	v_mul_f32_e32 v9, v1, v33
	v_dual_sub_f32 v10, 1.0, v1 :: v_dual_fma_f32 v21, v33, v1, -v9
	s_delay_alu instid0(VALU_DEP_1) | instskip(NEXT) | instid1(VALU_DEP_1)
	v_sub_f32_e64 v10, v10, |v13|
	v_fmac_f32_e32 v21, v33, v10
	s_delay_alu instid0(VALU_DEP_1) | instskip(NEXT) | instid1(VALU_DEP_1)
	v_pk_add_f32 v[10:11], v[8:9], v[20:21]
	v_dual_sub_f32 v1, v8, v11 :: v_dual_sub_f32 v9, v11, v9
	s_delay_alu instid0(VALU_DEP_1) | instskip(NEXT) | instid1(VALU_DEP_2)
	v_sub_f32_e32 v35, v8, v1
	v_sub_f32_e32 v21, v9, v21
	s_delay_alu instid0(VALU_DEP_2) | instskip(NEXT) | instid1(VALU_DEP_1)
	v_pk_add_f32 v[8:9], v[34:35], v[10:11] neg_lo:[0,1] neg_hi:[0,1]
	v_add_f32_e32 v9, v21, v9
	s_delay_alu instid0(VALU_DEP_1) | instskip(NEXT) | instid1(VALU_DEP_1)
	v_add_f32_e32 v8, v8, v9
	v_add_f32_e32 v1, v1, v8
	s_delay_alu instid0(VALU_DEP_1) | instskip(NEXT) | instid1(VALU_DEP_1)
	v_mul_f32_e32 v1, v25, v1
	v_add_f32_e32 v10, v33, v1
	s_delay_alu instid0(VALU_DEP_1) | instskip(NEXT) | instid1(VALU_DEP_1)
	v_cvt_f64_f32_e32 v[8:9], v10
	v_frexp_exp_i32_f64_e32 v8, v[8:9]
	v_frexp_mant_f32_e32 v9, v10
	s_delay_alu instid0(VALU_DEP_1) | instskip(NEXT) | instid1(VALU_DEP_3)
	v_cmp_gt_f32_e32 vcc_lo, 0x3f2aaaab, v9
	v_subrev_co_ci_u32_e64 v21, null, 0, v8, vcc_lo
	v_cmp_neq_f32_e64 vcc_lo, |v13|, 1.0
	s_delay_alu instid0(VALU_DEP_2) | instskip(NEXT) | instid1(VALU_DEP_1)
	v_sub_nc_u32_e32 v8, 0, v21
	v_ldexp_f32 v9, v10, v8
	v_sub_f32_e32 v10, v10, v33
	s_delay_alu instid0(VALU_DEP_1) | instskip(NEXT) | instid1(VALU_DEP_1)
	v_dual_add_f32 v11, 1.0, v9 :: v_dual_sub_f32 v1, v1, v10
	v_dual_add_f32 v10, -1.0, v11 :: v_dual_add_f32 v25, -1.0, v9
	s_delay_alu instid0(VALU_DEP_2) | instskip(NEXT) | instid1(VALU_DEP_2)
	v_ldexp_f32 v1, v1, v8
	v_sub_f32_e32 v8, v9, v10
	s_delay_alu instid0(VALU_DEP_1) | instskip(NEXT) | instid1(VALU_DEP_1)
	v_add_f32_e32 v8, v1, v8
	v_add_f32_e32 v33, v11, v8
	s_delay_alu instid0(VALU_DEP_1) | instskip(SKIP_1) | instid1(VALU_DEP_1)
	v_rcp_f32_e32 v36, v33
	v_dual_add_f32 v10, 1.0, v25 :: v_dual_sub_f32 v11, v33, v11
	v_dual_sub_f32 v9, v9, v10 :: v_dual_sub_f32 v38, v8, v11
	s_delay_alu instid0(VALU_DEP_1) | instskip(NEXT) | instid1(VALU_DEP_1)
	v_add_f32_e32 v1, v1, v9
	v_add_f32_e32 v9, v25, v1
	s_delay_alu instid0(TRANS32_DEP_1) | instid1(VALU_DEP_1)
	v_mul_f32_e32 v37, v9, v36
	s_delay_alu instid0(VALU_DEP_1) | instskip(NEXT) | instid1(VALU_DEP_1)
	v_mul_f32_e32 v10, v33, v37
	v_fma_f32 v34, v37, v33, -v10
	s_delay_alu instid0(VALU_DEP_1) | instskip(NEXT) | instid1(VALU_DEP_1)
	v_fmac_f32_e32 v34, v37, v38
	v_add_f32_e32 v8, v10, v34
	s_delay_alu instid0(VALU_DEP_1) | instskip(SKIP_1) | instid1(VALU_DEP_2)
	v_dual_mov_b32 v35, v8 :: v_dual_sub_f32 v11, v9, v8
	v_sub_f32_e32 v25, v9, v25
	v_pk_add_f32 v[8:9], v[8:9], v[10:11] neg_lo:[0,1] neg_hi:[0,1]
	s_delay_alu instid0(VALU_DEP_2) | instskip(NEXT) | instid1(VALU_DEP_2)
	v_sub_f32_e32 v1, v1, v25
	v_pk_add_f32 v[8:9], v[8:9], v[34:35] neg_lo:[0,1] neg_hi:[0,1]
	s_delay_alu instid0(VALU_DEP_1) | instskip(NEXT) | instid1(VALU_DEP_1)
	v_add_f32_e32 v1, v1, v9
	v_add_f32_e32 v1, v8, v1
	s_delay_alu instid0(VALU_DEP_1) | instskip(NEXT) | instid1(VALU_DEP_1)
	v_add_f32_e32 v9, v11, v1
	v_mul_f32_e32 v25, v36, v9
	s_delay_alu instid0(VALU_DEP_1) | instskip(NEXT) | instid1(VALU_DEP_1)
	v_mul_f32_e32 v34, v33, v25
	v_fma_f32 v10, v25, v33, -v34
	s_delay_alu instid0(VALU_DEP_1) | instskip(NEXT) | instid1(VALU_DEP_1)
	v_dual_fmac_f32 v10, v25, v38 :: v_dual_sub_f32 v33, v11, v9
	v_dual_add_f32 v8, v34, v10 :: v_dual_add_f32 v1, v1, v33
	v_add_f32_e32 v33, v37, v25
	s_delay_alu instid0(VALU_DEP_2) | instskip(NEXT) | instid1(VALU_DEP_1)
	v_dual_sub_f32 v35, v9, v8 :: v_dual_mov_b32 v11, v8
	v_pk_add_f32 v[8:9], v[8:9], v[34:35] neg_lo:[0,1] neg_hi:[0,1]
	s_delay_alu instid0(VALU_DEP_1) | instskip(NEXT) | instid1(VALU_DEP_1)
	v_pk_add_f32 v[8:9], v[8:9], v[10:11] neg_lo:[0,1] neg_hi:[0,1]
	v_add_f32_e32 v1, v1, v9
	s_delay_alu instid0(VALU_DEP_1) | instskip(SKIP_1) | instid1(VALU_DEP_1)
	v_add_f32_e32 v1, v8, v1
	v_sub_f32_e32 v8, v33, v37
	v_dual_add_f32 v1, v35, v1 :: v_dual_sub_f32 v8, v25, v8
	s_delay_alu instid0(VALU_DEP_1) | instskip(NEXT) | instid1(VALU_DEP_1)
	v_mul_f32_e32 v1, v36, v1
	v_add_f32_e32 v1, v8, v1
	v_cvt_f32_i32_e32 v8, v21
	s_delay_alu instid0(VALU_DEP_2) | instskip(NEXT) | instid1(VALU_DEP_1)
	v_add_f32_e32 v36, v33, v1
	v_mul_f32_e32 v10, v36, v36
	v_ldexp_f32 v35, v36, 1
	s_delay_alu instid0(VALU_DEP_2) | instskip(SKIP_1) | instid1(VALU_DEP_2)
	v_fmaak_f32 v11, s19, v10, 0x3ecc95a3
	v_mul_f32_e32 v9, v36, v10
	v_fmaak_f32 v25, v10, v11, 0x3f2aaada
	s_delay_alu instid0(VALU_DEP_1) | instskip(NEXT) | instid1(VALU_DEP_1)
	v_pk_mul_f32 v[10:11], v[8:9], v[24:25]
	v_fma_f32 v34, 0x3f317218, v8, -v10
	s_delay_alu instid0(VALU_DEP_1) | instskip(NEXT) | instid1(VALU_DEP_1)
	v_fmac_f32_e32 v34, 0xb102e308, v8
	v_pk_add_f32 v[8:9], v[10:11], v[34:35]
	v_dual_sub_f32 v21, v36, v33 :: v_dual_mov_b32 v36, v10
	s_delay_alu instid0(VALU_DEP_2) | instskip(NEXT) | instid1(VALU_DEP_2)
	v_mov_b32_e32 v44, v9
	v_sub_f32_e32 v1, v1, v21
	s_delay_alu instid0(VALU_DEP_4) | instskip(NEXT) | instid1(VALU_DEP_1)
	v_dual_sub_f32 v21, v9, v35 :: v_dual_mov_b32 v35, v8
	v_sub_f32_e32 v21, v11, v21
	s_delay_alu instid0(VALU_DEP_3) | instskip(SKIP_1) | instid1(VALU_DEP_2)
	v_ldexp_f32 v1, v1, 1
	v_pk_add_f32 v[10:11], v[8:9], v[10:11] neg_lo:[0,1] neg_hi:[0,1]
	v_add_f32_e32 v37, v1, v21
	s_delay_alu instid0(VALU_DEP_1) | instskip(NEXT) | instid1(VALU_DEP_1)
	v_pk_add_f32 v[38:39], v[8:9], v[36:37]
	v_mov_b32_e32 v11, v39
	s_delay_alu instid0(VALU_DEP_1) | instskip(SKIP_2) | instid1(VALU_DEP_3)
	v_pk_add_f32 v[40:41], v[34:35], v[10:11]
	v_mov_b32_e32 v40, v39
	v_pk_add_f32 v[10:11], v[34:35], v[10:11] neg_lo:[0,1] neg_hi:[0,1]
	v_dual_mov_b32 v36, v41 :: v_dual_mov_b32 v11, v41
	s_delay_alu instid0(VALU_DEP_1) | instskip(NEXT) | instid1(VALU_DEP_1)
	v_pk_add_f32 v[42:43], v[36:37], v[8:9] neg_lo:[0,1] neg_hi:[0,1]
	v_dual_mov_b32 v45, v42 :: v_dual_mov_b32 v1, v42
	v_dual_mov_b32 v9, v8 :: v_dual_mov_b32 v8, v37
	s_delay_alu instid0(VALU_DEP_2) | instskip(NEXT) | instid1(VALU_DEP_3)
	v_pk_add_f32 v[34:35], v[40:41], v[44:45] neg_lo:[0,1] neg_hi:[0,1]
	v_pk_add_f32 v[38:39], v[38:39], v[0:1] neg_lo:[0,1] neg_hi:[0,1]
	v_mov_b32_e32 v38, v10
	s_delay_alu instid0(VALU_DEP_3) | instskip(NEXT) | instid1(VALU_DEP_1)
	v_pk_add_f32 v[8:9], v[8:9], v[34:35] neg_lo:[0,1] neg_hi:[0,1]
	v_pk_add_f32 v[34:35], v[38:39], v[8:9]
	s_delay_alu instid0(VALU_DEP_1) | instskip(NEXT) | instid1(VALU_DEP_1)
	v_mov_b32_e32 v38, v35
	v_pk_add_f32 v[38:39], v[34:35], v[38:39]
	s_delay_alu instid0(VALU_DEP_1) | instskip(NEXT) | instid1(VALU_DEP_1)
	v_pk_add_f32 v[36:37], v[36:37], v[38:39]
	v_dual_mov_b32 v9, v38 :: v_dual_mov_b32 v35, v36
	s_delay_alu instid0(VALU_DEP_1) | instskip(NEXT) | instid1(VALU_DEP_1)
	v_pk_add_f32 v[40:41], v[34:35], v[10:11] neg_lo:[0,1] neg_hi:[0,1]
	v_sub_f32_e32 v1, v34, v40
	s_delay_alu instid0(VALU_DEP_2) | instskip(NEXT) | instid1(VALU_DEP_2)
	v_pk_add_f32 v[8:9], v[8:9], v[40:41] neg_lo:[0,1] neg_hi:[0,1]
	v_sub_f32_e32 v1, v10, v1
	s_delay_alu instid0(VALU_DEP_1) | instskip(NEXT) | instid1(VALU_DEP_1)
	v_add_f32_e32 v1, v8, v1
	v_dual_mov_b32 v8, v12 :: v_dual_add_f32 v1, v1, v9
	s_delay_alu instid0(VALU_DEP_1) | instskip(NEXT) | instid1(VALU_DEP_1)
	v_add_f32_e32 v1, v36, v1
	v_mul_f32_e32 v1, 0.5, v1
	s_delay_alu instid0(VALU_DEP_1) | instskip(NEXT) | instid1(VALU_DEP_1)
	v_cndmask_b32_e64 v1, v1, |v13|, s22
	v_cndmask_b32_e32 v1, 0x7f800000, v1, vcc_lo
	s_delay_alu instid0(VALU_DEP_1)
	v_bfi_b32 v9, 0x7fffffff, v1, v13
.LBB68_108:                             ;   in Loop: Header=BB68_4 Depth=1
	s_or_b32 exec_lo, exec_lo, s2
	s_wait_loadcnt 0x0
	v_cmp_neq_f32_e32 vcc_lo, 0, v2
	v_cmp_nle_f32_e64 s2, |v3|, 1.0
	flat_store_b32 v[16:17], v30 scope:SCOPE_SYS
	s_wait_storecnt 0x0
                                        ; implicit-def: $vgpr11
	s_or_b32 s2, vcc_lo, s2
	s_wait_xcnt 0x0
	s_and_saveexec_b32 s22, s2
	s_delay_alu instid0(SALU_CYCLE_1)
	s_xor_b32 s22, exec_lo, s22
	s_cbranch_execz .LBB68_158
; %bb.109:                              ;   in Loop: Header=BB68_4 Depth=1
                                        ; implicit-def: $vgpr11
	s_mov_b32 s2, exec_lo
	v_cmpx_neq_f32_e32 0, v3
	s_xor_b32 s23, exec_lo, s2
	s_cbranch_execz .LBB68_155
; %bb.110:                              ;   in Loop: Header=BB68_4 Depth=1
                                        ; implicit-def: $vgpr11
	s_mov_b32 s2, exec_lo
	v_cmpx_o_f32_e32 v3, v2
	s_xor_b32 s24, exec_lo, s2
	s_cbranch_execz .LBB68_144
; %bb.111:                              ;   in Loop: Header=BB68_4 Depth=1
	v_max_num_f32_e64 v10, |v3|, |v3|
	s_wait_dscnt 0x1
	v_max_num_f32_e64 v1, |v2|, |v2|
	s_delay_alu instid0(VALU_DEP_1) | instskip(NEXT) | instid1(VALU_DEP_1)
	v_max_num_f32_e32 v10, v1, v10
	v_cmp_nlt_f32_e32 vcc_lo, 0x4b000000, v10
                                        ; implicit-def: $vgpr11
	s_and_saveexec_b32 s2, vcc_lo
	s_delay_alu instid0(SALU_CYCLE_1)
	s_xor_b32 s25, exec_lo, s2
	s_cbranch_execz .LBB68_129
; %bb.112:                              ;   in Loop: Header=BB68_4 Depth=1
	v_cmp_ngt_f32_e64 s2, 0x399cc471, |v3|
	v_cmp_ngt_f32_e64 s26, 0x399cc471, |v2|
                                        ; implicit-def: $vgpr11
	s_or_b32 s2, s26, s2
	s_delay_alu instid0(SALU_CYCLE_1) | instskip(NEXT) | instid1(SALU_CYCLE_1)
	s_and_saveexec_b32 s26, s2
	s_xor_b32 s26, exec_lo, s26
	s_cbranch_execz .LBB68_126
; %bb.113:                              ;   in Loop: Header=BB68_4 Depth=1
	v_cmp_neq_f32_e64 s27, |v3|, 1.0
	v_cmp_ngt_f32_e64 s2, 0x34000000, |v2|
                                        ; implicit-def: $vgpr10
	s_or_b32 s28, s2, s27
	s_delay_alu instid0(SALU_CYCLE_1) | instskip(NEXT) | instid1(SALU_CYCLE_1)
	s_and_saveexec_b32 s29, s28
	s_xor_b32 s28, exec_lo, s29
	s_cbranch_execz .LBB68_115
; %bb.114:                              ;   in Loop: Header=BB68_4 Depth=1
	v_add_f32_e64 v11, |v3|, -1.0
	v_mov_b32_e32 v10, v2
	v_cmp_gt_f32_e64 vcc_lo, 0x20000000, |v2|
	v_mul_f32_e64 v12, |v3|, 4.0
	s_delay_alu instid0(VALU_DEP_3) | instskip(NEXT) | instid1(VALU_DEP_1)
	v_pk_mul_f32 v[10:11], v[10:11], v[10:11]
	v_add_f32_e32 v10, v10, v11
	s_delay_alu instid0(VALU_DEP_1) | instskip(NEXT) | instid1(VALU_DEP_1)
	v_cndmask_b32_e32 v10, v10, v11, vcc_lo
	v_div_scale_f32 v11, null, v10, v10, v12
	v_div_scale_f32 v25, vcc_lo, v12, v10, v12
	s_delay_alu instid0(VALU_DEP_2) | instskip(SKIP_1) | instid1(TRANS32_DEP_1)
	v_rcp_f32_e32 v13, v11
	v_nop
	v_fma_f32 v21, -v11, v13, 1.0
	s_delay_alu instid0(VALU_DEP_1) | instskip(NEXT) | instid1(VALU_DEP_1)
	v_fmac_f32_e32 v13, v21, v13
	v_mul_f32_e32 v21, v25, v13
	s_delay_alu instid0(VALU_DEP_1) | instskip(NEXT) | instid1(VALU_DEP_1)
	v_fma_f32 v33, -v11, v21, v25
	v_fmac_f32_e32 v21, v33, v13
	s_delay_alu instid0(VALU_DEP_1) | instskip(NEXT) | instid1(VALU_DEP_1)
	v_fma_f32 v11, -v11, v21, v25
	v_div_fmas_f32 v11, v11, v13, v21
	s_delay_alu instid0(VALU_DEP_1) | instskip(NEXT) | instid1(VALU_DEP_1)
	v_div_fixup_f32 v10, v11, v10, v12
	v_add_f32_e32 v13, 1.0, v10
	s_delay_alu instid0(VALU_DEP_1) | instskip(SKIP_2) | instid1(VALU_DEP_2)
	v_cvt_f64_f32_e32 v[34:35], v13
	v_frexp_mant_f32_e32 v21, v13
	v_add_f32_e32 v11, -1.0, v13
	v_cmp_gt_f32_e32 vcc_lo, 0x3f2aaaab, v21
	s_delay_alu instid0(VALU_DEP_4) | instskip(NEXT) | instid1(VALU_DEP_1)
	v_frexp_exp_i32_f64_e32 v12, v[34:35]
	v_subrev_co_ci_u32_e64 v21, null, 0, v12, vcc_lo
	s_delay_alu instid0(VALU_DEP_4) | instskip(SKIP_1) | instid1(VALU_DEP_3)
	v_mov_b32_e32 v12, v11
	v_cmp_neq_f32_e32 vcc_lo, 0x7f800000, v10
	v_sub_nc_u32_e32 v25, 0, v21
	s_delay_alu instid0(VALU_DEP_3) | instskip(NEXT) | instid1(VALU_DEP_2)
	v_pk_add_f32 v[34:35], v[10:11], v[12:13] neg_lo:[0,1] neg_hi:[0,1]
	v_ldexp_f32 v11, v13, v25
	s_delay_alu instid0(VALU_DEP_2) | instskip(NEXT) | instid1(VALU_DEP_1)
	v_add_f32_e32 v12, 1.0, v35
	v_dual_add_f32 v33, 1.0, v11 :: v_dual_add_f32 v12, v34, v12
	s_delay_alu instid0(VALU_DEP_1) | instskip(NEXT) | instid1(VALU_DEP_2)
	v_dual_add_f32 v13, -1.0, v33 :: v_dual_add_f32 v37, -1.0, v11
	v_ldexp_f32 v12, v12, v25
	s_delay_alu instid0(VALU_DEP_2) | instskip(NEXT) | instid1(VALU_DEP_3)
	v_sub_f32_e32 v13, v11, v13
	v_add_f32_e32 v25, 1.0, v37
	s_delay_alu instid0(VALU_DEP_1) | instskip(NEXT) | instid1(VALU_DEP_1)
	v_sub_f32_e32 v11, v11, v25
	v_dual_add_f32 v11, v12, v11 :: v_dual_add_f32 v35, v12, v13
	s_delay_alu instid0(VALU_DEP_1) | instskip(NEXT) | instid1(VALU_DEP_2)
	v_add_f32_e32 v13, v37, v11
	v_add_f32_e32 v25, v33, v35
	s_delay_alu instid0(VALU_DEP_2) | instskip(NEXT) | instid1(VALU_DEP_2)
	v_sub_f32_e32 v40, v13, v37
	v_rcp_f32_e32 v38, v25
	s_delay_alu instid0(VALU_DEP_1)
	v_dual_sub_f32 v12, v25, v33 :: v_dual_sub_f32 v11, v11, v40
	s_delay_alu instid0(TRANS32_DEP_1) | instid1(VALU_DEP_1)
	v_dual_sub_f32 v33, v35, v12 :: v_dual_mul_f32 v39, v13, v38
	s_delay_alu instid0(VALU_DEP_1) | instskip(NEXT) | instid1(VALU_DEP_1)
	v_mul_f32_e32 v34, v25, v39
	v_fma_f32 v36, v39, v25, -v34
	s_delay_alu instid0(VALU_DEP_1) | instskip(NEXT) | instid1(VALU_DEP_1)
	v_fmac_f32_e32 v36, v39, v33
	v_add_f32_e32 v12, v34, v36
	s_delay_alu instid0(VALU_DEP_1) | instskip(NEXT) | instid1(VALU_DEP_1)
	v_dual_sub_f32 v35, v13, v12 :: v_dual_mov_b32 v37, v12
	v_pk_add_f32 v[12:13], v[12:13], v[34:35] neg_lo:[0,1] neg_hi:[0,1]
	s_delay_alu instid0(VALU_DEP_1) | instskip(NEXT) | instid1(VALU_DEP_1)
	v_pk_add_f32 v[12:13], v[12:13], v[36:37] neg_lo:[0,1] neg_hi:[0,1]
	v_add_f32_e32 v11, v11, v13
	s_delay_alu instid0(VALU_DEP_1) | instskip(NEXT) | instid1(VALU_DEP_1)
	v_add_f32_e32 v11, v12, v11
	v_add_f32_e32 v13, v35, v11
	s_delay_alu instid0(VALU_DEP_1) | instskip(NEXT) | instid1(VALU_DEP_1)
	v_mul_f32_e32 v40, v38, v13
	v_mul_f32_e32 v36, v25, v40
	s_delay_alu instid0(VALU_DEP_1) | instskip(SKIP_1) | instid1(VALU_DEP_2)
	v_fma_f32 v34, v40, v25, -v36
	v_sub_f32_e32 v25, v35, v13
	v_dual_fmac_f32 v34, v40, v33 :: v_dual_add_f32 v33, v39, v40
	s_delay_alu instid0(VALU_DEP_1) | instskip(NEXT) | instid1(VALU_DEP_1)
	v_add_f32_e32 v12, v36, v34
	v_dual_sub_f32 v37, v13, v12 :: v_dual_mov_b32 v35, v12
	s_delay_alu instid0(VALU_DEP_4) | instskip(NEXT) | instid1(VALU_DEP_2)
	v_add_f32_e32 v11, v11, v25
	v_pk_add_f32 v[12:13], v[12:13], v[36:37] neg_lo:[0,1] neg_hi:[0,1]
	s_delay_alu instid0(VALU_DEP_1) | instskip(NEXT) | instid1(VALU_DEP_1)
	v_pk_add_f32 v[12:13], v[12:13], v[34:35] neg_lo:[0,1] neg_hi:[0,1]
	v_add_f32_e32 v11, v11, v13
	s_delay_alu instid0(VALU_DEP_1) | instskip(SKIP_1) | instid1(VALU_DEP_1)
	v_add_f32_e32 v11, v12, v11
	v_sub_f32_e32 v12, v33, v39
	v_dual_add_f32 v11, v37, v11 :: v_dual_sub_f32 v12, v40, v12
	s_delay_alu instid0(VALU_DEP_1) | instskip(NEXT) | instid1(VALU_DEP_1)
	v_mul_f32_e32 v11, v38, v11
	v_add_f32_e32 v11, v12, v11
	v_cvt_f32_i32_e32 v12, v21
	s_delay_alu instid0(VALU_DEP_2) | instskip(NEXT) | instid1(VALU_DEP_1)
	v_add_f32_e32 v38, v33, v11
	v_dual_mul_f32 v25, v38, v38 :: v_dual_sub_f32 v21, v38, v33
	s_delay_alu instid0(VALU_DEP_1) | instskip(NEXT) | instid1(VALU_DEP_2)
	v_dual_fmaak_f32 v34, s19, v25, 0x3ecc95a3 :: v_dual_mul_f32 v13, v38, v25
	v_sub_f32_e32 v11, v11, v21
	v_ldexp_f32 v37, v38, 1
	s_delay_alu instid0(VALU_DEP_3) | instskip(NEXT) | instid1(VALU_DEP_3)
	v_fmaak_f32 v25, v25, v34, 0x3f2aaada
	v_ldexp_f32 v11, v11, 1
	s_delay_alu instid0(VALU_DEP_2) | instskip(NEXT) | instid1(VALU_DEP_1)
	v_pk_mul_f32 v[34:35], v[12:13], v[24:25]
	v_fma_f32 v36, 0x3f317218, v12, -v34
	v_mov_b32_e32 v38, v34
	s_delay_alu instid0(VALU_DEP_2) | instskip(NEXT) | instid1(VALU_DEP_1)
	v_fmac_f32_e32 v36, 0xb102e308, v12
	v_pk_add_f32 v[12:13], v[34:35], v[36:37]
	s_delay_alu instid0(VALU_DEP_1) | instskip(NEXT) | instid1(VALU_DEP_1)
	v_dual_sub_f32 v21, v13, v37 :: v_dual_mov_b32 v37, v12
	v_dual_mov_b32 v46, v13 :: v_dual_sub_f32 v21, v35, v21
	v_pk_add_f32 v[34:35], v[12:13], v[34:35] neg_lo:[0,1] neg_hi:[0,1]
	s_delay_alu instid0(VALU_DEP_2) | instskip(NEXT) | instid1(VALU_DEP_1)
	v_add_f32_e32 v39, v11, v21
	v_pk_add_f32 v[40:41], v[12:13], v[38:39]
	s_delay_alu instid0(VALU_DEP_1) | instskip(NEXT) | instid1(VALU_DEP_1)
	v_mov_b32_e32 v35, v41
	v_pk_add_f32 v[42:43], v[36:37], v[34:35]
	v_pk_add_f32 v[34:35], v[36:37], v[34:35] neg_lo:[0,1] neg_hi:[0,1]
	s_delay_alu instid0(VALU_DEP_2) | instskip(NEXT) | instid1(VALU_DEP_1)
	v_dual_mov_b32 v42, v41 :: v_dual_mov_b32 v38, v43
	v_pk_add_f32 v[44:45], v[38:39], v[12:13] neg_lo:[0,1] neg_hi:[0,1]
	v_dual_mov_b32 v13, v12 :: v_dual_mov_b32 v12, v39
	s_delay_alu instid0(VALU_DEP_2) | instskip(NEXT) | instid1(VALU_DEP_1)
	v_dual_mov_b32 v11, v44 :: v_dual_mov_b32 v47, v44
	v_pk_add_f32 v[36:37], v[40:41], v[10:11] neg_lo:[0,1] neg_hi:[0,1]
	s_delay_alu instid0(VALU_DEP_2) | instskip(SKIP_1) | instid1(VALU_DEP_2)
	v_pk_add_f32 v[44:45], v[42:43], v[46:47] neg_lo:[0,1] neg_hi:[0,1]
	v_mov_b32_e32 v36, v34
	v_pk_add_f32 v[12:13], v[12:13], v[44:45] neg_lo:[0,1] neg_hi:[0,1]
	s_delay_alu instid0(VALU_DEP_1) | instskip(NEXT) | instid1(VALU_DEP_1)
	v_pk_add_f32 v[36:37], v[36:37], v[12:13]
	v_mov_b32_e32 v40, v37
	s_delay_alu instid0(VALU_DEP_1) | instskip(NEXT) | instid1(VALU_DEP_1)
	v_pk_add_f32 v[40:41], v[36:37], v[40:41]
	v_pk_add_f32 v[38:39], v[38:39], v[40:41]
	s_delay_alu instid0(VALU_DEP_1) | instskip(NEXT) | instid1(VALU_DEP_1)
	v_dual_mov_b32 v35, v43 :: v_dual_mov_b32 v37, v38
	v_pk_add_f32 v[42:43], v[36:37], v[34:35] neg_lo:[0,1] neg_hi:[0,1]
	s_delay_alu instid0(VALU_DEP_1) | instskip(NEXT) | instid1(VALU_DEP_1)
	v_sub_f32_e32 v11, v36, v42
	v_dual_mov_b32 v13, v40 :: v_dual_sub_f32 v11, v34, v11
	s_delay_alu instid0(VALU_DEP_1) | instskip(NEXT) | instid1(VALU_DEP_1)
	v_pk_add_f32 v[12:13], v[12:13], v[42:43] neg_lo:[0,1] neg_hi:[0,1]
	v_add_f32_e32 v11, v12, v11
	s_delay_alu instid0(VALU_DEP_1) | instskip(NEXT) | instid1(VALU_DEP_1)
	v_add_f32_e32 v11, v11, v13
	v_add_f32_e32 v11, v38, v11
	s_delay_alu instid0(VALU_DEP_1) | instskip(SKIP_1) | instid1(VALU_DEP_2)
	v_cndmask_b32_e32 v11, 0x7f800000, v11, vcc_lo
	v_cmp_ngt_f32_e32 vcc_lo, -1.0, v10
	v_cndmask_b32_e32 v11, 0x7fc00000, v11, vcc_lo
	v_cmp_neq_f32_e32 vcc_lo, -1.0, v10
	s_delay_alu instid0(VALU_DEP_2) | instskip(SKIP_1) | instid1(VALU_DEP_2)
	v_cndmask_b32_e32 v11, 0xff800000, v11, vcc_lo
	v_cmp_gt_f32_e64 vcc_lo, 0x33800000, |v10|
	v_cndmask_b32_e32 v10, v11, v10, vcc_lo
	s_delay_alu instid0(VALU_DEP_1)
	v_mul_f32_e32 v10, 0x3e800000, v10
	s_and_not1_saveexec_b32 s28, s28
	s_cbranch_execz .LBB68_117
	s_branch .LBB68_116
.LBB68_115:                             ;   in Loop: Header=BB68_4 Depth=1
	s_and_not1_saveexec_b32 s28, s28
	s_cbranch_execz .LBB68_117
.LBB68_116:                             ;   in Loop: Header=BB68_4 Depth=1
	v_cmp_gt_f32_e64 s29, 0x800000, |v2|
	s_delay_alu instid0(VALU_DEP_1) | instskip(NEXT) | instid1(VALU_DEP_1)
	v_cndmask_b32_e64 v10, 0, 32, s29
	v_ldexp_f32 v10, |v2|, v10
	s_delay_alu instid0(VALU_DEP_1) | instskip(SKIP_1) | instid1(TRANS32_DEP_1)
	v_log_f32_e32 v10, v10
	v_nop
	v_mul_f32_e32 v11, 0x3f317217, v10
	v_cmp_gt_f32_e64 vcc_lo, 0x7f800000, |v10|
	s_delay_alu instid0(VALU_DEP_2) | instskip(NEXT) | instid1(VALU_DEP_1)
	v_fma_f32 v11, 0x3f317217, v10, -v11
	v_fmac_f32_e32 v11, 0x3377d1cf, v10
	s_delay_alu instid0(VALU_DEP_1) | instskip(NEXT) | instid1(VALU_DEP_1)
	v_fmac_f32_e32 v11, 0x3f317217, v10
	v_cndmask_b32_e32 v10, v10, v11, vcc_lo
	v_cndmask_b32_e64 v11, 0, 0x41b17218, s29
	s_delay_alu instid0(VALU_DEP_1) | instskip(NEXT) | instid1(VALU_DEP_1)
	v_sub_f32_e32 v10, v10, v11
	v_sub_f32_e32 v10, 0x3f317218, v10
	s_delay_alu instid0(VALU_DEP_1)
	v_mul_f32_e32 v10, 0.5, v10
.LBB68_117:                             ;   in Loop: Header=BB68_4 Depth=1
	s_or_b32 exec_lo, exec_lo, s28
                                        ; implicit-def: $vgpr12
	s_and_saveexec_b32 s28, s27
	s_delay_alu instid0(SALU_CYCLE_1)
	s_xor_b32 s27, exec_lo, s28
	s_cbranch_execz .LBB68_123
; %bb.118:                              ;   in Loop: Header=BB68_4 Depth=1
	v_sub_f32_e64 v11, 1.0, |v3|
	v_add_f32_e64 v12, |v3|, 1.0
	v_add_f32_e64 v1, |v2|, |v2|
	s_delay_alu instid0(VALU_DEP_1) | instskip(SKIP_1) | instid1(SALU_CYCLE_1)
	v_dual_mul_f32 v11, v11, v12 :: v_dual_max_num_f32 v13, v1, v1
                                        ; implicit-def: $vgpr12
	s_and_saveexec_b32 s28, s2
	s_xor_b32 s28, exec_lo, s28
	s_cbranch_execz .LBB68_120
; %bb.119:                              ;   in Loop: Header=BB68_4 Depth=1
	s_delay_alu instid0(VALU_DEP_1) | instskip(NEXT) | instid1(VALU_DEP_1)
	v_fma_f32 v11, -v2, v2, v11
	v_max_num_f32_e64 v12, |v11|, v13
	v_min_num_f32_e64 v13, |v11|, v13
	s_delay_alu instid0(VALU_DEP_2) | instskip(SKIP_1) | instid1(VALU_DEP_3)
	v_frexp_mant_f32_e32 v21, v12
	v_frexp_exp_i32_f32_e32 v12, v12
	v_frexp_exp_i32_f32_e32 v25, v13
	v_frexp_mant_f32_e32 v13, v13
	s_delay_alu instid0(VALU_DEP_4) | instskip(NEXT) | instid1(VALU_DEP_2)
	v_rcp_f32_e32 v21, v21
	v_sub_nc_u32_e32 v12, v25, v12
	v_cmp_gt_f32_e64 vcc_lo, v1, |v11|
	v_cmp_gt_i32_e64 s2, 0, v11
	v_cmp_class_f32_e64 s29, v11, 0x204
	s_delay_alu instid0(TRANS32_DEP_1) | instskip(NEXT) | instid1(VALU_DEP_1)
	v_mul_f32_e32 v13, v13, v21
	v_ldexp_f32 v12, v13, v12
	s_delay_alu instid0(VALU_DEP_1) | instskip(NEXT) | instid1(VALU_DEP_1)
	v_mul_f32_e32 v13, v12, v12
	v_fmaak_f32 v21, s20, v13, 0xbc7a590c
	s_delay_alu instid0(VALU_DEP_1) | instskip(NEXT) | instid1(VALU_DEP_1)
	v_fmaak_f32 v21, v13, v21, 0x3d29fb3f
	v_fmaak_f32 v21, v13, v21, 0xbd97d4d7
	s_delay_alu instid0(VALU_DEP_1) | instskip(NEXT) | instid1(VALU_DEP_1)
	v_fmaak_f32 v21, v13, v21, 0x3dd931b2
	;; [unrolled: 3-line block ×3, first 2 shown]
	v_fmaak_f32 v21, v13, v21, 0xbeaaaa62
	s_delay_alu instid0(VALU_DEP_1) | instskip(NEXT) | instid1(VALU_DEP_1)
	v_mul_f32_e32 v13, v13, v21
	v_fmac_f32_e32 v12, v12, v13
	s_delay_alu instid0(VALU_DEP_1) | instskip(NEXT) | instid1(VALU_DEP_1)
	v_sub_f32_e32 v13, 0x3fc90fdb, v12
	v_cndmask_b32_e32 v12, v12, v13, vcc_lo
	v_cmp_gt_f32_e32 vcc_lo, 0, v11
	s_delay_alu instid0(VALU_DEP_2) | instskip(SKIP_1) | instid1(VALU_DEP_2)
	v_sub_f32_e32 v13, 0x40490fdb, v12
	v_cndmask_b32_e32 v21, 0x3f490fdb, v32, vcc_lo
	v_cndmask_b32_e32 v12, v12, v13, vcc_lo
	v_cndmask_b32_e64 v13, 0, 0x40490fdb, s2
	v_cmp_eq_f32_e64 s2, 0, v1
	v_cmp_eq_f32_e32 vcc_lo, 0x7f800000, v1
	s_delay_alu instid0(VALU_DEP_2) | instskip(SKIP_1) | instid1(VALU_DEP_1)
	v_cndmask_b32_e64 v1, |v12|, v13, s2
	s_and_b32 vcc_lo, vcc_lo, s29
                                        ; implicit-def: $vgpr13
	v_cndmask_b32_e32 v1, v1, v21, vcc_lo
	v_cmp_o_f32_e32 vcc_lo, v11, v11
                                        ; implicit-def: $vgpr11
	s_delay_alu instid0(VALU_DEP_2)
	v_cndmask_b32_e32 v12, 0x7fc00000, v1, vcc_lo
                                        ; implicit-def: $vgpr1
.LBB68_120:                             ;   in Loop: Header=BB68_4 Depth=1
	s_and_not1_saveexec_b32 s28, s28
	s_cbranch_execz .LBB68_122
; %bb.121:                              ;   in Loop: Header=BB68_4 Depth=1
	v_max_num_f32_e64 v12, |v11|, |v11|
	v_cmp_gt_f32_e64 vcc_lo, v1, |v11|
	v_cmp_gt_i32_e64 s2, 0, v11
	v_cmp_class_f32_e64 s29, v11, 0x204
	s_delay_alu instid0(VALU_DEP_4) | instskip(NEXT) | instid1(VALU_DEP_1)
	v_dual_max_num_f32 v21, v12, v13 :: v_dual_min_num_f32 v12, v12, v13
	v_frexp_mant_f32_e32 v25, v21
	v_frexp_exp_i32_f32_e32 v13, v21
	s_delay_alu instid0(VALU_DEP_2) | instskip(SKIP_3) | instid1(VALU_DEP_2)
	v_rcp_f32_e32 v21, v25
	v_nop
	v_frexp_exp_i32_f32_e32 v25, v12
	v_frexp_mant_f32_e32 v12, v12
	v_sub_nc_u32_e32 v13, v25, v13
	s_delay_alu instid0(TRANS32_DEP_1) | instid1(VALU_DEP_2)
	v_mul_f32_e32 v12, v12, v21
	s_delay_alu instid0(VALU_DEP_1) | instskip(NEXT) | instid1(VALU_DEP_1)
	v_ldexp_f32 v12, v12, v13
	v_mul_f32_e32 v13, v12, v12
	s_delay_alu instid0(VALU_DEP_1) | instskip(NEXT) | instid1(VALU_DEP_1)
	v_fmaak_f32 v21, s20, v13, 0xbc7a590c
	v_fmaak_f32 v21, v13, v21, 0x3d29fb3f
	s_delay_alu instid0(VALU_DEP_1) | instskip(NEXT) | instid1(VALU_DEP_1)
	v_fmaak_f32 v21, v13, v21, 0xbd97d4d7
	v_fmaak_f32 v21, v13, v21, 0x3dd931b2
	;; [unrolled: 3-line block ×3, first 2 shown]
	s_delay_alu instid0(VALU_DEP_1) | instskip(NEXT) | instid1(VALU_DEP_1)
	v_fmaak_f32 v21, v13, v21, 0xbeaaaa62
	v_mul_f32_e32 v13, v13, v21
	s_delay_alu instid0(VALU_DEP_1) | instskip(NEXT) | instid1(VALU_DEP_1)
	v_fmac_f32_e32 v12, v12, v13
	v_sub_f32_e32 v13, 0x3fc90fdb, v12
	s_delay_alu instid0(VALU_DEP_1) | instskip(SKIP_1) | instid1(VALU_DEP_2)
	v_cndmask_b32_e32 v12, v12, v13, vcc_lo
	v_cmp_gt_f32_e32 vcc_lo, 0, v11
	v_sub_f32_e32 v13, 0x40490fdb, v12
	v_cndmask_b32_e32 v21, 0x3f490fdb, v32, vcc_lo
	s_delay_alu instid0(VALU_DEP_2) | instskip(SKIP_3) | instid1(VALU_DEP_2)
	v_cndmask_b32_e32 v12, v12, v13, vcc_lo
	v_cndmask_b32_e64 v13, 0, 0x40490fdb, s2
	v_cmp_eq_f32_e64 s2, 0, v1
	v_cmp_eq_f32_e32 vcc_lo, 0x7f800000, v1
	v_cndmask_b32_e64 v1, |v12|, v13, s2
	s_and_b32 vcc_lo, vcc_lo, s29
	s_delay_alu instid0(VALU_DEP_1) | instskip(SKIP_1) | instid1(VALU_DEP_2)
	v_cndmask_b32_e32 v1, v1, v21, vcc_lo
	v_cmp_o_f32_e32 vcc_lo, v11, v11
	v_cndmask_b32_e32 v12, 0x7fc00000, v1, vcc_lo
.LBB68_122:                             ;   in Loop: Header=BB68_4 Depth=1
	s_or_b32 exec_lo, exec_lo, s28
                                        ; implicit-def: $vgpr1
	s_and_not1_saveexec_b32 s2, s27
	s_cbranch_execnz .LBB68_124
	s_branch .LBB68_125
.LBB68_123:                             ;   in Loop: Header=BB68_4 Depth=1
	s_and_not1_saveexec_b32 s2, s27
	s_cbranch_execz .LBB68_125
.LBB68_124:                             ;   in Loop: Header=BB68_4 Depth=1
	v_dual_max_num_f32 v11, 2.0, v1 :: v_dual_min_num_f32 v1, 2.0, v1
	v_cmp_lt_f32_e64 vcc_lo, |v2|, 2.0
	s_delay_alu instid0(VALU_DEP_2) | instskip(SKIP_1) | instid1(VALU_DEP_4)
	v_frexp_mant_f32_e32 v12, v11
	v_frexp_exp_i32_f32_e32 v11, v11
	v_frexp_mant_f32_e32 v13, v1
	v_frexp_exp_i32_f32_e32 v1, v1
	s_delay_alu instid0(VALU_DEP_4) | instskip(NEXT) | instid1(VALU_DEP_1)
	v_rcp_f32_e32 v12, v12
	v_sub_nc_u32_e32 v1, v1, v11
	s_delay_alu instid0(TRANS32_DEP_1) | instskip(NEXT) | instid1(VALU_DEP_1)
	v_mul_f32_e32 v12, v13, v12
	v_ldexp_f32 v1, v12, v1
	s_delay_alu instid0(VALU_DEP_1) | instskip(NEXT) | instid1(VALU_DEP_1)
	v_mul_f32_e32 v11, v1, v1
	v_fmaak_f32 v12, s20, v11, 0xbc7a590c
	s_delay_alu instid0(VALU_DEP_1) | instskip(NEXT) | instid1(VALU_DEP_1)
	v_fmaak_f32 v12, v11, v12, 0x3d29fb3f
	v_fmaak_f32 v12, v11, v12, 0xbd97d4d7
	s_delay_alu instid0(VALU_DEP_1) | instskip(NEXT) | instid1(VALU_DEP_1)
	v_fmaak_f32 v12, v11, v12, 0x3dd931b2
	;; [unrolled: 3-line block ×3, first 2 shown]
	v_fmaak_f32 v12, v11, v12, 0xbeaaaa62
	s_delay_alu instid0(VALU_DEP_1) | instskip(NEXT) | instid1(VALU_DEP_1)
	v_mul_f32_e32 v11, v11, v12
	v_fmac_f32_e32 v1, v1, v11
	s_delay_alu instid0(VALU_DEP_1) | instskip(NEXT) | instid1(VALU_DEP_1)
	v_sub_f32_e32 v11, 0x3fc90fdb, v1
	v_cndmask_b32_e32 v1, v1, v11, vcc_lo
	v_cmp_lg_f32_e32 vcc_lo, 0, v2
	s_delay_alu instid0(VALU_DEP_2) | instskip(NEXT) | instid1(VALU_DEP_1)
	v_sub_f32_e32 v11, 0x40490fdb, v1
	v_cndmask_b32_e32 v1, v1, v11, vcc_lo
	s_delay_alu instid0(VALU_DEP_1)
	v_and_b32_e32 v12, 0x7fffffff, v1
.LBB68_125:                             ;   in Loop: Header=BB68_4 Depth=1
	s_or_b32 exec_lo, exec_lo, s2
	s_delay_alu instid0(VALU_DEP_1) | instskip(SKIP_1) | instid1(VALU_DEP_2)
	v_mul_f32_e32 v1, 0.5, v12
	v_bfi_b32 v11, 0x7fffffff, v10, v3
	v_bfi_b32 v10, 0x7fffffff, v1, v2
.LBB68_126:                             ;   in Loop: Header=BB68_4 Depth=1
	s_and_not1_saveexec_b32 s2, s26
	s_cbranch_execz .LBB68_128
; %bb.127:                              ;   in Loop: Header=BB68_4 Depth=1
	flat_store_b32 v[18:19], v31 scope:SCOPE_SYS
	s_wait_storecnt 0x0
	flat_load_b32 v1, v[18:19] scope:SCOPE_SYS
	s_wait_loadcnt 0x0
	v_dual_mov_b32 v10, v2 :: v_dual_mov_b32 v11, v3
	s_wait_dscnt 0x0
	v_add_f32_e32 v1, 1.0, v1
	flat_store_b32 v[22:23], v1 scope:SCOPE_SYS
	s_wait_storecnt 0x0
	flat_load_b32 v1, v[22:23] scope:SCOPE_SYS
	s_wait_loadcnt 0x0
.LBB68_128:                             ;   in Loop: Header=BB68_4 Depth=1
	s_wait_xcnt 0x0
	s_or_b32 exec_lo, exec_lo, s2
.LBB68_129:                             ;   in Loop: Header=BB68_4 Depth=1
	s_and_not1_saveexec_b32 s2, s25
	s_cbranch_execz .LBB68_143
; %bb.130:                              ;   in Loop: Header=BB68_4 Depth=1
	s_wait_dscnt 0x0
	v_and_b32_e32 v1, 0x7f800000, v3
	v_and_b32_e32 v10, 0x7f800000, v2
	v_cmp_neq_f32_e64 s25, 0x7f800000, |v3|
	s_delay_alu instid0(VALU_DEP_2) | instskip(NEXT) | instid1(VALU_DEP_1)
	v_sub_nc_u32_e32 v11, v1, v10
	v_cmp_gt_i32_e32 vcc_lo, 0x6800000, v11
                                        ; implicit-def: $vgpr11
	s_and_b32 s25, s25, vcc_lo
	s_delay_alu instid0(SALU_CYCLE_1) | instskip(NEXT) | instid1(SALU_CYCLE_1)
	s_and_saveexec_b32 s26, s25
	s_xor_b32 s25, exec_lo, s26
	s_cbranch_execz .LBB68_140
; %bb.131:                              ;   in Loop: Header=BB68_4 Depth=1
	v_sub_nc_u32_e32 v10, v10, v1
	s_mov_b32 s26, exec_lo
                                        ; implicit-def: $vgpr11
	s_delay_alu instid0(VALU_DEP_1)
	v_cmpx_gt_i32_e32 0x6800000, v10
	s_xor_b32 s26, exec_lo, s26
	s_cbranch_execz .LBB68_137
; %bb.132:                              ;   in Loop: Header=BB68_4 Depth=1
	s_mov_b32 s27, exec_lo
                                        ; implicit-def: $vgpr11
	v_cmpx_lt_u32_e32 0x59000000, v1
	s_xor_b32 s27, exec_lo, s27
	s_cbranch_execz .LBB68_134
; %bb.133:                              ;   in Loop: Header=BB68_4 Depth=1
	v_sub_nc_u32_e32 v10, 0x7f800000, v1
	s_delay_alu instid0(VALU_DEP_1) | instskip(NEXT) | instid1(VALU_DEP_1)
	v_pk_mul_f32 v[12:13], v[2:3], v[10:11] op_sel_hi:[1,0]
	v_pk_mul_f32 v[34:35], v[12:13], v[12:13]
	s_delay_alu instid0(VALU_DEP_1) | instskip(NEXT) | instid1(VALU_DEP_1)
	v_add_f32_e32 v1, v35, v34
	v_div_scale_f32 v11, null, v1, v1, v13
	s_delay_alu instid0(VALU_DEP_1) | instskip(SKIP_1) | instid1(TRANS32_DEP_1)
	v_rcp_f32_e32 v12, v11
	v_nop
	v_fma_f32 v21, -v11, v12, 1.0
	s_delay_alu instid0(VALU_DEP_1) | instskip(SKIP_1) | instid1(VALU_DEP_1)
	v_fmac_f32_e32 v12, v21, v12
	v_div_scale_f32 v21, vcc_lo, v13, v1, v13
	v_mul_f32_e32 v25, v21, v12
	s_delay_alu instid0(VALU_DEP_1) | instskip(NEXT) | instid1(VALU_DEP_1)
	v_fma_f32 v33, -v11, v25, v21
	v_fmac_f32_e32 v25, v33, v12
	s_delay_alu instid0(VALU_DEP_1) | instskip(NEXT) | instid1(VALU_DEP_1)
	v_fma_f32 v11, -v11, v25, v21
	v_div_fmas_f32 v11, v11, v12, v25
	s_delay_alu instid0(VALU_DEP_1) | instskip(NEXT) | instid1(VALU_DEP_1)
	v_div_fixup_f32 v1, v11, v1, v13
	v_mul_f32_e32 v11, v1, v10
.LBB68_134:                             ;   in Loop: Header=BB68_4 Depth=1
	s_and_not1_saveexec_b32 s27, s27
	s_cbranch_execz .LBB68_136
; %bb.135:                              ;   in Loop: Header=BB68_4 Depth=1
	v_pk_mul_f32 v[10:11], v[2:3], v[2:3]
	s_delay_alu instid0(VALU_DEP_1) | instskip(NEXT) | instid1(VALU_DEP_1)
	v_add_f32_e32 v1, v10, v11
	v_div_scale_f32 v10, null, v1, v1, v3
	s_delay_alu instid0(VALU_DEP_1) | instskip(SKIP_1) | instid1(TRANS32_DEP_1)
	v_rcp_f32_e32 v11, v10
	v_nop
	v_fma_f32 v12, -v10, v11, 1.0
	s_delay_alu instid0(VALU_DEP_1) | instskip(SKIP_1) | instid1(VALU_DEP_1)
	v_fmac_f32_e32 v11, v12, v11
	v_div_scale_f32 v12, vcc_lo, v3, v1, v3
	v_mul_f32_e32 v13, v12, v11
	s_delay_alu instid0(VALU_DEP_1) | instskip(NEXT) | instid1(VALU_DEP_1)
	v_fma_f32 v21, -v10, v13, v12
	v_fmac_f32_e32 v13, v21, v11
	s_delay_alu instid0(VALU_DEP_1) | instskip(NEXT) | instid1(VALU_DEP_1)
	v_fma_f32 v10, -v10, v13, v12
	v_div_fmas_f32 v10, v10, v11, v13
	s_delay_alu instid0(VALU_DEP_1)
	v_div_fixup_f32 v11, v10, v1, v3
.LBB68_136:                             ;   in Loop: Header=BB68_4 Depth=1
	s_or_b32 exec_lo, exec_lo, s27
.LBB68_137:                             ;   in Loop: Header=BB68_4 Depth=1
	s_and_not1_saveexec_b32 s26, s26
	s_cbranch_execz .LBB68_139
; %bb.138:                              ;   in Loop: Header=BB68_4 Depth=1
	v_div_scale_f32 v1, null, v2, v2, v3
	v_div_scale_f32 v12, vcc_lo, v3, v2, v3
	s_delay_alu instid0(VALU_DEP_2) | instskip(SKIP_1) | instid1(TRANS32_DEP_1)
	v_rcp_f32_e32 v10, v1
	v_nop
	v_fma_f32 v11, -v1, v10, 1.0
	s_delay_alu instid0(VALU_DEP_1) | instskip(NEXT) | instid1(VALU_DEP_1)
	v_fmac_f32_e32 v10, v11, v10
	v_mul_f32_e32 v11, v12, v10
	s_delay_alu instid0(VALU_DEP_1) | instskip(NEXT) | instid1(VALU_DEP_1)
	v_fma_f32 v13, -v1, v11, v12
	v_fmac_f32_e32 v11, v13, v10
	s_delay_alu instid0(VALU_DEP_1) | instskip(NEXT) | instid1(VALU_DEP_1)
	v_fma_f32 v1, -v1, v11, v12
	v_div_fmas_f32 v1, v1, v10, v11
	s_delay_alu instid0(VALU_DEP_1) | instskip(NEXT) | instid1(VALU_DEP_1)
	v_div_fixup_f32 v1, v1, v2, v3
	v_div_scale_f32 v10, null, v2, v2, v1
	s_delay_alu instid0(VALU_DEP_1) | instskip(SKIP_1) | instid1(TRANS32_DEP_1)
	v_rcp_f32_e32 v11, v10
	v_nop
	v_fma_f32 v12, -v10, v11, 1.0
	s_delay_alu instid0(VALU_DEP_1) | instskip(SKIP_1) | instid1(VALU_DEP_1)
	v_fmac_f32_e32 v11, v12, v11
	v_div_scale_f32 v12, vcc_lo, v1, v2, v1
	v_mul_f32_e32 v13, v12, v11
	s_delay_alu instid0(VALU_DEP_1) | instskip(NEXT) | instid1(VALU_DEP_1)
	v_fma_f32 v21, -v10, v13, v12
	v_fmac_f32_e32 v13, v21, v11
	s_delay_alu instid0(VALU_DEP_1) | instskip(NEXT) | instid1(VALU_DEP_1)
	v_fma_f32 v10, -v10, v13, v12
	v_div_fmas_f32 v10, v10, v11, v13
	s_delay_alu instid0(VALU_DEP_1)
	v_div_fixup_f32 v11, v10, v2, v1
.LBB68_139:                             ;   in Loop: Header=BB68_4 Depth=1
	s_or_b32 exec_lo, exec_lo, s26
.LBB68_140:                             ;   in Loop: Header=BB68_4 Depth=1
	s_and_not1_saveexec_b32 s25, s25
	s_cbranch_execz .LBB68_142
; %bb.141:                              ;   in Loop: Header=BB68_4 Depth=1
	v_div_scale_f32 v1, null, v3, v3, 1.0
	s_delay_alu instid0(VALU_DEP_1) | instskip(SKIP_1) | instid1(TRANS32_DEP_1)
	v_rcp_f32_e32 v10, v1
	v_nop
	v_fma_f32 v11, -v1, v10, 1.0
	s_delay_alu instid0(VALU_DEP_1) | instskip(SKIP_1) | instid1(VALU_DEP_1)
	v_fmac_f32_e32 v10, v11, v10
	v_div_scale_f32 v11, vcc_lo, 1.0, v3, 1.0
	v_mul_f32_e32 v12, v11, v10
	s_delay_alu instid0(VALU_DEP_1) | instskip(NEXT) | instid1(VALU_DEP_1)
	v_fma_f32 v13, -v1, v12, v11
	v_fmac_f32_e32 v12, v13, v10
	s_delay_alu instid0(VALU_DEP_1) | instskip(NEXT) | instid1(VALU_DEP_1)
	v_fma_f32 v1, -v1, v12, v11
	v_div_fmas_f32 v1, v1, v10, v12
	s_delay_alu instid0(VALU_DEP_1)
	v_div_fixup_f32 v11, v1, v3, 1.0
.LBB68_142:                             ;   in Loop: Header=BB68_4 Depth=1
	s_or_b32 exec_lo, exec_lo, s25
	flat_load_b32 v1, v[16:17] scope:SCOPE_SYS
	s_wait_loadcnt_dscnt 0x0
	v_add_f32_e32 v1, 0x3fc90fdb, v1
	s_delay_alu instid0(VALU_DEP_1)
	v_bfi_b32 v10, 0x7fffffff, v1, v2
.LBB68_143:                             ;   in Loop: Header=BB68_4 Depth=1
	s_or_b32 exec_lo, exec_lo, s2
.LBB68_144:                             ;   in Loop: Header=BB68_4 Depth=1
	s_and_not1_saveexec_b32 s2, s24
	s_cbranch_execz .LBB68_154
; %bb.145:                              ;   in Loop: Header=BB68_4 Depth=1
	v_cmp_neq_f32_e64 s24, 0x7f800000, |v3|
                                        ; implicit-def: $vgpr11
	s_and_saveexec_b32 s25, s24
	s_delay_alu instid0(SALU_CYCLE_1)
	s_xor_b32 s24, exec_lo, s25
	s_cbranch_execz .LBB68_151
; %bb.146:                              ;   in Loop: Header=BB68_4 Depth=1
	v_cmp_neq_f32_e64 s25, 0x7f800000, |v2|
                                        ; implicit-def: $vgpr11
	s_and_saveexec_b32 s26, s25
	s_delay_alu instid0(SALU_CYCLE_1)
	s_xor_b32 s25, exec_lo, s26
	s_cbranch_execz .LBB68_148
; %bb.147:                              ;   in Loop: Header=BB68_4 Depth=1
	s_wait_dscnt 0x0
	v_add_f32_e32 v1, 0, v2
	s_delay_alu instid0(VALU_DEP_1)
	v_add_f32_e32 v11, v1, v3
.LBB68_148:                             ;   in Loop: Header=BB68_4 Depth=1
	s_or_saveexec_b32 s25, s25
	s_delay_alu instid0(VALU_DEP_1)
	v_mov_b32_e32 v10, v11
	s_xor_b32 exec_lo, exec_lo, s25
	s_cbranch_execz .LBB68_150
; %bb.149:                              ;   in Loop: Header=BB68_4 Depth=1
	s_wait_dscnt 0x0
	flat_load_b32 v1, v[16:17] scope:SCOPE_SYS
	s_wait_loadcnt 0x0
	v_bfi_b32 v11, 0x7fffffff, 0, v3
	s_wait_dscnt 0x0
	v_add_f32_e32 v1, 0x3fc90fdb, v1
	s_delay_alu instid0(VALU_DEP_1)
	v_bfi_b32 v10, 0x7fffffff, v1, v2
.LBB68_150:                             ;   in Loop: Header=BB68_4 Depth=1
	s_wait_xcnt 0x0
	s_or_b32 exec_lo, exec_lo, s25
.LBB68_151:                             ;   in Loop: Header=BB68_4 Depth=1
	s_and_not1_saveexec_b32 s24, s24
; %bb.152:                              ;   in Loop: Header=BB68_4 Depth=1
	v_bfi_b32 v11, 0x7fffffff, 0, v3
	v_add_f32_e32 v10, v2, v2
; %bb.153:                              ;   in Loop: Header=BB68_4 Depth=1
	s_or_b32 exec_lo, exec_lo, s24
.LBB68_154:                             ;   in Loop: Header=BB68_4 Depth=1
	s_delay_alu instid0(SALU_CYCLE_1)
	s_or_b32 exec_lo, exec_lo, s2
.LBB68_155:                             ;   in Loop: Header=BB68_4 Depth=1
	s_and_not1_saveexec_b32 s2, s23
	s_cbranch_execz .LBB68_157
; %bb.156:                              ;   in Loop: Header=BB68_4 Depth=1
	s_wait_dscnt 0x0
	v_rcp_f32_e64 v1, |v2|
	v_cmp_gt_f32_e64 vcc_lo, |v2|, 1.0
	s_delay_alu instid0(TRANS32_DEP_1) | instid1(VALU_DEP_1)
	v_cndmask_b32_e64 v1, |v2|, v1, vcc_lo
	s_delay_alu instid0(VALU_DEP_1) | instskip(NEXT) | instid1(VALU_DEP_1)
	v_mul_f32_e32 v10, v1, v1
	v_fmaak_f32 v11, s20, v10, 0xbc7a590c
	s_delay_alu instid0(VALU_DEP_1) | instskip(NEXT) | instid1(VALU_DEP_1)
	v_fmaak_f32 v11, v10, v11, 0x3d29fb3f
	v_fmaak_f32 v11, v10, v11, 0xbd97d4d7
	s_delay_alu instid0(VALU_DEP_1) | instskip(NEXT) | instid1(VALU_DEP_1)
	v_fmaak_f32 v11, v10, v11, 0x3dd931b2
	;; [unrolled: 3-line block ×3, first 2 shown]
	v_fmaak_f32 v11, v10, v11, 0xbeaaaa62
	s_delay_alu instid0(VALU_DEP_1) | instskip(NEXT) | instid1(VALU_DEP_1)
	v_dual_mul_f32 v10, v10, v11 :: v_dual_mov_b32 v11, v3
	v_fmac_f32_e32 v1, v1, v10
	s_delay_alu instid0(VALU_DEP_1) | instskip(NEXT) | instid1(VALU_DEP_1)
	v_sub_f32_e32 v10, 0x3fc90fdb, v1
	v_cndmask_b32_e32 v1, v1, v10, vcc_lo
	s_delay_alu instid0(VALU_DEP_1)
	v_bfi_b32 v10, 0x7fffffff, v1, v2
.LBB68_157:                             ;   in Loop: Header=BB68_4 Depth=1
	s_or_b32 exec_lo, exec_lo, s2
.LBB68_158:                             ;   in Loop: Header=BB68_4 Depth=1
	s_and_not1_saveexec_b32 s2, s22
	s_cbranch_execz .LBB68_160
; %bb.159:                              ;   in Loop: Header=BB68_4 Depth=1
	s_wait_dscnt 0x0
	v_sub_f32_e64 v1, 1.0, |v3|
	v_add_f32_e64 v10, |v3|, 1.0
	v_and_b32_e32 v34, 0x7fffffff, v3
	v_cmp_gt_f32_e64 s22, 0x39800000, |v3|
	s_delay_alu instid0(VALU_DEP_4) | instskip(SKIP_1) | instid1(TRANS32_DEP_1)
	v_rcp_f32_e32 v25, v1
	v_nop
	v_mul_f32_e32 v33, v10, v25
	s_delay_alu instid0(VALU_DEP_1) | instskip(NEXT) | instid1(VALU_DEP_1)
	v_mul_f32_e32 v11, v1, v33
	v_dual_sub_f32 v12, 1.0, v1 :: v_dual_fma_f32 v21, v33, v1, -v11
	s_delay_alu instid0(VALU_DEP_1) | instskip(NEXT) | instid1(VALU_DEP_1)
	v_sub_f32_e64 v12, v12, |v3|
	v_fmac_f32_e32 v21, v33, v12
	s_delay_alu instid0(VALU_DEP_1) | instskip(NEXT) | instid1(VALU_DEP_1)
	v_pk_add_f32 v[12:13], v[10:11], v[20:21]
	v_dual_sub_f32 v1, v10, v13 :: v_dual_sub_f32 v11, v13, v11
	s_delay_alu instid0(VALU_DEP_1) | instskip(NEXT) | instid1(VALU_DEP_2)
	v_sub_f32_e32 v21, v11, v21
	v_sub_f32_e32 v35, v10, v1
	s_delay_alu instid0(VALU_DEP_1) | instskip(NEXT) | instid1(VALU_DEP_1)
	v_pk_add_f32 v[10:11], v[34:35], v[12:13] neg_lo:[0,1] neg_hi:[0,1]
	v_add_f32_e32 v11, v21, v11
	s_delay_alu instid0(VALU_DEP_1) | instskip(NEXT) | instid1(VALU_DEP_1)
	v_add_f32_e32 v10, v10, v11
	v_add_f32_e32 v1, v1, v10
	s_delay_alu instid0(VALU_DEP_1) | instskip(NEXT) | instid1(VALU_DEP_1)
	v_mul_f32_e32 v1, v25, v1
	v_add_f32_e32 v12, v33, v1
	s_delay_alu instid0(VALU_DEP_1) | instskip(NEXT) | instid1(VALU_DEP_1)
	v_cvt_f64_f32_e32 v[10:11], v12
	v_frexp_exp_i32_f64_e32 v10, v[10:11]
	v_frexp_mant_f32_e32 v11, v12
	s_delay_alu instid0(VALU_DEP_1) | instskip(NEXT) | instid1(VALU_DEP_3)
	v_cmp_gt_f32_e32 vcc_lo, 0x3f2aaaab, v11
	v_subrev_co_ci_u32_e64 v21, null, 0, v10, vcc_lo
	v_cmp_neq_f32_e64 vcc_lo, |v3|, 1.0
	s_delay_alu instid0(VALU_DEP_2) | instskip(NEXT) | instid1(VALU_DEP_1)
	v_sub_nc_u32_e32 v10, 0, v21
	v_ldexp_f32 v11, v12, v10
	s_delay_alu instid0(VALU_DEP_1) | instskip(SKIP_1) | instid1(VALU_DEP_1)
	v_dual_add_f32 v13, 1.0, v11 :: v_dual_add_f32 v25, -1.0, v11
	v_sub_f32_e32 v12, v12, v33
	v_dual_sub_f32 v1, v1, v12 :: v_dual_add_f32 v12, -1.0, v13
	s_delay_alu instid0(VALU_DEP_1) | instskip(NEXT) | instid1(VALU_DEP_2)
	v_ldexp_f32 v1, v1, v10
	v_dual_sub_f32 v10, v11, v12 :: v_dual_add_f32 v12, 1.0, v25
	s_delay_alu instid0(VALU_DEP_1) | instskip(NEXT) | instid1(VALU_DEP_1)
	v_add_f32_e32 v10, v1, v10
	v_dual_add_f32 v33, v13, v10 :: v_dual_sub_f32 v11, v11, v12
	s_delay_alu instid0(VALU_DEP_1) | instskip(SKIP_1) | instid1(VALU_DEP_1)
	v_sub_f32_e32 v13, v33, v13
	v_rcp_f32_e32 v36, v33
	v_dual_add_f32 v1, v1, v11 :: v_dual_sub_f32 v38, v10, v13
	s_delay_alu instid0(VALU_DEP_1)
	v_add_f32_e32 v11, v25, v1
	s_delay_alu instid0(TRANS32_DEP_1) | instid1(VALU_DEP_1)
	v_mul_f32_e32 v37, v11, v36
	s_delay_alu instid0(VALU_DEP_1) | instskip(NEXT) | instid1(VALU_DEP_1)
	v_mul_f32_e32 v12, v33, v37
	v_fma_f32 v34, v37, v33, -v12
	s_delay_alu instid0(VALU_DEP_1) | instskip(NEXT) | instid1(VALU_DEP_1)
	v_fmac_f32_e32 v34, v37, v38
	v_dual_add_f32 v10, v12, v34 :: v_dual_sub_f32 v25, v11, v25
	s_delay_alu instid0(VALU_DEP_1) | instskip(NEXT) | instid1(VALU_DEP_2)
	v_dual_sub_f32 v13, v11, v10 :: v_dual_mov_b32 v35, v10
	v_sub_f32_e32 v1, v1, v25
	s_delay_alu instid0(VALU_DEP_2) | instskip(NEXT) | instid1(VALU_DEP_1)
	v_pk_add_f32 v[10:11], v[10:11], v[12:13] neg_lo:[0,1] neg_hi:[0,1]
	v_pk_add_f32 v[10:11], v[10:11], v[34:35] neg_lo:[0,1] neg_hi:[0,1]
	s_delay_alu instid0(VALU_DEP_1) | instskip(NEXT) | instid1(VALU_DEP_1)
	v_add_f32_e32 v1, v1, v11
	v_add_f32_e32 v1, v10, v1
	s_delay_alu instid0(VALU_DEP_1) | instskip(NEXT) | instid1(VALU_DEP_1)
	v_add_f32_e32 v11, v13, v1
	v_mul_f32_e32 v25, v36, v11
	s_delay_alu instid0(VALU_DEP_1) | instskip(NEXT) | instid1(VALU_DEP_1)
	v_mul_f32_e32 v34, v33, v25
	v_fma_f32 v12, v25, v33, -v34
	v_sub_f32_e32 v33, v13, v11
	s_delay_alu instid0(VALU_DEP_2) | instskip(NEXT) | instid1(VALU_DEP_2)
	v_fmac_f32_e32 v12, v25, v38
	v_add_f32_e32 v1, v1, v33
	s_delay_alu instid0(VALU_DEP_2) | instskip(NEXT) | instid1(VALU_DEP_1)
	v_dual_add_f32 v33, v37, v25 :: v_dual_add_f32 v10, v34, v12
	v_dual_mov_b32 v13, v10 :: v_dual_sub_f32 v35, v11, v10
	s_delay_alu instid0(VALU_DEP_1) | instskip(NEXT) | instid1(VALU_DEP_1)
	v_pk_add_f32 v[10:11], v[10:11], v[34:35] neg_lo:[0,1] neg_hi:[0,1]
	v_pk_add_f32 v[10:11], v[10:11], v[12:13] neg_lo:[0,1] neg_hi:[0,1]
	s_delay_alu instid0(VALU_DEP_1) | instskip(NEXT) | instid1(VALU_DEP_1)
	v_add_f32_e32 v1, v1, v11
	v_add_f32_e32 v1, v10, v1
	v_sub_f32_e32 v10, v33, v37
	s_delay_alu instid0(VALU_DEP_1) | instskip(NEXT) | instid1(VALU_DEP_1)
	v_dual_add_f32 v1, v35, v1 :: v_dual_sub_f32 v10, v25, v10
	v_mul_f32_e32 v1, v36, v1
	s_delay_alu instid0(VALU_DEP_1) | instskip(SKIP_1) | instid1(VALU_DEP_2)
	v_add_f32_e32 v1, v10, v1
	v_cvt_f32_i32_e32 v10, v21
	v_add_f32_e32 v36, v33, v1
	s_delay_alu instid0(VALU_DEP_1) | instskip(SKIP_1) | instid1(VALU_DEP_2)
	v_mul_f32_e32 v12, v36, v36
	v_ldexp_f32 v35, v36, 1
	v_fmaak_f32 v13, s19, v12, 0x3ecc95a3
	v_mul_f32_e32 v11, v36, v12
	s_delay_alu instid0(VALU_DEP_2) | instskip(NEXT) | instid1(VALU_DEP_1)
	v_fmaak_f32 v25, v12, v13, 0x3f2aaada
	v_pk_mul_f32 v[12:13], v[10:11], v[24:25]
	s_delay_alu instid0(VALU_DEP_1) | instskip(NEXT) | instid1(VALU_DEP_1)
	v_fma_f32 v34, 0x3f317218, v10, -v12
	v_fmac_f32_e32 v34, 0xb102e308, v10
	s_delay_alu instid0(VALU_DEP_1) | instskip(NEXT) | instid1(VALU_DEP_1)
	v_pk_add_f32 v[10:11], v[12:13], v[34:35]
	v_dual_mov_b32 v44, v11 :: v_dual_sub_f32 v21, v36, v33
	s_delay_alu instid0(VALU_DEP_1) | instskip(NEXT) | instid1(VALU_DEP_3)
	v_dual_mov_b32 v36, v12 :: v_dual_sub_f32 v1, v1, v21
	v_dual_sub_f32 v21, v11, v35 :: v_dual_mov_b32 v35, v10
	s_delay_alu instid0(VALU_DEP_2) | instskip(NEXT) | instid1(VALU_DEP_2)
	v_ldexp_f32 v1, v1, 1
	v_sub_f32_e32 v21, v13, v21
	v_pk_add_f32 v[12:13], v[10:11], v[12:13] neg_lo:[0,1] neg_hi:[0,1]
	s_delay_alu instid0(VALU_DEP_2) | instskip(NEXT) | instid1(VALU_DEP_1)
	v_add_f32_e32 v37, v1, v21
	v_pk_add_f32 v[38:39], v[10:11], v[36:37]
	s_delay_alu instid0(VALU_DEP_1) | instskip(NEXT) | instid1(VALU_DEP_1)
	v_mov_b32_e32 v13, v39
	v_pk_add_f32 v[40:41], v[34:35], v[12:13]
	v_mov_b32_e32 v40, v39
	v_pk_add_f32 v[12:13], v[34:35], v[12:13] neg_lo:[0,1] neg_hi:[0,1]
	s_delay_alu instid0(VALU_DEP_3) | instskip(NEXT) | instid1(VALU_DEP_1)
	v_dual_mov_b32 v36, v41 :: v_dual_mov_b32 v13, v41
	v_pk_add_f32 v[42:43], v[36:37], v[10:11] neg_lo:[0,1] neg_hi:[0,1]
	s_delay_alu instid0(VALU_DEP_1) | instskip(SKIP_1) | instid1(VALU_DEP_2)
	v_dual_mov_b32 v11, v10 :: v_dual_mov_b32 v45, v42
	v_dual_mov_b32 v1, v42 :: v_dual_mov_b32 v10, v37
	v_pk_add_f32 v[34:35], v[40:41], v[44:45] neg_lo:[0,1] neg_hi:[0,1]
	s_delay_alu instid0(VALU_DEP_2) | instskip(SKIP_1) | instid1(VALU_DEP_3)
	v_pk_add_f32 v[38:39], v[38:39], v[0:1] neg_lo:[0,1] neg_hi:[0,1]
	v_mov_b32_e32 v38, v12
	v_pk_add_f32 v[10:11], v[10:11], v[34:35] neg_lo:[0,1] neg_hi:[0,1]
	s_delay_alu instid0(VALU_DEP_1) | instskip(NEXT) | instid1(VALU_DEP_1)
	v_pk_add_f32 v[34:35], v[38:39], v[10:11]
	v_mov_b32_e32 v38, v35
	s_delay_alu instid0(VALU_DEP_1) | instskip(NEXT) | instid1(VALU_DEP_1)
	v_pk_add_f32 v[38:39], v[34:35], v[38:39]
	v_pk_add_f32 v[36:37], v[36:37], v[38:39]
	s_delay_alu instid0(VALU_DEP_1) | instskip(NEXT) | instid1(VALU_DEP_1)
	v_dual_mov_b32 v11, v38 :: v_dual_mov_b32 v35, v36
	v_pk_add_f32 v[40:41], v[34:35], v[12:13] neg_lo:[0,1] neg_hi:[0,1]
	s_delay_alu instid0(VALU_DEP_1) | instskip(NEXT) | instid1(VALU_DEP_2)
	v_sub_f32_e32 v1, v34, v40
	v_pk_add_f32 v[10:11], v[10:11], v[40:41] neg_lo:[0,1] neg_hi:[0,1]
	s_delay_alu instid0(VALU_DEP_2) | instskip(NEXT) | instid1(VALU_DEP_1)
	v_sub_f32_e32 v1, v12, v1
	v_add_f32_e32 v1, v10, v1
	s_delay_alu instid0(VALU_DEP_1) | instskip(NEXT) | instid1(VALU_DEP_1)
	v_dual_mov_b32 v10, v2 :: v_dual_add_f32 v1, v1, v11
	v_add_f32_e32 v1, v36, v1
	s_delay_alu instid0(VALU_DEP_1) | instskip(NEXT) | instid1(VALU_DEP_1)
	v_mul_f32_e32 v1, 0.5, v1
	v_cndmask_b32_e64 v1, v1, |v3|, s22
	s_delay_alu instid0(VALU_DEP_1) | instskip(NEXT) | instid1(VALU_DEP_1)
	v_cndmask_b32_e32 v1, 0x7f800000, v1, vcc_lo
	v_bfi_b32 v11, 0x7fffffff, v1, v3
.LBB68_160:                             ;   in Loop: Header=BB68_4 Depth=1
	s_or_b32 exec_lo, exec_lo, s2
	v_cmp_neq_f32_e32 vcc_lo, 0, v4
	v_cmp_nle_f32_e64 s2, |v5|, 1.0
	flat_store_b32 v[16:17], v30 scope:SCOPE_SYS
	s_wait_storecnt 0x0
	s_or_b32 s2, vcc_lo, s2
	s_wait_xcnt 0x0
	s_and_saveexec_b32 s22, s2
	s_delay_alu instid0(SALU_CYCLE_1)
	s_xor_b32 s22, exec_lo, s22
	s_cbranch_execz .LBB68_210
; %bb.161:                              ;   in Loop: Header=BB68_4 Depth=1
	s_mov_b32 s2, exec_lo
	v_cmpx_neq_f32_e32 0, v5
	s_xor_b32 s23, exec_lo, s2
	s_cbranch_execz .LBB68_207
; %bb.162:                              ;   in Loop: Header=BB68_4 Depth=1
	s_mov_b32 s2, exec_lo
	v_cmpx_o_f32_e32 v5, v4
	s_xor_b32 s24, exec_lo, s2
	s_cbranch_execz .LBB68_196
; %bb.163:                              ;   in Loop: Header=BB68_4 Depth=1
	v_max_num_f32_e64 v2, |v5|, |v5|
	s_wait_dscnt 0x1
	v_max_num_f32_e64 v1, |v4|, |v4|
	s_mov_b32 s2, exec_lo
	s_delay_alu instid0(VALU_DEP_1) | instskip(NEXT) | instid1(VALU_DEP_1)
	v_max_num_f32_e32 v2, v1, v2
	v_cmpx_nlt_f32_e32 0x4b000000, v2
	s_xor_b32 s25, exec_lo, s2
	s_cbranch_execz .LBB68_181
; %bb.164:                              ;   in Loop: Header=BB68_4 Depth=1
	v_cmp_ngt_f32_e64 s2, 0x399cc471, |v5|
	v_cmp_ngt_f32_e64 s26, 0x399cc471, |v4|
	s_or_b32 s2, s26, s2
	s_delay_alu instid0(SALU_CYCLE_1) | instskip(NEXT) | instid1(SALU_CYCLE_1)
	s_and_saveexec_b32 s26, s2
	s_xor_b32 s26, exec_lo, s26
	s_cbranch_execz .LBB68_178
; %bb.165:                              ;   in Loop: Header=BB68_4 Depth=1
	v_cmp_neq_f32_e64 s27, |v5|, 1.0
	v_cmp_ngt_f32_e64 s2, 0x34000000, |v4|
                                        ; implicit-def: $vgpr2
	s_or_b32 s28, s2, s27
	s_delay_alu instid0(SALU_CYCLE_1) | instskip(NEXT) | instid1(SALU_CYCLE_1)
	s_and_saveexec_b32 s29, s28
	s_xor_b32 s28, exec_lo, s29
	s_cbranch_execz .LBB68_167
; %bb.166:                              ;   in Loop: Header=BB68_4 Depth=1
	v_add_f32_e64 v3, |v5|, -1.0
	v_mov_b32_e32 v2, v4
	v_cmp_gt_f32_e64 vcc_lo, 0x20000000, |v4|
	v_mul_f32_e64 v12, |v5|, 4.0
	s_delay_alu instid0(VALU_DEP_3) | instskip(NEXT) | instid1(VALU_DEP_1)
	v_pk_mul_f32 v[2:3], v[2:3], v[2:3]
	v_add_f32_e32 v2, v2, v3
	s_delay_alu instid0(VALU_DEP_1) | instskip(NEXT) | instid1(VALU_DEP_1)
	v_cndmask_b32_e32 v2, v2, v3, vcc_lo
	v_div_scale_f32 v3, null, v2, v2, v12
	v_div_scale_f32 v25, vcc_lo, v12, v2, v12
	s_delay_alu instid0(VALU_DEP_2) | instskip(SKIP_1) | instid1(TRANS32_DEP_1)
	v_rcp_f32_e32 v13, v3
	v_nop
	v_fma_f32 v21, -v3, v13, 1.0
	s_delay_alu instid0(VALU_DEP_1) | instskip(NEXT) | instid1(VALU_DEP_1)
	v_fmac_f32_e32 v13, v21, v13
	v_mul_f32_e32 v21, v25, v13
	s_delay_alu instid0(VALU_DEP_1) | instskip(NEXT) | instid1(VALU_DEP_1)
	v_fma_f32 v33, -v3, v21, v25
	v_fmac_f32_e32 v21, v33, v13
	s_delay_alu instid0(VALU_DEP_1) | instskip(NEXT) | instid1(VALU_DEP_1)
	v_fma_f32 v3, -v3, v21, v25
	v_div_fmas_f32 v3, v3, v13, v21
	s_delay_alu instid0(VALU_DEP_1) | instskip(NEXT) | instid1(VALU_DEP_1)
	v_div_fixup_f32 v2, v3, v2, v12
	v_add_f32_e32 v13, 1.0, v2
	s_delay_alu instid0(VALU_DEP_1) | instskip(SKIP_2) | instid1(VALU_DEP_2)
	v_cvt_f64_f32_e32 v[34:35], v13
	v_frexp_mant_f32_e32 v21, v13
	v_add_f32_e32 v3, -1.0, v13
	v_cmp_gt_f32_e32 vcc_lo, 0x3f2aaaab, v21
	s_delay_alu instid0(VALU_DEP_4) | instskip(NEXT) | instid1(VALU_DEP_1)
	v_frexp_exp_i32_f64_e32 v12, v[34:35]
	v_subrev_co_ci_u32_e64 v21, null, 0, v12, vcc_lo
	s_delay_alu instid0(VALU_DEP_4) | instskip(SKIP_1) | instid1(VALU_DEP_3)
	v_mov_b32_e32 v12, v3
	v_cmp_neq_f32_e32 vcc_lo, 0x7f800000, v2
	v_sub_nc_u32_e32 v25, 0, v21
	s_delay_alu instid0(VALU_DEP_3) | instskip(NEXT) | instid1(VALU_DEP_2)
	v_pk_add_f32 v[34:35], v[2:3], v[12:13] neg_lo:[0,1] neg_hi:[0,1]
	v_ldexp_f32 v3, v13, v25
	s_delay_alu instid0(VALU_DEP_2) | instskip(NEXT) | instid1(VALU_DEP_1)
	v_add_f32_e32 v12, 1.0, v35
	v_dual_add_f32 v33, 1.0, v3 :: v_dual_add_f32 v12, v34, v12
	s_delay_alu instid0(VALU_DEP_1) | instskip(NEXT) | instid1(VALU_DEP_2)
	v_dual_add_f32 v13, -1.0, v33 :: v_dual_add_f32 v37, -1.0, v3
	v_ldexp_f32 v12, v12, v25
	s_delay_alu instid0(VALU_DEP_2) | instskip(NEXT) | instid1(VALU_DEP_3)
	v_sub_f32_e32 v13, v3, v13
	v_add_f32_e32 v25, 1.0, v37
	s_delay_alu instid0(VALU_DEP_1) | instskip(NEXT) | instid1(VALU_DEP_1)
	v_sub_f32_e32 v3, v3, v25
	v_dual_add_f32 v3, v12, v3 :: v_dual_add_f32 v35, v12, v13
	s_delay_alu instid0(VALU_DEP_1) | instskip(NEXT) | instid1(VALU_DEP_2)
	v_add_f32_e32 v13, v37, v3
	v_add_f32_e32 v25, v33, v35
	s_delay_alu instid0(VALU_DEP_2) | instskip(NEXT) | instid1(VALU_DEP_2)
	v_sub_f32_e32 v40, v13, v37
	v_rcp_f32_e32 v38, v25
	s_delay_alu instid0(VALU_DEP_1)
	v_dual_sub_f32 v12, v25, v33 :: v_dual_sub_f32 v3, v3, v40
	s_delay_alu instid0(TRANS32_DEP_1) | instid1(VALU_DEP_1)
	v_dual_sub_f32 v33, v35, v12 :: v_dual_mul_f32 v39, v13, v38
	s_delay_alu instid0(VALU_DEP_1) | instskip(NEXT) | instid1(VALU_DEP_1)
	v_mul_f32_e32 v34, v25, v39
	v_fma_f32 v36, v39, v25, -v34
	s_delay_alu instid0(VALU_DEP_1) | instskip(NEXT) | instid1(VALU_DEP_1)
	v_fmac_f32_e32 v36, v39, v33
	v_add_f32_e32 v12, v34, v36
	s_delay_alu instid0(VALU_DEP_1) | instskip(NEXT) | instid1(VALU_DEP_1)
	v_dual_sub_f32 v35, v13, v12 :: v_dual_mov_b32 v37, v12
	v_pk_add_f32 v[12:13], v[12:13], v[34:35] neg_lo:[0,1] neg_hi:[0,1]
	s_delay_alu instid0(VALU_DEP_1) | instskip(NEXT) | instid1(VALU_DEP_1)
	v_pk_add_f32 v[12:13], v[12:13], v[36:37] neg_lo:[0,1] neg_hi:[0,1]
	v_add_f32_e32 v3, v3, v13
	s_delay_alu instid0(VALU_DEP_1) | instskip(NEXT) | instid1(VALU_DEP_1)
	v_add_f32_e32 v3, v12, v3
	v_add_f32_e32 v13, v35, v3
	s_delay_alu instid0(VALU_DEP_1) | instskip(NEXT) | instid1(VALU_DEP_1)
	v_mul_f32_e32 v40, v38, v13
	v_mul_f32_e32 v36, v25, v40
	s_delay_alu instid0(VALU_DEP_1) | instskip(SKIP_1) | instid1(VALU_DEP_2)
	v_fma_f32 v34, v40, v25, -v36
	v_sub_f32_e32 v25, v35, v13
	v_dual_fmac_f32 v34, v40, v33 :: v_dual_add_f32 v33, v39, v40
	s_delay_alu instid0(VALU_DEP_1) | instskip(NEXT) | instid1(VALU_DEP_1)
	v_add_f32_e32 v12, v36, v34
	v_dual_sub_f32 v37, v13, v12 :: v_dual_mov_b32 v35, v12
	s_delay_alu instid0(VALU_DEP_4) | instskip(NEXT) | instid1(VALU_DEP_2)
	v_add_f32_e32 v3, v3, v25
	v_pk_add_f32 v[12:13], v[12:13], v[36:37] neg_lo:[0,1] neg_hi:[0,1]
	s_delay_alu instid0(VALU_DEP_1) | instskip(NEXT) | instid1(VALU_DEP_1)
	v_pk_add_f32 v[12:13], v[12:13], v[34:35] neg_lo:[0,1] neg_hi:[0,1]
	v_add_f32_e32 v3, v3, v13
	s_delay_alu instid0(VALU_DEP_1) | instskip(SKIP_1) | instid1(VALU_DEP_1)
	v_add_f32_e32 v3, v12, v3
	v_sub_f32_e32 v12, v33, v39
	v_dual_add_f32 v3, v37, v3 :: v_dual_sub_f32 v12, v40, v12
	s_delay_alu instid0(VALU_DEP_1) | instskip(NEXT) | instid1(VALU_DEP_1)
	v_mul_f32_e32 v3, v38, v3
	v_add_f32_e32 v3, v12, v3
	v_cvt_f32_i32_e32 v12, v21
	s_delay_alu instid0(VALU_DEP_2) | instskip(NEXT) | instid1(VALU_DEP_1)
	v_add_f32_e32 v38, v33, v3
	v_dual_mul_f32 v25, v38, v38 :: v_dual_sub_f32 v21, v38, v33
	s_delay_alu instid0(VALU_DEP_1) | instskip(NEXT) | instid1(VALU_DEP_2)
	v_dual_fmaak_f32 v34, s19, v25, 0x3ecc95a3 :: v_dual_mul_f32 v13, v38, v25
	v_sub_f32_e32 v3, v3, v21
	v_ldexp_f32 v37, v38, 1
	s_delay_alu instid0(VALU_DEP_3) | instskip(NEXT) | instid1(VALU_DEP_3)
	v_fmaak_f32 v25, v25, v34, 0x3f2aaada
	v_ldexp_f32 v3, v3, 1
	s_delay_alu instid0(VALU_DEP_2) | instskip(NEXT) | instid1(VALU_DEP_1)
	v_pk_mul_f32 v[34:35], v[12:13], v[24:25]
	v_fma_f32 v36, 0x3f317218, v12, -v34
	v_mov_b32_e32 v38, v34
	s_delay_alu instid0(VALU_DEP_2) | instskip(NEXT) | instid1(VALU_DEP_1)
	v_fmac_f32_e32 v36, 0xb102e308, v12
	v_pk_add_f32 v[12:13], v[34:35], v[36:37]
	s_delay_alu instid0(VALU_DEP_1) | instskip(NEXT) | instid1(VALU_DEP_1)
	v_dual_sub_f32 v21, v13, v37 :: v_dual_mov_b32 v37, v12
	v_dual_mov_b32 v46, v13 :: v_dual_sub_f32 v21, v35, v21
	v_pk_add_f32 v[34:35], v[12:13], v[34:35] neg_lo:[0,1] neg_hi:[0,1]
	s_delay_alu instid0(VALU_DEP_2) | instskip(NEXT) | instid1(VALU_DEP_1)
	v_add_f32_e32 v39, v3, v21
	v_pk_add_f32 v[40:41], v[12:13], v[38:39]
	s_delay_alu instid0(VALU_DEP_1) | instskip(NEXT) | instid1(VALU_DEP_1)
	v_mov_b32_e32 v35, v41
	v_pk_add_f32 v[42:43], v[36:37], v[34:35]
	v_pk_add_f32 v[34:35], v[36:37], v[34:35] neg_lo:[0,1] neg_hi:[0,1]
	s_delay_alu instid0(VALU_DEP_2) | instskip(NEXT) | instid1(VALU_DEP_1)
	v_dual_mov_b32 v42, v41 :: v_dual_mov_b32 v38, v43
	v_pk_add_f32 v[44:45], v[38:39], v[12:13] neg_lo:[0,1] neg_hi:[0,1]
	v_dual_mov_b32 v13, v12 :: v_dual_mov_b32 v12, v39
	s_delay_alu instid0(VALU_DEP_2) | instskip(NEXT) | instid1(VALU_DEP_1)
	v_dual_mov_b32 v3, v44 :: v_dual_mov_b32 v47, v44
	v_pk_add_f32 v[36:37], v[40:41], v[2:3] neg_lo:[0,1] neg_hi:[0,1]
	s_delay_alu instid0(VALU_DEP_2) | instskip(SKIP_1) | instid1(VALU_DEP_2)
	v_pk_add_f32 v[44:45], v[42:43], v[46:47] neg_lo:[0,1] neg_hi:[0,1]
	v_mov_b32_e32 v36, v34
	v_pk_add_f32 v[12:13], v[12:13], v[44:45] neg_lo:[0,1] neg_hi:[0,1]
	s_delay_alu instid0(VALU_DEP_1) | instskip(NEXT) | instid1(VALU_DEP_1)
	v_pk_add_f32 v[36:37], v[36:37], v[12:13]
	v_mov_b32_e32 v40, v37
	s_delay_alu instid0(VALU_DEP_1) | instskip(NEXT) | instid1(VALU_DEP_1)
	v_pk_add_f32 v[40:41], v[36:37], v[40:41]
	v_pk_add_f32 v[38:39], v[38:39], v[40:41]
	s_delay_alu instid0(VALU_DEP_1) | instskip(NEXT) | instid1(VALU_DEP_1)
	v_dual_mov_b32 v35, v43 :: v_dual_mov_b32 v37, v38
	v_pk_add_f32 v[42:43], v[36:37], v[34:35] neg_lo:[0,1] neg_hi:[0,1]
	s_delay_alu instid0(VALU_DEP_1) | instskip(NEXT) | instid1(VALU_DEP_1)
	v_sub_f32_e32 v3, v36, v42
	v_dual_mov_b32 v13, v40 :: v_dual_sub_f32 v3, v34, v3
	s_delay_alu instid0(VALU_DEP_1) | instskip(NEXT) | instid1(VALU_DEP_1)
	v_pk_add_f32 v[12:13], v[12:13], v[42:43] neg_lo:[0,1] neg_hi:[0,1]
	v_add_f32_e32 v3, v12, v3
	s_delay_alu instid0(VALU_DEP_1) | instskip(NEXT) | instid1(VALU_DEP_1)
	v_add_f32_e32 v3, v3, v13
	v_add_f32_e32 v3, v38, v3
	s_delay_alu instid0(VALU_DEP_1) | instskip(SKIP_1) | instid1(VALU_DEP_2)
	v_cndmask_b32_e32 v3, 0x7f800000, v3, vcc_lo
	v_cmp_ngt_f32_e32 vcc_lo, -1.0, v2
	v_cndmask_b32_e32 v3, 0x7fc00000, v3, vcc_lo
	v_cmp_neq_f32_e32 vcc_lo, -1.0, v2
	s_delay_alu instid0(VALU_DEP_2) | instskip(SKIP_1) | instid1(VALU_DEP_2)
	v_cndmask_b32_e32 v3, 0xff800000, v3, vcc_lo
	v_cmp_gt_f32_e64 vcc_lo, 0x33800000, |v2|
	v_cndmask_b32_e32 v2, v3, v2, vcc_lo
	s_delay_alu instid0(VALU_DEP_1)
	v_mul_f32_e32 v2, 0x3e800000, v2
	s_and_not1_saveexec_b32 s28, s28
	s_cbranch_execz .LBB68_169
	s_branch .LBB68_168
.LBB68_167:                             ;   in Loop: Header=BB68_4 Depth=1
	s_and_not1_saveexec_b32 s28, s28
	s_cbranch_execz .LBB68_169
.LBB68_168:                             ;   in Loop: Header=BB68_4 Depth=1
	v_cmp_gt_f32_e64 s29, 0x800000, |v4|
	s_delay_alu instid0(VALU_DEP_1) | instskip(NEXT) | instid1(VALU_DEP_1)
	v_cndmask_b32_e64 v2, 0, 32, s29
	v_ldexp_f32 v2, |v4|, v2
	s_delay_alu instid0(VALU_DEP_1) | instskip(SKIP_1) | instid1(TRANS32_DEP_1)
	v_log_f32_e32 v2, v2
	v_nop
	v_mul_f32_e32 v3, 0x3f317217, v2
	v_cmp_gt_f32_e64 vcc_lo, 0x7f800000, |v2|
	s_delay_alu instid0(VALU_DEP_2) | instskip(NEXT) | instid1(VALU_DEP_1)
	v_fma_f32 v3, 0x3f317217, v2, -v3
	v_fmac_f32_e32 v3, 0x3377d1cf, v2
	s_delay_alu instid0(VALU_DEP_1) | instskip(NEXT) | instid1(VALU_DEP_1)
	v_fmac_f32_e32 v3, 0x3f317217, v2
	v_cndmask_b32_e32 v2, v2, v3, vcc_lo
	v_cndmask_b32_e64 v3, 0, 0x41b17218, s29
	s_delay_alu instid0(VALU_DEP_1) | instskip(NEXT) | instid1(VALU_DEP_1)
	v_sub_f32_e32 v2, v2, v3
	v_sub_f32_e32 v2, 0x3f317218, v2
	s_delay_alu instid0(VALU_DEP_1)
	v_mul_f32_e32 v2, 0.5, v2
.LBB68_169:                             ;   in Loop: Header=BB68_4 Depth=1
	s_or_b32 exec_lo, exec_lo, s28
                                        ; implicit-def: $vgpr12
	s_and_saveexec_b32 s28, s27
	s_delay_alu instid0(SALU_CYCLE_1)
	s_xor_b32 s27, exec_lo, s28
	s_cbranch_execz .LBB68_175
; %bb.170:                              ;   in Loop: Header=BB68_4 Depth=1
	v_sub_f32_e64 v3, 1.0, |v5|
	v_add_f32_e64 v12, |v5|, 1.0
	v_add_f32_e64 v1, |v4|, |v4|
	s_delay_alu instid0(VALU_DEP_1) | instskip(SKIP_1) | instid1(SALU_CYCLE_1)
	v_dual_mul_f32 v3, v3, v12 :: v_dual_max_num_f32 v13, v1, v1
                                        ; implicit-def: $vgpr12
	s_and_saveexec_b32 s28, s2
	s_xor_b32 s28, exec_lo, s28
	s_cbranch_execz .LBB68_172
; %bb.171:                              ;   in Loop: Header=BB68_4 Depth=1
	s_delay_alu instid0(VALU_DEP_1) | instskip(NEXT) | instid1(VALU_DEP_1)
	v_fma_f32 v3, -v4, v4, v3
	v_max_num_f32_e64 v12, |v3|, v13
	v_min_num_f32_e64 v13, |v3|, v13
	s_delay_alu instid0(VALU_DEP_2) | instskip(SKIP_1) | instid1(VALU_DEP_3)
	v_frexp_mant_f32_e32 v21, v12
	v_frexp_exp_i32_f32_e32 v12, v12
	v_frexp_exp_i32_f32_e32 v25, v13
	v_frexp_mant_f32_e32 v13, v13
	s_delay_alu instid0(VALU_DEP_4) | instskip(NEXT) | instid1(VALU_DEP_2)
	v_rcp_f32_e32 v21, v21
	v_sub_nc_u32_e32 v12, v25, v12
	s_delay_alu instid0(TRANS32_DEP_1) | instskip(SKIP_3) | instid1(VALU_DEP_4)
	v_mul_f32_e32 v13, v13, v21
	v_cmp_gt_f32_e64 vcc_lo, v1, |v3|
	v_cmp_gt_i32_e64 s2, 0, v3
	v_cmp_class_f32_e64 s29, v3, 0x204
	v_ldexp_f32 v12, v13, v12
	s_delay_alu instid0(VALU_DEP_1) | instskip(NEXT) | instid1(VALU_DEP_1)
	v_mul_f32_e32 v13, v12, v12
	v_fmaak_f32 v21, s20, v13, 0xbc7a590c
	s_delay_alu instid0(VALU_DEP_1) | instskip(NEXT) | instid1(VALU_DEP_1)
	v_fmaak_f32 v21, v13, v21, 0x3d29fb3f
	v_fmaak_f32 v21, v13, v21, 0xbd97d4d7
	s_delay_alu instid0(VALU_DEP_1) | instskip(NEXT) | instid1(VALU_DEP_1)
	v_fmaak_f32 v21, v13, v21, 0x3dd931b2
	;; [unrolled: 3-line block ×3, first 2 shown]
	v_fmaak_f32 v21, v13, v21, 0xbeaaaa62
	s_delay_alu instid0(VALU_DEP_1) | instskip(NEXT) | instid1(VALU_DEP_1)
	v_mul_f32_e32 v13, v13, v21
	v_fmac_f32_e32 v12, v12, v13
	s_delay_alu instid0(VALU_DEP_1) | instskip(NEXT) | instid1(VALU_DEP_1)
	v_sub_f32_e32 v13, 0x3fc90fdb, v12
	v_cndmask_b32_e32 v12, v12, v13, vcc_lo
	v_cmp_gt_f32_e32 vcc_lo, 0, v3
	s_delay_alu instid0(VALU_DEP_2) | instskip(SKIP_1) | instid1(VALU_DEP_2)
	v_sub_f32_e32 v13, 0x40490fdb, v12
	v_cndmask_b32_e32 v21, 0x3f490fdb, v32, vcc_lo
	v_cndmask_b32_e32 v12, v12, v13, vcc_lo
	v_cndmask_b32_e64 v13, 0, 0x40490fdb, s2
	v_cmp_eq_f32_e64 s2, 0, v1
	v_cmp_eq_f32_e32 vcc_lo, 0x7f800000, v1
	s_delay_alu instid0(VALU_DEP_2) | instskip(SKIP_1) | instid1(VALU_DEP_1)
	v_cndmask_b32_e64 v1, |v12|, v13, s2
	s_and_b32 vcc_lo, vcc_lo, s29
                                        ; implicit-def: $vgpr13
	v_cndmask_b32_e32 v1, v1, v21, vcc_lo
	v_cmp_o_f32_e32 vcc_lo, v3, v3
                                        ; implicit-def: $vgpr3
	s_delay_alu instid0(VALU_DEP_2)
	v_cndmask_b32_e32 v12, 0x7fc00000, v1, vcc_lo
                                        ; implicit-def: $vgpr1
.LBB68_172:                             ;   in Loop: Header=BB68_4 Depth=1
	s_and_not1_saveexec_b32 s28, s28
	s_cbranch_execz .LBB68_174
; %bb.173:                              ;   in Loop: Header=BB68_4 Depth=1
	v_max_num_f32_e64 v12, |v3|, |v3|
	v_cmp_gt_f32_e64 vcc_lo, v1, |v3|
	v_cmp_gt_i32_e64 s2, 0, v3
	v_cmp_class_f32_e64 s29, v3, 0x204
	s_delay_alu instid0(VALU_DEP_4) | instskip(NEXT) | instid1(VALU_DEP_1)
	v_dual_max_num_f32 v21, v12, v13 :: v_dual_min_num_f32 v12, v12, v13
	v_frexp_mant_f32_e32 v25, v21
	v_frexp_exp_i32_f32_e32 v13, v21
	s_delay_alu instid0(VALU_DEP_2) | instskip(SKIP_3) | instid1(VALU_DEP_2)
	v_rcp_f32_e32 v21, v25
	v_nop
	v_frexp_exp_i32_f32_e32 v25, v12
	v_frexp_mant_f32_e32 v12, v12
	v_sub_nc_u32_e32 v13, v25, v13
	s_delay_alu instid0(TRANS32_DEP_1) | instid1(VALU_DEP_2)
	v_mul_f32_e32 v12, v12, v21
	s_delay_alu instid0(VALU_DEP_1) | instskip(NEXT) | instid1(VALU_DEP_1)
	v_ldexp_f32 v12, v12, v13
	v_mul_f32_e32 v13, v12, v12
	s_delay_alu instid0(VALU_DEP_1) | instskip(NEXT) | instid1(VALU_DEP_1)
	v_fmaak_f32 v21, s20, v13, 0xbc7a590c
	v_fmaak_f32 v21, v13, v21, 0x3d29fb3f
	s_delay_alu instid0(VALU_DEP_1) | instskip(NEXT) | instid1(VALU_DEP_1)
	v_fmaak_f32 v21, v13, v21, 0xbd97d4d7
	v_fmaak_f32 v21, v13, v21, 0x3dd931b2
	;; [unrolled: 3-line block ×3, first 2 shown]
	s_delay_alu instid0(VALU_DEP_1) | instskip(NEXT) | instid1(VALU_DEP_1)
	v_fmaak_f32 v21, v13, v21, 0xbeaaaa62
	v_mul_f32_e32 v13, v13, v21
	s_delay_alu instid0(VALU_DEP_1) | instskip(NEXT) | instid1(VALU_DEP_1)
	v_fmac_f32_e32 v12, v12, v13
	v_sub_f32_e32 v13, 0x3fc90fdb, v12
	s_delay_alu instid0(VALU_DEP_1) | instskip(SKIP_1) | instid1(VALU_DEP_2)
	v_cndmask_b32_e32 v12, v12, v13, vcc_lo
	v_cmp_gt_f32_e32 vcc_lo, 0, v3
	v_sub_f32_e32 v13, 0x40490fdb, v12
	v_cndmask_b32_e32 v21, 0x3f490fdb, v32, vcc_lo
	s_delay_alu instid0(VALU_DEP_2) | instskip(SKIP_3) | instid1(VALU_DEP_2)
	v_cndmask_b32_e32 v12, v12, v13, vcc_lo
	v_cndmask_b32_e64 v13, 0, 0x40490fdb, s2
	v_cmp_eq_f32_e64 s2, 0, v1
	v_cmp_eq_f32_e32 vcc_lo, 0x7f800000, v1
	v_cndmask_b32_e64 v1, |v12|, v13, s2
	s_and_b32 vcc_lo, vcc_lo, s29
	s_delay_alu instid0(VALU_DEP_1) | instskip(SKIP_1) | instid1(VALU_DEP_2)
	v_cndmask_b32_e32 v1, v1, v21, vcc_lo
	v_cmp_o_f32_e32 vcc_lo, v3, v3
	v_cndmask_b32_e32 v12, 0x7fc00000, v1, vcc_lo
.LBB68_174:                             ;   in Loop: Header=BB68_4 Depth=1
	s_or_b32 exec_lo, exec_lo, s28
                                        ; implicit-def: $vgpr1
	s_and_not1_saveexec_b32 s2, s27
	s_cbranch_execnz .LBB68_176
	s_branch .LBB68_177
.LBB68_175:                             ;   in Loop: Header=BB68_4 Depth=1
	s_and_not1_saveexec_b32 s2, s27
	s_cbranch_execz .LBB68_177
.LBB68_176:                             ;   in Loop: Header=BB68_4 Depth=1
	v_dual_max_num_f32 v3, 2.0, v1 :: v_dual_min_num_f32 v1, 2.0, v1
	v_cmp_lt_f32_e64 vcc_lo, |v4|, 2.0
	s_delay_alu instid0(VALU_DEP_2) | instskip(SKIP_1) | instid1(VALU_DEP_4)
	v_frexp_mant_f32_e32 v12, v3
	v_frexp_exp_i32_f32_e32 v3, v3
	v_frexp_mant_f32_e32 v13, v1
	v_frexp_exp_i32_f32_e32 v1, v1
	s_delay_alu instid0(VALU_DEP_4) | instskip(NEXT) | instid1(VALU_DEP_1)
	v_rcp_f32_e32 v12, v12
	v_sub_nc_u32_e32 v1, v1, v3
	s_delay_alu instid0(TRANS32_DEP_1) | instskip(NEXT) | instid1(VALU_DEP_1)
	v_mul_f32_e32 v12, v13, v12
	v_ldexp_f32 v1, v12, v1
	s_delay_alu instid0(VALU_DEP_1) | instskip(NEXT) | instid1(VALU_DEP_1)
	v_mul_f32_e32 v3, v1, v1
	v_fmaak_f32 v12, s20, v3, 0xbc7a590c
	s_delay_alu instid0(VALU_DEP_1) | instskip(NEXT) | instid1(VALU_DEP_1)
	v_fmaak_f32 v12, v3, v12, 0x3d29fb3f
	v_fmaak_f32 v12, v3, v12, 0xbd97d4d7
	s_delay_alu instid0(VALU_DEP_1) | instskip(NEXT) | instid1(VALU_DEP_1)
	v_fmaak_f32 v12, v3, v12, 0x3dd931b2
	;; [unrolled: 3-line block ×3, first 2 shown]
	v_fmaak_f32 v12, v3, v12, 0xbeaaaa62
	s_delay_alu instid0(VALU_DEP_1) | instskip(NEXT) | instid1(VALU_DEP_1)
	v_mul_f32_e32 v3, v3, v12
	v_fmac_f32_e32 v1, v1, v3
	s_delay_alu instid0(VALU_DEP_1) | instskip(NEXT) | instid1(VALU_DEP_1)
	v_sub_f32_e32 v3, 0x3fc90fdb, v1
	v_cndmask_b32_e32 v1, v1, v3, vcc_lo
	v_cmp_lg_f32_e32 vcc_lo, 0, v4
	s_delay_alu instid0(VALU_DEP_2) | instskip(NEXT) | instid1(VALU_DEP_1)
	v_sub_f32_e32 v3, 0x40490fdb, v1
	v_cndmask_b32_e32 v1, v1, v3, vcc_lo
	s_delay_alu instid0(VALU_DEP_1)
	v_and_b32_e32 v12, 0x7fffffff, v1
.LBB68_177:                             ;   in Loop: Header=BB68_4 Depth=1
	s_or_b32 exec_lo, exec_lo, s2
	s_delay_alu instid0(VALU_DEP_1) | instskip(SKIP_1) | instid1(VALU_DEP_2)
	v_mul_f32_e32 v1, 0.5, v12
	v_bfi_b32 v13, 0x7fffffff, v2, v5
	v_bfi_b32 v12, 0x7fffffff, v1, v4
                                        ; implicit-def: $vgpr5
.LBB68_178:                             ;   in Loop: Header=BB68_4 Depth=1
	s_and_not1_saveexec_b32 s2, s26
	s_cbranch_execz .LBB68_180
; %bb.179:                              ;   in Loop: Header=BB68_4 Depth=1
	flat_store_b32 v[18:19], v31 scope:SCOPE_SYS
	s_wait_storecnt 0x0
	flat_load_b32 v1, v[18:19] scope:SCOPE_SYS
	s_wait_loadcnt 0x0
	v_dual_mov_b32 v12, v4 :: v_dual_mov_b32 v13, v5
	s_wait_dscnt 0x0
	v_add_f32_e32 v1, 1.0, v1
	flat_store_b32 v[22:23], v1 scope:SCOPE_SYS
	s_wait_storecnt 0x0
	flat_load_b32 v1, v[22:23] scope:SCOPE_SYS
	s_wait_loadcnt 0x0
.LBB68_180:                             ;   in Loop: Header=BB68_4 Depth=1
	s_wait_xcnt 0x0
	s_or_b32 exec_lo, exec_lo, s2
                                        ; implicit-def: $vgpr2_vgpr3_vgpr4_vgpr5
.LBB68_181:                             ;   in Loop: Header=BB68_4 Depth=1
	s_and_not1_saveexec_b32 s2, s25
	s_cbranch_execz .LBB68_195
; %bb.182:                              ;   in Loop: Header=BB68_4 Depth=1
	s_wait_dscnt 0x0
	v_and_b32_e32 v1, 0x7f800000, v5
	v_and_b32_e32 v2, 0x7f800000, v4
	v_cmp_neq_f32_e64 s25, 0x7f800000, |v5|
	s_delay_alu instid0(VALU_DEP_2) | instskip(NEXT) | instid1(VALU_DEP_1)
	v_sub_nc_u32_e32 v3, v1, v2
	v_cmp_gt_i32_e32 vcc_lo, 0x6800000, v3
	s_and_b32 s25, s25, vcc_lo
	s_delay_alu instid0(SALU_CYCLE_1) | instskip(NEXT) | instid1(SALU_CYCLE_1)
	s_and_saveexec_b32 s26, s25
	s_xor_b32 s25, exec_lo, s26
	s_cbranch_execz .LBB68_192
; %bb.183:                              ;   in Loop: Header=BB68_4 Depth=1
	v_sub_nc_u32_e32 v2, v2, v1
	s_mov_b32 s26, exec_lo
	s_delay_alu instid0(VALU_DEP_1)
	v_cmpx_gt_i32_e32 0x6800000, v2
	s_xor_b32 s26, exec_lo, s26
	s_cbranch_execz .LBB68_189
; %bb.184:                              ;   in Loop: Header=BB68_4 Depth=1
	s_mov_b32 s27, exec_lo
	v_cmpx_lt_u32_e32 0x59000000, v1
	s_xor_b32 s27, exec_lo, s27
	s_cbranch_execz .LBB68_186
; %bb.185:                              ;   in Loop: Header=BB68_4 Depth=1
	v_sub_nc_u32_e32 v2, 0x7f800000, v1
	s_delay_alu instid0(VALU_DEP_1) | instskip(NEXT) | instid1(VALU_DEP_1)
	v_pk_mul_f32 v[12:13], v[4:5], v[2:3] op_sel_hi:[1,0]
	v_pk_mul_f32 v[34:35], v[12:13], v[12:13]
	s_delay_alu instid0(VALU_DEP_1) | instskip(NEXT) | instid1(VALU_DEP_1)
	v_add_f32_e32 v1, v35, v34
	v_div_scale_f32 v3, null, v1, v1, v13
	s_delay_alu instid0(VALU_DEP_1) | instskip(SKIP_1) | instid1(TRANS32_DEP_1)
	v_rcp_f32_e32 v12, v3
	v_nop
	v_fma_f32 v21, -v3, v12, 1.0
	s_delay_alu instid0(VALU_DEP_1) | instskip(SKIP_1) | instid1(VALU_DEP_1)
	v_fmac_f32_e32 v12, v21, v12
	v_div_scale_f32 v21, vcc_lo, v13, v1, v13
	v_mul_f32_e32 v25, v21, v12
	s_delay_alu instid0(VALU_DEP_1) | instskip(NEXT) | instid1(VALU_DEP_1)
	v_fma_f32 v33, -v3, v25, v21
	v_fmac_f32_e32 v25, v33, v12
	s_delay_alu instid0(VALU_DEP_1) | instskip(NEXT) | instid1(VALU_DEP_1)
	v_fma_f32 v3, -v3, v25, v21
	v_div_fmas_f32 v3, v3, v12, v25
	s_delay_alu instid0(VALU_DEP_1) | instskip(NEXT) | instid1(VALU_DEP_1)
	v_div_fixup_f32 v1, v3, v1, v13
	v_mul_f32_e32 v13, v1, v2
.LBB68_186:                             ;   in Loop: Header=BB68_4 Depth=1
	s_and_not1_saveexec_b32 s27, s27
	s_cbranch_execz .LBB68_188
; %bb.187:                              ;   in Loop: Header=BB68_4 Depth=1
	v_pk_mul_f32 v[2:3], v[4:5], v[4:5]
	s_delay_alu instid0(VALU_DEP_1) | instskip(NEXT) | instid1(VALU_DEP_1)
	v_add_f32_e32 v1, v2, v3
	v_div_scale_f32 v2, null, v1, v1, v5
	s_delay_alu instid0(VALU_DEP_1) | instskip(SKIP_1) | instid1(TRANS32_DEP_1)
	v_rcp_f32_e32 v3, v2
	v_nop
	v_fma_f32 v12, -v2, v3, 1.0
	s_delay_alu instid0(VALU_DEP_1) | instskip(SKIP_1) | instid1(VALU_DEP_1)
	v_fmac_f32_e32 v3, v12, v3
	v_div_scale_f32 v12, vcc_lo, v5, v1, v5
	v_mul_f32_e32 v13, v12, v3
	s_delay_alu instid0(VALU_DEP_1) | instskip(NEXT) | instid1(VALU_DEP_1)
	v_fma_f32 v21, -v2, v13, v12
	v_fmac_f32_e32 v13, v21, v3
	s_delay_alu instid0(VALU_DEP_1) | instskip(NEXT) | instid1(VALU_DEP_1)
	v_fma_f32 v2, -v2, v13, v12
	v_div_fmas_f32 v2, v2, v3, v13
	s_delay_alu instid0(VALU_DEP_1)
	v_div_fixup_f32 v13, v2, v1, v5
.LBB68_188:                             ;   in Loop: Header=BB68_4 Depth=1
	s_or_b32 exec_lo, exec_lo, s27
.LBB68_189:                             ;   in Loop: Header=BB68_4 Depth=1
	s_and_not1_saveexec_b32 s26, s26
	s_cbranch_execz .LBB68_191
; %bb.190:                              ;   in Loop: Header=BB68_4 Depth=1
	v_div_scale_f32 v1, null, v4, v4, v5
	v_div_scale_f32 v12, vcc_lo, v5, v4, v5
	s_delay_alu instid0(VALU_DEP_2) | instskip(SKIP_1) | instid1(TRANS32_DEP_1)
	v_rcp_f32_e32 v2, v1
	v_nop
	v_fma_f32 v3, -v1, v2, 1.0
	s_delay_alu instid0(VALU_DEP_1) | instskip(NEXT) | instid1(VALU_DEP_1)
	v_fmac_f32_e32 v2, v3, v2
	v_mul_f32_e32 v3, v12, v2
	s_delay_alu instid0(VALU_DEP_1) | instskip(NEXT) | instid1(VALU_DEP_1)
	v_fma_f32 v13, -v1, v3, v12
	v_fmac_f32_e32 v3, v13, v2
	s_delay_alu instid0(VALU_DEP_1) | instskip(NEXT) | instid1(VALU_DEP_1)
	v_fma_f32 v1, -v1, v3, v12
	v_div_fmas_f32 v1, v1, v2, v3
	s_delay_alu instid0(VALU_DEP_1) | instskip(NEXT) | instid1(VALU_DEP_1)
	v_div_fixup_f32 v1, v1, v4, v5
	v_div_scale_f32 v2, null, v4, v4, v1
	s_delay_alu instid0(VALU_DEP_1) | instskip(SKIP_1) | instid1(TRANS32_DEP_1)
	v_rcp_f32_e32 v3, v2
	v_nop
	v_fma_f32 v12, -v2, v3, 1.0
	s_delay_alu instid0(VALU_DEP_1) | instskip(SKIP_1) | instid1(VALU_DEP_1)
	v_fmac_f32_e32 v3, v12, v3
	v_div_scale_f32 v12, vcc_lo, v1, v4, v1
	v_mul_f32_e32 v13, v12, v3
	s_delay_alu instid0(VALU_DEP_1) | instskip(NEXT) | instid1(VALU_DEP_1)
	v_fma_f32 v21, -v2, v13, v12
	v_fmac_f32_e32 v13, v21, v3
	s_delay_alu instid0(VALU_DEP_1) | instskip(NEXT) | instid1(VALU_DEP_1)
	v_fma_f32 v2, -v2, v13, v12
	v_div_fmas_f32 v2, v2, v3, v13
	s_delay_alu instid0(VALU_DEP_1)
	v_div_fixup_f32 v13, v2, v4, v1
.LBB68_191:                             ;   in Loop: Header=BB68_4 Depth=1
	s_or_b32 exec_lo, exec_lo, s26
.LBB68_192:                             ;   in Loop: Header=BB68_4 Depth=1
	s_and_not1_saveexec_b32 s25, s25
	s_cbranch_execz .LBB68_194
; %bb.193:                              ;   in Loop: Header=BB68_4 Depth=1
	v_div_scale_f32 v1, null, v5, v5, 1.0
	s_delay_alu instid0(VALU_DEP_1) | instskip(SKIP_1) | instid1(TRANS32_DEP_1)
	v_rcp_f32_e32 v2, v1
	v_nop
	v_fma_f32 v3, -v1, v2, 1.0
	s_delay_alu instid0(VALU_DEP_1) | instskip(SKIP_1) | instid1(VALU_DEP_1)
	v_fmac_f32_e32 v2, v3, v2
	v_div_scale_f32 v3, vcc_lo, 1.0, v5, 1.0
	v_mul_f32_e32 v12, v3, v2
	s_delay_alu instid0(VALU_DEP_1) | instskip(NEXT) | instid1(VALU_DEP_1)
	v_fma_f32 v13, -v1, v12, v3
	v_fmac_f32_e32 v12, v13, v2
	s_delay_alu instid0(VALU_DEP_1) | instskip(NEXT) | instid1(VALU_DEP_1)
	v_fma_f32 v1, -v1, v12, v3
	v_div_fmas_f32 v1, v1, v2, v12
	s_delay_alu instid0(VALU_DEP_1)
	v_div_fixup_f32 v13, v1, v5, 1.0
.LBB68_194:                             ;   in Loop: Header=BB68_4 Depth=1
	s_or_b32 exec_lo, exec_lo, s25
	flat_load_b32 v1, v[16:17] scope:SCOPE_SYS
	s_wait_loadcnt_dscnt 0x0
	v_add_f32_e32 v1, 0x3fc90fdb, v1
	s_delay_alu instid0(VALU_DEP_1)
	v_bfi_b32 v12, 0x7fffffff, v1, v4
.LBB68_195:                             ;   in Loop: Header=BB68_4 Depth=1
	s_or_b32 exec_lo, exec_lo, s2
                                        ; implicit-def: $vgpr2_vgpr3_vgpr4_vgpr5
.LBB68_196:                             ;   in Loop: Header=BB68_4 Depth=1
	s_and_not1_saveexec_b32 s2, s24
	s_cbranch_execz .LBB68_206
; %bb.197:                              ;   in Loop: Header=BB68_4 Depth=1
	v_cmp_neq_f32_e64 s24, 0x7f800000, |v5|
	s_and_saveexec_b32 s25, s24
	s_delay_alu instid0(SALU_CYCLE_1)
	s_xor_b32 s24, exec_lo, s25
	s_cbranch_execz .LBB68_203
; %bb.198:                              ;   in Loop: Header=BB68_4 Depth=1
	v_cmp_neq_f32_e64 s25, 0x7f800000, |v4|
	s_and_saveexec_b32 s26, s25
	s_delay_alu instid0(SALU_CYCLE_1)
	s_xor_b32 s25, exec_lo, s26
	s_cbranch_execz .LBB68_200
; %bb.199:                              ;   in Loop: Header=BB68_4 Depth=1
	s_wait_dscnt 0x0
	v_add_f32_e32 v1, 0, v4
	s_delay_alu instid0(VALU_DEP_1)
	v_add_f32_e32 v13, v1, v5
                                        ; implicit-def: $vgpr4_vgpr5
.LBB68_200:                             ;   in Loop: Header=BB68_4 Depth=1
	s_or_saveexec_b32 s25, s25
	s_delay_alu instid0(VALU_DEP_1)
	v_mov_b32_e32 v12, v13
	s_xor_b32 exec_lo, exec_lo, s25
	s_cbranch_execz .LBB68_202
; %bb.201:                              ;   in Loop: Header=BB68_4 Depth=1
	s_wait_dscnt 0x0
	flat_load_b32 v1, v[16:17] scope:SCOPE_SYS
	s_wait_loadcnt 0x0
	v_bfi_b32 v13, 0x7fffffff, 0, v5
	s_wait_dscnt 0x0
	v_add_f32_e32 v1, 0x3fc90fdb, v1
	s_delay_alu instid0(VALU_DEP_1)
	v_bfi_b32 v12, 0x7fffffff, v1, v4
.LBB68_202:                             ;   in Loop: Header=BB68_4 Depth=1
	s_wait_xcnt 0x0
	s_or_b32 exec_lo, exec_lo, s25
                                        ; implicit-def: $vgpr2_vgpr3_vgpr4_vgpr5
.LBB68_203:                             ;   in Loop: Header=BB68_4 Depth=1
	s_and_not1_saveexec_b32 s24, s24
; %bb.204:                              ;   in Loop: Header=BB68_4 Depth=1
	v_bfi_b32 v13, 0x7fffffff, 0, v5
	v_add_f32_e32 v12, v4, v4
; %bb.205:                              ;   in Loop: Header=BB68_4 Depth=1
	s_or_b32 exec_lo, exec_lo, s24
.LBB68_206:                             ;   in Loop: Header=BB68_4 Depth=1
	s_delay_alu instid0(SALU_CYCLE_1)
	s_or_b32 exec_lo, exec_lo, s2
                                        ; implicit-def: $vgpr2_vgpr3_vgpr4_vgpr5
.LBB68_207:                             ;   in Loop: Header=BB68_4 Depth=1
	s_and_not1_saveexec_b32 s2, s23
	s_cbranch_execz .LBB68_209
; %bb.208:                              ;   in Loop: Header=BB68_4 Depth=1
	s_wait_dscnt 0x0
	v_rcp_f32_e64 v1, |v4|
	v_cmp_gt_f32_e64 vcc_lo, |v4|, 1.0
	v_mov_b32_e32 v13, v5
	s_delay_alu instid0(TRANS32_DEP_1) | instid1(VALU_DEP_2)
	v_cndmask_b32_e64 v1, |v4|, v1, vcc_lo
	s_delay_alu instid0(VALU_DEP_1) | instskip(NEXT) | instid1(VALU_DEP_1)
	v_mul_f32_e32 v2, v1, v1
	v_fmaak_f32 v3, s20, v2, 0xbc7a590c
	s_delay_alu instid0(VALU_DEP_1) | instskip(NEXT) | instid1(VALU_DEP_1)
	v_fmaak_f32 v3, v2, v3, 0x3d29fb3f
	v_fmaak_f32 v3, v2, v3, 0xbd97d4d7
	s_delay_alu instid0(VALU_DEP_1) | instskip(NEXT) | instid1(VALU_DEP_1)
	v_fmaak_f32 v3, v2, v3, 0x3dd931b2
	;; [unrolled: 3-line block ×3, first 2 shown]
	v_fmaak_f32 v3, v2, v3, 0xbeaaaa62
	s_delay_alu instid0(VALU_DEP_1) | instskip(NEXT) | instid1(VALU_DEP_1)
	v_mul_f32_e32 v2, v2, v3
	v_fmac_f32_e32 v1, v1, v2
	s_delay_alu instid0(VALU_DEP_1) | instskip(NEXT) | instid1(VALU_DEP_1)
	v_sub_f32_e32 v2, 0x3fc90fdb, v1
	v_cndmask_b32_e32 v1, v1, v2, vcc_lo
	s_delay_alu instid0(VALU_DEP_1)
	v_bfi_b32 v12, 0x7fffffff, v1, v4
.LBB68_209:                             ;   in Loop: Header=BB68_4 Depth=1
	s_or_b32 exec_lo, exec_lo, s2
                                        ; implicit-def: $vgpr2_vgpr3_vgpr4_vgpr5
.LBB68_210:                             ;   in Loop: Header=BB68_4 Depth=1
	s_and_not1_saveexec_b32 s2, s22
	s_cbranch_execz .LBB68_3
; %bb.211:                              ;   in Loop: Header=BB68_4 Depth=1
	s_wait_dscnt 0x0
	v_sub_f32_e64 v1, 1.0, |v5|
	v_add_f32_e64 v2, |v5|, 1.0
	v_and_b32_e32 v34, 0x7fffffff, v5
	v_cmp_gt_f32_e64 s22, 0x39800000, |v5|
	s_delay_alu instid0(VALU_DEP_4) | instskip(SKIP_1) | instid1(TRANS32_DEP_1)
	v_rcp_f32_e32 v25, v1
	v_nop
	v_mul_f32_e32 v33, v2, v25
	s_delay_alu instid0(VALU_DEP_1) | instskip(NEXT) | instid1(VALU_DEP_1)
	v_mul_f32_e32 v3, v1, v33
	v_dual_sub_f32 v12, 1.0, v1 :: v_dual_fma_f32 v21, v33, v1, -v3
	s_delay_alu instid0(VALU_DEP_1) | instskip(NEXT) | instid1(VALU_DEP_1)
	v_sub_f32_e64 v12, v12, |v5|
	v_fmac_f32_e32 v21, v33, v12
	s_delay_alu instid0(VALU_DEP_1) | instskip(NEXT) | instid1(VALU_DEP_1)
	v_pk_add_f32 v[12:13], v[2:3], v[20:21]
	v_dual_sub_f32 v1, v2, v13 :: v_dual_sub_f32 v3, v13, v3
	s_delay_alu instid0(VALU_DEP_1) | instskip(NEXT) | instid1(VALU_DEP_2)
	v_sub_f32_e32 v21, v3, v21
	v_sub_f32_e32 v35, v2, v1
	s_delay_alu instid0(VALU_DEP_1) | instskip(NEXT) | instid1(VALU_DEP_1)
	v_pk_add_f32 v[2:3], v[34:35], v[12:13] neg_lo:[0,1] neg_hi:[0,1]
	v_add_f32_e32 v3, v21, v3
	s_delay_alu instid0(VALU_DEP_1) | instskip(NEXT) | instid1(VALU_DEP_1)
	v_add_f32_e32 v2, v2, v3
	v_add_f32_e32 v1, v1, v2
	s_delay_alu instid0(VALU_DEP_1) | instskip(NEXT) | instid1(VALU_DEP_1)
	v_mul_f32_e32 v1, v25, v1
	v_add_f32_e32 v12, v33, v1
	s_delay_alu instid0(VALU_DEP_1) | instskip(NEXT) | instid1(VALU_DEP_1)
	v_cvt_f64_f32_e32 v[2:3], v12
	v_frexp_exp_i32_f64_e32 v2, v[2:3]
	v_frexp_mant_f32_e32 v3, v12
	s_delay_alu instid0(VALU_DEP_1) | instskip(NEXT) | instid1(VALU_DEP_3)
	v_cmp_gt_f32_e32 vcc_lo, 0x3f2aaaab, v3
	v_subrev_co_ci_u32_e64 v21, null, 0, v2, vcc_lo
	v_cmp_neq_f32_e64 vcc_lo, |v5|, 1.0
	s_delay_alu instid0(VALU_DEP_2) | instskip(NEXT) | instid1(VALU_DEP_1)
	v_sub_nc_u32_e32 v2, 0, v21
	v_ldexp_f32 v3, v12, v2
	s_delay_alu instid0(VALU_DEP_1) | instskip(SKIP_1) | instid1(VALU_DEP_1)
	v_dual_add_f32 v13, 1.0, v3 :: v_dual_add_f32 v25, -1.0, v3
	v_sub_f32_e32 v12, v12, v33
	v_dual_sub_f32 v1, v1, v12 :: v_dual_add_f32 v12, -1.0, v13
	s_delay_alu instid0(VALU_DEP_1) | instskip(NEXT) | instid1(VALU_DEP_2)
	v_ldexp_f32 v1, v1, v2
	v_dual_sub_f32 v2, v3, v12 :: v_dual_add_f32 v12, 1.0, v25
	s_delay_alu instid0(VALU_DEP_1) | instskip(NEXT) | instid1(VALU_DEP_1)
	v_add_f32_e32 v2, v1, v2
	v_dual_add_f32 v33, v13, v2 :: v_dual_sub_f32 v3, v3, v12
	s_delay_alu instid0(VALU_DEP_1) | instskip(SKIP_1) | instid1(VALU_DEP_1)
	v_sub_f32_e32 v13, v33, v13
	v_rcp_f32_e32 v36, v33
	v_dual_add_f32 v1, v1, v3 :: v_dual_sub_f32 v38, v2, v13
	s_delay_alu instid0(VALU_DEP_1)
	v_add_f32_e32 v3, v25, v1
	s_delay_alu instid0(TRANS32_DEP_1) | instid1(VALU_DEP_1)
	v_mul_f32_e32 v37, v3, v36
	s_delay_alu instid0(VALU_DEP_1) | instskip(NEXT) | instid1(VALU_DEP_1)
	v_mul_f32_e32 v12, v33, v37
	v_fma_f32 v34, v37, v33, -v12
	s_delay_alu instid0(VALU_DEP_1) | instskip(NEXT) | instid1(VALU_DEP_1)
	v_fmac_f32_e32 v34, v37, v38
	v_dual_add_f32 v2, v12, v34 :: v_dual_sub_f32 v25, v3, v25
	s_delay_alu instid0(VALU_DEP_1) | instskip(NEXT) | instid1(VALU_DEP_2)
	v_dual_sub_f32 v13, v3, v2 :: v_dual_mov_b32 v35, v2
	v_sub_f32_e32 v1, v1, v25
	s_delay_alu instid0(VALU_DEP_2) | instskip(NEXT) | instid1(VALU_DEP_1)
	v_pk_add_f32 v[2:3], v[2:3], v[12:13] neg_lo:[0,1] neg_hi:[0,1]
	v_pk_add_f32 v[2:3], v[2:3], v[34:35] neg_lo:[0,1] neg_hi:[0,1]
	s_delay_alu instid0(VALU_DEP_1) | instskip(NEXT) | instid1(VALU_DEP_1)
	v_add_f32_e32 v1, v1, v3
	v_add_f32_e32 v1, v2, v1
	s_delay_alu instid0(VALU_DEP_1) | instskip(NEXT) | instid1(VALU_DEP_1)
	v_add_f32_e32 v3, v13, v1
	v_mul_f32_e32 v25, v36, v3
	s_delay_alu instid0(VALU_DEP_1) | instskip(NEXT) | instid1(VALU_DEP_1)
	v_mul_f32_e32 v34, v33, v25
	v_fma_f32 v12, v25, v33, -v34
	v_sub_f32_e32 v33, v13, v3
	s_delay_alu instid0(VALU_DEP_2) | instskip(NEXT) | instid1(VALU_DEP_2)
	v_fmac_f32_e32 v12, v25, v38
	v_add_f32_e32 v1, v1, v33
	s_delay_alu instid0(VALU_DEP_2) | instskip(NEXT) | instid1(VALU_DEP_1)
	v_dual_add_f32 v33, v37, v25 :: v_dual_add_f32 v2, v34, v12
	v_dual_mov_b32 v13, v2 :: v_dual_sub_f32 v35, v3, v2
	s_delay_alu instid0(VALU_DEP_1) | instskip(NEXT) | instid1(VALU_DEP_1)
	v_pk_add_f32 v[2:3], v[2:3], v[34:35] neg_lo:[0,1] neg_hi:[0,1]
	v_pk_add_f32 v[2:3], v[2:3], v[12:13] neg_lo:[0,1] neg_hi:[0,1]
	s_delay_alu instid0(VALU_DEP_1) | instskip(NEXT) | instid1(VALU_DEP_1)
	v_add_f32_e32 v1, v1, v3
	v_add_f32_e32 v1, v2, v1
	v_sub_f32_e32 v2, v33, v37
	s_delay_alu instid0(VALU_DEP_1) | instskip(NEXT) | instid1(VALU_DEP_1)
	v_dual_add_f32 v1, v35, v1 :: v_dual_sub_f32 v2, v25, v2
	v_mul_f32_e32 v1, v36, v1
	s_delay_alu instid0(VALU_DEP_1) | instskip(SKIP_1) | instid1(VALU_DEP_2)
	v_add_f32_e32 v1, v2, v1
	v_cvt_f32_i32_e32 v2, v21
	v_add_f32_e32 v36, v33, v1
	s_delay_alu instid0(VALU_DEP_1) | instskip(SKIP_1) | instid1(VALU_DEP_2)
	v_mul_f32_e32 v12, v36, v36
	v_ldexp_f32 v35, v36, 1
	v_fmaak_f32 v13, s19, v12, 0x3ecc95a3
	v_mul_f32_e32 v3, v36, v12
	s_delay_alu instid0(VALU_DEP_2) | instskip(NEXT) | instid1(VALU_DEP_1)
	v_fmaak_f32 v25, v12, v13, 0x3f2aaada
	v_pk_mul_f32 v[12:13], v[2:3], v[24:25]
	s_delay_alu instid0(VALU_DEP_1) | instskip(NEXT) | instid1(VALU_DEP_1)
	v_fma_f32 v34, 0x3f317218, v2, -v12
	v_fmac_f32_e32 v34, 0xb102e308, v2
	s_delay_alu instid0(VALU_DEP_1) | instskip(NEXT) | instid1(VALU_DEP_1)
	v_pk_add_f32 v[2:3], v[12:13], v[34:35]
	v_dual_mov_b32 v44, v3 :: v_dual_sub_f32 v21, v36, v33
	s_delay_alu instid0(VALU_DEP_1) | instskip(NEXT) | instid1(VALU_DEP_3)
	v_dual_mov_b32 v36, v12 :: v_dual_sub_f32 v1, v1, v21
	v_dual_sub_f32 v21, v3, v35 :: v_dual_mov_b32 v35, v2
	s_delay_alu instid0(VALU_DEP_2) | instskip(NEXT) | instid1(VALU_DEP_2)
	v_ldexp_f32 v1, v1, 1
	v_sub_f32_e32 v21, v13, v21
	v_pk_add_f32 v[12:13], v[2:3], v[12:13] neg_lo:[0,1] neg_hi:[0,1]
	s_delay_alu instid0(VALU_DEP_2) | instskip(NEXT) | instid1(VALU_DEP_1)
	v_add_f32_e32 v37, v1, v21
	v_pk_add_f32 v[38:39], v[2:3], v[36:37]
	s_delay_alu instid0(VALU_DEP_1) | instskip(NEXT) | instid1(VALU_DEP_1)
	v_mov_b32_e32 v13, v39
	v_pk_add_f32 v[40:41], v[34:35], v[12:13]
	v_mov_b32_e32 v40, v39
	v_pk_add_f32 v[12:13], v[34:35], v[12:13] neg_lo:[0,1] neg_hi:[0,1]
	s_delay_alu instid0(VALU_DEP_3) | instskip(NEXT) | instid1(VALU_DEP_1)
	v_dual_mov_b32 v36, v41 :: v_dual_mov_b32 v13, v41
	v_pk_add_f32 v[42:43], v[36:37], v[2:3] neg_lo:[0,1] neg_hi:[0,1]
	s_delay_alu instid0(VALU_DEP_1) | instskip(SKIP_1) | instid1(VALU_DEP_2)
	v_dual_mov_b32 v3, v2 :: v_dual_mov_b32 v45, v42
	v_dual_mov_b32 v1, v42 :: v_dual_mov_b32 v2, v37
	v_pk_add_f32 v[34:35], v[40:41], v[44:45] neg_lo:[0,1] neg_hi:[0,1]
	s_delay_alu instid0(VALU_DEP_2) | instskip(SKIP_1) | instid1(VALU_DEP_3)
	v_pk_add_f32 v[38:39], v[38:39], v[0:1] neg_lo:[0,1] neg_hi:[0,1]
	v_mov_b32_e32 v38, v12
	v_pk_add_f32 v[2:3], v[2:3], v[34:35] neg_lo:[0,1] neg_hi:[0,1]
	s_delay_alu instid0(VALU_DEP_1) | instskip(NEXT) | instid1(VALU_DEP_1)
	v_pk_add_f32 v[34:35], v[38:39], v[2:3]
	v_mov_b32_e32 v38, v35
	s_delay_alu instid0(VALU_DEP_1) | instskip(NEXT) | instid1(VALU_DEP_1)
	v_pk_add_f32 v[38:39], v[34:35], v[38:39]
	v_pk_add_f32 v[36:37], v[36:37], v[38:39]
	s_delay_alu instid0(VALU_DEP_1) | instskip(NEXT) | instid1(VALU_DEP_1)
	v_dual_mov_b32 v3, v38 :: v_dual_mov_b32 v35, v36
	v_pk_add_f32 v[40:41], v[34:35], v[12:13] neg_lo:[0,1] neg_hi:[0,1]
	s_delay_alu instid0(VALU_DEP_1) | instskip(NEXT) | instid1(VALU_DEP_2)
	v_sub_f32_e32 v1, v34, v40
	v_pk_add_f32 v[2:3], v[2:3], v[40:41] neg_lo:[0,1] neg_hi:[0,1]
	s_delay_alu instid0(VALU_DEP_2) | instskip(NEXT) | instid1(VALU_DEP_1)
	v_sub_f32_e32 v1, v12, v1
	v_dual_mov_b32 v12, v4 :: v_dual_add_f32 v1, v2, v1
	s_delay_alu instid0(VALU_DEP_1) | instskip(NEXT) | instid1(VALU_DEP_1)
	v_add_f32_e32 v1, v1, v3
	v_add_f32_e32 v1, v36, v1
	s_delay_alu instid0(VALU_DEP_1) | instskip(NEXT) | instid1(VALU_DEP_1)
	v_mul_f32_e32 v1, 0.5, v1
	v_cndmask_b32_e64 v1, v1, |v5|, s22
	s_delay_alu instid0(VALU_DEP_1) | instskip(NEXT) | instid1(VALU_DEP_1)
	v_cndmask_b32_e32 v1, 0x7f800000, v1, vcc_lo
	v_bfi_b32 v13, 0x7fffffff, v1, v5
	s_branch .LBB68_3
.LBB68_212:
	s_or_b32 exec_lo, exec_lo, s18
	s_mov_b32 s2, 0
.LBB68_213:
	s_delay_alu instid0(SALU_CYCLE_1)
	s_and_not1_b32 vcc_lo, exec_lo, s2
	s_cbranch_vccnz .LBB68_441
; %bb.214:
	v_cmp_lt_i64_e64 s2, s[8:9], 1
	s_and_b32 vcc_lo, exec_lo, s2
	s_cbranch_vccnz .LBB68_441
; %bb.215:
	s_load_b32 s0, s[0:1], 0xc5c
	v_mbcnt_lo_u32_b32 v4, -1, 0
	v_min_i64 v[2:3], 0x10000, s[8:9]
	s_wait_dscnt 0x0
	v_dual_mov_b32 v1, 0 :: v_dual_mov_b32 v14, 8
	v_lshlrev_b32_e32 v18, 3, v0
	v_lshlrev_b32_e32 v15, 20, v4
	v_min_u64 v[4:5], 0x10000, s[8:9]
	s_delay_alu instid0(VALU_DEP_4)
	v_mov_b32_e32 v19, v1
	s_wait_xcnt 0x0
	s_mov_b32 s1, 0
	v_dual_mov_b32 v33, v1 :: v_dual_mov_b32 v48, 0x248d3132
	v_add_nc_u64_e32 v[6:7], src_flat_scratch_base_lo, v[14:15]
	v_mov_b32_e32 v14, 0
	s_mov_b32 s17, s1
	s_mov_b32 s3, s1
	;; [unrolled: 1-line block ×3, first 2 shown]
	v_add_nc_u64_e32 v[10:11], s[4:5], v[18:19]
	v_add_nc_u64_e32 v[8:9], src_flat_scratch_base_lo, v[14:15]
	v_add_nc_u64_e32 v[12:13], s[12:13], v[18:19]
	s_wait_kmcnt 0x0
	s_and_b32 s0, s0, 0xffff
	v_dual_mov_b32 v49, 0xd800000 :: v_dual_mov_b32 v34, -1.0
	v_add_nc_u64_e32 v[16:17], s[0:1], v[0:1]
	v_mad_nc_u64_u32 v[20:21], s0, 24, v[18:19]
	s_lshl_b32 s16, s0, 4
	v_mov_b32_e32 v14, 4
	v_add_nc_u64_e32 v[26:27], s[16:17], v[18:19]
	s_lshl_b32 s2, s0, 1
	s_mul_i32 s14, s0, 3
	v_lshlrev_b32_e32 v32, 3, v16
	v_add_nc_u64_e32 v[14:15], src_flat_scratch_base_lo, v[14:15]
	v_add_nc_u64_e32 v[22:23], s[14:15], v[0:1]
	v_add_nc_u64_e32 v[28:29], s[2:3], v[0:1]
	;; [unrolled: 1-line block ×8, first 2 shown]
	v_mov_b32_e32 v36, 0x3f317218
	v_mov_b32_e32 v50, 0x4016cbe4
	s_mov_b32 s9, s1
	s_mov_b32 s11, s1
	s_lshl_b32 s8, s0, 2
	s_lshl_b32 s10, s0, 5
	s_mov_b64 s[12:13], 0
	s_mov_b32 s5, 0x3e9b6dac
	s_mov_b32 s14, 0x3b2d2a58
	s_branch .LBB68_217
.LBB68_216:                             ;   in Loop: Header=BB68_217 Depth=1
	s_wait_xcnt 0x0
	s_or_b32 exec_lo, exec_lo, s0
	s_add_nc_u64 s[12:13], s[12:13], s[8:9]
	v_add_nc_u64_e32 v[10:11], s[10:11], v[10:11]
	v_cmp_ge_i64_e32 vcc_lo, s[12:13], v[2:3]
	v_add_nc_u64_e32 v[12:13], s[10:11], v[12:13]
	v_add_nc_u64_e32 v[18:19], s[10:11], v[18:19]
	v_add_nc_u64_e32 v[20:21], s[10:11], v[20:21]
	v_add_nc_u64_e32 v[24:25], s[10:11], v[24:25]
	v_add_nc_u64_e32 v[26:27], s[10:11], v[26:27]
	v_add_nc_u64_e32 v[30:31], s[10:11], v[30:31]
	v_add_nc_u64_e32 v[32:33], s[10:11], v[32:33]
	s_cbranch_vccnz .LBB68_441
.LBB68_217:                             ; =>This Inner Loop Header: Depth=1
	v_add_nc_u64_e32 v[38:39], s[12:13], v[0:1]
	v_dual_mov_b32 v44, 0 :: v_dual_mov_b32 v45, 0
	s_delay_alu instid0(VALU_DEP_2)
	v_cmp_lt_u64_e64 s0, v[38:39], v[4:5]
	s_and_saveexec_b32 s1, s0
	s_cbranch_execz .LBB68_219
; %bb.218:                              ;   in Loop: Header=BB68_217 Depth=1
	v_add_nc_u64_e32 v[38:39], s[6:7], v[10:11]
	global_load_b64 v[44:45], v[38:39], off
.LBB68_219:                             ;   in Loop: Header=BB68_217 Depth=1
	s_wait_xcnt 0x0
	s_or_b32 exec_lo, exec_lo, s1
	v_add_nc_u64_e32 v[38:39], s[12:13], v[16:17]
	v_dual_mov_b32 v42, 0 :: v_dual_mov_b32 v46, 0
	v_mov_b32_e32 v47, 0
	s_delay_alu instid0(VALU_DEP_3)
	v_cmp_lt_u64_e64 s1, v[38:39], v[4:5]
	s_and_saveexec_b32 s2, s1
	s_cbranch_execz .LBB68_221
; %bb.220:                              ;   in Loop: Header=BB68_217 Depth=1
	v_add_nc_u64_e32 v[38:39], s[6:7], v[30:31]
	global_load_b64 v[46:47], v[38:39], off
.LBB68_221:                             ;   in Loop: Header=BB68_217 Depth=1
	s_wait_xcnt 0x0
	s_or_b32 exec_lo, exec_lo, s2
	v_add_nc_u64_e32 v[38:39], s[12:13], v[28:29]
	v_mov_b32_e32 v43, 0
	s_delay_alu instid0(VALU_DEP_2)
	v_cmp_lt_u64_e64 s2, v[38:39], v[4:5]
	s_and_saveexec_b32 s3, s2
	s_cbranch_execz .LBB68_223
; %bb.222:                              ;   in Loop: Header=BB68_217 Depth=1
	v_add_nc_u64_e32 v[38:39], s[6:7], v[24:25]
	global_load_b64 v[42:43], v[38:39], off
.LBB68_223:                             ;   in Loop: Header=BB68_217 Depth=1
	s_wait_xcnt 0x0
	s_or_b32 exec_lo, exec_lo, s3
	v_add_nc_u64_e32 v[40:41], s[12:13], v[22:23]
	v_mov_b32_e32 v38, 0
	s_delay_alu instid0(VALU_DEP_1) | instskip(NEXT) | instid1(VALU_DEP_3)
	v_mov_b32_e32 v39, v38
	v_cmp_lt_u64_e64 s3, v[40:41], v[4:5]
	s_and_saveexec_b32 s4, s3
	s_cbranch_execz .LBB68_225
; %bb.224:                              ;   in Loop: Header=BB68_217 Depth=1
	v_add_nc_u64_e32 v[38:39], s[6:7], v[18:19]
	global_load_b64 v[38:39], v[38:39], off
.LBB68_225:                             ;   in Loop: Header=BB68_217 Depth=1
	s_wait_xcnt 0x0
	s_or_b32 exec_lo, exec_lo, s4
	s_wait_loadcnt 0x0
	v_cmp_neq_f32_e32 vcc_lo, 0, v44
	v_cmp_nle_f32_e64 s4, |v45|, 1.0
	flat_store_b32 v[6:7], v48 scope:SCOPE_SYS
	s_wait_storecnt 0x0
                                        ; implicit-def: $vgpr41
	s_or_b32 s4, vcc_lo, s4
	s_wait_xcnt 0x0
	s_and_saveexec_b32 s15, s4
	s_delay_alu instid0(SALU_CYCLE_1)
	s_xor_b32 s15, exec_lo, s15
	s_cbranch_execz .LBB68_275
; %bb.226:                              ;   in Loop: Header=BB68_217 Depth=1
                                        ; implicit-def: $vgpr41
	s_mov_b32 s4, exec_lo
	v_cmpx_neq_f32_e32 0, v45
	s_xor_b32 s16, exec_lo, s4
	s_cbranch_execz .LBB68_272
; %bb.227:                              ;   in Loop: Header=BB68_217 Depth=1
                                        ; implicit-def: $vgpr41
	s_mov_b32 s4, exec_lo
	v_cmpx_o_f32_e32 v45, v44
	s_xor_b32 s17, exec_lo, s4
	s_cbranch_execz .LBB68_261
; %bb.228:                              ;   in Loop: Header=BB68_217 Depth=1
	s_wait_dscnt 0x1
	v_max_num_f32_e64 v35, |v44|, |v44|
	v_max_num_f32_e64 v37, |v45|, |v45|
                                        ; implicit-def: $vgpr41
	s_mov_b32 s4, exec_lo
	s_delay_alu instid0(VALU_DEP_1) | instskip(NEXT) | instid1(VALU_DEP_1)
	v_max_num_f32_e32 v37, v37, v35
	v_cmpx_nlt_f32_e32 0x4b000000, v37
	s_xor_b32 s18, exec_lo, s4
	s_cbranch_execz .LBB68_246
; %bb.229:                              ;   in Loop: Header=BB68_217 Depth=1
	v_cmp_ngt_f32_e64 s4, 0x399cc471, |v45|
	v_cmp_ngt_f32_e64 s19, 0x399cc471, |v44|
                                        ; implicit-def: $vgpr41
	s_or_b32 s4, s4, s19
	s_delay_alu instid0(SALU_CYCLE_1) | instskip(NEXT) | instid1(SALU_CYCLE_1)
	s_and_saveexec_b32 s19, s4
	s_xor_b32 s19, exec_lo, s19
	s_cbranch_execz .LBB68_243
; %bb.230:                              ;   in Loop: Header=BB68_217 Depth=1
	v_cmp_neq_f32_e64 s20, |v45|, 1.0
	v_cmp_ngt_f32_e64 s4, 0x34000000, |v44|
                                        ; implicit-def: $vgpr37
	s_or_b32 s21, s20, s4
	s_delay_alu instid0(SALU_CYCLE_1) | instskip(NEXT) | instid1(SALU_CYCLE_1)
	s_and_saveexec_b32 s22, s21
	s_xor_b32 s21, exec_lo, s22
	s_cbranch_execz .LBB68_232
; %bb.231:                              ;   in Loop: Header=BB68_217 Depth=1
	v_add_f32_e64 v41, |v45|, -1.0
	v_mov_b32_e32 v40, v44
	v_cmp_gt_f32_e64 vcc_lo, 0x20000000, |v44|
	v_mul_f32_e64 v37, |v45|, 4.0
	s_delay_alu instid0(VALU_DEP_3) | instskip(NEXT) | instid1(VALU_DEP_1)
	v_pk_mul_f32 v[40:41], v[40:41], v[40:41]
	v_add_f32_e32 v40, v40, v41
	s_delay_alu instid0(VALU_DEP_1) | instskip(NEXT) | instid1(VALU_DEP_1)
	v_cndmask_b32_e32 v40, v40, v41, vcc_lo
	v_div_scale_f32 v41, null, v40, v40, v37
	s_delay_alu instid0(VALU_DEP_1) | instskip(SKIP_1) | instid1(TRANS32_DEP_1)
	v_rcp_f32_e32 v51, v41
	v_nop
	v_fma_f32 v52, -v41, v51, 1.0
	s_delay_alu instid0(VALU_DEP_1) | instskip(SKIP_1) | instid1(VALU_DEP_1)
	v_fmac_f32_e32 v51, v52, v51
	v_div_scale_f32 v52, vcc_lo, v37, v40, v37
	v_mul_f32_e32 v53, v52, v51
	s_delay_alu instid0(VALU_DEP_1) | instskip(NEXT) | instid1(VALU_DEP_1)
	v_fma_f32 v54, -v41, v53, v52
	v_fmac_f32_e32 v53, v54, v51
	s_delay_alu instid0(VALU_DEP_1) | instskip(NEXT) | instid1(VALU_DEP_1)
	v_fma_f32 v41, -v41, v53, v52
	v_div_fmas_f32 v41, v41, v51, v53
	s_delay_alu instid0(VALU_DEP_1) | instskip(NEXT) | instid1(VALU_DEP_1)
	v_div_fixup_f32 v40, v41, v40, v37
	v_add_f32_e32 v53, 1.0, v40
	s_delay_alu instid0(VALU_DEP_1) | instskip(NEXT) | instid1(VALU_DEP_1)
	v_add_f32_e32 v41, -1.0, v53
	v_mov_b32_e32 v52, v41
	s_delay_alu instid0(VALU_DEP_1) | instskip(NEXT) | instid1(VALU_DEP_1)
	v_pk_add_f32 v[54:55], v[40:41], v[52:53] neg_lo:[0,1] neg_hi:[0,1]
	v_add_f32_e32 v37, 1.0, v55
	v_frexp_mant_f32_e32 v41, v53
	s_delay_alu instid0(VALU_DEP_2) | instskip(SKIP_1) | instid1(VALU_DEP_3)
	v_add_f32_e32 v37, v54, v37
	v_cvt_f64_f32_e32 v[54:55], v53
	v_cmp_gt_f32_e32 vcc_lo, 0x3f2aaaab, v41
	s_delay_alu instid0(VALU_DEP_2) | instskip(NEXT) | instid1(VALU_DEP_1)
	v_frexp_exp_i32_f64_e32 v41, v[54:55]
	v_subrev_co_ci_u32_e64 v41, null, 0, v41, vcc_lo
	v_cmp_neq_f32_e32 vcc_lo, 0x7f800000, v40
	s_delay_alu instid0(VALU_DEP_2) | instskip(NEXT) | instid1(VALU_DEP_1)
	v_sub_nc_u32_e32 v51, 0, v41
	v_ldexp_f32 v52, v53, v51
	v_ldexp_f32 v37, v37, v51
	s_delay_alu instid0(VALU_DEP_2) | instskip(NEXT) | instid1(VALU_DEP_1)
	v_add_f32_e32 v51, -1.0, v52
	v_add_f32_e32 v53, 1.0, v51
	s_delay_alu instid0(VALU_DEP_1) | instskip(NEXT) | instid1(VALU_DEP_1)
	v_sub_f32_e32 v53, v52, v53
	v_dual_add_f32 v54, v37, v53 :: v_dual_add_f32 v53, 1.0, v52
	s_delay_alu instid0(VALU_DEP_1) | instskip(NEXT) | instid1(VALU_DEP_1)
	v_add_f32_e32 v55, -1.0, v53
	v_sub_f32_e32 v52, v52, v55
	s_delay_alu instid0(VALU_DEP_1) | instskip(NEXT) | instid1(VALU_DEP_1)
	v_add_f32_e32 v37, v37, v52
	v_add_f32_e32 v60, v53, v37
	s_delay_alu instid0(VALU_DEP_1) | instskip(SKIP_1) | instid1(VALU_DEP_1)
	v_dual_sub_f32 v52, v60, v53 :: v_dual_add_f32 v53, v51, v54
	v_rcp_f32_e32 v61, v60
	v_sub_f32_e32 v51, v53, v51
	s_delay_alu instid0(VALU_DEP_2)
	v_sub_f32_e32 v37, v37, v52
	s_delay_alu instid0(TRANS32_DEP_1) | instid1(VALU_DEP_2)
	v_dual_mul_f32 v62, v53, v61 :: v_dual_sub_f32 v51, v54, v51
	s_delay_alu instid0(VALU_DEP_1) | instskip(NEXT) | instid1(VALU_DEP_1)
	v_mul_f32_e32 v54, v60, v62
	v_fma_f32 v56, v62, v60, -v54
	s_delay_alu instid0(VALU_DEP_1) | instskip(NEXT) | instid1(VALU_DEP_1)
	v_fmac_f32_e32 v56, v62, v37
	v_add_f32_e32 v52, v54, v56
	s_delay_alu instid0(VALU_DEP_1) | instskip(NEXT) | instid1(VALU_DEP_1)
	v_dual_sub_f32 v55, v53, v52 :: v_dual_mov_b32 v57, v52
	v_pk_add_f32 v[58:59], v[52:53], v[54:55] neg_lo:[0,1] neg_hi:[0,1]
	s_delay_alu instid0(VALU_DEP_1) | instskip(NEXT) | instid1(VALU_DEP_1)
	v_pk_add_f32 v[52:53], v[58:59], v[56:57] neg_lo:[0,1] neg_hi:[0,1]
	v_add_f32_e32 v51, v51, v53
	s_delay_alu instid0(VALU_DEP_1) | instskip(NEXT) | instid1(VALU_DEP_1)
	v_add_f32_e32 v51, v52, v51
	v_add_f32_e32 v53, v55, v51
	s_delay_alu instid0(VALU_DEP_1) | instskip(NEXT) | instid1(VALU_DEP_1)
	v_mul_f32_e32 v63, v61, v53
	v_mul_f32_e32 v54, v60, v63
	s_delay_alu instid0(VALU_DEP_1) | instskip(NEXT) | instid1(VALU_DEP_1)
	v_fma_f32 v56, v63, v60, -v54
	v_fmac_f32_e32 v56, v63, v37
	s_delay_alu instid0(VALU_DEP_1) | instskip(NEXT) | instid1(VALU_DEP_1)
	v_dual_add_f32 v52, v54, v56 :: v_dual_sub_f32 v37, v55, v53
	v_dual_sub_f32 v55, v53, v52 :: v_dual_mov_b32 v57, v52
	s_delay_alu instid0(VALU_DEP_2) | instskip(NEXT) | instid1(VALU_DEP_2)
	v_dual_add_f32 v37, v51, v37 :: v_dual_add_f32 v51, v62, v63
	v_pk_add_f32 v[58:59], v[52:53], v[54:55] neg_lo:[0,1] neg_hi:[0,1]
	s_delay_alu instid0(VALU_DEP_1) | instskip(NEXT) | instid1(VALU_DEP_1)
	v_pk_add_f32 v[52:53], v[58:59], v[56:57] neg_lo:[0,1] neg_hi:[0,1]
	v_add_f32_e32 v37, v37, v53
	s_delay_alu instid0(VALU_DEP_1) | instskip(NEXT) | instid1(VALU_DEP_1)
	v_dual_add_f32 v37, v52, v37 :: v_dual_sub_f32 v52, v51, v62
	v_sub_f32_e32 v52, v63, v52
	s_delay_alu instid0(VALU_DEP_2) | instskip(NEXT) | instid1(VALU_DEP_1)
	v_add_f32_e32 v37, v55, v37
	v_mul_f32_e32 v37, v61, v37
	s_delay_alu instid0(VALU_DEP_1) | instskip(SKIP_1) | instid1(VALU_DEP_2)
	v_add_f32_e32 v53, v52, v37
	v_cvt_f32_i32_e32 v52, v41
	v_add_f32_e32 v54, v51, v53
	s_delay_alu instid0(VALU_DEP_1) | instskip(NEXT) | instid1(VALU_DEP_1)
	v_mul_f32_e32 v56, v54, v54
	v_fmaak_f32 v37, s5, v56, 0x3ecc95a3
	v_sub_f32_e32 v41, v54, v51
	v_ldexp_f32 v55, v54, 1
	s_delay_alu instid0(VALU_DEP_3) | instskip(NEXT) | instid1(VALU_DEP_3)
	v_fmaak_f32 v37, v56, v37, 0x3f2aaada
	v_dual_sub_f32 v41, v53, v41 :: v_dual_mul_f32 v53, v54, v56
	s_delay_alu instid0(VALU_DEP_1) | instskip(NEXT) | instid1(VALU_DEP_2)
	v_ldexp_f32 v41, v41, 1
	v_pk_mul_f32 v[56:57], v[52:53], v[36:37]
	s_delay_alu instid0(VALU_DEP_1) | instskip(SKIP_1) | instid1(VALU_DEP_2)
	v_fma_f32 v54, 0x3f317218, v52, -v56
	v_mov_b32_e32 v58, v56
	v_fmac_f32_e32 v54, 0xb102e308, v52
	s_delay_alu instid0(VALU_DEP_1) | instskip(NEXT) | instid1(VALU_DEP_1)
	v_pk_add_f32 v[52:53], v[56:57], v[54:55]
	v_dual_sub_f32 v37, v53, v55 :: v_dual_mov_b32 v55, v52
	s_delay_alu instid0(VALU_DEP_1) | instskip(SKIP_1) | instid1(VALU_DEP_2)
	v_sub_f32_e32 v37, v57, v37
	v_pk_add_f32 v[56:57], v[52:53], v[56:57] neg_lo:[0,1] neg_hi:[0,1]
	v_add_f32_e32 v59, v41, v37
	s_delay_alu instid0(VALU_DEP_1) | instskip(NEXT) | instid1(VALU_DEP_1)
	v_pk_add_f32 v[60:61], v[52:53], v[58:59]
	v_mov_b32_e32 v57, v61
	s_delay_alu instid0(VALU_DEP_1) | instskip(SKIP_1) | instid1(VALU_DEP_1)
	v_pk_add_f32 v[62:63], v[54:55], v[56:57] neg_lo:[0,1] neg_hi:[0,1]
	v_pk_add_f32 v[54:55], v[54:55], v[56:57]
	v_dual_mov_b32 v54, v61 :: v_dual_mov_b32 v56, v55
	v_dual_mov_b32 v63, v55 :: v_dual_mov_b32 v58, v59
	v_mov_b32_e32 v59, v52
	s_delay_alu instid0(VALU_DEP_3) | instskip(NEXT) | instid1(VALU_DEP_1)
	v_pk_add_f32 v[64:65], v[56:57], v[52:53] neg_lo:[0,1] neg_hi:[0,1]
	v_mov_b32_e32 v37, v64
	s_delay_alu instid0(VALU_DEP_1) | instskip(SKIP_2) | instid1(VALU_DEP_2)
	v_pk_add_f32 v[66:67], v[60:61], v[36:37] neg_lo:[0,1] neg_hi:[0,1]
	v_dual_mov_b32 v60, v53 :: v_dual_mov_b32 v61, v64
	v_mov_b32_e32 v66, v62
	v_pk_add_f32 v[54:55], v[54:55], v[60:61] neg_lo:[0,1] neg_hi:[0,1]
	s_delay_alu instid0(VALU_DEP_1) | instskip(NEXT) | instid1(VALU_DEP_1)
	v_pk_add_f32 v[52:53], v[58:59], v[54:55] neg_lo:[0,1] neg_hi:[0,1]
	v_pk_add_f32 v[54:55], v[66:67], v[52:53]
	s_delay_alu instid0(VALU_DEP_1) | instskip(NEXT) | instid1(VALU_DEP_1)
	v_mov_b32_e32 v58, v55
	v_pk_add_f32 v[58:59], v[54:55], v[58:59]
	s_delay_alu instid0(VALU_DEP_1) | instskip(NEXT) | instid1(VALU_DEP_1)
	v_pk_add_f32 v[56:57], v[56:57], v[58:59]
	v_mov_b32_e32 v55, v56
	s_delay_alu instid0(VALU_DEP_1) | instskip(NEXT) | instid1(VALU_DEP_1)
	v_pk_add_f32 v[60:61], v[54:55], v[62:63] neg_lo:[0,1] neg_hi:[0,1]
	v_sub_f32_e32 v37, v54, v60
	s_delay_alu instid0(VALU_DEP_1) | instskip(SKIP_1) | instid1(VALU_DEP_1)
	v_sub_f32_e32 v37, v62, v37
	v_mov_b32_e32 v53, v58
	v_pk_add_f32 v[52:53], v[52:53], v[60:61] neg_lo:[0,1] neg_hi:[0,1]
	s_delay_alu instid0(VALU_DEP_1) | instskip(NEXT) | instid1(VALU_DEP_1)
	v_add_f32_e32 v37, v52, v37
	v_add_f32_e32 v37, v37, v53
	s_delay_alu instid0(VALU_DEP_1) | instskip(NEXT) | instid1(VALU_DEP_1)
	v_add_f32_e32 v37, v56, v37
	v_cndmask_b32_e32 v37, 0x7f800000, v37, vcc_lo
	v_cmp_ngt_f32_e32 vcc_lo, -1.0, v40
	s_delay_alu instid0(VALU_DEP_2) | instskip(SKIP_1) | instid1(VALU_DEP_2)
	v_cndmask_b32_e32 v37, 0x7fc00000, v37, vcc_lo
	v_cmp_neq_f32_e32 vcc_lo, -1.0, v40
	v_cndmask_b32_e32 v37, 0xff800000, v37, vcc_lo
	v_cmp_gt_f32_e64 vcc_lo, 0x33800000, |v40|
	s_delay_alu instid0(VALU_DEP_2) | instskip(NEXT) | instid1(VALU_DEP_1)
	v_cndmask_b32_e32 v37, v37, v40, vcc_lo
	v_mul_f32_e32 v37, 0x3e800000, v37
	s_and_not1_saveexec_b32 s21, s21
	s_cbranch_execz .LBB68_234
	s_branch .LBB68_233
.LBB68_232:                             ;   in Loop: Header=BB68_217 Depth=1
	s_and_not1_saveexec_b32 s21, s21
	s_cbranch_execz .LBB68_234
.LBB68_233:                             ;   in Loop: Header=BB68_217 Depth=1
	v_cmp_gt_f32_e64 s22, 0x800000, |v44|
	s_delay_alu instid0(VALU_DEP_1) | instskip(NEXT) | instid1(VALU_DEP_1)
	v_cndmask_b32_e64 v37, 0, 32, s22
	v_ldexp_f32 v37, |v44|, v37
	s_delay_alu instid0(VALU_DEP_1) | instskip(SKIP_1) | instid1(TRANS32_DEP_1)
	v_log_f32_e32 v37, v37
	v_nop
	v_mul_f32_e32 v40, 0x3f317217, v37
	v_cmp_gt_f32_e64 vcc_lo, 0x7f800000, |v37|
	s_delay_alu instid0(VALU_DEP_2) | instskip(NEXT) | instid1(VALU_DEP_1)
	v_fma_f32 v40, 0x3f317217, v37, -v40
	v_fmac_f32_e32 v40, 0x3377d1cf, v37
	s_delay_alu instid0(VALU_DEP_1) | instskip(NEXT) | instid1(VALU_DEP_1)
	v_fmac_f32_e32 v40, 0x3f317217, v37
	v_cndmask_b32_e32 v37, v37, v40, vcc_lo
	v_cndmask_b32_e64 v40, 0, 0x41b17218, s22
	s_delay_alu instid0(VALU_DEP_1) | instskip(NEXT) | instid1(VALU_DEP_1)
	v_sub_f32_e32 v37, v37, v40
	v_sub_f32_e32 v37, 0x3f317218, v37
	s_delay_alu instid0(VALU_DEP_1)
	v_mul_f32_e32 v37, 0.5, v37
.LBB68_234:                             ;   in Loop: Header=BB68_217 Depth=1
	s_or_b32 exec_lo, exec_lo, s21
                                        ; implicit-def: $vgpr41
	s_and_saveexec_b32 s21, s20
	s_delay_alu instid0(SALU_CYCLE_1)
	s_xor_b32 s20, exec_lo, s21
	s_cbranch_execz .LBB68_240
; %bb.235:                              ;   in Loop: Header=BB68_217 Depth=1
	v_sub_f32_e64 v40, 1.0, |v45|
	v_add_f32_e64 v41, |v45|, 1.0
	v_add_f32_e64 v35, |v44|, |v44|
	s_delay_alu instid0(VALU_DEP_2) | instskip(SKIP_1) | instid1(SALU_CYCLE_1)
	v_mul_f32_e32 v40, v40, v41
                                        ; implicit-def: $vgpr41
	s_and_saveexec_b32 s21, s4
	s_xor_b32 s21, exec_lo, s21
	s_cbranch_execz .LBB68_237
; %bb.236:                              ;   in Loop: Header=BB68_217 Depth=1
	s_delay_alu instid0(VALU_DEP_1) | instskip(NEXT) | instid1(VALU_DEP_1)
	v_dual_fma_f32 v40, -v44, v44, v40 :: v_dual_max_num_f32 v41, v35, v35
	v_cmp_gt_f32_e64 vcc_lo, v35, |v40|
	s_delay_alu instid0(VALU_DEP_2) | instskip(SKIP_3) | instid1(VALU_DEP_4)
	v_max_num_f32_e64 v51, |v40|, v41
	v_min_num_f32_e64 v41, |v40|, v41
	v_cmp_gt_i32_e64 s4, 0, v40
	v_cmp_class_f32_e64 s22, v40, 0x204
	v_frexp_mant_f32_e32 v52, v51
	v_frexp_exp_i32_f32_e32 v51, v51
	v_frexp_exp_i32_f32_e32 v53, v41
	v_frexp_mant_f32_e32 v41, v41
	s_delay_alu instid0(VALU_DEP_4) | instskip(NEXT) | instid1(VALU_DEP_2)
	v_rcp_f32_e32 v52, v52
	v_sub_nc_u32_e32 v51, v53, v51
	s_delay_alu instid0(TRANS32_DEP_1) | instskip(NEXT) | instid1(VALU_DEP_1)
	v_mul_f32_e32 v41, v41, v52
	v_ldexp_f32 v41, v41, v51
	s_delay_alu instid0(VALU_DEP_1) | instskip(NEXT) | instid1(VALU_DEP_1)
	v_mul_f32_e32 v51, v41, v41
	v_fmaak_f32 v52, s14, v51, 0xbc7a590c
	s_delay_alu instid0(VALU_DEP_1) | instskip(NEXT) | instid1(VALU_DEP_1)
	v_fmaak_f32 v52, v51, v52, 0x3d29fb3f
	v_fmaak_f32 v52, v51, v52, 0xbd97d4d7
	s_delay_alu instid0(VALU_DEP_1) | instskip(NEXT) | instid1(VALU_DEP_1)
	v_fmaak_f32 v52, v51, v52, 0x3dd931b2
	;; [unrolled: 3-line block ×3, first 2 shown]
	v_fmaak_f32 v52, v51, v52, 0xbeaaaa62
	s_delay_alu instid0(VALU_DEP_1) | instskip(NEXT) | instid1(VALU_DEP_1)
	v_mul_f32_e32 v51, v51, v52
	v_fmac_f32_e32 v41, v41, v51
	s_delay_alu instid0(VALU_DEP_1) | instskip(NEXT) | instid1(VALU_DEP_1)
	v_sub_f32_e32 v51, 0x3fc90fdb, v41
	v_cndmask_b32_e32 v41, v41, v51, vcc_lo
	v_cmp_gt_f32_e32 vcc_lo, 0, v40
	s_delay_alu instid0(VALU_DEP_2) | instskip(SKIP_1) | instid1(VALU_DEP_2)
	v_sub_f32_e32 v51, 0x40490fdb, v41
	v_cndmask_b32_e32 v52, 0x3f490fdb, v50, vcc_lo
	v_cndmask_b32_e32 v41, v41, v51, vcc_lo
	v_cndmask_b32_e64 v51, 0, 0x40490fdb, s4
	v_cmp_eq_f32_e64 s4, 0, v35
	v_cmp_eq_f32_e32 vcc_lo, 0x7f800000, v35
	s_delay_alu instid0(VALU_DEP_2) | instskip(SKIP_1) | instid1(VALU_DEP_1)
	v_cndmask_b32_e64 v35, |v41|, v51, s4
	s_and_b32 vcc_lo, vcc_lo, s22
	v_cndmask_b32_e32 v35, v35, v52, vcc_lo
	v_cmp_o_f32_e32 vcc_lo, v40, v40
                                        ; implicit-def: $vgpr40
	s_delay_alu instid0(VALU_DEP_2)
	v_cndmask_b32_e32 v41, 0x7fc00000, v35, vcc_lo
                                        ; implicit-def: $vgpr35
.LBB68_237:                             ;   in Loop: Header=BB68_217 Depth=1
	s_and_not1_saveexec_b32 s21, s21
	s_cbranch_execz .LBB68_239
; %bb.238:                              ;   in Loop: Header=BB68_217 Depth=1
	v_max_num_f32_e32 v41, v35, v35
	v_max_num_f32_e64 v51, |v40|, |v40|
	v_cmp_gt_f32_e64 vcc_lo, v35, |v40|
	v_cmp_gt_i32_e64 s4, 0, v40
	v_cmp_class_f32_e64 s22, v40, 0x204
	s_delay_alu instid0(VALU_DEP_4) | instskip(NEXT) | instid1(VALU_DEP_1)
	v_dual_max_num_f32 v52, v51, v41 :: v_dual_min_num_f32 v41, v51, v41
	v_frexp_mant_f32_e32 v53, v52
	v_frexp_exp_i32_f32_e32 v51, v52
	s_delay_alu instid0(VALU_DEP_2) | instskip(SKIP_3) | instid1(VALU_DEP_2)
	v_rcp_f32_e32 v52, v53
	v_nop
	v_frexp_exp_i32_f32_e32 v53, v41
	v_frexp_mant_f32_e32 v41, v41
	v_sub_nc_u32_e32 v51, v53, v51
	s_delay_alu instid0(TRANS32_DEP_1) | instid1(VALU_DEP_2)
	v_mul_f32_e32 v41, v41, v52
	s_delay_alu instid0(VALU_DEP_1) | instskip(NEXT) | instid1(VALU_DEP_1)
	v_ldexp_f32 v41, v41, v51
	v_mul_f32_e32 v51, v41, v41
	s_delay_alu instid0(VALU_DEP_1) | instskip(NEXT) | instid1(VALU_DEP_1)
	v_fmaak_f32 v52, s14, v51, 0xbc7a590c
	v_fmaak_f32 v52, v51, v52, 0x3d29fb3f
	s_delay_alu instid0(VALU_DEP_1) | instskip(NEXT) | instid1(VALU_DEP_1)
	v_fmaak_f32 v52, v51, v52, 0xbd97d4d7
	v_fmaak_f32 v52, v51, v52, 0x3dd931b2
	;; [unrolled: 3-line block ×3, first 2 shown]
	s_delay_alu instid0(VALU_DEP_1) | instskip(NEXT) | instid1(VALU_DEP_1)
	v_fmaak_f32 v52, v51, v52, 0xbeaaaa62
	v_mul_f32_e32 v51, v51, v52
	s_delay_alu instid0(VALU_DEP_1) | instskip(NEXT) | instid1(VALU_DEP_1)
	v_fmac_f32_e32 v41, v41, v51
	v_sub_f32_e32 v51, 0x3fc90fdb, v41
	s_delay_alu instid0(VALU_DEP_1) | instskip(SKIP_1) | instid1(VALU_DEP_2)
	v_cndmask_b32_e32 v41, v41, v51, vcc_lo
	v_cmp_gt_f32_e32 vcc_lo, 0, v40
	v_sub_f32_e32 v51, 0x40490fdb, v41
	v_cndmask_b32_e32 v52, 0x3f490fdb, v50, vcc_lo
	s_delay_alu instid0(VALU_DEP_2) | instskip(SKIP_3) | instid1(VALU_DEP_2)
	v_cndmask_b32_e32 v41, v41, v51, vcc_lo
	v_cndmask_b32_e64 v51, 0, 0x40490fdb, s4
	v_cmp_eq_f32_e64 s4, 0, v35
	v_cmp_eq_f32_e32 vcc_lo, 0x7f800000, v35
	v_cndmask_b32_e64 v35, |v41|, v51, s4
	s_and_b32 vcc_lo, vcc_lo, s22
	s_delay_alu instid0(VALU_DEP_1) | instskip(SKIP_1) | instid1(VALU_DEP_2)
	v_cndmask_b32_e32 v35, v35, v52, vcc_lo
	v_cmp_o_f32_e32 vcc_lo, v40, v40
	v_cndmask_b32_e32 v41, 0x7fc00000, v35, vcc_lo
.LBB68_239:                             ;   in Loop: Header=BB68_217 Depth=1
	s_or_b32 exec_lo, exec_lo, s21
                                        ; implicit-def: $vgpr35
	s_and_not1_saveexec_b32 s4, s20
	s_cbranch_execnz .LBB68_241
	s_branch .LBB68_242
.LBB68_240:                             ;   in Loop: Header=BB68_217 Depth=1
	s_and_not1_saveexec_b32 s4, s20
	s_cbranch_execz .LBB68_242
.LBB68_241:                             ;   in Loop: Header=BB68_217 Depth=1
	v_dual_max_num_f32 v40, 2.0, v35 :: v_dual_min_num_f32 v35, 2.0, v35
	v_cmp_lt_f32_e64 vcc_lo, |v44|, 2.0
	s_delay_alu instid0(VALU_DEP_2) | instskip(SKIP_1) | instid1(VALU_DEP_4)
	v_frexp_mant_f32_e32 v41, v40
	v_frexp_exp_i32_f32_e32 v40, v40
	v_frexp_mant_f32_e32 v51, v35
	v_frexp_exp_i32_f32_e32 v35, v35
	s_delay_alu instid0(VALU_DEP_4) | instskip(NEXT) | instid1(VALU_DEP_1)
	v_rcp_f32_e32 v41, v41
	v_sub_nc_u32_e32 v35, v35, v40
	s_delay_alu instid0(TRANS32_DEP_1) | instskip(NEXT) | instid1(VALU_DEP_1)
	v_mul_f32_e32 v41, v51, v41
	v_ldexp_f32 v35, v41, v35
	s_delay_alu instid0(VALU_DEP_1) | instskip(NEXT) | instid1(VALU_DEP_1)
	v_mul_f32_e32 v40, v35, v35
	v_fmaak_f32 v41, s14, v40, 0xbc7a590c
	s_delay_alu instid0(VALU_DEP_1) | instskip(NEXT) | instid1(VALU_DEP_1)
	v_fmaak_f32 v41, v40, v41, 0x3d29fb3f
	v_fmaak_f32 v41, v40, v41, 0xbd97d4d7
	s_delay_alu instid0(VALU_DEP_1) | instskip(NEXT) | instid1(VALU_DEP_1)
	v_fmaak_f32 v41, v40, v41, 0x3dd931b2
	;; [unrolled: 3-line block ×3, first 2 shown]
	v_fmaak_f32 v41, v40, v41, 0xbeaaaa62
	s_delay_alu instid0(VALU_DEP_1) | instskip(NEXT) | instid1(VALU_DEP_1)
	v_mul_f32_e32 v40, v40, v41
	v_fmac_f32_e32 v35, v35, v40
	s_delay_alu instid0(VALU_DEP_1) | instskip(NEXT) | instid1(VALU_DEP_1)
	v_sub_f32_e32 v40, 0x3fc90fdb, v35
	v_cndmask_b32_e32 v35, v35, v40, vcc_lo
	v_cmp_lg_f32_e32 vcc_lo, 0, v44
	s_delay_alu instid0(VALU_DEP_2) | instskip(NEXT) | instid1(VALU_DEP_1)
	v_sub_f32_e32 v40, 0x40490fdb, v35
	v_cndmask_b32_e32 v35, v35, v40, vcc_lo
	s_delay_alu instid0(VALU_DEP_1)
	v_and_b32_e32 v41, 0x7fffffff, v35
.LBB68_242:                             ;   in Loop: Header=BB68_217 Depth=1
	s_or_b32 exec_lo, exec_lo, s4
	s_delay_alu instid0(VALU_DEP_1) | instskip(SKIP_1) | instid1(VALU_DEP_2)
	v_mul_f32_e32 v35, 0.5, v41
	v_bfi_b32 v41, 0x7fffffff, v37, v45
	v_bfi_b32 v40, 0x7fffffff, v35, v44
                                        ; implicit-def: $vgpr45
.LBB68_243:                             ;   in Loop: Header=BB68_217 Depth=1
	s_and_not1_saveexec_b32 s4, s19
	s_cbranch_execz .LBB68_245
; %bb.244:                              ;   in Loop: Header=BB68_217 Depth=1
	flat_store_b32 v[8:9], v49 scope:SCOPE_SYS
	s_wait_storecnt 0x0
	flat_load_b32 v35, v[8:9] scope:SCOPE_SYS
	s_wait_loadcnt 0x0
	v_dual_mov_b32 v40, v44 :: v_dual_mov_b32 v41, v45
	s_wait_dscnt 0x0
	v_add_f32_e32 v35, 1.0, v35
	flat_store_b32 v[14:15], v35 scope:SCOPE_SYS
	s_wait_storecnt 0x0
	flat_load_b32 v35, v[14:15] scope:SCOPE_SYS
	s_wait_loadcnt 0x0
.LBB68_245:                             ;   in Loop: Header=BB68_217 Depth=1
	s_wait_xcnt 0x0
	s_or_b32 exec_lo, exec_lo, s4
                                        ; implicit-def: $vgpr44
.LBB68_246:                             ;   in Loop: Header=BB68_217 Depth=1
	s_and_not1_saveexec_b32 s4, s18
	s_cbranch_execz .LBB68_260
; %bb.247:                              ;   in Loop: Header=BB68_217 Depth=1
	s_wait_dscnt 0x0
	v_and_b32_e32 v35, 0x7f800000, v45
	v_and_b32_e32 v37, 0x7f800000, v44
	v_cmp_neq_f32_e64 s18, 0x7f800000, |v45|
                                        ; implicit-def: $vgpr41
	s_delay_alu instid0(VALU_DEP_2) | instskip(NEXT) | instid1(VALU_DEP_1)
	v_sub_nc_u32_e32 v40, v35, v37
	v_cmp_gt_i32_e32 vcc_lo, 0x6800000, v40
	s_and_b32 s18, s18, vcc_lo
	s_delay_alu instid0(SALU_CYCLE_1) | instskip(NEXT) | instid1(SALU_CYCLE_1)
	s_and_saveexec_b32 s19, s18
	s_xor_b32 s18, exec_lo, s19
	s_cbranch_execz .LBB68_257
; %bb.248:                              ;   in Loop: Header=BB68_217 Depth=1
	v_sub_nc_u32_e32 v37, v37, v35
	s_mov_b32 s19, exec_lo
                                        ; implicit-def: $vgpr41
	s_delay_alu instid0(VALU_DEP_1)
	v_cmpx_gt_i32_e32 0x6800000, v37
	s_xor_b32 s19, exec_lo, s19
	s_cbranch_execz .LBB68_254
; %bb.249:                              ;   in Loop: Header=BB68_217 Depth=1
	s_mov_b32 s20, exec_lo
                                        ; implicit-def: $vgpr41
	v_cmpx_lt_u32_e32 0x59000000, v35
	s_xor_b32 s20, exec_lo, s20
	s_cbranch_execz .LBB68_251
; %bb.250:                              ;   in Loop: Header=BB68_217 Depth=1
	v_sub_nc_u32_e32 v40, 0x7f800000, v35
	s_delay_alu instid0(VALU_DEP_1) | instskip(NEXT) | instid1(VALU_DEP_1)
	v_pk_mul_f32 v[52:53], v[44:45], v[40:41] op_sel_hi:[1,0]
	v_pk_mul_f32 v[54:55], v[52:53], v[52:53]
	s_delay_alu instid0(VALU_DEP_1) | instskip(NEXT) | instid1(VALU_DEP_1)
	v_add_f32_e32 v35, v55, v54
	v_div_scale_f32 v37, null, v35, v35, v53
	s_delay_alu instid0(VALU_DEP_1) | instskip(SKIP_1) | instid1(TRANS32_DEP_1)
	v_rcp_f32_e32 v41, v37
	v_nop
	v_fma_f32 v45, -v37, v41, 1.0
	s_delay_alu instid0(VALU_DEP_1) | instskip(SKIP_1) | instid1(VALU_DEP_1)
	v_fmac_f32_e32 v41, v45, v41
	v_div_scale_f32 v45, vcc_lo, v53, v35, v53
	v_mul_f32_e32 v51, v45, v41
	s_delay_alu instid0(VALU_DEP_1) | instskip(NEXT) | instid1(VALU_DEP_1)
	v_fma_f32 v52, -v37, v51, v45
	v_fmac_f32_e32 v51, v52, v41
	s_delay_alu instid0(VALU_DEP_1) | instskip(NEXT) | instid1(VALU_DEP_1)
	v_fma_f32 v37, -v37, v51, v45
	v_div_fmas_f32 v37, v37, v41, v51
	s_delay_alu instid0(VALU_DEP_1) | instskip(NEXT) | instid1(VALU_DEP_1)
	v_div_fixup_f32 v35, v37, v35, v53
	v_mul_f32_e32 v41, v35, v40
.LBB68_251:                             ;   in Loop: Header=BB68_217 Depth=1
	s_and_not1_saveexec_b32 s20, s20
	s_cbranch_execz .LBB68_253
; %bb.252:                              ;   in Loop: Header=BB68_217 Depth=1
	v_pk_mul_f32 v[40:41], v[44:45], v[44:45]
	s_delay_alu instid0(VALU_DEP_1) | instskip(NEXT) | instid1(VALU_DEP_1)
	v_add_f32_e32 v35, v41, v40
	v_div_scale_f32 v37, null, v35, v35, v45
	s_delay_alu instid0(VALU_DEP_1) | instskip(SKIP_1) | instid1(TRANS32_DEP_1)
	v_rcp_f32_e32 v40, v37
	v_nop
	v_fma_f32 v41, -v37, v40, 1.0
	s_delay_alu instid0(VALU_DEP_1) | instskip(SKIP_1) | instid1(VALU_DEP_1)
	v_fmac_f32_e32 v40, v41, v40
	v_div_scale_f32 v41, vcc_lo, v45, v35, v45
	v_mul_f32_e32 v51, v41, v40
	s_delay_alu instid0(VALU_DEP_1) | instskip(NEXT) | instid1(VALU_DEP_1)
	v_fma_f32 v52, -v37, v51, v41
	v_fmac_f32_e32 v51, v52, v40
	s_delay_alu instid0(VALU_DEP_1) | instskip(NEXT) | instid1(VALU_DEP_1)
	v_fma_f32 v37, -v37, v51, v41
	v_div_fmas_f32 v37, v37, v40, v51
	s_delay_alu instid0(VALU_DEP_1)
	v_div_fixup_f32 v41, v37, v35, v45
.LBB68_253:                             ;   in Loop: Header=BB68_217 Depth=1
	s_or_b32 exec_lo, exec_lo, s20
.LBB68_254:                             ;   in Loop: Header=BB68_217 Depth=1
	s_and_not1_saveexec_b32 s19, s19
	s_cbranch_execz .LBB68_256
; %bb.255:                              ;   in Loop: Header=BB68_217 Depth=1
	v_div_scale_f32 v35, null, v44, v44, v45
	v_div_scale_f32 v41, vcc_lo, v45, v44, v45
	s_delay_alu instid0(VALU_DEP_2) | instskip(SKIP_1) | instid1(TRANS32_DEP_1)
	v_rcp_f32_e32 v37, v35
	v_nop
	v_fma_f32 v40, -v35, v37, 1.0
	s_delay_alu instid0(VALU_DEP_1) | instskip(NEXT) | instid1(VALU_DEP_1)
	v_fmac_f32_e32 v37, v40, v37
	v_mul_f32_e32 v40, v41, v37
	s_delay_alu instid0(VALU_DEP_1) | instskip(NEXT) | instid1(VALU_DEP_1)
	v_fma_f32 v51, -v35, v40, v41
	v_fmac_f32_e32 v40, v51, v37
	s_delay_alu instid0(VALU_DEP_1) | instskip(NEXT) | instid1(VALU_DEP_1)
	v_fma_f32 v35, -v35, v40, v41
	v_div_fmas_f32 v35, v35, v37, v40
	s_delay_alu instid0(VALU_DEP_1) | instskip(NEXT) | instid1(VALU_DEP_1)
	v_div_fixup_f32 v35, v35, v44, v45
	v_div_scale_f32 v37, null, v44, v44, v35
	s_delay_alu instid0(VALU_DEP_1) | instskip(SKIP_1) | instid1(TRANS32_DEP_1)
	v_rcp_f32_e32 v40, v37
	v_nop
	v_fma_f32 v41, -v37, v40, 1.0
	s_delay_alu instid0(VALU_DEP_1) | instskip(SKIP_1) | instid1(VALU_DEP_1)
	v_fmac_f32_e32 v40, v41, v40
	v_div_scale_f32 v41, vcc_lo, v35, v44, v35
	v_mul_f32_e32 v45, v41, v40
	s_delay_alu instid0(VALU_DEP_1) | instskip(NEXT) | instid1(VALU_DEP_1)
	v_fma_f32 v51, -v37, v45, v41
	v_fmac_f32_e32 v45, v51, v40
	s_delay_alu instid0(VALU_DEP_1) | instskip(NEXT) | instid1(VALU_DEP_1)
	v_fma_f32 v37, -v37, v45, v41
	v_div_fmas_f32 v37, v37, v40, v45
	s_delay_alu instid0(VALU_DEP_1)
	v_div_fixup_f32 v41, v37, v44, v35
.LBB68_256:                             ;   in Loop: Header=BB68_217 Depth=1
	s_or_b32 exec_lo, exec_lo, s19
.LBB68_257:                             ;   in Loop: Header=BB68_217 Depth=1
	s_and_not1_saveexec_b32 s18, s18
	s_cbranch_execz .LBB68_259
; %bb.258:                              ;   in Loop: Header=BB68_217 Depth=1
	v_div_scale_f32 v35, null, v45, v45, 1.0
	s_delay_alu instid0(VALU_DEP_1) | instskip(SKIP_1) | instid1(TRANS32_DEP_1)
	v_rcp_f32_e32 v37, v35
	v_nop
	v_fma_f32 v40, -v35, v37, 1.0
	s_delay_alu instid0(VALU_DEP_1) | instskip(SKIP_1) | instid1(VALU_DEP_1)
	v_fmac_f32_e32 v37, v40, v37
	v_div_scale_f32 v40, vcc_lo, 1.0, v45, 1.0
	v_mul_f32_e32 v41, v40, v37
	s_delay_alu instid0(VALU_DEP_1) | instskip(NEXT) | instid1(VALU_DEP_1)
	v_fma_f32 v51, -v35, v41, v40
	v_fmac_f32_e32 v41, v51, v37
	s_delay_alu instid0(VALU_DEP_1) | instskip(NEXT) | instid1(VALU_DEP_1)
	v_fma_f32 v35, -v35, v41, v40
	v_div_fmas_f32 v35, v35, v37, v41
	s_delay_alu instid0(VALU_DEP_1)
	v_div_fixup_f32 v41, v35, v45, 1.0
.LBB68_259:                             ;   in Loop: Header=BB68_217 Depth=1
	s_or_b32 exec_lo, exec_lo, s18
	flat_load_b32 v35, v[6:7] scope:SCOPE_SYS
	s_wait_loadcnt_dscnt 0x0
	v_add_f32_e32 v35, 0x3fc90fdb, v35
	s_delay_alu instid0(VALU_DEP_1)
	v_bfi_b32 v40, 0x7fffffff, v35, v44
.LBB68_260:                             ;   in Loop: Header=BB68_217 Depth=1
	s_or_b32 exec_lo, exec_lo, s4
                                        ; implicit-def: $vgpr45
.LBB68_261:                             ;   in Loop: Header=BB68_217 Depth=1
	s_and_not1_saveexec_b32 s4, s17
	s_cbranch_execz .LBB68_271
; %bb.262:                              ;   in Loop: Header=BB68_217 Depth=1
	v_cmp_neq_f32_e64 s17, 0x7f800000, |v45|
                                        ; implicit-def: $vgpr41
	s_and_saveexec_b32 s18, s17
	s_delay_alu instid0(SALU_CYCLE_1)
	s_xor_b32 s17, exec_lo, s18
	s_cbranch_execz .LBB68_268
; %bb.263:                              ;   in Loop: Header=BB68_217 Depth=1
	v_cmp_neq_f32_e64 s18, 0x7f800000, |v44|
                                        ; implicit-def: $vgpr41
	s_and_saveexec_b32 s19, s18
	s_delay_alu instid0(SALU_CYCLE_1)
	s_xor_b32 s18, exec_lo, s19
	s_cbranch_execz .LBB68_265
; %bb.264:                              ;   in Loop: Header=BB68_217 Depth=1
	s_wait_dscnt 0x0
	v_add_f32_e32 v35, 0, v44
	s_delay_alu instid0(VALU_DEP_1)
	v_add_f32_e32 v41, v45, v35
                                        ; implicit-def: $vgpr44_vgpr45
.LBB68_265:                             ;   in Loop: Header=BB68_217 Depth=1
	s_or_saveexec_b32 s18, s18
	s_delay_alu instid0(VALU_DEP_1)
	v_mov_b32_e32 v40, v41
	s_xor_b32 exec_lo, exec_lo, s18
	s_cbranch_execz .LBB68_267
; %bb.266:                              ;   in Loop: Header=BB68_217 Depth=1
	s_wait_dscnt 0x0
	flat_load_b32 v35, v[6:7] scope:SCOPE_SYS
	s_wait_loadcnt 0x0
	v_bfi_b32 v41, 0x7fffffff, 0, v45
	s_wait_dscnt 0x0
	v_add_f32_e32 v35, 0x3fc90fdb, v35
	s_delay_alu instid0(VALU_DEP_1)
	v_bfi_b32 v40, 0x7fffffff, v35, v44
.LBB68_267:                             ;   in Loop: Header=BB68_217 Depth=1
	s_wait_xcnt 0x0
	s_or_b32 exec_lo, exec_lo, s18
                                        ; implicit-def: $vgpr45
.LBB68_268:                             ;   in Loop: Header=BB68_217 Depth=1
	s_and_not1_saveexec_b32 s17, s17
; %bb.269:                              ;   in Loop: Header=BB68_217 Depth=1
	v_bfi_b32 v41, 0x7fffffff, 0, v45
	v_add_f32_e32 v40, v44, v44
; %bb.270:                              ;   in Loop: Header=BB68_217 Depth=1
	s_or_b32 exec_lo, exec_lo, s17
.LBB68_271:                             ;   in Loop: Header=BB68_217 Depth=1
	s_delay_alu instid0(SALU_CYCLE_1)
	s_or_b32 exec_lo, exec_lo, s4
                                        ; implicit-def: $vgpr44
.LBB68_272:                             ;   in Loop: Header=BB68_217 Depth=1
	s_and_not1_saveexec_b32 s4, s16
	s_cbranch_execz .LBB68_274
; %bb.273:                              ;   in Loop: Header=BB68_217 Depth=1
	s_wait_dscnt 0x0
	v_rcp_f32_e64 v35, |v44|
	v_cmp_gt_f32_e64 vcc_lo, |v44|, 1.0
	v_mov_b32_e32 v41, v45
	s_delay_alu instid0(TRANS32_DEP_1) | instid1(VALU_DEP_2)
	v_cndmask_b32_e64 v35, |v44|, v35, vcc_lo
	s_delay_alu instid0(VALU_DEP_1) | instskip(NEXT) | instid1(VALU_DEP_1)
	v_mul_f32_e32 v37, v35, v35
	v_fmaak_f32 v40, s14, v37, 0xbc7a590c
	s_delay_alu instid0(VALU_DEP_1) | instskip(NEXT) | instid1(VALU_DEP_1)
	v_fmaak_f32 v40, v37, v40, 0x3d29fb3f
	v_fmaak_f32 v40, v37, v40, 0xbd97d4d7
	s_delay_alu instid0(VALU_DEP_1) | instskip(NEXT) | instid1(VALU_DEP_1)
	v_fmaak_f32 v40, v37, v40, 0x3dd931b2
	;; [unrolled: 3-line block ×3, first 2 shown]
	v_fmaak_f32 v40, v37, v40, 0xbeaaaa62
	s_delay_alu instid0(VALU_DEP_1) | instskip(NEXT) | instid1(VALU_DEP_1)
	v_mul_f32_e32 v37, v37, v40
	v_fmac_f32_e32 v35, v35, v37
	s_delay_alu instid0(VALU_DEP_1) | instskip(NEXT) | instid1(VALU_DEP_1)
	v_sub_f32_e32 v37, 0x3fc90fdb, v35
	v_cndmask_b32_e32 v35, v35, v37, vcc_lo
	s_delay_alu instid0(VALU_DEP_1)
	v_bfi_b32 v40, 0x7fffffff, v35, v44
.LBB68_274:                             ;   in Loop: Header=BB68_217 Depth=1
	s_or_b32 exec_lo, exec_lo, s4
                                        ; implicit-def: $vgpr45
.LBB68_275:                             ;   in Loop: Header=BB68_217 Depth=1
	s_and_not1_saveexec_b32 s4, s15
	s_cbranch_execz .LBB68_277
; %bb.276:                              ;   in Loop: Header=BB68_217 Depth=1
	s_wait_dscnt 0x0
	v_sub_f32_e64 v35, 1.0, |v45|
	v_add_f32_e64 v40, |v45|, 1.0
	v_and_b32_e32 v54, 0x7fffffff, v45
	v_cmp_gt_f32_e64 s15, 0x39800000, |v45|
	s_delay_alu instid0(VALU_DEP_4) | instskip(SKIP_1) | instid1(VALU_DEP_1)
	v_rcp_f32_e32 v37, v35
	v_sub_f32_e32 v52, 1.0, v35
	v_sub_f32_e64 v52, v52, |v45|
	s_delay_alu instid0(TRANS32_DEP_1) | instskip(NEXT) | instid1(VALU_DEP_1)
	v_mul_f32_e32 v51, v40, v37
	v_mul_f32_e32 v41, v35, v51
	s_delay_alu instid0(VALU_DEP_1) | instskip(NEXT) | instid1(VALU_DEP_1)
	v_fma_f32 v35, v51, v35, -v41
	v_fmac_f32_e32 v35, v51, v52
	s_delay_alu instid0(VALU_DEP_1) | instskip(NEXT) | instid1(VALU_DEP_1)
	v_pk_add_f32 v[52:53], v[40:41], v[34:35]
	v_sub_f32_e32 v56, v40, v53
	s_delay_alu instid0(VALU_DEP_1) | instskip(NEXT) | instid1(VALU_DEP_1)
	v_dual_sub_f32 v41, v53, v41 :: v_dual_sub_f32 v55, v40, v56
	v_sub_f32_e32 v35, v41, v35
	s_delay_alu instid0(VALU_DEP_2) | instskip(NEXT) | instid1(VALU_DEP_1)
	v_pk_add_f32 v[40:41], v[54:55], v[52:53] neg_lo:[0,1] neg_hi:[0,1]
	v_add_f32_e32 v35, v35, v41
	s_delay_alu instid0(VALU_DEP_1) | instskip(NEXT) | instid1(VALU_DEP_1)
	v_add_f32_e32 v35, v40, v35
	v_add_f32_e32 v35, v56, v35
	s_delay_alu instid0(VALU_DEP_1) | instskip(NEXT) | instid1(VALU_DEP_1)
	v_mul_f32_e32 v35, v37, v35
	v_add_f32_e32 v37, v51, v35
	s_delay_alu instid0(VALU_DEP_1) | instskip(NEXT) | instid1(VALU_DEP_1)
	v_cvt_f64_f32_e32 v[40:41], v37
	v_frexp_exp_i32_f64_e32 v40, v[40:41]
	v_frexp_mant_f32_e32 v41, v37
	s_delay_alu instid0(VALU_DEP_1) | instskip(NEXT) | instid1(VALU_DEP_3)
	v_cmp_gt_f32_e32 vcc_lo, 0x3f2aaaab, v41
	v_subrev_co_ci_u32_e64 v56, null, 0, v40, vcc_lo
	v_cmp_neq_f32_e64 vcc_lo, |v45|, 1.0
	s_delay_alu instid0(VALU_DEP_2) | instskip(NEXT) | instid1(VALU_DEP_1)
	v_sub_nc_u32_e32 v40, 0, v56
	v_ldexp_f32 v41, v37, v40
	s_delay_alu instid0(VALU_DEP_1) | instskip(NEXT) | instid1(VALU_DEP_1)
	v_dual_sub_f32 v37, v37, v51 :: v_dual_add_f32 v51, 1.0, v41
	v_sub_f32_e32 v35, v35, v37
	s_delay_alu instid0(VALU_DEP_2) | instskip(NEXT) | instid1(VALU_DEP_2)
	v_dual_add_f32 v55, -1.0, v41 :: v_dual_add_f32 v37, -1.0, v51
	v_ldexp_f32 v35, v35, v40
	s_delay_alu instid0(VALU_DEP_2) | instskip(NEXT) | instid1(VALU_DEP_1)
	v_dual_add_f32 v40, 1.0, v55 :: v_dual_sub_f32 v37, v41, v37
	v_dual_sub_f32 v40, v41, v40 :: v_dual_add_f32 v37, v35, v37
	s_delay_alu instid0(VALU_DEP_1) | instskip(NEXT) | instid1(VALU_DEP_2)
	v_add_f32_e32 v35, v35, v40
	v_add_f32_e32 v57, v51, v37
	s_delay_alu instid0(VALU_DEP_1) | instskip(SKIP_1) | instid1(VALU_DEP_1)
	v_rcp_f32_e32 v58, v57
	v_sub_f32_e32 v40, v57, v51
	v_dual_add_f32 v41, v55, v35 :: v_dual_sub_f32 v37, v37, v40
	s_delay_alu instid0(TRANS32_DEP_1) | instid1(VALU_DEP_1)
	v_dual_mul_f32 v59, v41, v58 :: v_dual_sub_f32 v51, v41, v55
	s_delay_alu instid0(VALU_DEP_1) | instskip(NEXT) | instid1(VALU_DEP_2)
	v_mul_f32_e32 v52, v57, v59
	v_sub_f32_e32 v35, v35, v51
	s_delay_alu instid0(VALU_DEP_2) | instskip(NEXT) | instid1(VALU_DEP_1)
	v_fma_f32 v54, v59, v57, -v52
	v_fmac_f32_e32 v54, v59, v37
	s_delay_alu instid0(VALU_DEP_1) | instskip(NEXT) | instid1(VALU_DEP_1)
	v_add_f32_e32 v40, v52, v54
	v_dual_sub_f32 v53, v41, v40 :: v_dual_mov_b32 v55, v40
	s_delay_alu instid0(VALU_DEP_1) | instskip(NEXT) | instid1(VALU_DEP_1)
	v_pk_add_f32 v[40:41], v[40:41], v[52:53] neg_lo:[0,1] neg_hi:[0,1]
	v_pk_add_f32 v[40:41], v[40:41], v[54:55] neg_lo:[0,1] neg_hi:[0,1]
	s_delay_alu instid0(VALU_DEP_1) | instskip(NEXT) | instid1(VALU_DEP_1)
	v_add_f32_e32 v35, v35, v41
	v_add_f32_e32 v35, v40, v35
	s_delay_alu instid0(VALU_DEP_1) | instskip(NEXT) | instid1(VALU_DEP_1)
	v_add_f32_e32 v41, v53, v35
	v_mul_f32_e32 v51, v58, v41
	s_delay_alu instid0(VALU_DEP_1) | instskip(NEXT) | instid1(VALU_DEP_1)
	v_mul_f32_e32 v54, v57, v51
	v_fma_f32 v52, v51, v57, -v54
	v_add_f32_e32 v57, v59, v51
	s_delay_alu instid0(VALU_DEP_2) | instskip(NEXT) | instid1(VALU_DEP_1)
	v_fmac_f32_e32 v52, v51, v37
	v_dual_sub_f32 v37, v53, v41 :: v_dual_add_f32 v40, v54, v52
	s_delay_alu instid0(VALU_DEP_1) | instskip(NEXT) | instid1(VALU_DEP_2)
	v_dual_add_f32 v35, v35, v37 :: v_dual_sub_f32 v37, v57, v59
	v_dual_sub_f32 v55, v41, v40 :: v_dual_mov_b32 v53, v40
	s_delay_alu instid0(VALU_DEP_2) | instskip(NEXT) | instid1(VALU_DEP_2)
	v_sub_f32_e32 v37, v51, v37
	v_pk_add_f32 v[40:41], v[40:41], v[54:55] neg_lo:[0,1] neg_hi:[0,1]
	s_delay_alu instid0(VALU_DEP_1) | instskip(NEXT) | instid1(VALU_DEP_1)
	v_pk_add_f32 v[40:41], v[40:41], v[52:53] neg_lo:[0,1] neg_hi:[0,1]
	v_add_f32_e32 v35, v35, v41
	s_delay_alu instid0(VALU_DEP_1) | instskip(SKIP_1) | instid1(VALU_DEP_2)
	v_add_f32_e32 v35, v40, v35
	v_cvt_f32_i32_e32 v40, v56
	v_add_f32_e32 v35, v55, v35
	s_delay_alu instid0(VALU_DEP_1) | instskip(NEXT) | instid1(VALU_DEP_1)
	v_mul_f32_e32 v35, v58, v35
	v_add_f32_e32 v35, v37, v35
	s_delay_alu instid0(VALU_DEP_1) | instskip(NEXT) | instid1(VALU_DEP_1)
	v_add_f32_e32 v51, v57, v35
	v_mul_f32_e32 v37, v51, v51
	s_delay_alu instid0(VALU_DEP_1) | instskip(NEXT) | instid1(VALU_DEP_1)
	v_dual_fmaak_f32 v52, s5, v37, 0x3ecc95a3 :: v_dual_mul_f32 v41, v51, v37
	v_fmaak_f32 v37, v37, v52, 0x3f2aaada
	s_delay_alu instid0(VALU_DEP_1) | instskip(SKIP_1) | instid1(VALU_DEP_2)
	v_pk_mul_f32 v[52:53], v[40:41], v[36:37]
	v_sub_f32_e32 v37, v51, v57
	v_fma_f32 v54, 0x3f317218, v40, -v52
	s_delay_alu instid0(VALU_DEP_2) | instskip(SKIP_2) | instid1(VALU_DEP_4)
	v_sub_f32_e32 v35, v35, v37
	v_ldexp_f32 v55, v51, 1
	v_mov_b32_e32 v56, v52
	v_fmac_f32_e32 v54, 0xb102e308, v40
	s_delay_alu instid0(VALU_DEP_4) | instskip(NEXT) | instid1(VALU_DEP_2)
	v_ldexp_f32 v35, v35, 1
	v_pk_add_f32 v[40:41], v[52:53], v[54:55]
	s_delay_alu instid0(VALU_DEP_1) | instskip(NEXT) | instid1(VALU_DEP_1)
	v_dual_sub_f32 v37, v41, v55 :: v_dual_mov_b32 v55, v40
	v_sub_f32_e32 v37, v53, v37
	v_pk_add_f32 v[52:53], v[40:41], v[52:53] neg_lo:[0,1] neg_hi:[0,1]
	s_delay_alu instid0(VALU_DEP_2) | instskip(NEXT) | instid1(VALU_DEP_1)
	v_add_f32_e32 v57, v35, v37
	v_pk_add_f32 v[58:59], v[40:41], v[56:57]
	s_delay_alu instid0(VALU_DEP_1) | instskip(NEXT) | instid1(VALU_DEP_1)
	v_mov_b32_e32 v53, v59
	v_pk_add_f32 v[60:61], v[54:55], v[52:53]
	v_mov_b32_e32 v60, v59
	v_pk_add_f32 v[52:53], v[54:55], v[52:53] neg_lo:[0,1] neg_hi:[0,1]
	s_delay_alu instid0(VALU_DEP_3) | instskip(NEXT) | instid1(VALU_DEP_1)
	v_dual_mov_b32 v56, v61 :: v_dual_mov_b32 v53, v61
	v_pk_add_f32 v[62:63], v[56:57], v[40:41] neg_lo:[0,1] neg_hi:[0,1]
	v_dual_mov_b32 v64, v41 :: v_dual_mov_b32 v41, v40
	s_delay_alu instid0(VALU_DEP_2) | instskip(SKIP_1) | instid1(VALU_DEP_2)
	v_dual_mov_b32 v40, v57 :: v_dual_mov_b32 v65, v62
	v_mov_b32_e32 v35, v62
	v_pk_add_f32 v[54:55], v[60:61], v[64:65] neg_lo:[0,1] neg_hi:[0,1]
	s_delay_alu instid0(VALU_DEP_2) | instskip(SKIP_1) | instid1(VALU_DEP_3)
	v_pk_add_f32 v[58:59], v[58:59], v[34:35] neg_lo:[0,1] neg_hi:[0,1]
	v_mov_b32_e32 v58, v52
	v_pk_add_f32 v[40:41], v[40:41], v[54:55] neg_lo:[0,1] neg_hi:[0,1]
	s_delay_alu instid0(VALU_DEP_1) | instskip(NEXT) | instid1(VALU_DEP_1)
	v_pk_add_f32 v[54:55], v[58:59], v[40:41]
	v_mov_b32_e32 v58, v55
	s_delay_alu instid0(VALU_DEP_1) | instskip(NEXT) | instid1(VALU_DEP_1)
	v_pk_add_f32 v[58:59], v[54:55], v[58:59]
	v_pk_add_f32 v[56:57], v[56:57], v[58:59]
	s_delay_alu instid0(VALU_DEP_1) | instskip(NEXT) | instid1(VALU_DEP_1)
	v_dual_mov_b32 v41, v58 :: v_dual_mov_b32 v55, v56
	v_pk_add_f32 v[60:61], v[54:55], v[52:53] neg_lo:[0,1] neg_hi:[0,1]
	s_delay_alu instid0(VALU_DEP_1) | instskip(NEXT) | instid1(VALU_DEP_2)
	v_sub_f32_e32 v35, v54, v60
	v_pk_add_f32 v[40:41], v[40:41], v[60:61] neg_lo:[0,1] neg_hi:[0,1]
	s_delay_alu instid0(VALU_DEP_2) | instskip(NEXT) | instid1(VALU_DEP_1)
	v_sub_f32_e32 v35, v52, v35
	v_add_f32_e32 v35, v40, v35
	s_delay_alu instid0(VALU_DEP_1) | instskip(NEXT) | instid1(VALU_DEP_1)
	v_dual_mov_b32 v40, v44 :: v_dual_add_f32 v35, v35, v41
	v_add_f32_e32 v35, v56, v35
	s_delay_alu instid0(VALU_DEP_1) | instskip(NEXT) | instid1(VALU_DEP_1)
	v_mul_f32_e32 v35, 0.5, v35
	v_cndmask_b32_e64 v35, v35, |v45|, s15
	s_delay_alu instid0(VALU_DEP_1) | instskip(NEXT) | instid1(VALU_DEP_1)
	v_cndmask_b32_e32 v35, 0x7f800000, v35, vcc_lo
	v_bfi_b32 v41, 0x7fffffff, v35, v45
.LBB68_277:                             ;   in Loop: Header=BB68_217 Depth=1
	s_or_b32 exec_lo, exec_lo, s4
	v_cmp_neq_f32_e32 vcc_lo, 0, v46
	v_cmp_nle_f32_e64 s4, |v47|, 1.0
	flat_store_b32 v[6:7], v48 scope:SCOPE_SYS
	s_wait_storecnt 0x0
                                        ; implicit-def: $vgpr45
	s_or_b32 s4, vcc_lo, s4
	s_wait_xcnt 0x0
	s_and_saveexec_b32 s15, s4
	s_delay_alu instid0(SALU_CYCLE_1)
	s_xor_b32 s15, exec_lo, s15
	s_cbranch_execz .LBB68_327
; %bb.278:                              ;   in Loop: Header=BB68_217 Depth=1
                                        ; implicit-def: $vgpr45
	s_mov_b32 s4, exec_lo
	v_cmpx_neq_f32_e32 0, v47
	s_xor_b32 s16, exec_lo, s4
	s_cbranch_execz .LBB68_324
; %bb.279:                              ;   in Loop: Header=BB68_217 Depth=1
                                        ; implicit-def: $vgpr45
	s_mov_b32 s4, exec_lo
	v_cmpx_o_f32_e32 v47, v46
	s_xor_b32 s17, exec_lo, s4
	s_cbranch_execz .LBB68_313
; %bb.280:                              ;   in Loop: Header=BB68_217 Depth=1
	s_wait_dscnt 0x1
	v_max_num_f32_e64 v35, |v46|, |v46|
	v_max_num_f32_e64 v37, |v47|, |v47|
                                        ; implicit-def: $vgpr45
	s_mov_b32 s4, exec_lo
	s_delay_alu instid0(VALU_DEP_1) | instskip(NEXT) | instid1(VALU_DEP_1)
	v_max_num_f32_e32 v37, v37, v35
	v_cmpx_nlt_f32_e32 0x4b000000, v37
	s_xor_b32 s18, exec_lo, s4
	s_cbranch_execz .LBB68_298
; %bb.281:                              ;   in Loop: Header=BB68_217 Depth=1
	v_cmp_ngt_f32_e64 s4, 0x399cc471, |v47|
	v_cmp_ngt_f32_e64 s19, 0x399cc471, |v46|
                                        ; implicit-def: $vgpr45
	s_or_b32 s4, s4, s19
	s_delay_alu instid0(SALU_CYCLE_1) | instskip(NEXT) | instid1(SALU_CYCLE_1)
	s_and_saveexec_b32 s19, s4
	s_xor_b32 s19, exec_lo, s19
	s_cbranch_execz .LBB68_295
; %bb.282:                              ;   in Loop: Header=BB68_217 Depth=1
	v_cmp_neq_f32_e64 s20, |v47|, 1.0
	v_cmp_ngt_f32_e64 s4, 0x34000000, |v46|
                                        ; implicit-def: $vgpr37
	s_or_b32 s21, s20, s4
	s_delay_alu instid0(SALU_CYCLE_1) | instskip(NEXT) | instid1(SALU_CYCLE_1)
	s_and_saveexec_b32 s22, s21
	s_xor_b32 s21, exec_lo, s22
	s_cbranch_execz .LBB68_284
; %bb.283:                              ;   in Loop: Header=BB68_217 Depth=1
	v_add_f32_e64 v45, |v47|, -1.0
	v_mov_b32_e32 v44, v46
	v_cmp_gt_f32_e64 vcc_lo, 0x20000000, |v46|
	v_mul_f32_e64 v37, |v47|, 4.0
	s_delay_alu instid0(VALU_DEP_3) | instskip(NEXT) | instid1(VALU_DEP_1)
	v_pk_mul_f32 v[44:45], v[44:45], v[44:45]
	v_add_f32_e32 v44, v44, v45
	s_delay_alu instid0(VALU_DEP_1) | instskip(NEXT) | instid1(VALU_DEP_1)
	v_cndmask_b32_e32 v44, v44, v45, vcc_lo
	v_div_scale_f32 v45, null, v44, v44, v37
	s_delay_alu instid0(VALU_DEP_1) | instskip(SKIP_1) | instid1(TRANS32_DEP_1)
	v_rcp_f32_e32 v51, v45
	v_nop
	v_fma_f32 v52, -v45, v51, 1.0
	s_delay_alu instid0(VALU_DEP_1) | instskip(SKIP_1) | instid1(VALU_DEP_1)
	v_fmac_f32_e32 v51, v52, v51
	v_div_scale_f32 v52, vcc_lo, v37, v44, v37
	v_mul_f32_e32 v53, v52, v51
	s_delay_alu instid0(VALU_DEP_1) | instskip(NEXT) | instid1(VALU_DEP_1)
	v_fma_f32 v54, -v45, v53, v52
	v_fmac_f32_e32 v53, v54, v51
	s_delay_alu instid0(VALU_DEP_1) | instskip(NEXT) | instid1(VALU_DEP_1)
	v_fma_f32 v45, -v45, v53, v52
	v_div_fmas_f32 v45, v45, v51, v53
	s_delay_alu instid0(VALU_DEP_1) | instskip(NEXT) | instid1(VALU_DEP_1)
	v_div_fixup_f32 v44, v45, v44, v37
	v_add_f32_e32 v53, 1.0, v44
	s_delay_alu instid0(VALU_DEP_1) | instskip(NEXT) | instid1(VALU_DEP_1)
	v_add_f32_e32 v45, -1.0, v53
	v_mov_b32_e32 v52, v45
	s_delay_alu instid0(VALU_DEP_1) | instskip(NEXT) | instid1(VALU_DEP_1)
	v_pk_add_f32 v[54:55], v[44:45], v[52:53] neg_lo:[0,1] neg_hi:[0,1]
	v_add_f32_e32 v37, 1.0, v55
	v_frexp_mant_f32_e32 v45, v53
	s_delay_alu instid0(VALU_DEP_2) | instskip(SKIP_1) | instid1(VALU_DEP_3)
	v_add_f32_e32 v37, v54, v37
	v_cvt_f64_f32_e32 v[54:55], v53
	v_cmp_gt_f32_e32 vcc_lo, 0x3f2aaaab, v45
	s_delay_alu instid0(VALU_DEP_2) | instskip(NEXT) | instid1(VALU_DEP_1)
	v_frexp_exp_i32_f64_e32 v45, v[54:55]
	v_subrev_co_ci_u32_e64 v45, null, 0, v45, vcc_lo
	v_cmp_neq_f32_e32 vcc_lo, 0x7f800000, v44
	s_delay_alu instid0(VALU_DEP_2) | instskip(NEXT) | instid1(VALU_DEP_1)
	v_sub_nc_u32_e32 v51, 0, v45
	v_ldexp_f32 v52, v53, v51
	v_ldexp_f32 v37, v37, v51
	s_delay_alu instid0(VALU_DEP_2) | instskip(NEXT) | instid1(VALU_DEP_1)
	v_add_f32_e32 v51, -1.0, v52
	v_add_f32_e32 v53, 1.0, v51
	s_delay_alu instid0(VALU_DEP_1) | instskip(NEXT) | instid1(VALU_DEP_1)
	v_sub_f32_e32 v53, v52, v53
	v_dual_add_f32 v54, v37, v53 :: v_dual_add_f32 v53, 1.0, v52
	s_delay_alu instid0(VALU_DEP_1) | instskip(NEXT) | instid1(VALU_DEP_1)
	v_add_f32_e32 v55, -1.0, v53
	v_sub_f32_e32 v52, v52, v55
	s_delay_alu instid0(VALU_DEP_1) | instskip(NEXT) | instid1(VALU_DEP_1)
	v_add_f32_e32 v37, v37, v52
	v_add_f32_e32 v60, v53, v37
	s_delay_alu instid0(VALU_DEP_1) | instskip(SKIP_1) | instid1(VALU_DEP_1)
	v_dual_sub_f32 v52, v60, v53 :: v_dual_add_f32 v53, v51, v54
	v_rcp_f32_e32 v61, v60
	v_sub_f32_e32 v51, v53, v51
	s_delay_alu instid0(VALU_DEP_2)
	v_sub_f32_e32 v37, v37, v52
	s_delay_alu instid0(TRANS32_DEP_1) | instid1(VALU_DEP_2)
	v_dual_mul_f32 v62, v53, v61 :: v_dual_sub_f32 v51, v54, v51
	s_delay_alu instid0(VALU_DEP_1) | instskip(NEXT) | instid1(VALU_DEP_1)
	v_mul_f32_e32 v54, v60, v62
	v_fma_f32 v56, v62, v60, -v54
	s_delay_alu instid0(VALU_DEP_1) | instskip(NEXT) | instid1(VALU_DEP_1)
	v_fmac_f32_e32 v56, v62, v37
	v_add_f32_e32 v52, v54, v56
	s_delay_alu instid0(VALU_DEP_1) | instskip(NEXT) | instid1(VALU_DEP_1)
	v_dual_sub_f32 v55, v53, v52 :: v_dual_mov_b32 v57, v52
	v_pk_add_f32 v[58:59], v[52:53], v[54:55] neg_lo:[0,1] neg_hi:[0,1]
	s_delay_alu instid0(VALU_DEP_1) | instskip(NEXT) | instid1(VALU_DEP_1)
	v_pk_add_f32 v[52:53], v[58:59], v[56:57] neg_lo:[0,1] neg_hi:[0,1]
	v_add_f32_e32 v51, v51, v53
	s_delay_alu instid0(VALU_DEP_1) | instskip(NEXT) | instid1(VALU_DEP_1)
	v_add_f32_e32 v51, v52, v51
	v_add_f32_e32 v53, v55, v51
	s_delay_alu instid0(VALU_DEP_1) | instskip(NEXT) | instid1(VALU_DEP_1)
	v_mul_f32_e32 v63, v61, v53
	v_mul_f32_e32 v54, v60, v63
	s_delay_alu instid0(VALU_DEP_1) | instskip(NEXT) | instid1(VALU_DEP_1)
	v_fma_f32 v56, v63, v60, -v54
	v_fmac_f32_e32 v56, v63, v37
	s_delay_alu instid0(VALU_DEP_1) | instskip(NEXT) | instid1(VALU_DEP_1)
	v_dual_add_f32 v52, v54, v56 :: v_dual_sub_f32 v37, v55, v53
	v_dual_sub_f32 v55, v53, v52 :: v_dual_mov_b32 v57, v52
	s_delay_alu instid0(VALU_DEP_2) | instskip(NEXT) | instid1(VALU_DEP_2)
	v_dual_add_f32 v37, v51, v37 :: v_dual_add_f32 v51, v62, v63
	v_pk_add_f32 v[58:59], v[52:53], v[54:55] neg_lo:[0,1] neg_hi:[0,1]
	s_delay_alu instid0(VALU_DEP_1) | instskip(NEXT) | instid1(VALU_DEP_1)
	v_pk_add_f32 v[52:53], v[58:59], v[56:57] neg_lo:[0,1] neg_hi:[0,1]
	v_add_f32_e32 v37, v37, v53
	s_delay_alu instid0(VALU_DEP_1) | instskip(NEXT) | instid1(VALU_DEP_1)
	v_dual_add_f32 v37, v52, v37 :: v_dual_sub_f32 v52, v51, v62
	v_sub_f32_e32 v52, v63, v52
	s_delay_alu instid0(VALU_DEP_2) | instskip(NEXT) | instid1(VALU_DEP_1)
	v_add_f32_e32 v37, v55, v37
	v_mul_f32_e32 v37, v61, v37
	s_delay_alu instid0(VALU_DEP_1) | instskip(SKIP_1) | instid1(VALU_DEP_2)
	v_add_f32_e32 v53, v52, v37
	v_cvt_f32_i32_e32 v52, v45
	v_add_f32_e32 v54, v51, v53
	s_delay_alu instid0(VALU_DEP_1) | instskip(NEXT) | instid1(VALU_DEP_1)
	v_mul_f32_e32 v56, v54, v54
	v_fmaak_f32 v37, s5, v56, 0x3ecc95a3
	v_sub_f32_e32 v45, v54, v51
	v_ldexp_f32 v55, v54, 1
	s_delay_alu instid0(VALU_DEP_3) | instskip(NEXT) | instid1(VALU_DEP_3)
	v_fmaak_f32 v37, v56, v37, 0x3f2aaada
	v_dual_sub_f32 v45, v53, v45 :: v_dual_mul_f32 v53, v54, v56
	s_delay_alu instid0(VALU_DEP_1) | instskip(NEXT) | instid1(VALU_DEP_2)
	v_ldexp_f32 v45, v45, 1
	v_pk_mul_f32 v[56:57], v[52:53], v[36:37]
	s_delay_alu instid0(VALU_DEP_1) | instskip(SKIP_1) | instid1(VALU_DEP_2)
	v_fma_f32 v54, 0x3f317218, v52, -v56
	v_mov_b32_e32 v58, v56
	v_fmac_f32_e32 v54, 0xb102e308, v52
	s_delay_alu instid0(VALU_DEP_1) | instskip(NEXT) | instid1(VALU_DEP_1)
	v_pk_add_f32 v[52:53], v[56:57], v[54:55]
	v_dual_sub_f32 v37, v53, v55 :: v_dual_mov_b32 v55, v52
	s_delay_alu instid0(VALU_DEP_1) | instskip(SKIP_1) | instid1(VALU_DEP_2)
	v_sub_f32_e32 v37, v57, v37
	v_pk_add_f32 v[56:57], v[52:53], v[56:57] neg_lo:[0,1] neg_hi:[0,1]
	v_add_f32_e32 v59, v45, v37
	s_delay_alu instid0(VALU_DEP_1) | instskip(NEXT) | instid1(VALU_DEP_1)
	v_pk_add_f32 v[60:61], v[52:53], v[58:59]
	v_mov_b32_e32 v57, v61
	s_delay_alu instid0(VALU_DEP_1) | instskip(SKIP_1) | instid1(VALU_DEP_1)
	v_pk_add_f32 v[62:63], v[54:55], v[56:57] neg_lo:[0,1] neg_hi:[0,1]
	v_pk_add_f32 v[54:55], v[54:55], v[56:57]
	v_dual_mov_b32 v54, v61 :: v_dual_mov_b32 v56, v55
	v_dual_mov_b32 v63, v55 :: v_dual_mov_b32 v58, v59
	v_mov_b32_e32 v59, v52
	s_delay_alu instid0(VALU_DEP_3) | instskip(NEXT) | instid1(VALU_DEP_1)
	v_pk_add_f32 v[64:65], v[56:57], v[52:53] neg_lo:[0,1] neg_hi:[0,1]
	v_mov_b32_e32 v37, v64
	s_delay_alu instid0(VALU_DEP_1) | instskip(SKIP_2) | instid1(VALU_DEP_2)
	v_pk_add_f32 v[66:67], v[60:61], v[36:37] neg_lo:[0,1] neg_hi:[0,1]
	v_dual_mov_b32 v60, v53 :: v_dual_mov_b32 v61, v64
	v_mov_b32_e32 v66, v62
	v_pk_add_f32 v[54:55], v[54:55], v[60:61] neg_lo:[0,1] neg_hi:[0,1]
	s_delay_alu instid0(VALU_DEP_1) | instskip(NEXT) | instid1(VALU_DEP_1)
	v_pk_add_f32 v[52:53], v[58:59], v[54:55] neg_lo:[0,1] neg_hi:[0,1]
	v_pk_add_f32 v[54:55], v[66:67], v[52:53]
	s_delay_alu instid0(VALU_DEP_1) | instskip(NEXT) | instid1(VALU_DEP_1)
	v_mov_b32_e32 v58, v55
	v_pk_add_f32 v[58:59], v[54:55], v[58:59]
	s_delay_alu instid0(VALU_DEP_1) | instskip(NEXT) | instid1(VALU_DEP_1)
	v_pk_add_f32 v[56:57], v[56:57], v[58:59]
	v_mov_b32_e32 v55, v56
	s_delay_alu instid0(VALU_DEP_1) | instskip(NEXT) | instid1(VALU_DEP_1)
	v_pk_add_f32 v[60:61], v[54:55], v[62:63] neg_lo:[0,1] neg_hi:[0,1]
	v_sub_f32_e32 v37, v54, v60
	s_delay_alu instid0(VALU_DEP_1) | instskip(SKIP_1) | instid1(VALU_DEP_1)
	v_sub_f32_e32 v37, v62, v37
	v_mov_b32_e32 v53, v58
	v_pk_add_f32 v[52:53], v[52:53], v[60:61] neg_lo:[0,1] neg_hi:[0,1]
	s_delay_alu instid0(VALU_DEP_1) | instskip(NEXT) | instid1(VALU_DEP_1)
	v_add_f32_e32 v37, v52, v37
	v_add_f32_e32 v37, v37, v53
	s_delay_alu instid0(VALU_DEP_1) | instskip(NEXT) | instid1(VALU_DEP_1)
	v_add_f32_e32 v37, v56, v37
	v_cndmask_b32_e32 v37, 0x7f800000, v37, vcc_lo
	v_cmp_ngt_f32_e32 vcc_lo, -1.0, v44
	s_delay_alu instid0(VALU_DEP_2) | instskip(SKIP_1) | instid1(VALU_DEP_2)
	v_cndmask_b32_e32 v37, 0x7fc00000, v37, vcc_lo
	v_cmp_neq_f32_e32 vcc_lo, -1.0, v44
	v_cndmask_b32_e32 v37, 0xff800000, v37, vcc_lo
	v_cmp_gt_f32_e64 vcc_lo, 0x33800000, |v44|
	s_delay_alu instid0(VALU_DEP_2) | instskip(NEXT) | instid1(VALU_DEP_1)
	v_cndmask_b32_e32 v37, v37, v44, vcc_lo
	v_mul_f32_e32 v37, 0x3e800000, v37
	s_and_not1_saveexec_b32 s21, s21
	s_cbranch_execz .LBB68_286
	s_branch .LBB68_285
.LBB68_284:                             ;   in Loop: Header=BB68_217 Depth=1
	s_and_not1_saveexec_b32 s21, s21
	s_cbranch_execz .LBB68_286
.LBB68_285:                             ;   in Loop: Header=BB68_217 Depth=1
	v_cmp_gt_f32_e64 s22, 0x800000, |v46|
	s_delay_alu instid0(VALU_DEP_1) | instskip(NEXT) | instid1(VALU_DEP_1)
	v_cndmask_b32_e64 v37, 0, 32, s22
	v_ldexp_f32 v37, |v46|, v37
	s_delay_alu instid0(VALU_DEP_1) | instskip(SKIP_1) | instid1(TRANS32_DEP_1)
	v_log_f32_e32 v37, v37
	v_nop
	v_mul_f32_e32 v44, 0x3f317217, v37
	v_cmp_gt_f32_e64 vcc_lo, 0x7f800000, |v37|
	s_delay_alu instid0(VALU_DEP_2) | instskip(NEXT) | instid1(VALU_DEP_1)
	v_fma_f32 v44, 0x3f317217, v37, -v44
	v_fmac_f32_e32 v44, 0x3377d1cf, v37
	s_delay_alu instid0(VALU_DEP_1) | instskip(NEXT) | instid1(VALU_DEP_1)
	v_fmac_f32_e32 v44, 0x3f317217, v37
	v_cndmask_b32_e32 v37, v37, v44, vcc_lo
	v_cndmask_b32_e64 v44, 0, 0x41b17218, s22
	s_delay_alu instid0(VALU_DEP_1) | instskip(NEXT) | instid1(VALU_DEP_1)
	v_sub_f32_e32 v37, v37, v44
	v_sub_f32_e32 v37, 0x3f317218, v37
	s_delay_alu instid0(VALU_DEP_1)
	v_mul_f32_e32 v37, 0.5, v37
.LBB68_286:                             ;   in Loop: Header=BB68_217 Depth=1
	s_or_b32 exec_lo, exec_lo, s21
                                        ; implicit-def: $vgpr45
	s_and_saveexec_b32 s21, s20
	s_delay_alu instid0(SALU_CYCLE_1)
	s_xor_b32 s20, exec_lo, s21
	s_cbranch_execz .LBB68_292
; %bb.287:                              ;   in Loop: Header=BB68_217 Depth=1
	v_sub_f32_e64 v44, 1.0, |v47|
	v_add_f32_e64 v45, |v47|, 1.0
	v_add_f32_e64 v35, |v46|, |v46|
	s_delay_alu instid0(VALU_DEP_2) | instskip(SKIP_1) | instid1(SALU_CYCLE_1)
	v_mul_f32_e32 v44, v44, v45
                                        ; implicit-def: $vgpr45
	s_and_saveexec_b32 s21, s4
	s_xor_b32 s21, exec_lo, s21
	s_cbranch_execz .LBB68_289
; %bb.288:                              ;   in Loop: Header=BB68_217 Depth=1
	s_delay_alu instid0(VALU_DEP_1) | instskip(NEXT) | instid1(VALU_DEP_1)
	v_dual_fma_f32 v44, -v46, v46, v44 :: v_dual_max_num_f32 v45, v35, v35
	v_cmp_gt_f32_e64 vcc_lo, v35, |v44|
	s_delay_alu instid0(VALU_DEP_2) | instskip(SKIP_3) | instid1(VALU_DEP_4)
	v_max_num_f32_e64 v51, |v44|, v45
	v_min_num_f32_e64 v45, |v44|, v45
	v_cmp_gt_i32_e64 s4, 0, v44
	v_cmp_class_f32_e64 s22, v44, 0x204
	v_frexp_mant_f32_e32 v52, v51
	v_frexp_exp_i32_f32_e32 v51, v51
	v_frexp_exp_i32_f32_e32 v53, v45
	v_frexp_mant_f32_e32 v45, v45
	s_delay_alu instid0(VALU_DEP_4) | instskip(NEXT) | instid1(VALU_DEP_2)
	v_rcp_f32_e32 v52, v52
	v_sub_nc_u32_e32 v51, v53, v51
	s_delay_alu instid0(TRANS32_DEP_1) | instskip(NEXT) | instid1(VALU_DEP_1)
	v_mul_f32_e32 v45, v45, v52
	v_ldexp_f32 v45, v45, v51
	s_delay_alu instid0(VALU_DEP_1) | instskip(NEXT) | instid1(VALU_DEP_1)
	v_mul_f32_e32 v51, v45, v45
	v_fmaak_f32 v52, s14, v51, 0xbc7a590c
	s_delay_alu instid0(VALU_DEP_1) | instskip(NEXT) | instid1(VALU_DEP_1)
	v_fmaak_f32 v52, v51, v52, 0x3d29fb3f
	v_fmaak_f32 v52, v51, v52, 0xbd97d4d7
	s_delay_alu instid0(VALU_DEP_1) | instskip(NEXT) | instid1(VALU_DEP_1)
	v_fmaak_f32 v52, v51, v52, 0x3dd931b2
	;; [unrolled: 3-line block ×3, first 2 shown]
	v_fmaak_f32 v52, v51, v52, 0xbeaaaa62
	s_delay_alu instid0(VALU_DEP_1) | instskip(NEXT) | instid1(VALU_DEP_1)
	v_mul_f32_e32 v51, v51, v52
	v_fmac_f32_e32 v45, v45, v51
	s_delay_alu instid0(VALU_DEP_1) | instskip(NEXT) | instid1(VALU_DEP_1)
	v_sub_f32_e32 v51, 0x3fc90fdb, v45
	v_cndmask_b32_e32 v45, v45, v51, vcc_lo
	v_cmp_gt_f32_e32 vcc_lo, 0, v44
	s_delay_alu instid0(VALU_DEP_2) | instskip(SKIP_1) | instid1(VALU_DEP_2)
	v_sub_f32_e32 v51, 0x40490fdb, v45
	v_cndmask_b32_e32 v52, 0x3f490fdb, v50, vcc_lo
	v_cndmask_b32_e32 v45, v45, v51, vcc_lo
	v_cndmask_b32_e64 v51, 0, 0x40490fdb, s4
	v_cmp_eq_f32_e64 s4, 0, v35
	v_cmp_eq_f32_e32 vcc_lo, 0x7f800000, v35
	s_delay_alu instid0(VALU_DEP_2) | instskip(SKIP_1) | instid1(VALU_DEP_1)
	v_cndmask_b32_e64 v35, |v45|, v51, s4
	s_and_b32 vcc_lo, vcc_lo, s22
	v_cndmask_b32_e32 v35, v35, v52, vcc_lo
	v_cmp_o_f32_e32 vcc_lo, v44, v44
                                        ; implicit-def: $vgpr44
	s_delay_alu instid0(VALU_DEP_2)
	v_cndmask_b32_e32 v45, 0x7fc00000, v35, vcc_lo
                                        ; implicit-def: $vgpr35
.LBB68_289:                             ;   in Loop: Header=BB68_217 Depth=1
	s_and_not1_saveexec_b32 s21, s21
	s_cbranch_execz .LBB68_291
; %bb.290:                              ;   in Loop: Header=BB68_217 Depth=1
	v_max_num_f32_e32 v45, v35, v35
	v_max_num_f32_e64 v51, |v44|, |v44|
	v_cmp_gt_f32_e64 vcc_lo, v35, |v44|
	v_cmp_gt_i32_e64 s4, 0, v44
	v_cmp_class_f32_e64 s22, v44, 0x204
	s_delay_alu instid0(VALU_DEP_4) | instskip(NEXT) | instid1(VALU_DEP_1)
	v_dual_max_num_f32 v52, v51, v45 :: v_dual_min_num_f32 v45, v51, v45
	v_frexp_mant_f32_e32 v53, v52
	v_frexp_exp_i32_f32_e32 v51, v52
	s_delay_alu instid0(VALU_DEP_2) | instskip(SKIP_3) | instid1(VALU_DEP_2)
	v_rcp_f32_e32 v52, v53
	v_nop
	v_frexp_exp_i32_f32_e32 v53, v45
	v_frexp_mant_f32_e32 v45, v45
	v_sub_nc_u32_e32 v51, v53, v51
	s_delay_alu instid0(TRANS32_DEP_1) | instid1(VALU_DEP_2)
	v_mul_f32_e32 v45, v45, v52
	s_delay_alu instid0(VALU_DEP_1) | instskip(NEXT) | instid1(VALU_DEP_1)
	v_ldexp_f32 v45, v45, v51
	v_mul_f32_e32 v51, v45, v45
	s_delay_alu instid0(VALU_DEP_1) | instskip(NEXT) | instid1(VALU_DEP_1)
	v_fmaak_f32 v52, s14, v51, 0xbc7a590c
	v_fmaak_f32 v52, v51, v52, 0x3d29fb3f
	s_delay_alu instid0(VALU_DEP_1) | instskip(NEXT) | instid1(VALU_DEP_1)
	v_fmaak_f32 v52, v51, v52, 0xbd97d4d7
	v_fmaak_f32 v52, v51, v52, 0x3dd931b2
	;; [unrolled: 3-line block ×3, first 2 shown]
	s_delay_alu instid0(VALU_DEP_1) | instskip(NEXT) | instid1(VALU_DEP_1)
	v_fmaak_f32 v52, v51, v52, 0xbeaaaa62
	v_mul_f32_e32 v51, v51, v52
	s_delay_alu instid0(VALU_DEP_1) | instskip(NEXT) | instid1(VALU_DEP_1)
	v_fmac_f32_e32 v45, v45, v51
	v_sub_f32_e32 v51, 0x3fc90fdb, v45
	s_delay_alu instid0(VALU_DEP_1) | instskip(SKIP_1) | instid1(VALU_DEP_2)
	v_cndmask_b32_e32 v45, v45, v51, vcc_lo
	v_cmp_gt_f32_e32 vcc_lo, 0, v44
	v_sub_f32_e32 v51, 0x40490fdb, v45
	v_cndmask_b32_e32 v52, 0x3f490fdb, v50, vcc_lo
	s_delay_alu instid0(VALU_DEP_2) | instskip(SKIP_3) | instid1(VALU_DEP_2)
	v_cndmask_b32_e32 v45, v45, v51, vcc_lo
	v_cndmask_b32_e64 v51, 0, 0x40490fdb, s4
	v_cmp_eq_f32_e64 s4, 0, v35
	v_cmp_eq_f32_e32 vcc_lo, 0x7f800000, v35
	v_cndmask_b32_e64 v35, |v45|, v51, s4
	s_and_b32 vcc_lo, vcc_lo, s22
	s_delay_alu instid0(VALU_DEP_1) | instskip(SKIP_1) | instid1(VALU_DEP_2)
	v_cndmask_b32_e32 v35, v35, v52, vcc_lo
	v_cmp_o_f32_e32 vcc_lo, v44, v44
	v_cndmask_b32_e32 v45, 0x7fc00000, v35, vcc_lo
.LBB68_291:                             ;   in Loop: Header=BB68_217 Depth=1
	s_or_b32 exec_lo, exec_lo, s21
                                        ; implicit-def: $vgpr35
	s_and_not1_saveexec_b32 s4, s20
	s_cbranch_execnz .LBB68_293
	s_branch .LBB68_294
.LBB68_292:                             ;   in Loop: Header=BB68_217 Depth=1
	s_and_not1_saveexec_b32 s4, s20
	s_cbranch_execz .LBB68_294
.LBB68_293:                             ;   in Loop: Header=BB68_217 Depth=1
	v_dual_max_num_f32 v44, 2.0, v35 :: v_dual_min_num_f32 v35, 2.0, v35
	v_cmp_lt_f32_e64 vcc_lo, |v46|, 2.0
	s_delay_alu instid0(VALU_DEP_2) | instskip(SKIP_1) | instid1(VALU_DEP_4)
	v_frexp_mant_f32_e32 v45, v44
	v_frexp_exp_i32_f32_e32 v44, v44
	v_frexp_mant_f32_e32 v51, v35
	v_frexp_exp_i32_f32_e32 v35, v35
	s_delay_alu instid0(VALU_DEP_4) | instskip(NEXT) | instid1(VALU_DEP_1)
	v_rcp_f32_e32 v45, v45
	v_sub_nc_u32_e32 v35, v35, v44
	s_delay_alu instid0(TRANS32_DEP_1) | instskip(NEXT) | instid1(VALU_DEP_1)
	v_mul_f32_e32 v45, v51, v45
	v_ldexp_f32 v35, v45, v35
	s_delay_alu instid0(VALU_DEP_1) | instskip(NEXT) | instid1(VALU_DEP_1)
	v_mul_f32_e32 v44, v35, v35
	v_fmaak_f32 v45, s14, v44, 0xbc7a590c
	s_delay_alu instid0(VALU_DEP_1) | instskip(NEXT) | instid1(VALU_DEP_1)
	v_fmaak_f32 v45, v44, v45, 0x3d29fb3f
	v_fmaak_f32 v45, v44, v45, 0xbd97d4d7
	s_delay_alu instid0(VALU_DEP_1) | instskip(NEXT) | instid1(VALU_DEP_1)
	v_fmaak_f32 v45, v44, v45, 0x3dd931b2
	;; [unrolled: 3-line block ×3, first 2 shown]
	v_fmaak_f32 v45, v44, v45, 0xbeaaaa62
	s_delay_alu instid0(VALU_DEP_1) | instskip(NEXT) | instid1(VALU_DEP_1)
	v_mul_f32_e32 v44, v44, v45
	v_fmac_f32_e32 v35, v35, v44
	s_delay_alu instid0(VALU_DEP_1) | instskip(NEXT) | instid1(VALU_DEP_1)
	v_sub_f32_e32 v44, 0x3fc90fdb, v35
	v_cndmask_b32_e32 v35, v35, v44, vcc_lo
	v_cmp_lg_f32_e32 vcc_lo, 0, v46
	s_delay_alu instid0(VALU_DEP_2) | instskip(NEXT) | instid1(VALU_DEP_1)
	v_sub_f32_e32 v44, 0x40490fdb, v35
	v_cndmask_b32_e32 v35, v35, v44, vcc_lo
	s_delay_alu instid0(VALU_DEP_1)
	v_and_b32_e32 v45, 0x7fffffff, v35
.LBB68_294:                             ;   in Loop: Header=BB68_217 Depth=1
	s_or_b32 exec_lo, exec_lo, s4
	s_delay_alu instid0(VALU_DEP_1) | instskip(SKIP_1) | instid1(VALU_DEP_2)
	v_mul_f32_e32 v35, 0.5, v45
	v_bfi_b32 v45, 0x7fffffff, v37, v47
	v_bfi_b32 v44, 0x7fffffff, v35, v46
                                        ; implicit-def: $vgpr47
.LBB68_295:                             ;   in Loop: Header=BB68_217 Depth=1
	s_and_not1_saveexec_b32 s4, s19
	s_cbranch_execz .LBB68_297
; %bb.296:                              ;   in Loop: Header=BB68_217 Depth=1
	flat_store_b32 v[8:9], v49 scope:SCOPE_SYS
	s_wait_storecnt 0x0
	flat_load_b32 v35, v[8:9] scope:SCOPE_SYS
	s_wait_loadcnt 0x0
	v_dual_mov_b32 v44, v46 :: v_dual_mov_b32 v45, v47
	s_wait_dscnt 0x0
	v_add_f32_e32 v35, 1.0, v35
	flat_store_b32 v[14:15], v35 scope:SCOPE_SYS
	s_wait_storecnt 0x0
	flat_load_b32 v35, v[14:15] scope:SCOPE_SYS
	s_wait_loadcnt 0x0
.LBB68_297:                             ;   in Loop: Header=BB68_217 Depth=1
	s_wait_xcnt 0x0
	s_or_b32 exec_lo, exec_lo, s4
                                        ; implicit-def: $vgpr46
.LBB68_298:                             ;   in Loop: Header=BB68_217 Depth=1
	s_and_not1_saveexec_b32 s4, s18
	s_cbranch_execz .LBB68_312
; %bb.299:                              ;   in Loop: Header=BB68_217 Depth=1
	s_wait_dscnt 0x0
	v_and_b32_e32 v35, 0x7f800000, v47
	v_and_b32_e32 v37, 0x7f800000, v46
	v_cmp_neq_f32_e64 s18, 0x7f800000, |v47|
                                        ; implicit-def: $vgpr45
	s_delay_alu instid0(VALU_DEP_2) | instskip(NEXT) | instid1(VALU_DEP_1)
	v_sub_nc_u32_e32 v44, v35, v37
	v_cmp_gt_i32_e32 vcc_lo, 0x6800000, v44
	s_and_b32 s18, s18, vcc_lo
	s_delay_alu instid0(SALU_CYCLE_1) | instskip(NEXT) | instid1(SALU_CYCLE_1)
	s_and_saveexec_b32 s19, s18
	s_xor_b32 s18, exec_lo, s19
	s_cbranch_execz .LBB68_309
; %bb.300:                              ;   in Loop: Header=BB68_217 Depth=1
	v_sub_nc_u32_e32 v37, v37, v35
	s_mov_b32 s19, exec_lo
                                        ; implicit-def: $vgpr45
	s_delay_alu instid0(VALU_DEP_1)
	v_cmpx_gt_i32_e32 0x6800000, v37
	s_xor_b32 s19, exec_lo, s19
	s_cbranch_execz .LBB68_306
; %bb.301:                              ;   in Loop: Header=BB68_217 Depth=1
	s_mov_b32 s20, exec_lo
                                        ; implicit-def: $vgpr45
	v_cmpx_lt_u32_e32 0x59000000, v35
	s_xor_b32 s20, exec_lo, s20
	s_cbranch_execz .LBB68_303
; %bb.302:                              ;   in Loop: Header=BB68_217 Depth=1
	v_sub_nc_u32_e32 v44, 0x7f800000, v35
	s_delay_alu instid0(VALU_DEP_1) | instskip(NEXT) | instid1(VALU_DEP_1)
	v_pk_mul_f32 v[52:53], v[46:47], v[44:45] op_sel_hi:[1,0]
	v_pk_mul_f32 v[54:55], v[52:53], v[52:53]
	s_delay_alu instid0(VALU_DEP_1) | instskip(NEXT) | instid1(VALU_DEP_1)
	v_add_f32_e32 v35, v55, v54
	v_div_scale_f32 v37, null, v35, v35, v53
	s_delay_alu instid0(VALU_DEP_1) | instskip(SKIP_1) | instid1(TRANS32_DEP_1)
	v_rcp_f32_e32 v45, v37
	v_nop
	v_fma_f32 v47, -v37, v45, 1.0
	s_delay_alu instid0(VALU_DEP_1) | instskip(SKIP_1) | instid1(VALU_DEP_1)
	v_fmac_f32_e32 v45, v47, v45
	v_div_scale_f32 v47, vcc_lo, v53, v35, v53
	v_mul_f32_e32 v51, v47, v45
	s_delay_alu instid0(VALU_DEP_1) | instskip(NEXT) | instid1(VALU_DEP_1)
	v_fma_f32 v52, -v37, v51, v47
	v_fmac_f32_e32 v51, v52, v45
	s_delay_alu instid0(VALU_DEP_1) | instskip(NEXT) | instid1(VALU_DEP_1)
	v_fma_f32 v37, -v37, v51, v47
	v_div_fmas_f32 v37, v37, v45, v51
	s_delay_alu instid0(VALU_DEP_1) | instskip(NEXT) | instid1(VALU_DEP_1)
	v_div_fixup_f32 v35, v37, v35, v53
	v_mul_f32_e32 v45, v35, v44
.LBB68_303:                             ;   in Loop: Header=BB68_217 Depth=1
	s_and_not1_saveexec_b32 s20, s20
	s_cbranch_execz .LBB68_305
; %bb.304:                              ;   in Loop: Header=BB68_217 Depth=1
	v_pk_mul_f32 v[44:45], v[46:47], v[46:47]
	s_delay_alu instid0(VALU_DEP_1) | instskip(NEXT) | instid1(VALU_DEP_1)
	v_add_f32_e32 v35, v45, v44
	v_div_scale_f32 v37, null, v35, v35, v47
	s_delay_alu instid0(VALU_DEP_1) | instskip(SKIP_1) | instid1(TRANS32_DEP_1)
	v_rcp_f32_e32 v44, v37
	v_nop
	v_fma_f32 v45, -v37, v44, 1.0
	s_delay_alu instid0(VALU_DEP_1) | instskip(SKIP_1) | instid1(VALU_DEP_1)
	v_fmac_f32_e32 v44, v45, v44
	v_div_scale_f32 v45, vcc_lo, v47, v35, v47
	v_mul_f32_e32 v51, v45, v44
	s_delay_alu instid0(VALU_DEP_1) | instskip(NEXT) | instid1(VALU_DEP_1)
	v_fma_f32 v52, -v37, v51, v45
	v_fmac_f32_e32 v51, v52, v44
	s_delay_alu instid0(VALU_DEP_1) | instskip(NEXT) | instid1(VALU_DEP_1)
	v_fma_f32 v37, -v37, v51, v45
	v_div_fmas_f32 v37, v37, v44, v51
	s_delay_alu instid0(VALU_DEP_1)
	v_div_fixup_f32 v45, v37, v35, v47
.LBB68_305:                             ;   in Loop: Header=BB68_217 Depth=1
	s_or_b32 exec_lo, exec_lo, s20
.LBB68_306:                             ;   in Loop: Header=BB68_217 Depth=1
	s_and_not1_saveexec_b32 s19, s19
	s_cbranch_execz .LBB68_308
; %bb.307:                              ;   in Loop: Header=BB68_217 Depth=1
	v_div_scale_f32 v35, null, v46, v46, v47
	v_div_scale_f32 v45, vcc_lo, v47, v46, v47
	s_delay_alu instid0(VALU_DEP_2) | instskip(SKIP_1) | instid1(TRANS32_DEP_1)
	v_rcp_f32_e32 v37, v35
	v_nop
	v_fma_f32 v44, -v35, v37, 1.0
	s_delay_alu instid0(VALU_DEP_1) | instskip(NEXT) | instid1(VALU_DEP_1)
	v_fmac_f32_e32 v37, v44, v37
	v_mul_f32_e32 v44, v45, v37
	s_delay_alu instid0(VALU_DEP_1) | instskip(NEXT) | instid1(VALU_DEP_1)
	v_fma_f32 v51, -v35, v44, v45
	v_fmac_f32_e32 v44, v51, v37
	s_delay_alu instid0(VALU_DEP_1) | instskip(NEXT) | instid1(VALU_DEP_1)
	v_fma_f32 v35, -v35, v44, v45
	v_div_fmas_f32 v35, v35, v37, v44
	s_delay_alu instid0(VALU_DEP_1) | instskip(NEXT) | instid1(VALU_DEP_1)
	v_div_fixup_f32 v35, v35, v46, v47
	v_div_scale_f32 v37, null, v46, v46, v35
	s_delay_alu instid0(VALU_DEP_1) | instskip(SKIP_1) | instid1(TRANS32_DEP_1)
	v_rcp_f32_e32 v44, v37
	v_nop
	v_fma_f32 v45, -v37, v44, 1.0
	s_delay_alu instid0(VALU_DEP_1) | instskip(SKIP_1) | instid1(VALU_DEP_1)
	v_fmac_f32_e32 v44, v45, v44
	v_div_scale_f32 v45, vcc_lo, v35, v46, v35
	v_mul_f32_e32 v47, v45, v44
	s_delay_alu instid0(VALU_DEP_1) | instskip(NEXT) | instid1(VALU_DEP_1)
	v_fma_f32 v51, -v37, v47, v45
	v_fmac_f32_e32 v47, v51, v44
	s_delay_alu instid0(VALU_DEP_1) | instskip(NEXT) | instid1(VALU_DEP_1)
	v_fma_f32 v37, -v37, v47, v45
	v_div_fmas_f32 v37, v37, v44, v47
	s_delay_alu instid0(VALU_DEP_1)
	v_div_fixup_f32 v45, v37, v46, v35
.LBB68_308:                             ;   in Loop: Header=BB68_217 Depth=1
	s_or_b32 exec_lo, exec_lo, s19
.LBB68_309:                             ;   in Loop: Header=BB68_217 Depth=1
	s_and_not1_saveexec_b32 s18, s18
	s_cbranch_execz .LBB68_311
; %bb.310:                              ;   in Loop: Header=BB68_217 Depth=1
	v_div_scale_f32 v35, null, v47, v47, 1.0
	s_delay_alu instid0(VALU_DEP_1) | instskip(SKIP_1) | instid1(TRANS32_DEP_1)
	v_rcp_f32_e32 v37, v35
	v_nop
	v_fma_f32 v44, -v35, v37, 1.0
	s_delay_alu instid0(VALU_DEP_1) | instskip(SKIP_1) | instid1(VALU_DEP_1)
	v_fmac_f32_e32 v37, v44, v37
	v_div_scale_f32 v44, vcc_lo, 1.0, v47, 1.0
	v_mul_f32_e32 v45, v44, v37
	s_delay_alu instid0(VALU_DEP_1) | instskip(NEXT) | instid1(VALU_DEP_1)
	v_fma_f32 v51, -v35, v45, v44
	v_fmac_f32_e32 v45, v51, v37
	s_delay_alu instid0(VALU_DEP_1) | instskip(NEXT) | instid1(VALU_DEP_1)
	v_fma_f32 v35, -v35, v45, v44
	v_div_fmas_f32 v35, v35, v37, v45
	s_delay_alu instid0(VALU_DEP_1)
	v_div_fixup_f32 v45, v35, v47, 1.0
.LBB68_311:                             ;   in Loop: Header=BB68_217 Depth=1
	s_or_b32 exec_lo, exec_lo, s18
	flat_load_b32 v35, v[6:7] scope:SCOPE_SYS
	s_wait_loadcnt_dscnt 0x0
	v_add_f32_e32 v35, 0x3fc90fdb, v35
	s_delay_alu instid0(VALU_DEP_1)
	v_bfi_b32 v44, 0x7fffffff, v35, v46
.LBB68_312:                             ;   in Loop: Header=BB68_217 Depth=1
	s_or_b32 exec_lo, exec_lo, s4
                                        ; implicit-def: $vgpr47
.LBB68_313:                             ;   in Loop: Header=BB68_217 Depth=1
	s_and_not1_saveexec_b32 s4, s17
	s_cbranch_execz .LBB68_323
; %bb.314:                              ;   in Loop: Header=BB68_217 Depth=1
	v_cmp_neq_f32_e64 s17, 0x7f800000, |v47|
                                        ; implicit-def: $vgpr45
	s_and_saveexec_b32 s18, s17
	s_delay_alu instid0(SALU_CYCLE_1)
	s_xor_b32 s17, exec_lo, s18
	s_cbranch_execz .LBB68_320
; %bb.315:                              ;   in Loop: Header=BB68_217 Depth=1
	v_cmp_neq_f32_e64 s18, 0x7f800000, |v46|
                                        ; implicit-def: $vgpr45
	s_and_saveexec_b32 s19, s18
	s_delay_alu instid0(SALU_CYCLE_1)
	s_xor_b32 s18, exec_lo, s19
	s_cbranch_execz .LBB68_317
; %bb.316:                              ;   in Loop: Header=BB68_217 Depth=1
	s_wait_dscnt 0x0
	v_add_f32_e32 v35, 0, v46
	s_delay_alu instid0(VALU_DEP_1)
	v_add_f32_e32 v45, v47, v35
                                        ; implicit-def: $vgpr46_vgpr47
.LBB68_317:                             ;   in Loop: Header=BB68_217 Depth=1
	s_or_saveexec_b32 s18, s18
	s_delay_alu instid0(VALU_DEP_1)
	v_mov_b32_e32 v44, v45
	s_xor_b32 exec_lo, exec_lo, s18
	s_cbranch_execz .LBB68_319
; %bb.318:                              ;   in Loop: Header=BB68_217 Depth=1
	s_wait_dscnt 0x0
	flat_load_b32 v35, v[6:7] scope:SCOPE_SYS
	s_wait_loadcnt 0x0
	v_bfi_b32 v45, 0x7fffffff, 0, v47
	s_wait_dscnt 0x0
	v_add_f32_e32 v35, 0x3fc90fdb, v35
	s_delay_alu instid0(VALU_DEP_1)
	v_bfi_b32 v44, 0x7fffffff, v35, v46
.LBB68_319:                             ;   in Loop: Header=BB68_217 Depth=1
	s_wait_xcnt 0x0
	s_or_b32 exec_lo, exec_lo, s18
                                        ; implicit-def: $vgpr47
.LBB68_320:                             ;   in Loop: Header=BB68_217 Depth=1
	s_and_not1_saveexec_b32 s17, s17
; %bb.321:                              ;   in Loop: Header=BB68_217 Depth=1
	v_bfi_b32 v45, 0x7fffffff, 0, v47
	v_add_f32_e32 v44, v46, v46
; %bb.322:                              ;   in Loop: Header=BB68_217 Depth=1
	s_or_b32 exec_lo, exec_lo, s17
.LBB68_323:                             ;   in Loop: Header=BB68_217 Depth=1
	s_delay_alu instid0(SALU_CYCLE_1)
	s_or_b32 exec_lo, exec_lo, s4
                                        ; implicit-def: $vgpr46
.LBB68_324:                             ;   in Loop: Header=BB68_217 Depth=1
	s_and_not1_saveexec_b32 s4, s16
	s_cbranch_execz .LBB68_326
; %bb.325:                              ;   in Loop: Header=BB68_217 Depth=1
	s_wait_dscnt 0x0
	v_rcp_f32_e64 v35, |v46|
	v_cmp_gt_f32_e64 vcc_lo, |v46|, 1.0
	v_mov_b32_e32 v45, v47
	s_delay_alu instid0(TRANS32_DEP_1) | instid1(VALU_DEP_2)
	v_cndmask_b32_e64 v35, |v46|, v35, vcc_lo
	s_delay_alu instid0(VALU_DEP_1) | instskip(NEXT) | instid1(VALU_DEP_1)
	v_mul_f32_e32 v37, v35, v35
	v_fmaak_f32 v44, s14, v37, 0xbc7a590c
	s_delay_alu instid0(VALU_DEP_1) | instskip(NEXT) | instid1(VALU_DEP_1)
	v_fmaak_f32 v44, v37, v44, 0x3d29fb3f
	v_fmaak_f32 v44, v37, v44, 0xbd97d4d7
	s_delay_alu instid0(VALU_DEP_1) | instskip(NEXT) | instid1(VALU_DEP_1)
	v_fmaak_f32 v44, v37, v44, 0x3dd931b2
	;; [unrolled: 3-line block ×3, first 2 shown]
	v_fmaak_f32 v44, v37, v44, 0xbeaaaa62
	s_delay_alu instid0(VALU_DEP_1) | instskip(NEXT) | instid1(VALU_DEP_1)
	v_mul_f32_e32 v37, v37, v44
	v_fmac_f32_e32 v35, v35, v37
	s_delay_alu instid0(VALU_DEP_1) | instskip(NEXT) | instid1(VALU_DEP_1)
	v_sub_f32_e32 v37, 0x3fc90fdb, v35
	v_cndmask_b32_e32 v35, v35, v37, vcc_lo
	s_delay_alu instid0(VALU_DEP_1)
	v_bfi_b32 v44, 0x7fffffff, v35, v46
.LBB68_326:                             ;   in Loop: Header=BB68_217 Depth=1
	s_or_b32 exec_lo, exec_lo, s4
                                        ; implicit-def: $vgpr47
.LBB68_327:                             ;   in Loop: Header=BB68_217 Depth=1
	s_and_not1_saveexec_b32 s4, s15
	s_cbranch_execz .LBB68_329
; %bb.328:                              ;   in Loop: Header=BB68_217 Depth=1
	s_wait_dscnt 0x0
	v_sub_f32_e64 v35, 1.0, |v47|
	v_add_f32_e64 v44, |v47|, 1.0
	v_and_b32_e32 v54, 0x7fffffff, v47
	v_cmp_gt_f32_e64 s15, 0x39800000, |v47|
	s_delay_alu instid0(VALU_DEP_4) | instskip(SKIP_1) | instid1(VALU_DEP_1)
	v_rcp_f32_e32 v37, v35
	v_sub_f32_e32 v52, 1.0, v35
	v_sub_f32_e64 v52, v52, |v47|
	s_delay_alu instid0(TRANS32_DEP_1) | instskip(NEXT) | instid1(VALU_DEP_1)
	v_mul_f32_e32 v51, v44, v37
	v_mul_f32_e32 v45, v35, v51
	s_delay_alu instid0(VALU_DEP_1) | instskip(NEXT) | instid1(VALU_DEP_1)
	v_fma_f32 v35, v51, v35, -v45
	v_fmac_f32_e32 v35, v51, v52
	s_delay_alu instid0(VALU_DEP_1) | instskip(NEXT) | instid1(VALU_DEP_1)
	v_pk_add_f32 v[52:53], v[44:45], v[34:35]
	v_sub_f32_e32 v56, v44, v53
	s_delay_alu instid0(VALU_DEP_1) | instskip(NEXT) | instid1(VALU_DEP_1)
	v_dual_sub_f32 v45, v53, v45 :: v_dual_sub_f32 v55, v44, v56
	v_sub_f32_e32 v35, v45, v35
	s_delay_alu instid0(VALU_DEP_2) | instskip(NEXT) | instid1(VALU_DEP_1)
	v_pk_add_f32 v[44:45], v[54:55], v[52:53] neg_lo:[0,1] neg_hi:[0,1]
	v_add_f32_e32 v35, v35, v45
	s_delay_alu instid0(VALU_DEP_1) | instskip(NEXT) | instid1(VALU_DEP_1)
	v_add_f32_e32 v35, v44, v35
	v_add_f32_e32 v35, v56, v35
	s_delay_alu instid0(VALU_DEP_1) | instskip(NEXT) | instid1(VALU_DEP_1)
	v_mul_f32_e32 v35, v37, v35
	v_add_f32_e32 v37, v51, v35
	s_delay_alu instid0(VALU_DEP_1) | instskip(NEXT) | instid1(VALU_DEP_1)
	v_cvt_f64_f32_e32 v[44:45], v37
	v_frexp_exp_i32_f64_e32 v44, v[44:45]
	v_frexp_mant_f32_e32 v45, v37
	s_delay_alu instid0(VALU_DEP_1) | instskip(NEXT) | instid1(VALU_DEP_3)
	v_cmp_gt_f32_e32 vcc_lo, 0x3f2aaaab, v45
	v_subrev_co_ci_u32_e64 v56, null, 0, v44, vcc_lo
	v_cmp_neq_f32_e64 vcc_lo, |v47|, 1.0
	s_delay_alu instid0(VALU_DEP_2) | instskip(NEXT) | instid1(VALU_DEP_1)
	v_sub_nc_u32_e32 v44, 0, v56
	v_ldexp_f32 v45, v37, v44
	s_delay_alu instid0(VALU_DEP_1) | instskip(NEXT) | instid1(VALU_DEP_1)
	v_dual_sub_f32 v37, v37, v51 :: v_dual_add_f32 v51, 1.0, v45
	v_sub_f32_e32 v35, v35, v37
	s_delay_alu instid0(VALU_DEP_2) | instskip(NEXT) | instid1(VALU_DEP_2)
	v_dual_add_f32 v55, -1.0, v45 :: v_dual_add_f32 v37, -1.0, v51
	v_ldexp_f32 v35, v35, v44
	s_delay_alu instid0(VALU_DEP_2) | instskip(NEXT) | instid1(VALU_DEP_1)
	v_dual_add_f32 v44, 1.0, v55 :: v_dual_sub_f32 v37, v45, v37
	v_dual_sub_f32 v44, v45, v44 :: v_dual_add_f32 v37, v35, v37
	s_delay_alu instid0(VALU_DEP_1) | instskip(NEXT) | instid1(VALU_DEP_2)
	v_add_f32_e32 v35, v35, v44
	v_add_f32_e32 v57, v51, v37
	s_delay_alu instid0(VALU_DEP_1) | instskip(SKIP_1) | instid1(VALU_DEP_1)
	v_rcp_f32_e32 v58, v57
	v_sub_f32_e32 v44, v57, v51
	v_dual_add_f32 v45, v55, v35 :: v_dual_sub_f32 v37, v37, v44
	s_delay_alu instid0(TRANS32_DEP_1) | instid1(VALU_DEP_1)
	v_dual_mul_f32 v59, v45, v58 :: v_dual_sub_f32 v51, v45, v55
	s_delay_alu instid0(VALU_DEP_1) | instskip(NEXT) | instid1(VALU_DEP_2)
	v_mul_f32_e32 v52, v57, v59
	v_sub_f32_e32 v35, v35, v51
	s_delay_alu instid0(VALU_DEP_2) | instskip(NEXT) | instid1(VALU_DEP_1)
	v_fma_f32 v54, v59, v57, -v52
	v_fmac_f32_e32 v54, v59, v37
	s_delay_alu instid0(VALU_DEP_1) | instskip(NEXT) | instid1(VALU_DEP_1)
	v_add_f32_e32 v44, v52, v54
	v_dual_sub_f32 v53, v45, v44 :: v_dual_mov_b32 v55, v44
	s_delay_alu instid0(VALU_DEP_1) | instskip(NEXT) | instid1(VALU_DEP_1)
	v_pk_add_f32 v[44:45], v[44:45], v[52:53] neg_lo:[0,1] neg_hi:[0,1]
	v_pk_add_f32 v[44:45], v[44:45], v[54:55] neg_lo:[0,1] neg_hi:[0,1]
	s_delay_alu instid0(VALU_DEP_1) | instskip(NEXT) | instid1(VALU_DEP_1)
	v_add_f32_e32 v35, v35, v45
	v_add_f32_e32 v35, v44, v35
	s_delay_alu instid0(VALU_DEP_1) | instskip(NEXT) | instid1(VALU_DEP_1)
	v_add_f32_e32 v45, v53, v35
	v_mul_f32_e32 v51, v58, v45
	s_delay_alu instid0(VALU_DEP_1) | instskip(NEXT) | instid1(VALU_DEP_1)
	v_mul_f32_e32 v54, v57, v51
	v_fma_f32 v52, v51, v57, -v54
	v_add_f32_e32 v57, v59, v51
	s_delay_alu instid0(VALU_DEP_2) | instskip(NEXT) | instid1(VALU_DEP_1)
	v_fmac_f32_e32 v52, v51, v37
	v_dual_sub_f32 v37, v53, v45 :: v_dual_add_f32 v44, v54, v52
	s_delay_alu instid0(VALU_DEP_1) | instskip(NEXT) | instid1(VALU_DEP_2)
	v_dual_add_f32 v35, v35, v37 :: v_dual_sub_f32 v37, v57, v59
	v_dual_sub_f32 v55, v45, v44 :: v_dual_mov_b32 v53, v44
	s_delay_alu instid0(VALU_DEP_2) | instskip(NEXT) | instid1(VALU_DEP_2)
	v_sub_f32_e32 v37, v51, v37
	v_pk_add_f32 v[44:45], v[44:45], v[54:55] neg_lo:[0,1] neg_hi:[0,1]
	s_delay_alu instid0(VALU_DEP_1) | instskip(NEXT) | instid1(VALU_DEP_1)
	v_pk_add_f32 v[44:45], v[44:45], v[52:53] neg_lo:[0,1] neg_hi:[0,1]
	v_add_f32_e32 v35, v35, v45
	s_delay_alu instid0(VALU_DEP_1) | instskip(SKIP_1) | instid1(VALU_DEP_2)
	v_add_f32_e32 v35, v44, v35
	v_cvt_f32_i32_e32 v44, v56
	v_add_f32_e32 v35, v55, v35
	s_delay_alu instid0(VALU_DEP_1) | instskip(NEXT) | instid1(VALU_DEP_1)
	v_mul_f32_e32 v35, v58, v35
	v_add_f32_e32 v35, v37, v35
	s_delay_alu instid0(VALU_DEP_1) | instskip(NEXT) | instid1(VALU_DEP_1)
	v_add_f32_e32 v51, v57, v35
	v_mul_f32_e32 v37, v51, v51
	s_delay_alu instid0(VALU_DEP_1) | instskip(NEXT) | instid1(VALU_DEP_1)
	v_dual_fmaak_f32 v52, s5, v37, 0x3ecc95a3 :: v_dual_mul_f32 v45, v51, v37
	v_fmaak_f32 v37, v37, v52, 0x3f2aaada
	s_delay_alu instid0(VALU_DEP_1) | instskip(SKIP_1) | instid1(VALU_DEP_2)
	v_pk_mul_f32 v[52:53], v[44:45], v[36:37]
	v_sub_f32_e32 v37, v51, v57
	v_fma_f32 v54, 0x3f317218, v44, -v52
	s_delay_alu instid0(VALU_DEP_2) | instskip(SKIP_2) | instid1(VALU_DEP_4)
	v_sub_f32_e32 v35, v35, v37
	v_ldexp_f32 v55, v51, 1
	v_mov_b32_e32 v56, v52
	v_fmac_f32_e32 v54, 0xb102e308, v44
	s_delay_alu instid0(VALU_DEP_4) | instskip(NEXT) | instid1(VALU_DEP_2)
	v_ldexp_f32 v35, v35, 1
	v_pk_add_f32 v[44:45], v[52:53], v[54:55]
	s_delay_alu instid0(VALU_DEP_1) | instskip(NEXT) | instid1(VALU_DEP_1)
	v_dual_sub_f32 v37, v45, v55 :: v_dual_mov_b32 v55, v44
	v_sub_f32_e32 v37, v53, v37
	v_pk_add_f32 v[52:53], v[44:45], v[52:53] neg_lo:[0,1] neg_hi:[0,1]
	s_delay_alu instid0(VALU_DEP_2) | instskip(NEXT) | instid1(VALU_DEP_1)
	v_add_f32_e32 v57, v35, v37
	v_pk_add_f32 v[58:59], v[44:45], v[56:57]
	s_delay_alu instid0(VALU_DEP_1) | instskip(NEXT) | instid1(VALU_DEP_1)
	v_mov_b32_e32 v53, v59
	v_pk_add_f32 v[60:61], v[54:55], v[52:53]
	v_mov_b32_e32 v60, v59
	v_pk_add_f32 v[52:53], v[54:55], v[52:53] neg_lo:[0,1] neg_hi:[0,1]
	s_delay_alu instid0(VALU_DEP_3) | instskip(NEXT) | instid1(VALU_DEP_1)
	v_dual_mov_b32 v56, v61 :: v_dual_mov_b32 v53, v61
	v_pk_add_f32 v[62:63], v[56:57], v[44:45] neg_lo:[0,1] neg_hi:[0,1]
	v_dual_mov_b32 v64, v45 :: v_dual_mov_b32 v45, v44
	s_delay_alu instid0(VALU_DEP_2) | instskip(SKIP_1) | instid1(VALU_DEP_2)
	v_dual_mov_b32 v44, v57 :: v_dual_mov_b32 v65, v62
	v_mov_b32_e32 v35, v62
	v_pk_add_f32 v[54:55], v[60:61], v[64:65] neg_lo:[0,1] neg_hi:[0,1]
	s_delay_alu instid0(VALU_DEP_2) | instskip(SKIP_1) | instid1(VALU_DEP_3)
	v_pk_add_f32 v[58:59], v[58:59], v[34:35] neg_lo:[0,1] neg_hi:[0,1]
	v_mov_b32_e32 v58, v52
	v_pk_add_f32 v[44:45], v[44:45], v[54:55] neg_lo:[0,1] neg_hi:[0,1]
	s_delay_alu instid0(VALU_DEP_1) | instskip(NEXT) | instid1(VALU_DEP_1)
	v_pk_add_f32 v[54:55], v[58:59], v[44:45]
	v_mov_b32_e32 v58, v55
	s_delay_alu instid0(VALU_DEP_1) | instskip(NEXT) | instid1(VALU_DEP_1)
	v_pk_add_f32 v[58:59], v[54:55], v[58:59]
	v_pk_add_f32 v[56:57], v[56:57], v[58:59]
	s_delay_alu instid0(VALU_DEP_1) | instskip(NEXT) | instid1(VALU_DEP_1)
	v_dual_mov_b32 v45, v58 :: v_dual_mov_b32 v55, v56
	v_pk_add_f32 v[60:61], v[54:55], v[52:53] neg_lo:[0,1] neg_hi:[0,1]
	s_delay_alu instid0(VALU_DEP_1) | instskip(NEXT) | instid1(VALU_DEP_2)
	v_sub_f32_e32 v35, v54, v60
	v_pk_add_f32 v[44:45], v[44:45], v[60:61] neg_lo:[0,1] neg_hi:[0,1]
	s_delay_alu instid0(VALU_DEP_2) | instskip(NEXT) | instid1(VALU_DEP_1)
	v_sub_f32_e32 v35, v52, v35
	v_dual_add_f32 v35, v44, v35 :: v_dual_mov_b32 v44, v46
	s_delay_alu instid0(VALU_DEP_1) | instskip(NEXT) | instid1(VALU_DEP_1)
	v_add_f32_e32 v35, v35, v45
	v_add_f32_e32 v35, v56, v35
	s_delay_alu instid0(VALU_DEP_1) | instskip(NEXT) | instid1(VALU_DEP_1)
	v_mul_f32_e32 v35, 0.5, v35
	v_cndmask_b32_e64 v35, v35, |v47|, s15
	s_delay_alu instid0(VALU_DEP_1) | instskip(NEXT) | instid1(VALU_DEP_1)
	v_cndmask_b32_e32 v35, 0x7f800000, v35, vcc_lo
	v_bfi_b32 v45, 0x7fffffff, v35, v47
.LBB68_329:                             ;   in Loop: Header=BB68_217 Depth=1
	s_or_b32 exec_lo, exec_lo, s4
	v_cmp_neq_f32_e32 vcc_lo, 0, v42
	v_cmp_nle_f32_e64 s4, |v43|, 1.0
	flat_store_b32 v[6:7], v48 scope:SCOPE_SYS
	s_wait_storecnt 0x0
                                        ; implicit-def: $vgpr47
	s_or_b32 s4, vcc_lo, s4
	s_wait_xcnt 0x0
	s_and_saveexec_b32 s15, s4
	s_delay_alu instid0(SALU_CYCLE_1)
	s_xor_b32 s15, exec_lo, s15
	s_cbranch_execz .LBB68_379
; %bb.330:                              ;   in Loop: Header=BB68_217 Depth=1
                                        ; implicit-def: $vgpr47
	s_mov_b32 s4, exec_lo
	v_cmpx_neq_f32_e32 0, v43
	s_xor_b32 s16, exec_lo, s4
	s_cbranch_execz .LBB68_376
; %bb.331:                              ;   in Loop: Header=BB68_217 Depth=1
                                        ; implicit-def: $vgpr47
	s_mov_b32 s4, exec_lo
	v_cmpx_o_f32_e32 v43, v42
	s_xor_b32 s17, exec_lo, s4
	s_cbranch_execz .LBB68_365
; %bb.332:                              ;   in Loop: Header=BB68_217 Depth=1
	s_wait_dscnt 0x1
	v_max_num_f32_e64 v35, |v42|, |v42|
	v_max_num_f32_e64 v37, |v43|, |v43|
                                        ; implicit-def: $vgpr47
	s_mov_b32 s4, exec_lo
	s_delay_alu instid0(VALU_DEP_1) | instskip(NEXT) | instid1(VALU_DEP_1)
	v_max_num_f32_e32 v37, v37, v35
	v_cmpx_nlt_f32_e32 0x4b000000, v37
	s_xor_b32 s18, exec_lo, s4
	s_cbranch_execz .LBB68_350
; %bb.333:                              ;   in Loop: Header=BB68_217 Depth=1
	v_cmp_ngt_f32_e64 s4, 0x399cc471, |v43|
	v_cmp_ngt_f32_e64 s19, 0x399cc471, |v42|
                                        ; implicit-def: $vgpr47
	s_or_b32 s4, s4, s19
	s_delay_alu instid0(SALU_CYCLE_1) | instskip(NEXT) | instid1(SALU_CYCLE_1)
	s_and_saveexec_b32 s19, s4
	s_xor_b32 s19, exec_lo, s19
	s_cbranch_execz .LBB68_347
; %bb.334:                              ;   in Loop: Header=BB68_217 Depth=1
	v_cmp_neq_f32_e64 s20, |v43|, 1.0
	v_cmp_ngt_f32_e64 s4, 0x34000000, |v42|
                                        ; implicit-def: $vgpr37
	s_or_b32 s21, s20, s4
	s_delay_alu instid0(SALU_CYCLE_1) | instskip(NEXT) | instid1(SALU_CYCLE_1)
	s_and_saveexec_b32 s22, s21
	s_xor_b32 s21, exec_lo, s22
	s_cbranch_execz .LBB68_336
; %bb.335:                              ;   in Loop: Header=BB68_217 Depth=1
	v_add_f32_e64 v47, |v43|, -1.0
	v_mov_b32_e32 v46, v42
	v_cmp_gt_f32_e64 vcc_lo, 0x20000000, |v42|
	v_mul_f32_e64 v37, |v43|, 4.0
	s_delay_alu instid0(VALU_DEP_3) | instskip(NEXT) | instid1(VALU_DEP_1)
	v_pk_mul_f32 v[46:47], v[46:47], v[46:47]
	v_add_f32_e32 v46, v46, v47
	s_delay_alu instid0(VALU_DEP_1) | instskip(NEXT) | instid1(VALU_DEP_1)
	v_cndmask_b32_e32 v46, v46, v47, vcc_lo
	v_div_scale_f32 v47, null, v46, v46, v37
	s_delay_alu instid0(VALU_DEP_1) | instskip(SKIP_1) | instid1(TRANS32_DEP_1)
	v_rcp_f32_e32 v51, v47
	v_nop
	v_fma_f32 v52, -v47, v51, 1.0
	s_delay_alu instid0(VALU_DEP_1) | instskip(SKIP_1) | instid1(VALU_DEP_1)
	v_fmac_f32_e32 v51, v52, v51
	v_div_scale_f32 v52, vcc_lo, v37, v46, v37
	v_mul_f32_e32 v53, v52, v51
	s_delay_alu instid0(VALU_DEP_1) | instskip(NEXT) | instid1(VALU_DEP_1)
	v_fma_f32 v54, -v47, v53, v52
	v_fmac_f32_e32 v53, v54, v51
	s_delay_alu instid0(VALU_DEP_1) | instskip(NEXT) | instid1(VALU_DEP_1)
	v_fma_f32 v47, -v47, v53, v52
	v_div_fmas_f32 v47, v47, v51, v53
	s_delay_alu instid0(VALU_DEP_1) | instskip(NEXT) | instid1(VALU_DEP_1)
	v_div_fixup_f32 v46, v47, v46, v37
	v_add_f32_e32 v53, 1.0, v46
	s_delay_alu instid0(VALU_DEP_1) | instskip(NEXT) | instid1(VALU_DEP_1)
	v_add_f32_e32 v47, -1.0, v53
	v_mov_b32_e32 v52, v47
	s_delay_alu instid0(VALU_DEP_1) | instskip(NEXT) | instid1(VALU_DEP_1)
	v_pk_add_f32 v[54:55], v[46:47], v[52:53] neg_lo:[0,1] neg_hi:[0,1]
	v_add_f32_e32 v37, 1.0, v55
	v_frexp_mant_f32_e32 v47, v53
	s_delay_alu instid0(VALU_DEP_2) | instskip(SKIP_1) | instid1(VALU_DEP_3)
	v_add_f32_e32 v37, v54, v37
	v_cvt_f64_f32_e32 v[54:55], v53
	v_cmp_gt_f32_e32 vcc_lo, 0x3f2aaaab, v47
	s_delay_alu instid0(VALU_DEP_2) | instskip(NEXT) | instid1(VALU_DEP_1)
	v_frexp_exp_i32_f64_e32 v47, v[54:55]
	v_subrev_co_ci_u32_e64 v47, null, 0, v47, vcc_lo
	v_cmp_neq_f32_e32 vcc_lo, 0x7f800000, v46
	s_delay_alu instid0(VALU_DEP_2) | instskip(NEXT) | instid1(VALU_DEP_1)
	v_sub_nc_u32_e32 v51, 0, v47
	v_ldexp_f32 v52, v53, v51
	v_ldexp_f32 v37, v37, v51
	s_delay_alu instid0(VALU_DEP_2) | instskip(NEXT) | instid1(VALU_DEP_1)
	v_add_f32_e32 v51, -1.0, v52
	v_add_f32_e32 v53, 1.0, v51
	s_delay_alu instid0(VALU_DEP_1) | instskip(NEXT) | instid1(VALU_DEP_1)
	v_sub_f32_e32 v53, v52, v53
	v_dual_add_f32 v54, v37, v53 :: v_dual_add_f32 v53, 1.0, v52
	s_delay_alu instid0(VALU_DEP_1) | instskip(NEXT) | instid1(VALU_DEP_1)
	v_add_f32_e32 v55, -1.0, v53
	v_sub_f32_e32 v52, v52, v55
	s_delay_alu instid0(VALU_DEP_1) | instskip(NEXT) | instid1(VALU_DEP_1)
	v_add_f32_e32 v37, v37, v52
	v_add_f32_e32 v60, v53, v37
	s_delay_alu instid0(VALU_DEP_1) | instskip(SKIP_1) | instid1(VALU_DEP_1)
	v_sub_f32_e32 v52, v60, v53
	v_rcp_f32_e32 v61, v60
	v_dual_add_f32 v53, v51, v54 :: v_dual_sub_f32 v37, v37, v52
	s_delay_alu instid0(TRANS32_DEP_1) | instid1(VALU_DEP_1)
	v_dual_sub_f32 v51, v53, v51 :: v_dual_mul_f32 v62, v53, v61
	s_delay_alu instid0(VALU_DEP_1) | instskip(NEXT) | instid1(VALU_DEP_1)
	v_dual_sub_f32 v51, v54, v51 :: v_dual_mul_f32 v54, v60, v62
	v_fma_f32 v56, v62, v60, -v54
	s_delay_alu instid0(VALU_DEP_1) | instskip(NEXT) | instid1(VALU_DEP_1)
	v_fmac_f32_e32 v56, v62, v37
	v_add_f32_e32 v52, v54, v56
	s_delay_alu instid0(VALU_DEP_1) | instskip(NEXT) | instid1(VALU_DEP_1)
	v_dual_sub_f32 v55, v53, v52 :: v_dual_mov_b32 v57, v52
	v_pk_add_f32 v[58:59], v[52:53], v[54:55] neg_lo:[0,1] neg_hi:[0,1]
	s_delay_alu instid0(VALU_DEP_1) | instskip(NEXT) | instid1(VALU_DEP_1)
	v_pk_add_f32 v[52:53], v[58:59], v[56:57] neg_lo:[0,1] neg_hi:[0,1]
	v_add_f32_e32 v51, v51, v53
	s_delay_alu instid0(VALU_DEP_1) | instskip(NEXT) | instid1(VALU_DEP_1)
	v_add_f32_e32 v51, v52, v51
	v_add_f32_e32 v53, v55, v51
	s_delay_alu instid0(VALU_DEP_1) | instskip(NEXT) | instid1(VALU_DEP_1)
	v_mul_f32_e32 v63, v61, v53
	v_mul_f32_e32 v54, v60, v63
	s_delay_alu instid0(VALU_DEP_1) | instskip(NEXT) | instid1(VALU_DEP_1)
	v_fma_f32 v56, v63, v60, -v54
	v_fmac_f32_e32 v56, v63, v37
	s_delay_alu instid0(VALU_DEP_1) | instskip(NEXT) | instid1(VALU_DEP_1)
	v_dual_add_f32 v52, v54, v56 :: v_dual_sub_f32 v37, v55, v53
	v_dual_sub_f32 v55, v53, v52 :: v_dual_mov_b32 v57, v52
	s_delay_alu instid0(VALU_DEP_2) | instskip(NEXT) | instid1(VALU_DEP_2)
	v_dual_add_f32 v37, v51, v37 :: v_dual_add_f32 v51, v62, v63
	v_pk_add_f32 v[58:59], v[52:53], v[54:55] neg_lo:[0,1] neg_hi:[0,1]
	s_delay_alu instid0(VALU_DEP_1) | instskip(NEXT) | instid1(VALU_DEP_1)
	v_pk_add_f32 v[52:53], v[58:59], v[56:57] neg_lo:[0,1] neg_hi:[0,1]
	v_add_f32_e32 v37, v37, v53
	s_delay_alu instid0(VALU_DEP_1) | instskip(NEXT) | instid1(VALU_DEP_1)
	v_dual_add_f32 v37, v52, v37 :: v_dual_sub_f32 v52, v51, v62
	v_sub_f32_e32 v52, v63, v52
	s_delay_alu instid0(VALU_DEP_2) | instskip(NEXT) | instid1(VALU_DEP_1)
	v_add_f32_e32 v37, v55, v37
	v_mul_f32_e32 v37, v61, v37
	s_delay_alu instid0(VALU_DEP_1) | instskip(SKIP_1) | instid1(VALU_DEP_2)
	v_add_f32_e32 v53, v52, v37
	v_cvt_f32_i32_e32 v52, v47
	v_add_f32_e32 v54, v51, v53
	s_delay_alu instid0(VALU_DEP_1) | instskip(NEXT) | instid1(VALU_DEP_1)
	v_mul_f32_e32 v56, v54, v54
	v_fmaak_f32 v37, s5, v56, 0x3ecc95a3
	v_sub_f32_e32 v47, v54, v51
	v_ldexp_f32 v55, v54, 1
	s_delay_alu instid0(VALU_DEP_3) | instskip(NEXT) | instid1(VALU_DEP_3)
	v_fmaak_f32 v37, v56, v37, 0x3f2aaada
	v_dual_sub_f32 v47, v53, v47 :: v_dual_mul_f32 v53, v54, v56
	s_delay_alu instid0(VALU_DEP_1) | instskip(NEXT) | instid1(VALU_DEP_2)
	v_ldexp_f32 v47, v47, 1
	v_pk_mul_f32 v[56:57], v[52:53], v[36:37]
	s_delay_alu instid0(VALU_DEP_1) | instskip(SKIP_1) | instid1(VALU_DEP_2)
	v_fma_f32 v54, 0x3f317218, v52, -v56
	v_mov_b32_e32 v58, v56
	v_fmac_f32_e32 v54, 0xb102e308, v52
	s_delay_alu instid0(VALU_DEP_1) | instskip(NEXT) | instid1(VALU_DEP_1)
	v_pk_add_f32 v[52:53], v[56:57], v[54:55]
	v_dual_sub_f32 v37, v53, v55 :: v_dual_mov_b32 v55, v52
	s_delay_alu instid0(VALU_DEP_1) | instskip(SKIP_1) | instid1(VALU_DEP_2)
	v_sub_f32_e32 v37, v57, v37
	v_pk_add_f32 v[56:57], v[52:53], v[56:57] neg_lo:[0,1] neg_hi:[0,1]
	v_add_f32_e32 v59, v47, v37
	s_delay_alu instid0(VALU_DEP_1) | instskip(NEXT) | instid1(VALU_DEP_1)
	v_pk_add_f32 v[60:61], v[52:53], v[58:59]
	v_dual_mov_b32 v57, v61 :: v_dual_mov_b32 v58, v59
	s_delay_alu instid0(VALU_DEP_1) | instskip(SKIP_2) | instid1(VALU_DEP_2)
	v_pk_add_f32 v[62:63], v[54:55], v[56:57] neg_lo:[0,1] neg_hi:[0,1]
	v_pk_add_f32 v[54:55], v[54:55], v[56:57]
	v_dual_mov_b32 v54, v61 :: v_dual_mov_b32 v59, v52
	v_dual_mov_b32 v56, v55 :: v_dual_mov_b32 v63, v55
	s_delay_alu instid0(VALU_DEP_1) | instskip(NEXT) | instid1(VALU_DEP_1)
	v_pk_add_f32 v[64:65], v[56:57], v[52:53] neg_lo:[0,1] neg_hi:[0,1]
	v_mov_b32_e32 v37, v64
	s_delay_alu instid0(VALU_DEP_1) | instskip(SKIP_2) | instid1(VALU_DEP_2)
	v_pk_add_f32 v[66:67], v[60:61], v[36:37] neg_lo:[0,1] neg_hi:[0,1]
	v_dual_mov_b32 v60, v53 :: v_dual_mov_b32 v61, v64
	v_mov_b32_e32 v66, v62
	v_pk_add_f32 v[54:55], v[54:55], v[60:61] neg_lo:[0,1] neg_hi:[0,1]
	s_delay_alu instid0(VALU_DEP_1) | instskip(NEXT) | instid1(VALU_DEP_1)
	v_pk_add_f32 v[52:53], v[58:59], v[54:55] neg_lo:[0,1] neg_hi:[0,1]
	v_pk_add_f32 v[54:55], v[66:67], v[52:53]
	s_delay_alu instid0(VALU_DEP_1) | instskip(NEXT) | instid1(VALU_DEP_1)
	v_mov_b32_e32 v58, v55
	v_pk_add_f32 v[58:59], v[54:55], v[58:59]
	s_delay_alu instid0(VALU_DEP_1) | instskip(NEXT) | instid1(VALU_DEP_1)
	v_pk_add_f32 v[56:57], v[56:57], v[58:59]
	v_mov_b32_e32 v55, v56
	s_delay_alu instid0(VALU_DEP_1) | instskip(NEXT) | instid1(VALU_DEP_1)
	v_pk_add_f32 v[60:61], v[54:55], v[62:63] neg_lo:[0,1] neg_hi:[0,1]
	v_sub_f32_e32 v37, v54, v60
	s_delay_alu instid0(VALU_DEP_1) | instskip(SKIP_1) | instid1(VALU_DEP_1)
	v_sub_f32_e32 v37, v62, v37
	v_mov_b32_e32 v53, v58
	v_pk_add_f32 v[52:53], v[52:53], v[60:61] neg_lo:[0,1] neg_hi:[0,1]
	s_delay_alu instid0(VALU_DEP_1) | instskip(NEXT) | instid1(VALU_DEP_1)
	v_add_f32_e32 v37, v52, v37
	v_add_f32_e32 v37, v37, v53
	s_delay_alu instid0(VALU_DEP_1) | instskip(NEXT) | instid1(VALU_DEP_1)
	v_add_f32_e32 v37, v56, v37
	v_cndmask_b32_e32 v37, 0x7f800000, v37, vcc_lo
	v_cmp_ngt_f32_e32 vcc_lo, -1.0, v46
	s_delay_alu instid0(VALU_DEP_2) | instskip(SKIP_1) | instid1(VALU_DEP_2)
	v_cndmask_b32_e32 v37, 0x7fc00000, v37, vcc_lo
	v_cmp_neq_f32_e32 vcc_lo, -1.0, v46
	v_cndmask_b32_e32 v37, 0xff800000, v37, vcc_lo
	v_cmp_gt_f32_e64 vcc_lo, 0x33800000, |v46|
	s_delay_alu instid0(VALU_DEP_2) | instskip(NEXT) | instid1(VALU_DEP_1)
	v_cndmask_b32_e32 v37, v37, v46, vcc_lo
	v_mul_f32_e32 v37, 0x3e800000, v37
	s_and_not1_saveexec_b32 s21, s21
	s_cbranch_execz .LBB68_338
	s_branch .LBB68_337
.LBB68_336:                             ;   in Loop: Header=BB68_217 Depth=1
	s_and_not1_saveexec_b32 s21, s21
	s_cbranch_execz .LBB68_338
.LBB68_337:                             ;   in Loop: Header=BB68_217 Depth=1
	v_cmp_gt_f32_e64 s22, 0x800000, |v42|
	s_delay_alu instid0(VALU_DEP_1) | instskip(NEXT) | instid1(VALU_DEP_1)
	v_cndmask_b32_e64 v37, 0, 32, s22
	v_ldexp_f32 v37, |v42|, v37
	s_delay_alu instid0(VALU_DEP_1) | instskip(SKIP_1) | instid1(TRANS32_DEP_1)
	v_log_f32_e32 v37, v37
	v_nop
	v_mul_f32_e32 v46, 0x3f317217, v37
	v_cmp_gt_f32_e64 vcc_lo, 0x7f800000, |v37|
	s_delay_alu instid0(VALU_DEP_2) | instskip(NEXT) | instid1(VALU_DEP_1)
	v_fma_f32 v46, 0x3f317217, v37, -v46
	v_fmac_f32_e32 v46, 0x3377d1cf, v37
	s_delay_alu instid0(VALU_DEP_1) | instskip(NEXT) | instid1(VALU_DEP_1)
	v_fmac_f32_e32 v46, 0x3f317217, v37
	v_cndmask_b32_e32 v37, v37, v46, vcc_lo
	v_cndmask_b32_e64 v46, 0, 0x41b17218, s22
	s_delay_alu instid0(VALU_DEP_1) | instskip(NEXT) | instid1(VALU_DEP_1)
	v_sub_f32_e32 v37, v37, v46
	v_sub_f32_e32 v37, 0x3f317218, v37
	s_delay_alu instid0(VALU_DEP_1)
	v_mul_f32_e32 v37, 0.5, v37
.LBB68_338:                             ;   in Loop: Header=BB68_217 Depth=1
	s_or_b32 exec_lo, exec_lo, s21
                                        ; implicit-def: $vgpr47
	s_and_saveexec_b32 s21, s20
	s_delay_alu instid0(SALU_CYCLE_1)
	s_xor_b32 s20, exec_lo, s21
	s_cbranch_execz .LBB68_344
; %bb.339:                              ;   in Loop: Header=BB68_217 Depth=1
	v_sub_f32_e64 v46, 1.0, |v43|
	v_add_f32_e64 v47, |v43|, 1.0
	v_add_f32_e64 v35, |v42|, |v42|
	s_delay_alu instid0(VALU_DEP_2) | instskip(SKIP_1) | instid1(SALU_CYCLE_1)
	v_mul_f32_e32 v46, v46, v47
                                        ; implicit-def: $vgpr47
	s_and_saveexec_b32 s21, s4
	s_xor_b32 s21, exec_lo, s21
	s_cbranch_execz .LBB68_341
; %bb.340:                              ;   in Loop: Header=BB68_217 Depth=1
	s_delay_alu instid0(VALU_DEP_1) | instskip(NEXT) | instid1(VALU_DEP_1)
	v_dual_fma_f32 v46, -v42, v42, v46 :: v_dual_max_num_f32 v47, v35, v35
	v_cmp_gt_f32_e64 vcc_lo, v35, |v46|
	s_delay_alu instid0(VALU_DEP_2) | instskip(SKIP_3) | instid1(VALU_DEP_4)
	v_max_num_f32_e64 v51, |v46|, v47
	v_min_num_f32_e64 v47, |v46|, v47
	v_cmp_gt_i32_e64 s4, 0, v46
	v_cmp_class_f32_e64 s22, v46, 0x204
	v_frexp_mant_f32_e32 v52, v51
	v_frexp_exp_i32_f32_e32 v51, v51
	v_frexp_exp_i32_f32_e32 v53, v47
	v_frexp_mant_f32_e32 v47, v47
	s_delay_alu instid0(VALU_DEP_4) | instskip(SKIP_1) | instid1(TRANS32_DEP_1)
	v_rcp_f32_e32 v52, v52
	v_nop
	v_dual_sub_nc_u32 v51, v53, v51 :: v_dual_mul_f32 v47, v47, v52
	s_delay_alu instid0(VALU_DEP_1) | instskip(NEXT) | instid1(VALU_DEP_1)
	v_ldexp_f32 v47, v47, v51
	v_mul_f32_e32 v51, v47, v47
	s_delay_alu instid0(VALU_DEP_1) | instskip(NEXT) | instid1(VALU_DEP_1)
	v_fmaak_f32 v52, s14, v51, 0xbc7a590c
	v_fmaak_f32 v52, v51, v52, 0x3d29fb3f
	s_delay_alu instid0(VALU_DEP_1) | instskip(NEXT) | instid1(VALU_DEP_1)
	v_fmaak_f32 v52, v51, v52, 0xbd97d4d7
	v_fmaak_f32 v52, v51, v52, 0x3dd931b2
	;; [unrolled: 3-line block ×3, first 2 shown]
	s_delay_alu instid0(VALU_DEP_1) | instskip(NEXT) | instid1(VALU_DEP_1)
	v_fmaak_f32 v52, v51, v52, 0xbeaaaa62
	v_mul_f32_e32 v51, v51, v52
	s_delay_alu instid0(VALU_DEP_1) | instskip(NEXT) | instid1(VALU_DEP_1)
	v_fmac_f32_e32 v47, v47, v51
	v_sub_f32_e32 v51, 0x3fc90fdb, v47
	s_delay_alu instid0(VALU_DEP_1) | instskip(SKIP_1) | instid1(VALU_DEP_2)
	v_cndmask_b32_e32 v47, v47, v51, vcc_lo
	v_cmp_gt_f32_e32 vcc_lo, 0, v46
	v_sub_f32_e32 v51, 0x40490fdb, v47
	v_cndmask_b32_e32 v52, 0x3f490fdb, v50, vcc_lo
	s_delay_alu instid0(VALU_DEP_2) | instskip(SKIP_3) | instid1(VALU_DEP_2)
	v_cndmask_b32_e32 v47, v47, v51, vcc_lo
	v_cndmask_b32_e64 v51, 0, 0x40490fdb, s4
	v_cmp_eq_f32_e64 s4, 0, v35
	v_cmp_eq_f32_e32 vcc_lo, 0x7f800000, v35
	v_cndmask_b32_e64 v35, |v47|, v51, s4
	s_and_b32 vcc_lo, vcc_lo, s22
	s_delay_alu instid0(VALU_DEP_1) | instskip(SKIP_1) | instid1(VALU_DEP_2)
	v_cndmask_b32_e32 v35, v35, v52, vcc_lo
	v_cmp_o_f32_e32 vcc_lo, v46, v46
                                        ; implicit-def: $vgpr46
	v_cndmask_b32_e32 v47, 0x7fc00000, v35, vcc_lo
                                        ; implicit-def: $vgpr35
.LBB68_341:                             ;   in Loop: Header=BB68_217 Depth=1
	s_and_not1_saveexec_b32 s21, s21
	s_cbranch_execz .LBB68_343
; %bb.342:                              ;   in Loop: Header=BB68_217 Depth=1
	v_max_num_f32_e32 v47, v35, v35
	v_max_num_f32_e64 v51, |v46|, |v46|
	v_cmp_gt_f32_e64 vcc_lo, v35, |v46|
	v_cmp_gt_i32_e64 s4, 0, v46
	v_cmp_class_f32_e64 s22, v46, 0x204
	s_delay_alu instid0(VALU_DEP_4) | instskip(NEXT) | instid1(VALU_DEP_1)
	v_dual_max_num_f32 v52, v51, v47 :: v_dual_min_num_f32 v47, v51, v47
	v_frexp_mant_f32_e32 v53, v52
	v_frexp_exp_i32_f32_e32 v51, v52
	s_delay_alu instid0(VALU_DEP_2)
	v_rcp_f32_e32 v52, v53
	v_nop
	v_frexp_exp_i32_f32_e32 v53, v47
	v_frexp_mant_f32_e32 v47, v47
	s_delay_alu instid0(TRANS32_DEP_1) | instid1(VALU_DEP_1)
	v_dual_sub_nc_u32 v51, v53, v51 :: v_dual_mul_f32 v47, v47, v52
	s_delay_alu instid0(VALU_DEP_1) | instskip(NEXT) | instid1(VALU_DEP_1)
	v_ldexp_f32 v47, v47, v51
	v_mul_f32_e32 v51, v47, v47
	s_delay_alu instid0(VALU_DEP_1) | instskip(NEXT) | instid1(VALU_DEP_1)
	v_fmaak_f32 v52, s14, v51, 0xbc7a590c
	v_fmaak_f32 v52, v51, v52, 0x3d29fb3f
	s_delay_alu instid0(VALU_DEP_1) | instskip(NEXT) | instid1(VALU_DEP_1)
	v_fmaak_f32 v52, v51, v52, 0xbd97d4d7
	v_fmaak_f32 v52, v51, v52, 0x3dd931b2
	;; [unrolled: 3-line block ×3, first 2 shown]
	s_delay_alu instid0(VALU_DEP_1) | instskip(NEXT) | instid1(VALU_DEP_1)
	v_fmaak_f32 v52, v51, v52, 0xbeaaaa62
	v_mul_f32_e32 v51, v51, v52
	s_delay_alu instid0(VALU_DEP_1) | instskip(NEXT) | instid1(VALU_DEP_1)
	v_fmac_f32_e32 v47, v47, v51
	v_sub_f32_e32 v51, 0x3fc90fdb, v47
	s_delay_alu instid0(VALU_DEP_1) | instskip(SKIP_1) | instid1(VALU_DEP_2)
	v_cndmask_b32_e32 v47, v47, v51, vcc_lo
	v_cmp_gt_f32_e32 vcc_lo, 0, v46
	v_sub_f32_e32 v51, 0x40490fdb, v47
	v_cndmask_b32_e32 v52, 0x3f490fdb, v50, vcc_lo
	s_delay_alu instid0(VALU_DEP_2) | instskip(SKIP_3) | instid1(VALU_DEP_2)
	v_cndmask_b32_e32 v47, v47, v51, vcc_lo
	v_cndmask_b32_e64 v51, 0, 0x40490fdb, s4
	v_cmp_eq_f32_e64 s4, 0, v35
	v_cmp_eq_f32_e32 vcc_lo, 0x7f800000, v35
	v_cndmask_b32_e64 v35, |v47|, v51, s4
	s_and_b32 vcc_lo, vcc_lo, s22
	s_delay_alu instid0(VALU_DEP_1) | instskip(SKIP_1) | instid1(VALU_DEP_2)
	v_cndmask_b32_e32 v35, v35, v52, vcc_lo
	v_cmp_o_f32_e32 vcc_lo, v46, v46
	v_cndmask_b32_e32 v47, 0x7fc00000, v35, vcc_lo
.LBB68_343:                             ;   in Loop: Header=BB68_217 Depth=1
	s_or_b32 exec_lo, exec_lo, s21
                                        ; implicit-def: $vgpr35
	s_and_not1_saveexec_b32 s4, s20
	s_cbranch_execnz .LBB68_345
	s_branch .LBB68_346
.LBB68_344:                             ;   in Loop: Header=BB68_217 Depth=1
	s_and_not1_saveexec_b32 s4, s20
	s_cbranch_execz .LBB68_346
.LBB68_345:                             ;   in Loop: Header=BB68_217 Depth=1
	v_dual_max_num_f32 v46, 2.0, v35 :: v_dual_min_num_f32 v35, 2.0, v35
	v_cmp_lt_f32_e64 vcc_lo, |v42|, 2.0
	s_delay_alu instid0(VALU_DEP_2) | instskip(SKIP_1) | instid1(VALU_DEP_4)
	v_frexp_mant_f32_e32 v47, v46
	v_frexp_exp_i32_f32_e32 v46, v46
	v_frexp_mant_f32_e32 v51, v35
	v_frexp_exp_i32_f32_e32 v35, v35
	s_delay_alu instid0(VALU_DEP_4) | instskip(NEXT) | instid1(VALU_DEP_1)
	v_rcp_f32_e32 v47, v47
	v_sub_nc_u32_e32 v35, v35, v46
	s_delay_alu instid0(TRANS32_DEP_1) | instskip(NEXT) | instid1(VALU_DEP_1)
	v_mul_f32_e32 v47, v51, v47
	v_ldexp_f32 v35, v47, v35
	s_delay_alu instid0(VALU_DEP_1) | instskip(NEXT) | instid1(VALU_DEP_1)
	v_mul_f32_e32 v46, v35, v35
	v_fmaak_f32 v47, s14, v46, 0xbc7a590c
	s_delay_alu instid0(VALU_DEP_1) | instskip(NEXT) | instid1(VALU_DEP_1)
	v_fmaak_f32 v47, v46, v47, 0x3d29fb3f
	v_fmaak_f32 v47, v46, v47, 0xbd97d4d7
	s_delay_alu instid0(VALU_DEP_1) | instskip(NEXT) | instid1(VALU_DEP_1)
	v_fmaak_f32 v47, v46, v47, 0x3dd931b2
	;; [unrolled: 3-line block ×3, first 2 shown]
	v_fmaak_f32 v47, v46, v47, 0xbeaaaa62
	s_delay_alu instid0(VALU_DEP_1) | instskip(NEXT) | instid1(VALU_DEP_1)
	v_mul_f32_e32 v46, v46, v47
	v_fmac_f32_e32 v35, v35, v46
	s_delay_alu instid0(VALU_DEP_1) | instskip(NEXT) | instid1(VALU_DEP_1)
	v_sub_f32_e32 v46, 0x3fc90fdb, v35
	v_cndmask_b32_e32 v35, v35, v46, vcc_lo
	v_cmp_lg_f32_e32 vcc_lo, 0, v42
	s_delay_alu instid0(VALU_DEP_2) | instskip(NEXT) | instid1(VALU_DEP_1)
	v_sub_f32_e32 v46, 0x40490fdb, v35
	v_cndmask_b32_e32 v35, v35, v46, vcc_lo
	s_delay_alu instid0(VALU_DEP_1)
	v_and_b32_e32 v47, 0x7fffffff, v35
.LBB68_346:                             ;   in Loop: Header=BB68_217 Depth=1
	s_or_b32 exec_lo, exec_lo, s4
	s_delay_alu instid0(VALU_DEP_1) | instskip(SKIP_1) | instid1(VALU_DEP_2)
	v_mul_f32_e32 v35, 0.5, v47
	v_bfi_b32 v47, 0x7fffffff, v37, v43
	v_bfi_b32 v46, 0x7fffffff, v35, v42
                                        ; implicit-def: $vgpr43
.LBB68_347:                             ;   in Loop: Header=BB68_217 Depth=1
	s_and_not1_saveexec_b32 s4, s19
	s_cbranch_execz .LBB68_349
; %bb.348:                              ;   in Loop: Header=BB68_217 Depth=1
	flat_store_b32 v[8:9], v49 scope:SCOPE_SYS
	s_wait_storecnt 0x0
	flat_load_b32 v35, v[8:9] scope:SCOPE_SYS
	s_wait_loadcnt 0x0
	v_dual_mov_b32 v46, v42 :: v_dual_mov_b32 v47, v43
	s_wait_dscnt 0x0
	v_add_f32_e32 v35, 1.0, v35
	flat_store_b32 v[14:15], v35 scope:SCOPE_SYS
	s_wait_storecnt 0x0
	flat_load_b32 v35, v[14:15] scope:SCOPE_SYS
	s_wait_loadcnt 0x0
.LBB68_349:                             ;   in Loop: Header=BB68_217 Depth=1
	s_wait_xcnt 0x0
	s_or_b32 exec_lo, exec_lo, s4
                                        ; implicit-def: $vgpr42
.LBB68_350:                             ;   in Loop: Header=BB68_217 Depth=1
	s_and_not1_saveexec_b32 s4, s18
	s_cbranch_execz .LBB68_364
; %bb.351:                              ;   in Loop: Header=BB68_217 Depth=1
	s_wait_dscnt 0x0
	v_and_b32_e32 v35, 0x7f800000, v43
	v_and_b32_e32 v37, 0x7f800000, v42
	v_cmp_neq_f32_e64 s18, 0x7f800000, |v43|
                                        ; implicit-def: $vgpr47
	s_delay_alu instid0(VALU_DEP_2) | instskip(NEXT) | instid1(VALU_DEP_1)
	v_sub_nc_u32_e32 v46, v35, v37
	v_cmp_gt_i32_e32 vcc_lo, 0x6800000, v46
	s_and_b32 s18, s18, vcc_lo
	s_delay_alu instid0(SALU_CYCLE_1) | instskip(NEXT) | instid1(SALU_CYCLE_1)
	s_and_saveexec_b32 s19, s18
	s_xor_b32 s18, exec_lo, s19
	s_cbranch_execz .LBB68_361
; %bb.352:                              ;   in Loop: Header=BB68_217 Depth=1
	v_sub_nc_u32_e32 v37, v37, v35
	s_mov_b32 s19, exec_lo
                                        ; implicit-def: $vgpr47
	s_delay_alu instid0(VALU_DEP_1)
	v_cmpx_gt_i32_e32 0x6800000, v37
	s_xor_b32 s19, exec_lo, s19
	s_cbranch_execz .LBB68_358
; %bb.353:                              ;   in Loop: Header=BB68_217 Depth=1
	s_mov_b32 s20, exec_lo
                                        ; implicit-def: $vgpr47
	v_cmpx_lt_u32_e32 0x59000000, v35
	s_xor_b32 s20, exec_lo, s20
	s_cbranch_execz .LBB68_355
; %bb.354:                              ;   in Loop: Header=BB68_217 Depth=1
	v_sub_nc_u32_e32 v46, 0x7f800000, v35
	s_delay_alu instid0(VALU_DEP_1) | instskip(NEXT) | instid1(VALU_DEP_1)
	v_pk_mul_f32 v[52:53], v[42:43], v[46:47] op_sel_hi:[1,0]
	v_pk_mul_f32 v[54:55], v[52:53], v[52:53]
	s_delay_alu instid0(VALU_DEP_1) | instskip(NEXT) | instid1(VALU_DEP_1)
	v_add_f32_e32 v35, v55, v54
	v_div_scale_f32 v37, null, v35, v35, v53
	s_delay_alu instid0(VALU_DEP_1) | instskip(SKIP_1) | instid1(TRANS32_DEP_1)
	v_rcp_f32_e32 v43, v37
	v_nop
	v_fma_f32 v47, -v37, v43, 1.0
	s_delay_alu instid0(VALU_DEP_1) | instskip(SKIP_1) | instid1(VALU_DEP_1)
	v_fmac_f32_e32 v43, v47, v43
	v_div_scale_f32 v47, vcc_lo, v53, v35, v53
	v_mul_f32_e32 v51, v47, v43
	s_delay_alu instid0(VALU_DEP_1) | instskip(NEXT) | instid1(VALU_DEP_1)
	v_fma_f32 v52, -v37, v51, v47
	v_fmac_f32_e32 v51, v52, v43
	s_delay_alu instid0(VALU_DEP_1) | instskip(NEXT) | instid1(VALU_DEP_1)
	v_fma_f32 v37, -v37, v51, v47
	v_div_fmas_f32 v37, v37, v43, v51
	s_delay_alu instid0(VALU_DEP_1) | instskip(NEXT) | instid1(VALU_DEP_1)
	v_div_fixup_f32 v35, v37, v35, v53
	v_mul_f32_e32 v47, v35, v46
.LBB68_355:                             ;   in Loop: Header=BB68_217 Depth=1
	s_and_not1_saveexec_b32 s20, s20
	s_cbranch_execz .LBB68_357
; %bb.356:                              ;   in Loop: Header=BB68_217 Depth=1
	v_pk_mul_f32 v[46:47], v[42:43], v[42:43]
	s_delay_alu instid0(VALU_DEP_1) | instskip(NEXT) | instid1(VALU_DEP_1)
	v_add_f32_e32 v35, v47, v46
	v_div_scale_f32 v37, null, v35, v35, v43
	s_delay_alu instid0(VALU_DEP_1) | instskip(SKIP_1) | instid1(TRANS32_DEP_1)
	v_rcp_f32_e32 v46, v37
	v_nop
	v_fma_f32 v47, -v37, v46, 1.0
	s_delay_alu instid0(VALU_DEP_1) | instskip(SKIP_1) | instid1(VALU_DEP_1)
	v_fmac_f32_e32 v46, v47, v46
	v_div_scale_f32 v47, vcc_lo, v43, v35, v43
	v_mul_f32_e32 v51, v47, v46
	s_delay_alu instid0(VALU_DEP_1) | instskip(NEXT) | instid1(VALU_DEP_1)
	v_fma_f32 v52, -v37, v51, v47
	v_fmac_f32_e32 v51, v52, v46
	s_delay_alu instid0(VALU_DEP_1) | instskip(NEXT) | instid1(VALU_DEP_1)
	v_fma_f32 v37, -v37, v51, v47
	v_div_fmas_f32 v37, v37, v46, v51
	s_delay_alu instid0(VALU_DEP_1)
	v_div_fixup_f32 v47, v37, v35, v43
.LBB68_357:                             ;   in Loop: Header=BB68_217 Depth=1
	s_or_b32 exec_lo, exec_lo, s20
.LBB68_358:                             ;   in Loop: Header=BB68_217 Depth=1
	s_and_not1_saveexec_b32 s19, s19
	s_cbranch_execz .LBB68_360
; %bb.359:                              ;   in Loop: Header=BB68_217 Depth=1
	v_div_scale_f32 v35, null, v42, v42, v43
	v_div_scale_f32 v47, vcc_lo, v43, v42, v43
	s_delay_alu instid0(VALU_DEP_2) | instskip(SKIP_1) | instid1(TRANS32_DEP_1)
	v_rcp_f32_e32 v37, v35
	v_nop
	v_fma_f32 v46, -v35, v37, 1.0
	s_delay_alu instid0(VALU_DEP_1) | instskip(NEXT) | instid1(VALU_DEP_1)
	v_fmac_f32_e32 v37, v46, v37
	v_mul_f32_e32 v46, v47, v37
	s_delay_alu instid0(VALU_DEP_1) | instskip(NEXT) | instid1(VALU_DEP_1)
	v_fma_f32 v51, -v35, v46, v47
	v_fmac_f32_e32 v46, v51, v37
	s_delay_alu instid0(VALU_DEP_1) | instskip(NEXT) | instid1(VALU_DEP_1)
	v_fma_f32 v35, -v35, v46, v47
	v_div_fmas_f32 v35, v35, v37, v46
	s_delay_alu instid0(VALU_DEP_1) | instskip(NEXT) | instid1(VALU_DEP_1)
	v_div_fixup_f32 v35, v35, v42, v43
	v_div_scale_f32 v37, null, v42, v42, v35
	s_delay_alu instid0(VALU_DEP_1) | instskip(SKIP_1) | instid1(TRANS32_DEP_1)
	v_rcp_f32_e32 v43, v37
	v_nop
	v_fma_f32 v46, -v37, v43, 1.0
	s_delay_alu instid0(VALU_DEP_1) | instskip(SKIP_1) | instid1(VALU_DEP_1)
	v_fmac_f32_e32 v43, v46, v43
	v_div_scale_f32 v46, vcc_lo, v35, v42, v35
	v_mul_f32_e32 v47, v46, v43
	s_delay_alu instid0(VALU_DEP_1) | instskip(NEXT) | instid1(VALU_DEP_1)
	v_fma_f32 v51, -v37, v47, v46
	v_fmac_f32_e32 v47, v51, v43
	s_delay_alu instid0(VALU_DEP_1) | instskip(NEXT) | instid1(VALU_DEP_1)
	v_fma_f32 v37, -v37, v47, v46
	v_div_fmas_f32 v37, v37, v43, v47
	s_delay_alu instid0(VALU_DEP_1)
	v_div_fixup_f32 v47, v37, v42, v35
.LBB68_360:                             ;   in Loop: Header=BB68_217 Depth=1
	s_or_b32 exec_lo, exec_lo, s19
.LBB68_361:                             ;   in Loop: Header=BB68_217 Depth=1
	s_and_not1_saveexec_b32 s18, s18
	s_cbranch_execz .LBB68_363
; %bb.362:                              ;   in Loop: Header=BB68_217 Depth=1
	v_div_scale_f32 v35, null, v43, v43, 1.0
	s_delay_alu instid0(VALU_DEP_1) | instskip(SKIP_1) | instid1(TRANS32_DEP_1)
	v_rcp_f32_e32 v37, v35
	v_nop
	v_fma_f32 v46, -v35, v37, 1.0
	s_delay_alu instid0(VALU_DEP_1) | instskip(SKIP_1) | instid1(VALU_DEP_1)
	v_fmac_f32_e32 v37, v46, v37
	v_div_scale_f32 v46, vcc_lo, 1.0, v43, 1.0
	v_mul_f32_e32 v47, v46, v37
	s_delay_alu instid0(VALU_DEP_1) | instskip(NEXT) | instid1(VALU_DEP_1)
	v_fma_f32 v51, -v35, v47, v46
	v_fmac_f32_e32 v47, v51, v37
	s_delay_alu instid0(VALU_DEP_1) | instskip(NEXT) | instid1(VALU_DEP_1)
	v_fma_f32 v35, -v35, v47, v46
	v_div_fmas_f32 v35, v35, v37, v47
	s_delay_alu instid0(VALU_DEP_1)
	v_div_fixup_f32 v47, v35, v43, 1.0
.LBB68_363:                             ;   in Loop: Header=BB68_217 Depth=1
	s_or_b32 exec_lo, exec_lo, s18
	flat_load_b32 v35, v[6:7] scope:SCOPE_SYS
	s_wait_loadcnt_dscnt 0x0
	v_add_f32_e32 v35, 0x3fc90fdb, v35
	s_delay_alu instid0(VALU_DEP_1)
	v_bfi_b32 v46, 0x7fffffff, v35, v42
.LBB68_364:                             ;   in Loop: Header=BB68_217 Depth=1
	s_or_b32 exec_lo, exec_lo, s4
                                        ; implicit-def: $vgpr43
.LBB68_365:                             ;   in Loop: Header=BB68_217 Depth=1
	s_and_not1_saveexec_b32 s4, s17
	s_cbranch_execz .LBB68_375
; %bb.366:                              ;   in Loop: Header=BB68_217 Depth=1
	v_cmp_neq_f32_e64 s17, 0x7f800000, |v43|
                                        ; implicit-def: $vgpr47
	s_and_saveexec_b32 s18, s17
	s_delay_alu instid0(SALU_CYCLE_1)
	s_xor_b32 s17, exec_lo, s18
	s_cbranch_execz .LBB68_372
; %bb.367:                              ;   in Loop: Header=BB68_217 Depth=1
	v_cmp_neq_f32_e64 s18, 0x7f800000, |v42|
                                        ; implicit-def: $vgpr47
	s_and_saveexec_b32 s19, s18
	s_delay_alu instid0(SALU_CYCLE_1)
	s_xor_b32 s18, exec_lo, s19
	s_cbranch_execz .LBB68_369
; %bb.368:                              ;   in Loop: Header=BB68_217 Depth=1
	s_wait_dscnt 0x0
	v_add_f32_e32 v35, 0, v42
	s_delay_alu instid0(VALU_DEP_1)
	v_add_f32_e32 v47, v43, v35
                                        ; implicit-def: $vgpr42_vgpr43
.LBB68_369:                             ;   in Loop: Header=BB68_217 Depth=1
	s_or_saveexec_b32 s18, s18
	s_delay_alu instid0(VALU_DEP_1)
	v_mov_b32_e32 v46, v47
	s_xor_b32 exec_lo, exec_lo, s18
	s_cbranch_execz .LBB68_371
; %bb.370:                              ;   in Loop: Header=BB68_217 Depth=1
	s_wait_dscnt 0x0
	flat_load_b32 v35, v[6:7] scope:SCOPE_SYS
	s_wait_loadcnt 0x0
	v_bfi_b32 v47, 0x7fffffff, 0, v43
	s_wait_dscnt 0x0
	v_add_f32_e32 v35, 0x3fc90fdb, v35
	s_delay_alu instid0(VALU_DEP_1)
	v_bfi_b32 v46, 0x7fffffff, v35, v42
.LBB68_371:                             ;   in Loop: Header=BB68_217 Depth=1
	s_wait_xcnt 0x0
	s_or_b32 exec_lo, exec_lo, s18
                                        ; implicit-def: $vgpr43
.LBB68_372:                             ;   in Loop: Header=BB68_217 Depth=1
	s_and_not1_saveexec_b32 s17, s17
; %bb.373:                              ;   in Loop: Header=BB68_217 Depth=1
	v_bfi_b32 v47, 0x7fffffff, 0, v43
	v_add_f32_e32 v46, v42, v42
; %bb.374:                              ;   in Loop: Header=BB68_217 Depth=1
	s_or_b32 exec_lo, exec_lo, s17
.LBB68_375:                             ;   in Loop: Header=BB68_217 Depth=1
	s_delay_alu instid0(SALU_CYCLE_1)
	s_or_b32 exec_lo, exec_lo, s4
                                        ; implicit-def: $vgpr42
.LBB68_376:                             ;   in Loop: Header=BB68_217 Depth=1
	s_and_not1_saveexec_b32 s4, s16
	s_cbranch_execz .LBB68_378
; %bb.377:                              ;   in Loop: Header=BB68_217 Depth=1
	s_wait_dscnt 0x0
	v_rcp_f32_e64 v35, |v42|
	v_cmp_gt_f32_e64 vcc_lo, |v42|, 1.0
	v_mov_b32_e32 v47, v43
	s_delay_alu instid0(TRANS32_DEP_1) | instid1(VALU_DEP_2)
	v_cndmask_b32_e64 v35, |v42|, v35, vcc_lo
	s_delay_alu instid0(VALU_DEP_1) | instskip(NEXT) | instid1(VALU_DEP_1)
	v_mul_f32_e32 v37, v35, v35
	v_fmaak_f32 v46, s14, v37, 0xbc7a590c
	s_delay_alu instid0(VALU_DEP_1) | instskip(NEXT) | instid1(VALU_DEP_1)
	v_fmaak_f32 v46, v37, v46, 0x3d29fb3f
	v_fmaak_f32 v46, v37, v46, 0xbd97d4d7
	s_delay_alu instid0(VALU_DEP_1) | instskip(NEXT) | instid1(VALU_DEP_1)
	v_fmaak_f32 v46, v37, v46, 0x3dd931b2
	;; [unrolled: 3-line block ×3, first 2 shown]
	v_fmaak_f32 v46, v37, v46, 0xbeaaaa62
	s_delay_alu instid0(VALU_DEP_1) | instskip(NEXT) | instid1(VALU_DEP_1)
	v_mul_f32_e32 v37, v37, v46
	v_fmac_f32_e32 v35, v35, v37
	s_delay_alu instid0(VALU_DEP_1) | instskip(NEXT) | instid1(VALU_DEP_1)
	v_sub_f32_e32 v37, 0x3fc90fdb, v35
	v_cndmask_b32_e32 v35, v35, v37, vcc_lo
	s_delay_alu instid0(VALU_DEP_1)
	v_bfi_b32 v46, 0x7fffffff, v35, v42
.LBB68_378:                             ;   in Loop: Header=BB68_217 Depth=1
	s_or_b32 exec_lo, exec_lo, s4
                                        ; implicit-def: $vgpr43
.LBB68_379:                             ;   in Loop: Header=BB68_217 Depth=1
	s_and_not1_saveexec_b32 s4, s15
	s_cbranch_execz .LBB68_381
; %bb.380:                              ;   in Loop: Header=BB68_217 Depth=1
	s_wait_dscnt 0x0
	v_sub_f32_e64 v35, 1.0, |v43|
	v_add_f32_e64 v46, |v43|, 1.0
	v_and_b32_e32 v54, 0x7fffffff, v43
	v_cmp_gt_f32_e64 s15, 0x39800000, |v43|
	s_delay_alu instid0(VALU_DEP_4) | instskip(SKIP_1) | instid1(VALU_DEP_1)
	v_rcp_f32_e32 v37, v35
	v_sub_f32_e32 v52, 1.0, v35
	v_sub_f32_e64 v52, v52, |v43|
	s_delay_alu instid0(TRANS32_DEP_1) | instskip(NEXT) | instid1(VALU_DEP_1)
	v_mul_f32_e32 v51, v46, v37
	v_mul_f32_e32 v47, v35, v51
	s_delay_alu instid0(VALU_DEP_1) | instskip(NEXT) | instid1(VALU_DEP_1)
	v_fma_f32 v35, v51, v35, -v47
	v_fmac_f32_e32 v35, v51, v52
	s_delay_alu instid0(VALU_DEP_1) | instskip(NEXT) | instid1(VALU_DEP_1)
	v_pk_add_f32 v[52:53], v[46:47], v[34:35]
	v_dual_sub_f32 v56, v46, v53 :: v_dual_sub_f32 v47, v53, v47
	s_delay_alu instid0(VALU_DEP_1) | instskip(NEXT) | instid1(VALU_DEP_1)
	v_dual_sub_f32 v55, v46, v56 :: v_dual_sub_f32 v35, v47, v35
	v_pk_add_f32 v[46:47], v[54:55], v[52:53] neg_lo:[0,1] neg_hi:[0,1]
	s_delay_alu instid0(VALU_DEP_1) | instskip(NEXT) | instid1(VALU_DEP_1)
	v_add_f32_e32 v35, v35, v47
	v_add_f32_e32 v35, v46, v35
	s_delay_alu instid0(VALU_DEP_1) | instskip(NEXT) | instid1(VALU_DEP_1)
	v_add_f32_e32 v35, v56, v35
	v_mul_f32_e32 v35, v37, v35
	s_delay_alu instid0(VALU_DEP_1) | instskip(NEXT) | instid1(VALU_DEP_1)
	v_add_f32_e32 v37, v51, v35
	v_cvt_f64_f32_e32 v[46:47], v37
	s_delay_alu instid0(VALU_DEP_1) | instskip(SKIP_1) | instid1(VALU_DEP_1)
	v_frexp_exp_i32_f64_e32 v46, v[46:47]
	v_frexp_mant_f32_e32 v47, v37
	v_cmp_gt_f32_e32 vcc_lo, 0x3f2aaaab, v47
	s_delay_alu instid0(VALU_DEP_3) | instskip(SKIP_1) | instid1(VALU_DEP_2)
	v_subrev_co_ci_u32_e64 v56, null, 0, v46, vcc_lo
	v_cmp_neq_f32_e64 vcc_lo, |v43|, 1.0
	v_sub_nc_u32_e32 v46, 0, v56
	s_delay_alu instid0(VALU_DEP_1) | instskip(SKIP_1) | instid1(VALU_DEP_1)
	v_ldexp_f32 v47, v37, v46
	v_sub_f32_e32 v37, v37, v51
	v_dual_add_f32 v51, 1.0, v47 :: v_dual_sub_f32 v35, v35, v37
	s_delay_alu instid0(VALU_DEP_1) | instskip(NEXT) | instid1(VALU_DEP_2)
	v_add_f32_e32 v37, -1.0, v51
	v_ldexp_f32 v35, v35, v46
	s_delay_alu instid0(VALU_DEP_2) | instskip(NEXT) | instid1(VALU_DEP_1)
	v_dual_sub_f32 v37, v47, v37 :: v_dual_add_f32 v55, -1.0, v47
	v_add_f32_e32 v37, v35, v37
	s_delay_alu instid0(VALU_DEP_1) | instskip(NEXT) | instid1(VALU_DEP_1)
	v_add_f32_e32 v57, v51, v37
	v_rcp_f32_e32 v58, v57
	s_delay_alu instid0(VALU_DEP_3) | instskip(NEXT) | instid1(VALU_DEP_1)
	v_add_f32_e32 v46, 1.0, v55
	v_sub_f32_e32 v46, v47, v46
	s_delay_alu instid0(VALU_DEP_1) | instskip(NEXT) | instid1(VALU_DEP_1)
	v_dual_add_f32 v35, v35, v46 :: v_dual_sub_f32 v46, v57, v51
	v_dual_add_f32 v47, v55, v35 :: v_dual_sub_f32 v37, v37, v46
	s_delay_alu instid0(TRANS32_DEP_1) | instid1(VALU_DEP_1)
	v_dual_mul_f32 v59, v47, v58 :: v_dual_sub_f32 v51, v47, v55
	s_delay_alu instid0(VALU_DEP_1) | instskip(NEXT) | instid1(VALU_DEP_2)
	v_mul_f32_e32 v52, v57, v59
	v_sub_f32_e32 v35, v35, v51
	s_delay_alu instid0(VALU_DEP_2) | instskip(NEXT) | instid1(VALU_DEP_1)
	v_fma_f32 v54, v59, v57, -v52
	v_fmac_f32_e32 v54, v59, v37
	s_delay_alu instid0(VALU_DEP_1) | instskip(NEXT) | instid1(VALU_DEP_1)
	v_add_f32_e32 v46, v52, v54
	v_dual_sub_f32 v53, v47, v46 :: v_dual_mov_b32 v55, v46
	s_delay_alu instid0(VALU_DEP_1) | instskip(NEXT) | instid1(VALU_DEP_1)
	v_pk_add_f32 v[46:47], v[46:47], v[52:53] neg_lo:[0,1] neg_hi:[0,1]
	v_pk_add_f32 v[46:47], v[46:47], v[54:55] neg_lo:[0,1] neg_hi:[0,1]
	s_delay_alu instid0(VALU_DEP_1) | instskip(NEXT) | instid1(VALU_DEP_1)
	v_add_f32_e32 v35, v35, v47
	v_add_f32_e32 v35, v46, v35
	s_delay_alu instid0(VALU_DEP_1) | instskip(NEXT) | instid1(VALU_DEP_1)
	v_add_f32_e32 v47, v53, v35
	v_mul_f32_e32 v51, v58, v47
	s_delay_alu instid0(VALU_DEP_1) | instskip(NEXT) | instid1(VALU_DEP_1)
	v_mul_f32_e32 v54, v57, v51
	v_fma_f32 v52, v51, v57, -v54
	s_delay_alu instid0(VALU_DEP_1) | instskip(NEXT) | instid1(VALU_DEP_1)
	v_dual_fmac_f32 v52, v51, v37 :: v_dual_sub_f32 v37, v53, v47
	v_dual_add_f32 v46, v54, v52 :: v_dual_add_f32 v35, v35, v37
	s_delay_alu instid0(VALU_DEP_1) | instskip(NEXT) | instid1(VALU_DEP_1)
	v_dual_mov_b32 v53, v46 :: v_dual_sub_f32 v55, v47, v46
	v_pk_add_f32 v[46:47], v[46:47], v[54:55] neg_lo:[0,1] neg_hi:[0,1]
	s_delay_alu instid0(VALU_DEP_1) | instskip(NEXT) | instid1(VALU_DEP_1)
	v_pk_add_f32 v[46:47], v[46:47], v[52:53] neg_lo:[0,1] neg_hi:[0,1]
	v_add_f32_e32 v35, v35, v47
	s_delay_alu instid0(VALU_DEP_1) | instskip(SKIP_2) | instid1(VALU_DEP_1)
	v_add_f32_e32 v35, v46, v35
	v_cvt_f32_i32_e32 v46, v56
	v_add_f32_e32 v57, v59, v51
	v_sub_f32_e32 v37, v57, v59
	s_delay_alu instid0(VALU_DEP_1) | instskip(SKIP_1) | instid1(VALU_DEP_1)
	v_sub_f32_e32 v37, v51, v37
	v_add_f32_e32 v35, v55, v35
	v_mul_f32_e32 v35, v58, v35
	s_delay_alu instid0(VALU_DEP_1) | instskip(NEXT) | instid1(VALU_DEP_1)
	v_add_f32_e32 v35, v37, v35
	v_add_f32_e32 v51, v57, v35
	s_delay_alu instid0(VALU_DEP_1) | instskip(NEXT) | instid1(VALU_DEP_1)
	v_mul_f32_e32 v37, v51, v51
	v_dual_fmaak_f32 v52, s5, v37, 0x3ecc95a3 :: v_dual_mul_f32 v47, v51, v37
	s_delay_alu instid0(VALU_DEP_1) | instskip(NEXT) | instid1(VALU_DEP_1)
	v_fmaak_f32 v37, v37, v52, 0x3f2aaada
	v_pk_mul_f32 v[52:53], v[46:47], v[36:37]
	s_delay_alu instid0(VALU_DEP_1) | instskip(SKIP_1) | instid1(VALU_DEP_2)
	v_fma_f32 v54, 0x3f317218, v46, -v52
	v_mov_b32_e32 v56, v52
	v_dual_fmac_f32 v54, 0xb102e308, v46 :: v_dual_sub_f32 v37, v51, v57
	s_delay_alu instid0(VALU_DEP_1) | instskip(SKIP_1) | instid1(VALU_DEP_2)
	v_sub_f32_e32 v35, v35, v37
	v_ldexp_f32 v55, v51, 1
	v_ldexp_f32 v35, v35, 1
	s_delay_alu instid0(VALU_DEP_2) | instskip(NEXT) | instid1(VALU_DEP_1)
	v_pk_add_f32 v[46:47], v[52:53], v[54:55]
	v_dual_sub_f32 v37, v47, v55 :: v_dual_mov_b32 v55, v46
	s_delay_alu instid0(VALU_DEP_1) | instskip(SKIP_1) | instid1(VALU_DEP_2)
	v_dual_mov_b32 v64, v47 :: v_dual_sub_f32 v37, v53, v37
	v_pk_add_f32 v[52:53], v[46:47], v[52:53] neg_lo:[0,1] neg_hi:[0,1]
	v_add_f32_e32 v57, v35, v37
	s_delay_alu instid0(VALU_DEP_1) | instskip(NEXT) | instid1(VALU_DEP_1)
	v_pk_add_f32 v[58:59], v[46:47], v[56:57]
	v_mov_b32_e32 v53, v59
	s_delay_alu instid0(VALU_DEP_1) | instskip(SKIP_2) | instid1(VALU_DEP_3)
	v_pk_add_f32 v[60:61], v[54:55], v[52:53]
	v_mov_b32_e32 v60, v59
	v_pk_add_f32 v[52:53], v[54:55], v[52:53] neg_lo:[0,1] neg_hi:[0,1]
	v_dual_mov_b32 v56, v61 :: v_dual_mov_b32 v53, v61
	s_delay_alu instid0(VALU_DEP_1) | instskip(NEXT) | instid1(VALU_DEP_1)
	v_pk_add_f32 v[62:63], v[56:57], v[46:47] neg_lo:[0,1] neg_hi:[0,1]
	v_dual_mov_b32 v65, v62 :: v_dual_mov_b32 v35, v62
	v_dual_mov_b32 v47, v46 :: v_dual_mov_b32 v46, v57
	s_delay_alu instid0(VALU_DEP_2) | instskip(NEXT) | instid1(VALU_DEP_3)
	v_pk_add_f32 v[54:55], v[60:61], v[64:65] neg_lo:[0,1] neg_hi:[0,1]
	v_pk_add_f32 v[58:59], v[58:59], v[34:35] neg_lo:[0,1] neg_hi:[0,1]
	v_mov_b32_e32 v58, v52
	s_delay_alu instid0(VALU_DEP_3) | instskip(NEXT) | instid1(VALU_DEP_1)
	v_pk_add_f32 v[46:47], v[46:47], v[54:55] neg_lo:[0,1] neg_hi:[0,1]
	v_pk_add_f32 v[54:55], v[58:59], v[46:47]
	s_delay_alu instid0(VALU_DEP_1) | instskip(NEXT) | instid1(VALU_DEP_1)
	v_mov_b32_e32 v58, v55
	v_pk_add_f32 v[58:59], v[54:55], v[58:59]
	s_delay_alu instid0(VALU_DEP_1) | instskip(NEXT) | instid1(VALU_DEP_1)
	v_pk_add_f32 v[56:57], v[56:57], v[58:59]
	v_dual_mov_b32 v47, v58 :: v_dual_mov_b32 v55, v56
	s_delay_alu instid0(VALU_DEP_1) | instskip(NEXT) | instid1(VALU_DEP_1)
	v_pk_add_f32 v[60:61], v[54:55], v[52:53] neg_lo:[0,1] neg_hi:[0,1]
	v_sub_f32_e32 v35, v54, v60
	s_delay_alu instid0(VALU_DEP_2) | instskip(NEXT) | instid1(VALU_DEP_2)
	v_pk_add_f32 v[46:47], v[46:47], v[60:61] neg_lo:[0,1] neg_hi:[0,1]
	v_sub_f32_e32 v35, v52, v35
	s_delay_alu instid0(VALU_DEP_1) | instskip(NEXT) | instid1(VALU_DEP_1)
	v_add_f32_e32 v35, v46, v35
	v_dual_mov_b32 v46, v42 :: v_dual_add_f32 v35, v35, v47
	s_delay_alu instid0(VALU_DEP_1) | instskip(NEXT) | instid1(VALU_DEP_1)
	v_add_f32_e32 v35, v56, v35
	v_mul_f32_e32 v35, 0.5, v35
	s_delay_alu instid0(VALU_DEP_1) | instskip(NEXT) | instid1(VALU_DEP_1)
	v_cndmask_b32_e64 v35, v35, |v43|, s15
	v_cndmask_b32_e32 v35, 0x7f800000, v35, vcc_lo
	s_delay_alu instid0(VALU_DEP_1)
	v_bfi_b32 v47, 0x7fffffff, v35, v43
.LBB68_381:                             ;   in Loop: Header=BB68_217 Depth=1
	s_or_b32 exec_lo, exec_lo, s4
	v_cmp_neq_f32_e32 vcc_lo, 0, v38
	v_cmp_nle_f32_e64 s4, |v39|, 1.0
	flat_store_b32 v[6:7], v48 scope:SCOPE_SYS
	s_wait_storecnt 0x0
                                        ; implicit-def: $vgpr43
	s_or_b32 s4, vcc_lo, s4
	s_wait_xcnt 0x0
	s_and_saveexec_b32 s15, s4
	s_delay_alu instid0(SALU_CYCLE_1)
	s_xor_b32 s15, exec_lo, s15
	s_cbranch_execz .LBB68_388
; %bb.382:                              ;   in Loop: Header=BB68_217 Depth=1
                                        ; implicit-def: $vgpr43
	s_mov_b32 s4, exec_lo
	v_cmpx_neq_f32_e32 0, v39
	s_xor_b32 s16, exec_lo, s4
	s_cbranch_execz .LBB68_433
; %bb.383:                              ;   in Loop: Header=BB68_217 Depth=1
                                        ; implicit-def: $vgpr43
	s_mov_b32 s4, exec_lo
	v_cmpx_o_f32_e32 v39, v38
	s_xor_b32 s17, exec_lo, s4
	s_cbranch_execz .LBB68_422
; %bb.384:                              ;   in Loop: Header=BB68_217 Depth=1
	s_wait_dscnt 0x1
	v_max_num_f32_e64 v35, |v38|, |v38|
	v_max_num_f32_e64 v37, |v39|, |v39|
                                        ; implicit-def: $vgpr43
	s_mov_b32 s4, exec_lo
	s_delay_alu instid0(VALU_DEP_1) | instskip(NEXT) | instid1(VALU_DEP_1)
	v_max_num_f32_e32 v37, v37, v35
	v_cmpx_nlt_f32_e32 0x4b000000, v37
	s_xor_b32 s18, exec_lo, s4
	s_cbranch_execz .LBB68_407
; %bb.385:                              ;   in Loop: Header=BB68_217 Depth=1
	v_cmp_ngt_f32_e64 s4, 0x399cc471, |v39|
	v_cmp_ngt_f32_e64 s19, 0x399cc471, |v38|
                                        ; implicit-def: $vgpr43
	s_or_b32 s4, s4, s19
	s_delay_alu instid0(SALU_CYCLE_1) | instskip(NEXT) | instid1(SALU_CYCLE_1)
	s_and_saveexec_b32 s19, s4
	s_xor_b32 s19, exec_lo, s19
	s_cbranch_execz .LBB68_404
; %bb.386:                              ;   in Loop: Header=BB68_217 Depth=1
	v_cmp_neq_f32_e64 s20, |v39|, 1.0
	v_cmp_ngt_f32_e64 s4, 0x34000000, |v38|
                                        ; implicit-def: $vgpr37
	s_or_b32 s21, s20, s4
	s_delay_alu instid0(SALU_CYCLE_1) | instskip(NEXT) | instid1(SALU_CYCLE_1)
	s_and_saveexec_b32 s22, s21
	s_xor_b32 s21, exec_lo, s22
	s_cbranch_execz .LBB68_393
; %bb.387:                              ;   in Loop: Header=BB68_217 Depth=1
	v_add_f32_e64 v43, |v39|, -1.0
	v_mov_b32_e32 v42, v38
	v_cmp_gt_f32_e64 vcc_lo, 0x20000000, |v38|
	v_mul_f32_e64 v37, |v39|, 4.0
	s_delay_alu instid0(VALU_DEP_3) | instskip(NEXT) | instid1(VALU_DEP_1)
	v_pk_mul_f32 v[42:43], v[42:43], v[42:43]
	v_add_f32_e32 v42, v42, v43
	s_delay_alu instid0(VALU_DEP_1) | instskip(NEXT) | instid1(VALU_DEP_1)
	v_cndmask_b32_e32 v42, v42, v43, vcc_lo
	v_div_scale_f32 v43, null, v42, v42, v37
	s_delay_alu instid0(VALU_DEP_1) | instskip(SKIP_1) | instid1(TRANS32_DEP_1)
	v_rcp_f32_e32 v51, v43
	v_nop
	v_fma_f32 v52, -v43, v51, 1.0
	s_delay_alu instid0(VALU_DEP_1) | instskip(SKIP_1) | instid1(VALU_DEP_1)
	v_fmac_f32_e32 v51, v52, v51
	v_div_scale_f32 v52, vcc_lo, v37, v42, v37
	v_mul_f32_e32 v53, v52, v51
	s_delay_alu instid0(VALU_DEP_1) | instskip(NEXT) | instid1(VALU_DEP_1)
	v_fma_f32 v54, -v43, v53, v52
	v_fmac_f32_e32 v53, v54, v51
	s_delay_alu instid0(VALU_DEP_1) | instskip(NEXT) | instid1(VALU_DEP_1)
	v_fma_f32 v43, -v43, v53, v52
	v_div_fmas_f32 v43, v43, v51, v53
	s_delay_alu instid0(VALU_DEP_1) | instskip(NEXT) | instid1(VALU_DEP_1)
	v_div_fixup_f32 v42, v43, v42, v37
	v_add_f32_e32 v53, 1.0, v42
	s_delay_alu instid0(VALU_DEP_1) | instskip(NEXT) | instid1(VALU_DEP_1)
	v_add_f32_e32 v43, -1.0, v53
	v_mov_b32_e32 v52, v43
	s_delay_alu instid0(VALU_DEP_1) | instskip(NEXT) | instid1(VALU_DEP_1)
	v_pk_add_f32 v[54:55], v[42:43], v[52:53] neg_lo:[0,1] neg_hi:[0,1]
	v_add_f32_e32 v37, 1.0, v55
	v_frexp_mant_f32_e32 v43, v53
	s_delay_alu instid0(VALU_DEP_2) | instskip(SKIP_1) | instid1(VALU_DEP_3)
	v_add_f32_e32 v37, v54, v37
	v_cvt_f64_f32_e32 v[54:55], v53
	v_cmp_gt_f32_e32 vcc_lo, 0x3f2aaaab, v43
	s_delay_alu instid0(VALU_DEP_2) | instskip(NEXT) | instid1(VALU_DEP_1)
	v_frexp_exp_i32_f64_e32 v43, v[54:55]
	v_subrev_co_ci_u32_e64 v43, null, 0, v43, vcc_lo
	v_cmp_neq_f32_e32 vcc_lo, 0x7f800000, v42
	s_delay_alu instid0(VALU_DEP_2) | instskip(NEXT) | instid1(VALU_DEP_1)
	v_sub_nc_u32_e32 v51, 0, v43
	v_ldexp_f32 v52, v53, v51
	v_ldexp_f32 v37, v37, v51
	s_delay_alu instid0(VALU_DEP_2) | instskip(NEXT) | instid1(VALU_DEP_1)
	v_add_f32_e32 v51, -1.0, v52
	v_add_f32_e32 v53, 1.0, v51
	s_delay_alu instid0(VALU_DEP_1) | instskip(NEXT) | instid1(VALU_DEP_1)
	v_sub_f32_e32 v53, v52, v53
	v_dual_add_f32 v54, v37, v53 :: v_dual_add_f32 v53, 1.0, v52
	s_delay_alu instid0(VALU_DEP_1) | instskip(NEXT) | instid1(VALU_DEP_1)
	v_add_f32_e32 v55, -1.0, v53
	v_sub_f32_e32 v52, v52, v55
	s_delay_alu instid0(VALU_DEP_1) | instskip(NEXT) | instid1(VALU_DEP_1)
	v_add_f32_e32 v37, v37, v52
	v_add_f32_e32 v60, v53, v37
	s_delay_alu instid0(VALU_DEP_1) | instskip(SKIP_1) | instid1(VALU_DEP_1)
	v_sub_f32_e32 v52, v60, v53
	v_rcp_f32_e32 v61, v60
	v_dual_add_f32 v53, v51, v54 :: v_dual_sub_f32 v37, v37, v52
	s_delay_alu instid0(TRANS32_DEP_1) | instid1(VALU_DEP_1)
	v_dual_sub_f32 v51, v53, v51 :: v_dual_mul_f32 v62, v53, v61
	s_delay_alu instid0(VALU_DEP_1) | instskip(NEXT) | instid1(VALU_DEP_1)
	v_dual_sub_f32 v51, v54, v51 :: v_dual_mul_f32 v54, v60, v62
	v_fma_f32 v56, v62, v60, -v54
	s_delay_alu instid0(VALU_DEP_1) | instskip(NEXT) | instid1(VALU_DEP_1)
	v_fmac_f32_e32 v56, v62, v37
	v_add_f32_e32 v52, v54, v56
	s_delay_alu instid0(VALU_DEP_1) | instskip(NEXT) | instid1(VALU_DEP_1)
	v_dual_sub_f32 v55, v53, v52 :: v_dual_mov_b32 v57, v52
	v_pk_add_f32 v[58:59], v[52:53], v[54:55] neg_lo:[0,1] neg_hi:[0,1]
	s_delay_alu instid0(VALU_DEP_1) | instskip(NEXT) | instid1(VALU_DEP_1)
	v_pk_add_f32 v[52:53], v[58:59], v[56:57] neg_lo:[0,1] neg_hi:[0,1]
	v_add_f32_e32 v51, v51, v53
	s_delay_alu instid0(VALU_DEP_1) | instskip(NEXT) | instid1(VALU_DEP_1)
	v_add_f32_e32 v51, v52, v51
	v_add_f32_e32 v53, v55, v51
	s_delay_alu instid0(VALU_DEP_1) | instskip(NEXT) | instid1(VALU_DEP_1)
	v_mul_f32_e32 v63, v61, v53
	v_mul_f32_e32 v54, v60, v63
	s_delay_alu instid0(VALU_DEP_1) | instskip(NEXT) | instid1(VALU_DEP_1)
	v_fma_f32 v56, v63, v60, -v54
	v_fmac_f32_e32 v56, v63, v37
	s_delay_alu instid0(VALU_DEP_1) | instskip(NEXT) | instid1(VALU_DEP_1)
	v_dual_add_f32 v52, v54, v56 :: v_dual_sub_f32 v37, v55, v53
	v_dual_sub_f32 v55, v53, v52 :: v_dual_mov_b32 v57, v52
	s_delay_alu instid0(VALU_DEP_2) | instskip(NEXT) | instid1(VALU_DEP_2)
	v_dual_add_f32 v37, v51, v37 :: v_dual_add_f32 v51, v62, v63
	v_pk_add_f32 v[58:59], v[52:53], v[54:55] neg_lo:[0,1] neg_hi:[0,1]
	s_delay_alu instid0(VALU_DEP_1) | instskip(NEXT) | instid1(VALU_DEP_1)
	v_pk_add_f32 v[52:53], v[58:59], v[56:57] neg_lo:[0,1] neg_hi:[0,1]
	v_add_f32_e32 v37, v37, v53
	s_delay_alu instid0(VALU_DEP_1) | instskip(NEXT) | instid1(VALU_DEP_1)
	v_dual_add_f32 v37, v52, v37 :: v_dual_sub_f32 v52, v51, v62
	v_sub_f32_e32 v52, v63, v52
	s_delay_alu instid0(VALU_DEP_2) | instskip(NEXT) | instid1(VALU_DEP_1)
	v_add_f32_e32 v37, v55, v37
	v_mul_f32_e32 v37, v61, v37
	s_delay_alu instid0(VALU_DEP_1) | instskip(SKIP_1) | instid1(VALU_DEP_2)
	v_add_f32_e32 v53, v52, v37
	v_cvt_f32_i32_e32 v52, v43
	v_add_f32_e32 v54, v51, v53
	s_delay_alu instid0(VALU_DEP_1) | instskip(NEXT) | instid1(VALU_DEP_1)
	v_mul_f32_e32 v56, v54, v54
	v_fmaak_f32 v37, s5, v56, 0x3ecc95a3
	v_sub_f32_e32 v43, v54, v51
	v_ldexp_f32 v55, v54, 1
	s_delay_alu instid0(VALU_DEP_3) | instskip(NEXT) | instid1(VALU_DEP_3)
	v_fmaak_f32 v37, v56, v37, 0x3f2aaada
	v_dual_sub_f32 v43, v53, v43 :: v_dual_mul_f32 v53, v54, v56
	s_delay_alu instid0(VALU_DEP_1) | instskip(NEXT) | instid1(VALU_DEP_2)
	v_ldexp_f32 v43, v43, 1
	v_pk_mul_f32 v[56:57], v[52:53], v[36:37]
	s_delay_alu instid0(VALU_DEP_1) | instskip(SKIP_1) | instid1(VALU_DEP_2)
	v_fma_f32 v54, 0x3f317218, v52, -v56
	v_mov_b32_e32 v58, v56
	v_fmac_f32_e32 v54, 0xb102e308, v52
	s_delay_alu instid0(VALU_DEP_1) | instskip(NEXT) | instid1(VALU_DEP_1)
	v_pk_add_f32 v[52:53], v[56:57], v[54:55]
	v_dual_sub_f32 v37, v53, v55 :: v_dual_mov_b32 v55, v52
	s_delay_alu instid0(VALU_DEP_1) | instskip(SKIP_1) | instid1(VALU_DEP_2)
	v_sub_f32_e32 v37, v57, v37
	v_pk_add_f32 v[56:57], v[52:53], v[56:57] neg_lo:[0,1] neg_hi:[0,1]
	v_add_f32_e32 v59, v43, v37
	s_delay_alu instid0(VALU_DEP_1) | instskip(NEXT) | instid1(VALU_DEP_1)
	v_pk_add_f32 v[60:61], v[52:53], v[58:59]
	v_dual_mov_b32 v57, v61 :: v_dual_mov_b32 v58, v59
	s_delay_alu instid0(VALU_DEP_1) | instskip(SKIP_2) | instid1(VALU_DEP_2)
	v_pk_add_f32 v[62:63], v[54:55], v[56:57] neg_lo:[0,1] neg_hi:[0,1]
	v_pk_add_f32 v[54:55], v[54:55], v[56:57]
	v_dual_mov_b32 v54, v61 :: v_dual_mov_b32 v59, v52
	v_dual_mov_b32 v56, v55 :: v_dual_mov_b32 v63, v55
	s_delay_alu instid0(VALU_DEP_1) | instskip(NEXT) | instid1(VALU_DEP_1)
	v_pk_add_f32 v[64:65], v[56:57], v[52:53] neg_lo:[0,1] neg_hi:[0,1]
	v_mov_b32_e32 v37, v64
	s_delay_alu instid0(VALU_DEP_1) | instskip(SKIP_2) | instid1(VALU_DEP_2)
	v_pk_add_f32 v[66:67], v[60:61], v[36:37] neg_lo:[0,1] neg_hi:[0,1]
	v_dual_mov_b32 v60, v53 :: v_dual_mov_b32 v61, v64
	v_mov_b32_e32 v66, v62
	v_pk_add_f32 v[54:55], v[54:55], v[60:61] neg_lo:[0,1] neg_hi:[0,1]
	s_delay_alu instid0(VALU_DEP_1) | instskip(NEXT) | instid1(VALU_DEP_1)
	v_pk_add_f32 v[52:53], v[58:59], v[54:55] neg_lo:[0,1] neg_hi:[0,1]
	v_pk_add_f32 v[54:55], v[66:67], v[52:53]
	s_delay_alu instid0(VALU_DEP_1) | instskip(NEXT) | instid1(VALU_DEP_1)
	v_mov_b32_e32 v58, v55
	v_pk_add_f32 v[58:59], v[54:55], v[58:59]
	s_delay_alu instid0(VALU_DEP_1) | instskip(NEXT) | instid1(VALU_DEP_1)
	v_pk_add_f32 v[56:57], v[56:57], v[58:59]
	v_mov_b32_e32 v55, v56
	s_delay_alu instid0(VALU_DEP_1) | instskip(NEXT) | instid1(VALU_DEP_1)
	v_pk_add_f32 v[60:61], v[54:55], v[62:63] neg_lo:[0,1] neg_hi:[0,1]
	v_sub_f32_e32 v37, v54, v60
	s_delay_alu instid0(VALU_DEP_1) | instskip(SKIP_1) | instid1(VALU_DEP_1)
	v_sub_f32_e32 v37, v62, v37
	v_mov_b32_e32 v53, v58
	v_pk_add_f32 v[52:53], v[52:53], v[60:61] neg_lo:[0,1] neg_hi:[0,1]
	s_delay_alu instid0(VALU_DEP_1) | instskip(NEXT) | instid1(VALU_DEP_1)
	v_add_f32_e32 v37, v52, v37
	v_add_f32_e32 v37, v37, v53
	s_delay_alu instid0(VALU_DEP_1) | instskip(NEXT) | instid1(VALU_DEP_1)
	v_add_f32_e32 v37, v56, v37
	v_cndmask_b32_e32 v37, 0x7f800000, v37, vcc_lo
	v_cmp_ngt_f32_e32 vcc_lo, -1.0, v42
	s_delay_alu instid0(VALU_DEP_2) | instskip(SKIP_1) | instid1(VALU_DEP_2)
	v_cndmask_b32_e32 v37, 0x7fc00000, v37, vcc_lo
	v_cmp_neq_f32_e32 vcc_lo, -1.0, v42
	v_cndmask_b32_e32 v37, 0xff800000, v37, vcc_lo
	v_cmp_gt_f32_e64 vcc_lo, 0x33800000, |v42|
	s_delay_alu instid0(VALU_DEP_2) | instskip(NEXT) | instid1(VALU_DEP_1)
	v_cndmask_b32_e32 v37, v37, v42, vcc_lo
	v_mul_f32_e32 v37, 0x3e800000, v37
	s_and_not1_saveexec_b32 s21, s21
	s_cbranch_execz .LBB68_395
	s_branch .LBB68_394
.LBB68_388:                             ;   in Loop: Header=BB68_217 Depth=1
	s_and_not1_saveexec_b32 s4, s15
	s_cbranch_execz .LBB68_436
.LBB68_389:                             ;   in Loop: Header=BB68_217 Depth=1
	s_wait_dscnt 0x0
	v_sub_f32_e64 v35, 1.0, |v39|
	v_add_f32_e64 v42, |v39|, 1.0
	v_and_b32_e32 v54, 0x7fffffff, v39
	v_cmp_gt_f32_e64 s15, 0x39800000, |v39|
	s_delay_alu instid0(VALU_DEP_4) | instskip(SKIP_1) | instid1(VALU_DEP_1)
	v_rcp_f32_e32 v37, v35
	v_sub_f32_e32 v52, 1.0, v35
	v_sub_f32_e64 v52, v52, |v39|
	s_delay_alu instid0(TRANS32_DEP_1) | instskip(NEXT) | instid1(VALU_DEP_1)
	v_mul_f32_e32 v51, v42, v37
	v_mul_f32_e32 v43, v35, v51
	s_delay_alu instid0(VALU_DEP_1) | instskip(NEXT) | instid1(VALU_DEP_1)
	v_fma_f32 v35, v51, v35, -v43
	v_fmac_f32_e32 v35, v51, v52
	s_delay_alu instid0(VALU_DEP_1) | instskip(NEXT) | instid1(VALU_DEP_1)
	v_pk_add_f32 v[52:53], v[42:43], v[34:35]
	v_dual_sub_f32 v56, v42, v53 :: v_dual_sub_f32 v43, v53, v43
	s_delay_alu instid0(VALU_DEP_1) | instskip(NEXT) | instid1(VALU_DEP_1)
	v_dual_sub_f32 v55, v42, v56 :: v_dual_sub_f32 v35, v43, v35
	v_pk_add_f32 v[42:43], v[54:55], v[52:53] neg_lo:[0,1] neg_hi:[0,1]
	s_delay_alu instid0(VALU_DEP_1) | instskip(NEXT) | instid1(VALU_DEP_1)
	v_add_f32_e32 v35, v35, v43
	v_add_f32_e32 v35, v42, v35
	s_delay_alu instid0(VALU_DEP_1) | instskip(NEXT) | instid1(VALU_DEP_1)
	v_add_f32_e32 v35, v56, v35
	v_mul_f32_e32 v35, v37, v35
	s_delay_alu instid0(VALU_DEP_1) | instskip(NEXT) | instid1(VALU_DEP_1)
	v_add_f32_e32 v37, v51, v35
	v_cvt_f64_f32_e32 v[42:43], v37
	s_delay_alu instid0(VALU_DEP_1) | instskip(SKIP_1) | instid1(VALU_DEP_1)
	v_frexp_exp_i32_f64_e32 v42, v[42:43]
	v_frexp_mant_f32_e32 v43, v37
	v_cmp_gt_f32_e32 vcc_lo, 0x3f2aaaab, v43
	s_delay_alu instid0(VALU_DEP_3) | instskip(SKIP_1) | instid1(VALU_DEP_2)
	v_subrev_co_ci_u32_e64 v56, null, 0, v42, vcc_lo
	v_cmp_neq_f32_e64 vcc_lo, |v39|, 1.0
	v_sub_nc_u32_e32 v42, 0, v56
	s_delay_alu instid0(VALU_DEP_1) | instskip(SKIP_1) | instid1(VALU_DEP_1)
	v_ldexp_f32 v43, v37, v42
	v_sub_f32_e32 v37, v37, v51
	v_dual_add_f32 v51, 1.0, v43 :: v_dual_sub_f32 v35, v35, v37
	s_delay_alu instid0(VALU_DEP_1) | instskip(NEXT) | instid1(VALU_DEP_2)
	v_add_f32_e32 v37, -1.0, v51
	v_ldexp_f32 v35, v35, v42
	s_delay_alu instid0(VALU_DEP_2) | instskip(NEXT) | instid1(VALU_DEP_1)
	v_dual_sub_f32 v37, v43, v37 :: v_dual_add_f32 v55, -1.0, v43
	v_add_f32_e32 v37, v35, v37
	s_delay_alu instid0(VALU_DEP_1) | instskip(NEXT) | instid1(VALU_DEP_1)
	v_add_f32_e32 v57, v51, v37
	v_rcp_f32_e32 v58, v57
	s_delay_alu instid0(VALU_DEP_3) | instskip(NEXT) | instid1(VALU_DEP_1)
	v_add_f32_e32 v42, 1.0, v55
	v_sub_f32_e32 v42, v43, v42
	s_delay_alu instid0(VALU_DEP_1) | instskip(NEXT) | instid1(VALU_DEP_1)
	v_dual_add_f32 v35, v35, v42 :: v_dual_sub_f32 v42, v57, v51
	v_dual_add_f32 v43, v55, v35 :: v_dual_sub_f32 v37, v37, v42
	s_delay_alu instid0(TRANS32_DEP_1) | instid1(VALU_DEP_1)
	v_dual_mul_f32 v59, v43, v58 :: v_dual_sub_f32 v51, v43, v55
	s_delay_alu instid0(VALU_DEP_1) | instskip(NEXT) | instid1(VALU_DEP_2)
	v_mul_f32_e32 v52, v57, v59
	v_sub_f32_e32 v35, v35, v51
	s_delay_alu instid0(VALU_DEP_2) | instskip(NEXT) | instid1(VALU_DEP_1)
	v_fma_f32 v54, v59, v57, -v52
	v_fmac_f32_e32 v54, v59, v37
	s_delay_alu instid0(VALU_DEP_1) | instskip(NEXT) | instid1(VALU_DEP_1)
	v_add_f32_e32 v42, v52, v54
	v_dual_sub_f32 v53, v43, v42 :: v_dual_mov_b32 v55, v42
	s_delay_alu instid0(VALU_DEP_1) | instskip(NEXT) | instid1(VALU_DEP_1)
	v_pk_add_f32 v[42:43], v[42:43], v[52:53] neg_lo:[0,1] neg_hi:[0,1]
	v_pk_add_f32 v[42:43], v[42:43], v[54:55] neg_lo:[0,1] neg_hi:[0,1]
	s_delay_alu instid0(VALU_DEP_1) | instskip(NEXT) | instid1(VALU_DEP_1)
	v_add_f32_e32 v35, v35, v43
	v_add_f32_e32 v35, v42, v35
	s_delay_alu instid0(VALU_DEP_1) | instskip(NEXT) | instid1(VALU_DEP_1)
	v_add_f32_e32 v43, v53, v35
	v_mul_f32_e32 v51, v58, v43
	s_delay_alu instid0(VALU_DEP_1) | instskip(NEXT) | instid1(VALU_DEP_1)
	v_mul_f32_e32 v54, v57, v51
	v_fma_f32 v52, v51, v57, -v54
	s_delay_alu instid0(VALU_DEP_1) | instskip(NEXT) | instid1(VALU_DEP_1)
	v_dual_fmac_f32 v52, v51, v37 :: v_dual_sub_f32 v37, v53, v43
	v_dual_add_f32 v42, v54, v52 :: v_dual_add_f32 v35, v35, v37
	s_delay_alu instid0(VALU_DEP_1) | instskip(NEXT) | instid1(VALU_DEP_1)
	v_dual_mov_b32 v53, v42 :: v_dual_sub_f32 v55, v43, v42
	v_pk_add_f32 v[42:43], v[42:43], v[54:55] neg_lo:[0,1] neg_hi:[0,1]
	s_delay_alu instid0(VALU_DEP_1) | instskip(NEXT) | instid1(VALU_DEP_1)
	v_pk_add_f32 v[42:43], v[42:43], v[52:53] neg_lo:[0,1] neg_hi:[0,1]
	v_add_f32_e32 v35, v35, v43
	s_delay_alu instid0(VALU_DEP_1) | instskip(SKIP_2) | instid1(VALU_DEP_1)
	v_add_f32_e32 v35, v42, v35
	v_cvt_f32_i32_e32 v42, v56
	v_add_f32_e32 v57, v59, v51
	v_sub_f32_e32 v37, v57, v59
	s_delay_alu instid0(VALU_DEP_1) | instskip(SKIP_1) | instid1(VALU_DEP_1)
	v_sub_f32_e32 v37, v51, v37
	v_add_f32_e32 v35, v55, v35
	v_mul_f32_e32 v35, v58, v35
	s_delay_alu instid0(VALU_DEP_1) | instskip(NEXT) | instid1(VALU_DEP_1)
	v_add_f32_e32 v35, v37, v35
	v_add_f32_e32 v51, v57, v35
	s_delay_alu instid0(VALU_DEP_1) | instskip(NEXT) | instid1(VALU_DEP_1)
	v_mul_f32_e32 v37, v51, v51
	v_dual_fmaak_f32 v52, s5, v37, 0x3ecc95a3 :: v_dual_mul_f32 v43, v51, v37
	s_delay_alu instid0(VALU_DEP_1) | instskip(NEXT) | instid1(VALU_DEP_1)
	v_fmaak_f32 v37, v37, v52, 0x3f2aaada
	v_pk_mul_f32 v[52:53], v[42:43], v[36:37]
	s_delay_alu instid0(VALU_DEP_1) | instskip(SKIP_1) | instid1(VALU_DEP_2)
	v_fma_f32 v54, 0x3f317218, v42, -v52
	v_mov_b32_e32 v56, v52
	v_dual_fmac_f32 v54, 0xb102e308, v42 :: v_dual_sub_f32 v37, v51, v57
	s_delay_alu instid0(VALU_DEP_1) | instskip(SKIP_1) | instid1(VALU_DEP_2)
	v_sub_f32_e32 v35, v35, v37
	v_ldexp_f32 v55, v51, 1
	v_ldexp_f32 v35, v35, 1
	s_delay_alu instid0(VALU_DEP_2) | instskip(NEXT) | instid1(VALU_DEP_1)
	v_pk_add_f32 v[42:43], v[52:53], v[54:55]
	v_dual_sub_f32 v37, v43, v55 :: v_dual_mov_b32 v55, v42
	s_delay_alu instid0(VALU_DEP_1) | instskip(SKIP_1) | instid1(VALU_DEP_2)
	v_dual_mov_b32 v64, v43 :: v_dual_sub_f32 v37, v53, v37
	v_pk_add_f32 v[52:53], v[42:43], v[52:53] neg_lo:[0,1] neg_hi:[0,1]
	v_add_f32_e32 v57, v35, v37
	s_delay_alu instid0(VALU_DEP_1) | instskip(NEXT) | instid1(VALU_DEP_1)
	v_pk_add_f32 v[58:59], v[42:43], v[56:57]
	v_mov_b32_e32 v53, v59
	s_delay_alu instid0(VALU_DEP_1) | instskip(SKIP_2) | instid1(VALU_DEP_3)
	v_pk_add_f32 v[60:61], v[54:55], v[52:53]
	v_mov_b32_e32 v60, v59
	v_pk_add_f32 v[52:53], v[54:55], v[52:53] neg_lo:[0,1] neg_hi:[0,1]
	v_dual_mov_b32 v56, v61 :: v_dual_mov_b32 v53, v61
	s_delay_alu instid0(VALU_DEP_1) | instskip(NEXT) | instid1(VALU_DEP_1)
	v_pk_add_f32 v[62:63], v[56:57], v[42:43] neg_lo:[0,1] neg_hi:[0,1]
	v_dual_mov_b32 v65, v62 :: v_dual_mov_b32 v35, v62
	v_dual_mov_b32 v43, v42 :: v_dual_mov_b32 v42, v57
	s_delay_alu instid0(VALU_DEP_2) | instskip(NEXT) | instid1(VALU_DEP_3)
	v_pk_add_f32 v[54:55], v[60:61], v[64:65] neg_lo:[0,1] neg_hi:[0,1]
	v_pk_add_f32 v[58:59], v[58:59], v[34:35] neg_lo:[0,1] neg_hi:[0,1]
	v_mov_b32_e32 v58, v52
	s_delay_alu instid0(VALU_DEP_3) | instskip(NEXT) | instid1(VALU_DEP_1)
	v_pk_add_f32 v[42:43], v[42:43], v[54:55] neg_lo:[0,1] neg_hi:[0,1]
	v_pk_add_f32 v[54:55], v[58:59], v[42:43]
	s_delay_alu instid0(VALU_DEP_1) | instskip(NEXT) | instid1(VALU_DEP_1)
	v_mov_b32_e32 v58, v55
	v_pk_add_f32 v[58:59], v[54:55], v[58:59]
	s_delay_alu instid0(VALU_DEP_1) | instskip(NEXT) | instid1(VALU_DEP_1)
	v_pk_add_f32 v[56:57], v[56:57], v[58:59]
	v_dual_mov_b32 v43, v58 :: v_dual_mov_b32 v55, v56
	s_delay_alu instid0(VALU_DEP_1) | instskip(NEXT) | instid1(VALU_DEP_1)
	v_pk_add_f32 v[60:61], v[54:55], v[52:53] neg_lo:[0,1] neg_hi:[0,1]
	v_sub_f32_e32 v35, v54, v60
	s_delay_alu instid0(VALU_DEP_2) | instskip(NEXT) | instid1(VALU_DEP_2)
	v_pk_add_f32 v[42:43], v[42:43], v[60:61] neg_lo:[0,1] neg_hi:[0,1]
	v_sub_f32_e32 v35, v52, v35
	s_delay_alu instid0(VALU_DEP_1) | instskip(NEXT) | instid1(VALU_DEP_1)
	v_add_f32_e32 v35, v42, v35
	v_dual_mov_b32 v42, v38 :: v_dual_add_f32 v35, v35, v43
	s_delay_alu instid0(VALU_DEP_1) | instskip(NEXT) | instid1(VALU_DEP_1)
	v_add_f32_e32 v35, v56, v35
	v_mul_f32_e32 v35, 0.5, v35
	s_delay_alu instid0(VALU_DEP_1) | instskip(NEXT) | instid1(VALU_DEP_1)
	v_cndmask_b32_e64 v35, v35, |v39|, s15
	v_cndmask_b32_e32 v35, 0x7f800000, v35, vcc_lo
	s_delay_alu instid0(VALU_DEP_1) | instskip(SKIP_2) | instid1(SALU_CYCLE_1)
	v_bfi_b32 v43, 0x7fffffff, v35, v39
	s_or_b32 exec_lo, exec_lo, s4
	s_and_saveexec_b32 s4, s0
	s_xor_b32 s0, exec_lo, s4
	s_cbranch_execnz .LBB68_437
.LBB68_390:                             ;   in Loop: Header=BB68_217 Depth=1
	s_or_b32 exec_lo, exec_lo, s0
	s_and_saveexec_b32 s0, s1
	s_cbranch_execz .LBB68_438
.LBB68_391:                             ;   in Loop: Header=BB68_217 Depth=1
	v_add_nc_u64_e32 v[38:39], s[6:7], v[32:33]
	global_store_b64 v[38:39], v[44:45], off
	s_wait_xcnt 0x0
	s_or_b32 exec_lo, exec_lo, s0
	s_and_saveexec_b32 s0, s2
	s_cbranch_execnz .LBB68_439
.LBB68_392:                             ;   in Loop: Header=BB68_217 Depth=1
	s_or_b32 exec_lo, exec_lo, s0
	s_and_saveexec_b32 s0, s3
	s_cbranch_execz .LBB68_216
	s_branch .LBB68_440
.LBB68_393:                             ;   in Loop: Header=BB68_217 Depth=1
	s_and_not1_saveexec_b32 s21, s21
	s_cbranch_execz .LBB68_395
.LBB68_394:                             ;   in Loop: Header=BB68_217 Depth=1
	v_cmp_gt_f32_e64 s22, 0x800000, |v38|
	s_delay_alu instid0(VALU_DEP_1) | instskip(NEXT) | instid1(VALU_DEP_1)
	v_cndmask_b32_e64 v37, 0, 32, s22
	v_ldexp_f32 v37, |v38|, v37
	s_delay_alu instid0(VALU_DEP_1) | instskip(SKIP_1) | instid1(TRANS32_DEP_1)
	v_log_f32_e32 v37, v37
	v_nop
	v_mul_f32_e32 v42, 0x3f317217, v37
	v_cmp_gt_f32_e64 vcc_lo, 0x7f800000, |v37|
	s_delay_alu instid0(VALU_DEP_2) | instskip(NEXT) | instid1(VALU_DEP_1)
	v_fma_f32 v42, 0x3f317217, v37, -v42
	v_fmac_f32_e32 v42, 0x3377d1cf, v37
	s_delay_alu instid0(VALU_DEP_1) | instskip(NEXT) | instid1(VALU_DEP_1)
	v_fmac_f32_e32 v42, 0x3f317217, v37
	v_cndmask_b32_e32 v37, v37, v42, vcc_lo
	v_cndmask_b32_e64 v42, 0, 0x41b17218, s22
	s_delay_alu instid0(VALU_DEP_1) | instskip(NEXT) | instid1(VALU_DEP_1)
	v_sub_f32_e32 v37, v37, v42
	v_sub_f32_e32 v37, 0x3f317218, v37
	s_delay_alu instid0(VALU_DEP_1)
	v_mul_f32_e32 v37, 0.5, v37
.LBB68_395:                             ;   in Loop: Header=BB68_217 Depth=1
	s_or_b32 exec_lo, exec_lo, s21
                                        ; implicit-def: $vgpr43
	s_and_saveexec_b32 s21, s20
	s_delay_alu instid0(SALU_CYCLE_1)
	s_xor_b32 s20, exec_lo, s21
	s_cbranch_execz .LBB68_401
; %bb.396:                              ;   in Loop: Header=BB68_217 Depth=1
	v_sub_f32_e64 v42, 1.0, |v39|
	v_add_f32_e64 v43, |v39|, 1.0
	v_add_f32_e64 v35, |v38|, |v38|
	s_delay_alu instid0(VALU_DEP_2) | instskip(SKIP_1) | instid1(SALU_CYCLE_1)
	v_mul_f32_e32 v42, v42, v43
                                        ; implicit-def: $vgpr43
	s_and_saveexec_b32 s21, s4
	s_xor_b32 s21, exec_lo, s21
	s_cbranch_execz .LBB68_398
; %bb.397:                              ;   in Loop: Header=BB68_217 Depth=1
	s_delay_alu instid0(VALU_DEP_1) | instskip(NEXT) | instid1(VALU_DEP_1)
	v_dual_fma_f32 v42, -v38, v38, v42 :: v_dual_max_num_f32 v43, v35, v35
	v_cmp_gt_f32_e64 vcc_lo, v35, |v42|
	s_delay_alu instid0(VALU_DEP_2) | instskip(SKIP_3) | instid1(VALU_DEP_4)
	v_max_num_f32_e64 v51, |v42|, v43
	v_min_num_f32_e64 v43, |v42|, v43
	v_cmp_gt_i32_e64 s4, 0, v42
	v_cmp_class_f32_e64 s22, v42, 0x204
	v_frexp_mant_f32_e32 v52, v51
	v_frexp_exp_i32_f32_e32 v51, v51
	v_frexp_exp_i32_f32_e32 v53, v43
	v_frexp_mant_f32_e32 v43, v43
	s_delay_alu instid0(VALU_DEP_4) | instskip(SKIP_1) | instid1(TRANS32_DEP_1)
	v_rcp_f32_e32 v52, v52
	v_nop
	v_dual_sub_nc_u32 v51, v53, v51 :: v_dual_mul_f32 v43, v43, v52
	s_delay_alu instid0(VALU_DEP_1) | instskip(NEXT) | instid1(VALU_DEP_1)
	v_ldexp_f32 v43, v43, v51
	v_mul_f32_e32 v51, v43, v43
	s_delay_alu instid0(VALU_DEP_1) | instskip(NEXT) | instid1(VALU_DEP_1)
	v_fmaak_f32 v52, s14, v51, 0xbc7a590c
	v_fmaak_f32 v52, v51, v52, 0x3d29fb3f
	s_delay_alu instid0(VALU_DEP_1) | instskip(NEXT) | instid1(VALU_DEP_1)
	v_fmaak_f32 v52, v51, v52, 0xbd97d4d7
	v_fmaak_f32 v52, v51, v52, 0x3dd931b2
	;; [unrolled: 3-line block ×3, first 2 shown]
	s_delay_alu instid0(VALU_DEP_1) | instskip(NEXT) | instid1(VALU_DEP_1)
	v_fmaak_f32 v52, v51, v52, 0xbeaaaa62
	v_mul_f32_e32 v51, v51, v52
	s_delay_alu instid0(VALU_DEP_1) | instskip(NEXT) | instid1(VALU_DEP_1)
	v_fmac_f32_e32 v43, v43, v51
	v_sub_f32_e32 v51, 0x3fc90fdb, v43
	s_delay_alu instid0(VALU_DEP_1) | instskip(SKIP_1) | instid1(VALU_DEP_2)
	v_cndmask_b32_e32 v43, v43, v51, vcc_lo
	v_cmp_gt_f32_e32 vcc_lo, 0, v42
	v_sub_f32_e32 v51, 0x40490fdb, v43
	v_cndmask_b32_e32 v52, 0x3f490fdb, v50, vcc_lo
	s_delay_alu instid0(VALU_DEP_2) | instskip(SKIP_3) | instid1(VALU_DEP_2)
	v_cndmask_b32_e32 v43, v43, v51, vcc_lo
	v_cndmask_b32_e64 v51, 0, 0x40490fdb, s4
	v_cmp_eq_f32_e64 s4, 0, v35
	v_cmp_eq_f32_e32 vcc_lo, 0x7f800000, v35
	v_cndmask_b32_e64 v35, |v43|, v51, s4
	s_and_b32 vcc_lo, vcc_lo, s22
	s_delay_alu instid0(VALU_DEP_1) | instskip(SKIP_1) | instid1(VALU_DEP_2)
	v_cndmask_b32_e32 v35, v35, v52, vcc_lo
	v_cmp_o_f32_e32 vcc_lo, v42, v42
                                        ; implicit-def: $vgpr42
	v_cndmask_b32_e32 v43, 0x7fc00000, v35, vcc_lo
                                        ; implicit-def: $vgpr35
.LBB68_398:                             ;   in Loop: Header=BB68_217 Depth=1
	s_and_not1_saveexec_b32 s21, s21
	s_cbranch_execz .LBB68_400
; %bb.399:                              ;   in Loop: Header=BB68_217 Depth=1
	v_max_num_f32_e32 v43, v35, v35
	v_max_num_f32_e64 v51, |v42|, |v42|
	v_cmp_gt_f32_e64 vcc_lo, v35, |v42|
	v_cmp_gt_i32_e64 s4, 0, v42
	v_cmp_class_f32_e64 s22, v42, 0x204
	s_delay_alu instid0(VALU_DEP_4) | instskip(NEXT) | instid1(VALU_DEP_1)
	v_dual_max_num_f32 v52, v51, v43 :: v_dual_min_num_f32 v43, v51, v43
	v_frexp_mant_f32_e32 v53, v52
	v_frexp_exp_i32_f32_e32 v51, v52
	s_delay_alu instid0(VALU_DEP_2)
	v_rcp_f32_e32 v52, v53
	v_nop
	v_frexp_exp_i32_f32_e32 v53, v43
	v_frexp_mant_f32_e32 v43, v43
	s_delay_alu instid0(TRANS32_DEP_1) | instid1(VALU_DEP_1)
	v_dual_sub_nc_u32 v51, v53, v51 :: v_dual_mul_f32 v43, v43, v52
	s_delay_alu instid0(VALU_DEP_1) | instskip(NEXT) | instid1(VALU_DEP_1)
	v_ldexp_f32 v43, v43, v51
	v_mul_f32_e32 v51, v43, v43
	s_delay_alu instid0(VALU_DEP_1) | instskip(NEXT) | instid1(VALU_DEP_1)
	v_fmaak_f32 v52, s14, v51, 0xbc7a590c
	v_fmaak_f32 v52, v51, v52, 0x3d29fb3f
	s_delay_alu instid0(VALU_DEP_1) | instskip(NEXT) | instid1(VALU_DEP_1)
	v_fmaak_f32 v52, v51, v52, 0xbd97d4d7
	v_fmaak_f32 v52, v51, v52, 0x3dd931b2
	;; [unrolled: 3-line block ×3, first 2 shown]
	s_delay_alu instid0(VALU_DEP_1) | instskip(NEXT) | instid1(VALU_DEP_1)
	v_fmaak_f32 v52, v51, v52, 0xbeaaaa62
	v_mul_f32_e32 v51, v51, v52
	s_delay_alu instid0(VALU_DEP_1) | instskip(NEXT) | instid1(VALU_DEP_1)
	v_fmac_f32_e32 v43, v43, v51
	v_sub_f32_e32 v51, 0x3fc90fdb, v43
	s_delay_alu instid0(VALU_DEP_1) | instskip(SKIP_1) | instid1(VALU_DEP_2)
	v_cndmask_b32_e32 v43, v43, v51, vcc_lo
	v_cmp_gt_f32_e32 vcc_lo, 0, v42
	v_sub_f32_e32 v51, 0x40490fdb, v43
	v_cndmask_b32_e32 v52, 0x3f490fdb, v50, vcc_lo
	s_delay_alu instid0(VALU_DEP_2) | instskip(SKIP_3) | instid1(VALU_DEP_2)
	v_cndmask_b32_e32 v43, v43, v51, vcc_lo
	v_cndmask_b32_e64 v51, 0, 0x40490fdb, s4
	v_cmp_eq_f32_e64 s4, 0, v35
	v_cmp_eq_f32_e32 vcc_lo, 0x7f800000, v35
	v_cndmask_b32_e64 v35, |v43|, v51, s4
	s_and_b32 vcc_lo, vcc_lo, s22
	s_delay_alu instid0(VALU_DEP_1) | instskip(SKIP_1) | instid1(VALU_DEP_2)
	v_cndmask_b32_e32 v35, v35, v52, vcc_lo
	v_cmp_o_f32_e32 vcc_lo, v42, v42
	v_cndmask_b32_e32 v43, 0x7fc00000, v35, vcc_lo
.LBB68_400:                             ;   in Loop: Header=BB68_217 Depth=1
	s_or_b32 exec_lo, exec_lo, s21
                                        ; implicit-def: $vgpr35
	s_and_not1_saveexec_b32 s4, s20
	s_cbranch_execnz .LBB68_402
	s_branch .LBB68_403
.LBB68_401:                             ;   in Loop: Header=BB68_217 Depth=1
	s_and_not1_saveexec_b32 s4, s20
	s_cbranch_execz .LBB68_403
.LBB68_402:                             ;   in Loop: Header=BB68_217 Depth=1
	v_dual_max_num_f32 v42, 2.0, v35 :: v_dual_min_num_f32 v35, 2.0, v35
	v_cmp_lt_f32_e64 vcc_lo, |v38|, 2.0
	s_delay_alu instid0(VALU_DEP_2) | instskip(SKIP_1) | instid1(VALU_DEP_4)
	v_frexp_mant_f32_e32 v43, v42
	v_frexp_exp_i32_f32_e32 v42, v42
	v_frexp_mant_f32_e32 v51, v35
	v_frexp_exp_i32_f32_e32 v35, v35
	s_delay_alu instid0(VALU_DEP_4) | instskip(NEXT) | instid1(VALU_DEP_1)
	v_rcp_f32_e32 v43, v43
	v_sub_nc_u32_e32 v35, v35, v42
	s_delay_alu instid0(TRANS32_DEP_1) | instskip(NEXT) | instid1(VALU_DEP_1)
	v_mul_f32_e32 v43, v51, v43
	v_ldexp_f32 v35, v43, v35
	s_delay_alu instid0(VALU_DEP_1) | instskip(NEXT) | instid1(VALU_DEP_1)
	v_mul_f32_e32 v42, v35, v35
	v_fmaak_f32 v43, s14, v42, 0xbc7a590c
	s_delay_alu instid0(VALU_DEP_1) | instskip(NEXT) | instid1(VALU_DEP_1)
	v_fmaak_f32 v43, v42, v43, 0x3d29fb3f
	v_fmaak_f32 v43, v42, v43, 0xbd97d4d7
	s_delay_alu instid0(VALU_DEP_1) | instskip(NEXT) | instid1(VALU_DEP_1)
	v_fmaak_f32 v43, v42, v43, 0x3dd931b2
	;; [unrolled: 3-line block ×3, first 2 shown]
	v_fmaak_f32 v43, v42, v43, 0xbeaaaa62
	s_delay_alu instid0(VALU_DEP_1) | instskip(NEXT) | instid1(VALU_DEP_1)
	v_mul_f32_e32 v42, v42, v43
	v_fmac_f32_e32 v35, v35, v42
	s_delay_alu instid0(VALU_DEP_1) | instskip(NEXT) | instid1(VALU_DEP_1)
	v_sub_f32_e32 v42, 0x3fc90fdb, v35
	v_cndmask_b32_e32 v35, v35, v42, vcc_lo
	v_cmp_lg_f32_e32 vcc_lo, 0, v38
	s_delay_alu instid0(VALU_DEP_2) | instskip(NEXT) | instid1(VALU_DEP_1)
	v_sub_f32_e32 v42, 0x40490fdb, v35
	v_cndmask_b32_e32 v35, v35, v42, vcc_lo
	s_delay_alu instid0(VALU_DEP_1)
	v_and_b32_e32 v43, 0x7fffffff, v35
.LBB68_403:                             ;   in Loop: Header=BB68_217 Depth=1
	s_or_b32 exec_lo, exec_lo, s4
	s_delay_alu instid0(VALU_DEP_1) | instskip(SKIP_1) | instid1(VALU_DEP_2)
	v_mul_f32_e32 v35, 0.5, v43
	v_bfi_b32 v43, 0x7fffffff, v37, v39
	v_bfi_b32 v42, 0x7fffffff, v35, v38
                                        ; implicit-def: $vgpr39
.LBB68_404:                             ;   in Loop: Header=BB68_217 Depth=1
	s_and_not1_saveexec_b32 s4, s19
	s_cbranch_execz .LBB68_406
; %bb.405:                              ;   in Loop: Header=BB68_217 Depth=1
	flat_store_b32 v[8:9], v49 scope:SCOPE_SYS
	s_wait_storecnt 0x0
	flat_load_b32 v35, v[8:9] scope:SCOPE_SYS
	s_wait_loadcnt 0x0
	v_dual_mov_b32 v42, v38 :: v_dual_mov_b32 v43, v39
	s_wait_dscnt 0x0
	v_add_f32_e32 v35, 1.0, v35
	flat_store_b32 v[14:15], v35 scope:SCOPE_SYS
	s_wait_storecnt 0x0
	flat_load_b32 v35, v[14:15] scope:SCOPE_SYS
	s_wait_loadcnt 0x0
.LBB68_406:                             ;   in Loop: Header=BB68_217 Depth=1
	s_wait_xcnt 0x0
	s_or_b32 exec_lo, exec_lo, s4
                                        ; implicit-def: $vgpr38
.LBB68_407:                             ;   in Loop: Header=BB68_217 Depth=1
	s_and_not1_saveexec_b32 s4, s18
	s_cbranch_execz .LBB68_421
; %bb.408:                              ;   in Loop: Header=BB68_217 Depth=1
	s_wait_dscnt 0x0
	v_and_b32_e32 v35, 0x7f800000, v39
	v_and_b32_e32 v37, 0x7f800000, v38
	v_cmp_neq_f32_e64 s18, 0x7f800000, |v39|
                                        ; implicit-def: $vgpr43
	s_delay_alu instid0(VALU_DEP_2) | instskip(NEXT) | instid1(VALU_DEP_1)
	v_sub_nc_u32_e32 v42, v35, v37
	v_cmp_gt_i32_e32 vcc_lo, 0x6800000, v42
	s_and_b32 s18, s18, vcc_lo
	s_delay_alu instid0(SALU_CYCLE_1) | instskip(NEXT) | instid1(SALU_CYCLE_1)
	s_and_saveexec_b32 s19, s18
	s_xor_b32 s18, exec_lo, s19
	s_cbranch_execz .LBB68_418
; %bb.409:                              ;   in Loop: Header=BB68_217 Depth=1
	v_sub_nc_u32_e32 v37, v37, v35
	s_mov_b32 s19, exec_lo
                                        ; implicit-def: $vgpr43
	s_delay_alu instid0(VALU_DEP_1)
	v_cmpx_gt_i32_e32 0x6800000, v37
	s_xor_b32 s19, exec_lo, s19
	s_cbranch_execz .LBB68_415
; %bb.410:                              ;   in Loop: Header=BB68_217 Depth=1
	s_mov_b32 s20, exec_lo
                                        ; implicit-def: $vgpr43
	v_cmpx_lt_u32_e32 0x59000000, v35
	s_xor_b32 s20, exec_lo, s20
	s_cbranch_execz .LBB68_412
; %bb.411:                              ;   in Loop: Header=BB68_217 Depth=1
	v_sub_nc_u32_e32 v42, 0x7f800000, v35
	s_delay_alu instid0(VALU_DEP_1) | instskip(NEXT) | instid1(VALU_DEP_1)
	v_pk_mul_f32 v[52:53], v[38:39], v[42:43] op_sel_hi:[1,0]
	v_pk_mul_f32 v[54:55], v[52:53], v[52:53]
	s_delay_alu instid0(VALU_DEP_1) | instskip(NEXT) | instid1(VALU_DEP_1)
	v_add_f32_e32 v35, v55, v54
	v_div_scale_f32 v37, null, v35, v35, v53
	s_delay_alu instid0(VALU_DEP_1) | instskip(SKIP_1) | instid1(TRANS32_DEP_1)
	v_rcp_f32_e32 v39, v37
	v_nop
	v_fma_f32 v43, -v37, v39, 1.0
	s_delay_alu instid0(VALU_DEP_1) | instskip(SKIP_1) | instid1(VALU_DEP_1)
	v_fmac_f32_e32 v39, v43, v39
	v_div_scale_f32 v43, vcc_lo, v53, v35, v53
	v_mul_f32_e32 v51, v43, v39
	s_delay_alu instid0(VALU_DEP_1) | instskip(NEXT) | instid1(VALU_DEP_1)
	v_fma_f32 v52, -v37, v51, v43
	v_fmac_f32_e32 v51, v52, v39
	s_delay_alu instid0(VALU_DEP_1) | instskip(NEXT) | instid1(VALU_DEP_1)
	v_fma_f32 v37, -v37, v51, v43
	v_div_fmas_f32 v37, v37, v39, v51
	s_delay_alu instid0(VALU_DEP_1) | instskip(NEXT) | instid1(VALU_DEP_1)
	v_div_fixup_f32 v35, v37, v35, v53
	v_mul_f32_e32 v43, v35, v42
.LBB68_412:                             ;   in Loop: Header=BB68_217 Depth=1
	s_and_not1_saveexec_b32 s20, s20
	s_cbranch_execz .LBB68_414
; %bb.413:                              ;   in Loop: Header=BB68_217 Depth=1
	v_pk_mul_f32 v[42:43], v[38:39], v[38:39]
	s_delay_alu instid0(VALU_DEP_1) | instskip(NEXT) | instid1(VALU_DEP_1)
	v_add_f32_e32 v35, v43, v42
	v_div_scale_f32 v37, null, v35, v35, v39
	s_delay_alu instid0(VALU_DEP_1) | instskip(SKIP_1) | instid1(TRANS32_DEP_1)
	v_rcp_f32_e32 v42, v37
	v_nop
	v_fma_f32 v43, -v37, v42, 1.0
	s_delay_alu instid0(VALU_DEP_1) | instskip(SKIP_1) | instid1(VALU_DEP_1)
	v_fmac_f32_e32 v42, v43, v42
	v_div_scale_f32 v43, vcc_lo, v39, v35, v39
	v_mul_f32_e32 v51, v43, v42
	s_delay_alu instid0(VALU_DEP_1) | instskip(NEXT) | instid1(VALU_DEP_1)
	v_fma_f32 v52, -v37, v51, v43
	v_fmac_f32_e32 v51, v52, v42
	s_delay_alu instid0(VALU_DEP_1) | instskip(NEXT) | instid1(VALU_DEP_1)
	v_fma_f32 v37, -v37, v51, v43
	v_div_fmas_f32 v37, v37, v42, v51
	s_delay_alu instid0(VALU_DEP_1)
	v_div_fixup_f32 v43, v37, v35, v39
.LBB68_414:                             ;   in Loop: Header=BB68_217 Depth=1
	s_or_b32 exec_lo, exec_lo, s20
.LBB68_415:                             ;   in Loop: Header=BB68_217 Depth=1
	s_and_not1_saveexec_b32 s19, s19
	s_cbranch_execz .LBB68_417
; %bb.416:                              ;   in Loop: Header=BB68_217 Depth=1
	v_div_scale_f32 v35, null, v38, v38, v39
	v_div_scale_f32 v43, vcc_lo, v39, v38, v39
	s_delay_alu instid0(VALU_DEP_2) | instskip(SKIP_1) | instid1(TRANS32_DEP_1)
	v_rcp_f32_e32 v37, v35
	v_nop
	v_fma_f32 v42, -v35, v37, 1.0
	s_delay_alu instid0(VALU_DEP_1) | instskip(NEXT) | instid1(VALU_DEP_1)
	v_fmac_f32_e32 v37, v42, v37
	v_mul_f32_e32 v42, v43, v37
	s_delay_alu instid0(VALU_DEP_1) | instskip(NEXT) | instid1(VALU_DEP_1)
	v_fma_f32 v51, -v35, v42, v43
	v_fmac_f32_e32 v42, v51, v37
	s_delay_alu instid0(VALU_DEP_1) | instskip(NEXT) | instid1(VALU_DEP_1)
	v_fma_f32 v35, -v35, v42, v43
	v_div_fmas_f32 v35, v35, v37, v42
	s_delay_alu instid0(VALU_DEP_1) | instskip(NEXT) | instid1(VALU_DEP_1)
	v_div_fixup_f32 v35, v35, v38, v39
	v_div_scale_f32 v37, null, v38, v38, v35
	s_delay_alu instid0(VALU_DEP_1) | instskip(SKIP_1) | instid1(TRANS32_DEP_1)
	v_rcp_f32_e32 v39, v37
	v_nop
	v_fma_f32 v42, -v37, v39, 1.0
	s_delay_alu instid0(VALU_DEP_1) | instskip(SKIP_1) | instid1(VALU_DEP_1)
	v_fmac_f32_e32 v39, v42, v39
	v_div_scale_f32 v42, vcc_lo, v35, v38, v35
	v_mul_f32_e32 v43, v42, v39
	s_delay_alu instid0(VALU_DEP_1) | instskip(NEXT) | instid1(VALU_DEP_1)
	v_fma_f32 v51, -v37, v43, v42
	v_fmac_f32_e32 v43, v51, v39
	s_delay_alu instid0(VALU_DEP_1) | instskip(NEXT) | instid1(VALU_DEP_1)
	v_fma_f32 v37, -v37, v43, v42
	v_div_fmas_f32 v37, v37, v39, v43
	s_delay_alu instid0(VALU_DEP_1)
	v_div_fixup_f32 v43, v37, v38, v35
.LBB68_417:                             ;   in Loop: Header=BB68_217 Depth=1
	s_or_b32 exec_lo, exec_lo, s19
.LBB68_418:                             ;   in Loop: Header=BB68_217 Depth=1
	s_and_not1_saveexec_b32 s18, s18
	s_cbranch_execz .LBB68_420
; %bb.419:                              ;   in Loop: Header=BB68_217 Depth=1
	v_div_scale_f32 v35, null, v39, v39, 1.0
	s_delay_alu instid0(VALU_DEP_1) | instskip(SKIP_1) | instid1(TRANS32_DEP_1)
	v_rcp_f32_e32 v37, v35
	v_nop
	v_fma_f32 v42, -v35, v37, 1.0
	s_delay_alu instid0(VALU_DEP_1) | instskip(SKIP_1) | instid1(VALU_DEP_1)
	v_fmac_f32_e32 v37, v42, v37
	v_div_scale_f32 v42, vcc_lo, 1.0, v39, 1.0
	v_mul_f32_e32 v43, v42, v37
	s_delay_alu instid0(VALU_DEP_1) | instskip(NEXT) | instid1(VALU_DEP_1)
	v_fma_f32 v51, -v35, v43, v42
	v_fmac_f32_e32 v43, v51, v37
	s_delay_alu instid0(VALU_DEP_1) | instskip(NEXT) | instid1(VALU_DEP_1)
	v_fma_f32 v35, -v35, v43, v42
	v_div_fmas_f32 v35, v35, v37, v43
	s_delay_alu instid0(VALU_DEP_1)
	v_div_fixup_f32 v43, v35, v39, 1.0
.LBB68_420:                             ;   in Loop: Header=BB68_217 Depth=1
	s_or_b32 exec_lo, exec_lo, s18
	flat_load_b32 v35, v[6:7] scope:SCOPE_SYS
	s_wait_loadcnt_dscnt 0x0
	v_add_f32_e32 v35, 0x3fc90fdb, v35
	s_delay_alu instid0(VALU_DEP_1)
	v_bfi_b32 v42, 0x7fffffff, v35, v38
.LBB68_421:                             ;   in Loop: Header=BB68_217 Depth=1
	s_or_b32 exec_lo, exec_lo, s4
                                        ; implicit-def: $vgpr39
.LBB68_422:                             ;   in Loop: Header=BB68_217 Depth=1
	s_and_not1_saveexec_b32 s4, s17
	s_cbranch_execz .LBB68_432
; %bb.423:                              ;   in Loop: Header=BB68_217 Depth=1
	v_cmp_neq_f32_e64 s17, 0x7f800000, |v39|
                                        ; implicit-def: $vgpr43
	s_and_saveexec_b32 s18, s17
	s_delay_alu instid0(SALU_CYCLE_1)
	s_xor_b32 s17, exec_lo, s18
	s_cbranch_execz .LBB68_429
; %bb.424:                              ;   in Loop: Header=BB68_217 Depth=1
	v_cmp_neq_f32_e64 s18, 0x7f800000, |v38|
                                        ; implicit-def: $vgpr43
	s_and_saveexec_b32 s19, s18
	s_delay_alu instid0(SALU_CYCLE_1)
	s_xor_b32 s18, exec_lo, s19
	s_cbranch_execz .LBB68_426
; %bb.425:                              ;   in Loop: Header=BB68_217 Depth=1
	s_wait_dscnt 0x0
	v_add_f32_e32 v35, 0, v38
	s_delay_alu instid0(VALU_DEP_1)
	v_add_f32_e32 v43, v39, v35
                                        ; implicit-def: $vgpr38_vgpr39
.LBB68_426:                             ;   in Loop: Header=BB68_217 Depth=1
	s_or_saveexec_b32 s18, s18
	s_delay_alu instid0(VALU_DEP_1)
	v_mov_b32_e32 v42, v43
	s_xor_b32 exec_lo, exec_lo, s18
	s_cbranch_execz .LBB68_428
; %bb.427:                              ;   in Loop: Header=BB68_217 Depth=1
	s_wait_dscnt 0x0
	flat_load_b32 v35, v[6:7] scope:SCOPE_SYS
	s_wait_loadcnt 0x0
	v_bfi_b32 v43, 0x7fffffff, 0, v39
	s_wait_dscnt 0x0
	v_add_f32_e32 v35, 0x3fc90fdb, v35
	s_delay_alu instid0(VALU_DEP_1)
	v_bfi_b32 v42, 0x7fffffff, v35, v38
.LBB68_428:                             ;   in Loop: Header=BB68_217 Depth=1
	s_wait_xcnt 0x0
	s_or_b32 exec_lo, exec_lo, s18
                                        ; implicit-def: $vgpr39
.LBB68_429:                             ;   in Loop: Header=BB68_217 Depth=1
	s_and_not1_saveexec_b32 s17, s17
; %bb.430:                              ;   in Loop: Header=BB68_217 Depth=1
	v_bfi_b32 v43, 0x7fffffff, 0, v39
	v_add_f32_e32 v42, v38, v38
; %bb.431:                              ;   in Loop: Header=BB68_217 Depth=1
	s_or_b32 exec_lo, exec_lo, s17
.LBB68_432:                             ;   in Loop: Header=BB68_217 Depth=1
	s_delay_alu instid0(SALU_CYCLE_1)
	s_or_b32 exec_lo, exec_lo, s4
                                        ; implicit-def: $vgpr38
.LBB68_433:                             ;   in Loop: Header=BB68_217 Depth=1
	s_and_not1_saveexec_b32 s4, s16
	s_cbranch_execz .LBB68_435
; %bb.434:                              ;   in Loop: Header=BB68_217 Depth=1
	s_wait_dscnt 0x0
	v_rcp_f32_e64 v35, |v38|
	v_cmp_gt_f32_e64 vcc_lo, |v38|, 1.0
	v_mov_b32_e32 v43, v39
	s_delay_alu instid0(TRANS32_DEP_1) | instid1(VALU_DEP_2)
	v_cndmask_b32_e64 v35, |v38|, v35, vcc_lo
	s_delay_alu instid0(VALU_DEP_1) | instskip(NEXT) | instid1(VALU_DEP_1)
	v_mul_f32_e32 v37, v35, v35
	v_fmaak_f32 v42, s14, v37, 0xbc7a590c
	s_delay_alu instid0(VALU_DEP_1) | instskip(NEXT) | instid1(VALU_DEP_1)
	v_fmaak_f32 v42, v37, v42, 0x3d29fb3f
	v_fmaak_f32 v42, v37, v42, 0xbd97d4d7
	s_delay_alu instid0(VALU_DEP_1) | instskip(NEXT) | instid1(VALU_DEP_1)
	v_fmaak_f32 v42, v37, v42, 0x3dd931b2
	;; [unrolled: 3-line block ×3, first 2 shown]
	v_fmaak_f32 v42, v37, v42, 0xbeaaaa62
	s_delay_alu instid0(VALU_DEP_1) | instskip(NEXT) | instid1(VALU_DEP_1)
	v_mul_f32_e32 v37, v37, v42
	v_fmac_f32_e32 v35, v35, v37
	s_delay_alu instid0(VALU_DEP_1) | instskip(NEXT) | instid1(VALU_DEP_1)
	v_sub_f32_e32 v37, 0x3fc90fdb, v35
	v_cndmask_b32_e32 v35, v35, v37, vcc_lo
	s_delay_alu instid0(VALU_DEP_1)
	v_bfi_b32 v42, 0x7fffffff, v35, v38
.LBB68_435:                             ;   in Loop: Header=BB68_217 Depth=1
	s_or_b32 exec_lo, exec_lo, s4
                                        ; implicit-def: $vgpr39
	s_and_not1_saveexec_b32 s4, s15
	s_cbranch_execnz .LBB68_389
.LBB68_436:                             ;   in Loop: Header=BB68_217 Depth=1
	s_or_b32 exec_lo, exec_lo, s4
	s_and_saveexec_b32 s4, s0
	s_delay_alu instid0(SALU_CYCLE_1)
	s_xor_b32 s0, exec_lo, s4
	s_cbranch_execz .LBB68_390
.LBB68_437:                             ;   in Loop: Header=BB68_217 Depth=1
	v_add_nc_u64_e32 v[38:39], s[6:7], v[12:13]
	global_store_b64 v[38:39], v[40:41], off
	s_wait_xcnt 0x0
	s_or_b32 exec_lo, exec_lo, s0
	s_and_saveexec_b32 s0, s1
	s_cbranch_execnz .LBB68_391
.LBB68_438:                             ;   in Loop: Header=BB68_217 Depth=1
	s_or_b32 exec_lo, exec_lo, s0
	s_and_saveexec_b32 s0, s2
	s_cbranch_execz .LBB68_392
.LBB68_439:                             ;   in Loop: Header=BB68_217 Depth=1
	v_add_nc_u64_e32 v[38:39], s[6:7], v[26:27]
	global_store_b64 v[38:39], v[46:47], off
	s_wait_xcnt 0x0
	s_or_b32 exec_lo, exec_lo, s0
	s_and_saveexec_b32 s0, s3
	s_cbranch_execz .LBB68_216
.LBB68_440:                             ;   in Loop: Header=BB68_217 Depth=1
	v_add_nc_u64_e32 v[38:39], s[6:7], v[20:21]
	global_store_b64 v[38:39], v[42:43], off
	s_branch .LBB68_216
.LBB68_441:
	s_sendmsg sendmsg(MSG_DEALLOC_VGPRS)
	s_endpgm
	.section	.rodata,"a",@progbits
	.p2align	6, 0x0
	.amdhsa_kernel _ZN2at6native12_GLOBAL__N_125multi_tensor_apply_kernelINS1_18TensorListMetadataILi2EEENS1_14UnaryOpFunctorIN3c107complexIfEELi2ELi1ELi1EEEJNS0_4AtanIS8_EEEEEvT_T0_DpT1_
		.amdhsa_group_segment_fixed_size 0
		.amdhsa_private_segment_fixed_size 16
		.amdhsa_kernarg_size 3408
		.amdhsa_user_sgpr_count 2
		.amdhsa_user_sgpr_dispatch_ptr 0
		.amdhsa_user_sgpr_queue_ptr 0
		.amdhsa_user_sgpr_kernarg_segment_ptr 1
		.amdhsa_user_sgpr_dispatch_id 0
		.amdhsa_user_sgpr_kernarg_preload_length 0
		.amdhsa_user_sgpr_kernarg_preload_offset 0
		.amdhsa_user_sgpr_private_segment_size 0
		.amdhsa_wavefront_size32 1
		.amdhsa_uses_dynamic_stack 0
		.amdhsa_enable_private_segment 1
		.amdhsa_system_sgpr_workgroup_id_x 1
		.amdhsa_system_sgpr_workgroup_id_y 0
		.amdhsa_system_sgpr_workgroup_id_z 0
		.amdhsa_system_sgpr_workgroup_info 0
		.amdhsa_system_vgpr_workitem_id 0
		.amdhsa_next_free_vgpr 68
		.amdhsa_next_free_sgpr 30
		.amdhsa_named_barrier_count 0
		.amdhsa_reserve_vcc 1
		.amdhsa_float_round_mode_32 0
		.amdhsa_float_round_mode_16_64 0
		.amdhsa_float_denorm_mode_32 3
		.amdhsa_float_denorm_mode_16_64 3
		.amdhsa_fp16_overflow 0
		.amdhsa_memory_ordered 1
		.amdhsa_forward_progress 1
		.amdhsa_inst_pref_size 255
		.amdhsa_round_robin_scheduling 0
		.amdhsa_exception_fp_ieee_invalid_op 0
		.amdhsa_exception_fp_denorm_src 0
		.amdhsa_exception_fp_ieee_div_zero 0
		.amdhsa_exception_fp_ieee_overflow 0
		.amdhsa_exception_fp_ieee_underflow 0
		.amdhsa_exception_fp_ieee_inexact 0
		.amdhsa_exception_int_div_zero 0
	.end_amdhsa_kernel
	.section	.text._ZN2at6native12_GLOBAL__N_125multi_tensor_apply_kernelINS1_18TensorListMetadataILi2EEENS1_14UnaryOpFunctorIN3c107complexIfEELi2ELi1ELi1EEEJNS0_4AtanIS8_EEEEEvT_T0_DpT1_,"axG",@progbits,_ZN2at6native12_GLOBAL__N_125multi_tensor_apply_kernelINS1_18TensorListMetadataILi2EEENS1_14UnaryOpFunctorIN3c107complexIfEELi2ELi1ELi1EEEJNS0_4AtanIS8_EEEEEvT_T0_DpT1_,comdat
.Lfunc_end68:
	.size	_ZN2at6native12_GLOBAL__N_125multi_tensor_apply_kernelINS1_18TensorListMetadataILi2EEENS1_14UnaryOpFunctorIN3c107complexIfEELi2ELi1ELi1EEEJNS0_4AtanIS8_EEEEEvT_T0_DpT1_, .Lfunc_end68-_ZN2at6native12_GLOBAL__N_125multi_tensor_apply_kernelINS1_18TensorListMetadataILi2EEENS1_14UnaryOpFunctorIN3c107complexIfEELi2ELi1ELi1EEEJNS0_4AtanIS8_EEEEEvT_T0_DpT1_
                                        ; -- End function
	.set _ZN2at6native12_GLOBAL__N_125multi_tensor_apply_kernelINS1_18TensorListMetadataILi2EEENS1_14UnaryOpFunctorIN3c107complexIfEELi2ELi1ELi1EEEJNS0_4AtanIS8_EEEEEvT_T0_DpT1_.num_vgpr, 68
	.set _ZN2at6native12_GLOBAL__N_125multi_tensor_apply_kernelINS1_18TensorListMetadataILi2EEENS1_14UnaryOpFunctorIN3c107complexIfEELi2ELi1ELi1EEEJNS0_4AtanIS8_EEEEEvT_T0_DpT1_.num_agpr, 0
	.set _ZN2at6native12_GLOBAL__N_125multi_tensor_apply_kernelINS1_18TensorListMetadataILi2EEENS1_14UnaryOpFunctorIN3c107complexIfEELi2ELi1ELi1EEEJNS0_4AtanIS8_EEEEEvT_T0_DpT1_.numbered_sgpr, 30
	.set _ZN2at6native12_GLOBAL__N_125multi_tensor_apply_kernelINS1_18TensorListMetadataILi2EEENS1_14UnaryOpFunctorIN3c107complexIfEELi2ELi1ELi1EEEJNS0_4AtanIS8_EEEEEvT_T0_DpT1_.num_named_barrier, 0
	.set _ZN2at6native12_GLOBAL__N_125multi_tensor_apply_kernelINS1_18TensorListMetadataILi2EEENS1_14UnaryOpFunctorIN3c107complexIfEELi2ELi1ELi1EEEJNS0_4AtanIS8_EEEEEvT_T0_DpT1_.private_seg_size, 16
	.set _ZN2at6native12_GLOBAL__N_125multi_tensor_apply_kernelINS1_18TensorListMetadataILi2EEENS1_14UnaryOpFunctorIN3c107complexIfEELi2ELi1ELi1EEEJNS0_4AtanIS8_EEEEEvT_T0_DpT1_.uses_vcc, 1
	.set _ZN2at6native12_GLOBAL__N_125multi_tensor_apply_kernelINS1_18TensorListMetadataILi2EEENS1_14UnaryOpFunctorIN3c107complexIfEELi2ELi1ELi1EEEJNS0_4AtanIS8_EEEEEvT_T0_DpT1_.uses_flat_scratch, 0
	.set _ZN2at6native12_GLOBAL__N_125multi_tensor_apply_kernelINS1_18TensorListMetadataILi2EEENS1_14UnaryOpFunctorIN3c107complexIfEELi2ELi1ELi1EEEJNS0_4AtanIS8_EEEEEvT_T0_DpT1_.has_dyn_sized_stack, 0
	.set _ZN2at6native12_GLOBAL__N_125multi_tensor_apply_kernelINS1_18TensorListMetadataILi2EEENS1_14UnaryOpFunctorIN3c107complexIfEELi2ELi1ELi1EEEJNS0_4AtanIS8_EEEEEvT_T0_DpT1_.has_recursion, 0
	.set _ZN2at6native12_GLOBAL__N_125multi_tensor_apply_kernelINS1_18TensorListMetadataILi2EEENS1_14UnaryOpFunctorIN3c107complexIfEELi2ELi1ELi1EEEJNS0_4AtanIS8_EEEEEvT_T0_DpT1_.has_indirect_call, 0
	.section	.AMDGPU.csdata,"",@progbits
; Kernel info:
; codeLenInByte = 37136
; TotalNumSgprs: 32
; NumVgprs: 68
; ScratchSize: 16
; MemoryBound: 0
; FloatMode: 240
; IeeeMode: 1
; LDSByteSize: 0 bytes/workgroup (compile time only)
; SGPRBlocks: 0
; VGPRBlocks: 4
; NumSGPRsForWavesPerEU: 32
; NumVGPRsForWavesPerEU: 68
; NamedBarCnt: 0
; Occupancy: 12
; WaveLimiterHint : 0
; COMPUTE_PGM_RSRC2:SCRATCH_EN: 1
; COMPUTE_PGM_RSRC2:USER_SGPR: 2
; COMPUTE_PGM_RSRC2:TRAP_HANDLER: 0
; COMPUTE_PGM_RSRC2:TGID_X_EN: 1
; COMPUTE_PGM_RSRC2:TGID_Y_EN: 0
; COMPUTE_PGM_RSRC2:TGID_Z_EN: 0
; COMPUTE_PGM_RSRC2:TIDIG_COMP_CNT: 0
	.section	.text._ZN2at6native12_GLOBAL__N_125multi_tensor_apply_kernelINS1_18TensorListMetadataILi2EEENS1_14UnaryOpFunctorIN3c104HalfELi2ELi1ELi1EEEJNS0_4AtanIfEEEEEvT_T0_DpT1_,"axG",@progbits,_ZN2at6native12_GLOBAL__N_125multi_tensor_apply_kernelINS1_18TensorListMetadataILi2EEENS1_14UnaryOpFunctorIN3c104HalfELi2ELi1ELi1EEEJNS0_4AtanIfEEEEEvT_T0_DpT1_,comdat
	.globl	_ZN2at6native12_GLOBAL__N_125multi_tensor_apply_kernelINS1_18TensorListMetadataILi2EEENS1_14UnaryOpFunctorIN3c104HalfELi2ELi1ELi1EEEJNS0_4AtanIfEEEEEvT_T0_DpT1_ ; -- Begin function _ZN2at6native12_GLOBAL__N_125multi_tensor_apply_kernelINS1_18TensorListMetadataILi2EEENS1_14UnaryOpFunctorIN3c104HalfELi2ELi1ELi1EEEJNS0_4AtanIfEEEEEvT_T0_DpT1_
	.p2align	8
	.type	_ZN2at6native12_GLOBAL__N_125multi_tensor_apply_kernelINS1_18TensorListMetadataILi2EEENS1_14UnaryOpFunctorIN3c104HalfELi2ELi1ELi1EEEJNS0_4AtanIfEEEEEvT_T0_DpT1_,@function
_ZN2at6native12_GLOBAL__N_125multi_tensor_apply_kernelINS1_18TensorListMetadataILi2EEENS1_14UnaryOpFunctorIN3c104HalfELi2ELi1ELi1EEEJNS0_4AtanIfEEEEEvT_T0_DpT1_: ; @_ZN2at6native12_GLOBAL__N_125multi_tensor_apply_kernelINS1_18TensorListMetadataILi2EEENS1_14UnaryOpFunctorIN3c104HalfELi2ELi1ELi1EEEJNS0_4AtanIfEEEEEvT_T0_DpT1_
; %bb.0:
	s_bfe_u32 s2, ttmp6, 0x4000c
	s_and_b32 s3, ttmp6, 15
	s_add_co_i32 s2, s2, 1
	s_getreg_b32 s4, hwreg(HW_REG_IB_STS2, 6, 4)
	s_mul_i32 s2, ttmp9, s2
	s_delay_alu instid0(SALU_CYCLE_1)
	s_add_co_i32 s3, s3, s2
	s_cmp_eq_u32 s4, 0
	s_cselect_b32 s2, ttmp9, s3
	s_mov_b32 s3, 0
	s_load_u8 s13, s[0:1], s2 offset:0x600
	s_add_nc_u64 s[4:5], s[0:1], s[2:3]
	s_mul_u64 s[6:7], s[2:3], 3
	s_delay_alu instid0(SALU_CYCLE_1)
	s_add_nc_u64 s[4:5], s[4:5], s[6:7]
	s_load_b32 s12, s[4:5], 0x740
	s_wait_kmcnt 0x0
	s_clause 0x2
	s_load_b64 s[8:9], s[0:1], s13 offset:0x0 scale_offset
	s_load_b64 s[10:11], s[0:1], s13 offset:0x200 scale_offset
	;; [unrolled: 1-line block ×3, first 2 shown]
	s_mov_b32 s5, s3
	s_wait_xcnt 0x0
	s_ashr_i32 s13, s12, 31
	s_delay_alu instid0(SALU_CYCLE_1)
	s_lshl_b64 s[6:7], s[12:13], 17
	s_wait_kmcnt 0x0
	s_and_b64 s[18:19], s[10:11], 7
	s_add_nc_u64 s[16:17], s[8:9], s[6:7]
	s_and_b32 s4, s14, 3
	s_and_b32 s2, s16, 7
	s_or_b64 s[4:5], s[18:19], s[4:5]
	s_lshl_b64 s[12:13], s[12:13], 16
	s_or_b64 s[2:3], s[4:5], s[2:3]
	s_sub_nc_u64 s[12:13], s[14:15], s[12:13]
	s_cmp_eq_u64 s[2:3], 0
	s_mov_b32 s2, -1
	s_cbranch_scc0 .LBB69_5
; %bb.1:
	v_min_i64 v[2:3], 0x10000, s[12:13]
	v_dual_mov_b32 v5, 0 :: v_dual_lshlrev_b32 v4, 2, v0
	s_mov_b32 s5, exec_lo
	s_delay_alu instid0(VALU_DEP_1)
	v_cmpx_lt_i64_e64 v[4:5], v[2:3]
	s_cbranch_execz .LBB69_4
; %bb.2:
	s_load_b32 s2, s[0:1], 0xc5c
	v_dual_mov_b32 v1, v5 :: v_dual_lshlrev_b32 v4, 3, v0
	s_mov_b32 s15, 0
	s_mov_b32 s16, 0xbc7a590c
	;; [unrolled: 1-line block ×3, first 2 shown]
	s_delay_alu instid0(VALU_DEP_1)
	v_mov_b64_e32 v[6:7], v[0:1]
	v_add_nc_u64_e32 v[4:5], s[6:7], v[4:5]
	s_mov_b32 s20, 0x3d29fb3f
	s_mov_b32 s22, 0xbd97d4d7
	;; [unrolled: 1-line block ×8, first 2 shown]
	s_wait_kmcnt 0x0
	s_and_b32 s14, s2, 0xffff
	s_delay_alu instid0(SALU_CYCLE_1)
	s_lshl_b32 s34, s14, 3
.LBB69_3:                               ; =>This Inner Loop Header: Depth=1
	v_add_nc_u64_e32 v[8:9], s[8:9], v[4:5]
	v_add_nc_u64_e32 v[6:7], s[14:15], v[6:7]
	global_load_b64 v[8:9], v[8:9], off
	v_lshlrev_b64_e32 v[22:23], 2, v[6:7]
	s_wait_loadcnt 0x0
	v_dual_lshrrev_b32 v1, 16, v9 :: v_dual_lshrrev_b32 v24, 16, v8
	v_cvt_f32_f16_e32 v11, v8
	v_cvt_f32_f16_e32 v10, v9
	v_lshlrev_b32_e32 v25, 16, v8
	s_delay_alu instid0(VALU_DEP_4)
	v_cvt_f32_f16_e32 v14, v1
	v_cvt_f32_f16_e32 v13, v24
	v_rcp_f32_e64 v12, |v11|
	v_rcp_f32_e64 v15, |v10|
	v_cmp_gt_f32_e64 vcc_lo, |v11|, 1.0
	v_rcp_f32_e64 v17, |v14|
	v_rcp_f32_e64 v16, |v13|
	v_cmp_gt_f32_e64 s2, |v10|, 1.0
	v_cmp_gt_f32_e64 s3, |v13|, 1.0
	;; [unrolled: 1-line block ×3, first 2 shown]
	v_cndmask_b32_e64 v12, |v11|, v12, vcc_lo
	v_lshlrev_b32_e32 v1, 16, v1
	v_cndmask_b32_e64 v10, |v10|, v15, s2
	v_cndmask_b32_e64 v13, |v13|, v16, s3
	;; [unrolled: 1-line block ×3, first 2 shown]
	s_delay_alu instid0(VALU_DEP_2) | instskip(NEXT) | instid1(VALU_DEP_2)
	v_pk_mul_f32 v[14:15], v[12:13], v[12:13]
	v_pk_mul_f32 v[16:17], v[10:11], v[10:11]
	s_delay_alu instid0(VALU_DEP_2) | instskip(NEXT) | instid1(VALU_DEP_2)
	v_pk_fma_f32 v[18:19], v[14:15], s[18:19], s[16:17] op_sel_hi:[1,0,0]
	v_pk_fma_f32 v[20:21], v[16:17], s[18:19], s[16:17] op_sel_hi:[1,0,0]
	s_delay_alu instid0(VALU_DEP_2) | instskip(NEXT) | instid1(VALU_DEP_2)
	v_pk_fma_f32 v[18:19], v[14:15], v[18:19], s[20:21] op_sel_hi:[1,1,0]
	v_pk_fma_f32 v[20:21], v[16:17], v[20:21], s[20:21] op_sel_hi:[1,1,0]
	;; [unrolled: 3-line block ×7, first 2 shown]
	s_delay_alu instid0(VALU_DEP_2) | instskip(NEXT) | instid1(VALU_DEP_2)
	v_pk_mul_f32 v[14:15], v[14:15], v[18:19]
	v_pk_mul_f32 v[16:17], v[16:17], v[20:21]
	v_lshlrev_b32_e32 v18, 16, v9
	s_wait_xcnt 0x0
	s_delay_alu instid0(VALU_DEP_3) | instskip(NEXT) | instid1(VALU_DEP_3)
	v_pk_fma_f32 v[8:9], v[12:13], v[14:15], v[12:13]
	v_pk_fma_f32 v[10:11], v[10:11], v[16:17], v[10:11]
	s_delay_alu instid0(VALU_DEP_2) | instskip(NEXT) | instid1(VALU_DEP_2)
	v_dual_sub_f32 v13, 0x3fc90fdb, v9 :: v_dual_lshlrev_b32 v12, 16, v24
	v_dual_sub_f32 v14, 0x3fc90fdb, v11 :: v_dual_sub_f32 v15, 0x3fc90fdb, v10
	s_delay_alu instid0(VALU_DEP_4) | instskip(NEXT) | instid1(VALU_DEP_2)
	v_sub_f32_e32 v16, 0x3fc90fdb, v8
	v_dual_cndmask_b32 v9, v9, v13, s3 :: v_dual_cndmask_b32 v11, v11, v14, s4
	s_delay_alu instid0(VALU_DEP_2) | instskip(SKIP_1) | instid1(VALU_DEP_3)
	v_dual_cndmask_b32 v10, v10, v15, s2 :: v_dual_cndmask_b32 v8, v8, v16, vcc_lo
	v_cmp_ge_i64_e32 vcc_lo, v[22:23], v[2:3]
	v_bfi_b32 v12, 0x7fffffff, v9, v12
	s_delay_alu instid0(VALU_DEP_4) | instskip(NEXT) | instid1(VALU_DEP_4)
	v_bfi_b32 v1, 0x7fffffff, v11, v1
	v_bfi_b32 v10, 0x7fffffff, v10, v18
	;; [unrolled: 1-line block ×3, first 2 shown]
	v_add_nc_u64_e32 v[8:9], s[10:11], v[4:5]
	v_add_nc_u64_e32 v[4:5], s[34:35], v[4:5]
	s_or_b32 s17, vcc_lo, s17
	v_cvt_pk_f16_f32 v11, v10, v1
	v_cvt_pk_f16_f32 v10, v13, v12
	global_store_b64 v[8:9], v[10:11], off
	s_wait_xcnt 0x0
	s_and_not1_b32 exec_lo, exec_lo, s17
	s_cbranch_execnz .LBB69_3
.LBB69_4:
	s_or_b32 exec_lo, exec_lo, s5
	s_mov_b32 s2, 0
.LBB69_5:
	s_delay_alu instid0(SALU_CYCLE_1)
	s_and_not1_b32 vcc_lo, exec_lo, s2
	s_cbranch_vccnz .LBB69_25
; %bb.6:
	v_cmp_lt_i64_e64 s2, s[12:13], 1
	s_and_b32 vcc_lo, exec_lo, s2
	s_cbranch_vccnz .LBB69_25
; %bb.7:
	s_load_b32 s0, s[0:1], 0xc5c
	v_min_i64 v[2:3], 0x10000, s[12:13]
	v_min_u64 v[4:5], 0x10000, s[12:13]
	v_dual_mov_b32 v1, 0 :: v_dual_lshlrev_b32 v10, 1, v0
	s_wait_xcnt 0x0
	s_mov_b32 s1, 0
	s_delay_alu instid0(SALU_CYCLE_1) | instskip(NEXT) | instid1(VALU_DEP_1)
	s_mov_b32 s5, s1
	v_dual_mov_b32 v11, v1 :: v_dual_mov_b32 v27, v1
	s_mov_b32 s3, s1
	s_mov_b32 s13, s1
	s_delay_alu instid0(VALU_DEP_1) | instskip(SKIP_2) | instid1(SALU_CYCLE_1)
	v_add_nc_u64_e32 v[6:7], s[8:9], v[10:11]
	s_wait_kmcnt 0x0
	s_and_b32 s0, s0, 0xffff
	v_add_nc_u64_e32 v[8:9], s[0:1], v[0:1]
	v_mad_nc_u64_u32 v[22:23], s0, 6, v[10:11]
	s_lshl_b32 s4, s0, 2
	s_mul_i32 s12, s0, 3
	v_add_nc_u64_e32 v[18:19], s[4:5], v[10:11]
	s_lshl_b32 s2, s0, 1
	v_add_nc_u64_e32 v[10:11], s[10:11], v[10:11]
	v_lshlrev_b32_e32 v26, 1, v8
	v_add_nc_u64_e32 v[12:13], s[12:13], v[0:1]
	v_add_nc_u64_e32 v[14:15], s[2:3], v[0:1]
	s_mov_b32 s3, 0x3b2d2a58
	v_add_nc_u64_e32 v[16:17], s[8:9], v[18:19]
	v_add_nc_u64_e32 v[18:19], s[10:11], v[18:19]
	v_add_nc_u64_e32 v[20:21], s[8:9], v[22:23]
	v_add_nc_u64_e32 v[22:23], s[10:11], v[22:23]
	v_add_nc_u64_e32 v[24:25], s[8:9], v[26:27]
	v_add_nc_u64_e32 v[26:27], s[10:11], v[26:27]
	s_lshl_b32 s8, s0, 3
	s_mov_b32 s9, s1
	s_mov_b64 s[10:11], 0
	s_branch .LBB69_9
.LBB69_8:                               ;   in Loop: Header=BB69_9 Depth=1
	s_wait_xcnt 0x0
	s_or_b32 exec_lo, exec_lo, s0
	s_add_nc_u64 s[10:11], s[10:11], s[4:5]
	v_add_nc_u64_e32 v[6:7], s[8:9], v[6:7]
	v_cmp_ge_i64_e32 vcc_lo, s[10:11], v[2:3]
	v_add_nc_u64_e32 v[10:11], s[8:9], v[10:11]
	v_add_nc_u64_e32 v[20:21], s[8:9], v[20:21]
	;; [unrolled: 1-line block ×7, first 2 shown]
	s_cbranch_vccnz .LBB69_25
.LBB69_9:                               ; =>This Inner Loop Header: Depth=1
	v_add_nc_u64_e32 v[28:29], s[10:11], v[0:1]
	v_mov_b32_e32 v31, 0
	s_delay_alu instid0(VALU_DEP_2)
	v_cmp_lt_u64_e64 s2, v[28:29], v[4:5]
	s_and_saveexec_b32 s0, s2
	s_cbranch_execz .LBB69_11
; %bb.10:                               ;   in Loop: Header=BB69_9 Depth=1
	v_add_nc_u64_e32 v[28:29], s[6:7], v[6:7]
	global_load_u16 v28, v[28:29], off
	s_wait_loadcnt 0x0
	v_cvt_f32_f16_e32 v31, v28
.LBB69_11:                              ;   in Loop: Header=BB69_9 Depth=1
	s_wait_xcnt 0x0
	s_or_b32 exec_lo, exec_lo, s0
	v_add_nc_u64_e32 v[28:29], s[10:11], v[8:9]
	v_mov_b32_e32 v30, 0
	s_delay_alu instid0(VALU_DEP_2)
	v_cmp_lt_u64_e64 s1, v[28:29], v[4:5]
	v_mov_b32_e32 v28, 0
	s_and_saveexec_b32 s0, s1
	s_cbranch_execz .LBB69_13
; %bb.12:                               ;   in Loop: Header=BB69_9 Depth=1
	v_add_nc_u64_e32 v[32:33], s[6:7], v[24:25]
	global_load_u16 v29, v[32:33], off
	s_wait_loadcnt 0x0
	v_cvt_f32_f16_e32 v30, v29
.LBB69_13:                              ;   in Loop: Header=BB69_9 Depth=1
	s_wait_xcnt 0x0
	s_or_b32 exec_lo, exec_lo, s0
	v_add_nc_u64_e32 v[32:33], s[10:11], v[14:15]
	s_delay_alu instid0(VALU_DEP_1)
	v_cmp_lt_u64_e64 s0, v[32:33], v[4:5]
	s_and_saveexec_b32 s12, s0
	s_cbranch_execz .LBB69_15
; %bb.14:                               ;   in Loop: Header=BB69_9 Depth=1
	v_add_nc_u64_e32 v[28:29], s[6:7], v[16:17]
	global_load_u16 v28, v[28:29], off
	s_wait_loadcnt 0x0
	v_cvt_f32_f16_e32 v28, v28
.LBB69_15:                              ;   in Loop: Header=BB69_9 Depth=1
	s_or_b32 exec_lo, exec_lo, s12
	v_add_nc_u64_e32 v[32:33], s[10:11], v[12:13]
	v_mov_b32_e32 v29, 0
	s_delay_alu instid0(VALU_DEP_2)
	v_cmp_lt_u64_e32 vcc_lo, v[32:33], v[4:5]
	s_and_saveexec_b32 s12, vcc_lo
	s_cbranch_execnz .LBB69_20
; %bb.16:                               ;   in Loop: Header=BB69_9 Depth=1
	s_or_b32 exec_lo, exec_lo, s12
	s_and_saveexec_b32 s12, s2
	s_cbranch_execnz .LBB69_21
.LBB69_17:                              ;   in Loop: Header=BB69_9 Depth=1
	s_or_b32 exec_lo, exec_lo, s12
	s_and_saveexec_b32 s2, s1
	s_cbranch_execnz .LBB69_22
.LBB69_18:                              ;   in Loop: Header=BB69_9 Depth=1
	s_or_b32 exec_lo, exec_lo, s2
	s_and_saveexec_b32 s1, s0
	s_cbranch_execnz .LBB69_23
.LBB69_19:                              ;   in Loop: Header=BB69_9 Depth=1
	s_or_b32 exec_lo, exec_lo, s1
	s_and_saveexec_b32 s0, vcc_lo
	s_cbranch_execz .LBB69_8
	s_branch .LBB69_24
.LBB69_20:                              ;   in Loop: Header=BB69_9 Depth=1
	v_add_nc_u64_e32 v[32:33], s[6:7], v[20:21]
	global_load_u16 v29, v[32:33], off
	s_wait_loadcnt 0x0
	v_cvt_f32_f16_e32 v29, v29
	s_wait_xcnt 0x0
	s_or_b32 exec_lo, exec_lo, s12
	s_and_saveexec_b32 s12, s2
	s_cbranch_execz .LBB69_17
.LBB69_21:                              ;   in Loop: Header=BB69_9 Depth=1
	v_rcp_f32_e64 v32, |v31|
	v_cmp_gt_f32_e64 s2, |v31|, 1.0
	s_delay_alu instid0(TRANS32_DEP_1) | instid1(VALU_DEP_1)
	v_cndmask_b32_e64 v32, |v31|, v32, s2
	s_delay_alu instid0(VALU_DEP_1) | instskip(NEXT) | instid1(VALU_DEP_1)
	v_dual_lshrrev_b32 v31, 16, v31 :: v_dual_mul_f32 v33, v32, v32
	v_fmaak_f32 v34, s3, v33, 0xbc7a590c
	s_delay_alu instid0(VALU_DEP_1) | instskip(NEXT) | instid1(VALU_DEP_1)
	v_fmaak_f32 v34, v33, v34, 0x3d29fb3f
	v_fmaak_f32 v34, v33, v34, 0xbd97d4d7
	s_delay_alu instid0(VALU_DEP_1) | instskip(NEXT) | instid1(VALU_DEP_1)
	v_fmaak_f32 v34, v33, v34, 0x3dd931b2
	;; [unrolled: 3-line block ×3, first 2 shown]
	v_fmaak_f32 v34, v33, v34, 0xbeaaaa62
	s_delay_alu instid0(VALU_DEP_1) | instskip(NEXT) | instid1(VALU_DEP_1)
	v_mul_f32_e32 v33, v33, v34
	v_fmac_f32_e32 v32, v32, v33
	s_delay_alu instid0(VALU_DEP_1) | instskip(NEXT) | instid1(VALU_DEP_1)
	v_sub_f32_e32 v33, 0x3fc90fdb, v32
	v_cndmask_b32_e64 v32, v32, v33, s2
	s_delay_alu instid0(VALU_DEP_1) | instskip(SKIP_1) | instid1(VALU_DEP_2)
	v_cvt_f16_f32_e32 v34, v32
	v_add_nc_u64_e32 v[32:33], s[6:7], v[10:11]
	v_bfi_b32 v31, 0x7fff, v34, v31
	global_store_b16 v[32:33], v31, off
	s_wait_xcnt 0x0
	s_or_b32 exec_lo, exec_lo, s12
	s_and_saveexec_b32 s2, s1
	s_cbranch_execz .LBB69_18
.LBB69_22:                              ;   in Loop: Header=BB69_9 Depth=1
	v_rcp_f32_e64 v31, |v30|
	v_cmp_gt_f32_e64 s1, |v30|, 1.0
	s_delay_alu instid0(TRANS32_DEP_1) | instid1(VALU_DEP_1)
	v_cndmask_b32_e64 v31, |v30|, v31, s1
	s_delay_alu instid0(VALU_DEP_1) | instskip(NEXT) | instid1(VALU_DEP_1)
	v_mul_f32_e32 v32, v31, v31
	v_fmaak_f32 v33, s3, v32, 0xbc7a590c
	s_delay_alu instid0(VALU_DEP_1) | instskip(NEXT) | instid1(VALU_DEP_1)
	v_fmaak_f32 v33, v32, v33, 0x3d29fb3f
	v_fmaak_f32 v33, v32, v33, 0xbd97d4d7
	s_delay_alu instid0(VALU_DEP_1) | instskip(NEXT) | instid1(VALU_DEP_1)
	v_fmaak_f32 v33, v32, v33, 0x3dd931b2
	v_fmaak_f32 v33, v32, v33, 0xbe1160e6
	s_delay_alu instid0(VALU_DEP_1) | instskip(NEXT) | instid1(VALU_DEP_1)
	v_fmaak_f32 v33, v32, v33, 0x3e4cb8bf
	v_fmaak_f32 v33, v32, v33, 0xbeaaaa62
	s_delay_alu instid0(VALU_DEP_1) | instskip(NEXT) | instid1(VALU_DEP_1)
	v_dual_mul_f32 v32, v32, v33 :: v_dual_lshrrev_b32 v33, 16, v30
	v_fmac_f32_e32 v31, v31, v32
	s_delay_alu instid0(VALU_DEP_1) | instskip(NEXT) | instid1(VALU_DEP_1)
	v_sub_f32_e32 v32, 0x3fc90fdb, v31
	v_cndmask_b32_e64 v31, v31, v32, s1
	s_delay_alu instid0(VALU_DEP_1) | instskip(SKIP_1) | instid1(VALU_DEP_2)
	v_cvt_f16_f32_e32 v32, v31
	v_add_nc_u64_e32 v[30:31], s[6:7], v[26:27]
	v_bfi_b32 v32, 0x7fff, v32, v33
	global_store_b16 v[30:31], v32, off
	s_wait_xcnt 0x0
	s_or_b32 exec_lo, exec_lo, s2
	s_and_saveexec_b32 s1, s0
	s_cbranch_execz .LBB69_19
.LBB69_23:                              ;   in Loop: Header=BB69_9 Depth=1
	v_rcp_f32_e64 v30, |v28|
	v_cmp_gt_f32_e64 s0, |v28|, 1.0
	s_delay_alu instid0(TRANS32_DEP_1) | instid1(VALU_DEP_1)
	v_cndmask_b32_e64 v30, |v28|, v30, s0
	s_delay_alu instid0(VALU_DEP_1) | instskip(NEXT) | instid1(VALU_DEP_1)
	v_dual_mul_f32 v31, v30, v30 :: v_dual_lshrrev_b32 v28, 16, v28
	v_fmaak_f32 v32, s3, v31, 0xbc7a590c
	s_delay_alu instid0(VALU_DEP_1) | instskip(NEXT) | instid1(VALU_DEP_1)
	v_fmaak_f32 v32, v31, v32, 0x3d29fb3f
	v_fmaak_f32 v32, v31, v32, 0xbd97d4d7
	s_delay_alu instid0(VALU_DEP_1) | instskip(NEXT) | instid1(VALU_DEP_1)
	v_fmaak_f32 v32, v31, v32, 0x3dd931b2
	v_fmaak_f32 v32, v31, v32, 0xbe1160e6
	s_delay_alu instid0(VALU_DEP_1) | instskip(NEXT) | instid1(VALU_DEP_1)
	v_fmaak_f32 v32, v31, v32, 0x3e4cb8bf
	v_fmaak_f32 v32, v31, v32, 0xbeaaaa62
	s_delay_alu instid0(VALU_DEP_1) | instskip(NEXT) | instid1(VALU_DEP_1)
	v_mul_f32_e32 v31, v31, v32
	v_fmac_f32_e32 v30, v30, v31
	s_delay_alu instid0(VALU_DEP_1) | instskip(NEXT) | instid1(VALU_DEP_1)
	v_sub_f32_e32 v31, 0x3fc90fdb, v30
	v_cndmask_b32_e64 v30, v30, v31, s0
	s_delay_alu instid0(VALU_DEP_1) | instskip(SKIP_1) | instid1(VALU_DEP_2)
	v_cvt_f16_f32_e32 v32, v30
	v_add_nc_u64_e32 v[30:31], s[6:7], v[18:19]
	v_bfi_b32 v28, 0x7fff, v32, v28
	global_store_b16 v[30:31], v28, off
	s_wait_xcnt 0x0
	s_or_b32 exec_lo, exec_lo, s1
	s_and_saveexec_b32 s0, vcc_lo
	s_cbranch_execz .LBB69_8
.LBB69_24:                              ;   in Loop: Header=BB69_9 Depth=1
	v_rcp_f32_e64 v28, |v29|
	v_cmp_gt_f32_e64 vcc_lo, |v29|, 1.0
	s_delay_alu instid0(TRANS32_DEP_1) | instid1(VALU_DEP_1)
	v_cndmask_b32_e64 v28, |v29|, v28, vcc_lo
	s_delay_alu instid0(VALU_DEP_1) | instskip(NEXT) | instid1(VALU_DEP_1)
	v_mul_f32_e32 v30, v28, v28
	v_fmaak_f32 v31, s3, v30, 0xbc7a590c
	s_delay_alu instid0(VALU_DEP_1) | instskip(NEXT) | instid1(VALU_DEP_1)
	v_fmaak_f32 v31, v30, v31, 0x3d29fb3f
	v_fmaak_f32 v31, v30, v31, 0xbd97d4d7
	s_delay_alu instid0(VALU_DEP_1) | instskip(NEXT) | instid1(VALU_DEP_1)
	v_fmaak_f32 v31, v30, v31, 0x3dd931b2
	;; [unrolled: 3-line block ×3, first 2 shown]
	v_fmaak_f32 v31, v30, v31, 0xbeaaaa62
	s_delay_alu instid0(VALU_DEP_1) | instskip(NEXT) | instid1(VALU_DEP_1)
	v_dual_mul_f32 v30, v30, v31 :: v_dual_lshrrev_b32 v31, 16, v29
	v_fmac_f32_e32 v28, v28, v30
	s_delay_alu instid0(VALU_DEP_1) | instskip(NEXT) | instid1(VALU_DEP_1)
	v_sub_f32_e32 v30, 0x3fc90fdb, v28
	v_cndmask_b32_e32 v28, v28, v30, vcc_lo
	s_delay_alu instid0(VALU_DEP_1) | instskip(SKIP_1) | instid1(VALU_DEP_2)
	v_cvt_f16_f32_e32 v30, v28
	v_add_nc_u64_e32 v[28:29], s[6:7], v[22:23]
	v_bfi_b32 v30, 0x7fff, v30, v31
	global_store_b16 v[28:29], v30, off
	s_branch .LBB69_8
.LBB69_25:
	s_endpgm
	.section	.rodata,"a",@progbits
	.p2align	6, 0x0
	.amdhsa_kernel _ZN2at6native12_GLOBAL__N_125multi_tensor_apply_kernelINS1_18TensorListMetadataILi2EEENS1_14UnaryOpFunctorIN3c104HalfELi2ELi1ELi1EEEJNS0_4AtanIfEEEEEvT_T0_DpT1_
		.amdhsa_group_segment_fixed_size 0
		.amdhsa_private_segment_fixed_size 0
		.amdhsa_kernarg_size 3408
		.amdhsa_user_sgpr_count 2
		.amdhsa_user_sgpr_dispatch_ptr 0
		.amdhsa_user_sgpr_queue_ptr 0
		.amdhsa_user_sgpr_kernarg_segment_ptr 1
		.amdhsa_user_sgpr_dispatch_id 0
		.amdhsa_user_sgpr_kernarg_preload_length 0
		.amdhsa_user_sgpr_kernarg_preload_offset 0
		.amdhsa_user_sgpr_private_segment_size 0
		.amdhsa_wavefront_size32 1
		.amdhsa_uses_dynamic_stack 0
		.amdhsa_enable_private_segment 0
		.amdhsa_system_sgpr_workgroup_id_x 1
		.amdhsa_system_sgpr_workgroup_id_y 0
		.amdhsa_system_sgpr_workgroup_id_z 0
		.amdhsa_system_sgpr_workgroup_info 0
		.amdhsa_system_vgpr_workitem_id 0
		.amdhsa_next_free_vgpr 35
		.amdhsa_next_free_sgpr 36
		.amdhsa_named_barrier_count 0
		.amdhsa_reserve_vcc 1
		.amdhsa_float_round_mode_32 0
		.amdhsa_float_round_mode_16_64 0
		.amdhsa_float_denorm_mode_32 3
		.amdhsa_float_denorm_mode_16_64 3
		.amdhsa_fp16_overflow 0
		.amdhsa_memory_ordered 1
		.amdhsa_forward_progress 1
		.amdhsa_inst_pref_size 18
		.amdhsa_round_robin_scheduling 0
		.amdhsa_exception_fp_ieee_invalid_op 0
		.amdhsa_exception_fp_denorm_src 0
		.amdhsa_exception_fp_ieee_div_zero 0
		.amdhsa_exception_fp_ieee_overflow 0
		.amdhsa_exception_fp_ieee_underflow 0
		.amdhsa_exception_fp_ieee_inexact 0
		.amdhsa_exception_int_div_zero 0
	.end_amdhsa_kernel
	.section	.text._ZN2at6native12_GLOBAL__N_125multi_tensor_apply_kernelINS1_18TensorListMetadataILi2EEENS1_14UnaryOpFunctorIN3c104HalfELi2ELi1ELi1EEEJNS0_4AtanIfEEEEEvT_T0_DpT1_,"axG",@progbits,_ZN2at6native12_GLOBAL__N_125multi_tensor_apply_kernelINS1_18TensorListMetadataILi2EEENS1_14UnaryOpFunctorIN3c104HalfELi2ELi1ELi1EEEJNS0_4AtanIfEEEEEvT_T0_DpT1_,comdat
.Lfunc_end69:
	.size	_ZN2at6native12_GLOBAL__N_125multi_tensor_apply_kernelINS1_18TensorListMetadataILi2EEENS1_14UnaryOpFunctorIN3c104HalfELi2ELi1ELi1EEEJNS0_4AtanIfEEEEEvT_T0_DpT1_, .Lfunc_end69-_ZN2at6native12_GLOBAL__N_125multi_tensor_apply_kernelINS1_18TensorListMetadataILi2EEENS1_14UnaryOpFunctorIN3c104HalfELi2ELi1ELi1EEEJNS0_4AtanIfEEEEEvT_T0_DpT1_
                                        ; -- End function
	.set _ZN2at6native12_GLOBAL__N_125multi_tensor_apply_kernelINS1_18TensorListMetadataILi2EEENS1_14UnaryOpFunctorIN3c104HalfELi2ELi1ELi1EEEJNS0_4AtanIfEEEEEvT_T0_DpT1_.num_vgpr, 35
	.set _ZN2at6native12_GLOBAL__N_125multi_tensor_apply_kernelINS1_18TensorListMetadataILi2EEENS1_14UnaryOpFunctorIN3c104HalfELi2ELi1ELi1EEEJNS0_4AtanIfEEEEEvT_T0_DpT1_.num_agpr, 0
	.set _ZN2at6native12_GLOBAL__N_125multi_tensor_apply_kernelINS1_18TensorListMetadataILi2EEENS1_14UnaryOpFunctorIN3c104HalfELi2ELi1ELi1EEEJNS0_4AtanIfEEEEEvT_T0_DpT1_.numbered_sgpr, 36
	.set _ZN2at6native12_GLOBAL__N_125multi_tensor_apply_kernelINS1_18TensorListMetadataILi2EEENS1_14UnaryOpFunctorIN3c104HalfELi2ELi1ELi1EEEJNS0_4AtanIfEEEEEvT_T0_DpT1_.num_named_barrier, 0
	.set _ZN2at6native12_GLOBAL__N_125multi_tensor_apply_kernelINS1_18TensorListMetadataILi2EEENS1_14UnaryOpFunctorIN3c104HalfELi2ELi1ELi1EEEJNS0_4AtanIfEEEEEvT_T0_DpT1_.private_seg_size, 0
	.set _ZN2at6native12_GLOBAL__N_125multi_tensor_apply_kernelINS1_18TensorListMetadataILi2EEENS1_14UnaryOpFunctorIN3c104HalfELi2ELi1ELi1EEEJNS0_4AtanIfEEEEEvT_T0_DpT1_.uses_vcc, 1
	.set _ZN2at6native12_GLOBAL__N_125multi_tensor_apply_kernelINS1_18TensorListMetadataILi2EEENS1_14UnaryOpFunctorIN3c104HalfELi2ELi1ELi1EEEJNS0_4AtanIfEEEEEvT_T0_DpT1_.uses_flat_scratch, 0
	.set _ZN2at6native12_GLOBAL__N_125multi_tensor_apply_kernelINS1_18TensorListMetadataILi2EEENS1_14UnaryOpFunctorIN3c104HalfELi2ELi1ELi1EEEJNS0_4AtanIfEEEEEvT_T0_DpT1_.has_dyn_sized_stack, 0
	.set _ZN2at6native12_GLOBAL__N_125multi_tensor_apply_kernelINS1_18TensorListMetadataILi2EEENS1_14UnaryOpFunctorIN3c104HalfELi2ELi1ELi1EEEJNS0_4AtanIfEEEEEvT_T0_DpT1_.has_recursion, 0
	.set _ZN2at6native12_GLOBAL__N_125multi_tensor_apply_kernelINS1_18TensorListMetadataILi2EEENS1_14UnaryOpFunctorIN3c104HalfELi2ELi1ELi1EEEJNS0_4AtanIfEEEEEvT_T0_DpT1_.has_indirect_call, 0
	.section	.AMDGPU.csdata,"",@progbits
; Kernel info:
; codeLenInByte = 2216
; TotalNumSgprs: 38
; NumVgprs: 35
; ScratchSize: 0
; MemoryBound: 0
; FloatMode: 240
; IeeeMode: 1
; LDSByteSize: 0 bytes/workgroup (compile time only)
; SGPRBlocks: 0
; VGPRBlocks: 2
; NumSGPRsForWavesPerEU: 38
; NumVGPRsForWavesPerEU: 35
; NamedBarCnt: 0
; Occupancy: 16
; WaveLimiterHint : 0
; COMPUTE_PGM_RSRC2:SCRATCH_EN: 0
; COMPUTE_PGM_RSRC2:USER_SGPR: 2
; COMPUTE_PGM_RSRC2:TRAP_HANDLER: 0
; COMPUTE_PGM_RSRC2:TGID_X_EN: 1
; COMPUTE_PGM_RSRC2:TGID_Y_EN: 0
; COMPUTE_PGM_RSRC2:TGID_Z_EN: 0
; COMPUTE_PGM_RSRC2:TIDIG_COMP_CNT: 0
	.section	.text._ZN2at6native12_GLOBAL__N_125multi_tensor_apply_kernelINS1_18TensorListMetadataILi2EEENS1_14UnaryOpFunctorIN3c108BFloat16ELi2ELi1ELi1EEEJNS0_4AtanIfEEEEEvT_T0_DpT1_,"axG",@progbits,_ZN2at6native12_GLOBAL__N_125multi_tensor_apply_kernelINS1_18TensorListMetadataILi2EEENS1_14UnaryOpFunctorIN3c108BFloat16ELi2ELi1ELi1EEEJNS0_4AtanIfEEEEEvT_T0_DpT1_,comdat
	.globl	_ZN2at6native12_GLOBAL__N_125multi_tensor_apply_kernelINS1_18TensorListMetadataILi2EEENS1_14UnaryOpFunctorIN3c108BFloat16ELi2ELi1ELi1EEEJNS0_4AtanIfEEEEEvT_T0_DpT1_ ; -- Begin function _ZN2at6native12_GLOBAL__N_125multi_tensor_apply_kernelINS1_18TensorListMetadataILi2EEENS1_14UnaryOpFunctorIN3c108BFloat16ELi2ELi1ELi1EEEJNS0_4AtanIfEEEEEvT_T0_DpT1_
	.p2align	8
	.type	_ZN2at6native12_GLOBAL__N_125multi_tensor_apply_kernelINS1_18TensorListMetadataILi2EEENS1_14UnaryOpFunctorIN3c108BFloat16ELi2ELi1ELi1EEEJNS0_4AtanIfEEEEEvT_T0_DpT1_,@function
_ZN2at6native12_GLOBAL__N_125multi_tensor_apply_kernelINS1_18TensorListMetadataILi2EEENS1_14UnaryOpFunctorIN3c108BFloat16ELi2ELi1ELi1EEEJNS0_4AtanIfEEEEEvT_T0_DpT1_: ; @_ZN2at6native12_GLOBAL__N_125multi_tensor_apply_kernelINS1_18TensorListMetadataILi2EEENS1_14UnaryOpFunctorIN3c108BFloat16ELi2ELi1ELi1EEEJNS0_4AtanIfEEEEEvT_T0_DpT1_
; %bb.0:
	s_bfe_u32 s2, ttmp6, 0x4000c
	s_and_b32 s3, ttmp6, 15
	s_add_co_i32 s2, s2, 1
	s_getreg_b32 s4, hwreg(HW_REG_IB_STS2, 6, 4)
	s_mul_i32 s2, ttmp9, s2
	s_delay_alu instid0(SALU_CYCLE_1)
	s_add_co_i32 s3, s3, s2
	s_cmp_eq_u32 s4, 0
	s_cselect_b32 s2, ttmp9, s3
	s_mov_b32 s3, 0
	s_load_u8 s13, s[0:1], s2 offset:0x600
	s_add_nc_u64 s[4:5], s[0:1], s[2:3]
	s_mul_u64 s[6:7], s[2:3], 3
	s_delay_alu instid0(SALU_CYCLE_1)
	s_add_nc_u64 s[4:5], s[4:5], s[6:7]
	s_load_b32 s12, s[4:5], 0x740
	s_wait_kmcnt 0x0
	s_clause 0x2
	s_load_b64 s[8:9], s[0:1], s13 offset:0x0 scale_offset
	s_load_b64 s[10:11], s[0:1], s13 offset:0x200 scale_offset
	;; [unrolled: 1-line block ×3, first 2 shown]
	s_mov_b32 s5, s3
	s_wait_xcnt 0x0
	s_ashr_i32 s13, s12, 31
	s_delay_alu instid0(SALU_CYCLE_1)
	s_lshl_b64 s[6:7], s[12:13], 17
	s_wait_kmcnt 0x0
	s_and_b64 s[18:19], s[10:11], 7
	s_add_nc_u64 s[16:17], s[8:9], s[6:7]
	s_and_b32 s4, s14, 3
	s_and_b32 s2, s16, 7
	s_or_b64 s[4:5], s[18:19], s[4:5]
	s_lshl_b64 s[12:13], s[12:13], 16
	s_or_b64 s[2:3], s[4:5], s[2:3]
	s_sub_nc_u64 s[12:13], s[14:15], s[12:13]
	s_cmp_eq_u64 s[2:3], 0
	s_mov_b32 s2, -1
	s_cbranch_scc0 .LBB70_5
; %bb.1:
	v_min_i64 v[2:3], 0x10000, s[12:13]
	v_dual_mov_b32 v5, 0 :: v_dual_lshlrev_b32 v4, 2, v0
	s_mov_b32 s5, exec_lo
	s_delay_alu instid0(VALU_DEP_1)
	v_cmpx_lt_i64_e64 v[4:5], v[2:3]
	s_cbranch_execz .LBB70_4
; %bb.2:
	s_load_b32 s2, s[0:1], 0xc5c
	v_dual_mov_b32 v1, v5 :: v_dual_lshlrev_b32 v4, 3, v0
	s_mov_b32 s15, 0
	s_mov_b32 s16, 0xbc7a590c
	;; [unrolled: 1-line block ×3, first 2 shown]
	s_delay_alu instid0(VALU_DEP_1)
	v_mov_b64_e32 v[6:7], v[0:1]
	v_add_nc_u64_e32 v[4:5], s[6:7], v[4:5]
	s_mov_b32 s20, 0x3d29fb3f
	s_mov_b32 s22, 0xbd97d4d7
	;; [unrolled: 1-line block ×8, first 2 shown]
	s_wait_kmcnt 0x0
	s_and_b32 s14, s2, 0xffff
	s_delay_alu instid0(SALU_CYCLE_1)
	s_lshl_b32 s34, s14, 3
.LBB70_3:                               ; =>This Inner Loop Header: Depth=1
	v_add_nc_u64_e32 v[8:9], s[8:9], v[4:5]
	v_add_nc_u64_e32 v[6:7], s[14:15], v[6:7]
	global_load_b64 v[8:9], v[8:9], off
	v_lshlrev_b64_e32 v[10:11], 2, v[6:7]
	s_wait_loadcnt 0x0
	v_alignbit_b32 v1, v9, v8, 16
	v_and_b32_e32 v24, 0xffff0000, v9
	v_lshlrev_b32_e32 v22, 16, v8
	v_and_b32_e32 v23, 0xffff0000, v8
	s_delay_alu instid0(VALU_DEP_4) | instskip(NEXT) | instid1(VALU_DEP_4)
	v_and_b32_e32 v1, 0xffff0000, v1
	v_rcp_f32_e64 v12, |v24|
	v_cmp_gt_f32_e64 vcc_lo, |v24|, 1.0
	s_wait_xcnt 0x0
	v_rcp_f32_e64 v8, |v22|
	v_rcp_f32_e64 v9, |v23|
	;; [unrolled: 1-line block ×3, first 2 shown]
	v_cmp_gt_f32_e64 s4, |v1|, 1.0
	v_cmp_gt_f32_e64 s2, |v22|, 1.0
	v_cndmask_b32_e64 v13, |v24|, v12, vcc_lo
	v_cmp_gt_f32_e64 s3, |v23|, 1.0
	s_delay_alu instid0(VALU_DEP_3) | instskip(NEXT) | instid1(TRANS32_DEP_1)
	v_cndmask_b32_e64 v8, |v22|, v8, s2
	v_cndmask_b32_e64 v12, |v1|, v14, s4
	s_delay_alu instid0(VALU_DEP_3) | instskip(NEXT) | instid1(VALU_DEP_2)
	v_cndmask_b32_e64 v9, |v23|, v9, s3
	v_pk_mul_f32 v[16:17], v[12:13], v[12:13]
	s_delay_alu instid0(VALU_DEP_2) | instskip(NEXT) | instid1(VALU_DEP_2)
	v_pk_mul_f32 v[14:15], v[8:9], v[8:9]
	v_pk_fma_f32 v[20:21], v[16:17], s[18:19], s[16:17] op_sel_hi:[1,0,0]
	s_delay_alu instid0(VALU_DEP_2) | instskip(NEXT) | instid1(VALU_DEP_2)
	v_pk_fma_f32 v[18:19], v[14:15], s[18:19], s[16:17] op_sel_hi:[1,0,0]
	v_pk_fma_f32 v[20:21], v[16:17], v[20:21], s[20:21] op_sel_hi:[1,1,0]
	s_delay_alu instid0(VALU_DEP_2) | instskip(NEXT) | instid1(VALU_DEP_2)
	v_pk_fma_f32 v[18:19], v[14:15], v[18:19], s[20:21] op_sel_hi:[1,1,0]
	;; [unrolled: 3-line block ×7, first 2 shown]
	v_pk_mul_f32 v[16:17], v[16:17], v[20:21]
	s_delay_alu instid0(VALU_DEP_2) | instskip(NEXT) | instid1(VALU_DEP_2)
	v_pk_mul_f32 v[14:15], v[14:15], v[18:19]
	v_pk_fma_f32 v[12:13], v[12:13], v[16:17], v[12:13]
	s_delay_alu instid0(VALU_DEP_2) | instskip(NEXT) | instid1(VALU_DEP_2)
	v_pk_fma_f32 v[8:9], v[8:9], v[14:15], v[8:9]
	v_sub_f32_e32 v16, 0x3fc90fdb, v12
	s_delay_alu instid0(VALU_DEP_2) | instskip(NEXT) | instid1(VALU_DEP_2)
	v_sub_f32_e32 v15, 0x3fc90fdb, v8
	v_cndmask_b32_e64 v12, v12, v16, s4
	s_delay_alu instid0(VALU_DEP_2) | instskip(NEXT) | instid1(VALU_DEP_2)
	v_cndmask_b32_e64 v8, v8, v15, s2
	v_bfi_b32 v1, 0x7fffffff, v12, v1
	s_delay_alu instid0(VALU_DEP_2) | instskip(NEXT) | instid1(VALU_DEP_2)
	v_bfi_b32 v8, 0x7fffffff, v8, v22
	v_lshrrev_b32_e32 v15, 16, v1
	s_delay_alu instid0(VALU_DEP_1) | instskip(NEXT) | instid1(VALU_DEP_1)
	v_and_b32_e32 v15, 1, v15
	v_add3_u32 v15, v1, v15, 0x7fff
	s_delay_alu instid0(VALU_DEP_1) | instskip(NEXT) | instid1(VALU_DEP_1)
	v_dual_sub_f32 v14, 0x3fc90fdb, v9 :: v_dual_lshrrev_b32 v15, 16, v15
	v_cndmask_b32_e64 v9, v9, v14, s3
	v_sub_f32_e32 v14, 0x3fc90fdb, v13
	s_delay_alu instid0(VALU_DEP_1) | instskip(NEXT) | instid1(VALU_DEP_3)
	v_dual_cndmask_b32 v13, v13, v14 :: v_dual_lshrrev_b32 v14, 16, v8
	v_bfi_b32 v9, 0x7fffffff, v9, v23
	v_cmp_o_f32_e32 vcc_lo, v8, v8
	s_delay_alu instid0(VALU_DEP_3) | instskip(NEXT) | instid1(VALU_DEP_3)
	v_bfi_b32 v13, 0x7fffffff, v13, v24
	v_dual_lshrrev_b32 v12, 16, v9 :: v_dual_bitop2_b32 v14, 1, v14 bitop3:0x40
	v_cmp_o_f32_e64 s2, v9, v9
	s_delay_alu instid0(VALU_DEP_3) | instskip(NEXT) | instid1(VALU_DEP_3)
	v_lshrrev_b32_e32 v16, 16, v13
	v_add3_u32 v14, v8, v14, 0x7fff
	s_delay_alu instid0(VALU_DEP_4) | instskip(NEXT) | instid1(VALU_DEP_2)
	v_and_b32_e32 v12, 1, v12
	v_dual_lshrrev_b32 v14, 16, v14 :: v_dual_bitop2_b32 v16, 1, v16 bitop3:0x40
	s_delay_alu instid0(VALU_DEP_2) | instskip(SKIP_1) | instid1(VALU_DEP_3)
	v_add3_u32 v12, v9, v12, 0x7fff
	v_and_b32_e32 v9, 0xffff, v15
	v_add3_u32 v16, v13, v16, 0x7fff
	s_delay_alu instid0(VALU_DEP_4) | instskip(SKIP_2) | instid1(VALU_DEP_4)
	v_cndmask_b32_e32 v14, 0x7fc0, v14, vcc_lo
	v_cmp_o_f32_e32 vcc_lo, v13, v13
	v_and_b32_e32 v12, 0xffff0000, v12
	v_and_b32_e32 v8, 0xffff0000, v16
	s_delay_alu instid0(VALU_DEP_2) | instskip(NEXT) | instid1(VALU_DEP_2)
	v_cndmask_b32_e64 v12, 0x7fc00000, v12, s2
	v_cndmask_b32_e32 v13, 0x7fc00000, v8, vcc_lo
	v_cmp_o_f32_e32 vcc_lo, v1, v1
	v_cndmask_b32_e32 v1, 0x7fc0, v9, vcc_lo
	v_cmp_ge_i64_e32 vcc_lo, v[10:11], v[2:3]
	v_add_nc_u64_e32 v[8:9], s[10:11], v[4:5]
	v_add_nc_u64_e32 v[4:5], s[34:35], v[4:5]
	v_or3_b32 v10, v14, 0, v12
	v_or3_b32 v11, 0, v1, v13
	s_or_b32 s17, vcc_lo, s17
	global_store_b64 v[8:9], v[10:11], off
	s_wait_xcnt 0x0
	s_and_not1_b32 exec_lo, exec_lo, s17
	s_cbranch_execnz .LBB70_3
.LBB70_4:
	s_or_b32 exec_lo, exec_lo, s5
	s_mov_b32 s2, 0
.LBB70_5:
	s_delay_alu instid0(SALU_CYCLE_1)
	s_and_not1_b32 vcc_lo, exec_lo, s2
	s_cbranch_vccnz .LBB70_25
; %bb.6:
	v_cmp_lt_i64_e64 s2, s[12:13], 1
	s_and_b32 vcc_lo, exec_lo, s2
	s_cbranch_vccnz .LBB70_25
; %bb.7:
	s_load_b32 s0, s[0:1], 0xc5c
	v_min_i64 v[2:3], 0x10000, s[12:13]
	v_min_u64 v[4:5], 0x10000, s[12:13]
	v_dual_mov_b32 v1, 0 :: v_dual_lshlrev_b32 v12, 1, v0
	s_wait_xcnt 0x0
	s_mov_b32 s1, 0
	s_mov_b64 s[4:5], 0
	s_mov_b32 s19, s1
	v_dual_mov_b32 v13, v1 :: v_dual_mov_b32 v27, v1
	s_mov_b32 s3, s1
	s_mov_b32 s23, s1
	;; [unrolled: 1-line block ×3, first 2 shown]
	s_delay_alu instid0(VALU_DEP_1)
	v_add_nc_u64_e32 v[6:7], s[8:9], v[12:13]
	v_add_nc_u64_e32 v[8:9], s[10:11], v[12:13]
	s_mov_b32 s14, 0x3fc90fdb
	s_mov_b32 s16, 0xbc7a590c
	s_mov_b32 s21, s1
	s_mov_b32 s24, 0xbe1160e6
	s_mov_b32 s26, 0x3e4cb8bf
	s_wait_kmcnt 0x0
	s_and_b32 s0, s0, 0xffff
	s_mov_b32 s28, 0xbeaaaa62
	v_add_nc_u64_e32 v[10:11], s[0:1], v[0:1]
	v_mad_nc_u64_u32 v[22:23], s0, 6, v[12:13]
	s_lshl_b32 s18, s0, 2
	s_lshl_b32 s2, s0, 1
	v_add_nc_u64_e32 v[18:19], s[18:19], v[12:13]
	s_mul_i32 s22, s0, 3
	v_add_nc_u64_e32 v[14:15], s[2:3], v[0:1]
	v_lshlrev_b32_e32 v26, 1, v10
	v_add_nc_u64_e32 v[12:13], s[22:23], v[0:1]
	s_lshl_b32 s20, s0, 3
	s_mov_b32 s22, 0x3dd931b2
	v_add_nc_u64_e32 v[16:17], s[8:9], v[18:19]
	v_add_nc_u64_e32 v[18:19], s[10:11], v[18:19]
	;; [unrolled: 1-line block ×6, first 2 shown]
	s_mov_b32 s8, 0x3d29fb3f
	s_mov_b32 s10, 0xbd97d4d7
	s_branch .LBB70_9
.LBB70_8:                               ;   in Loop: Header=BB70_9 Depth=1
	s_wait_xcnt 0x0
	s_or_b32 exec_lo, exec_lo, s2
	s_add_nc_u64 s[4:5], s[4:5], s[18:19]
	v_add_nc_u64_e32 v[6:7], s[20:21], v[6:7]
	v_cmp_ge_i64_e32 vcc_lo, s[4:5], v[2:3]
	v_add_nc_u64_e32 v[8:9], s[20:21], v[8:9]
	v_add_nc_u64_e32 v[20:21], s[20:21], v[20:21]
	;; [unrolled: 1-line block ×7, first 2 shown]
	s_cbranch_vccnz .LBB70_25
.LBB70_9:                               ; =>This Inner Loop Header: Depth=1
	v_add_nc_u64_e32 v[28:29], s[4:5], v[0:1]
	v_mov_b32_e32 v31, 0
	s_delay_alu instid0(VALU_DEP_2)
	v_cmp_lt_u64_e64 s2, v[28:29], v[4:5]
	s_and_saveexec_b32 s0, s2
	s_cbranch_execz .LBB70_11
; %bb.10:                               ;   in Loop: Header=BB70_9 Depth=1
	v_add_nc_u64_e32 v[28:29], s[6:7], v[6:7]
	global_load_u16 v28, v[28:29], off
	s_wait_loadcnt 0x0
	v_lshlrev_b32_e32 v31, 16, v28
.LBB70_11:                              ;   in Loop: Header=BB70_9 Depth=1
	s_wait_xcnt 0x0
	s_or_b32 exec_lo, exec_lo, s0
	v_add_nc_u64_e32 v[28:29], s[4:5], v[10:11]
	v_mov_b32_e32 v30, 0
	s_delay_alu instid0(VALU_DEP_2)
	v_cmp_lt_u64_e64 s1, v[28:29], v[4:5]
	v_mov_b32_e32 v28, 0
	s_and_saveexec_b32 s0, s1
	s_cbranch_execz .LBB70_13
; %bb.12:                               ;   in Loop: Header=BB70_9 Depth=1
	v_add_nc_u64_e32 v[32:33], s[6:7], v[24:25]
	global_load_u16 v29, v[32:33], off
	s_wait_loadcnt 0x0
	v_lshlrev_b32_e32 v30, 16, v29
.LBB70_13:                              ;   in Loop: Header=BB70_9 Depth=1
	s_wait_xcnt 0x0
	s_or_b32 exec_lo, exec_lo, s0
	v_add_nc_u64_e32 v[32:33], s[4:5], v[14:15]
	s_delay_alu instid0(VALU_DEP_1)
	v_cmp_lt_u64_e32 vcc_lo, v[32:33], v[4:5]
	s_and_saveexec_b32 s0, vcc_lo
	s_cbranch_execz .LBB70_15
; %bb.14:                               ;   in Loop: Header=BB70_9 Depth=1
	v_add_nc_u64_e32 v[28:29], s[6:7], v[16:17]
	global_load_u16 v28, v[28:29], off
	s_wait_loadcnt 0x0
	v_lshlrev_b32_e32 v28, 16, v28
.LBB70_15:                              ;   in Loop: Header=BB70_9 Depth=1
	s_or_b32 exec_lo, exec_lo, s0
	v_add_nc_u64_e32 v[32:33], s[4:5], v[12:13]
	v_mov_b32_e32 v29, 0
	s_delay_alu instid0(VALU_DEP_2)
	v_cmp_lt_u64_e64 s0, v[32:33], v[4:5]
	s_and_saveexec_b32 s3, s0
	s_cbranch_execnz .LBB70_23
; %bb.16:                               ;   in Loop: Header=BB70_9 Depth=1
	s_or_b32 exec_lo, exec_lo, s3
	s_and_saveexec_b32 s3, s2
	s_cbranch_execnz .LBB70_24
.LBB70_17:                              ;   in Loop: Header=BB70_9 Depth=1
	s_or_b32 exec_lo, exec_lo, s3
	s_and_saveexec_b32 s2, s1
	s_cbranch_execz .LBB70_19
.LBB70_18:                              ;   in Loop: Header=BB70_9 Depth=1
	v_rcp_f32_e64 v31, |v30|
	v_cmp_gt_f32_e64 s1, |v30|, 1.0
	s_delay_alu instid0(TRANS32_DEP_1) | instid1(VALU_DEP_1)
	v_cndmask_b32_e64 v31, |v30|, v31, s1
	s_delay_alu instid0(VALU_DEP_1) | instskip(NEXT) | instid1(VALU_DEP_1)
	v_mul_f32_e32 v32, v31, v31
	v_fmaak_f32 v33, s12, v32, 0xbc7a590c
	s_delay_alu instid0(VALU_DEP_1) | instskip(NEXT) | instid1(VALU_DEP_1)
	v_fmaak_f32 v33, v32, v33, 0x3d29fb3f
	v_fmaak_f32 v33, v32, v33, 0xbd97d4d7
	s_delay_alu instid0(VALU_DEP_1) | instskip(NEXT) | instid1(VALU_DEP_1)
	v_fmaak_f32 v33, v32, v33, 0x3dd931b2
	;; [unrolled: 3-line block ×3, first 2 shown]
	v_fmaak_f32 v33, v32, v33, 0xbeaaaa62
	s_delay_alu instid0(VALU_DEP_1) | instskip(NEXT) | instid1(VALU_DEP_1)
	v_mul_f32_e32 v32, v32, v33
	v_fmac_f32_e32 v31, v31, v32
	s_delay_alu instid0(VALU_DEP_1) | instskip(NEXT) | instid1(VALU_DEP_1)
	v_sub_f32_e32 v32, 0x3fc90fdb, v31
	v_cndmask_b32_e64 v31, v31, v32, s1
	s_delay_alu instid0(VALU_DEP_1) | instskip(NEXT) | instid1(VALU_DEP_1)
	v_bfi_b32 v32, 0x7fffffff, v31, v30
	v_bfe_u32 v30, v32, 16, 1
	v_cmp_o_f32_e64 s1, v32, v32
	s_delay_alu instid0(VALU_DEP_2) | instskip(NEXT) | instid1(VALU_DEP_1)
	v_add3_u32 v30, v32, v30, 0x7fff
	v_lshrrev_b32_e32 v33, 16, v30
	v_add_nc_u64_e32 v[30:31], s[6:7], v[26:27]
	s_delay_alu instid0(VALU_DEP_2)
	v_cndmask_b32_e64 v32, 0x7fc0, v33, s1
	global_store_b16 v[30:31], v32, off
.LBB70_19:                              ;   in Loop: Header=BB70_9 Depth=1
	s_wait_xcnt 0x0
	s_or_b32 exec_lo, exec_lo, s2
	v_rcp_f32_e64 v30, |v28|
	v_rcp_f32_e64 v32, |v29|
	v_cmp_gt_f32_e64 s1, |v28|, 1.0
	v_cmp_gt_f32_e64 s2, |v29|, 1.0
	s_delay_alu instid0(TRANS32_DEP_2) | instid1(VALU_DEP_2)
	v_cndmask_b32_e64 v31, |v28|, v30, s1
	s_delay_alu instid0(TRANS32_DEP_1) | instid1(VALU_DEP_2)
	v_cndmask_b32_e64 v30, |v29|, v32, s2
	s_delay_alu instid0(VALU_DEP_1) | instskip(NEXT) | instid1(VALU_DEP_1)
	v_pk_mul_f32 v[32:33], v[30:31], v[30:31]
	v_pk_fma_f32 v[34:35], v[32:33], s[12:13], s[16:17] op_sel_hi:[1,0,0]
	s_delay_alu instid0(VALU_DEP_1) | instskip(NEXT) | instid1(VALU_DEP_1)
	v_pk_fma_f32 v[34:35], v[32:33], v[34:35], s[8:9] op_sel_hi:[1,1,0]
	v_pk_fma_f32 v[34:35], v[32:33], v[34:35], s[10:11] op_sel_hi:[1,1,0]
	s_delay_alu instid0(VALU_DEP_1) | instskip(NEXT) | instid1(VALU_DEP_1)
	v_pk_fma_f32 v[34:35], v[32:33], v[34:35], s[22:23] op_sel_hi:[1,1,0]
	;; [unrolled: 3-line block ×3, first 2 shown]
	v_pk_fma_f32 v[34:35], v[32:33], v[34:35], s[28:29] op_sel_hi:[1,1,0]
	s_delay_alu instid0(VALU_DEP_1) | instskip(NEXT) | instid1(VALU_DEP_1)
	v_pk_mul_f32 v[32:33], v[32:33], v[34:35]
	v_pk_fma_f32 v[30:31], v[30:31], v[32:33], v[30:31]
	s_delay_alu instid0(VALU_DEP_1) | instskip(NEXT) | instid1(VALU_DEP_1)
	v_pk_add_f32 v[32:33], v[30:31], s[14:15] op_sel_hi:[1,0] neg_lo:[1,0] neg_hi:[1,0]
	v_dual_cndmask_b32 v31, v31, v33, s1 :: v_dual_cndmask_b32 v32, v30, v32, s2
	s_delay_alu instid0(VALU_DEP_1) | instskip(NEXT) | instid1(VALU_DEP_2)
	v_bfi_b32 v30, 0x7fffffff, v31, v28
	v_bfi_b32 v28, 0x7fffffff, v32, v29
	s_delay_alu instid0(VALU_DEP_2) | instskip(NEXT) | instid1(VALU_DEP_2)
	v_cmp_u_f32_e64 s2, v30, v30
	v_cmp_u_f32_e64 s1, v28, v28
	s_and_saveexec_b32 s3, vcc_lo
	s_cbranch_execz .LBB70_21
; %bb.20:                               ;   in Loop: Header=BB70_9 Depth=1
	v_bfe_u32 v29, v30, 16, 1
	s_delay_alu instid0(VALU_DEP_1) | instskip(SKIP_1) | instid1(VALU_DEP_2)
	v_add3_u32 v29, v30, v29, 0x7fff
	v_add_nc_u64_e32 v[30:31], s[6:7], v[18:19]
	v_lshrrev_b32_e32 v29, 16, v29
	s_delay_alu instid0(VALU_DEP_1)
	v_cndmask_b32_e64 v29, v29, 0x7fc0, s2
	global_store_b16 v[30:31], v29, off
.LBB70_21:                              ;   in Loop: Header=BB70_9 Depth=1
	s_wait_xcnt 0x0
	s_or_b32 exec_lo, exec_lo, s3
	s_and_saveexec_b32 s2, s0
	s_cbranch_execz .LBB70_8
; %bb.22:                               ;   in Loop: Header=BB70_9 Depth=1
	v_bfe_u32 v29, v28, 16, 1
	s_delay_alu instid0(VALU_DEP_1) | instskip(NEXT) | instid1(VALU_DEP_1)
	v_add3_u32 v28, v28, v29, 0x7fff
	v_lshrrev_b32_e32 v30, 16, v28
	v_add_nc_u64_e32 v[28:29], s[6:7], v[22:23]
	s_delay_alu instid0(VALU_DEP_2)
	v_cndmask_b32_e64 v30, v30, 0x7fc0, s1
	global_store_b16 v[28:29], v30, off
	s_branch .LBB70_8
.LBB70_23:                              ;   in Loop: Header=BB70_9 Depth=1
	v_add_nc_u64_e32 v[32:33], s[6:7], v[20:21]
	global_load_u16 v29, v[32:33], off
	s_wait_loadcnt 0x0
	v_lshlrev_b32_e32 v29, 16, v29
	s_wait_xcnt 0x0
	s_or_b32 exec_lo, exec_lo, s3
	s_and_saveexec_b32 s3, s2
	s_cbranch_execz .LBB70_17
.LBB70_24:                              ;   in Loop: Header=BB70_9 Depth=1
	v_rcp_f32_e64 v32, |v31|
	v_cmp_gt_f32_e64 s2, |v31|, 1.0
	s_delay_alu instid0(TRANS32_DEP_1) | instid1(VALU_DEP_1)
	v_cndmask_b32_e64 v32, |v31|, v32, s2
	s_delay_alu instid0(VALU_DEP_1) | instskip(NEXT) | instid1(VALU_DEP_1)
	v_mul_f32_e32 v33, v32, v32
	v_fmaak_f32 v34, s12, v33, 0xbc7a590c
	s_delay_alu instid0(VALU_DEP_1) | instskip(NEXT) | instid1(VALU_DEP_1)
	v_fmaak_f32 v34, v33, v34, 0x3d29fb3f
	v_fmaak_f32 v34, v33, v34, 0xbd97d4d7
	s_delay_alu instid0(VALU_DEP_1) | instskip(NEXT) | instid1(VALU_DEP_1)
	v_fmaak_f32 v34, v33, v34, 0x3dd931b2
	v_fmaak_f32 v34, v33, v34, 0xbe1160e6
	s_delay_alu instid0(VALU_DEP_1) | instskip(NEXT) | instid1(VALU_DEP_1)
	v_fmaak_f32 v34, v33, v34, 0x3e4cb8bf
	v_fmaak_f32 v34, v33, v34, 0xbeaaaa62
	s_delay_alu instid0(VALU_DEP_1) | instskip(NEXT) | instid1(VALU_DEP_1)
	v_mul_f32_e32 v33, v33, v34
	v_fmac_f32_e32 v32, v32, v33
	s_delay_alu instid0(VALU_DEP_1) | instskip(NEXT) | instid1(VALU_DEP_1)
	v_sub_f32_e32 v33, 0x3fc90fdb, v32
	v_cndmask_b32_e64 v32, v32, v33, s2
	s_delay_alu instid0(VALU_DEP_1) | instskip(NEXT) | instid1(VALU_DEP_1)
	v_bfi_b32 v31, 0x7fffffff, v32, v31
	v_bfe_u32 v32, v31, 16, 1
	v_cmp_o_f32_e64 s2, v31, v31
	s_delay_alu instid0(VALU_DEP_2) | instskip(NEXT) | instid1(VALU_DEP_1)
	v_add3_u32 v32, v31, v32, 0x7fff
	v_lshrrev_b32_e32 v34, 16, v32
	v_add_nc_u64_e32 v[32:33], s[6:7], v[8:9]
	s_delay_alu instid0(VALU_DEP_2)
	v_cndmask_b32_e64 v31, 0x7fc0, v34, s2
	global_store_b16 v[32:33], v31, off
	s_wait_xcnt 0x0
	s_or_b32 exec_lo, exec_lo, s3
	s_and_saveexec_b32 s2, s1
	s_cbranch_execnz .LBB70_18
	s_branch .LBB70_19
.LBB70_25:
	s_endpgm
	.section	.rodata,"a",@progbits
	.p2align	6, 0x0
	.amdhsa_kernel _ZN2at6native12_GLOBAL__N_125multi_tensor_apply_kernelINS1_18TensorListMetadataILi2EEENS1_14UnaryOpFunctorIN3c108BFloat16ELi2ELi1ELi1EEEJNS0_4AtanIfEEEEEvT_T0_DpT1_
		.amdhsa_group_segment_fixed_size 0
		.amdhsa_private_segment_fixed_size 0
		.amdhsa_kernarg_size 3408
		.amdhsa_user_sgpr_count 2
		.amdhsa_user_sgpr_dispatch_ptr 0
		.amdhsa_user_sgpr_queue_ptr 0
		.amdhsa_user_sgpr_kernarg_segment_ptr 1
		.amdhsa_user_sgpr_dispatch_id 0
		.amdhsa_user_sgpr_kernarg_preload_length 0
		.amdhsa_user_sgpr_kernarg_preload_offset 0
		.amdhsa_user_sgpr_private_segment_size 0
		.amdhsa_wavefront_size32 1
		.amdhsa_uses_dynamic_stack 0
		.amdhsa_enable_private_segment 0
		.amdhsa_system_sgpr_workgroup_id_x 1
		.amdhsa_system_sgpr_workgroup_id_y 0
		.amdhsa_system_sgpr_workgroup_id_z 0
		.amdhsa_system_sgpr_workgroup_info 0
		.amdhsa_system_vgpr_workitem_id 0
		.amdhsa_next_free_vgpr 36
		.amdhsa_next_free_sgpr 36
		.amdhsa_named_barrier_count 0
		.amdhsa_reserve_vcc 1
		.amdhsa_float_round_mode_32 0
		.amdhsa_float_round_mode_16_64 0
		.amdhsa_float_denorm_mode_32 3
		.amdhsa_float_denorm_mode_16_64 3
		.amdhsa_fp16_overflow 0
		.amdhsa_memory_ordered 1
		.amdhsa_forward_progress 1
		.amdhsa_inst_pref_size 20
		.amdhsa_round_robin_scheduling 0
		.amdhsa_exception_fp_ieee_invalid_op 0
		.amdhsa_exception_fp_denorm_src 0
		.amdhsa_exception_fp_ieee_div_zero 0
		.amdhsa_exception_fp_ieee_overflow 0
		.amdhsa_exception_fp_ieee_underflow 0
		.amdhsa_exception_fp_ieee_inexact 0
		.amdhsa_exception_int_div_zero 0
	.end_amdhsa_kernel
	.section	.text._ZN2at6native12_GLOBAL__N_125multi_tensor_apply_kernelINS1_18TensorListMetadataILi2EEENS1_14UnaryOpFunctorIN3c108BFloat16ELi2ELi1ELi1EEEJNS0_4AtanIfEEEEEvT_T0_DpT1_,"axG",@progbits,_ZN2at6native12_GLOBAL__N_125multi_tensor_apply_kernelINS1_18TensorListMetadataILi2EEENS1_14UnaryOpFunctorIN3c108BFloat16ELi2ELi1ELi1EEEJNS0_4AtanIfEEEEEvT_T0_DpT1_,comdat
.Lfunc_end70:
	.size	_ZN2at6native12_GLOBAL__N_125multi_tensor_apply_kernelINS1_18TensorListMetadataILi2EEENS1_14UnaryOpFunctorIN3c108BFloat16ELi2ELi1ELi1EEEJNS0_4AtanIfEEEEEvT_T0_DpT1_, .Lfunc_end70-_ZN2at6native12_GLOBAL__N_125multi_tensor_apply_kernelINS1_18TensorListMetadataILi2EEENS1_14UnaryOpFunctorIN3c108BFloat16ELi2ELi1ELi1EEEJNS0_4AtanIfEEEEEvT_T0_DpT1_
                                        ; -- End function
	.set _ZN2at6native12_GLOBAL__N_125multi_tensor_apply_kernelINS1_18TensorListMetadataILi2EEENS1_14UnaryOpFunctorIN3c108BFloat16ELi2ELi1ELi1EEEJNS0_4AtanIfEEEEEvT_T0_DpT1_.num_vgpr, 36
	.set _ZN2at6native12_GLOBAL__N_125multi_tensor_apply_kernelINS1_18TensorListMetadataILi2EEENS1_14UnaryOpFunctorIN3c108BFloat16ELi2ELi1ELi1EEEJNS0_4AtanIfEEEEEvT_T0_DpT1_.num_agpr, 0
	.set _ZN2at6native12_GLOBAL__N_125multi_tensor_apply_kernelINS1_18TensorListMetadataILi2EEENS1_14UnaryOpFunctorIN3c108BFloat16ELi2ELi1ELi1EEEJNS0_4AtanIfEEEEEvT_T0_DpT1_.numbered_sgpr, 36
	.set _ZN2at6native12_GLOBAL__N_125multi_tensor_apply_kernelINS1_18TensorListMetadataILi2EEENS1_14UnaryOpFunctorIN3c108BFloat16ELi2ELi1ELi1EEEJNS0_4AtanIfEEEEEvT_T0_DpT1_.num_named_barrier, 0
	.set _ZN2at6native12_GLOBAL__N_125multi_tensor_apply_kernelINS1_18TensorListMetadataILi2EEENS1_14UnaryOpFunctorIN3c108BFloat16ELi2ELi1ELi1EEEJNS0_4AtanIfEEEEEvT_T0_DpT1_.private_seg_size, 0
	.set _ZN2at6native12_GLOBAL__N_125multi_tensor_apply_kernelINS1_18TensorListMetadataILi2EEENS1_14UnaryOpFunctorIN3c108BFloat16ELi2ELi1ELi1EEEJNS0_4AtanIfEEEEEvT_T0_DpT1_.uses_vcc, 1
	.set _ZN2at6native12_GLOBAL__N_125multi_tensor_apply_kernelINS1_18TensorListMetadataILi2EEENS1_14UnaryOpFunctorIN3c108BFloat16ELi2ELi1ELi1EEEJNS0_4AtanIfEEEEEvT_T0_DpT1_.uses_flat_scratch, 0
	.set _ZN2at6native12_GLOBAL__N_125multi_tensor_apply_kernelINS1_18TensorListMetadataILi2EEENS1_14UnaryOpFunctorIN3c108BFloat16ELi2ELi1ELi1EEEJNS0_4AtanIfEEEEEvT_T0_DpT1_.has_dyn_sized_stack, 0
	.set _ZN2at6native12_GLOBAL__N_125multi_tensor_apply_kernelINS1_18TensorListMetadataILi2EEENS1_14UnaryOpFunctorIN3c108BFloat16ELi2ELi1ELi1EEEJNS0_4AtanIfEEEEEvT_T0_DpT1_.has_recursion, 0
	.set _ZN2at6native12_GLOBAL__N_125multi_tensor_apply_kernelINS1_18TensorListMetadataILi2EEENS1_14UnaryOpFunctorIN3c108BFloat16ELi2ELi1ELi1EEEJNS0_4AtanIfEEEEEvT_T0_DpT1_.has_indirect_call, 0
	.section	.AMDGPU.csdata,"",@progbits
; Kernel info:
; codeLenInByte = 2552
; TotalNumSgprs: 38
; NumVgprs: 36
; ScratchSize: 0
; MemoryBound: 0
; FloatMode: 240
; IeeeMode: 1
; LDSByteSize: 0 bytes/workgroup (compile time only)
; SGPRBlocks: 0
; VGPRBlocks: 2
; NumSGPRsForWavesPerEU: 38
; NumVGPRsForWavesPerEU: 36
; NamedBarCnt: 0
; Occupancy: 16
; WaveLimiterHint : 0
; COMPUTE_PGM_RSRC2:SCRATCH_EN: 0
; COMPUTE_PGM_RSRC2:USER_SGPR: 2
; COMPUTE_PGM_RSRC2:TRAP_HANDLER: 0
; COMPUTE_PGM_RSRC2:TGID_X_EN: 1
; COMPUTE_PGM_RSRC2:TGID_Y_EN: 0
; COMPUTE_PGM_RSRC2:TGID_Z_EN: 0
; COMPUTE_PGM_RSRC2:TIDIG_COMP_CNT: 0
	.section	.text._ZN2at6native12_GLOBAL__N_125multi_tensor_apply_kernelINS1_18TensorListMetadataILi1EEENS1_14UnaryOpFunctorIdLi1ELi1ELi0EEEJNS0_4AtanIdEEEEEvT_T0_DpT1_,"axG",@progbits,_ZN2at6native12_GLOBAL__N_125multi_tensor_apply_kernelINS1_18TensorListMetadataILi1EEENS1_14UnaryOpFunctorIdLi1ELi1ELi0EEEJNS0_4AtanIdEEEEEvT_T0_DpT1_,comdat
	.globl	_ZN2at6native12_GLOBAL__N_125multi_tensor_apply_kernelINS1_18TensorListMetadataILi1EEENS1_14UnaryOpFunctorIdLi1ELi1ELi0EEEJNS0_4AtanIdEEEEEvT_T0_DpT1_ ; -- Begin function _ZN2at6native12_GLOBAL__N_125multi_tensor_apply_kernelINS1_18TensorListMetadataILi1EEENS1_14UnaryOpFunctorIdLi1ELi1ELi0EEEJNS0_4AtanIdEEEEEvT_T0_DpT1_
	.p2align	8
	.type	_ZN2at6native12_GLOBAL__N_125multi_tensor_apply_kernelINS1_18TensorListMetadataILi1EEENS1_14UnaryOpFunctorIdLi1ELi1ELi0EEEJNS0_4AtanIdEEEEEvT_T0_DpT1_,@function
_ZN2at6native12_GLOBAL__N_125multi_tensor_apply_kernelINS1_18TensorListMetadataILi1EEENS1_14UnaryOpFunctorIdLi1ELi1ELi0EEEJNS0_4AtanIdEEEEEvT_T0_DpT1_: ; @_ZN2at6native12_GLOBAL__N_125multi_tensor_apply_kernelINS1_18TensorListMetadataILi1EEENS1_14UnaryOpFunctorIdLi1ELi1ELi0EEEJNS0_4AtanIdEEEEEvT_T0_DpT1_
; %bb.0:
	s_bfe_u32 s2, ttmp6, 0x4000c
	s_and_b32 s3, ttmp6, 15
	s_add_co_i32 s2, s2, 1
	s_getreg_b32 s4, hwreg(HW_REG_IB_STS2, 6, 4)
	s_mul_i32 s2, ttmp9, s2
	s_delay_alu instid0(SALU_CYCLE_1)
	s_add_co_i32 s3, s3, s2
	s_cmp_eq_u32 s4, 0
	s_cselect_b32 s2, ttmp9, s3
	s_mov_b32 s3, 0
	s_load_u8 s8, s[0:1], s2 offset:0x6e0
	s_add_nc_u64 s[4:5], s[0:1], s[2:3]
	s_mul_u64 s[6:7], s[2:3], 3
	s_delay_alu instid0(SALU_CYCLE_1)
	s_add_nc_u64 s[4:5], s[4:5], s[6:7]
	s_load_b32 s10, s[4:5], 0x820
	s_wait_kmcnt 0x0
	s_clause 0x1
	s_load_b64 s[6:7], s[0:1], s8 offset:0x0 scale_offset
	s_load_b64 s[12:13], s[0:1], s8 offset:0x370 scale_offset
	s_ashr_i32 s11, s10, 31
	s_wait_kmcnt 0x0
	s_and_b64 s[4:5], s[6:7], 31
	s_and_b32 s2, s12, 3
	s_lshl_b64 s[8:9], s[10:11], 19
	s_or_b64 s[2:3], s[4:5], s[2:3]
	s_lshl_b64 s[4:5], s[10:11], 16
	s_cmp_eq_u64 s[2:3], 0
	s_sub_nc_u64 s[10:11], s[12:13], s[4:5]
	s_cbranch_scc1 .LBB71_21
; %bb.1:
	v_cmp_lt_i64_e64 s2, s[10:11], 1
	s_and_b32 vcc_lo, exec_lo, s2
	s_cbranch_vccnz .LBB71_20
; %bb.2:
	s_load_b32 s4, s[0:1], 0xd3c
	v_min_i64 v[2:3], 0x10000, s[10:11]
	v_min_u64 v[4:5], 0x10000, s[10:11]
	v_dual_mov_b32 v1, 0 :: v_dual_lshlrev_b32 v10, 3, v0
	s_mov_b32 s23, 0
	s_add_nc_u64 s[2:3], s[6:7], s[8:9]
	s_mov_b32 s5, s23
	s_delay_alu instid0(VALU_DEP_1) | instskip(SKIP_3) | instid1(VALU_DEP_2)
	v_dual_mov_b32 v11, v1 :: v_dual_mov_b32 v17, v1
	s_mov_b32 s19, s23
	v_mov_b64_e32 v[6:7], 0xbf23e260bd3237f4
	s_mov_b64 s[12:13], 0x3ffaf154eeb562d6
	v_add_nc_u64_e32 v[10:11], s[2:3], v[10:11]
	s_mov_b32 s15, s23
	s_mov_b32 s17, s23
	s_mov_b64 s[24:25], 0
                                        ; implicit-def: $vgpr18_vgpr19
                                        ; implicit-def: $vgpr18_vgpr19
	;; [unrolled: 1-line block ×18, first 2 shown]
	s_wait_kmcnt 0x0
	s_and_b32 s22, s4, 0xffff
	s_delay_alu instid0(SALU_CYCLE_1)
	v_add_nc_u64_e32 v[8:9], s[22:23], v[0:1]
	s_lshl_b32 s4, s22, 1
	s_mul_i32 s18, s22, 3
	v_add_nc_u64_e32 v[14:15], s[4:5], v[0:1]
	v_add_nc_u64_e32 v[12:13], s[18:19], v[0:1]
	s_lshl_b32 s14, s22, 2
	s_lshl_b32 s16, s22, 5
	v_lshlrev_b32_e32 v16, 3, v8
	s_mov_b64 s[18:19], 0x3fedd9ad336a0500
	s_mul_u64 s[20:21], s[22:23], 24
	s_lshl_b32 s22, s22, 4
	s_delay_alu instid0(VALU_DEP_1)
	v_add_nc_u64_e32 v[16:17], s[2:3], v[16:17]
	s_branch .LBB71_4
.LBB71_3:                               ;   in Loop: Header=BB71_4 Depth=1
	s_wait_xcnt 0x0
	s_or_b32 exec_lo, exec_lo, s3
	s_add_nc_u64 s[24:25], s[24:25], s[14:15]
	v_add_nc_u64_e32 v[10:11], s[16:17], v[10:11]
	v_cmp_lt_i64_e32 vcc_lo, s[24:25], v[2:3]
	v_add_nc_u64_e32 v[16:17], s[16:17], v[16:17]
	s_cbranch_vccz .LBB71_20
.LBB71_4:                               ; =>This Inner Loop Header: Depth=1
	s_wait_loadcnt 0x0
	v_add_nc_u64_e32 v[18:19], s[24:25], v[0:1]
	v_mov_b64_e32 v[26:27], 0
	v_mov_b64_e32 v[28:29], 0
	s_delay_alu instid0(VALU_DEP_3)
	v_cmp_lt_u64_e32 vcc_lo, v[18:19], v[4:5]
	s_and_saveexec_b32 s2, vcc_lo
	s_cbranch_execz .LBB71_6
; %bb.5:                                ;   in Loop: Header=BB71_4 Depth=1
	global_load_b64 v[28:29], v[10:11], off
.LBB71_6:                               ;   in Loop: Header=BB71_4 Depth=1
	s_wait_xcnt 0x0
	s_or_b32 exec_lo, exec_lo, s2
	v_add_nc_u64_e32 v[18:19], s[24:25], v[8:9]
	s_delay_alu instid0(VALU_DEP_1)
	v_cmp_lt_u64_e64 s4, v[18:19], v[4:5]
	s_and_saveexec_b32 s2, s4
	s_cbranch_execz .LBB71_8
; %bb.7:                                ;   in Loop: Header=BB71_4 Depth=1
	global_load_b64 v[26:27], v[16:17], off
.LBB71_8:                               ;   in Loop: Header=BB71_4 Depth=1
	s_wait_xcnt 0x0
	s_or_b32 exec_lo, exec_lo, s2
	v_add_nc_u64_e32 v[20:21], s[24:25], v[14:15]
	v_mov_b64_e32 v[18:19], 0
	v_add_nc_u64_e32 v[22:23], s[22:23], v[10:11]
	v_mov_b64_e32 v[24:25], 0
	s_delay_alu instid0(VALU_DEP_4)
	v_cmp_lt_u64_e64 s3, v[20:21], v[4:5]
	s_and_saveexec_b32 s2, s3
	s_cbranch_execz .LBB71_10
; %bb.9:                                ;   in Loop: Header=BB71_4 Depth=1
	global_load_b64 v[24:25], v[22:23], off
.LBB71_10:                              ;   in Loop: Header=BB71_4 Depth=1
	s_wait_xcnt 0x0
	s_or_b32 exec_lo, exec_lo, s2
	v_add_nc_u64_e32 v[20:21], s[24:25], v[12:13]
	s_delay_alu instid0(VALU_DEP_1)
	v_cmp_lt_u64_e64 s2, v[20:21], v[4:5]
	v_add_nc_u64_e32 v[20:21], s[20:21], v[10:11]
	s_and_saveexec_b32 s5, s2
	s_cbranch_execnz .LBB71_15
; %bb.11:                               ;   in Loop: Header=BB71_4 Depth=1
	s_or_b32 exec_lo, exec_lo, s5
	s_and_saveexec_b32 s5, vcc_lo
	s_cbranch_execnz .LBB71_16
.LBB71_12:                              ;   in Loop: Header=BB71_4 Depth=1
	s_or_b32 exec_lo, exec_lo, s5
	s_and_saveexec_b32 s5, s4
	s_cbranch_execnz .LBB71_17
.LBB71_13:                              ;   in Loop: Header=BB71_4 Depth=1
	s_or_b32 exec_lo, exec_lo, s5
	s_and_saveexec_b32 s4, s3
	s_cbranch_execnz .LBB71_18
.LBB71_14:                              ;   in Loop: Header=BB71_4 Depth=1
	s_or_b32 exec_lo, exec_lo, s4
	s_and_saveexec_b32 s3, s2
	s_cbranch_execz .LBB71_3
	s_branch .LBB71_19
.LBB71_15:                              ;   in Loop: Header=BB71_4 Depth=1
	global_load_b64 v[18:19], v[20:21], off
	s_wait_xcnt 0x0
	s_or_b32 exec_lo, exec_lo, s5
	s_and_saveexec_b32 s5, vcc_lo
	s_cbranch_execz .LBB71_12
.LBB71_16:                              ;   in Loop: Header=BB71_4 Depth=1
	s_wait_loadcnt 0x0
	v_and_b32_e32 v31, 0x7fffffff, v29
	v_mov_b32_e32 v30, v28
	s_delay_alu instid0(VALU_DEP_1) | instskip(SKIP_1) | instid1(VALU_DEP_2)
	v_div_scale_f64 v[32:33], null, v[30:31], v[30:31], 1.0
	v_div_scale_f64 v[38:39], vcc_lo, 1.0, v[30:31], 1.0
	v_rcp_f64_e32 v[34:35], v[32:33]
	v_nop
	s_delay_alu instid0(TRANS32_DEP_1) | instskip(NEXT) | instid1(VALU_DEP_1)
	v_fma_f64 v[36:37], -v[32:33], v[34:35], 1.0
	v_fmac_f64_e32 v[34:35], v[34:35], v[36:37]
	s_delay_alu instid0(VALU_DEP_1) | instskip(NEXT) | instid1(VALU_DEP_1)
	v_fma_f64 v[36:37], -v[32:33], v[34:35], 1.0
	v_fmac_f64_e32 v[34:35], v[34:35], v[36:37]
	s_delay_alu instid0(VALU_DEP_1) | instskip(NEXT) | instid1(VALU_DEP_1)
	v_mul_f64_e32 v[36:37], v[38:39], v[34:35]
	v_fma_f64 v[32:33], -v[32:33], v[36:37], v[38:39]
	s_delay_alu instid0(VALU_DEP_1) | instskip(SKIP_1) | instid1(VALU_DEP_2)
	v_div_fmas_f64 v[32:33], v[32:33], v[34:35], v[36:37]
	v_cmp_gt_f64_e64 vcc_lo, |v[28:29]|, 1.0
	v_div_fixup_f64 v[32:33], v[32:33], |v[28:29]|, 1.0
	s_delay_alu instid0(VALU_DEP_1) | instskip(NEXT) | instid1(VALU_DEP_1)
	v_dual_cndmask_b32 v31, v31, v33 :: v_dual_cndmask_b32 v30, v28, v32
	v_mul_f64_e32 v[32:33], v[30:31], v[30:31]
	s_delay_alu instid0(VALU_DEP_1) | instskip(NEXT) | instid1(VALU_DEP_1)
	v_fmamk_f64 v[34:35], v[32:33], 0x3eeba404b5e68a13, v[6:7]
	v_fmaak_f64 v[34:35], v[32:33], v[34:35], 0x3f4b2bb069efb384
	s_delay_alu instid0(VALU_DEP_1) | instskip(NEXT) | instid1(VALU_DEP_1)
	v_fmaak_f64 v[34:35], v[32:33], v[34:35], 0xbf67952daf56de9b
	v_fmaak_f64 v[34:35], v[32:33], v[34:35], 0x3f7d6d43a595c56f
	s_delay_alu instid0(VALU_DEP_1) | instskip(NEXT) | instid1(VALU_DEP_1)
	v_fmaak_f64 v[34:35], v[32:33], v[34:35], 0xbf8c6ea4a57d9582
	;; [unrolled: 3-line block ×9, first 2 shown]
	v_mul_f64_e32 v[32:33], v[32:33], v[34:35]
	s_delay_alu instid0(VALU_DEP_1) | instskip(NEXT) | instid1(VALU_DEP_1)
	v_fmac_f64_e32 v[30:31], v[30:31], v[32:33]
	v_fma_f64 v[32:33], s[18:19], s[12:13], -v[30:31]
	s_delay_alu instid0(VALU_DEP_1) | instskip(NEXT) | instid1(VALU_DEP_1)
	v_dual_cndmask_b32 v31, v31, v33 :: v_dual_cndmask_b32 v28, v30, v32
	v_bfi_b32 v29, 0x7fffffff, v31, v29
	global_store_b64 v[10:11], v[28:29], off
	s_wait_xcnt 0x0
	s_or_b32 exec_lo, exec_lo, s5
	s_and_saveexec_b32 s5, s4
	s_cbranch_execz .LBB71_13
.LBB71_17:                              ;   in Loop: Header=BB71_4 Depth=1
	s_wait_loadcnt 0x0
	v_and_b32_e32 v29, 0x7fffffff, v27
	v_mov_b32_e32 v28, v26
	s_delay_alu instid0(VALU_DEP_1) | instskip(SKIP_1) | instid1(VALU_DEP_2)
	v_div_scale_f64 v[30:31], null, v[28:29], v[28:29], 1.0
	v_div_scale_f64 v[36:37], vcc_lo, 1.0, v[28:29], 1.0
	v_rcp_f64_e32 v[32:33], v[30:31]
	v_nop
	s_delay_alu instid0(TRANS32_DEP_1) | instskip(NEXT) | instid1(VALU_DEP_1)
	v_fma_f64 v[34:35], -v[30:31], v[32:33], 1.0
	v_fmac_f64_e32 v[32:33], v[32:33], v[34:35]
	s_delay_alu instid0(VALU_DEP_1) | instskip(NEXT) | instid1(VALU_DEP_1)
	v_fma_f64 v[34:35], -v[30:31], v[32:33], 1.0
	v_fmac_f64_e32 v[32:33], v[32:33], v[34:35]
	s_delay_alu instid0(VALU_DEP_1) | instskip(NEXT) | instid1(VALU_DEP_1)
	v_mul_f64_e32 v[34:35], v[36:37], v[32:33]
	v_fma_f64 v[30:31], -v[30:31], v[34:35], v[36:37]
	s_delay_alu instid0(VALU_DEP_1) | instskip(SKIP_1) | instid1(VALU_DEP_2)
	v_div_fmas_f64 v[30:31], v[30:31], v[32:33], v[34:35]
	v_cmp_gt_f64_e64 vcc_lo, |v[26:27]|, 1.0
	v_div_fixup_f64 v[30:31], v[30:31], |v[26:27]|, 1.0
	s_delay_alu instid0(VALU_DEP_1) | instskip(NEXT) | instid1(VALU_DEP_1)
	v_dual_cndmask_b32 v29, v29, v31 :: v_dual_cndmask_b32 v28, v26, v30
	v_mul_f64_e32 v[30:31], v[28:29], v[28:29]
	s_delay_alu instid0(VALU_DEP_1) | instskip(NEXT) | instid1(VALU_DEP_1)
	v_fmamk_f64 v[32:33], v[30:31], 0x3eeba404b5e68a13, v[6:7]
	v_fmaak_f64 v[32:33], v[30:31], v[32:33], 0x3f4b2bb069efb384
	s_delay_alu instid0(VALU_DEP_1) | instskip(NEXT) | instid1(VALU_DEP_1)
	v_fmaak_f64 v[32:33], v[30:31], v[32:33], 0xbf67952daf56de9b
	v_fmaak_f64 v[32:33], v[30:31], v[32:33], 0x3f7d6d43a595c56f
	s_delay_alu instid0(VALU_DEP_1) | instskip(NEXT) | instid1(VALU_DEP_1)
	v_fmaak_f64 v[32:33], v[30:31], v[32:33], 0xbf8c6ea4a57d9582
	;; [unrolled: 3-line block ×9, first 2 shown]
	v_mul_f64_e32 v[30:31], v[30:31], v[32:33]
	s_delay_alu instid0(VALU_DEP_1) | instskip(NEXT) | instid1(VALU_DEP_1)
	v_fmac_f64_e32 v[28:29], v[28:29], v[30:31]
	v_fma_f64 v[30:31], s[18:19], s[12:13], -v[28:29]
	s_delay_alu instid0(VALU_DEP_1) | instskip(NEXT) | instid1(VALU_DEP_1)
	v_dual_cndmask_b32 v29, v29, v31 :: v_dual_cndmask_b32 v26, v28, v30
	v_bfi_b32 v27, 0x7fffffff, v29, v27
	global_store_b64 v[16:17], v[26:27], off
	s_wait_xcnt 0x0
	s_or_b32 exec_lo, exec_lo, s5
	s_and_saveexec_b32 s4, s3
	s_cbranch_execz .LBB71_14
.LBB71_18:                              ;   in Loop: Header=BB71_4 Depth=1
	s_wait_loadcnt 0x0
	v_and_b32_e32 v27, 0x7fffffff, v25
	v_mov_b32_e32 v26, v24
	s_delay_alu instid0(VALU_DEP_1) | instskip(SKIP_1) | instid1(VALU_DEP_2)
	v_div_scale_f64 v[28:29], null, v[26:27], v[26:27], 1.0
	v_div_scale_f64 v[34:35], vcc_lo, 1.0, v[26:27], 1.0
	v_rcp_f64_e32 v[30:31], v[28:29]
	v_nop
	s_delay_alu instid0(TRANS32_DEP_1) | instskip(NEXT) | instid1(VALU_DEP_1)
	v_fma_f64 v[32:33], -v[28:29], v[30:31], 1.0
	v_fmac_f64_e32 v[30:31], v[30:31], v[32:33]
	s_delay_alu instid0(VALU_DEP_1) | instskip(NEXT) | instid1(VALU_DEP_1)
	v_fma_f64 v[32:33], -v[28:29], v[30:31], 1.0
	v_fmac_f64_e32 v[30:31], v[30:31], v[32:33]
	s_delay_alu instid0(VALU_DEP_1) | instskip(NEXT) | instid1(VALU_DEP_1)
	v_mul_f64_e32 v[32:33], v[34:35], v[30:31]
	v_fma_f64 v[28:29], -v[28:29], v[32:33], v[34:35]
	s_delay_alu instid0(VALU_DEP_1) | instskip(SKIP_1) | instid1(VALU_DEP_2)
	v_div_fmas_f64 v[28:29], v[28:29], v[30:31], v[32:33]
	v_cmp_gt_f64_e64 vcc_lo, |v[24:25]|, 1.0
	v_div_fixup_f64 v[28:29], v[28:29], |v[24:25]|, 1.0
	s_delay_alu instid0(VALU_DEP_1) | instskip(NEXT) | instid1(VALU_DEP_1)
	v_dual_cndmask_b32 v27, v27, v29 :: v_dual_cndmask_b32 v26, v24, v28
	v_mul_f64_e32 v[28:29], v[26:27], v[26:27]
	s_delay_alu instid0(VALU_DEP_1) | instskip(NEXT) | instid1(VALU_DEP_1)
	v_fmamk_f64 v[30:31], v[28:29], 0x3eeba404b5e68a13, v[6:7]
	v_fmaak_f64 v[30:31], v[28:29], v[30:31], 0x3f4b2bb069efb384
	s_delay_alu instid0(VALU_DEP_1) | instskip(NEXT) | instid1(VALU_DEP_1)
	v_fmaak_f64 v[30:31], v[28:29], v[30:31], 0xbf67952daf56de9b
	v_fmaak_f64 v[30:31], v[28:29], v[30:31], 0x3f7d6d43a595c56f
	s_delay_alu instid0(VALU_DEP_1) | instskip(NEXT) | instid1(VALU_DEP_1)
	v_fmaak_f64 v[30:31], v[28:29], v[30:31], 0xbf8c6ea4a57d9582
	;; [unrolled: 3-line block ×9, first 2 shown]
	v_mul_f64_e32 v[28:29], v[28:29], v[30:31]
	s_delay_alu instid0(VALU_DEP_1) | instskip(NEXT) | instid1(VALU_DEP_1)
	v_fmac_f64_e32 v[26:27], v[26:27], v[28:29]
	v_fma_f64 v[28:29], s[18:19], s[12:13], -v[26:27]
	s_delay_alu instid0(VALU_DEP_1) | instskip(NEXT) | instid1(VALU_DEP_1)
	v_dual_cndmask_b32 v27, v27, v29 :: v_dual_cndmask_b32 v24, v26, v28
	v_bfi_b32 v25, 0x7fffffff, v27, v25
	global_store_b64 v[22:23], v[24:25], off
	s_wait_xcnt 0x0
	s_or_b32 exec_lo, exec_lo, s4
	s_and_saveexec_b32 s3, s2
	s_cbranch_execz .LBB71_3
.LBB71_19:                              ;   in Loop: Header=BB71_4 Depth=1
	s_wait_loadcnt 0x0
	v_and_b32_e32 v23, 0x7fffffff, v19
	v_mov_b32_e32 v22, v18
	s_delay_alu instid0(VALU_DEP_1) | instskip(SKIP_1) | instid1(VALU_DEP_2)
	v_div_scale_f64 v[24:25], null, v[22:23], v[22:23], 1.0
	v_div_scale_f64 v[30:31], vcc_lo, 1.0, v[22:23], 1.0
	v_rcp_f64_e32 v[26:27], v[24:25]
	v_nop
	s_delay_alu instid0(TRANS32_DEP_1) | instskip(NEXT) | instid1(VALU_DEP_1)
	v_fma_f64 v[28:29], -v[24:25], v[26:27], 1.0
	v_fmac_f64_e32 v[26:27], v[26:27], v[28:29]
	s_delay_alu instid0(VALU_DEP_1) | instskip(NEXT) | instid1(VALU_DEP_1)
	v_fma_f64 v[28:29], -v[24:25], v[26:27], 1.0
	v_fmac_f64_e32 v[26:27], v[26:27], v[28:29]
	s_delay_alu instid0(VALU_DEP_1) | instskip(NEXT) | instid1(VALU_DEP_1)
	v_mul_f64_e32 v[28:29], v[30:31], v[26:27]
	v_fma_f64 v[24:25], -v[24:25], v[28:29], v[30:31]
	s_delay_alu instid0(VALU_DEP_1) | instskip(SKIP_1) | instid1(VALU_DEP_2)
	v_div_fmas_f64 v[24:25], v[24:25], v[26:27], v[28:29]
	v_cmp_gt_f64_e64 vcc_lo, |v[18:19]|, 1.0
	v_div_fixup_f64 v[24:25], v[24:25], |v[18:19]|, 1.0
	s_delay_alu instid0(VALU_DEP_1) | instskip(NEXT) | instid1(VALU_DEP_1)
	v_dual_cndmask_b32 v23, v23, v25 :: v_dual_cndmask_b32 v22, v18, v24
	v_mul_f64_e32 v[24:25], v[22:23], v[22:23]
	s_delay_alu instid0(VALU_DEP_1) | instskip(NEXT) | instid1(VALU_DEP_1)
	v_fmamk_f64 v[26:27], v[24:25], 0x3eeba404b5e68a13, v[6:7]
	v_fmaak_f64 v[26:27], v[24:25], v[26:27], 0x3f4b2bb069efb384
	s_delay_alu instid0(VALU_DEP_1) | instskip(NEXT) | instid1(VALU_DEP_1)
	v_fmaak_f64 v[26:27], v[24:25], v[26:27], 0xbf67952daf56de9b
	v_fmaak_f64 v[26:27], v[24:25], v[26:27], 0x3f7d6d43a595c56f
	s_delay_alu instid0(VALU_DEP_1) | instskip(NEXT) | instid1(VALU_DEP_1)
	v_fmaak_f64 v[26:27], v[24:25], v[26:27], 0xbf8c6ea4a57d9582
	;; [unrolled: 3-line block ×9, first 2 shown]
	v_mul_f64_e32 v[24:25], v[24:25], v[26:27]
	s_delay_alu instid0(VALU_DEP_1) | instskip(NEXT) | instid1(VALU_DEP_1)
	v_fmac_f64_e32 v[22:23], v[22:23], v[24:25]
	v_fma_f64 v[24:25], s[18:19], s[12:13], -v[22:23]
	s_delay_alu instid0(VALU_DEP_1) | instskip(NEXT) | instid1(VALU_DEP_1)
	v_dual_cndmask_b32 v23, v23, v25 :: v_dual_cndmask_b32 v18, v22, v24
	v_bfi_b32 v19, 0x7fffffff, v23, v19
	global_store_b64 v[20:21], v[18:19], off
	s_branch .LBB71_3
.LBB71_20:
	s_cbranch_execz .LBB71_22
	s_branch .LBB71_25
.LBB71_21:
.LBB71_22:
	v_min_i64 v[10:11], 0x10000, s[10:11]
	v_dual_mov_b32 v3, 0 :: v_dual_lshlrev_b32 v2, 2, v0
	s_mov_b32 s2, exec_lo
	s_delay_alu instid0(VALU_DEP_1)
	v_cmpx_lt_i64_e64 v[2:3], v[10:11]
	s_cbranch_execz .LBB71_25
; %bb.23:
	s_load_b32 s2, s[0:1], 0xd3c
	v_dual_mov_b32 v1, v3 :: v_dual_lshlrev_b32 v2, 5, v0
	s_wait_xcnt 0x0
	s_add_nc_u64 s[0:1], s[6:7], s[8:9]
	v_mov_b64_e32 v[12:13], 0xbf23e260bd3237f4
	s_mov_b32 s9, 0
	v_add_nc_u64_e32 v[4:5], s[0:1], v[2:3]
	s_mov_b64 s[4:5], 0x3ffaf154eeb562d6
	s_mov_b64 s[6:7], 0x3fedd9ad336a0500
	s_mov_b32 s11, s9
	s_mov_b32 s3, s9
                                        ; implicit-def: $vgpr2_vgpr3
                                        ; implicit-def: $vgpr2_vgpr3
                                        ; implicit-def: $vgpr2_vgpr3
                                        ; implicit-def: $vgpr2_vgpr3
                                        ; implicit-def: $vgpr2_vgpr3
                                        ; implicit-def: $vgpr2_vgpr3
                                        ; implicit-def: $vgpr2_vgpr3
                                        ; implicit-def: $vgpr2_vgpr3
                                        ; implicit-def: $vgpr2_vgpr3
                                        ; implicit-def: $vgpr2_vgpr3
                                        ; implicit-def: $vgpr2_vgpr3
                                        ; implicit-def: $vgpr2_vgpr3
                                        ; implicit-def: $vgpr2_vgpr3
                                        ; implicit-def: $vgpr2_vgpr3
                                        ; implicit-def: $vgpr2_vgpr3
                                        ; implicit-def: $vgpr2_vgpr3
                                        ; implicit-def: $vgpr2_vgpr3
                                        ; implicit-def: $vgpr2_vgpr3
	s_delay_alu instid0(VALU_DEP_1) | instskip(SKIP_2) | instid1(SALU_CYCLE_1)
	v_add_nc_u64_e32 v[14:15], 16, v[4:5]
	s_wait_kmcnt 0x0
	s_and_b32 s8, s2, 0xffff
	s_lshl_b32 s10, s8, 5
.LBB71_24:                              ; =>This Inner Loop Header: Depth=1
	s_clause 0x1
	global_load_b128 v[6:9], v[14:15], off offset:-16
	global_load_b128 v[2:5], v[14:15], off
	v_add_nc_u64_e32 v[0:1], s[8:9], v[0:1]
	s_wait_loadcnt 0x1
	v_and_b32_e32 v17, 0x7fffffff, v7
	v_dual_mov_b32 v16, v6 :: v_dual_mov_b32 v18, v8
	v_and_b32_e32 v19, 0x7fffffff, v9
	s_wait_loadcnt 0x0
	v_dual_mov_b32 v20, v2 :: v_dual_mov_b32 v24, v4
	s_delay_alu instid0(VALU_DEP_3) | instskip(SKIP_4) | instid1(VALU_DEP_4)
	v_div_scale_f64 v[22:23], null, v[16:17], v[16:17], 1.0
	v_and_b32_e32 v25, 0x7fffffff, v5
	v_div_scale_f64 v[26:27], null, v[18:19], v[18:19], 1.0
	v_and_b32_e32 v21, 0x7fffffff, v3
	v_div_scale_f64 v[48:49], vcc_lo, 1.0, v[16:17], 1.0
	v_div_scale_f64 v[30:31], null, v[24:25], v[24:25], 1.0
	s_delay_alu instid0(VALU_DEP_3) | instskip(SKIP_2) | instid1(VALU_DEP_2)
	v_div_scale_f64 v[28:29], null, v[20:21], v[20:21], 1.0
	v_rcp_f64_e32 v[32:33], v[22:23]
	v_rcp_f64_e32 v[34:35], v[26:27]
	;; [unrolled: 1-line block ×3, first 2 shown]
	s_delay_alu instid0(VALU_DEP_1) | instskip(SKIP_1) | instid1(TRANS32_DEP_3)
	v_rcp_f64_e32 v[36:37], v[28:29]
	v_fma_f64 v[40:41], -v[22:23], v[32:33], 1.0
	v_fma_f64 v[42:43], -v[26:27], v[34:35], 1.0
	s_delay_alu instid0(TRANS32_DEP_2) | instskip(NEXT) | instid1(TRANS32_DEP_1)
	v_fma_f64 v[46:47], -v[30:31], v[38:39], 1.0
	v_fma_f64 v[44:45], -v[28:29], v[36:37], 1.0
	s_delay_alu instid0(VALU_DEP_4) | instskip(NEXT) | instid1(VALU_DEP_4)
	v_fmac_f64_e32 v[32:33], v[32:33], v[40:41]
	v_fmac_f64_e32 v[34:35], v[34:35], v[42:43]
	s_delay_alu instid0(VALU_DEP_4) | instskip(NEXT) | instid1(VALU_DEP_4)
	v_fmac_f64_e32 v[38:39], v[38:39], v[46:47]
	v_fmac_f64_e32 v[36:37], v[36:37], v[44:45]
	s_delay_alu instid0(VALU_DEP_4) | instskip(NEXT) | instid1(VALU_DEP_4)
	v_fma_f64 v[40:41], -v[22:23], v[32:33], 1.0
	v_fma_f64 v[42:43], -v[26:27], v[34:35], 1.0
	s_delay_alu instid0(VALU_DEP_4) | instskip(NEXT) | instid1(VALU_DEP_4)
	v_fma_f64 v[46:47], -v[30:31], v[38:39], 1.0
	v_fma_f64 v[44:45], -v[28:29], v[36:37], 1.0
	s_delay_alu instid0(VALU_DEP_4)
	v_fmac_f64_e32 v[32:33], v[32:33], v[40:41]
	v_div_scale_f64 v[40:41], s0, 1.0, v[18:19], 1.0
	v_fmac_f64_e32 v[34:35], v[34:35], v[42:43]
	v_div_scale_f64 v[42:43], s1, 1.0, v[20:21], 1.0
	v_fmac_f64_e32 v[38:39], v[38:39], v[46:47]
	v_fmac_f64_e32 v[36:37], v[36:37], v[44:45]
	v_div_scale_f64 v[44:45], s2, 1.0, v[24:25], 1.0
	v_mul_f64_e32 v[46:47], v[48:49], v[32:33]
	v_mul_f64_e32 v[50:51], v[40:41], v[34:35]
	s_delay_alu instid0(VALU_DEP_3) | instskip(NEXT) | instid1(VALU_DEP_3)
	v_mul_f64_e32 v[54:55], v[44:45], v[38:39]
	v_fma_f64 v[22:23], -v[22:23], v[46:47], v[48:49]
	s_delay_alu instid0(VALU_DEP_3) | instskip(NEXT) | instid1(VALU_DEP_2)
	v_fma_f64 v[26:27], -v[26:27], v[50:51], v[40:41]
	v_div_fmas_f64 v[22:23], v[22:23], v[32:33], v[46:47]
	s_mov_b32 vcc_lo, s0
	v_cmp_gt_f64_e64 s0, |v[8:9]|, 1.0
	s_delay_alu instid0(VALU_DEP_3) | instskip(SKIP_4) | instid1(VALU_DEP_4)
	v_div_fmas_f64 v[26:27], v[26:27], v[34:35], v[50:51]
	s_mov_b32 vcc_lo, s1
	v_cmp_gt_f64_e64 s1, |v[2:3]|, 1.0
	v_div_fixup_f64 v[22:23], v[22:23], |v[6:7]|, 1.0
	v_mul_f64_e32 v[52:53], v[42:43], v[36:37]
	v_div_fixup_f64 v[26:27], v[26:27], |v[8:9]|, 1.0
	s_delay_alu instid0(VALU_DEP_1) | instskip(NEXT) | instid1(VALU_DEP_1)
	v_dual_fma_f64 v[28:29], -v[28:29], v[52:53], v[42:43] :: v_dual_cndmask_b32 v19, v19, v27, s0
	v_div_fmas_f64 v[28:29], v[28:29], v[36:37], v[52:53]
	s_mov_b32 vcc_lo, s2
	v_cmp_gt_f64_e64 s2, |v[4:5]|, 1.0
	s_delay_alu instid0(VALU_DEP_2) | instskip(NEXT) | instid1(VALU_DEP_1)
	v_div_fixup_f64 v[28:29], v[28:29], |v[2:3]|, 1.0
	v_dual_cndmask_b32 v21, v21, v29, s1 :: v_dual_cndmask_b32 v20, v2, v28, s1
	s_delay_alu instid0(VALU_DEP_1) | instskip(NEXT) | instid1(VALU_DEP_1)
	v_mul_f64_e32 v[28:29], v[20:21], v[20:21]
	v_fmamk_f64 v[36:37], v[28:29], 0x3eeba404b5e68a13, v[12:13]
	s_delay_alu instid0(VALU_DEP_1) | instskip(NEXT) | instid1(VALU_DEP_1)
	v_fmaak_f64 v[36:37], v[28:29], v[36:37], 0x3f4b2bb069efb384
	v_fmaak_f64 v[36:37], v[28:29], v[36:37], 0xbf67952daf56de9b
	s_delay_alu instid0(VALU_DEP_1) | instskip(NEXT) | instid1(VALU_DEP_1)
	v_fmaak_f64 v[36:37], v[28:29], v[36:37], 0x3f7d6d43a595c56f
	v_fmaak_f64 v[36:37], v[28:29], v[36:37], 0xbf8c6ea4a57d9582
	;; [unrolled: 3-line block ×9, first 2 shown]
	s_delay_alu instid0(VALU_DEP_1) | instskip(NEXT) | instid1(VALU_DEP_1)
	v_mul_f64_e32 v[28:29], v[28:29], v[36:37]
	v_fmac_f64_e32 v[20:21], v[20:21], v[28:29]
	s_delay_alu instid0(VALU_DEP_1) | instskip(NEXT) | instid1(VALU_DEP_1)
	v_fma_f64 v[28:29], s[6:7], s[4:5], -v[20:21]
	v_dual_fma_f64 v[30:31], -v[30:31], v[54:55], v[44:45] :: v_dual_cndmask_b32 v2, v20, v28, s1
	s_delay_alu instid0(VALU_DEP_1) | instskip(SKIP_1) | instid1(VALU_DEP_2)
	v_div_fmas_f64 v[30:31], v[30:31], v[38:39], v[54:55]
	v_cmp_gt_f64_e64 vcc_lo, |v[6:7]|, 1.0
	v_div_fixup_f64 v[30:31], v[30:31], |v[4:5]|, 1.0
	s_delay_alu instid0(VALU_DEP_2) | instskip(NEXT) | instid1(VALU_DEP_2)
	v_dual_cndmask_b32 v18, v8, v26, s0 :: v_dual_cndmask_b32 v17, v17, v23, vcc_lo
	v_dual_cndmask_b32 v16, v6, v22, vcc_lo :: v_dual_cndmask_b32 v25, v25, v31, s2
	s_delay_alu instid0(VALU_DEP_2) | instskip(NEXT) | instid1(VALU_DEP_1)
	v_mul_f64_e32 v[26:27], v[18:19], v[18:19]
	v_fmamk_f64 v[34:35], v[26:27], 0x3eeba404b5e68a13, v[12:13]
	s_delay_alu instid0(VALU_DEP_1) | instskip(NEXT) | instid1(VALU_DEP_1)
	v_fmaak_f64 v[34:35], v[26:27], v[34:35], 0x3f4b2bb069efb384
	v_fmaak_f64 v[34:35], v[26:27], v[34:35], 0xbf67952daf56de9b
	s_delay_alu instid0(VALU_DEP_1) | instskip(NEXT) | instid1(VALU_DEP_1)
	v_fmaak_f64 v[34:35], v[26:27], v[34:35], 0x3f7d6d43a595c56f
	v_fmaak_f64 v[34:35], v[26:27], v[34:35], 0xbf8c6ea4a57d9582
	;; [unrolled: 3-line block ×9, first 2 shown]
	s_delay_alu instid0(VALU_DEP_1) | instskip(NEXT) | instid1(VALU_DEP_1)
	v_mul_f64_e32 v[26:27], v[26:27], v[34:35]
	v_fmac_f64_e32 v[18:19], v[18:19], v[26:27]
	s_delay_alu instid0(VALU_DEP_1) | instskip(NEXT) | instid1(VALU_DEP_1)
	v_fma_f64 v[26:27], s[6:7], s[4:5], -v[18:19]
	v_dual_mul_f64 v[22:23], v[16:17], v[16:17] :: v_dual_cndmask_b32 v8, v18, v26, s0
	s_delay_alu instid0(VALU_DEP_1) | instskip(NEXT) | instid1(VALU_DEP_1)
	v_fmamk_f64 v[32:33], v[22:23], 0x3eeba404b5e68a13, v[12:13]
	v_fmaak_f64 v[32:33], v[22:23], v[32:33], 0x3f4b2bb069efb384
	s_delay_alu instid0(VALU_DEP_1) | instskip(NEXT) | instid1(VALU_DEP_1)
	v_fmaak_f64 v[32:33], v[22:23], v[32:33], 0xbf67952daf56de9b
	v_fmaak_f64 v[32:33], v[22:23], v[32:33], 0x3f7d6d43a595c56f
	s_delay_alu instid0(VALU_DEP_1) | instskip(NEXT) | instid1(VALU_DEP_1)
	v_fmaak_f64 v[32:33], v[22:23], v[32:33], 0xbf8c6ea4a57d9582
	;; [unrolled: 3-line block ×9, first 2 shown]
	v_dual_mul_f64 v[22:23], v[22:23], v[32:33] :: v_dual_cndmask_b32 v24, v4, v30, s2
	s_delay_alu instid0(VALU_DEP_1) | instskip(SKIP_1) | instid1(VALU_DEP_3)
	v_mul_f64_e32 v[30:31], v[24:25], v[24:25]
	v_lshlrev_b64_e32 v[32:33], 2, v[0:1]
	v_fmac_f64_e32 v[16:17], v[16:17], v[22:23]
	s_delay_alu instid0(VALU_DEP_3) | instskip(NEXT) | instid1(VALU_DEP_1)
	v_fmamk_f64 v[38:39], v[30:31], 0x3eeba404b5e68a13, v[12:13]
	v_fmaak_f64 v[38:39], v[30:31], v[38:39], 0x3f4b2bb069efb384
	s_delay_alu instid0(VALU_DEP_1) | instskip(NEXT) | instid1(VALU_DEP_1)
	v_fmaak_f64 v[38:39], v[30:31], v[38:39], 0xbf67952daf56de9b
	v_fmaak_f64 v[38:39], v[30:31], v[38:39], 0x3f7d6d43a595c56f
	s_delay_alu instid0(VALU_DEP_1) | instskip(SKIP_1) | instid1(VALU_DEP_2)
	v_fmaak_f64 v[38:39], v[30:31], v[38:39], 0xbf8c6ea4a57d9582
	v_fma_f64 v[22:23], s[6:7], s[4:5], -v[16:17]
	v_fmaak_f64 v[38:39], v[30:31], v[38:39], 0x3f967e295f08b19f
	s_delay_alu instid0(VALU_DEP_1) | instskip(NEXT) | instid1(VALU_DEP_1)
	v_fmaak_f64 v[38:39], v[30:31], v[38:39], 0xbf9e9ae6fc27006a
	v_fmaak_f64 v[38:39], v[30:31], v[38:39], 0x3fa2c15b5711927a
	s_delay_alu instid0(VALU_DEP_1) | instskip(NEXT) | instid1(VALU_DEP_1)
	v_fmaak_f64 v[38:39], v[30:31], v[38:39], 0xbfa59976e82d3ff0
	v_fmaak_f64 v[38:39], v[30:31], v[38:39], 0x3fa82d5d6ef28734
	v_dual_cndmask_b32 v6, v16, v22, vcc_lo :: v_dual_cndmask_b32 v4, v17, v23, vcc_lo
	v_dual_cndmask_b32 v16, v19, v27, s0 :: v_dual_cndmask_b32 v17, v21, v29, s1
	v_cmp_ge_i64_e32 vcc_lo, v[32:33], v[10:11]
	s_delay_alu instid0(VALU_DEP_4) | instskip(NEXT) | instid1(VALU_DEP_4)
	v_fmaak_f64 v[38:39], v[30:31], v[38:39], 0xbfaae5ce6a214619
	v_bfi_b32 v7, 0x7fffffff, v4, v7
	s_delay_alu instid0(VALU_DEP_4) | instskip(SKIP_2) | instid1(VALU_DEP_4)
	v_bfi_b32 v9, 0x7fffffff, v16, v9
	v_bfi_b32 v3, 0x7fffffff, v17, v3
	s_or_b32 s3, vcc_lo, s3
	v_fmaak_f64 v[38:39], v[30:31], v[38:39], 0x3fae1bb48427b883
	s_delay_alu instid0(VALU_DEP_1) | instskip(NEXT) | instid1(VALU_DEP_1)
	v_fmaak_f64 v[38:39], v[30:31], v[38:39], 0xbfb110e48b207f05
	v_fmaak_f64 v[38:39], v[30:31], v[38:39], 0x3fb3b13657b87036
	s_delay_alu instid0(VALU_DEP_1) | instskip(NEXT) | instid1(VALU_DEP_1)
	v_fmaak_f64 v[38:39], v[30:31], v[38:39], 0xbfb745d119378e4f
	;; [unrolled: 3-line block ×4, first 2 shown]
	v_mul_f64_e32 v[30:31], v[30:31], v[38:39]
	s_delay_alu instid0(VALU_DEP_1) | instskip(NEXT) | instid1(VALU_DEP_1)
	v_fmac_f64_e32 v[24:25], v[24:25], v[30:31]
	v_fma_f64 v[30:31], s[6:7], s[4:5], -v[24:25]
	s_delay_alu instid0(VALU_DEP_1) | instskip(NEXT) | instid1(VALU_DEP_1)
	v_dual_cndmask_b32 v18, v25, v31, s2 :: v_dual_cndmask_b32 v4, v24, v30, s2
	v_bfi_b32 v5, 0x7fffffff, v18, v5
	s_clause 0x1
	global_store_b128 v[14:15], v[6:9], off offset:-16
	global_store_b128 v[14:15], v[2:5], off
	s_wait_xcnt 0x0
	v_add_nc_u64_e32 v[14:15], s[10:11], v[14:15]
	s_and_not1_b32 exec_lo, exec_lo, s3
	s_cbranch_execnz .LBB71_24
.LBB71_25:
	s_endpgm
	.section	.rodata,"a",@progbits
	.p2align	6, 0x0
	.amdhsa_kernel _ZN2at6native12_GLOBAL__N_125multi_tensor_apply_kernelINS1_18TensorListMetadataILi1EEENS1_14UnaryOpFunctorIdLi1ELi1ELi0EEEJNS0_4AtanIdEEEEEvT_T0_DpT1_
		.amdhsa_group_segment_fixed_size 0
		.amdhsa_private_segment_fixed_size 0
		.amdhsa_kernarg_size 3632
		.amdhsa_user_sgpr_count 2
		.amdhsa_user_sgpr_dispatch_ptr 0
		.amdhsa_user_sgpr_queue_ptr 0
		.amdhsa_user_sgpr_kernarg_segment_ptr 1
		.amdhsa_user_sgpr_dispatch_id 0
		.amdhsa_user_sgpr_kernarg_preload_length 0
		.amdhsa_user_sgpr_kernarg_preload_offset 0
		.amdhsa_user_sgpr_private_segment_size 0
		.amdhsa_wavefront_size32 1
		.amdhsa_uses_dynamic_stack 0
		.amdhsa_enable_private_segment 0
		.amdhsa_system_sgpr_workgroup_id_x 1
		.amdhsa_system_sgpr_workgroup_id_y 0
		.amdhsa_system_sgpr_workgroup_id_z 0
		.amdhsa_system_sgpr_workgroup_info 0
		.amdhsa_system_vgpr_workitem_id 0
		.amdhsa_next_free_vgpr 56
		.amdhsa_next_free_sgpr 26
		.amdhsa_named_barrier_count 0
		.amdhsa_reserve_vcc 1
		.amdhsa_float_round_mode_32 0
		.amdhsa_float_round_mode_16_64 0
		.amdhsa_float_denorm_mode_32 3
		.amdhsa_float_denorm_mode_16_64 3
		.amdhsa_fp16_overflow 0
		.amdhsa_memory_ordered 1
		.amdhsa_forward_progress 1
		.amdhsa_inst_pref_size 36
		.amdhsa_round_robin_scheduling 0
		.amdhsa_exception_fp_ieee_invalid_op 0
		.amdhsa_exception_fp_denorm_src 0
		.amdhsa_exception_fp_ieee_div_zero 0
		.amdhsa_exception_fp_ieee_overflow 0
		.amdhsa_exception_fp_ieee_underflow 0
		.amdhsa_exception_fp_ieee_inexact 0
		.amdhsa_exception_int_div_zero 0
	.end_amdhsa_kernel
	.section	.text._ZN2at6native12_GLOBAL__N_125multi_tensor_apply_kernelINS1_18TensorListMetadataILi1EEENS1_14UnaryOpFunctorIdLi1ELi1ELi0EEEJNS0_4AtanIdEEEEEvT_T0_DpT1_,"axG",@progbits,_ZN2at6native12_GLOBAL__N_125multi_tensor_apply_kernelINS1_18TensorListMetadataILi1EEENS1_14UnaryOpFunctorIdLi1ELi1ELi0EEEJNS0_4AtanIdEEEEEvT_T0_DpT1_,comdat
.Lfunc_end71:
	.size	_ZN2at6native12_GLOBAL__N_125multi_tensor_apply_kernelINS1_18TensorListMetadataILi1EEENS1_14UnaryOpFunctorIdLi1ELi1ELi0EEEJNS0_4AtanIdEEEEEvT_T0_DpT1_, .Lfunc_end71-_ZN2at6native12_GLOBAL__N_125multi_tensor_apply_kernelINS1_18TensorListMetadataILi1EEENS1_14UnaryOpFunctorIdLi1ELi1ELi0EEEJNS0_4AtanIdEEEEEvT_T0_DpT1_
                                        ; -- End function
	.set _ZN2at6native12_GLOBAL__N_125multi_tensor_apply_kernelINS1_18TensorListMetadataILi1EEENS1_14UnaryOpFunctorIdLi1ELi1ELi0EEEJNS0_4AtanIdEEEEEvT_T0_DpT1_.num_vgpr, 56
	.set _ZN2at6native12_GLOBAL__N_125multi_tensor_apply_kernelINS1_18TensorListMetadataILi1EEENS1_14UnaryOpFunctorIdLi1ELi1ELi0EEEJNS0_4AtanIdEEEEEvT_T0_DpT1_.num_agpr, 0
	.set _ZN2at6native12_GLOBAL__N_125multi_tensor_apply_kernelINS1_18TensorListMetadataILi1EEENS1_14UnaryOpFunctorIdLi1ELi1ELi0EEEJNS0_4AtanIdEEEEEvT_T0_DpT1_.numbered_sgpr, 26
	.set _ZN2at6native12_GLOBAL__N_125multi_tensor_apply_kernelINS1_18TensorListMetadataILi1EEENS1_14UnaryOpFunctorIdLi1ELi1ELi0EEEJNS0_4AtanIdEEEEEvT_T0_DpT1_.num_named_barrier, 0
	.set _ZN2at6native12_GLOBAL__N_125multi_tensor_apply_kernelINS1_18TensorListMetadataILi1EEENS1_14UnaryOpFunctorIdLi1ELi1ELi0EEEJNS0_4AtanIdEEEEEvT_T0_DpT1_.private_seg_size, 0
	.set _ZN2at6native12_GLOBAL__N_125multi_tensor_apply_kernelINS1_18TensorListMetadataILi1EEENS1_14UnaryOpFunctorIdLi1ELi1ELi0EEEJNS0_4AtanIdEEEEEvT_T0_DpT1_.uses_vcc, 1
	.set _ZN2at6native12_GLOBAL__N_125multi_tensor_apply_kernelINS1_18TensorListMetadataILi1EEENS1_14UnaryOpFunctorIdLi1ELi1ELi0EEEJNS0_4AtanIdEEEEEvT_T0_DpT1_.uses_flat_scratch, 0
	.set _ZN2at6native12_GLOBAL__N_125multi_tensor_apply_kernelINS1_18TensorListMetadataILi1EEENS1_14UnaryOpFunctorIdLi1ELi1ELi0EEEJNS0_4AtanIdEEEEEvT_T0_DpT1_.has_dyn_sized_stack, 0
	.set _ZN2at6native12_GLOBAL__N_125multi_tensor_apply_kernelINS1_18TensorListMetadataILi1EEENS1_14UnaryOpFunctorIdLi1ELi1ELi0EEEJNS0_4AtanIdEEEEEvT_T0_DpT1_.has_recursion, 0
	.set _ZN2at6native12_GLOBAL__N_125multi_tensor_apply_kernelINS1_18TensorListMetadataILi1EEENS1_14UnaryOpFunctorIdLi1ELi1ELi0EEEJNS0_4AtanIdEEEEEvT_T0_DpT1_.has_indirect_call, 0
	.section	.AMDGPU.csdata,"",@progbits
; Kernel info:
; codeLenInByte = 4556
; TotalNumSgprs: 28
; NumVgprs: 56
; ScratchSize: 0
; MemoryBound: 0
; FloatMode: 240
; IeeeMode: 1
; LDSByteSize: 0 bytes/workgroup (compile time only)
; SGPRBlocks: 0
; VGPRBlocks: 3
; NumSGPRsForWavesPerEU: 28
; NumVGPRsForWavesPerEU: 56
; NamedBarCnt: 0
; Occupancy: 16
; WaveLimiterHint : 0
; COMPUTE_PGM_RSRC2:SCRATCH_EN: 0
; COMPUTE_PGM_RSRC2:USER_SGPR: 2
; COMPUTE_PGM_RSRC2:TRAP_HANDLER: 0
; COMPUTE_PGM_RSRC2:TGID_X_EN: 1
; COMPUTE_PGM_RSRC2:TGID_Y_EN: 0
; COMPUTE_PGM_RSRC2:TGID_Z_EN: 0
; COMPUTE_PGM_RSRC2:TIDIG_COMP_CNT: 0
	.section	.text._ZN2at6native12_GLOBAL__N_125multi_tensor_apply_kernelINS1_18TensorListMetadataILi1EEENS1_14UnaryOpFunctorIfLi1ELi1ELi0EEEJNS0_4AtanIfEEEEEvT_T0_DpT1_,"axG",@progbits,_ZN2at6native12_GLOBAL__N_125multi_tensor_apply_kernelINS1_18TensorListMetadataILi1EEENS1_14UnaryOpFunctorIfLi1ELi1ELi0EEEJNS0_4AtanIfEEEEEvT_T0_DpT1_,comdat
	.globl	_ZN2at6native12_GLOBAL__N_125multi_tensor_apply_kernelINS1_18TensorListMetadataILi1EEENS1_14UnaryOpFunctorIfLi1ELi1ELi0EEEJNS0_4AtanIfEEEEEvT_T0_DpT1_ ; -- Begin function _ZN2at6native12_GLOBAL__N_125multi_tensor_apply_kernelINS1_18TensorListMetadataILi1EEENS1_14UnaryOpFunctorIfLi1ELi1ELi0EEEJNS0_4AtanIfEEEEEvT_T0_DpT1_
	.p2align	8
	.type	_ZN2at6native12_GLOBAL__N_125multi_tensor_apply_kernelINS1_18TensorListMetadataILi1EEENS1_14UnaryOpFunctorIfLi1ELi1ELi0EEEJNS0_4AtanIfEEEEEvT_T0_DpT1_,@function
_ZN2at6native12_GLOBAL__N_125multi_tensor_apply_kernelINS1_18TensorListMetadataILi1EEENS1_14UnaryOpFunctorIfLi1ELi1ELi0EEEJNS0_4AtanIfEEEEEvT_T0_DpT1_: ; @_ZN2at6native12_GLOBAL__N_125multi_tensor_apply_kernelINS1_18TensorListMetadataILi1EEENS1_14UnaryOpFunctorIfLi1ELi1ELi0EEEJNS0_4AtanIfEEEEEvT_T0_DpT1_
; %bb.0:
	s_bfe_u32 s2, ttmp6, 0x4000c
	s_and_b32 s3, ttmp6, 15
	s_add_co_i32 s2, s2, 1
	s_getreg_b32 s4, hwreg(HW_REG_IB_STS2, 6, 4)
	s_mul_i32 s2, ttmp9, s2
	s_delay_alu instid0(SALU_CYCLE_1)
	s_add_co_i32 s3, s3, s2
	s_cmp_eq_u32 s4, 0
	s_cselect_b32 s2, ttmp9, s3
	s_mov_b32 s3, 0
	s_load_u8 s8, s[0:1], s2 offset:0x6e0
	s_add_nc_u64 s[4:5], s[0:1], s[2:3]
	s_mul_u64 s[6:7], s[2:3], 3
	s_delay_alu instid0(SALU_CYCLE_1)
	s_add_nc_u64 s[4:5], s[4:5], s[6:7]
	s_load_b32 s10, s[4:5], 0x820
	s_wait_kmcnt 0x0
	s_clause 0x1
	s_load_b64 s[6:7], s[0:1], s8 offset:0x0 scale_offset
	s_load_b64 s[12:13], s[0:1], s8 offset:0x370 scale_offset
	s_ashr_i32 s11, s10, 31
	s_wait_kmcnt 0x0
	s_and_b64 s[4:5], s[6:7], 15
	s_and_b32 s2, s12, 3
	s_lshl_b64 s[8:9], s[10:11], 18
	s_or_b64 s[2:3], s[4:5], s[2:3]
	s_lshl_b64 s[4:5], s[10:11], 16
	s_cmp_eq_u64 s[2:3], 0
	s_sub_nc_u64 s[10:11], s[12:13], s[4:5]
	s_cbranch_scc1 .LBB72_21
; %bb.1:
	v_cmp_lt_i64_e64 s2, s[10:11], 1
	s_and_b32 vcc_lo, exec_lo, s2
	s_cbranch_vccnz .LBB72_20
; %bb.2:
	s_load_b32 s4, s[0:1], 0xd3c
	v_min_i64 v[2:3], 0x10000, s[10:11]
	v_min_u64 v[4:5], 0x10000, s[10:11]
	v_dual_mov_b32 v1, 0 :: v_dual_lshlrev_b32 v8, 2, v0
	s_mov_b32 s19, 0
	s_add_nc_u64 s[2:3], s[6:7], s[8:9]
	s_mov_b32 s5, s19
	s_delay_alu instid0(VALU_DEP_1)
	v_mov_b32_e32 v15, v1
	s_mov_b32 s17, s19
	s_mov_b32 s13, s19
	;; [unrolled: 1-line block ×3, first 2 shown]
	s_mov_b64 s[20:21], 0
	s_wait_kmcnt 0x0
	s_and_b32 s18, s4, 0xffff
	s_delay_alu instid0(SALU_CYCLE_1)
	v_add_nc_u64_e32 v[6:7], s[18:19], v[0:1]
	v_mov_b32_e32 v9, v1
	s_lshl_b32 s4, s18, 1
	s_mul_i32 s16, s18, 3
	v_add_nc_u64_e32 v[12:13], s[4:5], v[0:1]
	v_add_nc_u64_e32 v[10:11], s[16:17], v[0:1]
	s_lshl_b32 s12, s18, 2
	v_lshlrev_b32_e32 v14, 2, v6
	v_add_nc_u64_e32 v[8:9], s[2:3], v[8:9]
	s_lshl_b32 s14, s18, 4
	s_mul_u64 s[16:17], s[18:19], 12
	s_lshl_b32 s18, s18, 3
	v_add_nc_u64_e32 v[14:15], s[2:3], v[14:15]
	s_mov_b32 s5, 0x3b2d2a58
	s_branch .LBB72_4
.LBB72_3:                               ;   in Loop: Header=BB72_4 Depth=1
	s_wait_xcnt 0x0
	s_or_b32 exec_lo, exec_lo, s2
	s_add_nc_u64 s[20:21], s[20:21], s[12:13]
	v_add_nc_u64_e32 v[8:9], s[14:15], v[8:9]
	v_cmp_lt_i64_e32 vcc_lo, s[20:21], v[2:3]
	v_add_nc_u64_e32 v[14:15], s[14:15], v[14:15]
	s_cbranch_vccz .LBB72_20
.LBB72_4:                               ; =>This Inner Loop Header: Depth=1
	v_add_nc_u64_e32 v[16:17], s[20:21], v[0:1]
	s_wait_loadcnt 0x0
	v_mov_b32_e32 v23, 0
	s_delay_alu instid0(VALU_DEP_2)
	v_cmp_lt_u64_e64 s4, v[16:17], v[4:5]
	s_and_saveexec_b32 s2, s4
	s_cbranch_execz .LBB72_6
; %bb.5:                                ;   in Loop: Header=BB72_4 Depth=1
	global_load_b32 v23, v[8:9], off
.LBB72_6:                               ;   in Loop: Header=BB72_4 Depth=1
	s_wait_xcnt 0x0
	s_or_b32 exec_lo, exec_lo, s2
	v_add_nc_u64_e32 v[16:17], s[20:21], v[6:7]
	v_dual_mov_b32 v20, 0 :: v_dual_mov_b32 v22, 0
	s_delay_alu instid0(VALU_DEP_2)
	v_cmp_lt_u64_e64 s3, v[16:17], v[4:5]
	s_and_saveexec_b32 s2, s3
	s_cbranch_execz .LBB72_8
; %bb.7:                                ;   in Loop: Header=BB72_4 Depth=1
	global_load_b32 v22, v[14:15], off
.LBB72_8:                               ;   in Loop: Header=BB72_4 Depth=1
	s_wait_xcnt 0x0
	s_or_b32 exec_lo, exec_lo, s2
	v_add_nc_u64_e32 v[16:17], s[20:21], v[12:13]
	v_add_nc_u64_e32 v[18:19], s[18:19], v[8:9]
	s_delay_alu instid0(VALU_DEP_2)
	v_cmp_lt_u64_e64 s2, v[16:17], v[4:5]
	s_and_saveexec_b32 s22, s2
	s_cbranch_execz .LBB72_10
; %bb.9:                                ;   in Loop: Header=BB72_4 Depth=1
	global_load_b32 v20, v[18:19], off
.LBB72_10:                              ;   in Loop: Header=BB72_4 Depth=1
	s_wait_xcnt 0x0
	s_or_b32 exec_lo, exec_lo, s22
	v_add_nc_u64_e32 v[16:17], s[20:21], v[10:11]
	v_mov_b32_e32 v21, 0
	s_delay_alu instid0(VALU_DEP_2)
	v_cmp_lt_u64_e32 vcc_lo, v[16:17], v[4:5]
	v_add_nc_u64_e32 v[16:17], s[16:17], v[8:9]
	s_and_saveexec_b32 s22, vcc_lo
	s_cbranch_execnz .LBB72_15
; %bb.11:                               ;   in Loop: Header=BB72_4 Depth=1
	s_or_b32 exec_lo, exec_lo, s22
	s_and_saveexec_b32 s22, s4
	s_cbranch_execnz .LBB72_16
.LBB72_12:                              ;   in Loop: Header=BB72_4 Depth=1
	s_or_b32 exec_lo, exec_lo, s22
	s_and_saveexec_b32 s4, s3
	s_cbranch_execnz .LBB72_17
.LBB72_13:                              ;   in Loop: Header=BB72_4 Depth=1
	s_or_b32 exec_lo, exec_lo, s4
	s_and_saveexec_b32 s3, s2
	s_cbranch_execnz .LBB72_18
.LBB72_14:                              ;   in Loop: Header=BB72_4 Depth=1
	s_or_b32 exec_lo, exec_lo, s3
	s_and_saveexec_b32 s2, vcc_lo
	s_cbranch_execz .LBB72_3
	s_branch .LBB72_19
.LBB72_15:                              ;   in Loop: Header=BB72_4 Depth=1
	global_load_b32 v21, v[16:17], off
	s_wait_xcnt 0x0
	s_or_b32 exec_lo, exec_lo, s22
	s_and_saveexec_b32 s22, s4
	s_cbranch_execz .LBB72_12
.LBB72_16:                              ;   in Loop: Header=BB72_4 Depth=1
	s_wait_loadcnt 0x0
	v_rcp_f32_e64 v24, |v23|
	v_cmp_gt_f32_e64 s4, |v23|, 1.0
	s_delay_alu instid0(TRANS32_DEP_1) | instid1(VALU_DEP_1)
	v_cndmask_b32_e64 v24, |v23|, v24, s4
	s_delay_alu instid0(VALU_DEP_1) | instskip(NEXT) | instid1(VALU_DEP_1)
	v_mul_f32_e32 v25, v24, v24
	v_fmaak_f32 v26, s5, v25, 0xbc7a590c
	s_delay_alu instid0(VALU_DEP_1) | instskip(NEXT) | instid1(VALU_DEP_1)
	v_fmaak_f32 v26, v25, v26, 0x3d29fb3f
	v_fmaak_f32 v26, v25, v26, 0xbd97d4d7
	s_delay_alu instid0(VALU_DEP_1) | instskip(NEXT) | instid1(VALU_DEP_1)
	v_fmaak_f32 v26, v25, v26, 0x3dd931b2
	v_fmaak_f32 v26, v25, v26, 0xbe1160e6
	s_delay_alu instid0(VALU_DEP_1) | instskip(NEXT) | instid1(VALU_DEP_1)
	v_fmaak_f32 v26, v25, v26, 0x3e4cb8bf
	v_fmaak_f32 v26, v25, v26, 0xbeaaaa62
	s_delay_alu instid0(VALU_DEP_1) | instskip(NEXT) | instid1(VALU_DEP_1)
	v_mul_f32_e32 v25, v25, v26
	v_fmac_f32_e32 v24, v24, v25
	s_delay_alu instid0(VALU_DEP_1) | instskip(NEXT) | instid1(VALU_DEP_1)
	v_sub_f32_e32 v25, 0x3fc90fdb, v24
	v_cndmask_b32_e64 v24, v24, v25, s4
	s_delay_alu instid0(VALU_DEP_1)
	v_bfi_b32 v23, 0x7fffffff, v24, v23
	global_store_b32 v[8:9], v23, off
	s_wait_xcnt 0x0
	s_or_b32 exec_lo, exec_lo, s22
	s_and_saveexec_b32 s4, s3
	s_cbranch_execz .LBB72_13
.LBB72_17:                              ;   in Loop: Header=BB72_4 Depth=1
	s_wait_loadcnt 0x0
	v_rcp_f32_e64 v23, |v22|
	v_cmp_gt_f32_e64 s3, |v22|, 1.0
	s_delay_alu instid0(TRANS32_DEP_1) | instid1(VALU_DEP_1)
	v_cndmask_b32_e64 v23, |v22|, v23, s3
	s_delay_alu instid0(VALU_DEP_1) | instskip(NEXT) | instid1(VALU_DEP_1)
	v_mul_f32_e32 v24, v23, v23
	v_fmaak_f32 v25, s5, v24, 0xbc7a590c
	s_delay_alu instid0(VALU_DEP_1) | instskip(NEXT) | instid1(VALU_DEP_1)
	v_fmaak_f32 v25, v24, v25, 0x3d29fb3f
	v_fmaak_f32 v25, v24, v25, 0xbd97d4d7
	s_delay_alu instid0(VALU_DEP_1) | instskip(NEXT) | instid1(VALU_DEP_1)
	v_fmaak_f32 v25, v24, v25, 0x3dd931b2
	;; [unrolled: 3-line block ×3, first 2 shown]
	v_fmaak_f32 v25, v24, v25, 0xbeaaaa62
	s_delay_alu instid0(VALU_DEP_1) | instskip(NEXT) | instid1(VALU_DEP_1)
	v_mul_f32_e32 v24, v24, v25
	v_fmac_f32_e32 v23, v23, v24
	s_delay_alu instid0(VALU_DEP_1) | instskip(NEXT) | instid1(VALU_DEP_1)
	v_sub_f32_e32 v24, 0x3fc90fdb, v23
	v_cndmask_b32_e64 v23, v23, v24, s3
	s_delay_alu instid0(VALU_DEP_1)
	v_bfi_b32 v22, 0x7fffffff, v23, v22
	global_store_b32 v[14:15], v22, off
	s_wait_xcnt 0x0
	s_or_b32 exec_lo, exec_lo, s4
	s_and_saveexec_b32 s3, s2
	s_cbranch_execz .LBB72_14
.LBB72_18:                              ;   in Loop: Header=BB72_4 Depth=1
	s_wait_loadcnt 0x0
	v_rcp_f32_e64 v22, |v20|
	v_cmp_gt_f32_e64 s2, |v20|, 1.0
	s_delay_alu instid0(TRANS32_DEP_1) | instid1(VALU_DEP_1)
	v_cndmask_b32_e64 v22, |v20|, v22, s2
	s_delay_alu instid0(VALU_DEP_1) | instskip(NEXT) | instid1(VALU_DEP_1)
	v_mul_f32_e32 v23, v22, v22
	v_fmaak_f32 v24, s5, v23, 0xbc7a590c
	s_delay_alu instid0(VALU_DEP_1) | instskip(NEXT) | instid1(VALU_DEP_1)
	v_fmaak_f32 v24, v23, v24, 0x3d29fb3f
	v_fmaak_f32 v24, v23, v24, 0xbd97d4d7
	s_delay_alu instid0(VALU_DEP_1) | instskip(NEXT) | instid1(VALU_DEP_1)
	v_fmaak_f32 v24, v23, v24, 0x3dd931b2
	;; [unrolled: 3-line block ×3, first 2 shown]
	v_fmaak_f32 v24, v23, v24, 0xbeaaaa62
	s_delay_alu instid0(VALU_DEP_1) | instskip(NEXT) | instid1(VALU_DEP_1)
	v_mul_f32_e32 v23, v23, v24
	v_fmac_f32_e32 v22, v22, v23
	s_delay_alu instid0(VALU_DEP_1) | instskip(NEXT) | instid1(VALU_DEP_1)
	v_sub_f32_e32 v23, 0x3fc90fdb, v22
	v_cndmask_b32_e64 v22, v22, v23, s2
	s_delay_alu instid0(VALU_DEP_1)
	v_bfi_b32 v20, 0x7fffffff, v22, v20
	global_store_b32 v[18:19], v20, off
	s_wait_xcnt 0x0
	s_or_b32 exec_lo, exec_lo, s3
	s_and_saveexec_b32 s2, vcc_lo
	s_cbranch_execz .LBB72_3
.LBB72_19:                              ;   in Loop: Header=BB72_4 Depth=1
	s_wait_loadcnt 0x0
	v_rcp_f32_e64 v18, |v21|
	v_cmp_gt_f32_e64 vcc_lo, |v21|, 1.0
	s_delay_alu instid0(TRANS32_DEP_1) | instid1(VALU_DEP_1)
	v_cndmask_b32_e64 v18, |v21|, v18, vcc_lo
	s_delay_alu instid0(VALU_DEP_1) | instskip(NEXT) | instid1(VALU_DEP_1)
	v_mul_f32_e32 v19, v18, v18
	v_fmaak_f32 v20, s5, v19, 0xbc7a590c
	s_delay_alu instid0(VALU_DEP_1) | instskip(NEXT) | instid1(VALU_DEP_1)
	v_fmaak_f32 v20, v19, v20, 0x3d29fb3f
	v_fmaak_f32 v20, v19, v20, 0xbd97d4d7
	s_delay_alu instid0(VALU_DEP_1) | instskip(NEXT) | instid1(VALU_DEP_1)
	v_fmaak_f32 v20, v19, v20, 0x3dd931b2
	;; [unrolled: 3-line block ×3, first 2 shown]
	v_fmaak_f32 v20, v19, v20, 0xbeaaaa62
	s_delay_alu instid0(VALU_DEP_1) | instskip(NEXT) | instid1(VALU_DEP_1)
	v_mul_f32_e32 v19, v19, v20
	v_fmac_f32_e32 v18, v18, v19
	s_delay_alu instid0(VALU_DEP_1) | instskip(NEXT) | instid1(VALU_DEP_1)
	v_sub_f32_e32 v19, 0x3fc90fdb, v18
	v_cndmask_b32_e32 v18, v18, v19, vcc_lo
	s_delay_alu instid0(VALU_DEP_1)
	v_bfi_b32 v18, 0x7fffffff, v18, v21
	global_store_b32 v[16:17], v18, off
	s_branch .LBB72_3
.LBB72_20:
	s_cbranch_execz .LBB72_22
	s_branch .LBB72_25
.LBB72_21:
.LBB72_22:
	v_min_i64 v[2:3], 0x10000, s[10:11]
	v_dual_mov_b32 v5, 0 :: v_dual_lshlrev_b32 v4, 2, v0
	s_mov_b32 s2, exec_lo
	s_delay_alu instid0(VALU_DEP_1)
	v_cmpx_lt_i64_e64 v[4:5], v[2:3]
	s_cbranch_execz .LBB72_25
; %bb.23:
	s_load_b32 s2, s[0:1], 0xd3c
	v_dual_mov_b32 v1, v5 :: v_dual_lshlrev_b32 v4, 4, v0
	s_wait_xcnt 0x0
	s_add_nc_u64 s[0:1], s[6:7], s[8:9]
	s_mov_b32 s5, 0
	s_mov_b32 s6, 0xbc7a590c
	;; [unrolled: 1-line block ×3, first 2 shown]
	v_add_nc_u64_e32 v[4:5], s[0:1], v[4:5]
	s_mov_b32 s10, 0x3d29fb3f
	s_mov_b32 s12, 0xbd97d4d7
	;; [unrolled: 1-line block ×6, first 2 shown]
	v_add_nc_u64_e32 v[4:5], 8, v[4:5]
	s_mov_b32 s22, 0x3fc90fdb
	s_mov_b32 s25, s5
	;; [unrolled: 1-line block ×3, first 2 shown]
	s_wait_kmcnt 0x0
	s_and_b32 s4, s2, 0xffff
	s_delay_alu instid0(SALU_CYCLE_1)
	s_lshl_b32 s24, s4, 4
.LBB72_24:                              ; =>This Inner Loop Header: Depth=1
	global_load_b128 v[6:9], v[4:5], off offset:-8
	v_add_nc_u64_e32 v[0:1], s[4:5], v[0:1]
	s_wait_loadcnt 0x0
	v_rcp_f32_e64 v10, |v7|
	v_rcp_f32_e64 v12, |v6|
	;; [unrolled: 1-line block ×4, first 2 shown]
	v_cmp_gt_f32_e64 vcc_lo, |v7|, 1.0
	v_cmp_gt_f32_e64 s0, |v6|, 1.0
	v_cmp_gt_f32_e64 s1, |v9|, 1.0
	;; [unrolled: 1-line block ×3, first 2 shown]
	s_delay_alu instid0(VALU_DEP_4) | instskip(NEXT) | instid1(VALU_DEP_4)
	v_cndmask_b32_e64 v11, |v7|, v10, vcc_lo
	v_cndmask_b32_e64 v10, |v6|, v12, s0
	s_delay_alu instid0(VALU_DEP_4) | instskip(NEXT) | instid1(VALU_DEP_4)
	v_cndmask_b32_e64 v13, |v9|, v13, s1
	v_cndmask_b32_e64 v12, |v8|, v14, s2
	s_delay_alu instid0(VALU_DEP_3) | instskip(NEXT) | instid1(VALU_DEP_2)
	v_pk_mul_f32 v[14:15], v[10:11], v[10:11]
	v_pk_mul_f32 v[16:17], v[12:13], v[12:13]
	s_delay_alu instid0(VALU_DEP_2) | instskip(NEXT) | instid1(VALU_DEP_2)
	v_pk_fma_f32 v[18:19], v[14:15], s[8:9], s[6:7] op_sel_hi:[1,0,0]
	v_pk_fma_f32 v[20:21], v[16:17], s[8:9], s[6:7] op_sel_hi:[1,0,0]
	s_delay_alu instid0(VALU_DEP_2) | instskip(NEXT) | instid1(VALU_DEP_2)
	v_pk_fma_f32 v[18:19], v[14:15], v[18:19], s[10:11] op_sel_hi:[1,1,0]
	v_pk_fma_f32 v[20:21], v[16:17], v[20:21], s[10:11] op_sel_hi:[1,1,0]
	;; [unrolled: 3-line block ×7, first 2 shown]
	s_delay_alu instid0(VALU_DEP_2) | instskip(NEXT) | instid1(VALU_DEP_2)
	v_pk_mul_f32 v[14:15], v[14:15], v[18:19]
	v_pk_mul_f32 v[16:17], v[16:17], v[20:21]
	s_delay_alu instid0(VALU_DEP_2) | instskip(NEXT) | instid1(VALU_DEP_2)
	v_pk_fma_f32 v[10:11], v[10:11], v[14:15], v[10:11]
	v_pk_fma_f32 v[12:13], v[12:13], v[16:17], v[12:13]
	s_delay_alu instid0(VALU_DEP_2) | instskip(NEXT) | instid1(VALU_DEP_2)
	v_pk_add_f32 v[14:15], v[10:11], s[22:23] op_sel_hi:[1,0] neg_lo:[1,0] neg_hi:[1,0]
	v_pk_add_f32 v[16:17], v[12:13], s[22:23] op_sel_hi:[1,0] neg_lo:[1,0] neg_hi:[1,0]
	s_delay_alu instid0(VALU_DEP_2) | instskip(NEXT) | instid1(VALU_DEP_2)
	v_dual_cndmask_b32 v15, v11, v15, vcc_lo :: v_dual_cndmask_b32 v14, v10, v14, s0
	v_dual_cndmask_b32 v13, v13, v17, s1 :: v_dual_cndmask_b32 v12, v12, v16, s2
	v_lshlrev_b64_e32 v[10:11], 2, v[0:1]
	s_delay_alu instid0(VALU_DEP_3) | instskip(NEXT) | instid1(VALU_DEP_4)
	v_bfi_b32 v7, 0x7fffffff, v15, v7
	v_bfi_b32 v6, 0x7fffffff, v14, v6
	s_delay_alu instid0(VALU_DEP_4)
	v_bfi_b32 v9, 0x7fffffff, v13, v9
	v_bfi_b32 v8, 0x7fffffff, v12, v8
	v_cmp_ge_i64_e32 vcc_lo, v[10:11], v[2:3]
	global_store_b128 v[4:5], v[6:9], off offset:-8
	s_wait_xcnt 0x0
	v_add_nc_u64_e32 v[4:5], s[24:25], v[4:5]
	s_or_b32 s3, vcc_lo, s3
	s_delay_alu instid0(SALU_CYCLE_1)
	s_and_not1_b32 exec_lo, exec_lo, s3
	s_cbranch_execnz .LBB72_24
.LBB72_25:
	s_endpgm
	.section	.rodata,"a",@progbits
	.p2align	6, 0x0
	.amdhsa_kernel _ZN2at6native12_GLOBAL__N_125multi_tensor_apply_kernelINS1_18TensorListMetadataILi1EEENS1_14UnaryOpFunctorIfLi1ELi1ELi0EEEJNS0_4AtanIfEEEEEvT_T0_DpT1_
		.amdhsa_group_segment_fixed_size 0
		.amdhsa_private_segment_fixed_size 0
		.amdhsa_kernarg_size 3632
		.amdhsa_user_sgpr_count 2
		.amdhsa_user_sgpr_dispatch_ptr 0
		.amdhsa_user_sgpr_queue_ptr 0
		.amdhsa_user_sgpr_kernarg_segment_ptr 1
		.amdhsa_user_sgpr_dispatch_id 0
		.amdhsa_user_sgpr_kernarg_preload_length 0
		.amdhsa_user_sgpr_kernarg_preload_offset 0
		.amdhsa_user_sgpr_private_segment_size 0
		.amdhsa_wavefront_size32 1
		.amdhsa_uses_dynamic_stack 0
		.amdhsa_enable_private_segment 0
		.amdhsa_system_sgpr_workgroup_id_x 1
		.amdhsa_system_sgpr_workgroup_id_y 0
		.amdhsa_system_sgpr_workgroup_id_z 0
		.amdhsa_system_sgpr_workgroup_info 0
		.amdhsa_system_vgpr_workitem_id 0
		.amdhsa_next_free_vgpr 27
		.amdhsa_next_free_sgpr 26
		.amdhsa_named_barrier_count 0
		.amdhsa_reserve_vcc 1
		.amdhsa_float_round_mode_32 0
		.amdhsa_float_round_mode_16_64 0
		.amdhsa_float_denorm_mode_32 3
		.amdhsa_float_denorm_mode_16_64 3
		.amdhsa_fp16_overflow 0
		.amdhsa_memory_ordered 1
		.amdhsa_forward_progress 1
		.amdhsa_inst_pref_size 16
		.amdhsa_round_robin_scheduling 0
		.amdhsa_exception_fp_ieee_invalid_op 0
		.amdhsa_exception_fp_denorm_src 0
		.amdhsa_exception_fp_ieee_div_zero 0
		.amdhsa_exception_fp_ieee_overflow 0
		.amdhsa_exception_fp_ieee_underflow 0
		.amdhsa_exception_fp_ieee_inexact 0
		.amdhsa_exception_int_div_zero 0
	.end_amdhsa_kernel
	.section	.text._ZN2at6native12_GLOBAL__N_125multi_tensor_apply_kernelINS1_18TensorListMetadataILi1EEENS1_14UnaryOpFunctorIfLi1ELi1ELi0EEEJNS0_4AtanIfEEEEEvT_T0_DpT1_,"axG",@progbits,_ZN2at6native12_GLOBAL__N_125multi_tensor_apply_kernelINS1_18TensorListMetadataILi1EEENS1_14UnaryOpFunctorIfLi1ELi1ELi0EEEJNS0_4AtanIfEEEEEvT_T0_DpT1_,comdat
.Lfunc_end72:
	.size	_ZN2at6native12_GLOBAL__N_125multi_tensor_apply_kernelINS1_18TensorListMetadataILi1EEENS1_14UnaryOpFunctorIfLi1ELi1ELi0EEEJNS0_4AtanIfEEEEEvT_T0_DpT1_, .Lfunc_end72-_ZN2at6native12_GLOBAL__N_125multi_tensor_apply_kernelINS1_18TensorListMetadataILi1EEENS1_14UnaryOpFunctorIfLi1ELi1ELi0EEEJNS0_4AtanIfEEEEEvT_T0_DpT1_
                                        ; -- End function
	.set _ZN2at6native12_GLOBAL__N_125multi_tensor_apply_kernelINS1_18TensorListMetadataILi1EEENS1_14UnaryOpFunctorIfLi1ELi1ELi0EEEJNS0_4AtanIfEEEEEvT_T0_DpT1_.num_vgpr, 27
	.set _ZN2at6native12_GLOBAL__N_125multi_tensor_apply_kernelINS1_18TensorListMetadataILi1EEENS1_14UnaryOpFunctorIfLi1ELi1ELi0EEEJNS0_4AtanIfEEEEEvT_T0_DpT1_.num_agpr, 0
	.set _ZN2at6native12_GLOBAL__N_125multi_tensor_apply_kernelINS1_18TensorListMetadataILi1EEENS1_14UnaryOpFunctorIfLi1ELi1ELi0EEEJNS0_4AtanIfEEEEEvT_T0_DpT1_.numbered_sgpr, 26
	.set _ZN2at6native12_GLOBAL__N_125multi_tensor_apply_kernelINS1_18TensorListMetadataILi1EEENS1_14UnaryOpFunctorIfLi1ELi1ELi0EEEJNS0_4AtanIfEEEEEvT_T0_DpT1_.num_named_barrier, 0
	.set _ZN2at6native12_GLOBAL__N_125multi_tensor_apply_kernelINS1_18TensorListMetadataILi1EEENS1_14UnaryOpFunctorIfLi1ELi1ELi0EEEJNS0_4AtanIfEEEEEvT_T0_DpT1_.private_seg_size, 0
	.set _ZN2at6native12_GLOBAL__N_125multi_tensor_apply_kernelINS1_18TensorListMetadataILi1EEENS1_14UnaryOpFunctorIfLi1ELi1ELi0EEEJNS0_4AtanIfEEEEEvT_T0_DpT1_.uses_vcc, 1
	.set _ZN2at6native12_GLOBAL__N_125multi_tensor_apply_kernelINS1_18TensorListMetadataILi1EEENS1_14UnaryOpFunctorIfLi1ELi1ELi0EEEJNS0_4AtanIfEEEEEvT_T0_DpT1_.uses_flat_scratch, 0
	.set _ZN2at6native12_GLOBAL__N_125multi_tensor_apply_kernelINS1_18TensorListMetadataILi1EEENS1_14UnaryOpFunctorIfLi1ELi1ELi0EEEJNS0_4AtanIfEEEEEvT_T0_DpT1_.has_dyn_sized_stack, 0
	.set _ZN2at6native12_GLOBAL__N_125multi_tensor_apply_kernelINS1_18TensorListMetadataILi1EEENS1_14UnaryOpFunctorIfLi1ELi1ELi0EEEJNS0_4AtanIfEEEEEvT_T0_DpT1_.has_recursion, 0
	.set _ZN2at6native12_GLOBAL__N_125multi_tensor_apply_kernelINS1_18TensorListMetadataILi1EEENS1_14UnaryOpFunctorIfLi1ELi1ELi0EEEJNS0_4AtanIfEEEEEvT_T0_DpT1_.has_indirect_call, 0
	.section	.AMDGPU.csdata,"",@progbits
; Kernel info:
; codeLenInByte = 1984
; TotalNumSgprs: 28
; NumVgprs: 27
; ScratchSize: 0
; MemoryBound: 0
; FloatMode: 240
; IeeeMode: 1
; LDSByteSize: 0 bytes/workgroup (compile time only)
; SGPRBlocks: 0
; VGPRBlocks: 1
; NumSGPRsForWavesPerEU: 28
; NumVGPRsForWavesPerEU: 27
; NamedBarCnt: 0
; Occupancy: 16
; WaveLimiterHint : 0
; COMPUTE_PGM_RSRC2:SCRATCH_EN: 0
; COMPUTE_PGM_RSRC2:USER_SGPR: 2
; COMPUTE_PGM_RSRC2:TRAP_HANDLER: 0
; COMPUTE_PGM_RSRC2:TGID_X_EN: 1
; COMPUTE_PGM_RSRC2:TGID_Y_EN: 0
; COMPUTE_PGM_RSRC2:TGID_Z_EN: 0
; COMPUTE_PGM_RSRC2:TIDIG_COMP_CNT: 0
	.section	.text._ZN2at6native12_GLOBAL__N_125multi_tensor_apply_kernelINS1_18TensorListMetadataILi1EEENS1_14UnaryOpFunctorIN3c107complexIdEELi1ELi1ELi0EEEJNS0_4AtanIS8_EEEEEvT_T0_DpT1_,"axG",@progbits,_ZN2at6native12_GLOBAL__N_125multi_tensor_apply_kernelINS1_18TensorListMetadataILi1EEENS1_14UnaryOpFunctorIN3c107complexIdEELi1ELi1ELi0EEEJNS0_4AtanIS8_EEEEEvT_T0_DpT1_,comdat
	.globl	_ZN2at6native12_GLOBAL__N_125multi_tensor_apply_kernelINS1_18TensorListMetadataILi1EEENS1_14UnaryOpFunctorIN3c107complexIdEELi1ELi1ELi0EEEJNS0_4AtanIS8_EEEEEvT_T0_DpT1_ ; -- Begin function _ZN2at6native12_GLOBAL__N_125multi_tensor_apply_kernelINS1_18TensorListMetadataILi1EEENS1_14UnaryOpFunctorIN3c107complexIdEELi1ELi1ELi0EEEJNS0_4AtanIS8_EEEEEvT_T0_DpT1_
	.p2align	8
	.type	_ZN2at6native12_GLOBAL__N_125multi_tensor_apply_kernelINS1_18TensorListMetadataILi1EEENS1_14UnaryOpFunctorIN3c107complexIdEELi1ELi1ELi0EEEJNS0_4AtanIS8_EEEEEvT_T0_DpT1_,@function
_ZN2at6native12_GLOBAL__N_125multi_tensor_apply_kernelINS1_18TensorListMetadataILi1EEENS1_14UnaryOpFunctorIN3c107complexIdEELi1ELi1ELi0EEEJNS0_4AtanIS8_EEEEEvT_T0_DpT1_: ; @_ZN2at6native12_GLOBAL__N_125multi_tensor_apply_kernelINS1_18TensorListMetadataILi1EEENS1_14UnaryOpFunctorIN3c107complexIdEELi1ELi1ELi0EEEJNS0_4AtanIS8_EEEEEvT_T0_DpT1_
; %bb.0:
	s_bfe_u32 s2, ttmp6, 0x4000c
	s_and_b32 s3, ttmp6, 15
	s_add_co_i32 s2, s2, 1
	s_getreg_b32 s4, hwreg(HW_REG_IB_STS2, 6, 4)
	s_mul_i32 s2, ttmp9, s2
	s_delay_alu instid0(SALU_CYCLE_1)
	s_add_co_i32 s3, s3, s2
	s_cmp_eq_u32 s4, 0
	s_cselect_b32 s2, ttmp9, s3
	s_mov_b32 s3, 0
	s_load_u8 s10, s[0:1], s2 offset:0x6e0
	s_add_nc_u64 s[4:5], s[0:1], s[2:3]
	s_mul_u64 s[6:7], s[2:3], 3
	s_delay_alu instid0(SALU_CYCLE_1)
	s_add_nc_u64 s[4:5], s[4:5], s[6:7]
	s_load_b32 s6, s[4:5], 0x820
	s_wait_kmcnt 0x0
	s_clause 0x1
	s_load_b64 s[8:9], s[0:1], s10 offset:0x0 scale_offset
	s_load_b64 s[12:13], s[0:1], s10 offset:0x370 scale_offset
	s_ashr_i32 s7, s6, 31
	s_wait_xcnt 0x0
	s_lshl_b64 s[10:11], s[6:7], 20
	s_wait_kmcnt 0x0
	s_and_b32 s2, s12, 3
	s_add_nc_u64 s[14:15], s[8:9], s[10:11]
	s_delay_alu instid0(SALU_CYCLE_1) | instskip(NEXT) | instid1(SALU_CYCLE_1)
	s_and_b64 s[4:5], s[14:15], 63
	s_or_b64 s[2:3], s[4:5], s[2:3]
	s_lshl_b64 s[4:5], s[6:7], 16
	s_cmp_eq_u64 s[2:3], 0
	s_sub_nc_u64 s[12:13], s[12:13], s[4:5]
	s_cbranch_scc1 .LBB73_21
; %bb.1:
	v_cmp_lt_i64_e64 s2, s[12:13], 1
	s_and_b32 vcc_lo, exec_lo, s2
	s_cbranch_vccnz .LBB73_20
; %bb.2:
	s_load_b32 s2, s[0:1], 0xd3c
	v_min_i64 v[18:19], 0x10000, s[12:13]
	v_min_u64 v[20:21], 0x10000, s[12:13]
	v_dual_mov_b32 v1, 0 :: v_dual_lshlrev_b32 v22, 4, v0
	s_mov_b32 s3, 0
	v_mov_b64_e32 v[24:25], 0xbf23e260bd3237f4
	s_mov_b32 s5, s3
	s_delay_alu instid0(VALU_DEP_2)
	v_dual_mov_b32 v23, v1 :: v_dual_mov_b32 v35, v1
	s_mov_b32 s7, s3
	v_mov_b64_e32 v[30:31], 0x3fc385386b47b09a
	v_mov_b32_e32 v48, 0x7f3321d2
	v_mov_b32_e32 v49, 0x4002d97c
	s_mov_b64 s[16:17], 0x3ff921fb54442d18
	s_mov_b64 s[18:19], 0x400921fb54442d18
	;; [unrolled: 1-line block ×4, first 2 shown]
	s_mov_b32 s25, s3
	s_mov_b32 s27, s3
	s_wait_kmcnt 0x0
	s_and_b32 s2, s2, 0xffff
	s_mov_b64 s[28:29], 0
	v_mad_nc_u64_u32 v[28:29], s2, 48, v[22:23]
	s_lshl_b32 s4, s2, 1
	s_mul_i32 s6, s2, 3
	s_lshl_b32 s24, s2, 2
	s_lshl_b32 s26, s2, 6
	v_add_nc_u64_e32 v[26:27], s[2:3], v[0:1]
	s_lshl_b32 s2, s2, 5
	v_add_nc_u64_e32 v[36:37], s[6:7], v[0:1]
	v_add_nc_u64_e32 v[32:33], s[2:3], v[22:23]
	v_add_nc_u64_e32 v[38:39], s[4:5], v[0:1]
                                        ; implicit-def: $vgpr2_vgpr3
                                        ; implicit-def: $vgpr2_vgpr3
	;; [unrolled: 1-line block ×23, first 2 shown]
	s_delay_alu instid0(VALU_DEP_4) | instskip(NEXT) | instid1(VALU_DEP_3)
	v_dual_lshlrev_b32 v34, 4, v26 :: v_dual_bitop2_b32 v28, 8, v28 bitop3:0x54
	v_or_b32_e32 v32, 8, v32
	s_branch .LBB73_4
.LBB73_3:                               ;   in Loop: Header=BB73_4 Depth=1
	s_wait_xcnt 0x0
	s_or_b32 exec_lo, exec_lo, s5
	s_add_nc_u64 s[28:29], s[28:29], s[24:25]
	s_add_nc_u64 s[14:15], s[14:15], s[26:27]
	v_cmp_lt_i64_e32 vcc_lo, s[28:29], v[18:19]
	s_cbranch_vccz .LBB73_20
.LBB73_4:                               ; =>This Inner Loop Header: Depth=1
	s_wait_loadcnt 0x0
	v_add_nc_u64_e32 v[2:3], s[28:29], v[0:1]
	v_mov_b64_e32 v[12:13], 0
	v_add_nc_u64_e32 v[46:47], s[14:15], v[22:23]
	v_mov_b64_e32 v[16:17], 0
	v_mov_b64_e32 v[14:15], 0
	v_cmp_lt_u64_e32 vcc_lo, v[2:3], v[20:21]
	s_and_saveexec_b32 s2, vcc_lo
	s_cbranch_execz .LBB73_6
; %bb.5:                                ;   in Loop: Header=BB73_4 Depth=1
	global_load_b128 v[14:17], v[46:47], off
.LBB73_6:                               ;   in Loop: Header=BB73_4 Depth=1
	s_wait_xcnt 0x0
	s_or_b32 exec_lo, exec_lo, s2
	v_add_nc_u64_e32 v[2:3], s[28:29], v[26:27]
	v_add_nc_u64_e32 v[44:45], s[14:15], v[34:35]
	v_mov_b64_e32 v[10:11], 0
	s_delay_alu instid0(VALU_DEP_3)
	v_cmp_lt_u64_e64 s4, v[2:3], v[20:21]
	s_and_saveexec_b32 s2, s4
	s_cbranch_execz .LBB73_8
; %bb.7:                                ;   in Loop: Header=BB73_4 Depth=1
	global_load_b128 v[10:13], v[44:45], off
.LBB73_8:                               ;   in Loop: Header=BB73_4 Depth=1
	s_wait_xcnt 0x0
	s_or_b32 exec_lo, exec_lo, s2
	v_add_nc_u64_e32 v[2:3], s[28:29], v[38:39]
	v_mov_b64_e32 v[4:5], 0
	v_add_nc_u64_e32 v[42:43], s[14:15], v[32:33]
	v_mov_b64_e32 v[8:9], 0
	v_mov_b64_e32 v[6:7], 0
	v_cmp_lt_u64_e64 s3, v[2:3], v[20:21]
	s_and_saveexec_b32 s2, s3
	s_cbranch_execz .LBB73_10
; %bb.9:                                ;   in Loop: Header=BB73_4 Depth=1
	global_load_b128 v[6:9], v[42:43], off offset:-8
.LBB73_10:                              ;   in Loop: Header=BB73_4 Depth=1
	s_wait_xcnt 0x0
	s_or_b32 exec_lo, exec_lo, s2
	v_add_nc_u64_e32 v[2:3], s[28:29], v[36:37]
	v_add_nc_u64_e32 v[40:41], s[14:15], v[28:29]
	s_delay_alu instid0(VALU_DEP_2)
	v_cmp_lt_u64_e64 s2, v[2:3], v[20:21]
	v_mov_b64_e32 v[2:3], 0
	s_and_saveexec_b32 s5, s2
	s_cbranch_execnz .LBB73_15
; %bb.11:                               ;   in Loop: Header=BB73_4 Depth=1
	s_or_b32 exec_lo, exec_lo, s5
	s_and_saveexec_b32 s30, vcc_lo
	s_cbranch_execnz .LBB73_16
.LBB73_12:                              ;   in Loop: Header=BB73_4 Depth=1
	s_or_b32 exec_lo, exec_lo, s30
	s_and_saveexec_b32 s7, s4
	s_cbranch_execnz .LBB73_17
.LBB73_13:                              ;   in Loop: Header=BB73_4 Depth=1
	s_or_b32 exec_lo, exec_lo, s7
	s_and_saveexec_b32 s6, s3
	s_cbranch_execnz .LBB73_18
.LBB73_14:                              ;   in Loop: Header=BB73_4 Depth=1
	s_or_b32 exec_lo, exec_lo, s6
	s_and_saveexec_b32 s5, s2
	s_cbranch_execz .LBB73_3
	s_branch .LBB73_19
.LBB73_15:                              ;   in Loop: Header=BB73_4 Depth=1
	global_load_b128 v[2:5], v[40:41], off offset:-8
	s_wait_xcnt 0x0
	s_or_b32 exec_lo, exec_lo, s5
	s_and_saveexec_b32 s30, vcc_lo
	s_cbranch_execz .LBB73_12
.LBB73_16:                              ;   in Loop: Header=BB73_4 Depth=1
	s_wait_loadcnt 0x0
	v_fma_f64 v[50:51], v[14:15], 0, -v[16:17]
	v_fmac_f64_e32 v[14:15], 0, v[16:17]
	s_delay_alu instid0(VALU_DEP_2) | instskip(NEXT) | instid1(VALU_DEP_2)
	v_add_f64_e32 v[52:53], 1.0, v[50:51]
	v_mul_f64_e32 v[16:17], v[14:15], v[14:15]
	v_add_f64_e64 v[54:55], -v[50:51], 1.0
	v_fma_f64 v[50:51], -v[50:51], v[50:51], 1.0
	s_delay_alu instid0(VALU_DEP_3) | instskip(NEXT) | instid1(VALU_DEP_3)
	v_fma_f64 v[52:53], v[52:53], v[52:53], v[16:17]
	v_fmac_f64_e32 v[16:17], v[54:55], v[54:55]
	s_delay_alu instid0(VALU_DEP_2) | instskip(NEXT) | instid1(VALU_DEP_2)
	v_frexp_mant_f64_e32 v[54:55], v[52:53]
	v_frexp_mant_f64_e32 v[56:57], v[16:17]
	v_frexp_exp_i32_f64_e32 v58, v[52:53]
	v_frexp_exp_i32_f64_e32 v59, v[16:17]
	s_delay_alu instid0(VALU_DEP_4) | instskip(NEXT) | instid1(VALU_DEP_4)
	v_cmp_gt_f64_e32 vcc_lo, s[20:21], v[54:55]
	v_cmp_gt_f64_e64 s5, s[20:21], v[56:57]
	s_delay_alu instid0(VALU_DEP_4) | instskip(NEXT) | instid1(VALU_DEP_2)
	v_subrev_co_ci_u32_e64 v88, null, 0, v58, vcc_lo
	v_subrev_co_ci_u32_e64 v89, null, 0, v59, s5
	v_cndmask_b32_e64 v58, 0, 1, vcc_lo
	v_cndmask_b32_e64 v59, 0, 1, s5
	v_cmp_class_f64_e64 s5, v[16:17], 0x204
	s_delay_alu instid0(VALU_DEP_3) | instskip(NEXT) | instid1(VALU_DEP_3)
	v_ldexp_f64 v[54:55], v[54:55], v58
	v_ldexp_f64 v[56:57], v[56:57], v59
	s_delay_alu instid0(VALU_DEP_2) | instskip(NEXT) | instid1(VALU_DEP_2)
	v_add_f64_e32 v[58:59], 1.0, v[54:55]
	v_add_f64_e32 v[60:61], 1.0, v[56:57]
	v_add_f64_e32 v[70:71], -1.0, v[54:55]
	v_add_f64_e32 v[72:73], -1.0, v[56:57]
	s_delay_alu instid0(VALU_DEP_4) | instskip(NEXT) | instid1(VALU_DEP_3)
	v_rcp_f64_e32 v[62:63], v[58:59]
	v_rcp_f64_e32 v[64:65], v[60:61]
	v_add_f64_e32 v[74:75], -1.0, v[58:59]
	v_add_f64_e32 v[76:77], -1.0, v[60:61]
	s_delay_alu instid0(VALU_DEP_2) | instskip(NEXT) | instid1(VALU_DEP_2)
	v_add_f64_e64 v[54:55], v[54:55], -v[74:75]
	v_add_f64_e64 v[56:57], v[56:57], -v[76:77]
	s_delay_alu instid0(TRANS32_DEP_2) | instskip(NEXT) | instid1(TRANS32_DEP_1)
	v_fma_f64 v[66:67], -v[58:59], v[62:63], 1.0
	v_fma_f64 v[68:69], -v[60:61], v[64:65], 1.0
	s_delay_alu instid0(VALU_DEP_2) | instskip(NEXT) | instid1(VALU_DEP_2)
	v_fmac_f64_e32 v[62:63], v[66:67], v[62:63]
	v_fmac_f64_e32 v[64:65], v[68:69], v[64:65]
	s_delay_alu instid0(VALU_DEP_2) | instskip(NEXT) | instid1(VALU_DEP_2)
	v_fma_f64 v[66:67], -v[58:59], v[62:63], 1.0
	v_fma_f64 v[68:69], -v[60:61], v[64:65], 1.0
	s_delay_alu instid0(VALU_DEP_2) | instskip(NEXT) | instid1(VALU_DEP_2)
	v_fmac_f64_e32 v[62:63], v[66:67], v[62:63]
	v_fmac_f64_e32 v[64:65], v[68:69], v[64:65]
	s_delay_alu instid0(VALU_DEP_2) | instskip(NEXT) | instid1(VALU_DEP_2)
	v_mul_f64_e32 v[66:67], v[70:71], v[62:63]
	v_mul_f64_e32 v[68:69], v[72:73], v[64:65]
	s_delay_alu instid0(VALU_DEP_2) | instskip(NEXT) | instid1(VALU_DEP_2)
	v_mul_f64_e32 v[78:79], v[58:59], v[66:67]
	v_mul_f64_e32 v[80:81], v[60:61], v[68:69]
	s_delay_alu instid0(VALU_DEP_2) | instskip(NEXT) | instid1(VALU_DEP_2)
	v_fma_f64 v[58:59], v[66:67], v[58:59], -v[78:79]
	v_fma_f64 v[60:61], v[68:69], v[60:61], -v[80:81]
	s_delay_alu instid0(VALU_DEP_2) | instskip(NEXT) | instid1(VALU_DEP_2)
	v_fmac_f64_e32 v[58:59], v[66:67], v[54:55]
	v_fmac_f64_e32 v[60:61], v[68:69], v[56:57]
	s_delay_alu instid0(VALU_DEP_2) | instskip(NEXT) | instid1(VALU_DEP_2)
	v_add_f64_e32 v[54:55], v[78:79], v[58:59]
	v_add_f64_e32 v[56:57], v[80:81], v[60:61]
	s_delay_alu instid0(VALU_DEP_2) | instskip(NEXT) | instid1(VALU_DEP_2)
	v_add_f64_e64 v[74:75], v[70:71], -v[54:55]
	v_add_f64_e64 v[76:77], v[72:73], -v[56:57]
	;; [unrolled: 1-line block ×4, first 2 shown]
	s_delay_alu instid0(VALU_DEP_4) | instskip(NEXT) | instid1(VALU_DEP_4)
	v_add_f64_e64 v[70:71], v[70:71], -v[74:75]
	v_add_f64_e64 v[72:73], v[72:73], -v[76:77]
	s_delay_alu instid0(VALU_DEP_4) | instskip(NEXT) | instid1(VALU_DEP_4)
	v_add_f64_e64 v[58:59], v[78:79], -v[58:59]
	v_add_f64_e64 v[60:61], v[80:81], -v[60:61]
	;; [unrolled: 3-line block ×3, first 2 shown]
	s_delay_alu instid0(VALU_DEP_2) | instskip(NEXT) | instid1(VALU_DEP_2)
	v_add_f64_e32 v[54:55], v[58:59], v[54:55]
	v_add_f64_e32 v[56:57], v[60:61], v[56:57]
	;; [unrolled: 1-line block ×3, first 2 shown]
	v_fma_f64 v[14:15], -v[14:15], v[14:15], v[50:51]
	s_delay_alu instid0(VALU_DEP_4) | instskip(NEXT) | instid1(VALU_DEP_4)
	v_add_f64_e32 v[54:55], v[74:75], v[54:55]
	v_add_f64_e32 v[56:57], v[76:77], v[56:57]
	s_delay_alu instid0(VALU_DEP_4) | instskip(NEXT) | instid1(VALU_DEP_4)
	v_cmp_eq_f64_e64 s7, 0, v[58:59]
	v_max_num_f64_e64 v[60:61], |v[14:15]|, |v[58:59]|
	v_cmp_class_f64_e64 s31, v[58:59], 0x204
	v_cmp_class_f64_e64 s33, v[14:15], 0x204
	v_cmp_gt_i32_e64 s6, 0, v15
	v_mul_f64_e32 v[50:51], v[62:63], v[54:55]
	v_mul_f64_e32 v[54:55], v[64:65], v[56:57]
	v_min_num_f64_e64 v[56:57], |v[14:15]|, |v[58:59]|
	s_delay_alu instid0(VALU_DEP_3) | instskip(NEXT) | instid1(VALU_DEP_3)
	v_add_f64_e32 v[62:63], v[66:67], v[50:51]
	v_add_f64_e32 v[64:65], v[68:69], v[54:55]
	s_delay_alu instid0(VALU_DEP_3) | instskip(NEXT) | instid1(VALU_DEP_3)
	v_div_scale_f64 v[70:71], null, v[60:61], v[60:61], v[56:57]
	v_mul_f64_e32 v[72:73], v[62:63], v[62:63]
	s_delay_alu instid0(VALU_DEP_3) | instskip(NEXT) | instid1(VALU_DEP_3)
	v_mul_f64_e32 v[74:75], v[64:65], v[64:65]
	v_rcp_f64_e32 v[76:77], v[70:71]
	s_delay_alu instid0(VALU_DEP_2) | instskip(NEXT) | instid1(VALU_DEP_2)
	v_fmamk_f64 v[78:79], v[72:73], 0x3fc3ab76bf559e2b, v[30:31]
	v_fmamk_f64 v[80:81], v[74:75], 0x3fc3ab76bf559e2b, v[30:31]
	v_mul_f64_e32 v[82:83], v[62:63], v[72:73]
	v_mul_f64_e32 v[84:85], v[64:65], v[74:75]
	s_delay_alu instid0(VALU_DEP_4) | instskip(NEXT) | instid1(VALU_DEP_4)
	v_fmaak_f64 v[78:79], v[72:73], v[78:79], 0x3fc7474dd7f4df2e
	v_fmaak_f64 v[80:81], v[74:75], v[80:81], 0x3fc7474dd7f4df2e
	s_delay_alu instid0(TRANS32_DEP_1) | instskip(NEXT) | instid1(VALU_DEP_3)
	v_fma_f64 v[86:87], -v[70:71], v[76:77], 1.0
	v_fmaak_f64 v[78:79], v[72:73], v[78:79], 0x3fcc71c016291751
	s_delay_alu instid0(VALU_DEP_3) | instskip(NEXT) | instid1(VALU_DEP_2)
	v_fmaak_f64 v[80:81], v[74:75], v[80:81], 0x3fcc71c016291751
	v_fmaak_f64 v[78:79], v[72:73], v[78:79], 0x3fd249249b27acf1
	s_delay_alu instid0(VALU_DEP_2) | instskip(NEXT) | instid1(VALU_DEP_2)
	v_fmaak_f64 v[80:81], v[74:75], v[80:81], 0x3fd249249b27acf1
	v_fmaak_f64 v[78:79], v[72:73], v[78:79], 0x3fd99999998ef7b6
	s_delay_alu instid0(VALU_DEP_2) | instskip(NEXT) | instid1(VALU_DEP_2)
	v_fmaak_f64 v[80:81], v[74:75], v[80:81], 0x3fd99999998ef7b6
	v_fmaak_f64 v[72:73], v[72:73], v[78:79], 0x3fe5555555555780
	s_delay_alu instid0(VALU_DEP_2)
	v_fmaak_f64 v[74:75], v[74:75], v[80:81], 0x3fe5555555555780
	v_ldexp_f64 v[78:79], v[62:63], 1
	v_ldexp_f64 v[80:81], v[64:65], 1
	v_add_f64_e64 v[62:63], v[62:63], -v[66:67]
	v_add_f64_e64 v[64:65], v[64:65], -v[68:69]
	v_fmac_f64_e32 v[76:77], v[76:77], v[86:87]
	v_mul_f64_e32 v[72:73], v[82:83], v[72:73]
	v_mul_f64_e32 v[74:75], v[84:85], v[74:75]
	v_cvt_f64_i32_e32 v[82:83], v88
	v_cvt_f64_i32_e32 v[84:85], v89
	v_add_f64_e64 v[50:51], v[50:51], -v[62:63]
	v_add_f64_e64 v[54:55], v[54:55], -v[64:65]
	v_fma_f64 v[86:87], -v[70:71], v[76:77], 1.0
	v_add_f64_e32 v[66:67], v[78:79], v[72:73]
	v_add_f64_e32 v[68:69], v[80:81], v[74:75]
	v_mul_f64_e32 v[88:89], 0x3fe62e42fefa39ef, v[82:83]
	v_mul_f64_e32 v[90:91], 0x3fe62e42fefa39ef, v[84:85]
	v_ldexp_f64 v[50:51], v[50:51], 1
	v_ldexp_f64 v[54:55], v[54:55], 1
	v_fmac_f64_e32 v[76:77], v[76:77], v[86:87]
	v_add_f64_e64 v[62:63], v[66:67], -v[78:79]
	v_add_f64_e64 v[64:65], v[68:69], -v[80:81]
	v_div_scale_f64 v[78:79], vcc_lo, v[56:57], v[60:61], v[56:57]
	v_fma_f64 v[80:81], v[82:83], s[22:23], -v[88:89]
	v_fma_f64 v[86:87], v[84:85], s[22:23], -v[90:91]
	v_add_f64_e64 v[62:63], v[72:73], -v[62:63]
	v_add_f64_e64 v[64:65], v[74:75], -v[64:65]
	v_mul_f64_e32 v[72:73], v[78:79], v[76:77]
	v_fmac_f64_e32 v[80:81], 0x3c7abc9e3b39803f, v[82:83]
	v_fmac_f64_e32 v[86:87], 0x3c7abc9e3b39803f, v[84:85]
	v_add_f64_e32 v[50:51], v[50:51], v[62:63]
	v_add_f64_e32 v[54:55], v[54:55], v[64:65]
	v_fma_f64 v[62:63], -v[70:71], v[72:73], v[78:79]
	v_add_f64_e32 v[64:65], v[88:89], v[80:81]
	v_add_f64_e32 v[70:71], v[90:91], v[86:87]
	;; [unrolled: 1-line block ×4, first 2 shown]
	v_div_fmas_f64 v[62:63], v[62:63], v[76:77], v[72:73]
	v_cmp_lt_f64_e64 vcc_lo, |v[14:15]|, |v[58:59]|
	v_add_f64_e64 v[84:85], v[64:65], -v[88:89]
	v_add_f64_e64 v[88:89], v[70:71], -v[90:91]
	v_add_f64_e32 v[72:73], v[64:65], v[74:75]
	v_add_f64_e32 v[76:77], v[70:71], v[78:79]
	v_div_fixup_f64 v[56:57], v[62:63], v[60:61], v[56:57]
	v_add_f64_e64 v[66:67], v[74:75], -v[66:67]
	v_add_f64_e64 v[68:69], v[78:79], -v[68:69]
	;; [unrolled: 1-line block ×6, first 2 shown]
	v_mul_f64_e32 v[82:83], v[56:57], v[56:57]
	v_add_f64_e64 v[50:51], v[50:51], -v[66:67]
	v_add_f64_e64 v[54:55], v[54:55], -v[68:69]
	;; [unrolled: 1-line block ×4, first 2 shown]
	v_fmamk_f64 v[94:95], v[82:83], 0x3eeba404b5e68a13, v[24:25]
	v_add_f64_e64 v[60:61], v[74:75], -v[60:61]
	v_add_f64_e64 v[62:63], v[78:79], -v[62:63]
	v_add_f64_e32 v[74:75], v[84:85], v[54:55]
	s_delay_alu instid0(VALU_DEP_4) | instskip(NEXT) | instid1(VALU_DEP_1)
	v_fmaak_f64 v[94:95], v[82:83], v[94:95], 0x3f4b2bb069efb384
	v_fmaak_f64 v[94:95], v[82:83], v[94:95], 0xbf67952daf56de9b
	s_delay_alu instid0(VALU_DEP_1) | instskip(NEXT) | instid1(VALU_DEP_1)
	v_fmaak_f64 v[86:87], v[82:83], v[94:95], 0x3f7d6d43a595c56f
	v_fmaak_f64 v[68:69], v[82:83], v[86:87], 0xbf8c6ea4a57d9582
	v_add_f64_e64 v[64:65], v[64:65], -v[90:91]
	v_add_f64_e64 v[66:67], v[70:71], -v[92:93]
	v_add_f64_e32 v[70:71], v[80:81], v[50:51]
	s_delay_alu instid0(VALU_DEP_4) | instskip(NEXT) | instid1(VALU_DEP_1)
	v_fmaak_f64 v[68:69], v[82:83], v[68:69], 0x3f967e295f08b19f
	v_fmaak_f64 v[68:69], v[82:83], v[68:69], 0xbf9e9ae6fc27006a
	s_delay_alu instid0(VALU_DEP_1) | instskip(SKIP_2) | instid1(VALU_DEP_3)
	v_fmaak_f64 v[68:69], v[82:83], v[68:69], 0x3fa2c15b5711927a
	v_add_f64_e32 v[60:61], v[60:61], v[64:65]
	v_add_f64_e32 v[62:63], v[62:63], v[66:67]
	v_fmaak_f64 v[64:65], v[82:83], v[68:69], 0xbfa59976e82d3ff0
	v_add_f64_e64 v[66:67], v[70:71], -v[80:81]
	v_add_f64_e64 v[68:69], v[74:75], -v[84:85]
	s_delay_alu instid0(VALU_DEP_3) | instskip(NEXT) | instid1(VALU_DEP_1)
	v_fmaak_f64 v[64:65], v[82:83], v[64:65], 0x3fa82d5d6ef28734
	v_fmaak_f64 v[64:65], v[82:83], v[64:65], 0xbfaae5ce6a214619
	s_delay_alu instid0(VALU_DEP_1) | instskip(NEXT) | instid1(VALU_DEP_1)
	v_fmaak_f64 v[64:65], v[82:83], v[64:65], 0x3fae1bb48427b883
	v_fmaak_f64 v[64:65], v[82:83], v[64:65], 0xbfb110e48b207f05
	v_add_f64_e32 v[60:61], v[70:71], v[60:61]
	v_add_f64_e32 v[62:63], v[74:75], v[62:63]
	v_add_f64_e64 v[70:71], v[70:71], -v[66:67]
	v_add_f64_e64 v[74:75], v[74:75], -v[68:69]
	v_fmaak_f64 v[64:65], v[82:83], v[64:65], 0x3fb3b13657b87036
	v_add_f64_e64 v[50:51], v[50:51], -v[66:67]
	v_add_f64_e64 v[54:55], v[54:55], -v[68:69]
	s_delay_alu instid0(VALU_DEP_3) | instskip(NEXT) | instid1(VALU_DEP_1)
	v_fmaak_f64 v[64:65], v[82:83], v[64:65], 0xbfb745d119378e4f
	v_fmaak_f64 v[64:65], v[82:83], v[64:65], 0x3fbc71c717e1913c
	s_delay_alu instid0(VALU_DEP_1) | instskip(SKIP_2) | instid1(VALU_DEP_3)
	v_fmaak_f64 v[64:65], v[82:83], v[64:65], 0xbfc2492492376b7d
	v_add_f64_e32 v[78:79], v[72:73], v[60:61]
	v_add_f64_e32 v[86:87], v[76:77], v[62:63]
	v_fmaak_f64 v[64:65], v[82:83], v[64:65], 0x3fc99999999952cc
	v_add_f64_e64 v[66:67], v[80:81], -v[70:71]
	v_add_f64_e64 v[68:69], v[84:85], -v[74:75]
	s_delay_alu instid0(VALU_DEP_3) | instskip(NEXT) | instid1(VALU_DEP_1)
	v_fmaak_f64 v[64:65], v[82:83], v[64:65], 0xbfd5555555555523
	v_mul_f64_e32 v[64:65], v[82:83], v[64:65]
	v_add_f64_e64 v[70:71], v[78:79], -v[72:73]
	v_add_f64_e64 v[72:73], v[86:87], -v[76:77]
	v_add_f64_e32 v[50:51], v[50:51], v[66:67]
	v_add_f64_e32 v[54:55], v[54:55], v[68:69]
	v_fmac_f64_e32 v[56:57], v[56:57], v[64:65]
	v_add_f64_e64 v[60:61], v[60:61], -v[70:71]
	v_add_f64_e64 v[62:63], v[62:63], -v[72:73]
	s_delay_alu instid0(VALU_DEP_3) | instskip(NEXT) | instid1(VALU_DEP_3)
	v_add_f64_e64 v[64:65], -v[56:57], s[16:17]
	v_add_f64_e32 v[50:51], v[50:51], v[60:61]
	s_delay_alu instid0(VALU_DEP_3) | instskip(SKIP_4) | instid1(VALU_DEP_4)
	v_add_f64_e32 v[54:55], v[54:55], v[62:63]
	v_ashrrev_i32_e32 v62, 31, v15
	v_cndmask_b32_e64 v63, 0x54442d18, v48, s6
	v_dual_cndmask_b32 v57, v57, v65 :: v_dual_cndmask_b32 v56, v56, v64
	v_cmp_class_f64_e64 vcc_lo, v[52:53], 0x204
	v_and_b32_e32 v64, 0x54442d18, v62
	s_delay_alu instid0(VALU_DEP_3) | instskip(SKIP_1) | instid1(VALU_DEP_2)
	v_add_f64_e64 v[60:61], -v[56:57], s[18:19]
	v_add_f64_e32 v[50:51], v[78:79], v[50:51]
	v_dual_add_f64 v[54:55], v[86:87], v[54:55] :: v_dual_cndmask_b32 v56, v56, v60, s6
	s_delay_alu instid0(VALU_DEP_2) | instskip(SKIP_1) | instid1(VALU_DEP_3)
	v_dual_cndmask_b32 v50, v50, v52 :: v_dual_cndmask_b32 v51, v51, v53
	v_cmp_neq_f64_e32 vcc_lo, 0, v[52:53]
	v_dual_cndmask_b32 v52, v54, v16, s5 :: v_dual_cndmask_b32 v53, v55, v17, s5
	v_cmp_neq_f64_e64 s5, 0, v[16:17]
	v_and_b32_e32 v16, 0x400921fb, v62
	v_cndmask_b32_e64 v17, v57, v61, s6
	v_cndmask_b32_e64 v54, 0x3fe921fb, v49, s6
	;; [unrolled: 1-line block ×3, first 2 shown]
	s_and_b32 s6, s31, s33
	s_delay_alu instid0(VALU_DEP_1) | instid1(SALU_CYCLE_1)
	v_dual_cndmask_b32 v16, v17, v16, s7 :: v_dual_cndmask_b32 v55, v55, v63, s6
	s_delay_alu instid0(VALU_DEP_1)
	v_cndmask_b32_e64 v54, v16, v54, s6
	v_cmp_o_f64_e64 s6, v[14:15], v[58:59]
	v_cndmask_b32_e32 v15, 0xfff00000, v51, vcc_lo
	v_cndmask_b32_e32 v14, 0, v50, vcc_lo
	v_cndmask_b32_e64 v17, 0xfff00000, v53, s5
	v_cndmask_b32_e64 v16, 0, v52, s5
	s_delay_alu instid0(VALU_DEP_1) | instskip(SKIP_2) | instid1(VALU_DEP_2)
	v_add_f64_e64 v[16:17], v[14:15], -v[16:17]
	v_cndmask_b32_e64 v15, 0x7ff80000, v54, s6
	v_cndmask_b32_e64 v14, 0, v55, s6
	v_bfi_b32 v15, 0x7fffffff, v15, v59
	s_delay_alu instid0(VALU_DEP_1) | instskip(SKIP_1) | instid1(VALU_DEP_1)
	v_mul_f64_e32 v[14:15], 0.5, v[14:15]
	v_ldexp_f64 v[50:51], v[16:17], -2
	v_fma_f64 v[16:17], 0x80000000, v[14:15], -v[50:51]
	v_fmac_f64_e32 v[14:15], 0x80000000, v[50:51]
	global_store_b128 v[46:47], v[14:17], off
	s_wait_xcnt 0x0
	s_or_b32 exec_lo, exec_lo, s30
	s_and_saveexec_b32 s7, s4
	s_cbranch_execz .LBB73_13
.LBB73_17:                              ;   in Loop: Header=BB73_4 Depth=1
	s_wait_loadcnt 0x0
	v_fma_f64 v[16:17], v[10:11], 0, -v[12:13]
	v_fmac_f64_e32 v[10:11], 0, v[12:13]
	s_delay_alu instid0(VALU_DEP_2) | instskip(NEXT) | instid1(VALU_DEP_2)
	v_add_f64_e32 v[14:15], 1.0, v[16:17]
	v_mul_f64_e32 v[12:13], v[10:11], v[10:11]
	v_add_f64_e64 v[46:47], -v[16:17], 1.0
	v_fma_f64 v[16:17], -v[16:17], v[16:17], 1.0
	s_delay_alu instid0(VALU_DEP_3) | instskip(NEXT) | instid1(VALU_DEP_3)
	v_fma_f64 v[14:15], v[14:15], v[14:15], v[12:13]
	v_fmac_f64_e32 v[12:13], v[46:47], v[46:47]
	s_delay_alu instid0(VALU_DEP_2) | instskip(NEXT) | instid1(VALU_DEP_2)
	v_frexp_mant_f64_e32 v[46:47], v[14:15]
	v_frexp_mant_f64_e32 v[50:51], v[12:13]
	v_frexp_exp_i32_f64_e32 v82, v[14:15]
	v_frexp_exp_i32_f64_e32 v83, v[12:13]
	s_delay_alu instid0(VALU_DEP_4) | instskip(NEXT) | instid1(VALU_DEP_4)
	v_cmp_gt_f64_e32 vcc_lo, s[20:21], v[46:47]
	v_cmp_gt_f64_e64 s4, s[20:21], v[50:51]
	v_cndmask_b32_e64 v52, 0, 1, vcc_lo
	s_delay_alu instid0(VALU_DEP_2) | instskip(NEXT) | instid1(VALU_DEP_2)
	v_cndmask_b32_e64 v53, 0, 1, s4
	v_ldexp_f64 v[46:47], v[46:47], v52
	s_delay_alu instid0(VALU_DEP_2) | instskip(NEXT) | instid1(VALU_DEP_2)
	v_ldexp_f64 v[50:51], v[50:51], v53
	v_add_f64_e32 v[52:53], 1.0, v[46:47]
	s_delay_alu instid0(VALU_DEP_2) | instskip(SKIP_1) | instid1(VALU_DEP_3)
	v_add_f64_e32 v[54:55], 1.0, v[50:51]
	v_add_f64_e32 v[64:65], -1.0, v[46:47]
	v_rcp_f64_e32 v[56:57], v[52:53]
	s_delay_alu instid0(VALU_DEP_2) | instskip(SKIP_2) | instid1(VALU_DEP_2)
	v_rcp_f64_e32 v[58:59], v[54:55]
	v_add_f64_e32 v[68:69], -1.0, v[52:53]
	v_add_f64_e32 v[72:73], -1.0, v[54:55]
	v_add_f64_e64 v[46:47], v[46:47], -v[68:69]
	s_delay_alu instid0(TRANS32_DEP_2) | instskip(NEXT) | instid1(TRANS32_DEP_1)
	v_fma_f64 v[60:61], -v[52:53], v[56:57], 1.0
	v_fma_f64 v[62:63], -v[54:55], v[58:59], 1.0
	s_delay_alu instid0(VALU_DEP_2) | instskip(NEXT) | instid1(VALU_DEP_2)
	v_fmac_f64_e32 v[56:57], v[60:61], v[56:57]
	v_fmac_f64_e32 v[58:59], v[62:63], v[58:59]
	s_delay_alu instid0(VALU_DEP_2) | instskip(NEXT) | instid1(VALU_DEP_2)
	v_fma_f64 v[60:61], -v[52:53], v[56:57], 1.0
	v_fma_f64 v[62:63], -v[54:55], v[58:59], 1.0
	s_delay_alu instid0(VALU_DEP_2) | instskip(NEXT) | instid1(VALU_DEP_2)
	v_fmac_f64_e32 v[56:57], v[60:61], v[56:57]
	v_fmac_f64_e32 v[58:59], v[62:63], v[58:59]
	v_add_f64_e32 v[60:61], -1.0, v[50:51]
	v_add_f64_e64 v[50:51], v[50:51], -v[72:73]
	s_delay_alu instid0(VALU_DEP_4) | instskip(NEXT) | instid1(VALU_DEP_3)
	v_mul_f64_e32 v[62:63], v[64:65], v[56:57]
	v_mul_f64_e32 v[66:67], v[60:61], v[58:59]
	s_delay_alu instid0(VALU_DEP_2) | instskip(NEXT) | instid1(VALU_DEP_2)
	v_mul_f64_e32 v[70:71], v[52:53], v[62:63]
	v_mul_f64_e32 v[74:75], v[54:55], v[66:67]
	s_delay_alu instid0(VALU_DEP_2) | instskip(NEXT) | instid1(VALU_DEP_2)
	v_fma_f64 v[52:53], v[62:63], v[52:53], -v[70:71]
	v_fma_f64 v[54:55], v[66:67], v[54:55], -v[74:75]
	s_delay_alu instid0(VALU_DEP_2) | instskip(NEXT) | instid1(VALU_DEP_2)
	v_fmac_f64_e32 v[52:53], v[62:63], v[46:47]
	v_fmac_f64_e32 v[54:55], v[66:67], v[50:51]
	s_delay_alu instid0(VALU_DEP_2) | instskip(NEXT) | instid1(VALU_DEP_2)
	v_add_f64_e32 v[46:47], v[70:71], v[52:53]
	v_add_f64_e32 v[50:51], v[74:75], v[54:55]
	s_delay_alu instid0(VALU_DEP_2) | instskip(SKIP_1) | instid1(VALU_DEP_3)
	v_add_f64_e64 v[68:69], v[64:65], -v[46:47]
	v_add_f64_e64 v[70:71], v[46:47], -v[70:71]
	;; [unrolled: 1-line block ×4, first 2 shown]
	s_delay_alu instid0(VALU_DEP_4) | instskip(NEXT) | instid1(VALU_DEP_4)
	v_add_f64_e64 v[64:65], v[64:65], -v[68:69]
	v_add_f64_e64 v[52:53], v[70:71], -v[52:53]
	s_delay_alu instid0(VALU_DEP_3) | instskip(NEXT) | instid1(VALU_DEP_3)
	v_add_f64_e64 v[54:55], v[74:75], -v[54:55]
	v_add_f64_e64 v[46:47], v[64:65], -v[46:47]
	s_delay_alu instid0(VALU_DEP_1) | instskip(SKIP_2) | instid1(VALU_DEP_3)
	v_add_f64_e32 v[46:47], v[52:53], v[46:47]
	v_add_f64_e32 v[52:53], v[10:11], v[10:11]
	v_fma_f64 v[10:11], -v[10:11], v[10:11], v[16:17]
	v_add_f64_e32 v[46:47], v[68:69], v[46:47]
	s_delay_alu instid0(VALU_DEP_3) | instskip(NEXT) | instid1(VALU_DEP_3)
	v_cmp_eq_f64_e64 s6, 0, v[52:53]
	v_cmp_gt_i32_e64 s5, 0, v11
	v_add_f64_e64 v[60:61], v[60:61], -v[72:73]
	v_cmp_class_f64_e64 s30, v[52:53], 0x204
	v_cmp_class_f64_e64 s31, v[10:11], 0x204
	v_mul_f64_e32 v[16:17], v[56:57], v[46:47]
	s_delay_alu instid0(VALU_DEP_4) | instskip(NEXT) | instid1(VALU_DEP_2)
	v_add_f64_e64 v[50:51], v[60:61], -v[50:51]
	v_add_f64_e32 v[56:57], v[62:63], v[16:17]
	s_delay_alu instid0(VALU_DEP_2) | instskip(SKIP_1) | instid1(VALU_DEP_3)
	v_add_f64_e32 v[50:51], v[54:55], v[50:51]
	v_min_num_f64_e64 v[54:55], |v[10:11]|, |v[52:53]|
	v_mul_f64_e32 v[64:65], v[56:57], v[56:57]
	s_delay_alu instid0(VALU_DEP_3) | instskip(NEXT) | instid1(VALU_DEP_2)
	v_add_f64_e32 v[50:51], v[72:73], v[50:51]
	v_fmamk_f64 v[72:73], v[64:65], 0x3fc3ab76bf559e2b, v[30:31]
	v_mul_f64_e32 v[76:77], v[56:57], v[64:65]
	s_delay_alu instid0(VALU_DEP_3) | instskip(SKIP_1) | instid1(VALU_DEP_4)
	v_mul_f64_e32 v[46:47], v[58:59], v[50:51]
	v_max_num_f64_e64 v[50:51], |v[10:11]|, |v[52:53]|
	v_fmaak_f64 v[72:73], v[64:65], v[72:73], 0x3fc7474dd7f4df2e
	s_delay_alu instid0(VALU_DEP_1) | instskip(NEXT) | instid1(VALU_DEP_1)
	v_fmaak_f64 v[72:73], v[64:65], v[72:73], 0x3fcc71c016291751
	v_fmaak_f64 v[72:73], v[64:65], v[72:73], 0x3fd249249b27acf1
	s_delay_alu instid0(VALU_DEP_1) | instskip(SKIP_2) | instid1(VALU_DEP_3)
	v_fmaak_f64 v[72:73], v[64:65], v[72:73], 0x3fd99999998ef7b6
	v_add_f64_e32 v[58:59], v[66:67], v[46:47]
	v_div_scale_f64 v[60:61], null, v[50:51], v[50:51], v[54:55]
	v_fmaak_f64 v[64:65], v[64:65], v[72:73], 0x3fe5555555555780
	v_ldexp_f64 v[72:73], v[56:57], 1
	v_add_f64_e64 v[56:57], v[56:57], -v[62:63]
	s_delay_alu instid0(VALU_DEP_3) | instskip(SKIP_1) | instid1(VALU_DEP_1)
	v_mul_f64_e32 v[64:65], v[76:77], v[64:65]
	v_subrev_co_ci_u32_e64 v76, null, 0, v82, vcc_lo
	v_cvt_f64_i32_e32 v[76:77], v76
	v_mul_f64_e32 v[68:69], v[58:59], v[58:59]
	v_rcp_f64_e32 v[70:71], v[60:61]
	v_add_f64_e64 v[16:17], v[16:17], -v[56:57]
	v_add_f64_e32 v[62:63], v[72:73], v[64:65]
	s_delay_alu instid0(VALU_DEP_3) | instskip(SKIP_1) | instid1(VALU_DEP_4)
	v_fmamk_f64 v[74:75], v[68:69], 0x3fc3ab76bf559e2b, v[30:31]
	v_mul_f64_e32 v[78:79], v[58:59], v[68:69]
	v_ldexp_f64 v[16:17], v[16:17], 1
	s_delay_alu instid0(VALU_DEP_3) | instskip(NEXT) | instid1(TRANS32_DEP_1)
	v_fmaak_f64 v[74:75], v[68:69], v[74:75], 0x3fc7474dd7f4df2e
	v_fma_f64 v[80:81], -v[60:61], v[70:71], 1.0
	v_add_f64_e64 v[56:57], v[62:63], -v[72:73]
	s_delay_alu instid0(VALU_DEP_3) | instskip(NEXT) | instid1(VALU_DEP_1)
	v_fmaak_f64 v[74:75], v[68:69], v[74:75], 0x3fcc71c016291751
	v_fmaak_f64 v[74:75], v[68:69], v[74:75], 0x3fd249249b27acf1
	s_delay_alu instid0(VALU_DEP_1) | instskip(NEXT) | instid1(VALU_DEP_1)
	v_fmaak_f64 v[74:75], v[68:69], v[74:75], 0x3fd99999998ef7b6
	v_fmaak_f64 v[68:69], v[68:69], v[74:75], 0x3fe5555555555780
	v_ldexp_f64 v[74:75], v[58:59], 1
	v_add_f64_e64 v[58:59], v[58:59], -v[66:67]
	v_fmac_f64_e32 v[70:71], v[70:71], v[80:81]
	s_delay_alu instid0(VALU_DEP_4) | instskip(SKIP_4) | instid1(VALU_DEP_4)
	v_mul_f64_e32 v[68:69], v[78:79], v[68:69]
	v_subrev_co_ci_u32_e64 v78, null, 0, v83, s4
	v_mul_f64_e32 v[82:83], 0x3fe62e42fefa39ef, v[76:77]
	v_add_f64_e64 v[56:57], v[64:65], -v[56:57]
	v_cmp_class_f64_e64 s4, v[12:13], 0x204
	v_cvt_f64_i32_e32 v[78:79], v78
	v_add_f64_e64 v[46:47], v[46:47], -v[58:59]
	v_fma_f64 v[80:81], -v[60:61], v[70:71], 1.0
	v_add_f64_e32 v[66:67], v[74:75], v[68:69]
	v_add_f64_e32 v[16:17], v[16:17], v[56:57]
	v_mul_f64_e32 v[72:73], 0x3fe62e42fefa39ef, v[78:79]
	v_ldexp_f64 v[46:47], v[46:47], 1
	v_fmac_f64_e32 v[70:71], v[70:71], v[80:81]
	v_fma_f64 v[80:81], v[76:77], s[22:23], -v[82:83]
	v_add_f64_e64 v[58:59], v[66:67], -v[74:75]
	v_div_scale_f64 v[74:75], vcc_lo, v[54:55], v[50:51], v[54:55]
	v_fma_f64 v[64:65], v[78:79], s[22:23], -v[72:73]
	s_delay_alu instid0(VALU_DEP_4) | instskip(NEXT) | instid1(VALU_DEP_4)
	v_fmac_f64_e32 v[80:81], 0x3c7abc9e3b39803f, v[76:77]
	v_add_f64_e64 v[58:59], v[68:69], -v[58:59]
	s_delay_alu instid0(VALU_DEP_4) | instskip(NEXT) | instid1(VALU_DEP_4)
	v_mul_f64_e32 v[68:69], v[74:75], v[70:71]
	v_fmac_f64_e32 v[64:65], 0x3c7abc9e3b39803f, v[78:79]
	s_delay_alu instid0(VALU_DEP_3) | instskip(NEXT) | instid1(VALU_DEP_3)
	v_add_f64_e32 v[46:47], v[46:47], v[58:59]
	v_fma_f64 v[56:57], -v[60:61], v[68:69], v[74:75]
	v_add_f64_e32 v[58:59], v[82:83], v[80:81]
	v_add_f64_e32 v[60:61], v[62:63], v[16:17]
	;; [unrolled: 1-line block ×4, first 2 shown]
	v_div_fmas_f64 v[56:57], v[56:57], v[70:71], v[68:69]
	v_add_f64_e64 v[82:83], v[58:59], -v[82:83]
	v_add_f64_e32 v[68:69], v[58:59], v[60:61]
	v_add_f64_e64 v[62:63], v[60:61], -v[62:63]
	v_cmp_lt_f64_e64 vcc_lo, |v[10:11]|, |v[52:53]|
	v_add_f64_e64 v[72:73], v[74:75], -v[72:73]
	v_add_f64_e32 v[70:71], v[74:75], v[76:77]
	v_div_fixup_f64 v[50:51], v[56:57], v[50:51], v[54:55]
	v_add_f64_e64 v[66:67], v[76:77], -v[66:67]
	v_add_f64_e64 v[54:55], v[68:69], -v[58:59]
	;; [unrolled: 1-line block ×6, first 2 shown]
	v_mul_f64_e32 v[78:79], v[50:51], v[50:51]
	v_add_f64_e64 v[46:47], v[46:47], -v[66:67]
	v_add_f64_e64 v[84:85], v[68:69], -v[54:55]
	;; [unrolled: 1-line block ×3, first 2 shown]
	v_add_f64_e32 v[66:67], v[80:81], v[16:17]
	v_add_f64_e64 v[86:87], v[70:71], -v[56:57]
	v_fmamk_f64 v[88:89], v[78:79], 0x3eeba404b5e68a13, v[24:25]
	v_add_f64_e64 v[56:57], v[76:77], -v[56:57]
	v_add_f64_e64 v[58:59], v[58:59], -v[84:85]
	s_delay_alu instid0(VALU_DEP_3) | instskip(NEXT) | instid1(VALU_DEP_1)
	v_fmaak_f64 v[88:89], v[78:79], v[88:89], 0x3f4b2bb069efb384
	v_fmaak_f64 v[88:89], v[78:79], v[88:89], 0xbf67952daf56de9b
	s_delay_alu instid0(VALU_DEP_1) | instskip(NEXT) | instid1(VALU_DEP_1)
	v_fmaak_f64 v[72:73], v[78:79], v[88:89], 0x3f7d6d43a595c56f
	v_fmaak_f64 v[62:63], v[78:79], v[72:73], 0xbf8c6ea4a57d9582
	v_add_f64_e64 v[60:61], v[74:75], -v[86:87]
	v_add_f64_e32 v[54:55], v[54:55], v[58:59]
	s_delay_alu instid0(VALU_DEP_3) | instskip(SKIP_1) | instid1(VALU_DEP_2)
	v_fmaak_f64 v[62:63], v[78:79], v[62:63], 0x3f967e295f08b19f
	v_add_f64_e32 v[58:59], v[64:65], v[46:47]
	v_fmaak_f64 v[62:63], v[78:79], v[62:63], 0xbf9e9ae6fc27006a
	s_delay_alu instid0(VALU_DEP_1) | instskip(SKIP_1) | instid1(VALU_DEP_2)
	v_fmaak_f64 v[62:63], v[78:79], v[62:63], 0x3fa2c15b5711927a
	v_add_f64_e32 v[56:57], v[56:57], v[60:61]
	v_fmaak_f64 v[60:61], v[78:79], v[62:63], 0xbfa59976e82d3ff0
	v_add_f64_e64 v[62:63], v[66:67], -v[80:81]
	v_add_f64_e32 v[54:55], v[66:67], v[54:55]
	v_add_f64_e64 v[72:73], v[58:59], -v[64:65]
	s_delay_alu instid0(VALU_DEP_4) | instskip(NEXT) | instid1(VALU_DEP_1)
	v_fmaak_f64 v[60:61], v[78:79], v[60:61], 0x3fa82d5d6ef28734
	v_fmaak_f64 v[60:61], v[78:79], v[60:61], 0xbfaae5ce6a214619
	s_delay_alu instid0(VALU_DEP_1) | instskip(NEXT) | instid1(VALU_DEP_1)
	v_fmaak_f64 v[60:61], v[78:79], v[60:61], 0x3fae1bb48427b883
	v_fmaak_f64 v[60:61], v[78:79], v[60:61], 0xbfb110e48b207f05
	v_add_f64_e32 v[56:57], v[58:59], v[56:57]
	v_add_f64_e64 v[66:67], v[66:67], -v[62:63]
	v_add_f64_e32 v[74:75], v[68:69], v[54:55]
	s_delay_alu instid0(VALU_DEP_4) | instskip(SKIP_3) | instid1(VALU_DEP_4)
	v_fmaak_f64 v[60:61], v[78:79], v[60:61], 0x3fb3b13657b87036
	v_add_f64_e64 v[58:59], v[58:59], -v[72:73]
	v_add_f64_e64 v[16:17], v[16:17], -v[62:63]
	;; [unrolled: 1-line block ×3, first 2 shown]
	v_fmaak_f64 v[60:61], v[78:79], v[60:61], 0xbfb745d119378e4f
	s_delay_alu instid0(VALU_DEP_1) | instskip(NEXT) | instid1(VALU_DEP_1)
	v_fmaak_f64 v[60:61], v[78:79], v[60:61], 0x3fbc71c717e1913c
	v_fmaak_f64 v[60:61], v[78:79], v[60:61], 0xbfc2492492376b7d
	s_delay_alu instid0(VALU_DEP_1)
	v_fmaak_f64 v[60:61], v[78:79], v[60:61], 0x3fc99999999952cc
	v_add_f64_e32 v[76:77], v[70:71], v[56:57]
	v_add_f64_e64 v[62:63], v[80:81], -v[66:67]
	v_add_f64_e64 v[66:67], v[74:75], -v[68:69]
	v_add_f64_e64 v[58:59], v[64:65], -v[58:59]
	v_fmaak_f64 v[60:61], v[78:79], v[60:61], 0xbfd5555555555523
	s_delay_alu instid0(VALU_DEP_1)
	v_mul_f64_e32 v[60:61], v[78:79], v[60:61]
	v_add_f64_e64 v[64:65], v[76:77], -v[70:71]
	v_add_f64_e32 v[16:17], v[16:17], v[62:63]
	v_add_f64_e64 v[54:55], v[54:55], -v[66:67]
	v_add_f64_e32 v[46:47], v[46:47], v[58:59]
	v_fmac_f64_e32 v[50:51], v[50:51], v[60:61]
	v_add_f64_e64 v[56:57], v[56:57], -v[64:65]
	s_delay_alu instid0(VALU_DEP_4) | instskip(NEXT) | instid1(VALU_DEP_3)
	v_add_f64_e32 v[16:17], v[16:17], v[54:55]
	v_add_f64_e64 v[58:59], -v[50:51], s[16:17]
	s_delay_alu instid0(VALU_DEP_3) | instskip(NEXT) | instid1(VALU_DEP_3)
	v_dual_add_f64 v[46:47], v[46:47], v[56:57] :: v_dual_ashrrev_i32 v56, 31, v11
	v_add_f64_e32 v[16:17], v[74:75], v[16:17]
	v_cndmask_b32_e64 v57, 0x54442d18, v48, s5
	s_delay_alu instid0(VALU_DEP_4) | instskip(SKIP_2) | instid1(VALU_DEP_3)
	v_dual_cndmask_b32 v51, v51, v59 :: v_dual_cndmask_b32 v50, v50, v58
	v_cmp_class_f64_e64 vcc_lo, v[14:15], 0x204
	v_and_b32_e32 v58, 0x54442d18, v56
	v_add_f64_e64 v[54:55], -v[50:51], s[18:19]
	v_add_f64_e32 v[46:47], v[76:77], v[46:47]
	v_dual_cndmask_b32 v16, v16, v14 :: v_dual_cndmask_b32 v17, v17, v15
	v_cmp_neq_f64_e32 vcc_lo, 0, v[14:15]
	s_delay_alu instid0(VALU_DEP_4) | instskip(NEXT) | instid1(VALU_DEP_4)
	v_cndmask_b32_e64 v50, v50, v54, s5
	v_dual_cndmask_b32 v14, v46, v12, s4 :: v_dual_cndmask_b32 v15, v47, v13, s4
	v_cmp_neq_f64_e64 s4, 0, v[12:13]
	v_and_b32_e32 v12, 0x400921fb, v56
	v_cndmask_b32_e64 v13, v51, v55, s5
	v_cndmask_b32_e64 v46, 0x3fe921fb, v49, s5
	;; [unrolled: 1-line block ×3, first 2 shown]
	s_and_b32 s5, s30, s31
	s_delay_alu instid0(VALU_DEP_1) | instid1(SALU_CYCLE_1)
	v_dual_cndmask_b32 v12, v13, v12, s6 :: v_dual_cndmask_b32 v47, v47, v57, s5
	s_delay_alu instid0(VALU_DEP_1)
	v_cndmask_b32_e64 v46, v12, v46, s5
	v_cmp_o_f64_e64 s5, v[10:11], v[52:53]
	v_cndmask_b32_e32 v11, 0xfff00000, v17, vcc_lo
	v_cndmask_b32_e32 v10, 0, v16, vcc_lo
	v_cndmask_b32_e64 v13, 0xfff00000, v15, s4
	v_cndmask_b32_e64 v12, 0, v14, s4
	s_delay_alu instid0(VALU_DEP_1) | instskip(SKIP_2) | instid1(VALU_DEP_2)
	v_add_f64_e64 v[10:11], v[10:11], -v[12:13]
	v_cndmask_b32_e64 v13, 0x7ff80000, v46, s5
	v_cndmask_b32_e64 v12, 0, v47, s5
	v_bfi_b32 v13, 0x7fffffff, v13, v53
	s_delay_alu instid0(VALU_DEP_1) | instskip(SKIP_1) | instid1(VALU_DEP_1)
	v_mul_f64_e32 v[14:15], 0.5, v[12:13]
	v_ldexp_f64 v[10:11], v[10:11], -2
	v_fma_f64 v[12:13], 0x80000000, v[14:15], -v[10:11]
	v_fmamk_f64 v[10:11], v[10:11], 0x80000000, v[14:15]
	global_store_b128 v[44:45], v[10:13], off
	s_wait_xcnt 0x0
	s_or_b32 exec_lo, exec_lo, s7
	s_and_saveexec_b32 s6, s3
	s_cbranch_execz .LBB73_14
.LBB73_18:                              ;   in Loop: Header=BB73_4 Depth=1
	s_wait_loadcnt 0x0
	v_fma_f64 v[12:13], v[6:7], 0, -v[8:9]
	v_fmac_f64_e32 v[6:7], 0, v[8:9]
	s_delay_alu instid0(VALU_DEP_2) | instskip(NEXT) | instid1(VALU_DEP_2)
	v_add_f64_e32 v[10:11], 1.0, v[12:13]
	v_mul_f64_e32 v[8:9], v[6:7], v[6:7]
	v_add_f64_e64 v[14:15], -v[12:13], 1.0
	v_fma_f64 v[12:13], -v[12:13], v[12:13], 1.0
	s_delay_alu instid0(VALU_DEP_3) | instskip(NEXT) | instid1(VALU_DEP_3)
	v_fma_f64 v[10:11], v[10:11], v[10:11], v[8:9]
	v_fmac_f64_e32 v[8:9], v[14:15], v[14:15]
	s_delay_alu instid0(VALU_DEP_2) | instskip(NEXT) | instid1(VALU_DEP_2)
	v_frexp_mant_f64_e32 v[14:15], v[10:11]
	v_frexp_mant_f64_e32 v[16:17], v[8:9]
	v_frexp_exp_i32_f64_e32 v76, v[10:11]
	v_frexp_exp_i32_f64_e32 v77, v[8:9]
	s_delay_alu instid0(VALU_DEP_4) | instskip(NEXT) | instid1(VALU_DEP_4)
	v_cmp_gt_f64_e32 vcc_lo, s[20:21], v[14:15]
	v_cmp_gt_f64_e64 s3, s[20:21], v[16:17]
	v_cndmask_b32_e64 v44, 0, 1, vcc_lo
	s_delay_alu instid0(VALU_DEP_2) | instskip(NEXT) | instid1(VALU_DEP_2)
	v_cndmask_b32_e64 v45, 0, 1, s3
	v_ldexp_f64 v[14:15], v[14:15], v44
	s_delay_alu instid0(VALU_DEP_2) | instskip(NEXT) | instid1(VALU_DEP_2)
	v_ldexp_f64 v[16:17], v[16:17], v45
	v_add_f64_e32 v[44:45], 1.0, v[14:15]
	s_delay_alu instid0(VALU_DEP_2) | instskip(SKIP_1) | instid1(VALU_DEP_3)
	v_add_f64_e32 v[46:47], 1.0, v[16:17]
	v_add_f64_e32 v[58:59], -1.0, v[14:15]
	v_rcp_f64_e32 v[50:51], v[44:45]
	s_delay_alu instid0(VALU_DEP_2) | instskip(SKIP_1) | instid1(VALU_DEP_1)
	v_rcp_f64_e32 v[52:53], v[46:47]
	v_add_f64_e32 v[62:63], -1.0, v[44:45]
	v_add_f64_e64 v[14:15], v[14:15], -v[62:63]
	s_delay_alu instid0(TRANS32_DEP_2) | instskip(NEXT) | instid1(TRANS32_DEP_1)
	v_fma_f64 v[54:55], -v[44:45], v[50:51], 1.0
	v_fma_f64 v[56:57], -v[46:47], v[52:53], 1.0
	s_delay_alu instid0(VALU_DEP_2) | instskip(NEXT) | instid1(VALU_DEP_2)
	v_fmac_f64_e32 v[50:51], v[54:55], v[50:51]
	v_fmac_f64_e32 v[52:53], v[56:57], v[52:53]
	s_delay_alu instid0(VALU_DEP_2) | instskip(NEXT) | instid1(VALU_DEP_2)
	v_fma_f64 v[54:55], -v[44:45], v[50:51], 1.0
	v_fma_f64 v[56:57], -v[46:47], v[52:53], 1.0
	s_delay_alu instid0(VALU_DEP_2) | instskip(NEXT) | instid1(VALU_DEP_2)
	v_fmac_f64_e32 v[50:51], v[54:55], v[50:51]
	v_fmac_f64_e32 v[52:53], v[56:57], v[52:53]
	s_delay_alu instid0(VALU_DEP_2) | instskip(NEXT) | instid1(VALU_DEP_1)
	v_mul_f64_e32 v[56:57], v[58:59], v[50:51]
	v_mul_f64_e32 v[64:65], v[44:45], v[56:57]
	s_delay_alu instid0(VALU_DEP_1) | instskip(NEXT) | instid1(VALU_DEP_1)
	v_fma_f64 v[44:45], v[56:57], v[44:45], -v[64:65]
	v_fmac_f64_e32 v[44:45], v[56:57], v[14:15]
	s_delay_alu instid0(VALU_DEP_1) | instskip(NEXT) | instid1(VALU_DEP_1)
	v_add_f64_e32 v[14:15], v[64:65], v[44:45]
	v_add_f64_e64 v[62:63], v[58:59], -v[14:15]
	v_add_f64_e64 v[64:65], v[14:15], -v[64:65]
	s_delay_alu instid0(VALU_DEP_2) | instskip(NEXT) | instid1(VALU_DEP_2)
	v_add_f64_e64 v[58:59], v[58:59], -v[62:63]
	v_add_f64_e64 v[44:45], v[64:65], -v[44:45]
	s_delay_alu instid0(VALU_DEP_2) | instskip(NEXT) | instid1(VALU_DEP_1)
	v_add_f64_e64 v[14:15], v[58:59], -v[14:15]
	v_add_f64_e32 v[14:15], v[44:45], v[14:15]
	v_add_f64_e32 v[44:45], v[6:7], v[6:7]
	v_fma_f64 v[6:7], -v[6:7], v[6:7], v[12:13]
	s_delay_alu instid0(VALU_DEP_3) | instskip(NEXT) | instid1(VALU_DEP_3)
	v_add_f64_e32 v[14:15], v[62:63], v[14:15]
	v_cmp_eq_f64_e64 s5, 0, v[44:45]
	s_delay_alu instid0(VALU_DEP_3)
	v_cmp_gt_i32_e64 s4, 0, v7
	v_add_f64_e32 v[54:55], -1.0, v[16:17]
	v_add_f64_e32 v[66:67], -1.0, v[46:47]
	v_cmp_class_f64_e64 s7, v[44:45], 0x204
	v_cmp_class_f64_e64 s30, v[6:7], 0x204
	v_mul_f64_e32 v[12:13], v[50:51], v[14:15]
	v_mul_f64_e32 v[60:61], v[54:55], v[52:53]
	v_add_f64_e64 v[16:17], v[16:17], -v[66:67]
	s_delay_alu instid0(VALU_DEP_3) | instskip(NEXT) | instid1(VALU_DEP_3)
	v_add_f64_e32 v[50:51], v[56:57], v[12:13]
	v_mul_f64_e32 v[68:69], v[46:47], v[60:61]
	s_delay_alu instid0(VALU_DEP_2) | instskip(NEXT) | instid1(VALU_DEP_2)
	v_mul_f64_e32 v[58:59], v[50:51], v[50:51]
	v_fma_f64 v[46:47], v[60:61], v[46:47], -v[68:69]
	s_delay_alu instid0(VALU_DEP_2) | instskip(NEXT) | instid1(VALU_DEP_2)
	v_mul_f64_e32 v[70:71], v[50:51], v[58:59]
	v_fmac_f64_e32 v[46:47], v[60:61], v[16:17]
	s_delay_alu instid0(VALU_DEP_1) | instskip(NEXT) | instid1(VALU_DEP_1)
	v_add_f64_e32 v[16:17], v[68:69], v[46:47]
	v_add_f64_e64 v[66:67], v[54:55], -v[16:17]
	v_add_f64_e64 v[68:69], v[16:17], -v[68:69]
	s_delay_alu instid0(VALU_DEP_2) | instskip(NEXT) | instid1(VALU_DEP_2)
	v_add_f64_e64 v[54:55], v[54:55], -v[66:67]
	v_add_f64_e64 v[46:47], v[68:69], -v[46:47]
	s_delay_alu instid0(VALU_DEP_2) | instskip(NEXT) | instid1(VALU_DEP_1)
	v_add_f64_e64 v[16:17], v[54:55], -v[16:17]
	v_add_f64_e32 v[16:17], v[46:47], v[16:17]
	v_min_num_f64_e64 v[46:47], |v[6:7]|, |v[44:45]|
	s_delay_alu instid0(VALU_DEP_2) | instskip(SKIP_1) | instid1(VALU_DEP_1)
	v_add_f64_e32 v[16:17], v[66:67], v[16:17]
	v_fmamk_f64 v[66:67], v[58:59], 0x3fc3ab76bf559e2b, v[30:31]
	v_fmaak_f64 v[66:67], v[58:59], v[66:67], 0x3fc7474dd7f4df2e
	s_delay_alu instid0(VALU_DEP_1) | instskip(NEXT) | instid1(VALU_DEP_1)
	v_fmaak_f64 v[66:67], v[58:59], v[66:67], 0x3fcc71c016291751
	v_fmaak_f64 v[66:67], v[58:59], v[66:67], 0x3fd249249b27acf1
	s_delay_alu instid0(VALU_DEP_1) | instskip(SKIP_2) | instid1(VALU_DEP_3)
	v_fmaak_f64 v[66:67], v[58:59], v[66:67], 0x3fd99999998ef7b6
	v_mul_f64_e32 v[14:15], v[52:53], v[16:17]
	v_max_num_f64_e64 v[16:17], |v[6:7]|, |v[44:45]|
	v_fmaak_f64 v[58:59], v[58:59], v[66:67], 0x3fe5555555555780
	v_ldexp_f64 v[66:67], v[50:51], 1
	v_add_f64_e64 v[50:51], v[50:51], -v[56:57]
	s_delay_alu instid0(VALU_DEP_3) | instskip(SKIP_1) | instid1(VALU_DEP_1)
	v_mul_f64_e32 v[58:59], v[70:71], v[58:59]
	v_subrev_co_ci_u32_e64 v70, null, 0, v76, vcc_lo
	v_cvt_f64_i32_e32 v[70:71], v70
	v_add_f64_e32 v[52:53], v[60:61], v[14:15]
	v_div_scale_f64 v[54:55], null, v[16:17], v[16:17], v[46:47]
	v_add_f64_e64 v[12:13], v[12:13], -v[50:51]
	v_add_f64_e32 v[56:57], v[66:67], v[58:59]
	s_delay_alu instid0(VALU_DEP_4) | instskip(NEXT) | instid1(VALU_DEP_4)
	v_mul_f64_e32 v[62:63], v[52:53], v[52:53]
	v_rcp_f64_e32 v[64:65], v[54:55]
	s_delay_alu instid0(VALU_DEP_3) | instskip(NEXT) | instid1(VALU_DEP_3)
	v_ldexp_f64 v[12:13], v[12:13], 1
	v_add_f64_e64 v[50:51], v[56:57], -v[66:67]
	s_delay_alu instid0(VALU_DEP_3) | instskip(SKIP_1) | instid1(TRANS32_DEP_1)
	v_fmamk_f64 v[68:69], v[62:63], 0x3fc3ab76bf559e2b, v[30:31]
	v_mul_f64_e32 v[72:73], v[52:53], v[62:63]
	v_fma_f64 v[74:75], -v[54:55], v[64:65], 1.0
	s_delay_alu instid0(VALU_DEP_3) | instskip(SKIP_1) | instid1(VALU_DEP_2)
	v_fmaak_f64 v[68:69], v[62:63], v[68:69], 0x3fc7474dd7f4df2e
	v_add_f64_e64 v[50:51], v[58:59], -v[50:51]
	v_fmaak_f64 v[68:69], v[62:63], v[68:69], 0x3fcc71c016291751
	s_delay_alu instid0(VALU_DEP_1) | instskip(NEXT) | instid1(VALU_DEP_1)
	v_fmaak_f64 v[68:69], v[62:63], v[68:69], 0x3fd249249b27acf1
	v_fmaak_f64 v[68:69], v[62:63], v[68:69], 0x3fd99999998ef7b6
	s_delay_alu instid0(VALU_DEP_1) | instskip(SKIP_3) | instid1(VALU_DEP_4)
	v_fmaak_f64 v[62:63], v[62:63], v[68:69], 0x3fe5555555555780
	v_ldexp_f64 v[68:69], v[52:53], 1
	v_add_f64_e64 v[52:53], v[52:53], -v[60:61]
	v_fmac_f64_e32 v[64:65], v[64:65], v[74:75]
	v_mul_f64_e32 v[62:63], v[72:73], v[62:63]
	v_subrev_co_ci_u32_e64 v72, null, 0, v77, s3
	v_mul_f64_e32 v[76:77], 0x3fe62e42fefa39ef, v[70:71]
	v_add_f64_e32 v[12:13], v[12:13], v[50:51]
	v_cmp_class_f64_e64 s3, v[8:9], 0x204
	s_delay_alu instid0(VALU_DEP_4) | instskip(SKIP_3) | instid1(VALU_DEP_4)
	v_cvt_f64_i32_e32 v[72:73], v72
	v_add_f64_e64 v[14:15], v[14:15], -v[52:53]
	v_fma_f64 v[74:75], -v[54:55], v[64:65], 1.0
	v_add_f64_e32 v[60:61], v[68:69], v[62:63]
	v_mul_f64_e32 v[66:67], 0x3fe62e42fefa39ef, v[72:73]
	s_delay_alu instid0(VALU_DEP_4) | instskip(NEXT) | instid1(VALU_DEP_4)
	v_ldexp_f64 v[14:15], v[14:15], 1
	v_fmac_f64_e32 v[64:65], v[64:65], v[74:75]
	v_fma_f64 v[74:75], v[70:71], s[22:23], -v[76:77]
	v_add_f64_e64 v[52:53], v[60:61], -v[68:69]
	v_div_scale_f64 v[68:69], vcc_lo, v[46:47], v[16:17], v[46:47]
	v_fma_f64 v[58:59], v[72:73], s[22:23], -v[66:67]
	s_delay_alu instid0(VALU_DEP_4) | instskip(NEXT) | instid1(VALU_DEP_4)
	v_fmac_f64_e32 v[74:75], 0x3c7abc9e3b39803f, v[70:71]
	v_add_f64_e64 v[52:53], v[62:63], -v[52:53]
	s_delay_alu instid0(VALU_DEP_4) | instskip(NEXT) | instid1(VALU_DEP_4)
	v_mul_f64_e32 v[62:63], v[68:69], v[64:65]
	v_fmac_f64_e32 v[58:59], 0x3c7abc9e3b39803f, v[72:73]
	s_delay_alu instid0(VALU_DEP_3) | instskip(NEXT) | instid1(VALU_DEP_3)
	v_add_f64_e32 v[14:15], v[14:15], v[52:53]
	v_fma_f64 v[50:51], -v[54:55], v[62:63], v[68:69]
	v_add_f64_e32 v[52:53], v[76:77], v[74:75]
	v_add_f64_e32 v[54:55], v[56:57], v[12:13]
	;; [unrolled: 1-line block ×4, first 2 shown]
	v_div_fmas_f64 v[50:51], v[50:51], v[64:65], v[62:63]
	v_add_f64_e64 v[76:77], v[52:53], -v[76:77]
	v_add_f64_e32 v[62:63], v[52:53], v[54:55]
	v_add_f64_e64 v[56:57], v[54:55], -v[56:57]
	v_cmp_lt_f64_e64 vcc_lo, |v[6:7]|, |v[44:45]|
	v_add_f64_e64 v[66:67], v[68:69], -v[66:67]
	v_add_f64_e32 v[64:65], v[68:69], v[70:71]
	v_div_fixup_f64 v[16:17], v[50:51], v[16:17], v[46:47]
	v_add_f64_e64 v[60:61], v[70:71], -v[60:61]
	v_add_f64_e64 v[46:47], v[62:63], -v[52:53]
	;; [unrolled: 1-line block ×6, first 2 shown]
	v_mul_f64_e32 v[72:73], v[16:17], v[16:17]
	v_add_f64_e64 v[14:15], v[14:15], -v[60:61]
	v_add_f64_e64 v[78:79], v[62:63], -v[46:47]
	;; [unrolled: 1-line block ×3, first 2 shown]
	v_add_f64_e32 v[60:61], v[74:75], v[12:13]
	v_add_f64_e64 v[80:81], v[64:65], -v[50:51]
	v_fmamk_f64 v[82:83], v[72:73], 0x3eeba404b5e68a13, v[24:25]
	v_add_f64_e64 v[50:51], v[70:71], -v[50:51]
	v_add_f64_e64 v[52:53], v[52:53], -v[78:79]
	s_delay_alu instid0(VALU_DEP_3) | instskip(NEXT) | instid1(VALU_DEP_1)
	v_fmaak_f64 v[82:83], v[72:73], v[82:83], 0x3f4b2bb069efb384
	v_fmaak_f64 v[82:83], v[72:73], v[82:83], 0xbf67952daf56de9b
	s_delay_alu instid0(VALU_DEP_1) | instskip(NEXT) | instid1(VALU_DEP_1)
	v_fmaak_f64 v[66:67], v[72:73], v[82:83], 0x3f7d6d43a595c56f
	v_fmaak_f64 v[56:57], v[72:73], v[66:67], 0xbf8c6ea4a57d9582
	v_add_f64_e64 v[54:55], v[68:69], -v[80:81]
	v_add_f64_e32 v[46:47], v[46:47], v[52:53]
	s_delay_alu instid0(VALU_DEP_3) | instskip(SKIP_1) | instid1(VALU_DEP_2)
	v_fmaak_f64 v[56:57], v[72:73], v[56:57], 0x3f967e295f08b19f
	v_add_f64_e32 v[52:53], v[58:59], v[14:15]
	v_fmaak_f64 v[56:57], v[72:73], v[56:57], 0xbf9e9ae6fc27006a
	s_delay_alu instid0(VALU_DEP_1) | instskip(SKIP_1) | instid1(VALU_DEP_2)
	v_fmaak_f64 v[56:57], v[72:73], v[56:57], 0x3fa2c15b5711927a
	v_add_f64_e32 v[50:51], v[50:51], v[54:55]
	v_fmaak_f64 v[54:55], v[72:73], v[56:57], 0xbfa59976e82d3ff0
	v_add_f64_e64 v[56:57], v[60:61], -v[74:75]
	v_add_f64_e32 v[46:47], v[60:61], v[46:47]
	v_add_f64_e64 v[66:67], v[52:53], -v[58:59]
	s_delay_alu instid0(VALU_DEP_4) | instskip(NEXT) | instid1(VALU_DEP_1)
	v_fmaak_f64 v[54:55], v[72:73], v[54:55], 0x3fa82d5d6ef28734
	v_fmaak_f64 v[54:55], v[72:73], v[54:55], 0xbfaae5ce6a214619
	s_delay_alu instid0(VALU_DEP_1) | instskip(NEXT) | instid1(VALU_DEP_1)
	v_fmaak_f64 v[54:55], v[72:73], v[54:55], 0x3fae1bb48427b883
	v_fmaak_f64 v[54:55], v[72:73], v[54:55], 0xbfb110e48b207f05
	v_add_f64_e32 v[50:51], v[52:53], v[50:51]
	v_add_f64_e64 v[60:61], v[60:61], -v[56:57]
	v_add_f64_e32 v[68:69], v[62:63], v[46:47]
	s_delay_alu instid0(VALU_DEP_4) | instskip(SKIP_3) | instid1(VALU_DEP_4)
	v_fmaak_f64 v[54:55], v[72:73], v[54:55], 0x3fb3b13657b87036
	v_add_f64_e64 v[52:53], v[52:53], -v[66:67]
	v_add_f64_e64 v[12:13], v[12:13], -v[56:57]
	;; [unrolled: 1-line block ×3, first 2 shown]
	v_fmaak_f64 v[54:55], v[72:73], v[54:55], 0xbfb745d119378e4f
	s_delay_alu instid0(VALU_DEP_1) | instskip(NEXT) | instid1(VALU_DEP_1)
	v_fmaak_f64 v[54:55], v[72:73], v[54:55], 0x3fbc71c717e1913c
	v_fmaak_f64 v[54:55], v[72:73], v[54:55], 0xbfc2492492376b7d
	s_delay_alu instid0(VALU_DEP_1)
	v_fmaak_f64 v[54:55], v[72:73], v[54:55], 0x3fc99999999952cc
	v_add_f64_e32 v[70:71], v[64:65], v[50:51]
	v_add_f64_e64 v[56:57], v[74:75], -v[60:61]
	v_add_f64_e64 v[60:61], v[68:69], -v[62:63]
	v_add_f64_e64 v[52:53], v[58:59], -v[52:53]
	v_fmaak_f64 v[54:55], v[72:73], v[54:55], 0xbfd5555555555523
	s_delay_alu instid0(VALU_DEP_1)
	v_mul_f64_e32 v[54:55], v[72:73], v[54:55]
	v_add_f64_e64 v[58:59], v[70:71], -v[64:65]
	v_add_f64_e32 v[12:13], v[12:13], v[56:57]
	v_add_f64_e64 v[46:47], v[46:47], -v[60:61]
	v_add_f64_e32 v[14:15], v[14:15], v[52:53]
	v_fmac_f64_e32 v[16:17], v[16:17], v[54:55]
	v_add_f64_e64 v[50:51], v[50:51], -v[58:59]
	s_delay_alu instid0(VALU_DEP_4) | instskip(NEXT) | instid1(VALU_DEP_3)
	v_add_f64_e32 v[12:13], v[12:13], v[46:47]
	v_add_f64_e64 v[52:53], -v[16:17], s[16:17]
	s_delay_alu instid0(VALU_DEP_3) | instskip(NEXT) | instid1(VALU_DEP_3)
	v_add_f64_e32 v[14:15], v[14:15], v[50:51]
	v_dual_add_f64 v[12:13], v[68:69], v[12:13] :: v_dual_ashrrev_i32 v50, 31, v7
	v_cndmask_b32_e64 v51, 0x54442d18, v48, s4
	s_delay_alu instid0(VALU_DEP_4) | instskip(SKIP_1) | instid1(VALU_DEP_4)
	v_dual_cndmask_b32 v17, v17, v53 :: v_dual_cndmask_b32 v16, v16, v52
	v_cmp_class_f64_e64 vcc_lo, v[10:11], 0x204
	v_and_b32_e32 v52, 0x54442d18, v50
	s_delay_alu instid0(VALU_DEP_3) | instskip(SKIP_3) | instid1(VALU_DEP_3)
	v_add_f64_e64 v[46:47], -v[16:17], s[18:19]
	v_add_f64_e32 v[14:15], v[70:71], v[14:15]
	v_dual_cndmask_b32 v12, v12, v10 :: v_dual_cndmask_b32 v13, v13, v11
	v_cmp_neq_f64_e32 vcc_lo, 0, v[10:11]
	v_dual_cndmask_b32 v16, v16, v46, s4 :: v_dual_cndmask_b32 v10, v14, v8, s3
	s_delay_alu instid0(VALU_DEP_4)
	v_cndmask_b32_e64 v11, v15, v9, s3
	v_cmp_neq_f64_e64 s3, 0, v[8:9]
	v_and_b32_e32 v8, 0x400921fb, v50
	v_cndmask_b32_e64 v9, v17, v47, s4
	v_cndmask_b32_e64 v14, 0x3fe921fb, v49, s4
	;; [unrolled: 1-line block ×3, first 2 shown]
	s_and_b32 s4, s7, s30
	s_delay_alu instid0(VALU_DEP_1) | instid1(SALU_CYCLE_1)
	v_dual_cndmask_b32 v8, v9, v8, s5 :: v_dual_cndmask_b32 v15, v15, v51, s4
	s_delay_alu instid0(VALU_DEP_1)
	v_cndmask_b32_e64 v14, v8, v14, s4
	v_cmp_o_f64_e64 s4, v[6:7], v[44:45]
	v_cndmask_b32_e32 v7, 0xfff00000, v13, vcc_lo
	v_cndmask_b32_e32 v6, 0, v12, vcc_lo
	v_cndmask_b32_e64 v9, 0xfff00000, v11, s3
	v_cndmask_b32_e64 v8, 0, v10, s3
	s_delay_alu instid0(VALU_DEP_1) | instskip(SKIP_2) | instid1(VALU_DEP_2)
	v_add_f64_e64 v[6:7], v[6:7], -v[8:9]
	v_cndmask_b32_e64 v9, 0x7ff80000, v14, s4
	v_cndmask_b32_e64 v8, 0, v15, s4
	v_bfi_b32 v9, 0x7fffffff, v9, v45
	s_delay_alu instid0(VALU_DEP_1) | instskip(SKIP_1) | instid1(VALU_DEP_1)
	v_mul_f64_e32 v[10:11], 0.5, v[8:9]
	v_ldexp_f64 v[6:7], v[6:7], -2
	v_fma_f64 v[8:9], 0x80000000, v[10:11], -v[6:7]
	v_fmamk_f64 v[6:7], v[6:7], 0x80000000, v[10:11]
	global_store_b128 v[42:43], v[6:9], off offset:-8
	s_wait_xcnt 0x0
	s_or_b32 exec_lo, exec_lo, s6
	s_and_saveexec_b32 s5, s2
	s_cbranch_execz .LBB73_3
.LBB73_19:                              ;   in Loop: Header=BB73_4 Depth=1
	s_wait_loadcnt 0x0
	v_fma_f64 v[8:9], v[2:3], 0, -v[4:5]
	v_fmac_f64_e32 v[2:3], 0, v[4:5]
	s_delay_alu instid0(VALU_DEP_2) | instskip(NEXT) | instid1(VALU_DEP_2)
	v_add_f64_e32 v[6:7], 1.0, v[8:9]
	v_mul_f64_e32 v[4:5], v[2:3], v[2:3]
	v_add_f64_e64 v[10:11], -v[8:9], 1.0
	v_fma_f64 v[8:9], -v[8:9], v[8:9], 1.0
	s_delay_alu instid0(VALU_DEP_3) | instskip(NEXT) | instid1(VALU_DEP_3)
	v_fma_f64 v[6:7], v[6:7], v[6:7], v[4:5]
	v_fmac_f64_e32 v[4:5], v[10:11], v[10:11]
	s_delay_alu instid0(VALU_DEP_2) | instskip(NEXT) | instid1(VALU_DEP_2)
	v_frexp_mant_f64_e32 v[10:11], v[6:7]
	v_frexp_mant_f64_e32 v[12:13], v[4:5]
	v_frexp_exp_i32_f64_e32 v70, v[6:7]
	v_frexp_exp_i32_f64_e32 v71, v[4:5]
	s_delay_alu instid0(VALU_DEP_4) | instskip(NEXT) | instid1(VALU_DEP_4)
	v_cmp_gt_f64_e32 vcc_lo, s[20:21], v[10:11]
	v_cmp_gt_f64_e64 s2, s[20:21], v[12:13]
	v_cndmask_b32_e64 v14, 0, 1, vcc_lo
	s_delay_alu instid0(VALU_DEP_2) | instskip(NEXT) | instid1(VALU_DEP_2)
	v_cndmask_b32_e64 v15, 0, 1, s2
	v_ldexp_f64 v[10:11], v[10:11], v14
	s_delay_alu instid0(VALU_DEP_2) | instskip(NEXT) | instid1(VALU_DEP_2)
	v_ldexp_f64 v[12:13], v[12:13], v15
	v_add_f64_e32 v[14:15], 1.0, v[10:11]
	s_delay_alu instid0(VALU_DEP_2) | instskip(SKIP_1) | instid1(VALU_DEP_3)
	v_add_f64_e32 v[16:17], 1.0, v[12:13]
	v_add_f64_e32 v[52:53], -1.0, v[10:11]
	v_rcp_f64_e32 v[42:43], v[14:15]
	s_delay_alu instid0(VALU_DEP_2) | instskip(SKIP_2) | instid1(VALU_DEP_2)
	v_rcp_f64_e32 v[44:45], v[16:17]
	v_add_f64_e32 v[56:57], -1.0, v[14:15]
	v_add_f64_e32 v[60:61], -1.0, v[16:17]
	v_add_f64_e64 v[10:11], v[10:11], -v[56:57]
	s_delay_alu instid0(TRANS32_DEP_2) | instskip(NEXT) | instid1(TRANS32_DEP_1)
	v_fma_f64 v[46:47], -v[14:15], v[42:43], 1.0
	v_fma_f64 v[50:51], -v[16:17], v[44:45], 1.0
	s_delay_alu instid0(VALU_DEP_2) | instskip(NEXT) | instid1(VALU_DEP_2)
	v_fmac_f64_e32 v[42:43], v[46:47], v[42:43]
	v_fmac_f64_e32 v[44:45], v[50:51], v[44:45]
	s_delay_alu instid0(VALU_DEP_2) | instskip(NEXT) | instid1(VALU_DEP_2)
	v_fma_f64 v[46:47], -v[14:15], v[42:43], 1.0
	v_fma_f64 v[50:51], -v[16:17], v[44:45], 1.0
	s_delay_alu instid0(VALU_DEP_2) | instskip(SKIP_1) | instid1(VALU_DEP_3)
	v_fmac_f64_e32 v[42:43], v[46:47], v[42:43]
	v_add_f64_e32 v[46:47], -1.0, v[12:13]
	v_fmac_f64_e32 v[44:45], v[50:51], v[44:45]
	v_add_f64_e64 v[12:13], v[12:13], -v[60:61]
	s_delay_alu instid0(VALU_DEP_4) | instskip(NEXT) | instid1(VALU_DEP_3)
	v_mul_f64_e32 v[50:51], v[52:53], v[42:43]
	v_mul_f64_e32 v[54:55], v[46:47], v[44:45]
	s_delay_alu instid0(VALU_DEP_2) | instskip(NEXT) | instid1(VALU_DEP_2)
	v_mul_f64_e32 v[58:59], v[14:15], v[50:51]
	v_mul_f64_e32 v[62:63], v[16:17], v[54:55]
	s_delay_alu instid0(VALU_DEP_2) | instskip(NEXT) | instid1(VALU_DEP_2)
	v_fma_f64 v[14:15], v[50:51], v[14:15], -v[58:59]
	v_fma_f64 v[16:17], v[54:55], v[16:17], -v[62:63]
	s_delay_alu instid0(VALU_DEP_2) | instskip(NEXT) | instid1(VALU_DEP_2)
	v_fmac_f64_e32 v[14:15], v[50:51], v[10:11]
	v_fmac_f64_e32 v[16:17], v[54:55], v[12:13]
	s_delay_alu instid0(VALU_DEP_2) | instskip(NEXT) | instid1(VALU_DEP_2)
	v_add_f64_e32 v[10:11], v[58:59], v[14:15]
	v_add_f64_e32 v[12:13], v[62:63], v[16:17]
	s_delay_alu instid0(VALU_DEP_2) | instskip(SKIP_1) | instid1(VALU_DEP_3)
	v_add_f64_e64 v[56:57], v[52:53], -v[10:11]
	v_add_f64_e64 v[58:59], v[10:11], -v[58:59]
	;; [unrolled: 1-line block ×4, first 2 shown]
	s_delay_alu instid0(VALU_DEP_4) | instskip(NEXT) | instid1(VALU_DEP_4)
	v_add_f64_e64 v[52:53], v[52:53], -v[56:57]
	v_add_f64_e64 v[14:15], v[58:59], -v[14:15]
	s_delay_alu instid0(VALU_DEP_4) | instskip(NEXT) | instid1(VALU_DEP_4)
	v_add_f64_e64 v[46:47], v[46:47], -v[60:61]
	v_add_f64_e64 v[16:17], v[62:63], -v[16:17]
	s_delay_alu instid0(VALU_DEP_4) | instskip(NEXT) | instid1(VALU_DEP_3)
	v_add_f64_e64 v[10:11], v[52:53], -v[10:11]
	v_add_f64_e64 v[12:13], v[46:47], -v[12:13]
	s_delay_alu instid0(VALU_DEP_2) | instskip(SKIP_1) | instid1(VALU_DEP_3)
	v_add_f64_e32 v[10:11], v[14:15], v[10:11]
	v_add_f64_e32 v[14:15], v[2:3], v[2:3]
	;; [unrolled: 1-line block ×3, first 2 shown]
	v_fma_f64 v[2:3], -v[2:3], v[2:3], v[8:9]
	s_delay_alu instid0(VALU_DEP_4) | instskip(NEXT) | instid1(VALU_DEP_4)
	v_add_f64_e32 v[10:11], v[56:57], v[10:11]
	v_cmp_eq_f64_e64 s4, 0, v[14:15]
	s_delay_alu instid0(VALU_DEP_4) | instskip(NEXT) | instid1(VALU_DEP_4)
	v_add_f64_e32 v[12:13], v[60:61], v[12:13]
	v_min_num_f64_e64 v[16:17], |v[2:3]|, |v[14:15]|
	v_cmp_class_f64_e64 s6, v[14:15], 0x204
	v_cmp_class_f64_e64 s7, v[2:3], 0x204
	v_cmp_gt_i32_e64 s3, 0, v3
	v_mul_f64_e32 v[8:9], v[42:43], v[10:11]
	v_mul_f64_e32 v[10:11], v[44:45], v[12:13]
	v_max_num_f64_e64 v[12:13], |v[2:3]|, |v[14:15]|
	s_delay_alu instid0(VALU_DEP_3) | instskip(NEXT) | instid1(VALU_DEP_3)
	v_add_f64_e32 v[42:43], v[50:51], v[8:9]
	v_add_f64_e32 v[44:45], v[54:55], v[10:11]
	s_delay_alu instid0(VALU_DEP_3) | instskip(NEXT) | instid1(VALU_DEP_3)
	v_div_scale_f64 v[46:47], null, v[12:13], v[12:13], v[16:17]
	v_mul_f64_e32 v[52:53], v[42:43], v[42:43]
	s_delay_alu instid0(VALU_DEP_3) | instskip(NEXT) | instid1(VALU_DEP_3)
	v_mul_f64_e32 v[56:57], v[44:45], v[44:45]
	v_rcp_f64_e32 v[58:59], v[46:47]
	s_delay_alu instid0(VALU_DEP_2) | instskip(SKIP_1) | instid1(VALU_DEP_3)
	v_fmamk_f64 v[60:61], v[52:53], 0x3fc3ab76bf559e2b, v[30:31]
	v_mul_f64_e32 v[64:65], v[42:43], v[52:53]
	v_fmamk_f64 v[62:63], v[56:57], 0x3fc3ab76bf559e2b, v[30:31]
	v_mul_f64_e32 v[66:67], v[44:45], v[56:57]
	s_delay_alu instid0(VALU_DEP_4) | instskip(NEXT) | instid1(VALU_DEP_3)
	v_fmaak_f64 v[60:61], v[52:53], v[60:61], 0x3fc7474dd7f4df2e
	v_fmaak_f64 v[62:63], v[56:57], v[62:63], 0x3fc7474dd7f4df2e
	s_delay_alu instid0(TRANS32_DEP_1) | instskip(NEXT) | instid1(VALU_DEP_3)
	v_fma_f64 v[68:69], -v[46:47], v[58:59], 1.0
	v_fmaak_f64 v[60:61], v[52:53], v[60:61], 0x3fcc71c016291751
	s_delay_alu instid0(VALU_DEP_3) | instskip(NEXT) | instid1(VALU_DEP_2)
	v_fmaak_f64 v[62:63], v[56:57], v[62:63], 0x3fcc71c016291751
	v_fmaak_f64 v[60:61], v[52:53], v[60:61], 0x3fd249249b27acf1
	s_delay_alu instid0(VALU_DEP_2) | instskip(NEXT) | instid1(VALU_DEP_2)
	v_fmaak_f64 v[62:63], v[56:57], v[62:63], 0x3fd249249b27acf1
	v_fmaak_f64 v[60:61], v[52:53], v[60:61], 0x3fd99999998ef7b6
	s_delay_alu instid0(VALU_DEP_2) | instskip(NEXT) | instid1(VALU_DEP_2)
	v_fmaak_f64 v[62:63], v[56:57], v[62:63], 0x3fd99999998ef7b6
	v_fmaak_f64 v[52:53], v[52:53], v[60:61], 0x3fe5555555555780
	v_ldexp_f64 v[60:61], v[42:43], 1
	s_delay_alu instid0(VALU_DEP_3)
	v_fmaak_f64 v[56:57], v[56:57], v[62:63], 0x3fe5555555555780
	v_ldexp_f64 v[62:63], v[44:45], 1
	v_add_f64_e64 v[42:43], v[42:43], -v[50:51]
	v_add_f64_e64 v[44:45], v[44:45], -v[54:55]
	v_mul_f64_e32 v[52:53], v[64:65], v[52:53]
	v_fmac_f64_e32 v[58:59], v[58:59], v[68:69]
	v_mul_f64_e32 v[56:57], v[66:67], v[56:57]
	v_subrev_co_ci_u32_e64 v64, null, 0, v70, vcc_lo
	v_subrev_co_ci_u32_e64 v66, null, 0, v71, s2
	v_cmp_class_f64_e64 s2, v[4:5], 0x204
	s_delay_alu instid0(VALU_DEP_3) | instskip(NEXT) | instid1(VALU_DEP_3)
	v_cvt_f64_i32_e32 v[64:65], v64
	v_cvt_f64_i32_e32 v[66:67], v66
	v_add_f64_e64 v[8:9], v[8:9], -v[42:43]
	v_add_f64_e64 v[10:11], v[10:11], -v[44:45]
	v_add_f64_e32 v[50:51], v[60:61], v[52:53]
	v_fma_f64 v[68:69], -v[46:47], v[58:59], 1.0
	v_add_f64_e32 v[54:55], v[62:63], v[56:57]
	v_mul_f64_e32 v[70:71], 0x3fe62e42fefa39ef, v[64:65]
	v_ldexp_f64 v[8:9], v[8:9], 1
	v_ldexp_f64 v[10:11], v[10:11], 1
	v_add_f64_e64 v[42:43], v[50:51], -v[60:61]
	v_mul_f64_e32 v[60:61], 0x3fe62e42fefa39ef, v[66:67]
	v_add_f64_e64 v[44:45], v[54:55], -v[62:63]
	v_div_scale_f64 v[62:63], vcc_lo, v[16:17], v[12:13], v[16:17]
	v_fmac_f64_e32 v[58:59], v[58:59], v[68:69]
	v_fma_f64 v[68:69], v[64:65], s[22:23], -v[70:71]
	v_add_f64_e64 v[42:43], v[52:53], -v[42:43]
	v_fma_f64 v[52:53], v[66:67], s[22:23], -v[60:61]
	v_add_f64_e64 v[44:45], v[56:57], -v[44:45]
	v_mul_f64_e32 v[56:57], v[62:63], v[58:59]
	v_fmac_f64_e32 v[68:69], 0x3c7abc9e3b39803f, v[64:65]
	v_add_f64_e32 v[8:9], v[8:9], v[42:43]
	v_fmac_f64_e32 v[52:53], 0x3c7abc9e3b39803f, v[66:67]
	v_add_f64_e32 v[10:11], v[10:11], v[44:45]
	v_fma_f64 v[42:43], -v[46:47], v[56:57], v[62:63]
	v_add_f64_e32 v[44:45], v[70:71], v[68:69]
	v_add_f64_e32 v[46:47], v[50:51], v[8:9]
	;; [unrolled: 1-line block ×4, first 2 shown]
	v_div_fmas_f64 v[42:43], v[42:43], v[58:59], v[56:57]
	v_cmp_lt_f64_e64 vcc_lo, |v[2:3]|, |v[14:15]|
	v_add_f64_e64 v[70:71], v[44:45], -v[70:71]
	v_add_f64_e32 v[56:57], v[44:45], v[46:47]
	v_add_f64_e64 v[60:61], v[62:63], -v[60:61]
	v_add_f64_e32 v[58:59], v[62:63], v[64:65]
	v_add_f64_e64 v[50:51], v[46:47], -v[50:51]
	v_add_f64_e64 v[54:55], v[64:65], -v[54:55]
	v_div_fixup_f64 v[12:13], v[42:43], v[12:13], v[16:17]
	v_add_f64_e64 v[68:69], v[68:69], -v[70:71]
	v_add_f64_e64 v[16:17], v[56:57], -v[44:45]
	;; [unrolled: 1-line block ×6, first 2 shown]
	v_mul_f64_e32 v[66:67], v[12:13], v[12:13]
	v_add_f64_e64 v[72:73], v[56:57], -v[16:17]
	v_add_f64_e64 v[16:17], v[46:47], -v[16:17]
	;; [unrolled: 1-line block ×4, first 2 shown]
	v_add_f64_e32 v[54:55], v[68:69], v[8:9]
	v_fmamk_f64 v[76:77], v[66:67], 0x3eeba404b5e68a13, v[24:25]
	s_delay_alu instid0(VALU_DEP_1) | instskip(NEXT) | instid1(VALU_DEP_1)
	v_fmaak_f64 v[76:77], v[66:67], v[76:77], 0x3f4b2bb069efb384
	v_fmaak_f64 v[76:77], v[66:67], v[76:77], 0xbf67952daf56de9b
	s_delay_alu instid0(VALU_DEP_1) | instskip(SKIP_1) | instid1(VALU_DEP_2)
	v_fmaak_f64 v[60:61], v[66:67], v[76:77], 0x3f7d6d43a595c56f
	v_add_f64_e64 v[44:45], v[44:45], -v[72:73]
	v_fmaak_f64 v[50:51], v[66:67], v[60:61], 0xbf8c6ea4a57d9582
	v_add_f64_e64 v[46:47], v[62:63], -v[74:75]
	s_delay_alu instid0(VALU_DEP_2) | instskip(NEXT) | instid1(VALU_DEP_1)
	v_fmaak_f64 v[50:51], v[66:67], v[50:51], 0x3f967e295f08b19f
	v_fmaak_f64 v[50:51], v[66:67], v[50:51], 0xbf9e9ae6fc27006a
	s_delay_alu instid0(VALU_DEP_1) | instskip(SKIP_3) | instid1(VALU_DEP_4)
	v_fmaak_f64 v[50:51], v[66:67], v[50:51], 0x3fa2c15b5711927a
	v_add_f64_e32 v[16:17], v[16:17], v[44:45]
	v_add_f64_e32 v[44:45], v[52:53], v[10:11]
	;; [unrolled: 1-line block ×3, first 2 shown]
	v_fmaak_f64 v[46:47], v[66:67], v[50:51], 0xbfa59976e82d3ff0
	v_add_f64_e64 v[50:51], v[54:55], -v[68:69]
	s_delay_alu instid0(VALU_DEP_2) | instskip(NEXT) | instid1(VALU_DEP_1)
	v_fmaak_f64 v[46:47], v[66:67], v[46:47], 0x3fa82d5d6ef28734
	v_fmaak_f64 v[46:47], v[66:67], v[46:47], 0xbfaae5ce6a214619
	s_delay_alu instid0(VALU_DEP_1) | instskip(NEXT) | instid1(VALU_DEP_1)
	v_fmaak_f64 v[46:47], v[66:67], v[46:47], 0x3fae1bb48427b883
	v_fmaak_f64 v[46:47], v[66:67], v[46:47], 0xbfb110e48b207f05
	v_add_f64_e32 v[16:17], v[54:55], v[16:17]
	v_add_f64_e64 v[60:61], v[44:45], -v[52:53]
	v_add_f64_e32 v[42:43], v[44:45], v[42:43]
	v_add_f64_e64 v[54:55], v[54:55], -v[50:51]
	v_add_f64_e64 v[8:9], v[8:9], -v[50:51]
	v_fmaak_f64 v[46:47], v[66:67], v[46:47], 0x3fb3b13657b87036
	s_delay_alu instid0(VALU_DEP_1) | instskip(NEXT) | instid1(VALU_DEP_1)
	v_fmaak_f64 v[46:47], v[66:67], v[46:47], 0xbfb745d119378e4f
	v_fmaak_f64 v[46:47], v[66:67], v[46:47], 0x3fbc71c717e1913c
	s_delay_alu instid0(VALU_DEP_1) | instskip(SKIP_3) | instid1(VALU_DEP_4)
	v_fmaak_f64 v[46:47], v[66:67], v[46:47], 0xbfc2492492376b7d
	v_add_f64_e32 v[62:63], v[56:57], v[16:17]
	v_add_f64_e64 v[44:45], v[44:45], -v[60:61]
	v_add_f64_e32 v[64:65], v[58:59], v[42:43]
	v_fmaak_f64 v[46:47], v[66:67], v[46:47], 0x3fc99999999952cc
	v_add_f64_e64 v[50:51], v[68:69], -v[54:55]
	v_add_f64_e64 v[10:11], v[10:11], -v[60:61]
	s_delay_alu instid0(VALU_DEP_3) | instskip(NEXT) | instid1(VALU_DEP_1)
	v_fmaak_f64 v[46:47], v[66:67], v[46:47], 0xbfd5555555555523
	v_mul_f64_e32 v[46:47], v[66:67], v[46:47]
	v_add_f64_e64 v[54:55], v[62:63], -v[56:57]
	v_add_f64_e64 v[44:45], v[52:53], -v[44:45]
	v_add_f64_e64 v[52:53], v[64:65], -v[58:59]
	v_add_f64_e32 v[8:9], v[8:9], v[50:51]
	v_fmac_f64_e32 v[12:13], v[12:13], v[46:47]
	v_add_f64_e64 v[16:17], v[16:17], -v[54:55]
	v_add_f64_e32 v[10:11], v[10:11], v[44:45]
	v_add_f64_e64 v[42:43], v[42:43], -v[52:53]
	s_delay_alu instid0(VALU_DEP_4) | instskip(NEXT) | instid1(VALU_DEP_4)
	v_add_f64_e64 v[44:45], -v[12:13], s[16:17]
	v_add_f64_e32 v[8:9], v[8:9], v[16:17]
	s_delay_alu instid0(VALU_DEP_3) | instskip(SKIP_4) | instid1(VALU_DEP_4)
	v_add_f64_e32 v[10:11], v[10:11], v[42:43]
	v_ashrrev_i32_e32 v42, 31, v3
	v_cndmask_b32_e64 v43, 0x54442d18, v48, s3
	v_dual_cndmask_b32 v13, v13, v45 :: v_dual_cndmask_b32 v12, v12, v44
	v_cmp_class_f64_e64 vcc_lo, v[6:7], 0x204
	v_and_b32_e32 v44, 0x54442d18, v42
	s_delay_alu instid0(VALU_DEP_3) | instskip(SKIP_2) | instid1(VALU_DEP_3)
	v_add_f64_e64 v[16:17], -v[12:13], s[18:19]
	v_add_f64_e32 v[8:9], v[62:63], v[8:9]
	v_add_f64_e32 v[10:11], v[64:65], v[10:11]
	v_cndmask_b32_e64 v12, v12, v16, s3
	s_delay_alu instid0(VALU_DEP_3) | instskip(SKIP_1) | instid1(VALU_DEP_4)
	v_dual_cndmask_b32 v8, v8, v6 :: v_dual_cndmask_b32 v9, v9, v7
	v_cmp_neq_f64_e32 vcc_lo, 0, v[6:7]
	v_dual_cndmask_b32 v6, v10, v4, s2 :: v_dual_cndmask_b32 v7, v11, v5, s2
	v_cmp_neq_f64_e64 s2, 0, v[4:5]
	v_and_b32_e32 v4, 0x400921fb, v42
	v_cndmask_b32_e64 v5, v13, v17, s3
	v_cndmask_b32_e64 v10, 0x3fe921fb, v49, s3
	;; [unrolled: 1-line block ×3, first 2 shown]
	s_and_b32 s3, s6, s7
	s_delay_alu instid0(VALU_DEP_1) | instid1(SALU_CYCLE_1)
	v_dual_cndmask_b32 v4, v5, v4, s4 :: v_dual_cndmask_b32 v11, v11, v43, s3
	s_delay_alu instid0(VALU_DEP_1)
	v_cndmask_b32_e64 v10, v4, v10, s3
	v_cmp_o_f64_e64 s3, v[2:3], v[14:15]
	v_cndmask_b32_e32 v3, 0xfff00000, v9, vcc_lo
	v_cndmask_b32_e32 v2, 0, v8, vcc_lo
	v_cndmask_b32_e64 v5, 0xfff00000, v7, s2
	v_cndmask_b32_e64 v4, 0, v6, s2
	s_delay_alu instid0(VALU_DEP_1) | instskip(SKIP_2) | instid1(VALU_DEP_2)
	v_add_f64_e64 v[2:3], v[2:3], -v[4:5]
	v_cndmask_b32_e64 v5, 0x7ff80000, v10, s3
	v_cndmask_b32_e64 v4, 0, v11, s3
	v_bfi_b32 v5, 0x7fffffff, v5, v15
	s_delay_alu instid0(VALU_DEP_1) | instskip(SKIP_1) | instid1(VALU_DEP_1)
	v_mul_f64_e32 v[6:7], 0.5, v[4:5]
	v_ldexp_f64 v[2:3], v[2:3], -2
	v_fma_f64 v[4:5], 0x80000000, v[6:7], -v[2:3]
	v_fmamk_f64 v[2:3], v[2:3], 0x80000000, v[6:7]
	global_store_b128 v[40:41], v[2:5], off offset:-8
	s_branch .LBB73_3
.LBB73_20:
	s_cbranch_execz .LBB73_22
	s_branch .LBB73_25
.LBB73_21:
.LBB73_22:
	v_min_i64 v[18:19], 0x10000, s[12:13]
	s_wait_loadcnt 0x0
	v_dual_mov_b32 v3, 0 :: v_dual_lshlrev_b32 v2, 2, v0
	s_mov_b32 s2, exec_lo
	s_delay_alu instid0(VALU_DEP_1)
	v_cmpx_lt_i64_e64 v[2:3], v[18:19]
	s_cbranch_execz .LBB73_25
; %bb.23:
	s_load_b32 s2, s[0:1], 0xd3c
	v_dual_mov_b32 v1, v3 :: v_dual_lshlrev_b32 v2, 6, v0
	s_wait_xcnt 0x0
	s_add_nc_u64 s[0:1], s[8:9], s[10:11]
	v_mov_b64_e32 v[20:21], 0x3fc385386b47b09a
	v_mov_b64_e32 v[22:23], 0xbf23e260bd3237f4
	v_mov_b32_e32 v132, 0x7f3321d2
	v_add_nc_u64_e32 v[24:25], s[0:1], v[2:3]
	v_mov_b32_e32 v133, 0x4002d97c
	s_mov_b32 s13, 0
	s_mov_b64 s[14:15], 0x3fe5555555555555
	s_mov_b64 s[16:17], 0x3fe62e42fefa39ef
	s_mov_b64 s[18:19], 0x3ff921fb54442d18
	s_mov_b64 s[20:21], 0x400921fb54442d18
	s_mov_b32 s23, s13
	s_mov_b32 s24, s13
                                        ; implicit-def: $vgpr2_vgpr3
                                        ; implicit-def: $vgpr2_vgpr3
	;; [unrolled: 1-line block ×23, first 2 shown]
	s_wait_kmcnt 0x0
	s_and_b32 s12, s2, 0xffff
	s_delay_alu instid0(SALU_CYCLE_1)
	s_lshl_b32 s22, s12, 6
.LBB73_24:                              ; =>This Inner Loop Header: Depth=1
	s_clause 0x3
	global_load_b128 v[6:9], v[24:25], off
	global_load_b128 v[2:5], v[24:25], off offset:16
	global_load_b128 v[10:13], v[24:25], off offset:32
	;; [unrolled: 1-line block ×3, first 2 shown]
	v_add_nc_u64_e32 v[0:1], s[12:13], v[0:1]
	s_wait_loadcnt 0x3
	v_fma_f64 v[36:37], v[6:7], 0, -v[8:9]
	s_wait_loadcnt 0x2
	v_fma_f64 v[38:39], v[2:3], 0, -v[4:5]
	v_fmac_f64_e32 v[6:7], 0, v[8:9]
	v_fmac_f64_e32 v[2:3], 0, v[4:5]
	s_wait_loadcnt 0x1
	v_fma_f64 v[34:35], v[10:11], 0, -v[12:13]
	v_fmac_f64_e32 v[10:11], 0, v[12:13]
	s_wait_loadcnt 0x0
	v_fma_f64 v[40:41], v[14:15], 0, -v[16:17]
	v_fmac_f64_e32 v[14:15], 0, v[16:17]
	v_add_f64_e32 v[44:45], 1.0, v[36:37]
	v_add_f64_e32 v[26:27], 1.0, v[38:39]
	v_mul_f64_e32 v[12:13], v[6:7], v[6:7]
	v_mul_f64_e32 v[8:9], v[2:3], v[2:3]
	v_add_f64_e64 v[30:31], -v[38:39], 1.0
	v_mul_f64_e32 v[4:5], v[10:11], v[10:11]
	v_add_f64_e32 v[32:33], 1.0, v[34:35]
	v_add_f64_e64 v[46:47], -v[36:37], 1.0
	v_mul_f64_e32 v[16:17], v[14:15], v[14:15]
	v_add_f64_e32 v[48:49], 1.0, v[40:41]
	v_add_f64_e64 v[50:51], -v[40:41], 1.0
	v_add_f64_e64 v[42:43], -v[34:35], 1.0
	v_fma_f64 v[36:37], -v[36:37], v[36:37], 1.0
	v_fma_f64 v[28:29], v[26:27], v[26:27], v[8:9]
	v_fmac_f64_e32 v[8:9], v[30:31], v[30:31]
	v_fma_f64 v[30:31], v[44:45], v[44:45], v[12:13]
	v_fma_f64 v[26:27], v[32:33], v[32:33], v[4:5]
	v_fmac_f64_e32 v[12:13], v[46:47], v[46:47]
	v_fma_f64 v[32:33], v[48:49], v[48:49], v[16:17]
	v_fmac_f64_e32 v[16:17], v[50:51], v[50:51]
	v_fmac_f64_e32 v[4:5], v[42:43], v[42:43]
	v_frexp_mant_f64_e32 v[42:43], v[28:29]
	v_frexp_mant_f64_e32 v[44:45], v[8:9]
	;; [unrolled: 1-line block ×5, first 2 shown]
	v_frexp_exp_i32_f64_e32 v58, v[28:29]
	v_frexp_mant_f64_e32 v[54:55], v[32:33]
	v_frexp_mant_f64_e32 v[56:57], v[16:17]
	;; [unrolled: 1-line block ×3, first 2 shown]
	v_frexp_exp_i32_f64_e32 v59, v[8:9]
	v_frexp_exp_i32_f64_e32 v60, v[26:27]
	;; [unrolled: 1-line block ×3, first 2 shown]
	v_cmp_class_f64_e64 s7, v[12:13], 0x204
	v_cmp_class_f64_e64 s9, v[16:17], 0x204
	v_frexp_exp_i32_f64_e32 v127, v[30:31]
	v_frexp_exp_i32_f64_e32 v186, v[32:33]
	;; [unrolled: 1-line block ×3, first 2 shown]
	v_cmp_gt_f64_e64 s3, s[14:15], v[42:43]
	v_cmp_gt_f64_e64 s4, s[14:15], v[44:45]
	;; [unrolled: 1-line block ×5, first 2 shown]
	v_cmp_gt_f64_e32 vcc_lo, s[14:15], v[54:55]
	v_cmp_gt_f64_e64 s0, s[14:15], v[56:57]
	v_cmp_gt_f64_e64 s6, s[14:15], v[48:49]
	v_subrev_co_ci_u32_e64 v114, null, 0, v58, s3
	v_cndmask_b32_e64 v62, 0, 1, s1
	v_subrev_co_ci_u32_e64 v120, null, 0, v59, s4
	v_cndmask_b32_e64 v63, 0, 1, s2
	v_cndmask_b32_e64 v66, 0, 1, vcc_lo
	v_cndmask_b32_e64 v68, 0, 1, s0
	v_ldexp_f64 v[50:51], v[50:51], v62
	v_subrev_co_ci_u32_e64 v121, null, 0, v60, s5
	v_ldexp_f64 v[64:65], v[52:53], v63
	v_ldexp_f64 v[66:67], v[54:55], v66
	;; [unrolled: 1-line block ×3, first 2 shown]
	v_cndmask_b32_e64 v52, 0, 1, s3
	v_cndmask_b32_e64 v53, 0, 1, s4
	;; [unrolled: 1-line block ×4, first 2 shown]
	v_subrev_co_ci_u32_e64 v126, null, 0, v61, s6
	v_ldexp_f64 v[42:43], v[42:43], v52
	v_ldexp_f64 v[44:45], v[44:45], v53
	;; [unrolled: 1-line block ×4, first 2 shown]
	v_subrev_co_ci_u32_e64 v192, null, 0, v186, vcc_lo
	v_cvt_f64_i32_e32 v[114:115], v114
	v_add_f64_e32 v[70:71], 1.0, v[50:51]
	v_add_f64_e32 v[106:107], -1.0, v[50:51]
	v_add_f64_e32 v[88:89], 1.0, v[64:65]
	v_add_f64_e32 v[92:93], 1.0, v[66:67]
	;; [unrolled: 1-line block ×3, first 2 shown]
	v_add_f64_e32 v[112:113], -1.0, v[64:65]
	v_add_f64_e32 v[118:119], -1.0, v[68:69]
	;; [unrolled: 1-line block ×3, first 2 shown]
	v_add_f64_e32 v[96:97], 1.0, v[42:43]
	v_add_f64_e32 v[100:101], 1.0, v[44:45]
	;; [unrolled: 1-line block ×4, first 2 shown]
	v_add_f64_e32 v[122:123], -1.0, v[42:43]
	v_add_f64_e32 v[124:125], -1.0, v[44:45]
	;; [unrolled: 1-line block ×4, first 2 shown]
	v_rcp_f64_e32 v[84:85], v[70:71]
	v_add_f64_e32 v[108:109], -1.0, v[70:71]
	v_rcp_f64_e32 v[86:87], v[88:89]
	v_rcp_f64_e32 v[98:99], v[92:93]
	;; [unrolled: 1-line block ×3, first 2 shown]
	v_add_f64_e32 v[134:135], -1.0, v[92:93]
	v_add_f64_e32 v[110:111], -1.0, v[88:89]
	;; [unrolled: 1-line block ×3, first 2 shown]
	v_rcp_f64_e32 v[80:81], v[96:97]
	v_rcp_f64_e32 v[78:79], v[100:101]
	;; [unrolled: 1-line block ×4, first 2 shown]
	v_add_f64_e32 v[146:147], -1.0, v[102:103]
	v_add_f64_e32 v[150:151], -1.0, v[104:105]
	v_add_f64_e64 v[50:51], v[50:51], -v[108:109]
	v_add_f64_e32 v[108:109], -1.0, v[96:97]
	v_fma_f64 v[46:47], -v[70:71], v[84:85], 1.0
	v_add_f64_e64 v[66:67], v[66:67], -v[134:135]
	v_add_f64_e64 v[64:65], v[64:65], -v[110:111]
	v_fma_f64 v[52:53], -v[88:89], v[86:87], 1.0
	v_fma_f64 v[54:55], -v[92:93], v[98:99], 1.0
	;; [unrolled: 1-line block ×3, first 2 shown]
	v_add_f64_e32 v[110:111], -1.0, v[100:101]
	v_add_f64_e64 v[68:69], v[68:69], -v[136:137]
	v_add_f64_e64 v[90:91], v[90:91], -v[146:147]
	;; [unrolled: 1-line block ×3, first 2 shown]
	v_fma_f64 v[58:59], -v[96:97], v[80:81], 1.0
	v_add_f64_e64 v[42:43], v[42:43], -v[108:109]
	v_fmac_f64_e32 v[84:85], v[46:47], v[84:85]
	s_delay_alu instid0(TRANS32_DEP_3) | instskip(SKIP_1) | instid1(TRANS32_DEP_2)
	v_fma_f64 v[46:47], -v[100:101], v[78:79], 1.0
	v_fmac_f64_e32 v[86:87], v[52:53], v[86:87]
	v_fma_f64 v[52:53], -v[102:103], v[76:77], 1.0
	v_fmac_f64_e32 v[98:99], v[54:55], v[98:99]
	v_fmac_f64_e32 v[82:83], v[56:57], v[82:83]
	s_delay_alu instid0(TRANS32_DEP_1)
	v_fma_f64 v[54:55], -v[104:105], v[74:75], 1.0
	v_add_f64_e64 v[44:45], v[44:45], -v[110:111]
	v_fmac_f64_e32 v[80:81], v[58:59], v[80:81]
	v_fma_f64 v[56:57], -v[70:71], v[84:85], 1.0
	v_fmac_f64_e32 v[78:79], v[46:47], v[78:79]
	v_fma_f64 v[46:47], -v[88:89], v[86:87], 1.0
	;; [unrolled: 2-line block ×3, first 2 shown]
	v_fma_f64 v[58:59], -v[94:95], v[82:83], 1.0
	v_fmac_f64_e32 v[74:75], v[54:55], v[74:75]
	v_fma_f64 v[54:55], -v[96:97], v[80:81], 1.0
	v_fmac_f64_e32 v[84:85], v[56:57], v[84:85]
	;; [unrolled: 2-line block ×4, first 2 shown]
	v_fmac_f64_e32 v[82:83], v[58:59], v[82:83]
	v_fma_f64 v[52:53], -v[104:105], v[74:75], 1.0
	v_fmac_f64_e32 v[80:81], v[54:55], v[80:81]
	v_mul_f64_e32 v[72:73], v[106:107], v[84:85]
	v_fmac_f64_e32 v[78:79], v[56:57], v[78:79]
	v_mul_f64_e32 v[60:61], v[112:113], v[86:87]
	;; [unrolled: 2-line block ×3, first 2 shown]
	v_mul_f64_e32 v[56:57], v[118:119], v[82:83]
	v_fmac_f64_e32 v[74:75], v[52:53], v[74:75]
	v_mul_f64_e32 v[62:63], v[122:123], v[80:81]
	v_mul_f64_e32 v[138:139], v[70:71], v[72:73]
	;; [unrolled: 1-line block ×9, first 2 shown]
	v_fma_f64 v[70:71], v[72:73], v[70:71], -v[138:139]
	v_mul_f64_e32 v[136:137], v[100:101], v[54:55]
	v_fma_f64 v[88:89], v[60:61], v[88:89], -v[140:141]
	v_mul_f64_e32 v[148:149], v[102:103], v[46:47]
	v_fma_f64 v[92:93], v[58:59], v[92:93], -v[142:143]
	v_fma_f64 v[94:95], v[56:57], v[94:95], -v[144:145]
	v_mul_f64_e32 v[152:153], v[104:105], v[52:53]
	v_fma_f64 v[146:147], v[62:63], v[96:97], -v[134:135]
	v_fmac_f64_e32 v[70:71], v[72:73], v[50:51]
	v_fma_f64 v[154:155], v[54:55], v[100:101], -v[136:137]
	v_fma_f64 v[50:51], -v[34:35], v[34:35], 1.0
	v_fmac_f64_e32 v[88:89], v[60:61], v[64:65]
	v_fma_f64 v[102:103], v[46:47], v[102:103], -v[148:149]
	v_fmac_f64_e32 v[92:93], v[58:59], v[66:67]
	v_fmac_f64_e32 v[94:95], v[56:57], v[68:69]
	v_fma_f64 v[104:105], v[52:53], v[104:105], -v[152:153]
	v_fma_f64 v[64:65], -v[40:41], v[40:41], 1.0
	v_add_f64_e32 v[34:35], v[6:7], v[6:7]
	v_fmac_f64_e32 v[146:147], v[62:63], v[42:43]
	v_add_f64_e32 v[42:43], v[138:139], v[70:71]
	v_fmac_f64_e32 v[154:155], v[54:55], v[44:45]
	v_fma_f64 v[40:41], -v[10:11], v[10:11], v[50:51]
	v_add_f64_e32 v[44:45], v[140:141], v[88:89]
	v_fmac_f64_e32 v[102:103], v[46:47], v[90:91]
	v_add_f64_e32 v[68:69], v[142:143], v[92:93]
	v_add_f64_e32 v[90:91], v[144:145], v[94:95]
	v_fmac_f64_e32 v[104:105], v[52:53], v[48:49]
	v_fma_f64 v[48:49], -v[38:39], v[38:39], 1.0
	v_fma_f64 v[38:39], -v[6:7], v[6:7], v[36:37]
	v_add_f64_e32 v[6:7], v[2:3], v[2:3]
	v_cmp_class_f64_e64 s25, v[34:35], 0x204
	v_add_f64_e32 v[150:151], v[134:135], v[146:147]
	v_add_f64_e64 v[156:157], v[106:107], -v[42:43]
	v_add_f64_e32 v[158:159], v[136:137], v[154:155]
	v_add_f64_e64 v[96:97], v[42:43], -v[138:139]
	v_add_f64_e64 v[160:161], v[112:113], -v[44:45]
	v_add_f64_e32 v[162:163], v[148:149], v[102:103]
	v_add_f64_e64 v[164:165], v[116:117], -v[68:69]
	;; [unrolled: 3-line block ×3, first 2 shown]
	v_add_f64_e64 v[140:141], v[68:69], -v[142:143]
	v_add_f64_e64 v[142:143], v[90:91], -v[144:145]
	v_fma_f64 v[36:37], -v[2:3], v[2:3], v[48:49]
	v_add_f64_e64 v[108:109], v[122:123], -v[150:151]
	v_add_f64_e32 v[2:3], v[10:11], v[10:11]
	v_add_f64_e32 v[10:11], v[14:15], v[14:15]
	v_fma_f64 v[14:15], -v[14:15], v[14:15], v[64:65]
	v_add_f64_e64 v[134:135], v[150:151], -v[134:135]
	v_max_num_f64_e64 v[64:65], |v[38:39]|, |v[34:35]|
	v_min_num_f64_e64 v[66:67], |v[38:39]|, |v[34:35]|
	v_cmp_class_f64_e64 s11, v[6:7], 0x204
	v_cmp_class_f64_e64 s29, v[38:39], 0x204
	;; [unrolled: 1-line block ×3, first 2 shown]
	v_add_f64_e64 v[144:145], v[106:107], -v[156:157]
	v_add_f64_e64 v[110:111], v[124:125], -v[158:159]
	;; [unrolled: 1-line block ×14, first 2 shown]
	v_max_num_f64_e64 v[48:49], |v[36:37]|, |v[6:7]|
	v_min_num_f64_e64 v[50:51], |v[36:37]|, |v[6:7]|
	v_add_f64_e64 v[134:135], v[134:135], -v[146:147]
	v_min_num_f64_e64 v[70:71], |v[40:41]|, |v[2:3]|
	v_div_scale_f64 v[96:97], null, v[64:65], v[64:65], v[66:67]
	v_cmp_class_f64_e64 s27, v[2:3], 0x204
	v_cmp_class_f64_e64 s28, v[36:37], 0x204
	;; [unrolled: 1-line block ×4, first 2 shown]
	v_add_f64_e64 v[140:141], v[144:145], -v[42:43]
	v_add_f64_e64 v[124:125], v[124:125], -v[110:111]
	v_max_num_f64_e64 v[42:43], |v[14:15]|, |v[10:11]|
	v_add_f64_e64 v[142:143], v[168:169], -v[44:45]
	v_add_f64_e64 v[128:129], v[128:129], -v[112:113]
	;; [unrolled: 1-line block ×6, first 2 shown]
	v_min_num_f64_e64 v[44:45], |v[14:15]|, |v[10:11]|
	v_add_f64_e64 v[136:137], v[136:137], -v[154:155]
	v_add_f64_e64 v[102:103], v[148:149], -v[102:103]
	;; [unrolled: 1-line block ×3, first 2 shown]
	v_max_num_f64_e64 v[68:69], |v[40:41]|, |v[2:3]|
	v_div_scale_f64 v[148:149], s5, v[66:67], v[64:65], v[66:67]
	v_div_scale_f64 v[88:89], null, v[48:49], v[48:49], v[50:51]
	v_div_scale_f64 v[150:151], s6, v[50:51], v[48:49], v[50:51]
	s_mov_b32 vcc_lo, s5
	v_cmp_eq_f64_e64 s5, 0, v[2:3]
	v_add_f64_e32 v[140:141], v[170:171], v[140:141]
	v_add_f64_e64 v[124:125], v[124:125], -v[158:159]
	v_subrev_co_ci_u32_e64 v170, null, 0, v127, s1
	v_add_f64_e32 v[138:139], v[138:139], v[142:143]
	v_add_f64_e64 v[128:129], v[128:129], -v[162:163]
	v_add_f64_e32 v[142:143], v[94:95], v[90:91]
	v_add_f64_e64 v[118:119], v[118:119], -v[104:105]
	v_add_f64_e64 v[130:131], v[130:131], -v[166:167]
	v_add_f64_e32 v[116:117], v[92:93], v[116:117]
	v_div_scale_f64 v[92:93], null, v[42:43], v[42:43], v[44:45]
	v_add_f64_e32 v[122:123], v[134:135], v[122:123]
	v_div_scale_f64 v[94:95], null, v[68:69], v[68:69], v[70:71]
	v_rcp_f64_e32 v[90:91], v[96:97]
	v_rcp_f64_e32 v[104:105], v[88:89]
	v_div_scale_f64 v[154:155], s3, v[70:71], v[68:69], v[70:71]
	v_div_scale_f64 v[158:159], s4, v[44:45], v[42:43], v[44:45]
	v_cvt_f64_i32_e32 v[170:171], v170
	v_cmp_lt_f64_e64 s1, |v[40:41]|, |v[2:3]|
	v_add_f64_e32 v[134:135], v[156:157], v[140:141]
	v_add_f64_e32 v[124:125], v[136:137], v[124:125]
	;; [unrolled: 1-line block ×5, first 2 shown]
	v_frexp_exp_i32_f64_e32 v160, v[12:13]
	v_add_f64_e32 v[118:119], v[118:119], v[130:131]
	v_add_f64_e32 v[116:117], v[164:165], v[116:117]
	v_rcp_f64_e32 v[100:101], v[92:93]
	v_add_f64_e32 v[130:131], v[108:109], v[122:123]
	v_rcp_f64_e32 v[102:103], v[94:95]
	v_mul_f64_e32 v[84:85], v[84:85], v[134:135]
	v_add_f64_e32 v[134:135], v[110:111], v[124:125]
	v_mul_f64_e32 v[108:109], v[86:87], v[136:137]
	v_add_f64_e32 v[86:87], v[112:113], v[128:129]
	v_mul_f64_e32 v[122:123], v[82:83], v[138:139]
	v_subrev_co_ci_u32_e64 v191, null, 0, v160, s2
	v_add_f64_e32 v[82:83], v[106:107], v[118:119]
	v_mul_f64_e32 v[110:111], v[98:99], v[116:117]
	s_delay_alu instid0(TRANS32_DEP_3) | instskip(SKIP_4) | instid1(TRANS32_DEP_2)
	v_fma_f64 v[106:107], -v[88:89], v[104:105], 1.0
	v_fma_f64 v[98:99], -v[96:97], v[90:91], 1.0
	v_mul_f64_e32 v[124:125], v[80:81], v[130:131]
	v_cvt_f64_i32_e32 v[80:81], v126
	v_cmp_lt_f64_e64 s2, |v[14:15]|, |v[10:11]|
	v_fma_f64 v[128:129], -v[92:93], v[100:101], 1.0
	s_delay_alu instid0(TRANS32_DEP_1)
	v_fma_f64 v[112:113], -v[94:95], v[102:103], 1.0
	v_add_f64_e32 v[136:137], v[72:73], v[84:85]
	v_mul_f64_e32 v[116:117], v[78:79], v[134:135]
	v_add_f64_e32 v[78:79], v[60:61], v[108:109]
	v_mul_f64_e32 v[118:119], v[76:77], v[86:87]
	;; [unrolled: 2-line block ×3, first 2 shown]
	v_add_f64_e32 v[86:87], v[58:59], v[110:111]
	v_fmac_f64_e32 v[104:105], v[104:105], v[106:107]
	v_fmac_f64_e32 v[90:91], v[90:91], v[98:99]
	v_add_f64_e32 v[82:83], v[62:63], v[124:125]
	v_cvt_f64_i32_e32 v[74:75], v121
	v_fmac_f64_e32 v[100:101], v[100:101], v[128:129]
	v_fmac_f64_e32 v[102:103], v[102:103], v[112:113]
	v_cvt_f64_i32_e32 v[112:113], v120
	v_mul_f64_e32 v[76:77], v[136:137], v[136:137]
	v_add_f64_e32 v[98:99], v[54:55], v[116:117]
	v_add_f64_e64 v[72:73], v[136:137], -v[72:73]
	v_mul_f64_e32 v[106:107], v[78:79], v[78:79]
	v_add_f64_e32 v[138:139], v[46:47], v[118:119]
	v_mul_f64_e32 v[140:141], v[134:135], v[134:135]
	v_add_f64_e64 v[60:61], v[78:79], -v[60:61]
	v_add_f64_e32 v[142:143], v[52:53], v[130:131]
	v_mul_f64_e32 v[128:129], v[86:87], v[86:87]
	v_fma_f64 v[146:147], -v[88:89], v[104:105], 1.0
	v_fma_f64 v[144:145], -v[96:97], v[90:91], 1.0
	v_mul_f64_e32 v[120:121], v[82:83], v[82:83]
	v_add_f64_e64 v[194:195], v[86:87], -v[58:59]
	v_mul_f64_e32 v[58:59], 0x3fe62e42fefa39ef, v[170:171]
	v_fma_f64 v[156:157], -v[92:93], v[100:101], 1.0
	v_add_f64_e64 v[62:63], v[82:83], -v[62:63]
	v_fma_f64 v[152:153], -v[94:95], v[102:103], 1.0
	v_fmamk_f64 v[126:127], v[76:77], 0x3fc3ab76bf559e2b, v[20:21]
	v_mul_f64_e32 v[160:161], v[98:99], v[98:99]
	v_add_f64_e64 v[54:55], v[98:99], -v[54:55]
	v_fmamk_f64 v[162:163], v[106:107], 0x3fc3ab76bf559e2b, v[20:21]
	v_mul_f64_e32 v[164:165], v[138:139], v[138:139]
	v_fmamk_f64 v[168:169], v[140:141], 0x3fc3ab76bf559e2b, v[20:21]
	v_fmaak_f64 v[126:127], v[76:77], v[126:127], 0x3fc7474dd7f4df2e
	v_mul_f64_e32 v[174:175], v[134:135], v[140:141]
	v_mul_f64_e32 v[172:173], v[142:143], v[142:143]
	v_fmamk_f64 v[166:167], v[128:129], 0x3fc3ab76bf559e2b, v[20:21]
	v_fmac_f64_e32 v[104:105], v[104:105], v[146:147]
	v_mul_f64_e32 v[146:147], v[136:137], v[76:77]
	v_fmac_f64_e32 v[90:91], v[90:91], v[144:145]
	v_fmaak_f64 v[126:127], v[76:77], v[126:127], 0x3fcc71c016291751
	v_fmaak_f64 v[162:163], v[106:107], v[162:163], 0x3fc7474dd7f4df2e
	v_fmac_f64_e32 v[100:101], v[100:101], v[156:157]
	v_fmaak_f64 v[144:145], v[128:129], v[166:167], 0x3fc7474dd7f4df2e
	v_mul_f64_e32 v[156:157], v[78:79], v[106:107]
	v_fmamk_f64 v[176:177], v[120:121], 0x3fc3ab76bf559e2b, v[20:21]
	v_fmaak_f64 v[166:167], v[140:141], v[168:169], 0x3fc7474dd7f4df2e
	v_fmaak_f64 v[126:127], v[76:77], v[126:127], 0x3fd249249b27acf1
	;; [unrolled: 1-line block ×3, first 2 shown]
	v_mul_f64_e32 v[168:169], v[86:87], v[128:129]
	v_fmaak_f64 v[144:145], v[128:129], v[144:145], 0x3fcc71c016291751
	v_mul_f64_e32 v[180:181], v[82:83], v[120:121]
	v_fmac_f64_e32 v[102:103], v[102:103], v[152:153]
	v_fmaak_f64 v[152:153], v[140:141], v[166:167], 0x3fcc71c016291751
	v_fmaak_f64 v[126:127], v[76:77], v[126:127], 0x3fd99999998ef7b6
	;; [unrolled: 1-line block ×3, first 2 shown]
	v_ldexp_f64 v[166:167], v[136:137], 1
	v_fmaak_f64 v[144:145], v[128:129], v[144:145], 0x3fd249249b27acf1
	v_ldexp_f64 v[136:137], v[138:139], 1
	v_fmamk_f64 v[178:179], v[160:161], 0x3fc3ab76bf559e2b, v[20:21]
	v_fmaak_f64 v[152:153], v[140:141], v[152:153], 0x3fd249249b27acf1
	v_fmaak_f64 v[76:77], v[76:77], v[126:127], 0x3fe5555555555780
	;; [unrolled: 1-line block ×3, first 2 shown]
	v_fmamk_f64 v[182:183], v[164:165], 0x3fc3ab76bf559e2b, v[20:21]
	v_fmaak_f64 v[144:145], v[128:129], v[144:145], 0x3fd99999998ef7b6
	v_fmaak_f64 v[162:163], v[106:107], v[162:163], 0x3fd99999998ef7b6
	v_add_f64_e64 v[46:47], v[138:139], -v[46:47]
	v_fmamk_f64 v[176:177], v[172:173], 0x3fc3ab76bf559e2b, v[20:21]
	v_mul_f64_e32 v[184:185], v[142:143], v[172:173]
	v_fmaak_f64 v[126:127], v[120:121], v[126:127], 0x3fcc71c016291751
	v_mul_f64_e32 v[146:147], v[146:147], v[76:77]
	v_fmaak_f64 v[128:129], v[128:129], v[144:145], 0x3fe5555555555780
	v_fmaak_f64 v[144:145], v[160:161], v[178:179], 0x3fc7474dd7f4df2e
	;; [unrolled: 1-line block ×5, first 2 shown]
	v_mul_f64_e32 v[162:163], v[98:99], v[160:161]
	v_mul_f64_e32 v[182:183], v[138:139], v[164:165]
	v_fmaak_f64 v[126:127], v[120:121], v[126:127], 0x3fd249249b27acf1
	v_fmaak_f64 v[144:145], v[160:161], v[144:145], 0x3fcc71c016291751
	;; [unrolled: 1-line block ×4, first 2 shown]
	v_mul_f64_e32 v[156:157], v[156:157], v[106:107]
	v_fmaak_f64 v[152:153], v[140:141], v[152:153], 0x3fd99999998ef7b6
	v_mul_f64_e32 v[168:169], v[168:169], v[128:129]
	v_fmaak_f64 v[126:127], v[120:121], v[126:127], 0x3fd99999998ef7b6
	v_fmaak_f64 v[106:107], v[160:161], v[144:145], 0x3fd249249b27acf1
	;; [unrolled: 1-line block ×4, first 2 shown]
	v_ldexp_f64 v[178:179], v[78:79], 1
	v_fmaak_f64 v[140:141], v[140:141], v[152:153], 0x3fe5555555555780
	v_mul_f64_e32 v[152:153], v[148:149], v[90:91]
	v_fmaak_f64 v[120:121], v[120:121], v[126:127], 0x3fe5555555555780
	v_fmaak_f64 v[106:107], v[160:161], v[106:107], 0x3fd99999998ef7b6
	;; [unrolled: 1-line block ×4, first 2 shown]
	v_ldexp_f64 v[144:145], v[86:87], 1
	v_mul_f64_e32 v[140:141], v[174:175], v[140:141]
	v_ldexp_f64 v[174:175], v[134:135], 1
	v_mul_f64_e32 v[176:177], v[150:151], v[104:105]
	v_fmaak_f64 v[106:107], v[160:161], v[106:107], 0x3fe5555555555780
	v_fmaak_f64 v[126:127], v[164:165], v[128:129], 0x3fe5555555555780
	v_mul_f64_e32 v[164:165], v[180:181], v[120:121]
	v_fmaak_f64 v[120:121], v[172:173], v[76:77], 0x3fe5555555555780
	v_ldexp_f64 v[160:161], v[82:83], 1
	v_ldexp_f64 v[180:181], v[98:99], 1
	v_add_f64_e32 v[76:77], v[166:167], v[146:147]
	v_mul_f64_e32 v[186:187], v[154:155], v[102:103]
	v_mul_f64_e32 v[162:163], v[162:163], v[106:107]
	;; [unrolled: 1-line block ×3, first 2 shown]
	v_ldexp_f64 v[182:183], v[142:143], 1
	v_mul_f64_e32 v[184:185], v[184:185], v[120:121]
	v_mul_f64_e32 v[188:189], v[158:159], v[100:101]
	v_subrev_co_ci_u32_e64 v106, null, 0, v190, s0
	v_cvt_f64_i32_e32 v[190:191], v191
	v_add_f64_e64 v[134:135], v[134:135], -v[56:57]
	v_add_f64_e64 v[52:53], v[142:143], -v[52:53]
	;; [unrolled: 1-line block ×3, first 2 shown]
	v_mul_f64_e32 v[126:127], 0x3fe62e42fefa39ef, v[114:115]
	v_mul_f64_e32 v[128:129], 0x3fe62e42fefa39ef, v[112:113]
	v_add_f64_e32 v[78:79], v[178:179], v[156:157]
	v_add_f64_e64 v[60:61], v[108:109], -v[60:61]
	v_fma_f64 v[120:121], -v[96:97], v[152:153], v[148:149]
	v_cvt_f64_i32_e32 v[148:149], v192
	v_cvt_f64_i32_e32 v[192:193], v106
	v_add_f64_e64 v[62:63], v[124:125], -v[62:63]
	v_add_f64_e64 v[54:55], v[116:117], -v[54:55]
	v_add_f64_e32 v[106:107], v[144:145], v[168:169]
	v_add_f64_e64 v[118:119], v[118:119], -v[46:47]
	v_add_f64_e32 v[98:99], v[174:175], v[140:141]
	v_fma_f64 v[88:89], -v[88:89], v[176:177], v[150:151]
	v_cmp_lt_f64_e64 s0, |v[36:37]|, |v[6:7]|
	v_add_f64_e32 v[96:97], v[160:161], v[164:165]
	v_add_f64_e64 v[142:143], v[76:77], -v[166:167]
	v_fma_f64 v[150:151], -v[94:95], v[186:187], v[154:155]
	v_add_f64_e32 v[86:87], v[180:181], v[162:163]
	v_add_f64_e32 v[82:83], v[136:137], v[172:173]
	v_mul_f64_e32 v[154:155], 0x3fe62e42fefa39ef, v[74:75]
	v_add_f64_e32 v[84:85], v[182:183], v[184:185]
	v_fma_f64 v[92:93], -v[92:93], v[188:189], v[158:159]
	v_mul_f64_e32 v[158:159], 0x3fe62e42fefa39ef, v[80:81]
	v_add_f64_e64 v[166:167], v[110:111], -v[194:195]
	v_fma_f64 v[94:95], v[170:171], s[16:17], -v[58:59]
	v_add_f64_e64 v[122:123], v[122:123], -v[134:135]
	v_add_f64_e64 v[52:53], v[130:131], -v[52:53]
	v_fma_f64 v[72:73], v[112:113], s[16:17], -v[128:129]
	v_add_f64_e64 v[108:109], v[78:79], -v[178:179]
	v_ldexp_f64 v[60:61], v[60:61], 1
	v_div_fmas_f64 v[90:91], v[120:121], v[90:91], v[152:153]
	v_mul_f64_e32 v[152:153], 0x3fe62e42fefa39ef, v[190:191]
	v_mul_f64_e32 v[56:57], 0x3fe62e42fefa39ef, v[148:149]
	s_mov_b32 vcc_lo, s6
	v_fma_f64 v[120:121], v[114:115], s[16:17], -v[126:127]
	v_add_f64_e64 v[124:125], v[106:107], -v[144:145]
	v_mul_f64_e32 v[110:111], 0x3fe62e42fefa39ef, v[192:193]
	v_add_f64_e64 v[134:135], v[98:99], -v[174:175]
	v_div_fmas_f64 v[88:89], v[88:89], v[104:105], v[176:177]
	s_mov_b32 vcc_lo, s3
	v_ldexp_f64 v[62:63], v[62:63], 1
	v_ldexp_f64 v[54:55], v[54:55], 1
	;; [unrolled: 1-line block ×3, first 2 shown]
	v_add_f64_e64 v[144:145], v[96:97], -v[160:161]
	v_cmp_gt_i32_e64 s3, 0, v15
	v_div_fmas_f64 v[102:103], v[150:151], v[102:103], v[186:187]
	v_add_f64_e64 v[116:117], v[86:87], -v[180:181]
	v_add_f64_e64 v[130:131], v[82:83], -v[136:137]
	v_ldexp_f64 v[136:137], v[138:139], 1
	v_add_f64_e64 v[138:139], v[146:147], -v[142:143]
	v_add_f64_e64 v[142:143], v[84:85], -v[182:183]
	s_mov_b32 vcc_lo, s4
	v_fma_f64 v[146:147], v[74:75], s[16:17], -v[154:155]
	v_div_fmas_f64 v[100:101], v[92:93], v[100:101], v[188:189]
	v_fma_f64 v[150:151], v[80:81], s[16:17], -v[158:159]
	v_ldexp_f64 v[160:161], v[166:167], 1
	v_fmac_f64_e32 v[94:95], 0x3c7abc9e3b39803f, v[170:171]
	v_ldexp_f64 v[52:53], v[52:53], 1
	v_fmac_f64_e32 v[72:73], 0x3c7abc9e3b39803f, v[112:113]
	v_add_f64_e64 v[156:157], v[156:157], -v[108:109]
	v_cmp_lt_f64_e64 vcc_lo, |v[38:39]|, |v[34:35]|
	v_div_fixup_f64 v[46:47], v[90:91], v[64:65], v[66:67]
	v_fma_f64 v[104:105], v[190:191], s[16:17], -v[152:153]
	v_fma_f64 v[92:93], v[148:149], s[16:17], -v[56:57]
	v_ldexp_f64 v[64:65], v[122:123], 1
	v_fmac_f64_e32 v[120:121], 0x3c7abc9e3b39803f, v[114:115]
	v_add_f64_e64 v[124:125], v[168:169], -v[124:125]
	v_fma_f64 v[108:109], v[192:193], s[16:17], -v[110:111]
	v_add_f64_e64 v[66:67], v[140:141], -v[134:135]
	v_div_fixup_f64 v[48:49], v[88:89], v[48:49], v[50:51]
	v_cmp_eq_f64_e64 s4, 0, v[6:7]
	v_add_f64_e64 v[90:91], v[164:165], -v[144:145]
	v_div_fixup_f64 v[50:51], v[102:103], v[68:69], v[70:71]
	v_add_f64_e64 v[116:117], v[162:163], -v[116:117]
	v_add_f64_e64 v[122:123], v[172:173], -v[130:131]
	v_add_f64_e32 v[130:131], v[136:137], v[138:139]
	v_add_f64_e64 v[134:135], v[184:185], -v[142:143]
	v_fmac_f64_e32 v[146:147], 0x3c7abc9e3b39803f, v[74:75]
	v_div_fixup_f64 v[42:43], v[100:101], v[42:43], v[44:45]
	v_fmac_f64_e32 v[150:151], 0x3c7abc9e3b39803f, v[80:81]
	v_add_f64_e32 v[142:143], v[128:129], v[72:73]
	v_add_f64_e32 v[112:113], v[60:61], v[156:157]
	v_mul_f64_e32 v[100:101], v[46:47], v[46:47]
	v_fmac_f64_e32 v[104:105], 0x3c7abc9e3b39803f, v[190:191]
	v_fmac_f64_e32 v[92:93], 0x3c7abc9e3b39803f, v[148:149]
	v_add_f64_e32 v[140:141], v[126:127], v[120:121]
	v_add_f64_e32 v[114:115], v[160:161], v[124:125]
	v_fmac_f64_e32 v[108:109], 0x3c7abc9e3b39803f, v[192:193]
	v_add_f64_e32 v[124:125], v[64:65], v[66:67]
	v_mul_f64_e32 v[88:89], v[48:49], v[48:49]
	v_add_f64_e32 v[136:137], v[62:63], v[90:91]
	v_mul_f64_e32 v[90:91], v[50:51], v[50:51]
	v_add_f64_e32 v[116:117], v[54:55], v[116:117]
	v_add_f64_e32 v[118:119], v[118:119], v[122:123]
	;; [unrolled: 1-line block ×6, first 2 shown]
	v_mul_f64_e32 v[102:103], v[42:43], v[42:43]
	v_add_f64_e32 v[148:149], v[158:159], v[150:151]
	v_add_f64_e64 v[68:69], v[142:143], -v[128:129]
	v_add_f64_e32 v[160:161], v[78:79], v[112:113]
	v_fmamk_f64 v[44:45], v[100:101], 0x3eeba404b5e68a13, v[22:23]
	v_add_f64_e32 v[156:157], v[152:153], v[104:105]
	v_add_f64_e32 v[162:163], v[56:57], v[92:93]
	v_add_f64_e64 v[66:67], v[140:141], -v[126:127]
	v_add_f64_e32 v[164:165], v[106:107], v[114:115]
	v_add_f64_e32 v[166:167], v[110:111], v[108:109]
	v_fmaak_f64 v[52:53], v[100:101], v[44:45], 0x3f4b2bb069efb384
	v_fmamk_f64 v[54:55], v[88:89], 0x3eeba404b5e68a13, v[22:23]
	v_add_f64_e32 v[168:169], v[98:99], v[124:125]
	v_add_f64_e32 v[170:171], v[96:97], v[136:137]
	s_delay_alu instid0(VALU_DEP_4) | instskip(NEXT) | instid1(VALU_DEP_4)
	v_fmaak_f64 v[52:53], v[100:101], v[52:53], 0xbf67952daf56de9b
	v_fmaak_f64 v[54:55], v[88:89], v[54:55], 0x3f4b2bb069efb384
	v_fmamk_f64 v[60:61], v[90:91], 0x3eeba404b5e68a13, v[22:23]
	v_add_f64_e32 v[172:173], v[86:87], v[116:117]
	v_add_f64_e32 v[174:175], v[82:83], v[118:119]
	v_add_f64_e64 v[80:81], v[122:123], -v[58:59]
	v_add_f64_e32 v[44:45], v[122:123], v[138:139]
	v_add_f64_e32 v[176:177], v[84:85], v[134:135]
	v_fmaak_f64 v[126:127], v[100:101], v[52:53], 0x3f7d6d43a595c56f
	v_add_f64_e64 v[70:71], v[144:145], -v[154:155]
	v_fmamk_f64 v[62:63], v[102:103], 0x3eeba404b5e68a13, v[22:23]
	v_fmaak_f64 v[58:59], v[90:91], v[60:61], 0x3f4b2bb069efb384
	v_add_f64_e64 v[74:75], v[148:149], -v[158:159]
	v_fmaak_f64 v[126:127], v[100:101], v[126:127], 0xbf8c6ea4a57d9582
	v_add_f64_e64 v[72:73], v[72:73], -v[68:69]
	v_fmaak_f64 v[60:61], v[102:103], v[62:63], 0x3f4b2bb069efb384
	v_fmaak_f64 v[58:59], v[90:91], v[58:59], 0xbf67952daf56de9b
	v_add_f64_e32 v[52:53], v[156:157], v[160:161]
	v_add_f64_e64 v[128:129], v[156:157], -v[152:153]
	v_fmaak_f64 v[152:153], v[88:89], v[54:55], 0xbf67952daf56de9b
	v_add_f64_e64 v[154:155], v[162:163], -v[56:57]
	v_add_f64_e32 v[62:63], v[162:163], v[164:165]
	v_fmaak_f64 v[60:61], v[102:103], v[60:61], 0xbf67952daf56de9b
	v_fmaak_f64 v[158:159], v[90:91], v[58:59], 0x3f7d6d43a595c56f
	;; [unrolled: 1-line block ×3, first 2 shown]
	v_add_f64_e64 v[66:67], v[120:121], -v[66:67]
	v_fmaak_f64 v[152:153], v[88:89], v[152:153], 0x3f7d6d43a595c56f
	v_add_f64_e32 v[64:65], v[166:167], v[168:169]
	v_add_f64_e64 v[110:111], v[166:167], -v[110:111]
	v_add_f64_e32 v[54:55], v[140:141], v[170:171]
	v_fmaak_f64 v[178:179], v[102:103], v[60:61], 0x3f7d6d43a595c56f
	v_fmaak_f64 v[158:159], v[90:91], v[158:159], 0xbf8c6ea4a57d9582
	;; [unrolled: 1-line block ×3, first 2 shown]
	v_add_f64_e32 v[56:57], v[142:143], v[172:173]
	v_add_f64_e32 v[58:59], v[144:145], v[174:175]
	v_fmaak_f64 v[152:153], v[88:89], v[152:153], 0xbf8c6ea4a57d9582
	v_add_f64_e64 v[180:181], v[44:45], -v[122:123]
	v_add_f64_e32 v[60:61], v[148:149], v[176:177]
	v_fmaak_f64 v[120:121], v[102:103], v[178:179], 0xbf8c6ea4a57d9582
	v_add_f64_e64 v[68:69], v[146:147], -v[70:71]
	v_fmaak_f64 v[126:127], v[100:101], v[126:127], 0x3fa2c15b5711927a
	v_add_f64_e64 v[182:183], v[160:161], -v[78:79]
	v_fmaak_f64 v[146:147], v[88:89], v[152:153], 0x3f967e295f08b19f
	v_fmaak_f64 v[152:153], v[90:91], v[158:159], 0x3f967e295f08b19f
	v_add_f64_e64 v[70:71], v[150:151], -v[74:75]
	v_fmaak_f64 v[120:121], v[102:103], v[120:121], 0x3f967e295f08b19f
	v_add_f64_e64 v[74:75], v[94:95], -v[80:81]
	v_fmaak_f64 v[126:127], v[100:101], v[126:127], 0xbfa59976e82d3ff0
	v_add_f64_e64 v[158:159], v[138:139], -v[76:77]
	v_fmaak_f64 v[80:81], v[88:89], v[146:147], 0xbf9e9ae6fc27006a
	v_fmaak_f64 v[94:95], v[90:91], v[152:153], 0xbf9e9ae6fc27006a
	v_add_f64_e64 v[150:151], v[52:53], -v[156:157]
	v_fmaak_f64 v[120:121], v[102:103], v[120:121], 0xbf9e9ae6fc27006a
	v_add_f64_e64 v[146:147], v[62:63], -v[162:163]
	v_add_f64_e64 v[106:107], v[164:165], -v[106:107]
	;; [unrolled: 1-line block ×3, first 2 shown]
	v_fmaak_f64 v[76:77], v[88:89], v[80:81], 0x3fa2c15b5711927a
	v_fmaak_f64 v[78:79], v[90:91], v[94:95], 0x3fa2c15b5711927a
	;; [unrolled: 1-line block ×4, first 2 shown]
	v_add_f64_e64 v[152:153], v[64:65], -v[166:167]
	v_add_f64_e64 v[178:179], v[54:55], -v[140:141]
	;; [unrolled: 1-line block ×3, first 2 shown]
	v_fmaak_f64 v[188:189], v[88:89], v[76:77], 0xbfa59976e82d3ff0
	v_fmaak_f64 v[190:191], v[90:91], v[78:79], 0xbfa59976e82d3ff0
	v_add_f64_e64 v[184:185], v[56:57], -v[142:143]
	v_add_f64_e64 v[120:121], v[58:59], -v[144:145]
	;; [unrolled: 1-line block ×5, first 2 shown]
	v_fmaak_f64 v[104:105], v[102:103], v[80:81], 0xbfa59976e82d3ff0
	v_add_f64_e64 v[80:81], v[92:93], -v[154:155]
	v_fmaak_f64 v[92:93], v[88:89], v[188:189], 0x3fa82d5d6ef28734
	v_add_f64_e64 v[76:77], v[108:109], -v[110:111]
	;; [unrolled: 2-line block ×3, first 2 shown]
	v_add_f64_e64 v[138:139], v[138:139], -v[180:181]
	v_add_f64_e64 v[84:85], v[176:177], -v[84:85]
	v_fmaak_f64 v[108:109], v[90:91], v[190:191], 0x3fa82d5d6ef28734
	v_fmaak_f64 v[128:129], v[88:89], v[92:93], 0xbfaae5ce6a214619
	v_add_f64_e64 v[92:93], v[130:131], -v[158:159]
	v_add_f64_e64 v[158:159], v[172:173], -v[86:87]
	;; [unrolled: 1-line block ×4, first 2 shown]
	v_fmaak_f64 v[94:95], v[100:101], v[94:95], 0x3fae1bb48427b883
	v_add_f64_e64 v[154:155], v[62:63], -v[146:147]
	v_fmaak_f64 v[96:97], v[90:91], v[108:109], 0xbfaae5ce6a214619
	v_fmaak_f64 v[108:109], v[88:89], v[128:129], 0x3fae1bb48427b883
	;; [unrolled: 1-line block ×4, first 2 shown]
	v_add_f64_e64 v[190:191], v[64:65], -v[152:153]
	v_add_f64_e64 v[130:131], v[54:55], -v[178:179]
	v_fmaak_f64 v[128:129], v[90:91], v[96:97], 0x3fae1bb48427b883
	v_fmaak_f64 v[182:183], v[88:89], v[108:109], 0xbfb110e48b207f05
	v_add_f64_e64 v[96:97], v[124:125], -v[98:99]
	v_add_f64_e64 v[112:113], v[56:57], -v[184:185]
	;; [unrolled: 1-line block ×3, first 2 shown]
	v_fmaak_f64 v[94:95], v[100:101], v[94:95], 0x3fb3b13657b87036
	v_add_f64_e64 v[122:123], v[122:123], -v[126:127]
	v_add_f64_e64 v[126:127], v[60:61], -v[186:187]
	;; [unrolled: 1-line block ×3, first 2 shown]
	v_fmaak_f64 v[104:105], v[102:103], v[104:105], 0xbfaae5ce6a214619
	v_fmaak_f64 v[192:193], v[100:101], v[94:95], 0xbfb745d119378e4f
	v_add_f64_e64 v[94:95], v[114:115], -v[106:107]
	v_add_f64_e64 v[106:107], v[160:161], -v[150:151]
	;; [unrolled: 1-line block ×5, first 2 shown]
	v_fmaak_f64 v[104:105], v[102:103], v[104:105], 0x3fae1bb48427b883
	v_add_f64_e64 v[108:109], v[116:117], -v[158:159]
	v_add_f64_e64 v[116:117], v[172:173], -v[184:185]
	;; [unrolled: 1-line block ×6, first 2 shown]
	v_fmaak_f64 v[104:105], v[102:103], v[104:105], 0xbfb110e48b207f05
	v_add_f64_e64 v[150:151], v[166:167], -v[190:191]
	v_add_f64_e64 v[130:131], v[140:141], -v[130:131]
	s_delay_alu instid0(VALU_DEP_3)
	v_fmaak_f64 v[104:105], v[102:103], v[104:105], 0x3fb3b13657b87036
	v_add_f64_e64 v[140:141], v[142:143], -v[112:113]
	v_add_f64_e64 v[118:119], v[144:145], -v[180:181]
	;; [unrolled: 1-line block ×5, first 2 shown]
	v_fmaak_f64 v[126:127], v[90:91], v[128:129], 0xbfb110e48b207f05
	v_fmaak_f64 v[128:129], v[100:101], v[192:193], 0x3fbc71c717e1913c
	v_add_f64_e32 v[142:143], v[74:75], v[92:93]
	v_add_f64_e32 v[122:123], v[138:139], v[122:123]
	;; [unrolled: 1-line block ×3, first 2 shown]
	v_fmaak_f64 v[134:135], v[88:89], v[182:183], 0x3fb3b13657b87036
	v_add_f64_e32 v[144:145], v[76:77], v[96:97]
	v_fmaak_f64 v[126:127], v[90:91], v[126:127], 0x3fb3b13657b87036
	v_fmaak_f64 v[128:129], v[100:101], v[128:129], 0xbfc2492492376b7d
	;; [unrolled: 1-line block ×3, first 2 shown]
	v_add_f64_e32 v[148:149], v[72:73], v[108:109]
	v_fmaak_f64 v[134:135], v[88:89], v[134:135], 0xbfb745d119378e4f
	v_add_f64_e32 v[106:107], v[106:107], v[114:115]
	v_fmaak_f64 v[114:115], v[90:91], v[126:127], 0xbfb745d119378e4f
	v_fmaak_f64 v[128:129], v[100:101], v[128:129], 0x3fc99999999952cc
	v_add_f64_e32 v[124:125], v[124:125], v[146:147]
	v_add_f64_e32 v[146:147], v[66:67], v[98:99]
	;; [unrolled: 1-line block ×3, first 2 shown]
	v_fmaak_f64 v[134:135], v[88:89], v[134:135], 0x3fbc71c717e1913c
	v_fmaak_f64 v[104:105], v[102:103], v[104:105], 0x3fbc71c717e1913c
	;; [unrolled: 1-line block ×3, first 2 shown]
	v_add_f64_e32 v[136:137], v[136:137], v[150:151]
	v_add_f64_e32 v[130:131], v[152:153], v[130:131]
	;; [unrolled: 1-line block ×5, first 2 shown]
	v_fmaak_f64 v[118:119], v[100:101], v[128:129], 0xbfd5555555555523
	v_add_f64_e32 v[128:129], v[70:71], v[112:113]
	v_add_f64_e32 v[84:85], v[84:85], v[120:121]
	v_fmaak_f64 v[114:115], v[90:91], v[114:115], 0xbfc2492492376b7d
	v_fmaak_f64 v[120:121], v[88:89], v[134:135], 0xbfc2492492376b7d
	v_add_f64_e64 v[134:135], v[142:143], -v[74:75]
	v_fmaak_f64 v[104:105], v[102:103], v[104:105], 0xbfc2492492376b7d
	v_mul_f64_e32 v[100:101], v[100:101], v[118:119]
	v_add_f64_e32 v[118:119], v[142:143], v[122:123]
	v_add_f64_e64 v[122:123], v[138:139], -v[78:79]
	v_add_f64_e64 v[154:155], v[144:145], -v[76:77]
	v_fmaak_f64 v[120:121], v[88:89], v[120:121], 0x3fc99999999952cc
	v_add_f64_e64 v[158:159], v[148:149], -v[72:73]
	v_fmaak_f64 v[104:105], v[102:103], v[104:105], 0x3fc99999999952cc
	v_add_f64_e32 v[150:151], v[138:139], v[106:107]
	v_fmaak_f64 v[106:107], v[90:91], v[114:115], 0x3fc99999999952cc
	v_fmaak_f64 v[120:121], v[88:89], v[120:121], 0xbfd5555555555523
	v_add_f64_e64 v[156:157], v[146:147], -v[66:67]
	v_add_f64_e64 v[152:153], v[126:127], -v[80:81]
	v_add_f64_e32 v[124:125], v[126:127], v[124:125]
	v_fmaak_f64 v[106:107], v[90:91], v[106:107], 0xbfd5555555555523
	v_add_f64_e32 v[136:137], v[144:145], v[136:137]
	v_add_f64_e32 v[130:131], v[146:147], v[130:131]
	v_mul_f64_e32 v[120:121], v[88:89], v[120:121]
	v_add_f64_e32 v[160:161], v[148:149], v[116:117]
	v_add_f64_e64 v[162:163], v[140:141], -v[68:69]
	v_add_f64_e32 v[116:117], v[140:141], v[82:83]
	v_fmaak_f64 v[82:83], v[102:103], v[104:105], 0xbfd5555555555523
	v_add_f64_e64 v[164:165], v[128:129], -v[70:71]
	v_add_f64_e32 v[114:115], v[128:129], v[84:85]
	v_mul_f64_e32 v[166:167], v[90:91], v[106:107]
	v_add_f64_e64 v[142:143], v[142:143], -v[134:135]
	v_add_f64_e64 v[92:93], v[92:93], -v[134:135]
	v_mul_f64_e32 v[168:169], v[102:103], v[82:83]
	v_add_f64_e32 v[82:83], v[44:45], v[118:119]
	v_add_f64_e64 v[138:139], v[138:139], -v[122:123]
	v_fmac_f64_e32 v[46:47], v[46:47], v[100:101]
	v_add_f64_e64 v[144:145], v[144:145], -v[154:155]
	v_add_f64_e64 v[86:87], v[86:87], -v[122:123]
	v_add_f64_e64 v[148:149], v[148:149], -v[158:159]
	v_add_f64_e64 v[108:109], v[108:109], -v[158:159]
	v_add_f64_e32 v[84:85], v[52:53], v[150:151]
	v_dual_add_f64 v[96:97], v[96:97], -v[154:155] :: v_dual_ashrrev_i32 v134, 31, v41
	v_dual_add_f64 v[146:147], v[146:147], -v[156:157] :: v_dual_ashrrev_i32 v135, 31, v15
	v_add_f64_e64 v[126:127], v[126:127], -v[152:153]
	v_add_f64_e32 v[100:101], v[62:63], v[124:125]
	v_add_f64_e64 v[98:99], v[98:99], -v[156:157]
	v_add_f64_e64 v[94:95], v[94:95], -v[152:153]
	v_add_f64_e32 v[106:107], v[64:65], v[136:137]
	v_add_f64_e32 v[104:105], v[54:55], v[130:131]
	v_fmac_f64_e32 v[48:49], v[48:49], v[120:121]
	v_add_f64_e32 v[102:103], v[56:57], v[160:161]
	v_add_f64_e64 v[140:141], v[140:141], -v[162:163]
	v_add_f64_e32 v[90:91], v[58:59], v[116:117]
	v_add_f64_e64 v[110:111], v[110:111], -v[162:163]
	v_add_f64_e64 v[128:129], v[128:129], -v[164:165]
	v_add_f64_e32 v[88:89], v[60:61], v[114:115]
	v_fmac_f64_e32 v[50:51], v[50:51], v[166:167]
	v_add_f64_e64 v[112:113], v[112:113], -v[164:165]
	v_add_f64_e64 v[74:75], v[74:75], -v[142:143]
	v_fmac_f64_e32 v[42:43], v[42:43], v[168:169]
	v_add_f64_e64 v[44:45], v[82:83], -v[44:45]
	v_add_f64_e64 v[78:79], v[78:79], -v[138:139]
	v_add_f64_e64 v[120:121], -v[46:47], s[18:19]
	v_add_f64_e64 v[76:77], v[76:77], -v[144:145]
	v_add_f64_e64 v[72:73], v[72:73], -v[148:149]
	;; [unrolled: 1-line block ×8, first 2 shown]
	v_add_f64_e64 v[122:123], -v[48:49], s[18:19]
	v_add_f64_e64 v[56:57], v[102:103], -v[56:57]
	v_add_f64_e64 v[68:69], v[68:69], -v[140:141]
	;; [unrolled: 1-line block ×5, first 2 shown]
	v_add_f64_e64 v[126:127], -v[50:51], s[18:19]
	v_ashrrev_i32_e32 v128, 31, v39
	v_dual_add_f64 v[74:75], v[92:93], v[74:75] :: v_dual_ashrrev_i32 v129, 31, v37
	v_add_f64_e64 v[44:45], v[118:119], -v[44:45]
	v_add_f64_e32 v[78:79], v[86:87], v[78:79]
	v_add_f64_e64 v[86:87], -v[42:43], s[18:19]
	v_dual_cndmask_b32 v47, v47, v121 :: v_dual_cndmask_b32 v46, v46, v120
	v_add_f64_e32 v[72:73], v[108:109], v[72:73]
	v_add_f64_e32 v[76:77], v[96:97], v[76:77]
	v_add_f64_e64 v[52:53], v[150:151], -v[52:53]
	v_cmp_gt_i32_e32 vcc_lo, 0, v39
	v_add_f64_e64 v[92:93], -v[46:47], s[20:21]
	v_add_f64_e32 v[66:67], v[98:99], v[66:67]
	v_add_f64_e32 v[80:81], v[94:95], v[80:81]
	v_add_f64_e64 v[62:63], v[124:125], -v[62:63]
	v_cndmask_b32_e32 v98, 0x54442d18, v132, vcc_lo
	v_add_f64_e64 v[64:65], v[136:137], -v[64:65]
	v_add_f64_e64 v[54:55], v[130:131], -v[54:55]
	v_dual_cndmask_b32 v49, v49, v123, s0 :: v_dual_cndmask_b32 v48, v48, v122, s0
	v_cmp_gt_i32_e64 s0, 0, v37
	v_add_f64_e64 v[56:57], v[160:161], -v[56:57]
	v_add_f64_e32 v[68:69], v[110:111], v[68:69]
	v_add_f64_e64 v[58:59], v[116:117], -v[58:59]
	v_add_f64_e64 v[94:95], -v[48:49], s[20:21]
	v_add_f64_e32 v[70:71], v[112:113], v[70:71]
	v_add_f64_e64 v[60:61], v[114:115], -v[60:61]
	v_dual_cndmask_b32 v51, v51, v127, s1 :: v_dual_cndmask_b32 v50, v50, v126, s1
	v_cmp_gt_i32_e64 s1, 0, v41
	v_cmp_class_f64_e64 s6, v[30:31], 0x204
	v_add_f64_e32 v[44:45], v[74:75], v[44:45]
	s_delay_alu instid0(VALU_DEP_4)
	v_add_f64_e64 v[96:97], -v[50:51], s[20:21]
	v_dual_cndmask_b32 v43, v43, v87, s2 :: v_dual_cndmask_b32 v42, v42, v86, s2
	v_cmp_eq_f64_e64 s2, 0, v[34:35]
	v_cndmask_b32_e64 v74, 0x54442d18, v132, s0
	v_cndmask_b32_e64 v75, 0x54442d18, v132, s1
	v_add_f64_e32 v[52:53], v[78:79], v[52:53]
	v_cndmask_b32_e64 v78, 0x54442d18, v132, s3
	v_cmp_class_f64_e64 s8, v[32:33], 0x204
	v_and_b32_e32 v79, 0x54442d18, v134
	v_dual_add_f64 v[62:63], v[80:81], v[62:63] :: v_dual_cndmask_b32 v80, v46, v92, vcc_lo
	v_add_f64_e32 v[64:65], v[76:77], v[64:65]
	v_add_f64_e32 v[54:55], v[66:67], v[54:55]
	v_add_f64_e64 v[66:67], -v[42:43], s[20:21]
	v_and_b32_e32 v76, 0x54442d18, v128
	v_and_b32_e32 v77, 0x54442d18, v129
	v_add_f64_e32 v[56:57], v[72:73], v[56:57]
	v_cndmask_b32_e64 v73, 0x3fe921fb, v133, s0
	v_add_f64_e32 v[58:59], v[68:69], v[58:59]
	v_and_b32_e32 v68, 0x400921fb, v128
	v_dual_add_f64 v[60:61], v[70:71], v[60:61] :: v_dual_cndmask_b32 v81, v48, v94, s0
	v_cndmask_b32_e32 v71, 0x3fe921fb, v133, vcc_lo
	v_and_b32_e32 v69, 0x400921fb, v129
	v_and_b32_e32 v70, 0x400921fb, v134
	;; [unrolled: 1-line block ×3, first 2 shown]
	v_add_f64_e32 v[44:45], v[82:83], v[44:45]
	v_cndmask_b32_e64 v86, v50, v96, s1
	v_cndmask_b32_e64 v82, 0x3fe921fb, v133, s1
	v_and_b32_e32 v83, 0x400921fb, v135
	v_add_f64_e32 v[52:53], v[84:85], v[52:53]
	v_cndmask_b32_e32 v85, v47, v93, vcc_lo
	v_cmp_class_f64_e64 vcc_lo, v[8:9], 0x204
	v_cndmask_b32_e64 v84, 0x3fe921fb, v133, s3
	v_add_f64_e32 v[62:63], v[100:101], v[62:63]
	v_add_f64_e32 v[64:65], v[106:107], v[64:65]
	;; [unrolled: 1-line block ×3, first 2 shown]
	v_dual_cndmask_b32 v42, v42, v66, s3 :: v_dual_cndmask_b32 v43, v43, v67, s3
	v_cmp_eq_f64_e64 s3, 0, v[10:11]
	v_dual_add_f64 v[46:47], v[102:103], v[56:57] :: v_dual_cndmask_b32 v56, v49, v95, s0
	v_add_f64_e32 v[48:49], v[90:91], v[58:59]
	v_cmp_class_f64_e64 s0, v[26:27], 0x204
	v_cndmask_b32_e64 v57, v51, v97, s1
	v_add_f64_e32 v[50:51], v[88:89], v[60:61]
	v_cmp_class_f64_e64 s1, v[4:5], 0x204
	v_cndmask_b32_e64 v61, v85, v68, s2
	v_cmp_class_f64_e64 s10, v[28:29], 0x204
	v_dual_cndmask_b32 v58, v80, v76, s2 :: v_dual_cndmask_b32 v59, v81, v77, s4
	v_cndmask_b32_e64 v56, v56, v69, s4
	v_cmp_neq_f64_e64 s2, 0, v[30:31]
	v_cmp_neq_f64_e64 s4, 0, v[12:13]
	v_dual_cndmask_b32 v44, v44, v30, s6 :: v_dual_cndmask_b32 v45, v45, v31, s6
	v_cmp_neq_f64_e64 s6, 0, v[28:29]
	v_dual_cndmask_b32 v60, v86, v79, s5 :: v_dual_cndmask_b32 v30, v52, v12, s7
	v_cndmask_b32_e64 v31, v53, v13, s7
	v_cndmask_b32_e64 v57, v57, v70, s5
	v_cmp_neq_f64_e64 s5, 0, v[32:33]
	v_cmp_neq_f64_e64 s7, 0, v[16:17]
	v_dual_cndmask_b32 v12, v62, v32, s8 :: v_dual_cndmask_b32 v13, v63, v33, s8
	s_and_b32 s8, s25, s29
	v_dual_cndmask_b32 v32, v64, v16, s9 :: v_dual_cndmask_b32 v33, v65, v17, s9
	s_and_b32 s9, s27, s30
	v_cndmask_b32_e64 v42, v42, v72, s3
	v_dual_cndmask_b32 v52, v54, v28, s10 :: v_dual_cndmask_b32 v53, v55, v29, s10
	v_dual_cndmask_b32 v28, v46, v8 :: v_dual_cndmask_b32 v29, v47, v9
	v_cmp_neq_f64_e32 vcc_lo, 0, v[8:9]
	v_dual_cndmask_b32 v46, v48, v26, s0 :: v_dual_cndmask_b32 v47, v49, v27, s0
	v_cmp_neq_f64_e64 s0, 0, v[26:27]
	v_dual_cndmask_b32 v48, v50, v4, s1 :: v_dual_cndmask_b32 v26, v51, v5, s1
	v_cmp_neq_f64_e64 s1, 0, v[4:5]
	v_cndmask_b32_e64 v4, v43, v83, s3
	s_and_b32 s3, s11, s28
	v_dual_cndmask_b32 v49, v61, v71, s8 :: v_dual_cndmask_b32 v50, v58, v98, s8
	v_cmp_o_f64_e64 s8, v[38:39], v[34:35]
	v_dual_cndmask_b32 v34, v56, v73, s3 :: v_dual_cndmask_b32 v38, v59, v74, s3
	v_cmp_o_f64_e64 s3, v[36:37], v[6:7]
	;; [unrolled: 2-line block ×3, first 2 shown]
	v_cmp_o_f64_e64 s11, v[14:15], v[10:11]
	s_and_b32 s10, s26, s31
	v_cndmask_b32_e64 v5, 0xfff00000, v45, s2
	v_cndmask_b32_e64 v2, v4, v84, s10
	v_cndmask_b32_e64 v9, 0xfff00000, v31, s4
	v_dual_cndmask_b32 v4, 0, v44, s2 :: v_dual_cndmask_b32 v8, 0, v30, s4
	v_cndmask_b32_e64 v17, 0xfff00000, v53, s6
	v_cndmask_b32_e64 v16, 0, v52, s6
	;; [unrolled: 1-line block ×6, first 2 shown]
	v_add_f64_e64 v[4:5], v[4:5], -v[8:9]
	v_cndmask_b32_e32 v27, 0xfff00000, v29, vcc_lo
	v_cndmask_b32_e64 v29, 0xfff00000, v47, s0
	s_delay_alu instid0(VALU_DEP_4) | instskip(SKIP_4) | instid1(VALU_DEP_2)
	v_add_f64_e64 v[12:13], v[12:13], -v[14:15]
	v_cndmask_b32_e64 v14, v42, v78, s10
	v_cndmask_b32_e64 v31, 0xfff00000, v26, s1
	v_dual_cndmask_b32 v26, 0, v28, vcc_lo :: v_dual_cndmask_b32 v28, 0, v46, s0
	v_dual_cndmask_b32 v30, 0, v48, s1 :: v_dual_cndmask_b32 v10, 0, v50, s8
	v_add_f64_e64 v[8:9], v[16:17], -v[26:27]
	v_cndmask_b32_e64 v26, 0x7ff80000, v49, s8
	s_delay_alu instid0(VALU_DEP_3)
	v_add_f64_e64 v[16:17], v[28:29], -v[30:31]
	v_cndmask_b32_e64 v27, 0x7ff80000, v34, s3
	v_cndmask_b32_e64 v6, 0, v38, s3
	;; [unrolled: 1-line block ×5, first 2 shown]
	v_bfi_b32 v7, 0x7fffffff, v27, v7
	v_cndmask_b32_e64 v14, 0, v14, s11
	v_bfi_b32 v3, 0x7fffffff, v28, v3
	v_bfi_b32 v15, 0x7fffffff, v15, v11
	;; [unrolled: 1-line block ×3, first 2 shown]
	v_mul_f64_e32 v[6:7], 0.5, v[6:7]
	v_lshlrev_b64_e32 v[34:35], 2, v[0:1]
	v_mul_f64_e32 v[26:27], 0.5, v[2:3]
	v_mul_f64_e32 v[14:15], 0.5, v[14:15]
	;; [unrolled: 1-line block ×3, first 2 shown]
	v_ldexp_f64 v[2:3], v[4:5], -2
	v_cmp_ge_i64_e32 vcc_lo, v[34:35], v[18:19]
	v_ldexp_f64 v[32:33], v[12:13], -2
	s_or_b32 s24, vcc_lo, s24
	v_ldexp_f64 v[28:29], v[8:9], -2
	v_ldexp_f64 v[30:31], v[16:17], -2
	v_fma_f64 v[4:5], 0x80000000, v[10:11], -v[2:3]
	v_fmamk_f64 v[2:3], v[2:3], 0x80000000, v[10:11]
	v_fma_f64 v[16:17], 0x80000000, v[14:15], -v[32:33]
	v_fmamk_f64 v[14:15], v[32:33], 0x80000000, v[14:15]
	;; [unrolled: 2-line block ×4, first 2 shown]
	s_clause 0x3
	global_store_b128 v[24:25], v[2:5], off
	global_store_b128 v[24:25], v[6:9], off offset:16
	global_store_b128 v[24:25], v[10:13], off offset:32
	;; [unrolled: 1-line block ×3, first 2 shown]
	s_wait_xcnt 0x0
	v_add_nc_u64_e32 v[24:25], s[22:23], v[24:25]
	s_and_not1_b32 exec_lo, exec_lo, s24
	s_cbranch_execnz .LBB73_24
.LBB73_25:
	s_sendmsg sendmsg(MSG_DEALLOC_VGPRS)
	s_endpgm
	.section	.rodata,"a",@progbits
	.p2align	6, 0x0
	.amdhsa_kernel _ZN2at6native12_GLOBAL__N_125multi_tensor_apply_kernelINS1_18TensorListMetadataILi1EEENS1_14UnaryOpFunctorIN3c107complexIdEELi1ELi1ELi0EEEJNS0_4AtanIS8_EEEEEvT_T0_DpT1_
		.amdhsa_group_segment_fixed_size 0
		.amdhsa_private_segment_fixed_size 0
		.amdhsa_kernarg_size 3632
		.amdhsa_user_sgpr_count 2
		.amdhsa_user_sgpr_dispatch_ptr 0
		.amdhsa_user_sgpr_queue_ptr 0
		.amdhsa_user_sgpr_kernarg_segment_ptr 1
		.amdhsa_user_sgpr_dispatch_id 0
		.amdhsa_user_sgpr_kernarg_preload_length 0
		.amdhsa_user_sgpr_kernarg_preload_offset 0
		.amdhsa_user_sgpr_private_segment_size 0
		.amdhsa_wavefront_size32 1
		.amdhsa_uses_dynamic_stack 0
		.amdhsa_enable_private_segment 0
		.amdhsa_system_sgpr_workgroup_id_x 1
		.amdhsa_system_sgpr_workgroup_id_y 0
		.amdhsa_system_sgpr_workgroup_id_z 0
		.amdhsa_system_sgpr_workgroup_info 0
		.amdhsa_system_vgpr_workitem_id 0
		.amdhsa_next_free_vgpr 196
		.amdhsa_next_free_sgpr 34
		.amdhsa_named_barrier_count 0
		.amdhsa_reserve_vcc 1
		.amdhsa_float_round_mode_32 0
		.amdhsa_float_round_mode_16_64 0
		.amdhsa_float_denorm_mode_32 3
		.amdhsa_float_denorm_mode_16_64 3
		.amdhsa_fp16_overflow 0
		.amdhsa_memory_ordered 1
		.amdhsa_forward_progress 1
		.amdhsa_inst_pref_size 124
		.amdhsa_round_robin_scheduling 0
		.amdhsa_exception_fp_ieee_invalid_op 0
		.amdhsa_exception_fp_denorm_src 0
		.amdhsa_exception_fp_ieee_div_zero 0
		.amdhsa_exception_fp_ieee_overflow 0
		.amdhsa_exception_fp_ieee_underflow 0
		.amdhsa_exception_fp_ieee_inexact 0
		.amdhsa_exception_int_div_zero 0
	.end_amdhsa_kernel
	.section	.text._ZN2at6native12_GLOBAL__N_125multi_tensor_apply_kernelINS1_18TensorListMetadataILi1EEENS1_14UnaryOpFunctorIN3c107complexIdEELi1ELi1ELi0EEEJNS0_4AtanIS8_EEEEEvT_T0_DpT1_,"axG",@progbits,_ZN2at6native12_GLOBAL__N_125multi_tensor_apply_kernelINS1_18TensorListMetadataILi1EEENS1_14UnaryOpFunctorIN3c107complexIdEELi1ELi1ELi0EEEJNS0_4AtanIS8_EEEEEvT_T0_DpT1_,comdat
.Lfunc_end73:
	.size	_ZN2at6native12_GLOBAL__N_125multi_tensor_apply_kernelINS1_18TensorListMetadataILi1EEENS1_14UnaryOpFunctorIN3c107complexIdEELi1ELi1ELi0EEEJNS0_4AtanIS8_EEEEEvT_T0_DpT1_, .Lfunc_end73-_ZN2at6native12_GLOBAL__N_125multi_tensor_apply_kernelINS1_18TensorListMetadataILi1EEENS1_14UnaryOpFunctorIN3c107complexIdEELi1ELi1ELi0EEEJNS0_4AtanIS8_EEEEEvT_T0_DpT1_
                                        ; -- End function
	.set _ZN2at6native12_GLOBAL__N_125multi_tensor_apply_kernelINS1_18TensorListMetadataILi1EEENS1_14UnaryOpFunctorIN3c107complexIdEELi1ELi1ELi0EEEJNS0_4AtanIS8_EEEEEvT_T0_DpT1_.num_vgpr, 196
	.set _ZN2at6native12_GLOBAL__N_125multi_tensor_apply_kernelINS1_18TensorListMetadataILi1EEENS1_14UnaryOpFunctorIN3c107complexIdEELi1ELi1ELi0EEEJNS0_4AtanIS8_EEEEEvT_T0_DpT1_.num_agpr, 0
	.set _ZN2at6native12_GLOBAL__N_125multi_tensor_apply_kernelINS1_18TensorListMetadataILi1EEENS1_14UnaryOpFunctorIN3c107complexIdEELi1ELi1ELi0EEEJNS0_4AtanIS8_EEEEEvT_T0_DpT1_.numbered_sgpr, 34
	.set _ZN2at6native12_GLOBAL__N_125multi_tensor_apply_kernelINS1_18TensorListMetadataILi1EEENS1_14UnaryOpFunctorIN3c107complexIdEELi1ELi1ELi0EEEJNS0_4AtanIS8_EEEEEvT_T0_DpT1_.num_named_barrier, 0
	.set _ZN2at6native12_GLOBAL__N_125multi_tensor_apply_kernelINS1_18TensorListMetadataILi1EEENS1_14UnaryOpFunctorIN3c107complexIdEELi1ELi1ELi0EEEJNS0_4AtanIS8_EEEEEvT_T0_DpT1_.private_seg_size, 0
	.set _ZN2at6native12_GLOBAL__N_125multi_tensor_apply_kernelINS1_18TensorListMetadataILi1EEENS1_14UnaryOpFunctorIN3c107complexIdEELi1ELi1ELi0EEEJNS0_4AtanIS8_EEEEEvT_T0_DpT1_.uses_vcc, 1
	.set _ZN2at6native12_GLOBAL__N_125multi_tensor_apply_kernelINS1_18TensorListMetadataILi1EEENS1_14UnaryOpFunctorIN3c107complexIdEELi1ELi1ELi0EEEJNS0_4AtanIS8_EEEEEvT_T0_DpT1_.uses_flat_scratch, 0
	.set _ZN2at6native12_GLOBAL__N_125multi_tensor_apply_kernelINS1_18TensorListMetadataILi1EEENS1_14UnaryOpFunctorIN3c107complexIdEELi1ELi1ELi0EEEJNS0_4AtanIS8_EEEEEvT_T0_DpT1_.has_dyn_sized_stack, 0
	.set _ZN2at6native12_GLOBAL__N_125multi_tensor_apply_kernelINS1_18TensorListMetadataILi1EEENS1_14UnaryOpFunctorIN3c107complexIdEELi1ELi1ELi0EEEJNS0_4AtanIS8_EEEEEvT_T0_DpT1_.has_recursion, 0
	.set _ZN2at6native12_GLOBAL__N_125multi_tensor_apply_kernelINS1_18TensorListMetadataILi1EEENS1_14UnaryOpFunctorIN3c107complexIdEELi1ELi1ELi0EEEJNS0_4AtanIS8_EEEEEvT_T0_DpT1_.has_indirect_call, 0
	.section	.AMDGPU.csdata,"",@progbits
; Kernel info:
; codeLenInByte = 15864
; TotalNumSgprs: 36
; NumVgprs: 196
; ScratchSize: 0
; MemoryBound: 1
; FloatMode: 240
; IeeeMode: 1
; LDSByteSize: 0 bytes/workgroup (compile time only)
; SGPRBlocks: 0
; VGPRBlocks: 12
; NumSGPRsForWavesPerEU: 36
; NumVGPRsForWavesPerEU: 196
; NamedBarCnt: 0
; Occupancy: 4
; WaveLimiterHint : 0
; COMPUTE_PGM_RSRC2:SCRATCH_EN: 0
; COMPUTE_PGM_RSRC2:USER_SGPR: 2
; COMPUTE_PGM_RSRC2:TRAP_HANDLER: 0
; COMPUTE_PGM_RSRC2:TGID_X_EN: 1
; COMPUTE_PGM_RSRC2:TGID_Y_EN: 0
; COMPUTE_PGM_RSRC2:TGID_Z_EN: 0
; COMPUTE_PGM_RSRC2:TIDIG_COMP_CNT: 0
	.section	.text._ZN2at6native12_GLOBAL__N_125multi_tensor_apply_kernelINS1_18TensorListMetadataILi1EEENS1_14UnaryOpFunctorIN3c107complexIfEELi1ELi1ELi0EEEJNS0_4AtanIS8_EEEEEvT_T0_DpT1_,"axG",@progbits,_ZN2at6native12_GLOBAL__N_125multi_tensor_apply_kernelINS1_18TensorListMetadataILi1EEENS1_14UnaryOpFunctorIN3c107complexIfEELi1ELi1ELi0EEEJNS0_4AtanIS8_EEEEEvT_T0_DpT1_,comdat
	.globl	_ZN2at6native12_GLOBAL__N_125multi_tensor_apply_kernelINS1_18TensorListMetadataILi1EEENS1_14UnaryOpFunctorIN3c107complexIfEELi1ELi1ELi0EEEJNS0_4AtanIS8_EEEEEvT_T0_DpT1_ ; -- Begin function _ZN2at6native12_GLOBAL__N_125multi_tensor_apply_kernelINS1_18TensorListMetadataILi1EEENS1_14UnaryOpFunctorIN3c107complexIfEELi1ELi1ELi0EEEJNS0_4AtanIS8_EEEEEvT_T0_DpT1_
	.p2align	8
	.type	_ZN2at6native12_GLOBAL__N_125multi_tensor_apply_kernelINS1_18TensorListMetadataILi1EEENS1_14UnaryOpFunctorIN3c107complexIfEELi1ELi1ELi0EEEJNS0_4AtanIS8_EEEEEvT_T0_DpT1_,@function
_ZN2at6native12_GLOBAL__N_125multi_tensor_apply_kernelINS1_18TensorListMetadataILi1EEENS1_14UnaryOpFunctorIN3c107complexIfEELi1ELi1ELi0EEEJNS0_4AtanIS8_EEEEEvT_T0_DpT1_: ; @_ZN2at6native12_GLOBAL__N_125multi_tensor_apply_kernelINS1_18TensorListMetadataILi1EEENS1_14UnaryOpFunctorIN3c107complexIfEELi1ELi1ELi0EEEJNS0_4AtanIS8_EEEEEvT_T0_DpT1_
; %bb.0:
	s_bfe_u32 s2, ttmp6, 0x4000c
	s_and_b32 s3, ttmp6, 15
	s_add_co_i32 s2, s2, 1
	s_getreg_b32 s4, hwreg(HW_REG_IB_STS2, 6, 4)
	s_mul_i32 s2, ttmp9, s2
	s_delay_alu instid0(SALU_CYCLE_1)
	s_add_co_i32 s3, s3, s2
	s_cmp_eq_u32 s4, 0
	s_cselect_b32 s2, ttmp9, s3
	s_mov_b32 s3, 0
	s_load_u8 s12, s[0:1], s2 offset:0x6e0
	s_add_nc_u64 s[4:5], s[0:1], s[2:3]
	s_mul_u64 s[6:7], s[2:3], 3
	s_delay_alu instid0(SALU_CYCLE_1)
	s_add_nc_u64 s[4:5], s[4:5], s[6:7]
	s_load_b32 s6, s[4:5], 0x820
	s_wait_kmcnt 0x0
	s_clause 0x1
	s_load_b64 s[8:9], s[0:1], s12 offset:0x0 scale_offset
	s_load_b64 s[10:11], s[0:1], s12 offset:0x370 scale_offset
	s_ashr_i32 s7, s6, 31
	s_delay_alu instid0(SALU_CYCLE_1) | instskip(SKIP_3) | instid1(SALU_CYCLE_1)
	s_lshl_b64 s[4:5], s[6:7], 19
	s_wait_kmcnt 0x0
	s_and_b32 s2, s10, 3
	s_add_nc_u64 s[8:9], s[8:9], s[4:5]
	s_and_b64 s[4:5], s[8:9], 31
	s_delay_alu instid0(SALU_CYCLE_1)
	s_or_b64 s[2:3], s[4:5], s[2:3]
	s_lshl_b64 s[4:5], s[6:7], 16
	s_cmp_eq_u64 s[2:3], 0
	s_sub_nc_u64 s[10:11], s[10:11], s[4:5]
	s_cbranch_scc1 .LBB74_229
; %bb.1:
	v_cmp_lt_i64_e64 s2, s[10:11], 1
	s_and_b32 vcc_lo, exec_lo, s2
	s_cbranch_vccnz .LBB74_228
; %bb.2:
	s_load_b32 s2, s[0:1], 0xd3c
	v_min_i64 v[2:3], 0x10000, s[10:11]
	v_min_u64 v[4:5], 0x10000, s[10:11]
	v_mbcnt_lo_u32_b32 v6, -1, 0
	v_dual_mov_b32 v1, 0 :: v_dual_mov_b32 v14, 8
	s_mov_b32 s3, 0
	s_delay_alu instid0(VALU_DEP_2) | instskip(NEXT) | instid1(VALU_DEP_2)
	v_dual_lshlrev_b32 v12, 3, v0 :: v_dual_lshlrev_b32 v15, 20, v6
	v_dual_mov_b32 v40, 0x248d3132 :: v_dual_mov_b32 v13, v1
	v_mov_b32_e32 v21, v1
	s_mov_b32 s5, s3
	s_delay_alu instid0(VALU_DEP_3) | instskip(SKIP_4) | instid1(VALU_DEP_3)
	v_add_nc_u64_e32 v[6:7], src_flat_scratch_base_lo, v[14:15]
	v_mov_b32_e32 v14, 0
	s_mov_b32 s7, s3
	v_add_nc_u64_e32 v[12:13], s[8:9], v[12:13]
	v_dual_mov_b32 v41, 0xd800000 :: v_dual_mov_b32 v22, -1.0
	v_add_nc_u64_e32 v[8:9], src_flat_scratch_base_lo, v[14:15]
	s_wait_kmcnt 0x0
	s_and_b32 s2, s2, 0xffff
	v_mov_b32_e32 v24, 0x3f317218
	v_add_nc_u64_e32 v[10:11], s[2:3], v[0:1]
	v_mov_b32_e32 v14, 4
	s_lshl_b32 s4, s2, 1
	s_mul_i32 s6, s2, 3
	v_add_nc_u64_e32 v[18:19], s[4:5], v[0:1]
	v_add_nc_u64_e32 v[16:17], s[6:7], v[0:1]
	v_mov_b32_e32 v42, 0x4016cbe4
	v_lshlrev_b32_e32 v20, 3, v10
	v_add_nc_u64_e32 v[14:15], src_flat_scratch_base_lo, v[14:15]
	s_mov_b32 s13, s3
	s_mov_b32 s15, s3
	;; [unrolled: 1-line block ×3, first 2 shown]
	v_add_nc_u64_e32 v[20:21], s[8:9], v[20:21]
	s_lshl_b32 s12, s2, 2
	s_lshl_b32 s14, s2, 5
	s_mul_u64 s[18:19], s[2:3], 24
	s_lshl_b32 s16, s2, 4
	s_mov_b64 s[20:21], 0
	s_mov_b32 s7, 0x3e9b6dac
	s_mov_b32 s22, 0x3b2d2a58
	s_branch .LBB74_4
.LBB74_3:                               ;   in Loop: Header=BB74_4 Depth=1
	s_wait_xcnt 0x0
	s_or_b32 exec_lo, exec_lo, s2
	s_add_nc_u64 s[20:21], s[20:21], s[12:13]
	v_add_nc_u64_e32 v[12:13], s[14:15], v[12:13]
	v_cmp_ge_i64_e32 vcc_lo, s[20:21], v[2:3]
	v_add_nc_u64_e32 v[20:21], s[14:15], v[20:21]
	s_cbranch_vccnz .LBB74_228
.LBB74_4:                               ; =>This Inner Loop Header: Depth=1
	v_add_nc_u64_e32 v[26:27], s[20:21], v[0:1]
	v_dual_mov_b32 v36, 0 :: v_dual_mov_b32 v37, 0
	s_delay_alu instid0(VALU_DEP_2)
	v_cmp_lt_u64_e64 s2, v[26:27], v[4:5]
	s_and_saveexec_b32 s3, s2
	s_cbranch_execz .LBB74_6
; %bb.5:                                ;   in Loop: Header=BB74_4 Depth=1
	global_load_b64 v[36:37], v[12:13], off
.LBB74_6:                               ;   in Loop: Header=BB74_4 Depth=1
	s_wait_xcnt 0x0
	s_or_b32 exec_lo, exec_lo, s3
	v_add_nc_u64_e32 v[26:27], s[20:21], v[10:11]
	v_dual_mov_b32 v34, 0 :: v_dual_mov_b32 v38, 0
	v_mov_b32_e32 v39, 0
	s_delay_alu instid0(VALU_DEP_3)
	v_cmp_lt_u64_e64 s3, v[26:27], v[4:5]
	s_and_saveexec_b32 s4, s3
	s_cbranch_execz .LBB74_8
; %bb.7:                                ;   in Loop: Header=BB74_4 Depth=1
	global_load_b64 v[38:39], v[20:21], off
.LBB74_8:                               ;   in Loop: Header=BB74_4 Depth=1
	s_wait_xcnt 0x0
	s_or_b32 exec_lo, exec_lo, s4
	v_add_nc_u64_e32 v[26:27], s[20:21], v[18:19]
	v_mov_b32_e32 v35, 0
	s_delay_alu instid0(VALU_DEP_2)
	v_cmp_lt_u64_e64 s4, v[26:27], v[4:5]
	v_add_nc_u64_e32 v[26:27], s[16:17], v[12:13]
	s_and_saveexec_b32 s5, s4
	s_cbranch_execz .LBB74_10
; %bb.9:                                ;   in Loop: Header=BB74_4 Depth=1
	global_load_b64 v[34:35], v[26:27], off
.LBB74_10:                              ;   in Loop: Header=BB74_4 Depth=1
	s_wait_xcnt 0x0
	s_or_b32 exec_lo, exec_lo, s5
	v_add_nc_u64_e32 v[28:29], s[20:21], v[16:17]
	v_mov_b32_e32 v30, 0
	s_delay_alu instid0(VALU_DEP_1) | instskip(NEXT) | instid1(VALU_DEP_3)
	v_mov_b32_e32 v31, v30
	v_cmp_lt_u64_e64 s5, v[28:29], v[4:5]
	v_add_nc_u64_e32 v[28:29], s[18:19], v[12:13]
	s_and_saveexec_b32 s6, s5
	s_cbranch_execz .LBB74_12
; %bb.11:                               ;   in Loop: Header=BB74_4 Depth=1
	global_load_b64 v[30:31], v[28:29], off
.LBB74_12:                              ;   in Loop: Header=BB74_4 Depth=1
	s_wait_xcnt 0x0
	s_or_b32 exec_lo, exec_lo, s6
	s_wait_loadcnt 0x0
	v_cmp_neq_f32_e32 vcc_lo, 0, v36
	v_cmp_nle_f32_e64 s6, |v37|, 1.0
	flat_store_b32 v[6:7], v40 scope:SCOPE_SYS
	s_wait_storecnt 0x0
                                        ; implicit-def: $vgpr33
	s_or_b32 s6, vcc_lo, s6
	s_wait_xcnt 0x0
	s_and_saveexec_b32 s23, s6
	s_delay_alu instid0(SALU_CYCLE_1)
	s_xor_b32 s23, exec_lo, s23
	s_cbranch_execz .LBB74_62
; %bb.13:                               ;   in Loop: Header=BB74_4 Depth=1
                                        ; implicit-def: $vgpr33
	s_mov_b32 s6, exec_lo
	v_cmpx_neq_f32_e32 0, v37
	s_xor_b32 s24, exec_lo, s6
	s_cbranch_execz .LBB74_59
; %bb.14:                               ;   in Loop: Header=BB74_4 Depth=1
                                        ; implicit-def: $vgpr33
	s_mov_b32 s6, exec_lo
	v_cmpx_o_f32_e32 v37, v36
	s_xor_b32 s25, exec_lo, s6
	s_cbranch_execz .LBB74_48
; %bb.15:                               ;   in Loop: Header=BB74_4 Depth=1
	s_wait_dscnt 0x1
	v_max_num_f32_e64 v23, |v36|, |v36|
	v_max_num_f32_e64 v25, |v37|, |v37|
                                        ; implicit-def: $vgpr33
	s_mov_b32 s6, exec_lo
	s_delay_alu instid0(VALU_DEP_1) | instskip(NEXT) | instid1(VALU_DEP_1)
	v_max_num_f32_e32 v25, v25, v23
	v_cmpx_nlt_f32_e32 0x4b000000, v25
	s_xor_b32 s26, exec_lo, s6
	s_cbranch_execz .LBB74_33
; %bb.16:                               ;   in Loop: Header=BB74_4 Depth=1
	v_cmp_ngt_f32_e64 s6, 0x399cc471, |v37|
	v_cmp_ngt_f32_e64 s27, 0x399cc471, |v36|
                                        ; implicit-def: $vgpr33
	s_or_b32 s6, s6, s27
	s_delay_alu instid0(SALU_CYCLE_1) | instskip(NEXT) | instid1(SALU_CYCLE_1)
	s_and_saveexec_b32 s27, s6
	s_xor_b32 s27, exec_lo, s27
	s_cbranch_execz .LBB74_30
; %bb.17:                               ;   in Loop: Header=BB74_4 Depth=1
	v_cmp_neq_f32_e64 s28, |v37|, 1.0
	v_cmp_ngt_f32_e64 s6, 0x34000000, |v36|
                                        ; implicit-def: $vgpr25
	s_or_b32 s29, s28, s6
	s_delay_alu instid0(SALU_CYCLE_1) | instskip(NEXT) | instid1(SALU_CYCLE_1)
	s_and_saveexec_b32 s30, s29
	s_xor_b32 s29, exec_lo, s30
	s_cbranch_execz .LBB74_19
; %bb.18:                               ;   in Loop: Header=BB74_4 Depth=1
	v_add_f32_e64 v33, |v37|, -1.0
	v_cmp_gt_f32_e64 vcc_lo, 0x20000000, |v36|
	v_mov_b32_e32 v32, v36
	s_delay_alu instid0(VALU_DEP_1) | instskip(NEXT) | instid1(VALU_DEP_1)
	v_pk_mul_f32 v[32:33], v[32:33], v[32:33]
	v_add_f32_e32 v25, v32, v33
	v_mul_f32_e64 v32, |v37|, 4.0
	s_delay_alu instid0(VALU_DEP_2) | instskip(NEXT) | instid1(VALU_DEP_1)
	v_cndmask_b32_e32 v25, v25, v33, vcc_lo
	v_div_scale_f32 v33, null, v25, v25, v32
	v_div_scale_f32 v45, vcc_lo, v32, v25, v32
	s_delay_alu instid0(VALU_DEP_2) | instskip(SKIP_1) | instid1(TRANS32_DEP_1)
	v_rcp_f32_e32 v43, v33
	v_nop
	v_fma_f32 v44, -v33, v43, 1.0
	s_delay_alu instid0(VALU_DEP_1) | instskip(NEXT) | instid1(VALU_DEP_1)
	v_fmac_f32_e32 v43, v44, v43
	v_mul_f32_e32 v44, v45, v43
	s_delay_alu instid0(VALU_DEP_1) | instskip(NEXT) | instid1(VALU_DEP_1)
	v_fma_f32 v46, -v33, v44, v45
	v_fmac_f32_e32 v44, v46, v43
	s_delay_alu instid0(VALU_DEP_1) | instskip(NEXT) | instid1(VALU_DEP_1)
	v_fma_f32 v33, -v33, v44, v45
	v_div_fmas_f32 v33, v33, v43, v44
	s_delay_alu instid0(VALU_DEP_1) | instskip(NEXT) | instid1(VALU_DEP_1)
	v_div_fixup_f32 v32, v33, v25, v32
	v_add_f32_e32 v45, 1.0, v32
	s_delay_alu instid0(VALU_DEP_1) | instskip(SKIP_2) | instid1(VALU_DEP_2)
	v_cvt_f64_f32_e32 v[46:47], v45
	v_frexp_mant_f32_e32 v43, v45
	v_add_f32_e32 v33, -1.0, v45
	v_cmp_gt_f32_e32 vcc_lo, 0x3f2aaaab, v43
	s_delay_alu instid0(VALU_DEP_2) | instskip(SKIP_1) | instid1(VALU_DEP_2)
	v_mov_b32_e32 v44, v33
	v_frexp_exp_i32_f64_e32 v25, v[46:47]
	v_pk_add_f32 v[46:47], v[32:33], v[44:45] neg_lo:[0,1] neg_hi:[0,1]
	s_delay_alu instid0(VALU_DEP_1) | instskip(NEXT) | instid1(VALU_DEP_3)
	v_add_f32_e32 v44, 1.0, v47
	v_subrev_co_ci_u32_e64 v25, null, 0, v25, vcc_lo
	v_cmp_neq_f32_e32 vcc_lo, 0x7f800000, v32
	s_delay_alu instid0(VALU_DEP_2) | instskip(NEXT) | instid1(VALU_DEP_1)
	v_sub_nc_u32_e32 v43, 0, v25
	v_ldexp_f32 v33, v45, v43
	s_delay_alu instid0(VALU_DEP_1) | instskip(NEXT) | instid1(VALU_DEP_1)
	v_dual_add_f32 v47, 1.0, v33 :: v_dual_add_f32 v44, v46, v44
	v_add_f32_e32 v45, -1.0, v47
	s_delay_alu instid0(VALU_DEP_2) | instskip(NEXT) | instid1(VALU_DEP_2)
	v_ldexp_f32 v43, v44, v43
	v_sub_f32_e32 v44, v33, v45
	s_delay_alu instid0(VALU_DEP_1) | instskip(NEXT) | instid1(VALU_DEP_1)
	v_dual_add_f32 v49, -1.0, v33 :: v_dual_add_f32 v44, v43, v44
	v_dual_add_f32 v45, 1.0, v49 :: v_dual_add_f32 v50, v47, v44
	s_delay_alu instid0(VALU_DEP_1) | instskip(NEXT) | instid1(VALU_DEP_1)
	v_dual_sub_f32 v33, v33, v45 :: v_dual_sub_f32 v47, v50, v47
	v_add_f32_e32 v33, v43, v33
	v_rcp_f32_e32 v43, v50
	s_delay_alu instid0(VALU_DEP_1)
	v_add_f32_e32 v45, v49, v33
	s_delay_alu instid0(TRANS32_DEP_1) | instid1(VALU_DEP_1)
	v_mul_f32_e32 v51, v45, v43
	v_dual_sub_f32 v52, v44, v47 :: v_dual_sub_f32 v53, v45, v49
	s_delay_alu instid0(VALU_DEP_1) | instskip(NEXT) | instid1(VALU_DEP_1)
	v_dual_mul_f32 v46, v50, v51 :: v_dual_sub_f32 v33, v33, v53
	v_fma_f32 v48, v51, v50, -v46
	s_delay_alu instid0(VALU_DEP_1) | instskip(NEXT) | instid1(VALU_DEP_1)
	v_fmac_f32_e32 v48, v51, v52
	v_add_f32_e32 v44, v46, v48
	s_delay_alu instid0(VALU_DEP_1) | instskip(NEXT) | instid1(VALU_DEP_1)
	v_dual_sub_f32 v47, v45, v44 :: v_dual_mov_b32 v49, v44
	v_pk_add_f32 v[44:45], v[44:45], v[46:47] neg_lo:[0,1] neg_hi:[0,1]
	s_delay_alu instid0(VALU_DEP_1) | instskip(NEXT) | instid1(VALU_DEP_1)
	v_pk_add_f32 v[44:45], v[44:45], v[48:49] neg_lo:[0,1] neg_hi:[0,1]
	v_add_f32_e32 v33, v33, v45
	s_delay_alu instid0(VALU_DEP_1) | instskip(NEXT) | instid1(VALU_DEP_1)
	v_add_f32_e32 v33, v44, v33
	v_add_f32_e32 v45, v47, v33
	s_delay_alu instid0(VALU_DEP_1) | instskip(NEXT) | instid1(VALU_DEP_1)
	v_mul_f32_e32 v53, v43, v45
	v_mul_f32_e32 v48, v50, v53
	s_delay_alu instid0(VALU_DEP_1) | instskip(NEXT) | instid1(VALU_DEP_1)
	v_fma_f32 v46, v53, v50, -v48
	v_dual_fmac_f32 v46, v53, v52 :: v_dual_sub_f32 v50, v47, v45
	s_delay_alu instid0(VALU_DEP_1) | instskip(NEXT) | instid1(VALU_DEP_2)
	v_add_f32_e32 v44, v48, v46
	v_dual_add_f32 v33, v33, v50 :: v_dual_add_f32 v50, v51, v53
	s_delay_alu instid0(VALU_DEP_2) | instskip(NEXT) | instid1(VALU_DEP_1)
	v_dual_sub_f32 v49, v45, v44 :: v_dual_mov_b32 v47, v44
	v_pk_add_f32 v[44:45], v[44:45], v[48:49] neg_lo:[0,1] neg_hi:[0,1]
	s_delay_alu instid0(VALU_DEP_1) | instskip(NEXT) | instid1(VALU_DEP_1)
	v_pk_add_f32 v[44:45], v[44:45], v[46:47] neg_lo:[0,1] neg_hi:[0,1]
	v_add_f32_e32 v33, v33, v45
	s_delay_alu instid0(VALU_DEP_1) | instskip(NEXT) | instid1(VALU_DEP_1)
	v_dual_add_f32 v33, v44, v33 :: v_dual_sub_f32 v44, v50, v51
	v_sub_f32_e32 v44, v53, v44
	s_delay_alu instid0(VALU_DEP_2) | instskip(NEXT) | instid1(VALU_DEP_1)
	v_add_f32_e32 v33, v49, v33
	v_mul_f32_e32 v33, v43, v33
	s_delay_alu instid0(VALU_DEP_1) | instskip(SKIP_1) | instid1(VALU_DEP_2)
	v_add_f32_e32 v33, v44, v33
	v_cvt_f32_i32_e32 v44, v25
	v_add_f32_e32 v43, v50, v33
	s_delay_alu instid0(VALU_DEP_1) | instskip(SKIP_1) | instid1(VALU_DEP_2)
	v_mul_f32_e32 v46, v43, v43
	v_ldexp_f32 v49, v43, 1
	v_fmaak_f32 v47, s7, v46, 0x3ecc95a3
	v_mul_f32_e32 v45, v43, v46
	s_delay_alu instid0(VALU_DEP_2) | instskip(NEXT) | instid1(VALU_DEP_1)
	v_fmaak_f32 v25, v46, v47, 0x3f2aaada
	v_pk_mul_f32 v[46:47], v[44:45], v[24:25]
	s_delay_alu instid0(VALU_DEP_1) | instskip(NEXT) | instid1(VALU_DEP_1)
	v_fma_f32 v48, 0x3f317218, v44, -v46
	v_fmac_f32_e32 v48, 0xb102e308, v44
	s_delay_alu instid0(VALU_DEP_1) | instskip(SKIP_1) | instid1(VALU_DEP_2)
	v_pk_add_f32 v[44:45], v[46:47], v[48:49]
	v_dual_sub_f32 v25, v43, v50 :: v_dual_mov_b32 v50, v46
	v_mov_b32_e32 v58, v45
	s_delay_alu instid0(VALU_DEP_2) | instskip(NEXT) | instid1(VALU_DEP_4)
	v_sub_f32_e32 v25, v33, v25
	v_dual_sub_f32 v33, v45, v49 :: v_dual_mov_b32 v49, v44
	s_delay_alu instid0(VALU_DEP_2) | instskip(NEXT) | instid1(VALU_DEP_2)
	v_ldexp_f32 v25, v25, 1
	v_sub_f32_e32 v33, v47, v33
	v_pk_add_f32 v[46:47], v[44:45], v[46:47] neg_lo:[0,1] neg_hi:[0,1]
	s_delay_alu instid0(VALU_DEP_2) | instskip(NEXT) | instid1(VALU_DEP_1)
	v_add_f32_e32 v51, v25, v33
	v_pk_add_f32 v[52:53], v[44:45], v[50:51]
	s_delay_alu instid0(VALU_DEP_1) | instskip(NEXT) | instid1(VALU_DEP_1)
	v_mov_b32_e32 v47, v53
	v_pk_add_f32 v[54:55], v[48:49], v[46:47]
	v_mov_b32_e32 v54, v53
	v_pk_add_f32 v[46:47], v[48:49], v[46:47] neg_lo:[0,1] neg_hi:[0,1]
	s_delay_alu instid0(VALU_DEP_3) | instskip(NEXT) | instid1(VALU_DEP_1)
	v_mov_b32_e32 v50, v55
	v_pk_add_f32 v[56:57], v[50:51], v[44:45] neg_lo:[0,1] neg_hi:[0,1]
	s_delay_alu instid0(VALU_DEP_1) | instskip(SKIP_1) | instid1(VALU_DEP_2)
	v_dual_mov_b32 v45, v44 :: v_dual_mov_b32 v59, v56
	v_dual_mov_b32 v44, v51 :: v_dual_mov_b32 v25, v56
	v_pk_add_f32 v[56:57], v[54:55], v[58:59] neg_lo:[0,1] neg_hi:[0,1]
	s_delay_alu instid0(VALU_DEP_2) | instskip(SKIP_1) | instid1(VALU_DEP_3)
	v_pk_add_f32 v[48:49], v[52:53], v[24:25] neg_lo:[0,1] neg_hi:[0,1]
	v_mov_b32_e32 v48, v46
	v_pk_add_f32 v[44:45], v[44:45], v[56:57] neg_lo:[0,1] neg_hi:[0,1]
	s_delay_alu instid0(VALU_DEP_1) | instskip(NEXT) | instid1(VALU_DEP_1)
	v_pk_add_f32 v[48:49], v[48:49], v[44:45]
	v_mov_b32_e32 v52, v49
	s_delay_alu instid0(VALU_DEP_1) | instskip(NEXT) | instid1(VALU_DEP_1)
	v_pk_add_f32 v[52:53], v[48:49], v[52:53]
	v_pk_add_f32 v[50:51], v[50:51], v[52:53]
	s_delay_alu instid0(VALU_DEP_1) | instskip(NEXT) | instid1(VALU_DEP_1)
	v_dual_mov_b32 v47, v55 :: v_dual_mov_b32 v49, v50
	v_pk_add_f32 v[54:55], v[48:49], v[46:47] neg_lo:[0,1] neg_hi:[0,1]
	s_delay_alu instid0(VALU_DEP_1) | instskip(NEXT) | instid1(VALU_DEP_1)
	v_sub_f32_e32 v25, v48, v54
	v_dual_mov_b32 v45, v52 :: v_dual_sub_f32 v25, v46, v25
	s_delay_alu instid0(VALU_DEP_1) | instskip(NEXT) | instid1(VALU_DEP_1)
	v_pk_add_f32 v[44:45], v[44:45], v[54:55] neg_lo:[0,1] neg_hi:[0,1]
	v_add_f32_e32 v25, v44, v25
	s_delay_alu instid0(VALU_DEP_1) | instskip(NEXT) | instid1(VALU_DEP_1)
	v_add_f32_e32 v25, v25, v45
	v_add_f32_e32 v25, v50, v25
	s_delay_alu instid0(VALU_DEP_1) | instskip(SKIP_1) | instid1(VALU_DEP_2)
	v_cndmask_b32_e32 v25, 0x7f800000, v25, vcc_lo
	v_cmp_ngt_f32_e32 vcc_lo, -1.0, v32
	v_cndmask_b32_e32 v25, 0x7fc00000, v25, vcc_lo
	v_cmp_neq_f32_e32 vcc_lo, -1.0, v32
	s_delay_alu instid0(VALU_DEP_2) | instskip(SKIP_1) | instid1(VALU_DEP_2)
	v_cndmask_b32_e32 v25, 0xff800000, v25, vcc_lo
	v_cmp_gt_f32_e64 vcc_lo, 0x33800000, |v32|
	v_cndmask_b32_e32 v25, v25, v32, vcc_lo
	s_delay_alu instid0(VALU_DEP_1)
	v_mul_f32_e32 v25, 0x3e800000, v25
	s_and_not1_saveexec_b32 s29, s29
	s_cbranch_execz .LBB74_21
	s_branch .LBB74_20
.LBB74_19:                              ;   in Loop: Header=BB74_4 Depth=1
	s_and_not1_saveexec_b32 s29, s29
	s_cbranch_execz .LBB74_21
.LBB74_20:                              ;   in Loop: Header=BB74_4 Depth=1
	v_cmp_gt_f32_e64 s30, 0x800000, |v36|
	s_delay_alu instid0(VALU_DEP_1) | instskip(NEXT) | instid1(VALU_DEP_1)
	v_cndmask_b32_e64 v25, 0, 32, s30
	v_ldexp_f32 v25, |v36|, v25
	s_delay_alu instid0(VALU_DEP_1) | instskip(SKIP_1) | instid1(TRANS32_DEP_1)
	v_log_f32_e32 v25, v25
	v_nop
	v_mul_f32_e32 v32, 0x3f317217, v25
	v_cmp_gt_f32_e64 vcc_lo, 0x7f800000, |v25|
	s_delay_alu instid0(VALU_DEP_2) | instskip(NEXT) | instid1(VALU_DEP_1)
	v_fma_f32 v32, 0x3f317217, v25, -v32
	v_fmac_f32_e32 v32, 0x3377d1cf, v25
	s_delay_alu instid0(VALU_DEP_1) | instskip(NEXT) | instid1(VALU_DEP_1)
	v_fmac_f32_e32 v32, 0x3f317217, v25
	v_cndmask_b32_e32 v25, v25, v32, vcc_lo
	v_cndmask_b32_e64 v32, 0, 0x41b17218, s30
	s_delay_alu instid0(VALU_DEP_1) | instskip(NEXT) | instid1(VALU_DEP_1)
	v_sub_f32_e32 v25, v25, v32
	v_sub_f32_e32 v25, 0x3f317218, v25
	s_delay_alu instid0(VALU_DEP_1)
	v_mul_f32_e32 v25, 0.5, v25
.LBB74_21:                              ;   in Loop: Header=BB74_4 Depth=1
	s_or_b32 exec_lo, exec_lo, s29
                                        ; implicit-def: $vgpr33
	s_and_saveexec_b32 s29, s28
	s_delay_alu instid0(SALU_CYCLE_1)
	s_xor_b32 s28, exec_lo, s29
	s_cbranch_execz .LBB74_27
; %bb.22:                               ;   in Loop: Header=BB74_4 Depth=1
	v_sub_f32_e64 v32, 1.0, |v37|
	v_add_f32_e64 v33, |v37|, 1.0
	v_add_f32_e64 v23, |v36|, |v36|
	s_delay_alu instid0(VALU_DEP_1) | instskip(SKIP_1) | instid1(SALU_CYCLE_1)
	v_dual_mul_f32 v32, v32, v33 :: v_dual_max_num_f32 v43, v23, v23
                                        ; implicit-def: $vgpr33
	s_and_saveexec_b32 s29, s6
	s_xor_b32 s29, exec_lo, s29
	s_cbranch_execz .LBB74_24
; %bb.23:                               ;   in Loop: Header=BB74_4 Depth=1
	s_delay_alu instid0(VALU_DEP_1) | instskip(NEXT) | instid1(VALU_DEP_1)
	v_fma_f32 v32, -v36, v36, v32
	v_max_num_f32_e64 v33, |v32|, v43
	v_min_num_f32_e64 v43, |v32|, v43
	s_delay_alu instid0(VALU_DEP_2) | instskip(SKIP_1) | instid1(VALU_DEP_3)
	v_frexp_mant_f32_e32 v44, v33
	v_frexp_exp_i32_f32_e32 v33, v33
	v_frexp_exp_i32_f32_e32 v45, v43
	v_frexp_mant_f32_e32 v43, v43
	s_delay_alu instid0(VALU_DEP_4) | instskip(NEXT) | instid1(VALU_DEP_2)
	v_rcp_f32_e32 v44, v44
	v_sub_nc_u32_e32 v33, v45, v33
	v_cmp_gt_f32_e64 vcc_lo, v23, |v32|
	v_cmp_gt_i32_e64 s6, 0, v32
	v_cmp_class_f32_e64 s30, v32, 0x204
	s_delay_alu instid0(TRANS32_DEP_1) | instskip(NEXT) | instid1(VALU_DEP_1)
	v_mul_f32_e32 v43, v43, v44
	v_ldexp_f32 v33, v43, v33
	s_delay_alu instid0(VALU_DEP_1) | instskip(NEXT) | instid1(VALU_DEP_1)
	v_mul_f32_e32 v43, v33, v33
	v_fmaak_f32 v44, s22, v43, 0xbc7a590c
	s_delay_alu instid0(VALU_DEP_1) | instskip(NEXT) | instid1(VALU_DEP_1)
	v_fmaak_f32 v44, v43, v44, 0x3d29fb3f
	v_fmaak_f32 v44, v43, v44, 0xbd97d4d7
	s_delay_alu instid0(VALU_DEP_1) | instskip(NEXT) | instid1(VALU_DEP_1)
	v_fmaak_f32 v44, v43, v44, 0x3dd931b2
	;; [unrolled: 3-line block ×3, first 2 shown]
	v_fmaak_f32 v44, v43, v44, 0xbeaaaa62
	s_delay_alu instid0(VALU_DEP_1) | instskip(NEXT) | instid1(VALU_DEP_1)
	v_mul_f32_e32 v43, v43, v44
	v_fmac_f32_e32 v33, v33, v43
	s_delay_alu instid0(VALU_DEP_1) | instskip(NEXT) | instid1(VALU_DEP_1)
	v_sub_f32_e32 v43, 0x3fc90fdb, v33
	v_cndmask_b32_e32 v33, v33, v43, vcc_lo
	v_cmp_gt_f32_e32 vcc_lo, 0, v32
	s_delay_alu instid0(VALU_DEP_2) | instskip(SKIP_1) | instid1(VALU_DEP_2)
	v_sub_f32_e32 v43, 0x40490fdb, v33
	v_cndmask_b32_e32 v44, 0x3f490fdb, v42, vcc_lo
	v_cndmask_b32_e32 v33, v33, v43, vcc_lo
	v_cndmask_b32_e64 v43, 0, 0x40490fdb, s6
	v_cmp_eq_f32_e64 s6, 0, v23
	v_cmp_eq_f32_e32 vcc_lo, 0x7f800000, v23
	s_delay_alu instid0(VALU_DEP_2) | instskip(SKIP_1) | instid1(VALU_DEP_1)
	v_cndmask_b32_e64 v23, |v33|, v43, s6
	s_and_b32 vcc_lo, vcc_lo, s30
                                        ; implicit-def: $vgpr43
	v_cndmask_b32_e32 v23, v23, v44, vcc_lo
	v_cmp_o_f32_e32 vcc_lo, v32, v32
                                        ; implicit-def: $vgpr32
	s_delay_alu instid0(VALU_DEP_2)
	v_cndmask_b32_e32 v33, 0x7fc00000, v23, vcc_lo
                                        ; implicit-def: $vgpr23
.LBB74_24:                              ;   in Loop: Header=BB74_4 Depth=1
	s_and_not1_saveexec_b32 s29, s29
	s_cbranch_execz .LBB74_26
; %bb.25:                               ;   in Loop: Header=BB74_4 Depth=1
	v_max_num_f32_e64 v33, |v32|, |v32|
	v_cmp_gt_f32_e64 vcc_lo, v23, |v32|
	v_cmp_gt_i32_e64 s6, 0, v32
	v_cmp_class_f32_e64 s30, v32, 0x204
	s_delay_alu instid0(VALU_DEP_4) | instskip(NEXT) | instid1(VALU_DEP_1)
	v_dual_max_num_f32 v44, v33, v43 :: v_dual_min_num_f32 v33, v33, v43
	v_frexp_mant_f32_e32 v45, v44
	v_frexp_exp_i32_f32_e32 v43, v44
	s_delay_alu instid0(VALU_DEP_2) | instskip(SKIP_3) | instid1(VALU_DEP_2)
	v_rcp_f32_e32 v44, v45
	v_nop
	v_frexp_exp_i32_f32_e32 v45, v33
	v_frexp_mant_f32_e32 v33, v33
	v_sub_nc_u32_e32 v43, v45, v43
	s_delay_alu instid0(TRANS32_DEP_1) | instid1(VALU_DEP_2)
	v_mul_f32_e32 v33, v33, v44
	s_delay_alu instid0(VALU_DEP_1) | instskip(NEXT) | instid1(VALU_DEP_1)
	v_ldexp_f32 v33, v33, v43
	v_mul_f32_e32 v43, v33, v33
	s_delay_alu instid0(VALU_DEP_1) | instskip(NEXT) | instid1(VALU_DEP_1)
	v_fmaak_f32 v44, s22, v43, 0xbc7a590c
	v_fmaak_f32 v44, v43, v44, 0x3d29fb3f
	s_delay_alu instid0(VALU_DEP_1) | instskip(NEXT) | instid1(VALU_DEP_1)
	v_fmaak_f32 v44, v43, v44, 0xbd97d4d7
	v_fmaak_f32 v44, v43, v44, 0x3dd931b2
	;; [unrolled: 3-line block ×3, first 2 shown]
	s_delay_alu instid0(VALU_DEP_1) | instskip(NEXT) | instid1(VALU_DEP_1)
	v_fmaak_f32 v44, v43, v44, 0xbeaaaa62
	v_mul_f32_e32 v43, v43, v44
	s_delay_alu instid0(VALU_DEP_1) | instskip(NEXT) | instid1(VALU_DEP_1)
	v_fmac_f32_e32 v33, v33, v43
	v_sub_f32_e32 v43, 0x3fc90fdb, v33
	s_delay_alu instid0(VALU_DEP_1) | instskip(SKIP_1) | instid1(VALU_DEP_2)
	v_cndmask_b32_e32 v33, v33, v43, vcc_lo
	v_cmp_gt_f32_e32 vcc_lo, 0, v32
	v_sub_f32_e32 v43, 0x40490fdb, v33
	v_cndmask_b32_e32 v44, 0x3f490fdb, v42, vcc_lo
	s_delay_alu instid0(VALU_DEP_2) | instskip(SKIP_3) | instid1(VALU_DEP_2)
	v_cndmask_b32_e32 v33, v33, v43, vcc_lo
	v_cndmask_b32_e64 v43, 0, 0x40490fdb, s6
	v_cmp_eq_f32_e64 s6, 0, v23
	v_cmp_eq_f32_e32 vcc_lo, 0x7f800000, v23
	v_cndmask_b32_e64 v23, |v33|, v43, s6
	s_and_b32 vcc_lo, vcc_lo, s30
	s_delay_alu instid0(VALU_DEP_1) | instskip(SKIP_1) | instid1(VALU_DEP_2)
	v_cndmask_b32_e32 v23, v23, v44, vcc_lo
	v_cmp_o_f32_e32 vcc_lo, v32, v32
	v_cndmask_b32_e32 v33, 0x7fc00000, v23, vcc_lo
.LBB74_26:                              ;   in Loop: Header=BB74_4 Depth=1
	s_or_b32 exec_lo, exec_lo, s29
                                        ; implicit-def: $vgpr23
	s_and_not1_saveexec_b32 s6, s28
	s_cbranch_execnz .LBB74_28
	s_branch .LBB74_29
.LBB74_27:                              ;   in Loop: Header=BB74_4 Depth=1
	s_and_not1_saveexec_b32 s6, s28
	s_cbranch_execz .LBB74_29
.LBB74_28:                              ;   in Loop: Header=BB74_4 Depth=1
	v_dual_max_num_f32 v32, 2.0, v23 :: v_dual_min_num_f32 v23, 2.0, v23
	v_cmp_lt_f32_e64 vcc_lo, |v36|, 2.0
	s_delay_alu instid0(VALU_DEP_2) | instskip(SKIP_1) | instid1(VALU_DEP_4)
	v_frexp_mant_f32_e32 v33, v32
	v_frexp_exp_i32_f32_e32 v32, v32
	v_frexp_mant_f32_e32 v43, v23
	v_frexp_exp_i32_f32_e32 v23, v23
	s_delay_alu instid0(VALU_DEP_4) | instskip(NEXT) | instid1(VALU_DEP_1)
	v_rcp_f32_e32 v33, v33
	v_sub_nc_u32_e32 v23, v23, v32
	s_delay_alu instid0(TRANS32_DEP_1) | instskip(NEXT) | instid1(VALU_DEP_1)
	v_mul_f32_e32 v33, v43, v33
	v_ldexp_f32 v23, v33, v23
	s_delay_alu instid0(VALU_DEP_1) | instskip(NEXT) | instid1(VALU_DEP_1)
	v_mul_f32_e32 v32, v23, v23
	v_fmaak_f32 v33, s22, v32, 0xbc7a590c
	s_delay_alu instid0(VALU_DEP_1) | instskip(NEXT) | instid1(VALU_DEP_1)
	v_fmaak_f32 v33, v32, v33, 0x3d29fb3f
	v_fmaak_f32 v33, v32, v33, 0xbd97d4d7
	s_delay_alu instid0(VALU_DEP_1) | instskip(NEXT) | instid1(VALU_DEP_1)
	v_fmaak_f32 v33, v32, v33, 0x3dd931b2
	v_fmaak_f32 v33, v32, v33, 0xbe1160e6
	s_delay_alu instid0(VALU_DEP_1) | instskip(NEXT) | instid1(VALU_DEP_1)
	v_fmaak_f32 v33, v32, v33, 0x3e4cb8bf
	v_fmaak_f32 v33, v32, v33, 0xbeaaaa62
	s_delay_alu instid0(VALU_DEP_1) | instskip(NEXT) | instid1(VALU_DEP_1)
	v_mul_f32_e32 v32, v32, v33
	v_fmac_f32_e32 v23, v23, v32
	s_delay_alu instid0(VALU_DEP_1) | instskip(NEXT) | instid1(VALU_DEP_1)
	v_sub_f32_e32 v32, 0x3fc90fdb, v23
	v_cndmask_b32_e32 v23, v23, v32, vcc_lo
	v_cmp_lg_f32_e32 vcc_lo, 0, v36
	s_delay_alu instid0(VALU_DEP_2) | instskip(NEXT) | instid1(VALU_DEP_1)
	v_sub_f32_e32 v32, 0x40490fdb, v23
	v_cndmask_b32_e32 v23, v23, v32, vcc_lo
	s_delay_alu instid0(VALU_DEP_1)
	v_and_b32_e32 v33, 0x7fffffff, v23
.LBB74_29:                              ;   in Loop: Header=BB74_4 Depth=1
	s_or_b32 exec_lo, exec_lo, s6
	s_delay_alu instid0(VALU_DEP_1) | instskip(SKIP_1) | instid1(VALU_DEP_2)
	v_mul_f32_e32 v23, 0.5, v33
	v_bfi_b32 v33, 0x7fffffff, v25, v37
	v_bfi_b32 v32, 0x7fffffff, v23, v36
                                        ; implicit-def: $vgpr37
.LBB74_30:                              ;   in Loop: Header=BB74_4 Depth=1
	s_and_not1_saveexec_b32 s6, s27
	s_cbranch_execz .LBB74_32
; %bb.31:                               ;   in Loop: Header=BB74_4 Depth=1
	flat_store_b32 v[8:9], v41 scope:SCOPE_SYS
	s_wait_storecnt 0x0
	flat_load_b32 v23, v[8:9] scope:SCOPE_SYS
	s_wait_loadcnt 0x0
	v_dual_mov_b32 v32, v36 :: v_dual_mov_b32 v33, v37
	s_wait_dscnt 0x0
	v_add_f32_e32 v23, 1.0, v23
	flat_store_b32 v[14:15], v23 scope:SCOPE_SYS
	s_wait_storecnt 0x0
	flat_load_b32 v23, v[14:15] scope:SCOPE_SYS
	s_wait_loadcnt 0x0
.LBB74_32:                              ;   in Loop: Header=BB74_4 Depth=1
	s_wait_xcnt 0x0
	s_or_b32 exec_lo, exec_lo, s6
                                        ; implicit-def: $vgpr36
.LBB74_33:                              ;   in Loop: Header=BB74_4 Depth=1
	s_and_not1_saveexec_b32 s6, s26
	s_cbranch_execz .LBB74_47
; %bb.34:                               ;   in Loop: Header=BB74_4 Depth=1
	s_wait_dscnt 0x0
	v_and_b32_e32 v23, 0x7f800000, v37
	v_and_b32_e32 v25, 0x7f800000, v36
	v_cmp_neq_f32_e64 s26, 0x7f800000, |v37|
                                        ; implicit-def: $vgpr33
	s_delay_alu instid0(VALU_DEP_2) | instskip(NEXT) | instid1(VALU_DEP_1)
	v_sub_nc_u32_e32 v32, v23, v25
	v_cmp_gt_i32_e32 vcc_lo, 0x6800000, v32
	s_and_b32 s26, s26, vcc_lo
	s_delay_alu instid0(SALU_CYCLE_1) | instskip(NEXT) | instid1(SALU_CYCLE_1)
	s_and_saveexec_b32 s27, s26
	s_xor_b32 s26, exec_lo, s27
	s_cbranch_execz .LBB74_44
; %bb.35:                               ;   in Loop: Header=BB74_4 Depth=1
	v_sub_nc_u32_e32 v25, v25, v23
	s_mov_b32 s27, exec_lo
                                        ; implicit-def: $vgpr33
	s_delay_alu instid0(VALU_DEP_1)
	v_cmpx_gt_i32_e32 0x6800000, v25
	s_xor_b32 s27, exec_lo, s27
	s_cbranch_execz .LBB74_41
; %bb.36:                               ;   in Loop: Header=BB74_4 Depth=1
	s_mov_b32 s28, exec_lo
                                        ; implicit-def: $vgpr33
	v_cmpx_lt_u32_e32 0x59000000, v23
	s_xor_b32 s28, exec_lo, s28
	s_cbranch_execz .LBB74_38
; %bb.37:                               ;   in Loop: Header=BB74_4 Depth=1
	v_sub_nc_u32_e32 v32, 0x7f800000, v23
	s_delay_alu instid0(VALU_DEP_1) | instskip(NEXT) | instid1(VALU_DEP_1)
	v_pk_mul_f32 v[44:45], v[36:37], v[32:33] op_sel_hi:[1,0]
	v_pk_mul_f32 v[46:47], v[44:45], v[44:45]
	s_delay_alu instid0(VALU_DEP_1) | instskip(NEXT) | instid1(VALU_DEP_1)
	v_add_f32_e32 v23, v47, v46
	v_div_scale_f32 v25, null, v23, v23, v45
	s_delay_alu instid0(VALU_DEP_1) | instskip(SKIP_1) | instid1(TRANS32_DEP_1)
	v_rcp_f32_e32 v33, v25
	v_nop
	v_fma_f32 v37, -v25, v33, 1.0
	s_delay_alu instid0(VALU_DEP_1) | instskip(SKIP_1) | instid1(VALU_DEP_1)
	v_fmac_f32_e32 v33, v37, v33
	v_div_scale_f32 v37, vcc_lo, v45, v23, v45
	v_mul_f32_e32 v43, v37, v33
	s_delay_alu instid0(VALU_DEP_1) | instskip(NEXT) | instid1(VALU_DEP_1)
	v_fma_f32 v44, -v25, v43, v37
	v_fmac_f32_e32 v43, v44, v33
	s_delay_alu instid0(VALU_DEP_1) | instskip(NEXT) | instid1(VALU_DEP_1)
	v_fma_f32 v25, -v25, v43, v37
	v_div_fmas_f32 v25, v25, v33, v43
	s_delay_alu instid0(VALU_DEP_1) | instskip(NEXT) | instid1(VALU_DEP_1)
	v_div_fixup_f32 v23, v25, v23, v45
	v_mul_f32_e32 v33, v23, v32
.LBB74_38:                              ;   in Loop: Header=BB74_4 Depth=1
	s_and_not1_saveexec_b32 s28, s28
	s_cbranch_execz .LBB74_40
; %bb.39:                               ;   in Loop: Header=BB74_4 Depth=1
	v_pk_mul_f32 v[32:33], v[36:37], v[36:37]
	s_delay_alu instid0(VALU_DEP_1) | instskip(NEXT) | instid1(VALU_DEP_1)
	v_add_f32_e32 v23, v33, v32
	v_div_scale_f32 v25, null, v23, v23, v37
	s_delay_alu instid0(VALU_DEP_1) | instskip(SKIP_1) | instid1(TRANS32_DEP_1)
	v_rcp_f32_e32 v32, v25
	v_nop
	v_fma_f32 v33, -v25, v32, 1.0
	s_delay_alu instid0(VALU_DEP_1) | instskip(SKIP_1) | instid1(VALU_DEP_1)
	v_fmac_f32_e32 v32, v33, v32
	v_div_scale_f32 v33, vcc_lo, v37, v23, v37
	v_mul_f32_e32 v43, v33, v32
	s_delay_alu instid0(VALU_DEP_1) | instskip(NEXT) | instid1(VALU_DEP_1)
	v_fma_f32 v44, -v25, v43, v33
	v_fmac_f32_e32 v43, v44, v32
	s_delay_alu instid0(VALU_DEP_1) | instskip(NEXT) | instid1(VALU_DEP_1)
	v_fma_f32 v25, -v25, v43, v33
	v_div_fmas_f32 v25, v25, v32, v43
	s_delay_alu instid0(VALU_DEP_1)
	v_div_fixup_f32 v33, v25, v23, v37
.LBB74_40:                              ;   in Loop: Header=BB74_4 Depth=1
	s_or_b32 exec_lo, exec_lo, s28
.LBB74_41:                              ;   in Loop: Header=BB74_4 Depth=1
	s_and_not1_saveexec_b32 s27, s27
	s_cbranch_execz .LBB74_43
; %bb.42:                               ;   in Loop: Header=BB74_4 Depth=1
	v_div_scale_f32 v23, null, v36, v36, v37
	v_div_scale_f32 v33, vcc_lo, v37, v36, v37
	s_delay_alu instid0(VALU_DEP_2) | instskip(SKIP_1) | instid1(TRANS32_DEP_1)
	v_rcp_f32_e32 v25, v23
	v_nop
	v_fma_f32 v32, -v23, v25, 1.0
	s_delay_alu instid0(VALU_DEP_1) | instskip(NEXT) | instid1(VALU_DEP_1)
	v_fmac_f32_e32 v25, v32, v25
	v_mul_f32_e32 v32, v33, v25
	s_delay_alu instid0(VALU_DEP_1) | instskip(NEXT) | instid1(VALU_DEP_1)
	v_fma_f32 v43, -v23, v32, v33
	v_fmac_f32_e32 v32, v43, v25
	s_delay_alu instid0(VALU_DEP_1) | instskip(NEXT) | instid1(VALU_DEP_1)
	v_fma_f32 v23, -v23, v32, v33
	v_div_fmas_f32 v23, v23, v25, v32
	s_delay_alu instid0(VALU_DEP_1) | instskip(NEXT) | instid1(VALU_DEP_1)
	v_div_fixup_f32 v23, v23, v36, v37
	v_div_scale_f32 v25, null, v36, v36, v23
	s_delay_alu instid0(VALU_DEP_1) | instskip(SKIP_1) | instid1(TRANS32_DEP_1)
	v_rcp_f32_e32 v32, v25
	v_nop
	v_fma_f32 v33, -v25, v32, 1.0
	s_delay_alu instid0(VALU_DEP_1) | instskip(SKIP_1) | instid1(VALU_DEP_1)
	v_fmac_f32_e32 v32, v33, v32
	v_div_scale_f32 v33, vcc_lo, v23, v36, v23
	v_mul_f32_e32 v37, v33, v32
	s_delay_alu instid0(VALU_DEP_1) | instskip(NEXT) | instid1(VALU_DEP_1)
	v_fma_f32 v43, -v25, v37, v33
	v_fmac_f32_e32 v37, v43, v32
	s_delay_alu instid0(VALU_DEP_1) | instskip(NEXT) | instid1(VALU_DEP_1)
	v_fma_f32 v25, -v25, v37, v33
	v_div_fmas_f32 v25, v25, v32, v37
	s_delay_alu instid0(VALU_DEP_1)
	v_div_fixup_f32 v33, v25, v36, v23
.LBB74_43:                              ;   in Loop: Header=BB74_4 Depth=1
	s_or_b32 exec_lo, exec_lo, s27
.LBB74_44:                              ;   in Loop: Header=BB74_4 Depth=1
	s_and_not1_saveexec_b32 s26, s26
	s_cbranch_execz .LBB74_46
; %bb.45:                               ;   in Loop: Header=BB74_4 Depth=1
	v_div_scale_f32 v23, null, v37, v37, 1.0
	s_delay_alu instid0(VALU_DEP_1) | instskip(SKIP_1) | instid1(TRANS32_DEP_1)
	v_rcp_f32_e32 v25, v23
	v_nop
	v_fma_f32 v32, -v23, v25, 1.0
	s_delay_alu instid0(VALU_DEP_1) | instskip(SKIP_1) | instid1(VALU_DEP_1)
	v_fmac_f32_e32 v25, v32, v25
	v_div_scale_f32 v32, vcc_lo, 1.0, v37, 1.0
	v_mul_f32_e32 v33, v32, v25
	s_delay_alu instid0(VALU_DEP_1) | instskip(NEXT) | instid1(VALU_DEP_1)
	v_fma_f32 v43, -v23, v33, v32
	v_fmac_f32_e32 v33, v43, v25
	s_delay_alu instid0(VALU_DEP_1) | instskip(NEXT) | instid1(VALU_DEP_1)
	v_fma_f32 v23, -v23, v33, v32
	v_div_fmas_f32 v23, v23, v25, v33
	s_delay_alu instid0(VALU_DEP_1)
	v_div_fixup_f32 v33, v23, v37, 1.0
.LBB74_46:                              ;   in Loop: Header=BB74_4 Depth=1
	s_or_b32 exec_lo, exec_lo, s26
	flat_load_b32 v23, v[6:7] scope:SCOPE_SYS
	s_wait_loadcnt_dscnt 0x0
	v_add_f32_e32 v23, 0x3fc90fdb, v23
	s_delay_alu instid0(VALU_DEP_1)
	v_bfi_b32 v32, 0x7fffffff, v23, v36
.LBB74_47:                              ;   in Loop: Header=BB74_4 Depth=1
	s_or_b32 exec_lo, exec_lo, s6
                                        ; implicit-def: $vgpr37
.LBB74_48:                              ;   in Loop: Header=BB74_4 Depth=1
	s_and_not1_saveexec_b32 s6, s25
	s_cbranch_execz .LBB74_58
; %bb.49:                               ;   in Loop: Header=BB74_4 Depth=1
	v_cmp_neq_f32_e64 s25, 0x7f800000, |v37|
                                        ; implicit-def: $vgpr33
	s_and_saveexec_b32 s26, s25
	s_delay_alu instid0(SALU_CYCLE_1)
	s_xor_b32 s25, exec_lo, s26
	s_cbranch_execz .LBB74_55
; %bb.50:                               ;   in Loop: Header=BB74_4 Depth=1
	v_cmp_neq_f32_e64 s26, 0x7f800000, |v36|
                                        ; implicit-def: $vgpr33
	s_and_saveexec_b32 s27, s26
	s_delay_alu instid0(SALU_CYCLE_1)
	s_xor_b32 s26, exec_lo, s27
	s_cbranch_execz .LBB74_52
; %bb.51:                               ;   in Loop: Header=BB74_4 Depth=1
	s_wait_dscnt 0x0
	v_add_f32_e32 v23, 0, v36
	s_delay_alu instid0(VALU_DEP_1)
	v_add_f32_e32 v33, v37, v23
                                        ; implicit-def: $vgpr36_vgpr37
.LBB74_52:                              ;   in Loop: Header=BB74_4 Depth=1
	s_or_saveexec_b32 s26, s26
	s_delay_alu instid0(VALU_DEP_1)
	v_mov_b32_e32 v32, v33
	s_xor_b32 exec_lo, exec_lo, s26
	s_cbranch_execz .LBB74_54
; %bb.53:                               ;   in Loop: Header=BB74_4 Depth=1
	s_wait_dscnt 0x0
	flat_load_b32 v23, v[6:7] scope:SCOPE_SYS
	s_wait_loadcnt 0x0
	v_bfi_b32 v33, 0x7fffffff, 0, v37
	s_wait_dscnt 0x0
	v_add_f32_e32 v23, 0x3fc90fdb, v23
	s_delay_alu instid0(VALU_DEP_1)
	v_bfi_b32 v32, 0x7fffffff, v23, v36
.LBB74_54:                              ;   in Loop: Header=BB74_4 Depth=1
	s_wait_xcnt 0x0
	s_or_b32 exec_lo, exec_lo, s26
                                        ; implicit-def: $vgpr37
.LBB74_55:                              ;   in Loop: Header=BB74_4 Depth=1
	s_and_not1_saveexec_b32 s25, s25
; %bb.56:                               ;   in Loop: Header=BB74_4 Depth=1
	v_bfi_b32 v33, 0x7fffffff, 0, v37
	v_add_f32_e32 v32, v36, v36
; %bb.57:                               ;   in Loop: Header=BB74_4 Depth=1
	s_or_b32 exec_lo, exec_lo, s25
.LBB74_58:                              ;   in Loop: Header=BB74_4 Depth=1
	s_delay_alu instid0(SALU_CYCLE_1)
	s_or_b32 exec_lo, exec_lo, s6
                                        ; implicit-def: $vgpr36
.LBB74_59:                              ;   in Loop: Header=BB74_4 Depth=1
	s_and_not1_saveexec_b32 s6, s24
	s_cbranch_execz .LBB74_61
; %bb.60:                               ;   in Loop: Header=BB74_4 Depth=1
	s_wait_dscnt 0x0
	v_rcp_f32_e64 v23, |v36|
	v_cmp_gt_f32_e64 vcc_lo, |v36|, 1.0
	v_mov_b32_e32 v33, v37
	s_delay_alu instid0(TRANS32_DEP_1) | instid1(VALU_DEP_2)
	v_cndmask_b32_e64 v23, |v36|, v23, vcc_lo
	s_delay_alu instid0(VALU_DEP_1) | instskip(NEXT) | instid1(VALU_DEP_1)
	v_mul_f32_e32 v25, v23, v23
	v_fmaak_f32 v32, s22, v25, 0xbc7a590c
	s_delay_alu instid0(VALU_DEP_1) | instskip(NEXT) | instid1(VALU_DEP_1)
	v_fmaak_f32 v32, v25, v32, 0x3d29fb3f
	v_fmaak_f32 v32, v25, v32, 0xbd97d4d7
	s_delay_alu instid0(VALU_DEP_1) | instskip(NEXT) | instid1(VALU_DEP_1)
	v_fmaak_f32 v32, v25, v32, 0x3dd931b2
	;; [unrolled: 3-line block ×3, first 2 shown]
	v_fmaak_f32 v32, v25, v32, 0xbeaaaa62
	s_delay_alu instid0(VALU_DEP_1) | instskip(NEXT) | instid1(VALU_DEP_1)
	v_mul_f32_e32 v25, v25, v32
	v_fmac_f32_e32 v23, v23, v25
	s_delay_alu instid0(VALU_DEP_1) | instskip(NEXT) | instid1(VALU_DEP_1)
	v_sub_f32_e32 v25, 0x3fc90fdb, v23
	v_cndmask_b32_e32 v23, v23, v25, vcc_lo
	s_delay_alu instid0(VALU_DEP_1)
	v_bfi_b32 v32, 0x7fffffff, v23, v36
.LBB74_61:                              ;   in Loop: Header=BB74_4 Depth=1
	s_or_b32 exec_lo, exec_lo, s6
                                        ; implicit-def: $vgpr37
.LBB74_62:                              ;   in Loop: Header=BB74_4 Depth=1
	s_and_not1_saveexec_b32 s6, s23
	s_cbranch_execz .LBB74_64
; %bb.63:                               ;   in Loop: Header=BB74_4 Depth=1
	s_wait_dscnt 0x0
	v_sub_f32_e64 v23, 1.0, |v37|
	v_add_f32_e64 v32, |v37|, 1.0
	v_and_b32_e32 v46, 0x7fffffff, v37
	v_cmp_gt_f32_e64 s23, 0x39800000, |v37|
	s_delay_alu instid0(VALU_DEP_4) | instskip(SKIP_1) | instid1(VALU_DEP_1)
	v_rcp_f32_e32 v25, v23
	v_sub_f32_e32 v44, 1.0, v23
	v_sub_f32_e64 v44, v44, |v37|
	s_delay_alu instid0(TRANS32_DEP_1) | instskip(NEXT) | instid1(VALU_DEP_1)
	v_mul_f32_e32 v43, v32, v25
	v_mul_f32_e32 v33, v23, v43
	s_delay_alu instid0(VALU_DEP_1) | instskip(NEXT) | instid1(VALU_DEP_1)
	v_fma_f32 v23, v43, v23, -v33
	v_fmac_f32_e32 v23, v43, v44
	s_delay_alu instid0(VALU_DEP_1) | instskip(NEXT) | instid1(VALU_DEP_1)
	v_pk_add_f32 v[44:45], v[32:33], v[22:23]
	v_sub_f32_e32 v48, v32, v45
	s_delay_alu instid0(VALU_DEP_1) | instskip(NEXT) | instid1(VALU_DEP_1)
	v_dual_sub_f32 v33, v45, v33 :: v_dual_sub_f32 v47, v32, v48
	v_sub_f32_e32 v23, v33, v23
	s_delay_alu instid0(VALU_DEP_2) | instskip(NEXT) | instid1(VALU_DEP_1)
	v_pk_add_f32 v[32:33], v[46:47], v[44:45] neg_lo:[0,1] neg_hi:[0,1]
	v_add_f32_e32 v23, v23, v33
	s_delay_alu instid0(VALU_DEP_1) | instskip(NEXT) | instid1(VALU_DEP_1)
	v_add_f32_e32 v23, v32, v23
	v_add_f32_e32 v23, v48, v23
	s_delay_alu instid0(VALU_DEP_1) | instskip(NEXT) | instid1(VALU_DEP_1)
	v_mul_f32_e32 v23, v25, v23
	v_add_f32_e32 v25, v43, v23
	s_delay_alu instid0(VALU_DEP_1) | instskip(NEXT) | instid1(VALU_DEP_1)
	v_cvt_f64_f32_e32 v[32:33], v25
	v_frexp_exp_i32_f64_e32 v32, v[32:33]
	v_frexp_mant_f32_e32 v33, v25
	s_delay_alu instid0(VALU_DEP_1) | instskip(NEXT) | instid1(VALU_DEP_3)
	v_cmp_gt_f32_e32 vcc_lo, 0x3f2aaaab, v33
	v_subrev_co_ci_u32_e64 v48, null, 0, v32, vcc_lo
	v_cmp_neq_f32_e64 vcc_lo, |v37|, 1.0
	s_delay_alu instid0(VALU_DEP_2) | instskip(NEXT) | instid1(VALU_DEP_1)
	v_sub_nc_u32_e32 v32, 0, v48
	v_ldexp_f32 v33, v25, v32
	s_delay_alu instid0(VALU_DEP_1) | instskip(NEXT) | instid1(VALU_DEP_1)
	v_dual_sub_f32 v25, v25, v43 :: v_dual_add_f32 v43, 1.0, v33
	v_sub_f32_e32 v23, v23, v25
	s_delay_alu instid0(VALU_DEP_2) | instskip(NEXT) | instid1(VALU_DEP_2)
	v_dual_add_f32 v47, -1.0, v33 :: v_dual_add_f32 v25, -1.0, v43
	v_ldexp_f32 v23, v23, v32
	s_delay_alu instid0(VALU_DEP_2) | instskip(NEXT) | instid1(VALU_DEP_1)
	v_dual_add_f32 v32, 1.0, v47 :: v_dual_sub_f32 v25, v33, v25
	v_dual_sub_f32 v32, v33, v32 :: v_dual_add_f32 v25, v23, v25
	s_delay_alu instid0(VALU_DEP_1) | instskip(NEXT) | instid1(VALU_DEP_2)
	v_add_f32_e32 v23, v23, v32
	v_add_f32_e32 v49, v43, v25
	s_delay_alu instid0(VALU_DEP_1) | instskip(SKIP_1) | instid1(VALU_DEP_1)
	v_rcp_f32_e32 v50, v49
	v_sub_f32_e32 v32, v49, v43
	v_dual_add_f32 v33, v47, v23 :: v_dual_sub_f32 v25, v25, v32
	s_delay_alu instid0(TRANS32_DEP_1) | instid1(VALU_DEP_1)
	v_dual_mul_f32 v51, v33, v50 :: v_dual_sub_f32 v43, v33, v47
	s_delay_alu instid0(VALU_DEP_1) | instskip(NEXT) | instid1(VALU_DEP_2)
	v_mul_f32_e32 v44, v49, v51
	v_sub_f32_e32 v23, v23, v43
	s_delay_alu instid0(VALU_DEP_2) | instskip(NEXT) | instid1(VALU_DEP_1)
	v_fma_f32 v46, v51, v49, -v44
	v_fmac_f32_e32 v46, v51, v25
	s_delay_alu instid0(VALU_DEP_1) | instskip(NEXT) | instid1(VALU_DEP_1)
	v_add_f32_e32 v32, v44, v46
	v_dual_sub_f32 v45, v33, v32 :: v_dual_mov_b32 v47, v32
	s_delay_alu instid0(VALU_DEP_1) | instskip(NEXT) | instid1(VALU_DEP_1)
	v_pk_add_f32 v[32:33], v[32:33], v[44:45] neg_lo:[0,1] neg_hi:[0,1]
	v_pk_add_f32 v[32:33], v[32:33], v[46:47] neg_lo:[0,1] neg_hi:[0,1]
	s_delay_alu instid0(VALU_DEP_1) | instskip(NEXT) | instid1(VALU_DEP_1)
	v_add_f32_e32 v23, v23, v33
	v_add_f32_e32 v23, v32, v23
	s_delay_alu instid0(VALU_DEP_1) | instskip(NEXT) | instid1(VALU_DEP_1)
	v_add_f32_e32 v33, v45, v23
	v_mul_f32_e32 v43, v50, v33
	s_delay_alu instid0(VALU_DEP_1) | instskip(NEXT) | instid1(VALU_DEP_1)
	v_mul_f32_e32 v46, v49, v43
	v_fma_f32 v44, v43, v49, -v46
	v_add_f32_e32 v49, v51, v43
	s_delay_alu instid0(VALU_DEP_2) | instskip(NEXT) | instid1(VALU_DEP_1)
	v_fmac_f32_e32 v44, v43, v25
	v_dual_sub_f32 v25, v45, v33 :: v_dual_add_f32 v32, v46, v44
	s_delay_alu instid0(VALU_DEP_1) | instskip(NEXT) | instid1(VALU_DEP_2)
	v_dual_add_f32 v23, v23, v25 :: v_dual_sub_f32 v25, v49, v51
	v_dual_sub_f32 v47, v33, v32 :: v_dual_mov_b32 v45, v32
	s_delay_alu instid0(VALU_DEP_2) | instskip(NEXT) | instid1(VALU_DEP_2)
	v_sub_f32_e32 v25, v43, v25
	v_pk_add_f32 v[32:33], v[32:33], v[46:47] neg_lo:[0,1] neg_hi:[0,1]
	s_delay_alu instid0(VALU_DEP_1) | instskip(NEXT) | instid1(VALU_DEP_1)
	v_pk_add_f32 v[32:33], v[32:33], v[44:45] neg_lo:[0,1] neg_hi:[0,1]
	v_add_f32_e32 v23, v23, v33
	s_delay_alu instid0(VALU_DEP_1) | instskip(SKIP_1) | instid1(VALU_DEP_2)
	v_add_f32_e32 v23, v32, v23
	v_cvt_f32_i32_e32 v32, v48
	v_add_f32_e32 v23, v47, v23
	s_delay_alu instid0(VALU_DEP_1) | instskip(NEXT) | instid1(VALU_DEP_1)
	v_mul_f32_e32 v23, v50, v23
	v_add_f32_e32 v23, v25, v23
	s_delay_alu instid0(VALU_DEP_1) | instskip(NEXT) | instid1(VALU_DEP_1)
	v_add_f32_e32 v43, v49, v23
	v_mul_f32_e32 v25, v43, v43
	s_delay_alu instid0(VALU_DEP_1) | instskip(NEXT) | instid1(VALU_DEP_1)
	v_dual_fmaak_f32 v44, s7, v25, 0x3ecc95a3 :: v_dual_mul_f32 v33, v43, v25
	v_fmaak_f32 v25, v25, v44, 0x3f2aaada
	s_delay_alu instid0(VALU_DEP_1) | instskip(SKIP_1) | instid1(VALU_DEP_2)
	v_pk_mul_f32 v[44:45], v[32:33], v[24:25]
	v_sub_f32_e32 v25, v43, v49
	v_fma_f32 v46, 0x3f317218, v32, -v44
	s_delay_alu instid0(VALU_DEP_2) | instskip(SKIP_2) | instid1(VALU_DEP_4)
	v_sub_f32_e32 v23, v23, v25
	v_ldexp_f32 v47, v43, 1
	v_mov_b32_e32 v48, v44
	v_fmac_f32_e32 v46, 0xb102e308, v32
	s_delay_alu instid0(VALU_DEP_4) | instskip(NEXT) | instid1(VALU_DEP_2)
	v_ldexp_f32 v23, v23, 1
	v_pk_add_f32 v[32:33], v[44:45], v[46:47]
	s_delay_alu instid0(VALU_DEP_1) | instskip(NEXT) | instid1(VALU_DEP_1)
	v_dual_sub_f32 v25, v33, v47 :: v_dual_mov_b32 v47, v32
	v_sub_f32_e32 v25, v45, v25
	v_pk_add_f32 v[44:45], v[32:33], v[44:45] neg_lo:[0,1] neg_hi:[0,1]
	s_delay_alu instid0(VALU_DEP_2) | instskip(NEXT) | instid1(VALU_DEP_1)
	v_add_f32_e32 v49, v23, v25
	v_pk_add_f32 v[50:51], v[32:33], v[48:49]
	s_delay_alu instid0(VALU_DEP_1) | instskip(NEXT) | instid1(VALU_DEP_1)
	v_mov_b32_e32 v45, v51
	v_pk_add_f32 v[52:53], v[46:47], v[44:45]
	v_mov_b32_e32 v52, v51
	v_pk_add_f32 v[44:45], v[46:47], v[44:45] neg_lo:[0,1] neg_hi:[0,1]
	s_delay_alu instid0(VALU_DEP_3) | instskip(NEXT) | instid1(VALU_DEP_1)
	v_dual_mov_b32 v48, v53 :: v_dual_mov_b32 v45, v53
	v_pk_add_f32 v[54:55], v[48:49], v[32:33] neg_lo:[0,1] neg_hi:[0,1]
	v_dual_mov_b32 v56, v33 :: v_dual_mov_b32 v33, v32
	s_delay_alu instid0(VALU_DEP_2) | instskip(SKIP_1) | instid1(VALU_DEP_2)
	v_dual_mov_b32 v32, v49 :: v_dual_mov_b32 v57, v54
	v_mov_b32_e32 v23, v54
	v_pk_add_f32 v[46:47], v[52:53], v[56:57] neg_lo:[0,1] neg_hi:[0,1]
	s_delay_alu instid0(VALU_DEP_2) | instskip(SKIP_1) | instid1(VALU_DEP_3)
	v_pk_add_f32 v[50:51], v[50:51], v[22:23] neg_lo:[0,1] neg_hi:[0,1]
	v_mov_b32_e32 v50, v44
	v_pk_add_f32 v[32:33], v[32:33], v[46:47] neg_lo:[0,1] neg_hi:[0,1]
	s_delay_alu instid0(VALU_DEP_1) | instskip(NEXT) | instid1(VALU_DEP_1)
	v_pk_add_f32 v[46:47], v[50:51], v[32:33]
	v_mov_b32_e32 v50, v47
	s_delay_alu instid0(VALU_DEP_1) | instskip(NEXT) | instid1(VALU_DEP_1)
	v_pk_add_f32 v[50:51], v[46:47], v[50:51]
	v_pk_add_f32 v[48:49], v[48:49], v[50:51]
	s_delay_alu instid0(VALU_DEP_1) | instskip(NEXT) | instid1(VALU_DEP_1)
	v_dual_mov_b32 v33, v50 :: v_dual_mov_b32 v47, v48
	v_pk_add_f32 v[52:53], v[46:47], v[44:45] neg_lo:[0,1] neg_hi:[0,1]
	s_delay_alu instid0(VALU_DEP_1) | instskip(NEXT) | instid1(VALU_DEP_2)
	v_sub_f32_e32 v23, v46, v52
	v_pk_add_f32 v[32:33], v[32:33], v[52:53] neg_lo:[0,1] neg_hi:[0,1]
	s_delay_alu instid0(VALU_DEP_2) | instskip(NEXT) | instid1(VALU_DEP_1)
	v_sub_f32_e32 v23, v44, v23
	v_add_f32_e32 v23, v32, v23
	s_delay_alu instid0(VALU_DEP_1) | instskip(NEXT) | instid1(VALU_DEP_1)
	v_dual_mov_b32 v32, v36 :: v_dual_add_f32 v23, v23, v33
	v_add_f32_e32 v23, v48, v23
	s_delay_alu instid0(VALU_DEP_1) | instskip(NEXT) | instid1(VALU_DEP_1)
	v_mul_f32_e32 v23, 0.5, v23
	v_cndmask_b32_e64 v23, v23, |v37|, s23
	s_delay_alu instid0(VALU_DEP_1) | instskip(NEXT) | instid1(VALU_DEP_1)
	v_cndmask_b32_e32 v23, 0x7f800000, v23, vcc_lo
	v_bfi_b32 v33, 0x7fffffff, v23, v37
.LBB74_64:                              ;   in Loop: Header=BB74_4 Depth=1
	s_or_b32 exec_lo, exec_lo, s6
	v_cmp_neq_f32_e32 vcc_lo, 0, v38
	v_cmp_nle_f32_e64 s6, |v39|, 1.0
	flat_store_b32 v[6:7], v40 scope:SCOPE_SYS
	s_wait_storecnt 0x0
                                        ; implicit-def: $vgpr37
	s_or_b32 s6, vcc_lo, s6
	s_wait_xcnt 0x0
	s_and_saveexec_b32 s23, s6
	s_delay_alu instid0(SALU_CYCLE_1)
	s_xor_b32 s23, exec_lo, s23
	s_cbranch_execz .LBB74_114
; %bb.65:                               ;   in Loop: Header=BB74_4 Depth=1
                                        ; implicit-def: $vgpr37
	s_mov_b32 s6, exec_lo
	v_cmpx_neq_f32_e32 0, v39
	s_xor_b32 s24, exec_lo, s6
	s_cbranch_execz .LBB74_111
; %bb.66:                               ;   in Loop: Header=BB74_4 Depth=1
                                        ; implicit-def: $vgpr37
	s_mov_b32 s6, exec_lo
	v_cmpx_o_f32_e32 v39, v38
	s_xor_b32 s25, exec_lo, s6
	s_cbranch_execz .LBB74_100
; %bb.67:                               ;   in Loop: Header=BB74_4 Depth=1
	s_wait_dscnt 0x1
	v_max_num_f32_e64 v23, |v38|, |v38|
	v_max_num_f32_e64 v25, |v39|, |v39|
                                        ; implicit-def: $vgpr37
	s_mov_b32 s6, exec_lo
	s_delay_alu instid0(VALU_DEP_1) | instskip(NEXT) | instid1(VALU_DEP_1)
	v_max_num_f32_e32 v25, v25, v23
	v_cmpx_nlt_f32_e32 0x4b000000, v25
	s_xor_b32 s26, exec_lo, s6
	s_cbranch_execz .LBB74_85
; %bb.68:                               ;   in Loop: Header=BB74_4 Depth=1
	v_cmp_ngt_f32_e64 s6, 0x399cc471, |v39|
	v_cmp_ngt_f32_e64 s27, 0x399cc471, |v38|
                                        ; implicit-def: $vgpr37
	s_or_b32 s6, s6, s27
	s_delay_alu instid0(SALU_CYCLE_1) | instskip(NEXT) | instid1(SALU_CYCLE_1)
	s_and_saveexec_b32 s27, s6
	s_xor_b32 s27, exec_lo, s27
	s_cbranch_execz .LBB74_82
; %bb.69:                               ;   in Loop: Header=BB74_4 Depth=1
	v_cmp_neq_f32_e64 s28, |v39|, 1.0
	v_cmp_ngt_f32_e64 s6, 0x34000000, |v38|
                                        ; implicit-def: $vgpr25
	s_or_b32 s29, s28, s6
	s_delay_alu instid0(SALU_CYCLE_1) | instskip(NEXT) | instid1(SALU_CYCLE_1)
	s_and_saveexec_b32 s30, s29
	s_xor_b32 s29, exec_lo, s30
	s_cbranch_execz .LBB74_71
; %bb.70:                               ;   in Loop: Header=BB74_4 Depth=1
	v_add_f32_e64 v37, |v39|, -1.0
	v_cmp_gt_f32_e64 vcc_lo, 0x20000000, |v38|
	v_mov_b32_e32 v36, v38
	s_delay_alu instid0(VALU_DEP_1) | instskip(NEXT) | instid1(VALU_DEP_1)
	v_pk_mul_f32 v[36:37], v[36:37], v[36:37]
	v_add_f32_e32 v25, v36, v37
	v_mul_f32_e64 v36, |v39|, 4.0
	s_delay_alu instid0(VALU_DEP_2) | instskip(NEXT) | instid1(VALU_DEP_1)
	v_cndmask_b32_e32 v25, v25, v37, vcc_lo
	v_div_scale_f32 v37, null, v25, v25, v36
	v_div_scale_f32 v45, vcc_lo, v36, v25, v36
	s_delay_alu instid0(VALU_DEP_2) | instskip(SKIP_1) | instid1(TRANS32_DEP_1)
	v_rcp_f32_e32 v43, v37
	v_nop
	v_fma_f32 v44, -v37, v43, 1.0
	s_delay_alu instid0(VALU_DEP_1) | instskip(NEXT) | instid1(VALU_DEP_1)
	v_fmac_f32_e32 v43, v44, v43
	v_mul_f32_e32 v44, v45, v43
	s_delay_alu instid0(VALU_DEP_1) | instskip(NEXT) | instid1(VALU_DEP_1)
	v_fma_f32 v46, -v37, v44, v45
	v_fmac_f32_e32 v44, v46, v43
	s_delay_alu instid0(VALU_DEP_1) | instskip(NEXT) | instid1(VALU_DEP_1)
	v_fma_f32 v37, -v37, v44, v45
	v_div_fmas_f32 v37, v37, v43, v44
	s_delay_alu instid0(VALU_DEP_1) | instskip(NEXT) | instid1(VALU_DEP_1)
	v_div_fixup_f32 v36, v37, v25, v36
	v_add_f32_e32 v45, 1.0, v36
	s_delay_alu instid0(VALU_DEP_1) | instskip(SKIP_2) | instid1(VALU_DEP_2)
	v_cvt_f64_f32_e32 v[46:47], v45
	v_frexp_mant_f32_e32 v43, v45
	v_add_f32_e32 v37, -1.0, v45
	v_cmp_gt_f32_e32 vcc_lo, 0x3f2aaaab, v43
	s_delay_alu instid0(VALU_DEP_2) | instskip(SKIP_1) | instid1(VALU_DEP_2)
	v_mov_b32_e32 v44, v37
	v_frexp_exp_i32_f64_e32 v25, v[46:47]
	v_pk_add_f32 v[46:47], v[36:37], v[44:45] neg_lo:[0,1] neg_hi:[0,1]
	s_delay_alu instid0(VALU_DEP_1) | instskip(NEXT) | instid1(VALU_DEP_3)
	v_add_f32_e32 v44, 1.0, v47
	v_subrev_co_ci_u32_e64 v25, null, 0, v25, vcc_lo
	v_cmp_neq_f32_e32 vcc_lo, 0x7f800000, v36
	s_delay_alu instid0(VALU_DEP_2) | instskip(NEXT) | instid1(VALU_DEP_1)
	v_sub_nc_u32_e32 v43, 0, v25
	v_ldexp_f32 v37, v45, v43
	s_delay_alu instid0(VALU_DEP_1) | instskip(NEXT) | instid1(VALU_DEP_1)
	v_dual_add_f32 v47, 1.0, v37 :: v_dual_add_f32 v44, v46, v44
	v_add_f32_e32 v45, -1.0, v47
	s_delay_alu instid0(VALU_DEP_2) | instskip(NEXT) | instid1(VALU_DEP_2)
	v_ldexp_f32 v43, v44, v43
	v_sub_f32_e32 v44, v37, v45
	s_delay_alu instid0(VALU_DEP_1) | instskip(NEXT) | instid1(VALU_DEP_1)
	v_dual_add_f32 v49, -1.0, v37 :: v_dual_add_f32 v44, v43, v44
	v_dual_add_f32 v45, 1.0, v49 :: v_dual_add_f32 v50, v47, v44
	s_delay_alu instid0(VALU_DEP_1) | instskip(NEXT) | instid1(VALU_DEP_1)
	v_dual_sub_f32 v37, v37, v45 :: v_dual_sub_f32 v47, v50, v47
	v_add_f32_e32 v37, v43, v37
	v_rcp_f32_e32 v43, v50
	s_delay_alu instid0(VALU_DEP_1)
	v_add_f32_e32 v45, v49, v37
	s_delay_alu instid0(TRANS32_DEP_1) | instid1(VALU_DEP_1)
	v_mul_f32_e32 v51, v45, v43
	v_dual_sub_f32 v52, v44, v47 :: v_dual_sub_f32 v53, v45, v49
	s_delay_alu instid0(VALU_DEP_1) | instskip(NEXT) | instid1(VALU_DEP_1)
	v_dual_mul_f32 v46, v50, v51 :: v_dual_sub_f32 v37, v37, v53
	v_fma_f32 v48, v51, v50, -v46
	s_delay_alu instid0(VALU_DEP_1) | instskip(NEXT) | instid1(VALU_DEP_1)
	v_fmac_f32_e32 v48, v51, v52
	v_add_f32_e32 v44, v46, v48
	s_delay_alu instid0(VALU_DEP_1) | instskip(NEXT) | instid1(VALU_DEP_1)
	v_dual_sub_f32 v47, v45, v44 :: v_dual_mov_b32 v49, v44
	v_pk_add_f32 v[44:45], v[44:45], v[46:47] neg_lo:[0,1] neg_hi:[0,1]
	s_delay_alu instid0(VALU_DEP_1) | instskip(NEXT) | instid1(VALU_DEP_1)
	v_pk_add_f32 v[44:45], v[44:45], v[48:49] neg_lo:[0,1] neg_hi:[0,1]
	v_add_f32_e32 v37, v37, v45
	s_delay_alu instid0(VALU_DEP_1) | instskip(NEXT) | instid1(VALU_DEP_1)
	v_add_f32_e32 v37, v44, v37
	v_add_f32_e32 v45, v47, v37
	s_delay_alu instid0(VALU_DEP_1) | instskip(NEXT) | instid1(VALU_DEP_1)
	v_mul_f32_e32 v53, v43, v45
	v_mul_f32_e32 v48, v50, v53
	s_delay_alu instid0(VALU_DEP_1) | instskip(NEXT) | instid1(VALU_DEP_1)
	v_fma_f32 v46, v53, v50, -v48
	v_dual_fmac_f32 v46, v53, v52 :: v_dual_sub_f32 v50, v47, v45
	s_delay_alu instid0(VALU_DEP_1) | instskip(NEXT) | instid1(VALU_DEP_2)
	v_add_f32_e32 v44, v48, v46
	v_dual_add_f32 v37, v37, v50 :: v_dual_add_f32 v50, v51, v53
	s_delay_alu instid0(VALU_DEP_2) | instskip(NEXT) | instid1(VALU_DEP_1)
	v_dual_sub_f32 v49, v45, v44 :: v_dual_mov_b32 v47, v44
	v_pk_add_f32 v[44:45], v[44:45], v[48:49] neg_lo:[0,1] neg_hi:[0,1]
	s_delay_alu instid0(VALU_DEP_1) | instskip(NEXT) | instid1(VALU_DEP_1)
	v_pk_add_f32 v[44:45], v[44:45], v[46:47] neg_lo:[0,1] neg_hi:[0,1]
	v_add_f32_e32 v37, v37, v45
	s_delay_alu instid0(VALU_DEP_1) | instskip(NEXT) | instid1(VALU_DEP_1)
	v_dual_add_f32 v37, v44, v37 :: v_dual_sub_f32 v44, v50, v51
	v_sub_f32_e32 v44, v53, v44
	s_delay_alu instid0(VALU_DEP_2) | instskip(NEXT) | instid1(VALU_DEP_1)
	v_add_f32_e32 v37, v49, v37
	v_mul_f32_e32 v37, v43, v37
	s_delay_alu instid0(VALU_DEP_1) | instskip(SKIP_1) | instid1(VALU_DEP_2)
	v_add_f32_e32 v37, v44, v37
	v_cvt_f32_i32_e32 v44, v25
	v_add_f32_e32 v43, v50, v37
	s_delay_alu instid0(VALU_DEP_1) | instskip(SKIP_1) | instid1(VALU_DEP_2)
	v_mul_f32_e32 v46, v43, v43
	v_ldexp_f32 v49, v43, 1
	v_fmaak_f32 v47, s7, v46, 0x3ecc95a3
	v_mul_f32_e32 v45, v43, v46
	s_delay_alu instid0(VALU_DEP_2) | instskip(NEXT) | instid1(VALU_DEP_1)
	v_fmaak_f32 v25, v46, v47, 0x3f2aaada
	v_pk_mul_f32 v[46:47], v[44:45], v[24:25]
	s_delay_alu instid0(VALU_DEP_1) | instskip(NEXT) | instid1(VALU_DEP_1)
	v_fma_f32 v48, 0x3f317218, v44, -v46
	v_fmac_f32_e32 v48, 0xb102e308, v44
	s_delay_alu instid0(VALU_DEP_1) | instskip(SKIP_1) | instid1(VALU_DEP_2)
	v_pk_add_f32 v[44:45], v[46:47], v[48:49]
	v_dual_sub_f32 v25, v43, v50 :: v_dual_mov_b32 v50, v46
	v_mov_b32_e32 v58, v45
	s_delay_alu instid0(VALU_DEP_2) | instskip(NEXT) | instid1(VALU_DEP_4)
	v_sub_f32_e32 v25, v37, v25
	v_dual_sub_f32 v37, v45, v49 :: v_dual_mov_b32 v49, v44
	s_delay_alu instid0(VALU_DEP_2) | instskip(NEXT) | instid1(VALU_DEP_2)
	v_ldexp_f32 v25, v25, 1
	v_sub_f32_e32 v37, v47, v37
	v_pk_add_f32 v[46:47], v[44:45], v[46:47] neg_lo:[0,1] neg_hi:[0,1]
	s_delay_alu instid0(VALU_DEP_2) | instskip(NEXT) | instid1(VALU_DEP_1)
	v_add_f32_e32 v51, v25, v37
	v_pk_add_f32 v[52:53], v[44:45], v[50:51]
	s_delay_alu instid0(VALU_DEP_1) | instskip(NEXT) | instid1(VALU_DEP_1)
	v_mov_b32_e32 v47, v53
	v_pk_add_f32 v[54:55], v[48:49], v[46:47]
	v_mov_b32_e32 v54, v53
	v_pk_add_f32 v[46:47], v[48:49], v[46:47] neg_lo:[0,1] neg_hi:[0,1]
	s_delay_alu instid0(VALU_DEP_3) | instskip(NEXT) | instid1(VALU_DEP_1)
	v_mov_b32_e32 v50, v55
	v_pk_add_f32 v[56:57], v[50:51], v[44:45] neg_lo:[0,1] neg_hi:[0,1]
	s_delay_alu instid0(VALU_DEP_1) | instskip(SKIP_1) | instid1(VALU_DEP_2)
	v_dual_mov_b32 v45, v44 :: v_dual_mov_b32 v59, v56
	v_dual_mov_b32 v44, v51 :: v_dual_mov_b32 v25, v56
	v_pk_add_f32 v[56:57], v[54:55], v[58:59] neg_lo:[0,1] neg_hi:[0,1]
	s_delay_alu instid0(VALU_DEP_2) | instskip(SKIP_1) | instid1(VALU_DEP_3)
	v_pk_add_f32 v[48:49], v[52:53], v[24:25] neg_lo:[0,1] neg_hi:[0,1]
	v_mov_b32_e32 v48, v46
	v_pk_add_f32 v[44:45], v[44:45], v[56:57] neg_lo:[0,1] neg_hi:[0,1]
	s_delay_alu instid0(VALU_DEP_1) | instskip(NEXT) | instid1(VALU_DEP_1)
	v_pk_add_f32 v[48:49], v[48:49], v[44:45]
	v_mov_b32_e32 v52, v49
	s_delay_alu instid0(VALU_DEP_1) | instskip(NEXT) | instid1(VALU_DEP_1)
	v_pk_add_f32 v[52:53], v[48:49], v[52:53]
	v_pk_add_f32 v[50:51], v[50:51], v[52:53]
	s_delay_alu instid0(VALU_DEP_1) | instskip(NEXT) | instid1(VALU_DEP_1)
	v_dual_mov_b32 v47, v55 :: v_dual_mov_b32 v49, v50
	v_pk_add_f32 v[54:55], v[48:49], v[46:47] neg_lo:[0,1] neg_hi:[0,1]
	s_delay_alu instid0(VALU_DEP_1) | instskip(NEXT) | instid1(VALU_DEP_1)
	v_sub_f32_e32 v25, v48, v54
	v_dual_mov_b32 v45, v52 :: v_dual_sub_f32 v25, v46, v25
	s_delay_alu instid0(VALU_DEP_1) | instskip(NEXT) | instid1(VALU_DEP_1)
	v_pk_add_f32 v[44:45], v[44:45], v[54:55] neg_lo:[0,1] neg_hi:[0,1]
	v_add_f32_e32 v25, v44, v25
	s_delay_alu instid0(VALU_DEP_1) | instskip(NEXT) | instid1(VALU_DEP_1)
	v_add_f32_e32 v25, v25, v45
	v_add_f32_e32 v25, v50, v25
	s_delay_alu instid0(VALU_DEP_1) | instskip(SKIP_1) | instid1(VALU_DEP_2)
	v_cndmask_b32_e32 v25, 0x7f800000, v25, vcc_lo
	v_cmp_ngt_f32_e32 vcc_lo, -1.0, v36
	v_cndmask_b32_e32 v25, 0x7fc00000, v25, vcc_lo
	v_cmp_neq_f32_e32 vcc_lo, -1.0, v36
	s_delay_alu instid0(VALU_DEP_2) | instskip(SKIP_1) | instid1(VALU_DEP_2)
	v_cndmask_b32_e32 v25, 0xff800000, v25, vcc_lo
	v_cmp_gt_f32_e64 vcc_lo, 0x33800000, |v36|
	v_cndmask_b32_e32 v25, v25, v36, vcc_lo
	s_delay_alu instid0(VALU_DEP_1)
	v_mul_f32_e32 v25, 0x3e800000, v25
	s_and_not1_saveexec_b32 s29, s29
	s_cbranch_execz .LBB74_73
	s_branch .LBB74_72
.LBB74_71:                              ;   in Loop: Header=BB74_4 Depth=1
	s_and_not1_saveexec_b32 s29, s29
	s_cbranch_execz .LBB74_73
.LBB74_72:                              ;   in Loop: Header=BB74_4 Depth=1
	v_cmp_gt_f32_e64 s30, 0x800000, |v38|
	s_delay_alu instid0(VALU_DEP_1) | instskip(NEXT) | instid1(VALU_DEP_1)
	v_cndmask_b32_e64 v25, 0, 32, s30
	v_ldexp_f32 v25, |v38|, v25
	s_delay_alu instid0(VALU_DEP_1) | instskip(SKIP_1) | instid1(TRANS32_DEP_1)
	v_log_f32_e32 v25, v25
	v_nop
	v_mul_f32_e32 v36, 0x3f317217, v25
	v_cmp_gt_f32_e64 vcc_lo, 0x7f800000, |v25|
	s_delay_alu instid0(VALU_DEP_2) | instskip(NEXT) | instid1(VALU_DEP_1)
	v_fma_f32 v36, 0x3f317217, v25, -v36
	v_fmac_f32_e32 v36, 0x3377d1cf, v25
	s_delay_alu instid0(VALU_DEP_1) | instskip(NEXT) | instid1(VALU_DEP_1)
	v_fmac_f32_e32 v36, 0x3f317217, v25
	v_cndmask_b32_e32 v25, v25, v36, vcc_lo
	v_cndmask_b32_e64 v36, 0, 0x41b17218, s30
	s_delay_alu instid0(VALU_DEP_1) | instskip(NEXT) | instid1(VALU_DEP_1)
	v_sub_f32_e32 v25, v25, v36
	v_sub_f32_e32 v25, 0x3f317218, v25
	s_delay_alu instid0(VALU_DEP_1)
	v_mul_f32_e32 v25, 0.5, v25
.LBB74_73:                              ;   in Loop: Header=BB74_4 Depth=1
	s_or_b32 exec_lo, exec_lo, s29
                                        ; implicit-def: $vgpr37
	s_and_saveexec_b32 s29, s28
	s_delay_alu instid0(SALU_CYCLE_1)
	s_xor_b32 s28, exec_lo, s29
	s_cbranch_execz .LBB74_79
; %bb.74:                               ;   in Loop: Header=BB74_4 Depth=1
	v_sub_f32_e64 v36, 1.0, |v39|
	v_add_f32_e64 v37, |v39|, 1.0
	v_add_f32_e64 v23, |v38|, |v38|
	s_delay_alu instid0(VALU_DEP_1) | instskip(SKIP_1) | instid1(SALU_CYCLE_1)
	v_dual_mul_f32 v36, v36, v37 :: v_dual_max_num_f32 v43, v23, v23
                                        ; implicit-def: $vgpr37
	s_and_saveexec_b32 s29, s6
	s_xor_b32 s29, exec_lo, s29
	s_cbranch_execz .LBB74_76
; %bb.75:                               ;   in Loop: Header=BB74_4 Depth=1
	s_delay_alu instid0(VALU_DEP_1) | instskip(NEXT) | instid1(VALU_DEP_1)
	v_fma_f32 v36, -v38, v38, v36
	v_max_num_f32_e64 v37, |v36|, v43
	v_min_num_f32_e64 v43, |v36|, v43
	s_delay_alu instid0(VALU_DEP_2) | instskip(SKIP_1) | instid1(VALU_DEP_3)
	v_frexp_mant_f32_e32 v44, v37
	v_frexp_exp_i32_f32_e32 v37, v37
	v_frexp_exp_i32_f32_e32 v45, v43
	v_frexp_mant_f32_e32 v43, v43
	s_delay_alu instid0(VALU_DEP_4) | instskip(NEXT) | instid1(VALU_DEP_2)
	v_rcp_f32_e32 v44, v44
	v_sub_nc_u32_e32 v37, v45, v37
	v_cmp_gt_f32_e64 vcc_lo, v23, |v36|
	v_cmp_gt_i32_e64 s6, 0, v36
	v_cmp_class_f32_e64 s30, v36, 0x204
	s_delay_alu instid0(TRANS32_DEP_1) | instskip(NEXT) | instid1(VALU_DEP_1)
	v_mul_f32_e32 v43, v43, v44
	v_ldexp_f32 v37, v43, v37
	s_delay_alu instid0(VALU_DEP_1) | instskip(NEXT) | instid1(VALU_DEP_1)
	v_mul_f32_e32 v43, v37, v37
	v_fmaak_f32 v44, s22, v43, 0xbc7a590c
	s_delay_alu instid0(VALU_DEP_1) | instskip(NEXT) | instid1(VALU_DEP_1)
	v_fmaak_f32 v44, v43, v44, 0x3d29fb3f
	v_fmaak_f32 v44, v43, v44, 0xbd97d4d7
	s_delay_alu instid0(VALU_DEP_1) | instskip(NEXT) | instid1(VALU_DEP_1)
	v_fmaak_f32 v44, v43, v44, 0x3dd931b2
	;; [unrolled: 3-line block ×3, first 2 shown]
	v_fmaak_f32 v44, v43, v44, 0xbeaaaa62
	s_delay_alu instid0(VALU_DEP_1) | instskip(NEXT) | instid1(VALU_DEP_1)
	v_mul_f32_e32 v43, v43, v44
	v_fmac_f32_e32 v37, v37, v43
	s_delay_alu instid0(VALU_DEP_1) | instskip(NEXT) | instid1(VALU_DEP_1)
	v_sub_f32_e32 v43, 0x3fc90fdb, v37
	v_cndmask_b32_e32 v37, v37, v43, vcc_lo
	v_cmp_gt_f32_e32 vcc_lo, 0, v36
	s_delay_alu instid0(VALU_DEP_2) | instskip(SKIP_1) | instid1(VALU_DEP_2)
	v_sub_f32_e32 v43, 0x40490fdb, v37
	v_cndmask_b32_e32 v44, 0x3f490fdb, v42, vcc_lo
	v_cndmask_b32_e32 v37, v37, v43, vcc_lo
	v_cndmask_b32_e64 v43, 0, 0x40490fdb, s6
	v_cmp_eq_f32_e64 s6, 0, v23
	v_cmp_eq_f32_e32 vcc_lo, 0x7f800000, v23
	s_delay_alu instid0(VALU_DEP_2) | instskip(SKIP_1) | instid1(VALU_DEP_1)
	v_cndmask_b32_e64 v23, |v37|, v43, s6
	s_and_b32 vcc_lo, vcc_lo, s30
                                        ; implicit-def: $vgpr43
	v_cndmask_b32_e32 v23, v23, v44, vcc_lo
	v_cmp_o_f32_e32 vcc_lo, v36, v36
                                        ; implicit-def: $vgpr36
	s_delay_alu instid0(VALU_DEP_2)
	v_cndmask_b32_e32 v37, 0x7fc00000, v23, vcc_lo
                                        ; implicit-def: $vgpr23
.LBB74_76:                              ;   in Loop: Header=BB74_4 Depth=1
	s_and_not1_saveexec_b32 s29, s29
	s_cbranch_execz .LBB74_78
; %bb.77:                               ;   in Loop: Header=BB74_4 Depth=1
	v_max_num_f32_e64 v37, |v36|, |v36|
	v_cmp_gt_f32_e64 vcc_lo, v23, |v36|
	v_cmp_gt_i32_e64 s6, 0, v36
	v_cmp_class_f32_e64 s30, v36, 0x204
	s_delay_alu instid0(VALU_DEP_4) | instskip(NEXT) | instid1(VALU_DEP_1)
	v_dual_max_num_f32 v44, v37, v43 :: v_dual_min_num_f32 v37, v37, v43
	v_frexp_mant_f32_e32 v45, v44
	v_frexp_exp_i32_f32_e32 v43, v44
	s_delay_alu instid0(VALU_DEP_2) | instskip(SKIP_3) | instid1(VALU_DEP_2)
	v_rcp_f32_e32 v44, v45
	v_nop
	v_frexp_exp_i32_f32_e32 v45, v37
	v_frexp_mant_f32_e32 v37, v37
	v_sub_nc_u32_e32 v43, v45, v43
	s_delay_alu instid0(TRANS32_DEP_1) | instid1(VALU_DEP_2)
	v_mul_f32_e32 v37, v37, v44
	s_delay_alu instid0(VALU_DEP_1) | instskip(NEXT) | instid1(VALU_DEP_1)
	v_ldexp_f32 v37, v37, v43
	v_mul_f32_e32 v43, v37, v37
	s_delay_alu instid0(VALU_DEP_1) | instskip(NEXT) | instid1(VALU_DEP_1)
	v_fmaak_f32 v44, s22, v43, 0xbc7a590c
	v_fmaak_f32 v44, v43, v44, 0x3d29fb3f
	s_delay_alu instid0(VALU_DEP_1) | instskip(NEXT) | instid1(VALU_DEP_1)
	v_fmaak_f32 v44, v43, v44, 0xbd97d4d7
	v_fmaak_f32 v44, v43, v44, 0x3dd931b2
	;; [unrolled: 3-line block ×3, first 2 shown]
	s_delay_alu instid0(VALU_DEP_1) | instskip(NEXT) | instid1(VALU_DEP_1)
	v_fmaak_f32 v44, v43, v44, 0xbeaaaa62
	v_mul_f32_e32 v43, v43, v44
	s_delay_alu instid0(VALU_DEP_1) | instskip(NEXT) | instid1(VALU_DEP_1)
	v_fmac_f32_e32 v37, v37, v43
	v_sub_f32_e32 v43, 0x3fc90fdb, v37
	s_delay_alu instid0(VALU_DEP_1) | instskip(SKIP_1) | instid1(VALU_DEP_2)
	v_cndmask_b32_e32 v37, v37, v43, vcc_lo
	v_cmp_gt_f32_e32 vcc_lo, 0, v36
	v_sub_f32_e32 v43, 0x40490fdb, v37
	v_cndmask_b32_e32 v44, 0x3f490fdb, v42, vcc_lo
	s_delay_alu instid0(VALU_DEP_2) | instskip(SKIP_3) | instid1(VALU_DEP_2)
	v_cndmask_b32_e32 v37, v37, v43, vcc_lo
	v_cndmask_b32_e64 v43, 0, 0x40490fdb, s6
	v_cmp_eq_f32_e64 s6, 0, v23
	v_cmp_eq_f32_e32 vcc_lo, 0x7f800000, v23
	v_cndmask_b32_e64 v23, |v37|, v43, s6
	s_and_b32 vcc_lo, vcc_lo, s30
	s_delay_alu instid0(VALU_DEP_1) | instskip(SKIP_1) | instid1(VALU_DEP_2)
	v_cndmask_b32_e32 v23, v23, v44, vcc_lo
	v_cmp_o_f32_e32 vcc_lo, v36, v36
	v_cndmask_b32_e32 v37, 0x7fc00000, v23, vcc_lo
.LBB74_78:                              ;   in Loop: Header=BB74_4 Depth=1
	s_or_b32 exec_lo, exec_lo, s29
                                        ; implicit-def: $vgpr23
	s_and_not1_saveexec_b32 s6, s28
	s_cbranch_execnz .LBB74_80
	s_branch .LBB74_81
.LBB74_79:                              ;   in Loop: Header=BB74_4 Depth=1
	s_and_not1_saveexec_b32 s6, s28
	s_cbranch_execz .LBB74_81
.LBB74_80:                              ;   in Loop: Header=BB74_4 Depth=1
	v_dual_max_num_f32 v36, 2.0, v23 :: v_dual_min_num_f32 v23, 2.0, v23
	v_cmp_lt_f32_e64 vcc_lo, |v38|, 2.0
	s_delay_alu instid0(VALU_DEP_2) | instskip(SKIP_1) | instid1(VALU_DEP_4)
	v_frexp_mant_f32_e32 v37, v36
	v_frexp_exp_i32_f32_e32 v36, v36
	v_frexp_mant_f32_e32 v43, v23
	v_frexp_exp_i32_f32_e32 v23, v23
	s_delay_alu instid0(VALU_DEP_4) | instskip(NEXT) | instid1(VALU_DEP_1)
	v_rcp_f32_e32 v37, v37
	v_sub_nc_u32_e32 v23, v23, v36
	s_delay_alu instid0(TRANS32_DEP_1) | instskip(NEXT) | instid1(VALU_DEP_1)
	v_mul_f32_e32 v37, v43, v37
	v_ldexp_f32 v23, v37, v23
	s_delay_alu instid0(VALU_DEP_1) | instskip(NEXT) | instid1(VALU_DEP_1)
	v_mul_f32_e32 v36, v23, v23
	v_fmaak_f32 v37, s22, v36, 0xbc7a590c
	s_delay_alu instid0(VALU_DEP_1) | instskip(NEXT) | instid1(VALU_DEP_1)
	v_fmaak_f32 v37, v36, v37, 0x3d29fb3f
	v_fmaak_f32 v37, v36, v37, 0xbd97d4d7
	s_delay_alu instid0(VALU_DEP_1) | instskip(NEXT) | instid1(VALU_DEP_1)
	v_fmaak_f32 v37, v36, v37, 0x3dd931b2
	;; [unrolled: 3-line block ×3, first 2 shown]
	v_fmaak_f32 v37, v36, v37, 0xbeaaaa62
	s_delay_alu instid0(VALU_DEP_1) | instskip(NEXT) | instid1(VALU_DEP_1)
	v_mul_f32_e32 v36, v36, v37
	v_fmac_f32_e32 v23, v23, v36
	s_delay_alu instid0(VALU_DEP_1) | instskip(NEXT) | instid1(VALU_DEP_1)
	v_sub_f32_e32 v36, 0x3fc90fdb, v23
	v_cndmask_b32_e32 v23, v23, v36, vcc_lo
	v_cmp_lg_f32_e32 vcc_lo, 0, v38
	s_delay_alu instid0(VALU_DEP_2) | instskip(NEXT) | instid1(VALU_DEP_1)
	v_sub_f32_e32 v36, 0x40490fdb, v23
	v_cndmask_b32_e32 v23, v23, v36, vcc_lo
	s_delay_alu instid0(VALU_DEP_1)
	v_and_b32_e32 v37, 0x7fffffff, v23
.LBB74_81:                              ;   in Loop: Header=BB74_4 Depth=1
	s_or_b32 exec_lo, exec_lo, s6
	s_delay_alu instid0(VALU_DEP_1) | instskip(SKIP_1) | instid1(VALU_DEP_2)
	v_mul_f32_e32 v23, 0.5, v37
	v_bfi_b32 v37, 0x7fffffff, v25, v39
	v_bfi_b32 v36, 0x7fffffff, v23, v38
                                        ; implicit-def: $vgpr39
.LBB74_82:                              ;   in Loop: Header=BB74_4 Depth=1
	s_and_not1_saveexec_b32 s6, s27
	s_cbranch_execz .LBB74_84
; %bb.83:                               ;   in Loop: Header=BB74_4 Depth=1
	flat_store_b32 v[8:9], v41 scope:SCOPE_SYS
	s_wait_storecnt 0x0
	flat_load_b32 v23, v[8:9] scope:SCOPE_SYS
	s_wait_loadcnt 0x0
	v_dual_mov_b32 v36, v38 :: v_dual_mov_b32 v37, v39
	s_wait_dscnt 0x0
	v_add_f32_e32 v23, 1.0, v23
	flat_store_b32 v[14:15], v23 scope:SCOPE_SYS
	s_wait_storecnt 0x0
	flat_load_b32 v23, v[14:15] scope:SCOPE_SYS
	s_wait_loadcnt 0x0
.LBB74_84:                              ;   in Loop: Header=BB74_4 Depth=1
	s_wait_xcnt 0x0
	s_or_b32 exec_lo, exec_lo, s6
                                        ; implicit-def: $vgpr38
.LBB74_85:                              ;   in Loop: Header=BB74_4 Depth=1
	s_and_not1_saveexec_b32 s6, s26
	s_cbranch_execz .LBB74_99
; %bb.86:                               ;   in Loop: Header=BB74_4 Depth=1
	s_wait_dscnt 0x0
	v_and_b32_e32 v23, 0x7f800000, v39
	v_and_b32_e32 v25, 0x7f800000, v38
	v_cmp_neq_f32_e64 s26, 0x7f800000, |v39|
                                        ; implicit-def: $vgpr37
	s_delay_alu instid0(VALU_DEP_2) | instskip(NEXT) | instid1(VALU_DEP_1)
	v_sub_nc_u32_e32 v36, v23, v25
	v_cmp_gt_i32_e32 vcc_lo, 0x6800000, v36
	s_and_b32 s26, s26, vcc_lo
	s_delay_alu instid0(SALU_CYCLE_1) | instskip(NEXT) | instid1(SALU_CYCLE_1)
	s_and_saveexec_b32 s27, s26
	s_xor_b32 s26, exec_lo, s27
	s_cbranch_execz .LBB74_96
; %bb.87:                               ;   in Loop: Header=BB74_4 Depth=1
	v_sub_nc_u32_e32 v25, v25, v23
	s_mov_b32 s27, exec_lo
                                        ; implicit-def: $vgpr37
	s_delay_alu instid0(VALU_DEP_1)
	v_cmpx_gt_i32_e32 0x6800000, v25
	s_xor_b32 s27, exec_lo, s27
	s_cbranch_execz .LBB74_93
; %bb.88:                               ;   in Loop: Header=BB74_4 Depth=1
	s_mov_b32 s28, exec_lo
                                        ; implicit-def: $vgpr37
	v_cmpx_lt_u32_e32 0x59000000, v23
	s_xor_b32 s28, exec_lo, s28
	s_cbranch_execz .LBB74_90
; %bb.89:                               ;   in Loop: Header=BB74_4 Depth=1
	v_sub_nc_u32_e32 v36, 0x7f800000, v23
	s_delay_alu instid0(VALU_DEP_1) | instskip(NEXT) | instid1(VALU_DEP_1)
	v_pk_mul_f32 v[44:45], v[38:39], v[36:37] op_sel_hi:[1,0]
	v_pk_mul_f32 v[46:47], v[44:45], v[44:45]
	s_delay_alu instid0(VALU_DEP_1) | instskip(NEXT) | instid1(VALU_DEP_1)
	v_add_f32_e32 v23, v47, v46
	v_div_scale_f32 v25, null, v23, v23, v45
	s_delay_alu instid0(VALU_DEP_1) | instskip(SKIP_1) | instid1(TRANS32_DEP_1)
	v_rcp_f32_e32 v37, v25
	v_nop
	v_fma_f32 v39, -v25, v37, 1.0
	s_delay_alu instid0(VALU_DEP_1) | instskip(SKIP_1) | instid1(VALU_DEP_1)
	v_fmac_f32_e32 v37, v39, v37
	v_div_scale_f32 v39, vcc_lo, v45, v23, v45
	v_mul_f32_e32 v43, v39, v37
	s_delay_alu instid0(VALU_DEP_1) | instskip(NEXT) | instid1(VALU_DEP_1)
	v_fma_f32 v44, -v25, v43, v39
	v_fmac_f32_e32 v43, v44, v37
	s_delay_alu instid0(VALU_DEP_1) | instskip(NEXT) | instid1(VALU_DEP_1)
	v_fma_f32 v25, -v25, v43, v39
	v_div_fmas_f32 v25, v25, v37, v43
	s_delay_alu instid0(VALU_DEP_1) | instskip(NEXT) | instid1(VALU_DEP_1)
	v_div_fixup_f32 v23, v25, v23, v45
	v_mul_f32_e32 v37, v23, v36
.LBB74_90:                              ;   in Loop: Header=BB74_4 Depth=1
	s_and_not1_saveexec_b32 s28, s28
	s_cbranch_execz .LBB74_92
; %bb.91:                               ;   in Loop: Header=BB74_4 Depth=1
	v_pk_mul_f32 v[36:37], v[38:39], v[38:39]
	s_delay_alu instid0(VALU_DEP_1) | instskip(NEXT) | instid1(VALU_DEP_1)
	v_add_f32_e32 v23, v37, v36
	v_div_scale_f32 v25, null, v23, v23, v39
	s_delay_alu instid0(VALU_DEP_1) | instskip(SKIP_1) | instid1(TRANS32_DEP_1)
	v_rcp_f32_e32 v36, v25
	v_nop
	v_fma_f32 v37, -v25, v36, 1.0
	s_delay_alu instid0(VALU_DEP_1) | instskip(SKIP_1) | instid1(VALU_DEP_1)
	v_fmac_f32_e32 v36, v37, v36
	v_div_scale_f32 v37, vcc_lo, v39, v23, v39
	v_mul_f32_e32 v43, v37, v36
	s_delay_alu instid0(VALU_DEP_1) | instskip(NEXT) | instid1(VALU_DEP_1)
	v_fma_f32 v44, -v25, v43, v37
	v_fmac_f32_e32 v43, v44, v36
	s_delay_alu instid0(VALU_DEP_1) | instskip(NEXT) | instid1(VALU_DEP_1)
	v_fma_f32 v25, -v25, v43, v37
	v_div_fmas_f32 v25, v25, v36, v43
	s_delay_alu instid0(VALU_DEP_1)
	v_div_fixup_f32 v37, v25, v23, v39
.LBB74_92:                              ;   in Loop: Header=BB74_4 Depth=1
	s_or_b32 exec_lo, exec_lo, s28
.LBB74_93:                              ;   in Loop: Header=BB74_4 Depth=1
	s_and_not1_saveexec_b32 s27, s27
	s_cbranch_execz .LBB74_95
; %bb.94:                               ;   in Loop: Header=BB74_4 Depth=1
	v_div_scale_f32 v23, null, v38, v38, v39
	v_div_scale_f32 v37, vcc_lo, v39, v38, v39
	s_delay_alu instid0(VALU_DEP_2) | instskip(SKIP_1) | instid1(TRANS32_DEP_1)
	v_rcp_f32_e32 v25, v23
	v_nop
	v_fma_f32 v36, -v23, v25, 1.0
	s_delay_alu instid0(VALU_DEP_1) | instskip(NEXT) | instid1(VALU_DEP_1)
	v_fmac_f32_e32 v25, v36, v25
	v_mul_f32_e32 v36, v37, v25
	s_delay_alu instid0(VALU_DEP_1) | instskip(NEXT) | instid1(VALU_DEP_1)
	v_fma_f32 v43, -v23, v36, v37
	v_fmac_f32_e32 v36, v43, v25
	s_delay_alu instid0(VALU_DEP_1) | instskip(NEXT) | instid1(VALU_DEP_1)
	v_fma_f32 v23, -v23, v36, v37
	v_div_fmas_f32 v23, v23, v25, v36
	s_delay_alu instid0(VALU_DEP_1) | instskip(NEXT) | instid1(VALU_DEP_1)
	v_div_fixup_f32 v23, v23, v38, v39
	v_div_scale_f32 v25, null, v38, v38, v23
	s_delay_alu instid0(VALU_DEP_1) | instskip(SKIP_1) | instid1(TRANS32_DEP_1)
	v_rcp_f32_e32 v36, v25
	v_nop
	v_fma_f32 v37, -v25, v36, 1.0
	s_delay_alu instid0(VALU_DEP_1) | instskip(SKIP_1) | instid1(VALU_DEP_1)
	v_fmac_f32_e32 v36, v37, v36
	v_div_scale_f32 v37, vcc_lo, v23, v38, v23
	v_mul_f32_e32 v39, v37, v36
	s_delay_alu instid0(VALU_DEP_1) | instskip(NEXT) | instid1(VALU_DEP_1)
	v_fma_f32 v43, -v25, v39, v37
	v_fmac_f32_e32 v39, v43, v36
	s_delay_alu instid0(VALU_DEP_1) | instskip(NEXT) | instid1(VALU_DEP_1)
	v_fma_f32 v25, -v25, v39, v37
	v_div_fmas_f32 v25, v25, v36, v39
	s_delay_alu instid0(VALU_DEP_1)
	v_div_fixup_f32 v37, v25, v38, v23
.LBB74_95:                              ;   in Loop: Header=BB74_4 Depth=1
	s_or_b32 exec_lo, exec_lo, s27
.LBB74_96:                              ;   in Loop: Header=BB74_4 Depth=1
	s_and_not1_saveexec_b32 s26, s26
	s_cbranch_execz .LBB74_98
; %bb.97:                               ;   in Loop: Header=BB74_4 Depth=1
	v_div_scale_f32 v23, null, v39, v39, 1.0
	s_delay_alu instid0(VALU_DEP_1) | instskip(SKIP_1) | instid1(TRANS32_DEP_1)
	v_rcp_f32_e32 v25, v23
	v_nop
	v_fma_f32 v36, -v23, v25, 1.0
	s_delay_alu instid0(VALU_DEP_1) | instskip(SKIP_1) | instid1(VALU_DEP_1)
	v_fmac_f32_e32 v25, v36, v25
	v_div_scale_f32 v36, vcc_lo, 1.0, v39, 1.0
	v_mul_f32_e32 v37, v36, v25
	s_delay_alu instid0(VALU_DEP_1) | instskip(NEXT) | instid1(VALU_DEP_1)
	v_fma_f32 v43, -v23, v37, v36
	v_fmac_f32_e32 v37, v43, v25
	s_delay_alu instid0(VALU_DEP_1) | instskip(NEXT) | instid1(VALU_DEP_1)
	v_fma_f32 v23, -v23, v37, v36
	v_div_fmas_f32 v23, v23, v25, v37
	s_delay_alu instid0(VALU_DEP_1)
	v_div_fixup_f32 v37, v23, v39, 1.0
.LBB74_98:                              ;   in Loop: Header=BB74_4 Depth=1
	s_or_b32 exec_lo, exec_lo, s26
	flat_load_b32 v23, v[6:7] scope:SCOPE_SYS
	s_wait_loadcnt_dscnt 0x0
	v_add_f32_e32 v23, 0x3fc90fdb, v23
	s_delay_alu instid0(VALU_DEP_1)
	v_bfi_b32 v36, 0x7fffffff, v23, v38
.LBB74_99:                              ;   in Loop: Header=BB74_4 Depth=1
	s_or_b32 exec_lo, exec_lo, s6
                                        ; implicit-def: $vgpr39
.LBB74_100:                             ;   in Loop: Header=BB74_4 Depth=1
	s_and_not1_saveexec_b32 s6, s25
	s_cbranch_execz .LBB74_110
; %bb.101:                              ;   in Loop: Header=BB74_4 Depth=1
	v_cmp_neq_f32_e64 s25, 0x7f800000, |v39|
                                        ; implicit-def: $vgpr37
	s_and_saveexec_b32 s26, s25
	s_delay_alu instid0(SALU_CYCLE_1)
	s_xor_b32 s25, exec_lo, s26
	s_cbranch_execz .LBB74_107
; %bb.102:                              ;   in Loop: Header=BB74_4 Depth=1
	v_cmp_neq_f32_e64 s26, 0x7f800000, |v38|
                                        ; implicit-def: $vgpr37
	s_and_saveexec_b32 s27, s26
	s_delay_alu instid0(SALU_CYCLE_1)
	s_xor_b32 s26, exec_lo, s27
	s_cbranch_execz .LBB74_104
; %bb.103:                              ;   in Loop: Header=BB74_4 Depth=1
	s_wait_dscnt 0x0
	v_add_f32_e32 v23, 0, v38
	s_delay_alu instid0(VALU_DEP_1)
	v_add_f32_e32 v37, v39, v23
                                        ; implicit-def: $vgpr38_vgpr39
.LBB74_104:                             ;   in Loop: Header=BB74_4 Depth=1
	s_or_saveexec_b32 s26, s26
	s_delay_alu instid0(VALU_DEP_1)
	v_mov_b32_e32 v36, v37
	s_xor_b32 exec_lo, exec_lo, s26
	s_cbranch_execz .LBB74_106
; %bb.105:                              ;   in Loop: Header=BB74_4 Depth=1
	s_wait_dscnt 0x0
	flat_load_b32 v23, v[6:7] scope:SCOPE_SYS
	s_wait_loadcnt 0x0
	v_bfi_b32 v37, 0x7fffffff, 0, v39
	s_wait_dscnt 0x0
	v_add_f32_e32 v23, 0x3fc90fdb, v23
	s_delay_alu instid0(VALU_DEP_1)
	v_bfi_b32 v36, 0x7fffffff, v23, v38
.LBB74_106:                             ;   in Loop: Header=BB74_4 Depth=1
	s_wait_xcnt 0x0
	s_or_b32 exec_lo, exec_lo, s26
                                        ; implicit-def: $vgpr39
.LBB74_107:                             ;   in Loop: Header=BB74_4 Depth=1
	s_and_not1_saveexec_b32 s25, s25
; %bb.108:                              ;   in Loop: Header=BB74_4 Depth=1
	v_bfi_b32 v37, 0x7fffffff, 0, v39
	v_add_f32_e32 v36, v38, v38
; %bb.109:                              ;   in Loop: Header=BB74_4 Depth=1
	s_or_b32 exec_lo, exec_lo, s25
.LBB74_110:                             ;   in Loop: Header=BB74_4 Depth=1
	s_delay_alu instid0(SALU_CYCLE_1)
	s_or_b32 exec_lo, exec_lo, s6
                                        ; implicit-def: $vgpr38
.LBB74_111:                             ;   in Loop: Header=BB74_4 Depth=1
	s_and_not1_saveexec_b32 s6, s24
	s_cbranch_execz .LBB74_113
; %bb.112:                              ;   in Loop: Header=BB74_4 Depth=1
	s_wait_dscnt 0x0
	v_rcp_f32_e64 v23, |v38|
	v_cmp_gt_f32_e64 vcc_lo, |v38|, 1.0
	v_mov_b32_e32 v37, v39
	s_delay_alu instid0(TRANS32_DEP_1) | instid1(VALU_DEP_2)
	v_cndmask_b32_e64 v23, |v38|, v23, vcc_lo
	s_delay_alu instid0(VALU_DEP_1) | instskip(NEXT) | instid1(VALU_DEP_1)
	v_mul_f32_e32 v25, v23, v23
	v_fmaak_f32 v36, s22, v25, 0xbc7a590c
	s_delay_alu instid0(VALU_DEP_1) | instskip(NEXT) | instid1(VALU_DEP_1)
	v_fmaak_f32 v36, v25, v36, 0x3d29fb3f
	v_fmaak_f32 v36, v25, v36, 0xbd97d4d7
	s_delay_alu instid0(VALU_DEP_1) | instskip(NEXT) | instid1(VALU_DEP_1)
	v_fmaak_f32 v36, v25, v36, 0x3dd931b2
	;; [unrolled: 3-line block ×3, first 2 shown]
	v_fmaak_f32 v36, v25, v36, 0xbeaaaa62
	s_delay_alu instid0(VALU_DEP_1) | instskip(NEXT) | instid1(VALU_DEP_1)
	v_mul_f32_e32 v25, v25, v36
	v_fmac_f32_e32 v23, v23, v25
	s_delay_alu instid0(VALU_DEP_1) | instskip(NEXT) | instid1(VALU_DEP_1)
	v_sub_f32_e32 v25, 0x3fc90fdb, v23
	v_cndmask_b32_e32 v23, v23, v25, vcc_lo
	s_delay_alu instid0(VALU_DEP_1)
	v_bfi_b32 v36, 0x7fffffff, v23, v38
.LBB74_113:                             ;   in Loop: Header=BB74_4 Depth=1
	s_or_b32 exec_lo, exec_lo, s6
                                        ; implicit-def: $vgpr39
.LBB74_114:                             ;   in Loop: Header=BB74_4 Depth=1
	s_and_not1_saveexec_b32 s6, s23
	s_cbranch_execz .LBB74_116
; %bb.115:                              ;   in Loop: Header=BB74_4 Depth=1
	s_wait_dscnt 0x0
	v_sub_f32_e64 v23, 1.0, |v39|
	v_add_f32_e64 v36, |v39|, 1.0
	v_and_b32_e32 v46, 0x7fffffff, v39
	v_cmp_gt_f32_e64 s23, 0x39800000, |v39|
	s_delay_alu instid0(VALU_DEP_4) | instskip(SKIP_1) | instid1(VALU_DEP_1)
	v_rcp_f32_e32 v25, v23
	v_sub_f32_e32 v44, 1.0, v23
	v_sub_f32_e64 v44, v44, |v39|
	s_delay_alu instid0(TRANS32_DEP_1) | instskip(NEXT) | instid1(VALU_DEP_1)
	v_mul_f32_e32 v43, v36, v25
	v_mul_f32_e32 v37, v23, v43
	s_delay_alu instid0(VALU_DEP_1) | instskip(NEXT) | instid1(VALU_DEP_1)
	v_fma_f32 v23, v43, v23, -v37
	v_fmac_f32_e32 v23, v43, v44
	s_delay_alu instid0(VALU_DEP_1) | instskip(NEXT) | instid1(VALU_DEP_1)
	v_pk_add_f32 v[44:45], v[36:37], v[22:23]
	v_sub_f32_e32 v48, v36, v45
	s_delay_alu instid0(VALU_DEP_1) | instskip(NEXT) | instid1(VALU_DEP_1)
	v_dual_sub_f32 v37, v45, v37 :: v_dual_sub_f32 v47, v36, v48
	v_sub_f32_e32 v23, v37, v23
	s_delay_alu instid0(VALU_DEP_2) | instskip(NEXT) | instid1(VALU_DEP_1)
	v_pk_add_f32 v[36:37], v[46:47], v[44:45] neg_lo:[0,1] neg_hi:[0,1]
	v_add_f32_e32 v23, v23, v37
	s_delay_alu instid0(VALU_DEP_1) | instskip(NEXT) | instid1(VALU_DEP_1)
	v_add_f32_e32 v23, v36, v23
	v_add_f32_e32 v23, v48, v23
	s_delay_alu instid0(VALU_DEP_1) | instskip(NEXT) | instid1(VALU_DEP_1)
	v_mul_f32_e32 v23, v25, v23
	v_add_f32_e32 v25, v43, v23
	s_delay_alu instid0(VALU_DEP_1) | instskip(NEXT) | instid1(VALU_DEP_1)
	v_cvt_f64_f32_e32 v[36:37], v25
	v_frexp_exp_i32_f64_e32 v36, v[36:37]
	v_frexp_mant_f32_e32 v37, v25
	s_delay_alu instid0(VALU_DEP_1) | instskip(NEXT) | instid1(VALU_DEP_3)
	v_cmp_gt_f32_e32 vcc_lo, 0x3f2aaaab, v37
	v_subrev_co_ci_u32_e64 v48, null, 0, v36, vcc_lo
	v_cmp_neq_f32_e64 vcc_lo, |v39|, 1.0
	s_delay_alu instid0(VALU_DEP_2) | instskip(NEXT) | instid1(VALU_DEP_1)
	v_sub_nc_u32_e32 v36, 0, v48
	v_ldexp_f32 v37, v25, v36
	s_delay_alu instid0(VALU_DEP_1) | instskip(NEXT) | instid1(VALU_DEP_1)
	v_dual_sub_f32 v25, v25, v43 :: v_dual_add_f32 v43, 1.0, v37
	v_sub_f32_e32 v23, v23, v25
	s_delay_alu instid0(VALU_DEP_2) | instskip(NEXT) | instid1(VALU_DEP_2)
	v_dual_add_f32 v47, -1.0, v37 :: v_dual_add_f32 v25, -1.0, v43
	v_ldexp_f32 v23, v23, v36
	s_delay_alu instid0(VALU_DEP_2) | instskip(NEXT) | instid1(VALU_DEP_1)
	v_dual_add_f32 v36, 1.0, v47 :: v_dual_sub_f32 v25, v37, v25
	v_dual_sub_f32 v36, v37, v36 :: v_dual_add_f32 v25, v23, v25
	s_delay_alu instid0(VALU_DEP_1) | instskip(NEXT) | instid1(VALU_DEP_2)
	v_add_f32_e32 v23, v23, v36
	v_add_f32_e32 v49, v43, v25
	s_delay_alu instid0(VALU_DEP_1) | instskip(SKIP_1) | instid1(VALU_DEP_1)
	v_rcp_f32_e32 v50, v49
	v_sub_f32_e32 v36, v49, v43
	v_dual_add_f32 v37, v47, v23 :: v_dual_sub_f32 v25, v25, v36
	s_delay_alu instid0(TRANS32_DEP_1) | instid1(VALU_DEP_1)
	v_dual_mul_f32 v51, v37, v50 :: v_dual_sub_f32 v43, v37, v47
	s_delay_alu instid0(VALU_DEP_1) | instskip(NEXT) | instid1(VALU_DEP_2)
	v_mul_f32_e32 v44, v49, v51
	v_sub_f32_e32 v23, v23, v43
	s_delay_alu instid0(VALU_DEP_2) | instskip(NEXT) | instid1(VALU_DEP_1)
	v_fma_f32 v46, v51, v49, -v44
	v_fmac_f32_e32 v46, v51, v25
	s_delay_alu instid0(VALU_DEP_1) | instskip(NEXT) | instid1(VALU_DEP_1)
	v_add_f32_e32 v36, v44, v46
	v_dual_sub_f32 v45, v37, v36 :: v_dual_mov_b32 v47, v36
	s_delay_alu instid0(VALU_DEP_1) | instskip(NEXT) | instid1(VALU_DEP_1)
	v_pk_add_f32 v[36:37], v[36:37], v[44:45] neg_lo:[0,1] neg_hi:[0,1]
	v_pk_add_f32 v[36:37], v[36:37], v[46:47] neg_lo:[0,1] neg_hi:[0,1]
	s_delay_alu instid0(VALU_DEP_1) | instskip(NEXT) | instid1(VALU_DEP_1)
	v_add_f32_e32 v23, v23, v37
	v_add_f32_e32 v23, v36, v23
	s_delay_alu instid0(VALU_DEP_1) | instskip(NEXT) | instid1(VALU_DEP_1)
	v_add_f32_e32 v37, v45, v23
	v_mul_f32_e32 v43, v50, v37
	s_delay_alu instid0(VALU_DEP_1) | instskip(NEXT) | instid1(VALU_DEP_1)
	v_mul_f32_e32 v46, v49, v43
	v_fma_f32 v44, v43, v49, -v46
	v_add_f32_e32 v49, v51, v43
	s_delay_alu instid0(VALU_DEP_2) | instskip(NEXT) | instid1(VALU_DEP_1)
	v_fmac_f32_e32 v44, v43, v25
	v_dual_sub_f32 v25, v45, v37 :: v_dual_add_f32 v36, v46, v44
	s_delay_alu instid0(VALU_DEP_1) | instskip(NEXT) | instid1(VALU_DEP_2)
	v_dual_add_f32 v23, v23, v25 :: v_dual_sub_f32 v25, v49, v51
	v_dual_sub_f32 v47, v37, v36 :: v_dual_mov_b32 v45, v36
	s_delay_alu instid0(VALU_DEP_2) | instskip(NEXT) | instid1(VALU_DEP_2)
	v_sub_f32_e32 v25, v43, v25
	v_pk_add_f32 v[36:37], v[36:37], v[46:47] neg_lo:[0,1] neg_hi:[0,1]
	s_delay_alu instid0(VALU_DEP_1) | instskip(NEXT) | instid1(VALU_DEP_1)
	v_pk_add_f32 v[36:37], v[36:37], v[44:45] neg_lo:[0,1] neg_hi:[0,1]
	v_add_f32_e32 v23, v23, v37
	s_delay_alu instid0(VALU_DEP_1) | instskip(SKIP_1) | instid1(VALU_DEP_2)
	v_add_f32_e32 v23, v36, v23
	v_cvt_f32_i32_e32 v36, v48
	v_add_f32_e32 v23, v47, v23
	s_delay_alu instid0(VALU_DEP_1) | instskip(NEXT) | instid1(VALU_DEP_1)
	v_mul_f32_e32 v23, v50, v23
	v_add_f32_e32 v23, v25, v23
	s_delay_alu instid0(VALU_DEP_1) | instskip(NEXT) | instid1(VALU_DEP_1)
	v_add_f32_e32 v43, v49, v23
	v_mul_f32_e32 v25, v43, v43
	s_delay_alu instid0(VALU_DEP_1) | instskip(NEXT) | instid1(VALU_DEP_1)
	v_dual_fmaak_f32 v44, s7, v25, 0x3ecc95a3 :: v_dual_mul_f32 v37, v43, v25
	v_fmaak_f32 v25, v25, v44, 0x3f2aaada
	s_delay_alu instid0(VALU_DEP_1) | instskip(SKIP_1) | instid1(VALU_DEP_2)
	v_pk_mul_f32 v[44:45], v[36:37], v[24:25]
	v_sub_f32_e32 v25, v43, v49
	v_fma_f32 v46, 0x3f317218, v36, -v44
	s_delay_alu instid0(VALU_DEP_2) | instskip(SKIP_2) | instid1(VALU_DEP_4)
	v_sub_f32_e32 v23, v23, v25
	v_ldexp_f32 v47, v43, 1
	v_mov_b32_e32 v48, v44
	v_fmac_f32_e32 v46, 0xb102e308, v36
	s_delay_alu instid0(VALU_DEP_4) | instskip(NEXT) | instid1(VALU_DEP_2)
	v_ldexp_f32 v23, v23, 1
	v_pk_add_f32 v[36:37], v[44:45], v[46:47]
	s_delay_alu instid0(VALU_DEP_1) | instskip(NEXT) | instid1(VALU_DEP_1)
	v_dual_sub_f32 v25, v37, v47 :: v_dual_mov_b32 v47, v36
	v_sub_f32_e32 v25, v45, v25
	v_pk_add_f32 v[44:45], v[36:37], v[44:45] neg_lo:[0,1] neg_hi:[0,1]
	s_delay_alu instid0(VALU_DEP_2) | instskip(NEXT) | instid1(VALU_DEP_1)
	v_add_f32_e32 v49, v23, v25
	v_pk_add_f32 v[50:51], v[36:37], v[48:49]
	s_delay_alu instid0(VALU_DEP_1) | instskip(NEXT) | instid1(VALU_DEP_1)
	v_mov_b32_e32 v45, v51
	v_pk_add_f32 v[52:53], v[46:47], v[44:45]
	v_mov_b32_e32 v52, v51
	v_pk_add_f32 v[44:45], v[46:47], v[44:45] neg_lo:[0,1] neg_hi:[0,1]
	s_delay_alu instid0(VALU_DEP_3) | instskip(NEXT) | instid1(VALU_DEP_1)
	v_dual_mov_b32 v48, v53 :: v_dual_mov_b32 v45, v53
	v_pk_add_f32 v[54:55], v[48:49], v[36:37] neg_lo:[0,1] neg_hi:[0,1]
	v_dual_mov_b32 v56, v37 :: v_dual_mov_b32 v37, v36
	s_delay_alu instid0(VALU_DEP_2) | instskip(SKIP_1) | instid1(VALU_DEP_2)
	v_dual_mov_b32 v36, v49 :: v_dual_mov_b32 v57, v54
	v_mov_b32_e32 v23, v54
	v_pk_add_f32 v[46:47], v[52:53], v[56:57] neg_lo:[0,1] neg_hi:[0,1]
	s_delay_alu instid0(VALU_DEP_2) | instskip(SKIP_1) | instid1(VALU_DEP_3)
	v_pk_add_f32 v[50:51], v[50:51], v[22:23] neg_lo:[0,1] neg_hi:[0,1]
	v_mov_b32_e32 v50, v44
	v_pk_add_f32 v[36:37], v[36:37], v[46:47] neg_lo:[0,1] neg_hi:[0,1]
	s_delay_alu instid0(VALU_DEP_1) | instskip(NEXT) | instid1(VALU_DEP_1)
	v_pk_add_f32 v[46:47], v[50:51], v[36:37]
	v_mov_b32_e32 v50, v47
	s_delay_alu instid0(VALU_DEP_1) | instskip(NEXT) | instid1(VALU_DEP_1)
	v_pk_add_f32 v[50:51], v[46:47], v[50:51]
	v_pk_add_f32 v[48:49], v[48:49], v[50:51]
	s_delay_alu instid0(VALU_DEP_1) | instskip(NEXT) | instid1(VALU_DEP_1)
	v_dual_mov_b32 v37, v50 :: v_dual_mov_b32 v47, v48
	v_pk_add_f32 v[52:53], v[46:47], v[44:45] neg_lo:[0,1] neg_hi:[0,1]
	s_delay_alu instid0(VALU_DEP_1) | instskip(NEXT) | instid1(VALU_DEP_2)
	v_sub_f32_e32 v23, v46, v52
	v_pk_add_f32 v[36:37], v[36:37], v[52:53] neg_lo:[0,1] neg_hi:[0,1]
	s_delay_alu instid0(VALU_DEP_2) | instskip(NEXT) | instid1(VALU_DEP_1)
	v_sub_f32_e32 v23, v44, v23
	v_dual_add_f32 v23, v36, v23 :: v_dual_mov_b32 v36, v38
	s_delay_alu instid0(VALU_DEP_1) | instskip(NEXT) | instid1(VALU_DEP_1)
	v_add_f32_e32 v23, v23, v37
	v_add_f32_e32 v23, v48, v23
	s_delay_alu instid0(VALU_DEP_1) | instskip(NEXT) | instid1(VALU_DEP_1)
	v_mul_f32_e32 v23, 0.5, v23
	v_cndmask_b32_e64 v23, v23, |v39|, s23
	s_delay_alu instid0(VALU_DEP_1) | instskip(NEXT) | instid1(VALU_DEP_1)
	v_cndmask_b32_e32 v23, 0x7f800000, v23, vcc_lo
	v_bfi_b32 v37, 0x7fffffff, v23, v39
.LBB74_116:                             ;   in Loop: Header=BB74_4 Depth=1
	s_or_b32 exec_lo, exec_lo, s6
	v_cmp_neq_f32_e32 vcc_lo, 0, v34
	v_cmp_nle_f32_e64 s6, |v35|, 1.0
	flat_store_b32 v[6:7], v40 scope:SCOPE_SYS
	s_wait_storecnt 0x0
                                        ; implicit-def: $vgpr39
	s_or_b32 s6, vcc_lo, s6
	s_wait_xcnt 0x0
	s_and_saveexec_b32 s23, s6
	s_delay_alu instid0(SALU_CYCLE_1)
	s_xor_b32 s23, exec_lo, s23
	s_cbranch_execz .LBB74_166
; %bb.117:                              ;   in Loop: Header=BB74_4 Depth=1
                                        ; implicit-def: $vgpr39
	s_mov_b32 s6, exec_lo
	v_cmpx_neq_f32_e32 0, v35
	s_xor_b32 s24, exec_lo, s6
	s_cbranch_execz .LBB74_163
; %bb.118:                              ;   in Loop: Header=BB74_4 Depth=1
                                        ; implicit-def: $vgpr39
	s_mov_b32 s6, exec_lo
	v_cmpx_o_f32_e32 v35, v34
	s_xor_b32 s25, exec_lo, s6
	s_cbranch_execz .LBB74_152
; %bb.119:                              ;   in Loop: Header=BB74_4 Depth=1
	s_wait_dscnt 0x1
	v_max_num_f32_e64 v23, |v34|, |v34|
	v_max_num_f32_e64 v25, |v35|, |v35|
                                        ; implicit-def: $vgpr39
	s_mov_b32 s6, exec_lo
	s_delay_alu instid0(VALU_DEP_1) | instskip(NEXT) | instid1(VALU_DEP_1)
	v_max_num_f32_e32 v25, v25, v23
	v_cmpx_nlt_f32_e32 0x4b000000, v25
	s_xor_b32 s26, exec_lo, s6
	s_cbranch_execz .LBB74_137
; %bb.120:                              ;   in Loop: Header=BB74_4 Depth=1
	v_cmp_ngt_f32_e64 s6, 0x399cc471, |v35|
	v_cmp_ngt_f32_e64 s27, 0x399cc471, |v34|
                                        ; implicit-def: $vgpr39
	s_or_b32 s6, s6, s27
	s_delay_alu instid0(SALU_CYCLE_1) | instskip(NEXT) | instid1(SALU_CYCLE_1)
	s_and_saveexec_b32 s27, s6
	s_xor_b32 s27, exec_lo, s27
	s_cbranch_execz .LBB74_134
; %bb.121:                              ;   in Loop: Header=BB74_4 Depth=1
	v_cmp_neq_f32_e64 s28, |v35|, 1.0
	v_cmp_ngt_f32_e64 s6, 0x34000000, |v34|
                                        ; implicit-def: $vgpr25
	s_or_b32 s29, s28, s6
	s_delay_alu instid0(SALU_CYCLE_1) | instskip(NEXT) | instid1(SALU_CYCLE_1)
	s_and_saveexec_b32 s30, s29
	s_xor_b32 s29, exec_lo, s30
	s_cbranch_execz .LBB74_123
; %bb.122:                              ;   in Loop: Header=BB74_4 Depth=1
	v_add_f32_e64 v39, |v35|, -1.0
	v_cmp_gt_f32_e64 vcc_lo, 0x20000000, |v34|
	v_mov_b32_e32 v38, v34
	s_delay_alu instid0(VALU_DEP_1) | instskip(NEXT) | instid1(VALU_DEP_1)
	v_pk_mul_f32 v[38:39], v[38:39], v[38:39]
	v_add_f32_e32 v25, v38, v39
	v_mul_f32_e64 v38, |v35|, 4.0
	s_delay_alu instid0(VALU_DEP_2) | instskip(NEXT) | instid1(VALU_DEP_1)
	v_cndmask_b32_e32 v25, v25, v39, vcc_lo
	v_div_scale_f32 v39, null, v25, v25, v38
	v_div_scale_f32 v45, vcc_lo, v38, v25, v38
	s_delay_alu instid0(VALU_DEP_2) | instskip(SKIP_1) | instid1(TRANS32_DEP_1)
	v_rcp_f32_e32 v43, v39
	v_nop
	v_fma_f32 v44, -v39, v43, 1.0
	s_delay_alu instid0(VALU_DEP_1) | instskip(NEXT) | instid1(VALU_DEP_1)
	v_fmac_f32_e32 v43, v44, v43
	v_mul_f32_e32 v44, v45, v43
	s_delay_alu instid0(VALU_DEP_1) | instskip(NEXT) | instid1(VALU_DEP_1)
	v_fma_f32 v46, -v39, v44, v45
	v_fmac_f32_e32 v44, v46, v43
	s_delay_alu instid0(VALU_DEP_1) | instskip(NEXT) | instid1(VALU_DEP_1)
	v_fma_f32 v39, -v39, v44, v45
	v_div_fmas_f32 v39, v39, v43, v44
	s_delay_alu instid0(VALU_DEP_1) | instskip(NEXT) | instid1(VALU_DEP_1)
	v_div_fixup_f32 v38, v39, v25, v38
	v_add_f32_e32 v45, 1.0, v38
	s_delay_alu instid0(VALU_DEP_1) | instskip(SKIP_2) | instid1(VALU_DEP_2)
	v_cvt_f64_f32_e32 v[46:47], v45
	v_frexp_mant_f32_e32 v43, v45
	v_add_f32_e32 v39, -1.0, v45
	v_cmp_gt_f32_e32 vcc_lo, 0x3f2aaaab, v43
	s_delay_alu instid0(VALU_DEP_4) | instskip(NEXT) | instid1(VALU_DEP_1)
	v_frexp_exp_i32_f64_e32 v25, v[46:47]
	v_subrev_co_ci_u32_e64 v25, null, 0, v25, vcc_lo
	s_delay_alu instid0(VALU_DEP_4) | instskip(SKIP_1) | instid1(VALU_DEP_3)
	v_mov_b32_e32 v44, v39
	v_cmp_neq_f32_e32 vcc_lo, 0x7f800000, v38
	v_sub_nc_u32_e32 v43, 0, v25
	s_delay_alu instid0(VALU_DEP_3) | instskip(NEXT) | instid1(VALU_DEP_2)
	v_pk_add_f32 v[46:47], v[38:39], v[44:45] neg_lo:[0,1] neg_hi:[0,1]
	v_ldexp_f32 v39, v45, v43
	s_delay_alu instid0(VALU_DEP_2) | instskip(NEXT) | instid1(VALU_DEP_2)
	v_add_f32_e32 v44, 1.0, v47
	v_add_f32_e32 v47, 1.0, v39
	s_delay_alu instid0(VALU_DEP_1) | instskip(SKIP_1) | instid1(VALU_DEP_2)
	v_dual_add_f32 v45, -1.0, v47 :: v_dual_add_f32 v44, v46, v44
	v_add_f32_e32 v49, -1.0, v39
	v_ldexp_f32 v43, v44, v43
	s_delay_alu instid0(VALU_DEP_3) | instskip(NEXT) | instid1(VALU_DEP_1)
	v_sub_f32_e32 v44, v39, v45
	v_dual_add_f32 v45, 1.0, v49 :: v_dual_add_f32 v44, v43, v44
	s_delay_alu instid0(VALU_DEP_1) | instskip(NEXT) | instid1(VALU_DEP_1)
	v_sub_f32_e32 v39, v39, v45
	v_add_f32_e32 v39, v43, v39
	s_delay_alu instid0(VALU_DEP_1) | instskip(NEXT) | instid1(VALU_DEP_1)
	v_dual_add_f32 v50, v47, v44 :: v_dual_add_f32 v45, v49, v39
	v_rcp_f32_e32 v43, v50
	v_nop
	s_delay_alu instid0(TRANS32_DEP_1) | instskip(NEXT) | instid1(VALU_DEP_1)
	v_mul_f32_e32 v51, v45, v43
	v_mul_f32_e32 v46, v50, v51
	s_delay_alu instid0(VALU_DEP_1) | instskip(NEXT) | instid1(VALU_DEP_1)
	v_dual_sub_f32 v47, v50, v47 :: v_dual_fma_f32 v48, v51, v50, -v46
	v_sub_f32_e32 v52, v44, v47
	s_delay_alu instid0(VALU_DEP_1) | instskip(NEXT) | instid1(VALU_DEP_1)
	v_fmac_f32_e32 v48, v51, v52
	v_dual_add_f32 v44, v46, v48 :: v_dual_sub_f32 v53, v45, v49
	s_delay_alu instid0(VALU_DEP_1) | instskip(NEXT) | instid1(VALU_DEP_2)
	v_dual_mov_b32 v49, v44 :: v_dual_sub_f32 v47, v45, v44
	v_sub_f32_e32 v39, v39, v53
	s_delay_alu instid0(VALU_DEP_2) | instskip(NEXT) | instid1(VALU_DEP_1)
	v_pk_add_f32 v[44:45], v[44:45], v[46:47] neg_lo:[0,1] neg_hi:[0,1]
	v_pk_add_f32 v[44:45], v[44:45], v[48:49] neg_lo:[0,1] neg_hi:[0,1]
	s_delay_alu instid0(VALU_DEP_1) | instskip(NEXT) | instid1(VALU_DEP_1)
	v_add_f32_e32 v39, v39, v45
	v_add_f32_e32 v39, v44, v39
	s_delay_alu instid0(VALU_DEP_1) | instskip(NEXT) | instid1(VALU_DEP_1)
	v_add_f32_e32 v45, v47, v39
	v_mul_f32_e32 v53, v43, v45
	s_delay_alu instid0(VALU_DEP_1) | instskip(NEXT) | instid1(VALU_DEP_1)
	v_mul_f32_e32 v48, v50, v53
	v_fma_f32 v46, v53, v50, -v48
	s_delay_alu instid0(VALU_DEP_1) | instskip(NEXT) | instid1(VALU_DEP_1)
	v_dual_fmac_f32 v46, v53, v52 :: v_dual_sub_f32 v50, v47, v45
	v_add_f32_e32 v44, v48, v46
	s_delay_alu instid0(VALU_DEP_1) | instskip(SKIP_1) | instid1(VALU_DEP_2)
	v_dual_add_f32 v39, v39, v50 :: v_dual_sub_f32 v49, v45, v44
	v_mov_b32_e32 v47, v44
	v_pk_add_f32 v[44:45], v[44:45], v[48:49] neg_lo:[0,1] neg_hi:[0,1]
	s_delay_alu instid0(VALU_DEP_1) | instskip(NEXT) | instid1(VALU_DEP_1)
	v_pk_add_f32 v[44:45], v[44:45], v[46:47] neg_lo:[0,1] neg_hi:[0,1]
	v_add_f32_e32 v39, v39, v45
	s_delay_alu instid0(VALU_DEP_1) | instskip(NEXT) | instid1(VALU_DEP_1)
	v_dual_add_f32 v50, v51, v53 :: v_dual_add_f32 v39, v44, v39
	v_sub_f32_e32 v44, v50, v51
	s_delay_alu instid0(VALU_DEP_2) | instskip(NEXT) | instid1(VALU_DEP_1)
	v_add_f32_e32 v39, v49, v39
	v_dual_sub_f32 v44, v53, v44 :: v_dual_mul_f32 v39, v43, v39
	s_delay_alu instid0(VALU_DEP_1) | instskip(SKIP_1) | instid1(VALU_DEP_2)
	v_add_f32_e32 v39, v44, v39
	v_cvt_f32_i32_e32 v44, v25
	v_add_f32_e32 v43, v50, v39
	s_delay_alu instid0(VALU_DEP_1) | instskip(NEXT) | instid1(VALU_DEP_1)
	v_mul_f32_e32 v46, v43, v43
	v_fmaak_f32 v47, s7, v46, 0x3ecc95a3
	v_mul_f32_e32 v45, v43, v46
	s_delay_alu instid0(VALU_DEP_2) | instskip(NEXT) | instid1(VALU_DEP_1)
	v_fmaak_f32 v25, v46, v47, 0x3f2aaada
	v_pk_mul_f32 v[46:47], v[44:45], v[24:25]
	v_sub_f32_e32 v25, v43, v50
	s_delay_alu instid0(VALU_DEP_2) | instskip(NEXT) | instid1(VALU_DEP_2)
	v_fma_f32 v48, 0x3f317218, v44, -v46
	v_sub_f32_e32 v25, v39, v25
	v_ldexp_f32 v49, v43, 1
	v_mov_b32_e32 v50, v46
	s_delay_alu instid0(VALU_DEP_4) | instskip(NEXT) | instid1(VALU_DEP_4)
	v_fmac_f32_e32 v48, 0xb102e308, v44
	v_ldexp_f32 v25, v25, 1
	s_delay_alu instid0(VALU_DEP_2) | instskip(NEXT) | instid1(VALU_DEP_1)
	v_pk_add_f32 v[44:45], v[46:47], v[48:49]
	v_dual_sub_f32 v39, v45, v49 :: v_dual_mov_b32 v49, v44
	s_delay_alu instid0(VALU_DEP_1) | instskip(SKIP_1) | instid1(VALU_DEP_2)
	v_dual_mov_b32 v58, v45 :: v_dual_sub_f32 v39, v47, v39
	v_pk_add_f32 v[46:47], v[44:45], v[46:47] neg_lo:[0,1] neg_hi:[0,1]
	v_add_f32_e32 v51, v25, v39
	s_delay_alu instid0(VALU_DEP_1) | instskip(NEXT) | instid1(VALU_DEP_1)
	v_pk_add_f32 v[52:53], v[44:45], v[50:51]
	v_mov_b32_e32 v47, v53
	s_delay_alu instid0(VALU_DEP_1) | instskip(SKIP_2) | instid1(VALU_DEP_3)
	v_pk_add_f32 v[54:55], v[48:49], v[46:47]
	v_mov_b32_e32 v54, v53
	v_pk_add_f32 v[46:47], v[48:49], v[46:47] neg_lo:[0,1] neg_hi:[0,1]
	v_mov_b32_e32 v50, v55
	s_delay_alu instid0(VALU_DEP_1) | instskip(NEXT) | instid1(VALU_DEP_1)
	v_pk_add_f32 v[56:57], v[50:51], v[44:45] neg_lo:[0,1] neg_hi:[0,1]
	v_dual_mov_b32 v45, v44 :: v_dual_mov_b32 v59, v56
	v_dual_mov_b32 v44, v51 :: v_dual_mov_b32 v25, v56
	s_delay_alu instid0(VALU_DEP_2) | instskip(NEXT) | instid1(VALU_DEP_2)
	v_pk_add_f32 v[56:57], v[54:55], v[58:59] neg_lo:[0,1] neg_hi:[0,1]
	v_pk_add_f32 v[48:49], v[52:53], v[24:25] neg_lo:[0,1] neg_hi:[0,1]
	v_mov_b32_e32 v48, v46
	s_delay_alu instid0(VALU_DEP_3) | instskip(NEXT) | instid1(VALU_DEP_1)
	v_pk_add_f32 v[44:45], v[44:45], v[56:57] neg_lo:[0,1] neg_hi:[0,1]
	v_pk_add_f32 v[48:49], v[48:49], v[44:45]
	s_delay_alu instid0(VALU_DEP_1) | instskip(NEXT) | instid1(VALU_DEP_1)
	v_mov_b32_e32 v52, v49
	v_pk_add_f32 v[52:53], v[48:49], v[52:53]
	s_delay_alu instid0(VALU_DEP_1) | instskip(NEXT) | instid1(VALU_DEP_1)
	v_pk_add_f32 v[50:51], v[50:51], v[52:53]
	v_dual_mov_b32 v47, v55 :: v_dual_mov_b32 v49, v50
	s_delay_alu instid0(VALU_DEP_1) | instskip(NEXT) | instid1(VALU_DEP_1)
	v_pk_add_f32 v[54:55], v[48:49], v[46:47] neg_lo:[0,1] neg_hi:[0,1]
	v_sub_f32_e32 v25, v48, v54
	s_delay_alu instid0(VALU_DEP_1) | instskip(NEXT) | instid1(VALU_DEP_1)
	v_dual_mov_b32 v45, v52 :: v_dual_sub_f32 v25, v46, v25
	v_pk_add_f32 v[44:45], v[44:45], v[54:55] neg_lo:[0,1] neg_hi:[0,1]
	s_delay_alu instid0(VALU_DEP_1) | instskip(NEXT) | instid1(VALU_DEP_1)
	v_add_f32_e32 v25, v44, v25
	v_add_f32_e32 v25, v25, v45
	s_delay_alu instid0(VALU_DEP_1) | instskip(NEXT) | instid1(VALU_DEP_1)
	v_add_f32_e32 v25, v50, v25
	v_cndmask_b32_e32 v25, 0x7f800000, v25, vcc_lo
	v_cmp_ngt_f32_e32 vcc_lo, -1.0, v38
	s_delay_alu instid0(VALU_DEP_2) | instskip(SKIP_1) | instid1(VALU_DEP_2)
	v_cndmask_b32_e32 v25, 0x7fc00000, v25, vcc_lo
	v_cmp_neq_f32_e32 vcc_lo, -1.0, v38
	v_cndmask_b32_e32 v25, 0xff800000, v25, vcc_lo
	v_cmp_gt_f32_e64 vcc_lo, 0x33800000, |v38|
	s_delay_alu instid0(VALU_DEP_2) | instskip(NEXT) | instid1(VALU_DEP_1)
	v_cndmask_b32_e32 v25, v25, v38, vcc_lo
	v_mul_f32_e32 v25, 0x3e800000, v25
	s_and_not1_saveexec_b32 s29, s29
	s_cbranch_execz .LBB74_125
	s_branch .LBB74_124
.LBB74_123:                             ;   in Loop: Header=BB74_4 Depth=1
	s_and_not1_saveexec_b32 s29, s29
	s_cbranch_execz .LBB74_125
.LBB74_124:                             ;   in Loop: Header=BB74_4 Depth=1
	v_cmp_gt_f32_e64 s30, 0x800000, |v34|
	s_delay_alu instid0(VALU_DEP_1) | instskip(NEXT) | instid1(VALU_DEP_1)
	v_cndmask_b32_e64 v25, 0, 32, s30
	v_ldexp_f32 v25, |v34|, v25
	s_delay_alu instid0(VALU_DEP_1) | instskip(SKIP_1) | instid1(TRANS32_DEP_1)
	v_log_f32_e32 v25, v25
	v_nop
	v_mul_f32_e32 v38, 0x3f317217, v25
	v_cmp_gt_f32_e64 vcc_lo, 0x7f800000, |v25|
	s_delay_alu instid0(VALU_DEP_2) | instskip(NEXT) | instid1(VALU_DEP_1)
	v_fma_f32 v38, 0x3f317217, v25, -v38
	v_fmac_f32_e32 v38, 0x3377d1cf, v25
	s_delay_alu instid0(VALU_DEP_1) | instskip(NEXT) | instid1(VALU_DEP_1)
	v_fmac_f32_e32 v38, 0x3f317217, v25
	v_cndmask_b32_e32 v25, v25, v38, vcc_lo
	v_cndmask_b32_e64 v38, 0, 0x41b17218, s30
	s_delay_alu instid0(VALU_DEP_1) | instskip(NEXT) | instid1(VALU_DEP_1)
	v_sub_f32_e32 v25, v25, v38
	v_sub_f32_e32 v25, 0x3f317218, v25
	s_delay_alu instid0(VALU_DEP_1)
	v_mul_f32_e32 v25, 0.5, v25
.LBB74_125:                             ;   in Loop: Header=BB74_4 Depth=1
	s_or_b32 exec_lo, exec_lo, s29
                                        ; implicit-def: $vgpr39
	s_and_saveexec_b32 s29, s28
	s_delay_alu instid0(SALU_CYCLE_1)
	s_xor_b32 s28, exec_lo, s29
	s_cbranch_execz .LBB74_131
; %bb.126:                              ;   in Loop: Header=BB74_4 Depth=1
	v_sub_f32_e64 v38, 1.0, |v35|
	v_add_f32_e64 v39, |v35|, 1.0
	v_add_f32_e64 v23, |v34|, |v34|
	s_delay_alu instid0(VALU_DEP_2) | instskip(NEXT) | instid1(VALU_DEP_2)
	v_mul_f32_e32 v38, v38, v39
	v_max_num_f32_e32 v43, v23, v23
                                        ; implicit-def: $vgpr39
	s_and_saveexec_b32 s29, s6
	s_delay_alu instid0(SALU_CYCLE_1)
	s_xor_b32 s29, exec_lo, s29
	s_cbranch_execz .LBB74_128
; %bb.127:                              ;   in Loop: Header=BB74_4 Depth=1
	v_fma_f32 v38, -v34, v34, v38
	s_delay_alu instid0(VALU_DEP_1) | instskip(SKIP_1) | instid1(VALU_DEP_2)
	v_max_num_f32_e64 v39, |v38|, v43
	v_min_num_f32_e64 v43, |v38|, v43
	v_frexp_mant_f32_e32 v44, v39
	v_frexp_exp_i32_f32_e32 v39, v39
	s_delay_alu instid0(VALU_DEP_3) | instskip(SKIP_1) | instid1(VALU_DEP_4)
	v_frexp_exp_i32_f32_e32 v45, v43
	v_frexp_mant_f32_e32 v43, v43
	v_rcp_f32_e32 v44, v44
	s_delay_alu instid0(VALU_DEP_2) | instskip(SKIP_3) | instid1(TRANS32_DEP_1)
	v_sub_nc_u32_e32 v39, v45, v39
	v_cmp_gt_f32_e64 vcc_lo, v23, |v38|
	v_cmp_gt_i32_e64 s6, 0, v38
	v_cmp_class_f32_e64 s30, v38, 0x204
	v_mul_f32_e32 v43, v43, v44
	s_delay_alu instid0(VALU_DEP_1) | instskip(NEXT) | instid1(VALU_DEP_1)
	v_ldexp_f32 v39, v43, v39
	v_mul_f32_e32 v43, v39, v39
	s_delay_alu instid0(VALU_DEP_1) | instskip(NEXT) | instid1(VALU_DEP_1)
	v_fmaak_f32 v44, s22, v43, 0xbc7a590c
	v_fmaak_f32 v44, v43, v44, 0x3d29fb3f
	s_delay_alu instid0(VALU_DEP_1) | instskip(NEXT) | instid1(VALU_DEP_1)
	v_fmaak_f32 v44, v43, v44, 0xbd97d4d7
	v_fmaak_f32 v44, v43, v44, 0x3dd931b2
	;; [unrolled: 3-line block ×3, first 2 shown]
	s_delay_alu instid0(VALU_DEP_1) | instskip(NEXT) | instid1(VALU_DEP_1)
	v_fmaak_f32 v44, v43, v44, 0xbeaaaa62
	v_mul_f32_e32 v43, v43, v44
	s_delay_alu instid0(VALU_DEP_1) | instskip(NEXT) | instid1(VALU_DEP_1)
	v_fmac_f32_e32 v39, v39, v43
	v_sub_f32_e32 v43, 0x3fc90fdb, v39
	s_delay_alu instid0(VALU_DEP_1) | instskip(SKIP_1) | instid1(VALU_DEP_2)
	v_cndmask_b32_e32 v39, v39, v43, vcc_lo
	v_cmp_gt_f32_e32 vcc_lo, 0, v38
	v_sub_f32_e32 v43, 0x40490fdb, v39
	v_cndmask_b32_e32 v44, 0x3f490fdb, v42, vcc_lo
	s_delay_alu instid0(VALU_DEP_2) | instskip(SKIP_3) | instid1(VALU_DEP_2)
	v_cndmask_b32_e32 v39, v39, v43, vcc_lo
	v_cndmask_b32_e64 v43, 0, 0x40490fdb, s6
	v_cmp_eq_f32_e64 s6, 0, v23
	v_cmp_eq_f32_e32 vcc_lo, 0x7f800000, v23
	v_cndmask_b32_e64 v23, |v39|, v43, s6
	s_and_b32 vcc_lo, vcc_lo, s30
                                        ; implicit-def: $vgpr43
	s_delay_alu instid0(VALU_DEP_1) | instskip(SKIP_1) | instid1(VALU_DEP_2)
	v_cndmask_b32_e32 v23, v23, v44, vcc_lo
	v_cmp_o_f32_e32 vcc_lo, v38, v38
                                        ; implicit-def: $vgpr38
	v_cndmask_b32_e32 v39, 0x7fc00000, v23, vcc_lo
                                        ; implicit-def: $vgpr23
.LBB74_128:                             ;   in Loop: Header=BB74_4 Depth=1
	s_and_not1_saveexec_b32 s29, s29
	s_cbranch_execz .LBB74_130
; %bb.129:                              ;   in Loop: Header=BB74_4 Depth=1
	v_max_num_f32_e64 v39, |v38|, |v38|
	v_cmp_gt_f32_e64 vcc_lo, v23, |v38|
	v_cmp_gt_i32_e64 s6, 0, v38
	v_cmp_class_f32_e64 s30, v38, 0x204
	s_delay_alu instid0(VALU_DEP_4) | instskip(NEXT) | instid1(VALU_DEP_1)
	v_dual_max_num_f32 v44, v39, v43 :: v_dual_min_num_f32 v39, v39, v43
	v_frexp_mant_f32_e32 v45, v44
	v_frexp_exp_i32_f32_e32 v43, v44
	s_delay_alu instid0(VALU_DEP_2)
	v_rcp_f32_e32 v44, v45
	v_nop
	v_frexp_exp_i32_f32_e32 v45, v39
	v_frexp_mant_f32_e32 v39, v39
	s_delay_alu instid0(TRANS32_DEP_1) | instid1(VALU_DEP_1)
	v_dual_sub_nc_u32 v43, v45, v43 :: v_dual_mul_f32 v39, v39, v44
	s_delay_alu instid0(VALU_DEP_1) | instskip(NEXT) | instid1(VALU_DEP_1)
	v_ldexp_f32 v39, v39, v43
	v_mul_f32_e32 v43, v39, v39
	s_delay_alu instid0(VALU_DEP_1) | instskip(NEXT) | instid1(VALU_DEP_1)
	v_fmaak_f32 v44, s22, v43, 0xbc7a590c
	v_fmaak_f32 v44, v43, v44, 0x3d29fb3f
	s_delay_alu instid0(VALU_DEP_1) | instskip(NEXT) | instid1(VALU_DEP_1)
	v_fmaak_f32 v44, v43, v44, 0xbd97d4d7
	v_fmaak_f32 v44, v43, v44, 0x3dd931b2
	;; [unrolled: 3-line block ×3, first 2 shown]
	s_delay_alu instid0(VALU_DEP_1) | instskip(NEXT) | instid1(VALU_DEP_1)
	v_fmaak_f32 v44, v43, v44, 0xbeaaaa62
	v_mul_f32_e32 v43, v43, v44
	s_delay_alu instid0(VALU_DEP_1) | instskip(NEXT) | instid1(VALU_DEP_1)
	v_fmac_f32_e32 v39, v39, v43
	v_sub_f32_e32 v43, 0x3fc90fdb, v39
	s_delay_alu instid0(VALU_DEP_1) | instskip(SKIP_1) | instid1(VALU_DEP_2)
	v_cndmask_b32_e32 v39, v39, v43, vcc_lo
	v_cmp_gt_f32_e32 vcc_lo, 0, v38
	v_sub_f32_e32 v43, 0x40490fdb, v39
	v_cndmask_b32_e32 v44, 0x3f490fdb, v42, vcc_lo
	s_delay_alu instid0(VALU_DEP_2) | instskip(SKIP_3) | instid1(VALU_DEP_2)
	v_cndmask_b32_e32 v39, v39, v43, vcc_lo
	v_cndmask_b32_e64 v43, 0, 0x40490fdb, s6
	v_cmp_eq_f32_e64 s6, 0, v23
	v_cmp_eq_f32_e32 vcc_lo, 0x7f800000, v23
	v_cndmask_b32_e64 v23, |v39|, v43, s6
	s_and_b32 vcc_lo, vcc_lo, s30
	s_delay_alu instid0(VALU_DEP_1) | instskip(SKIP_1) | instid1(VALU_DEP_2)
	v_cndmask_b32_e32 v23, v23, v44, vcc_lo
	v_cmp_o_f32_e32 vcc_lo, v38, v38
	v_cndmask_b32_e32 v39, 0x7fc00000, v23, vcc_lo
.LBB74_130:                             ;   in Loop: Header=BB74_4 Depth=1
	s_or_b32 exec_lo, exec_lo, s29
                                        ; implicit-def: $vgpr23
	s_and_not1_saveexec_b32 s6, s28
	s_cbranch_execnz .LBB74_132
	s_branch .LBB74_133
.LBB74_131:                             ;   in Loop: Header=BB74_4 Depth=1
	s_and_not1_saveexec_b32 s6, s28
	s_cbranch_execz .LBB74_133
.LBB74_132:                             ;   in Loop: Header=BB74_4 Depth=1
	v_dual_max_num_f32 v38, 2.0, v23 :: v_dual_min_num_f32 v23, 2.0, v23
	v_cmp_lt_f32_e64 vcc_lo, |v34|, 2.0
	s_delay_alu instid0(VALU_DEP_2) | instskip(SKIP_1) | instid1(VALU_DEP_4)
	v_frexp_mant_f32_e32 v39, v38
	v_frexp_exp_i32_f32_e32 v38, v38
	v_frexp_mant_f32_e32 v43, v23
	v_frexp_exp_i32_f32_e32 v23, v23
	s_delay_alu instid0(VALU_DEP_4) | instskip(NEXT) | instid1(VALU_DEP_1)
	v_rcp_f32_e32 v39, v39
	v_sub_nc_u32_e32 v23, v23, v38
	s_delay_alu instid0(TRANS32_DEP_1) | instskip(NEXT) | instid1(VALU_DEP_1)
	v_mul_f32_e32 v39, v43, v39
	v_ldexp_f32 v23, v39, v23
	s_delay_alu instid0(VALU_DEP_1) | instskip(NEXT) | instid1(VALU_DEP_1)
	v_mul_f32_e32 v38, v23, v23
	v_fmaak_f32 v39, s22, v38, 0xbc7a590c
	s_delay_alu instid0(VALU_DEP_1) | instskip(NEXT) | instid1(VALU_DEP_1)
	v_fmaak_f32 v39, v38, v39, 0x3d29fb3f
	v_fmaak_f32 v39, v38, v39, 0xbd97d4d7
	s_delay_alu instid0(VALU_DEP_1) | instskip(NEXT) | instid1(VALU_DEP_1)
	v_fmaak_f32 v39, v38, v39, 0x3dd931b2
	;; [unrolled: 3-line block ×3, first 2 shown]
	v_fmaak_f32 v39, v38, v39, 0xbeaaaa62
	s_delay_alu instid0(VALU_DEP_1) | instskip(NEXT) | instid1(VALU_DEP_1)
	v_mul_f32_e32 v38, v38, v39
	v_fmac_f32_e32 v23, v23, v38
	s_delay_alu instid0(VALU_DEP_1) | instskip(NEXT) | instid1(VALU_DEP_1)
	v_sub_f32_e32 v38, 0x3fc90fdb, v23
	v_cndmask_b32_e32 v23, v23, v38, vcc_lo
	v_cmp_lg_f32_e32 vcc_lo, 0, v34
	s_delay_alu instid0(VALU_DEP_2) | instskip(NEXT) | instid1(VALU_DEP_1)
	v_sub_f32_e32 v38, 0x40490fdb, v23
	v_cndmask_b32_e32 v23, v23, v38, vcc_lo
	s_delay_alu instid0(VALU_DEP_1)
	v_and_b32_e32 v39, 0x7fffffff, v23
.LBB74_133:                             ;   in Loop: Header=BB74_4 Depth=1
	s_or_b32 exec_lo, exec_lo, s6
	s_delay_alu instid0(VALU_DEP_1) | instskip(SKIP_1) | instid1(VALU_DEP_2)
	v_mul_f32_e32 v23, 0.5, v39
	v_bfi_b32 v39, 0x7fffffff, v25, v35
	v_bfi_b32 v38, 0x7fffffff, v23, v34
                                        ; implicit-def: $vgpr35
.LBB74_134:                             ;   in Loop: Header=BB74_4 Depth=1
	s_and_not1_saveexec_b32 s6, s27
	s_cbranch_execz .LBB74_136
; %bb.135:                              ;   in Loop: Header=BB74_4 Depth=1
	flat_store_b32 v[8:9], v41 scope:SCOPE_SYS
	s_wait_storecnt 0x0
	flat_load_b32 v23, v[8:9] scope:SCOPE_SYS
	s_wait_loadcnt 0x0
	v_dual_mov_b32 v38, v34 :: v_dual_mov_b32 v39, v35
	s_wait_dscnt 0x0
	v_add_f32_e32 v23, 1.0, v23
	flat_store_b32 v[14:15], v23 scope:SCOPE_SYS
	s_wait_storecnt 0x0
	flat_load_b32 v23, v[14:15] scope:SCOPE_SYS
	s_wait_loadcnt 0x0
.LBB74_136:                             ;   in Loop: Header=BB74_4 Depth=1
	s_wait_xcnt 0x0
	s_or_b32 exec_lo, exec_lo, s6
                                        ; implicit-def: $vgpr34
.LBB74_137:                             ;   in Loop: Header=BB74_4 Depth=1
	s_and_not1_saveexec_b32 s6, s26
	s_cbranch_execz .LBB74_151
; %bb.138:                              ;   in Loop: Header=BB74_4 Depth=1
	s_wait_dscnt 0x0
	v_and_b32_e32 v23, 0x7f800000, v35
	v_and_b32_e32 v25, 0x7f800000, v34
	v_cmp_neq_f32_e64 s26, 0x7f800000, |v35|
                                        ; implicit-def: $vgpr39
	s_delay_alu instid0(VALU_DEP_2) | instskip(NEXT) | instid1(VALU_DEP_1)
	v_sub_nc_u32_e32 v38, v23, v25
	v_cmp_gt_i32_e32 vcc_lo, 0x6800000, v38
	s_and_b32 s26, s26, vcc_lo
	s_delay_alu instid0(SALU_CYCLE_1) | instskip(NEXT) | instid1(SALU_CYCLE_1)
	s_and_saveexec_b32 s27, s26
	s_xor_b32 s26, exec_lo, s27
	s_cbranch_execz .LBB74_148
; %bb.139:                              ;   in Loop: Header=BB74_4 Depth=1
	v_sub_nc_u32_e32 v25, v25, v23
	s_mov_b32 s27, exec_lo
                                        ; implicit-def: $vgpr39
	s_delay_alu instid0(VALU_DEP_1)
	v_cmpx_gt_i32_e32 0x6800000, v25
	s_xor_b32 s27, exec_lo, s27
	s_cbranch_execz .LBB74_145
; %bb.140:                              ;   in Loop: Header=BB74_4 Depth=1
	s_mov_b32 s28, exec_lo
                                        ; implicit-def: $vgpr39
	v_cmpx_lt_u32_e32 0x59000000, v23
	s_xor_b32 s28, exec_lo, s28
	s_cbranch_execz .LBB74_142
; %bb.141:                              ;   in Loop: Header=BB74_4 Depth=1
	v_sub_nc_u32_e32 v38, 0x7f800000, v23
	s_delay_alu instid0(VALU_DEP_1) | instskip(NEXT) | instid1(VALU_DEP_1)
	v_pk_mul_f32 v[44:45], v[34:35], v[38:39] op_sel_hi:[1,0]
	v_pk_mul_f32 v[46:47], v[44:45], v[44:45]
	s_delay_alu instid0(VALU_DEP_1) | instskip(NEXT) | instid1(VALU_DEP_1)
	v_add_f32_e32 v23, v47, v46
	v_div_scale_f32 v25, null, v23, v23, v45
	s_delay_alu instid0(VALU_DEP_1) | instskip(SKIP_1) | instid1(TRANS32_DEP_1)
	v_rcp_f32_e32 v35, v25
	v_nop
	v_fma_f32 v39, -v25, v35, 1.0
	s_delay_alu instid0(VALU_DEP_1) | instskip(SKIP_1) | instid1(VALU_DEP_1)
	v_fmac_f32_e32 v35, v39, v35
	v_div_scale_f32 v39, vcc_lo, v45, v23, v45
	v_mul_f32_e32 v43, v39, v35
	s_delay_alu instid0(VALU_DEP_1) | instskip(NEXT) | instid1(VALU_DEP_1)
	v_fma_f32 v44, -v25, v43, v39
	v_fmac_f32_e32 v43, v44, v35
	s_delay_alu instid0(VALU_DEP_1) | instskip(NEXT) | instid1(VALU_DEP_1)
	v_fma_f32 v25, -v25, v43, v39
	v_div_fmas_f32 v25, v25, v35, v43
	s_delay_alu instid0(VALU_DEP_1) | instskip(NEXT) | instid1(VALU_DEP_1)
	v_div_fixup_f32 v23, v25, v23, v45
	v_mul_f32_e32 v39, v23, v38
.LBB74_142:                             ;   in Loop: Header=BB74_4 Depth=1
	s_and_not1_saveexec_b32 s28, s28
	s_cbranch_execz .LBB74_144
; %bb.143:                              ;   in Loop: Header=BB74_4 Depth=1
	v_pk_mul_f32 v[38:39], v[34:35], v[34:35]
	s_delay_alu instid0(VALU_DEP_1) | instskip(NEXT) | instid1(VALU_DEP_1)
	v_add_f32_e32 v23, v39, v38
	v_div_scale_f32 v25, null, v23, v23, v35
	s_delay_alu instid0(VALU_DEP_1) | instskip(SKIP_1) | instid1(TRANS32_DEP_1)
	v_rcp_f32_e32 v38, v25
	v_nop
	v_fma_f32 v39, -v25, v38, 1.0
	s_delay_alu instid0(VALU_DEP_1) | instskip(SKIP_1) | instid1(VALU_DEP_1)
	v_fmac_f32_e32 v38, v39, v38
	v_div_scale_f32 v39, vcc_lo, v35, v23, v35
	v_mul_f32_e32 v43, v39, v38
	s_delay_alu instid0(VALU_DEP_1) | instskip(NEXT) | instid1(VALU_DEP_1)
	v_fma_f32 v44, -v25, v43, v39
	v_fmac_f32_e32 v43, v44, v38
	s_delay_alu instid0(VALU_DEP_1) | instskip(NEXT) | instid1(VALU_DEP_1)
	v_fma_f32 v25, -v25, v43, v39
	v_div_fmas_f32 v25, v25, v38, v43
	s_delay_alu instid0(VALU_DEP_1)
	v_div_fixup_f32 v39, v25, v23, v35
.LBB74_144:                             ;   in Loop: Header=BB74_4 Depth=1
	s_or_b32 exec_lo, exec_lo, s28
.LBB74_145:                             ;   in Loop: Header=BB74_4 Depth=1
	s_and_not1_saveexec_b32 s27, s27
	s_cbranch_execz .LBB74_147
; %bb.146:                              ;   in Loop: Header=BB74_4 Depth=1
	v_div_scale_f32 v23, null, v34, v34, v35
	v_div_scale_f32 v39, vcc_lo, v35, v34, v35
	s_delay_alu instid0(VALU_DEP_2) | instskip(SKIP_1) | instid1(TRANS32_DEP_1)
	v_rcp_f32_e32 v25, v23
	v_nop
	v_fma_f32 v38, -v23, v25, 1.0
	s_delay_alu instid0(VALU_DEP_1) | instskip(NEXT) | instid1(VALU_DEP_1)
	v_fmac_f32_e32 v25, v38, v25
	v_mul_f32_e32 v38, v39, v25
	s_delay_alu instid0(VALU_DEP_1) | instskip(NEXT) | instid1(VALU_DEP_1)
	v_fma_f32 v43, -v23, v38, v39
	v_fmac_f32_e32 v38, v43, v25
	s_delay_alu instid0(VALU_DEP_1) | instskip(NEXT) | instid1(VALU_DEP_1)
	v_fma_f32 v23, -v23, v38, v39
	v_div_fmas_f32 v23, v23, v25, v38
	s_delay_alu instid0(VALU_DEP_1) | instskip(NEXT) | instid1(VALU_DEP_1)
	v_div_fixup_f32 v23, v23, v34, v35
	v_div_scale_f32 v25, null, v34, v34, v23
	s_delay_alu instid0(VALU_DEP_1) | instskip(SKIP_1) | instid1(TRANS32_DEP_1)
	v_rcp_f32_e32 v35, v25
	v_nop
	v_fma_f32 v38, -v25, v35, 1.0
	s_delay_alu instid0(VALU_DEP_1) | instskip(SKIP_1) | instid1(VALU_DEP_1)
	v_fmac_f32_e32 v35, v38, v35
	v_div_scale_f32 v38, vcc_lo, v23, v34, v23
	v_mul_f32_e32 v39, v38, v35
	s_delay_alu instid0(VALU_DEP_1) | instskip(NEXT) | instid1(VALU_DEP_1)
	v_fma_f32 v43, -v25, v39, v38
	v_fmac_f32_e32 v39, v43, v35
	s_delay_alu instid0(VALU_DEP_1) | instskip(NEXT) | instid1(VALU_DEP_1)
	v_fma_f32 v25, -v25, v39, v38
	v_div_fmas_f32 v25, v25, v35, v39
	s_delay_alu instid0(VALU_DEP_1)
	v_div_fixup_f32 v39, v25, v34, v23
.LBB74_147:                             ;   in Loop: Header=BB74_4 Depth=1
	s_or_b32 exec_lo, exec_lo, s27
.LBB74_148:                             ;   in Loop: Header=BB74_4 Depth=1
	s_and_not1_saveexec_b32 s26, s26
	s_cbranch_execz .LBB74_150
; %bb.149:                              ;   in Loop: Header=BB74_4 Depth=1
	v_div_scale_f32 v23, null, v35, v35, 1.0
	s_delay_alu instid0(VALU_DEP_1) | instskip(SKIP_1) | instid1(TRANS32_DEP_1)
	v_rcp_f32_e32 v25, v23
	v_nop
	v_fma_f32 v38, -v23, v25, 1.0
	s_delay_alu instid0(VALU_DEP_1) | instskip(SKIP_1) | instid1(VALU_DEP_1)
	v_fmac_f32_e32 v25, v38, v25
	v_div_scale_f32 v38, vcc_lo, 1.0, v35, 1.0
	v_mul_f32_e32 v39, v38, v25
	s_delay_alu instid0(VALU_DEP_1) | instskip(NEXT) | instid1(VALU_DEP_1)
	v_fma_f32 v43, -v23, v39, v38
	v_fmac_f32_e32 v39, v43, v25
	s_delay_alu instid0(VALU_DEP_1) | instskip(NEXT) | instid1(VALU_DEP_1)
	v_fma_f32 v23, -v23, v39, v38
	v_div_fmas_f32 v23, v23, v25, v39
	s_delay_alu instid0(VALU_DEP_1)
	v_div_fixup_f32 v39, v23, v35, 1.0
.LBB74_150:                             ;   in Loop: Header=BB74_4 Depth=1
	s_or_b32 exec_lo, exec_lo, s26
	flat_load_b32 v23, v[6:7] scope:SCOPE_SYS
	s_wait_loadcnt_dscnt 0x0
	v_add_f32_e32 v23, 0x3fc90fdb, v23
	s_delay_alu instid0(VALU_DEP_1)
	v_bfi_b32 v38, 0x7fffffff, v23, v34
.LBB74_151:                             ;   in Loop: Header=BB74_4 Depth=1
	s_or_b32 exec_lo, exec_lo, s6
                                        ; implicit-def: $vgpr35
.LBB74_152:                             ;   in Loop: Header=BB74_4 Depth=1
	s_and_not1_saveexec_b32 s6, s25
	s_cbranch_execz .LBB74_162
; %bb.153:                              ;   in Loop: Header=BB74_4 Depth=1
	v_cmp_neq_f32_e64 s25, 0x7f800000, |v35|
                                        ; implicit-def: $vgpr39
	s_and_saveexec_b32 s26, s25
	s_delay_alu instid0(SALU_CYCLE_1)
	s_xor_b32 s25, exec_lo, s26
	s_cbranch_execz .LBB74_159
; %bb.154:                              ;   in Loop: Header=BB74_4 Depth=1
	v_cmp_neq_f32_e64 s26, 0x7f800000, |v34|
                                        ; implicit-def: $vgpr39
	s_and_saveexec_b32 s27, s26
	s_delay_alu instid0(SALU_CYCLE_1)
	s_xor_b32 s26, exec_lo, s27
	s_cbranch_execz .LBB74_156
; %bb.155:                              ;   in Loop: Header=BB74_4 Depth=1
	s_wait_dscnt 0x0
	v_add_f32_e32 v23, 0, v34
	s_delay_alu instid0(VALU_DEP_1)
	v_add_f32_e32 v39, v35, v23
                                        ; implicit-def: $vgpr34_vgpr35
.LBB74_156:                             ;   in Loop: Header=BB74_4 Depth=1
	s_or_saveexec_b32 s26, s26
	s_delay_alu instid0(VALU_DEP_1)
	v_mov_b32_e32 v38, v39
	s_xor_b32 exec_lo, exec_lo, s26
	s_cbranch_execz .LBB74_158
; %bb.157:                              ;   in Loop: Header=BB74_4 Depth=1
	s_wait_dscnt 0x0
	flat_load_b32 v23, v[6:7] scope:SCOPE_SYS
	s_wait_loadcnt 0x0
	v_bfi_b32 v39, 0x7fffffff, 0, v35
	s_wait_dscnt 0x0
	v_add_f32_e32 v23, 0x3fc90fdb, v23
	s_delay_alu instid0(VALU_DEP_1)
	v_bfi_b32 v38, 0x7fffffff, v23, v34
.LBB74_158:                             ;   in Loop: Header=BB74_4 Depth=1
	s_wait_xcnt 0x0
	s_or_b32 exec_lo, exec_lo, s26
                                        ; implicit-def: $vgpr35
.LBB74_159:                             ;   in Loop: Header=BB74_4 Depth=1
	s_and_not1_saveexec_b32 s25, s25
; %bb.160:                              ;   in Loop: Header=BB74_4 Depth=1
	v_bfi_b32 v39, 0x7fffffff, 0, v35
	v_add_f32_e32 v38, v34, v34
; %bb.161:                              ;   in Loop: Header=BB74_4 Depth=1
	s_or_b32 exec_lo, exec_lo, s25
.LBB74_162:                             ;   in Loop: Header=BB74_4 Depth=1
	s_delay_alu instid0(SALU_CYCLE_1)
	s_or_b32 exec_lo, exec_lo, s6
                                        ; implicit-def: $vgpr34
.LBB74_163:                             ;   in Loop: Header=BB74_4 Depth=1
	s_and_not1_saveexec_b32 s6, s24
	s_cbranch_execz .LBB74_165
; %bb.164:                              ;   in Loop: Header=BB74_4 Depth=1
	s_wait_dscnt 0x0
	v_rcp_f32_e64 v23, |v34|
	v_cmp_gt_f32_e64 vcc_lo, |v34|, 1.0
	v_mov_b32_e32 v39, v35
	s_delay_alu instid0(TRANS32_DEP_1) | instid1(VALU_DEP_2)
	v_cndmask_b32_e64 v23, |v34|, v23, vcc_lo
	s_delay_alu instid0(VALU_DEP_1) | instskip(NEXT) | instid1(VALU_DEP_1)
	v_mul_f32_e32 v25, v23, v23
	v_fmaak_f32 v38, s22, v25, 0xbc7a590c
	s_delay_alu instid0(VALU_DEP_1) | instskip(NEXT) | instid1(VALU_DEP_1)
	v_fmaak_f32 v38, v25, v38, 0x3d29fb3f
	v_fmaak_f32 v38, v25, v38, 0xbd97d4d7
	s_delay_alu instid0(VALU_DEP_1) | instskip(NEXT) | instid1(VALU_DEP_1)
	v_fmaak_f32 v38, v25, v38, 0x3dd931b2
	;; [unrolled: 3-line block ×3, first 2 shown]
	v_fmaak_f32 v38, v25, v38, 0xbeaaaa62
	s_delay_alu instid0(VALU_DEP_1) | instskip(NEXT) | instid1(VALU_DEP_1)
	v_mul_f32_e32 v25, v25, v38
	v_fmac_f32_e32 v23, v23, v25
	s_delay_alu instid0(VALU_DEP_1) | instskip(NEXT) | instid1(VALU_DEP_1)
	v_sub_f32_e32 v25, 0x3fc90fdb, v23
	v_cndmask_b32_e32 v23, v23, v25, vcc_lo
	s_delay_alu instid0(VALU_DEP_1)
	v_bfi_b32 v38, 0x7fffffff, v23, v34
.LBB74_165:                             ;   in Loop: Header=BB74_4 Depth=1
	s_or_b32 exec_lo, exec_lo, s6
                                        ; implicit-def: $vgpr35
.LBB74_166:                             ;   in Loop: Header=BB74_4 Depth=1
	s_and_not1_saveexec_b32 s6, s23
	s_cbranch_execz .LBB74_168
; %bb.167:                              ;   in Loop: Header=BB74_4 Depth=1
	s_wait_dscnt 0x0
	v_sub_f32_e64 v23, 1.0, |v35|
	v_add_f32_e64 v38, |v35|, 1.0
	v_and_b32_e32 v46, 0x7fffffff, v35
	v_cmp_gt_f32_e64 s23, 0x39800000, |v35|
	s_delay_alu instid0(VALU_DEP_4) | instskip(SKIP_1) | instid1(VALU_DEP_1)
	v_rcp_f32_e32 v25, v23
	v_sub_f32_e32 v44, 1.0, v23
	v_sub_f32_e64 v44, v44, |v35|
	s_delay_alu instid0(TRANS32_DEP_1) | instskip(NEXT) | instid1(VALU_DEP_1)
	v_mul_f32_e32 v43, v38, v25
	v_mul_f32_e32 v39, v23, v43
	s_delay_alu instid0(VALU_DEP_1) | instskip(NEXT) | instid1(VALU_DEP_1)
	v_fma_f32 v23, v43, v23, -v39
	v_fmac_f32_e32 v23, v43, v44
	s_delay_alu instid0(VALU_DEP_1) | instskip(NEXT) | instid1(VALU_DEP_1)
	v_pk_add_f32 v[44:45], v[38:39], v[22:23]
	v_dual_sub_f32 v48, v38, v45 :: v_dual_sub_f32 v39, v45, v39
	s_delay_alu instid0(VALU_DEP_1) | instskip(NEXT) | instid1(VALU_DEP_1)
	v_dual_sub_f32 v47, v38, v48 :: v_dual_sub_f32 v23, v39, v23
	v_pk_add_f32 v[38:39], v[46:47], v[44:45] neg_lo:[0,1] neg_hi:[0,1]
	s_delay_alu instid0(VALU_DEP_1) | instskip(NEXT) | instid1(VALU_DEP_1)
	v_add_f32_e32 v23, v23, v39
	v_add_f32_e32 v23, v38, v23
	s_delay_alu instid0(VALU_DEP_1) | instskip(NEXT) | instid1(VALU_DEP_1)
	v_add_f32_e32 v23, v48, v23
	v_mul_f32_e32 v23, v25, v23
	s_delay_alu instid0(VALU_DEP_1) | instskip(NEXT) | instid1(VALU_DEP_1)
	v_add_f32_e32 v25, v43, v23
	v_cvt_f64_f32_e32 v[38:39], v25
	s_delay_alu instid0(VALU_DEP_1) | instskip(SKIP_1) | instid1(VALU_DEP_1)
	v_frexp_exp_i32_f64_e32 v38, v[38:39]
	v_frexp_mant_f32_e32 v39, v25
	v_cmp_gt_f32_e32 vcc_lo, 0x3f2aaaab, v39
	s_delay_alu instid0(VALU_DEP_3) | instskip(SKIP_1) | instid1(VALU_DEP_2)
	v_subrev_co_ci_u32_e64 v48, null, 0, v38, vcc_lo
	v_cmp_neq_f32_e64 vcc_lo, |v35|, 1.0
	v_sub_nc_u32_e32 v38, 0, v48
	s_delay_alu instid0(VALU_DEP_1) | instskip(SKIP_1) | instid1(VALU_DEP_1)
	v_ldexp_f32 v39, v25, v38
	v_sub_f32_e32 v25, v25, v43
	v_dual_add_f32 v43, 1.0, v39 :: v_dual_sub_f32 v23, v23, v25
	s_delay_alu instid0(VALU_DEP_1) | instskip(NEXT) | instid1(VALU_DEP_2)
	v_add_f32_e32 v25, -1.0, v43
	v_ldexp_f32 v23, v23, v38
	s_delay_alu instid0(VALU_DEP_2) | instskip(NEXT) | instid1(VALU_DEP_1)
	v_dual_sub_f32 v25, v39, v25 :: v_dual_add_f32 v47, -1.0, v39
	v_add_f32_e32 v25, v23, v25
	s_delay_alu instid0(VALU_DEP_1) | instskip(NEXT) | instid1(VALU_DEP_1)
	v_add_f32_e32 v49, v43, v25
	v_rcp_f32_e32 v50, v49
	s_delay_alu instid0(VALU_DEP_3) | instskip(NEXT) | instid1(VALU_DEP_1)
	v_add_f32_e32 v38, 1.0, v47
	v_sub_f32_e32 v38, v39, v38
	s_delay_alu instid0(VALU_DEP_1) | instskip(NEXT) | instid1(VALU_DEP_1)
	v_dual_add_f32 v23, v23, v38 :: v_dual_sub_f32 v38, v49, v43
	v_dual_add_f32 v39, v47, v23 :: v_dual_sub_f32 v25, v25, v38
	s_delay_alu instid0(TRANS32_DEP_1) | instid1(VALU_DEP_1)
	v_dual_mul_f32 v51, v39, v50 :: v_dual_sub_f32 v43, v39, v47
	s_delay_alu instid0(VALU_DEP_1) | instskip(NEXT) | instid1(VALU_DEP_2)
	v_mul_f32_e32 v44, v49, v51
	v_sub_f32_e32 v23, v23, v43
	s_delay_alu instid0(VALU_DEP_2) | instskip(NEXT) | instid1(VALU_DEP_1)
	v_fma_f32 v46, v51, v49, -v44
	v_fmac_f32_e32 v46, v51, v25
	s_delay_alu instid0(VALU_DEP_1) | instskip(NEXT) | instid1(VALU_DEP_1)
	v_add_f32_e32 v38, v44, v46
	v_dual_sub_f32 v45, v39, v38 :: v_dual_mov_b32 v47, v38
	s_delay_alu instid0(VALU_DEP_1) | instskip(NEXT) | instid1(VALU_DEP_1)
	v_pk_add_f32 v[38:39], v[38:39], v[44:45] neg_lo:[0,1] neg_hi:[0,1]
	v_pk_add_f32 v[38:39], v[38:39], v[46:47] neg_lo:[0,1] neg_hi:[0,1]
	s_delay_alu instid0(VALU_DEP_1) | instskip(NEXT) | instid1(VALU_DEP_1)
	v_add_f32_e32 v23, v23, v39
	v_add_f32_e32 v23, v38, v23
	s_delay_alu instid0(VALU_DEP_1) | instskip(NEXT) | instid1(VALU_DEP_1)
	v_add_f32_e32 v39, v45, v23
	v_mul_f32_e32 v43, v50, v39
	s_delay_alu instid0(VALU_DEP_1) | instskip(NEXT) | instid1(VALU_DEP_1)
	v_mul_f32_e32 v46, v49, v43
	v_fma_f32 v44, v43, v49, -v46
	s_delay_alu instid0(VALU_DEP_1) | instskip(NEXT) | instid1(VALU_DEP_1)
	v_dual_fmac_f32 v44, v43, v25 :: v_dual_sub_f32 v25, v45, v39
	v_dual_add_f32 v38, v46, v44 :: v_dual_add_f32 v23, v23, v25
	s_delay_alu instid0(VALU_DEP_1) | instskip(NEXT) | instid1(VALU_DEP_1)
	v_dual_mov_b32 v45, v38 :: v_dual_sub_f32 v47, v39, v38
	v_pk_add_f32 v[38:39], v[38:39], v[46:47] neg_lo:[0,1] neg_hi:[0,1]
	s_delay_alu instid0(VALU_DEP_1) | instskip(NEXT) | instid1(VALU_DEP_1)
	v_pk_add_f32 v[38:39], v[38:39], v[44:45] neg_lo:[0,1] neg_hi:[0,1]
	v_add_f32_e32 v23, v23, v39
	s_delay_alu instid0(VALU_DEP_1) | instskip(SKIP_2) | instid1(VALU_DEP_1)
	v_add_f32_e32 v23, v38, v23
	v_cvt_f32_i32_e32 v38, v48
	v_add_f32_e32 v49, v51, v43
	v_sub_f32_e32 v25, v49, v51
	s_delay_alu instid0(VALU_DEP_1) | instskip(SKIP_1) | instid1(VALU_DEP_1)
	v_sub_f32_e32 v25, v43, v25
	v_add_f32_e32 v23, v47, v23
	v_mul_f32_e32 v23, v50, v23
	s_delay_alu instid0(VALU_DEP_1) | instskip(NEXT) | instid1(VALU_DEP_1)
	v_add_f32_e32 v23, v25, v23
	v_add_f32_e32 v43, v49, v23
	s_delay_alu instid0(VALU_DEP_1) | instskip(NEXT) | instid1(VALU_DEP_1)
	v_mul_f32_e32 v25, v43, v43
	v_dual_fmaak_f32 v44, s7, v25, 0x3ecc95a3 :: v_dual_mul_f32 v39, v43, v25
	s_delay_alu instid0(VALU_DEP_1) | instskip(NEXT) | instid1(VALU_DEP_1)
	v_fmaak_f32 v25, v25, v44, 0x3f2aaada
	v_pk_mul_f32 v[44:45], v[38:39], v[24:25]
	s_delay_alu instid0(VALU_DEP_1) | instskip(SKIP_1) | instid1(VALU_DEP_2)
	v_fma_f32 v46, 0x3f317218, v38, -v44
	v_mov_b32_e32 v48, v44
	v_dual_fmac_f32 v46, 0xb102e308, v38 :: v_dual_sub_f32 v25, v43, v49
	s_delay_alu instid0(VALU_DEP_1) | instskip(SKIP_1) | instid1(VALU_DEP_2)
	v_sub_f32_e32 v23, v23, v25
	v_ldexp_f32 v47, v43, 1
	v_ldexp_f32 v23, v23, 1
	s_delay_alu instid0(VALU_DEP_2) | instskip(NEXT) | instid1(VALU_DEP_1)
	v_pk_add_f32 v[38:39], v[44:45], v[46:47]
	v_dual_sub_f32 v25, v39, v47 :: v_dual_mov_b32 v47, v38
	s_delay_alu instid0(VALU_DEP_1) | instskip(SKIP_1) | instid1(VALU_DEP_2)
	v_dual_mov_b32 v56, v39 :: v_dual_sub_f32 v25, v45, v25
	v_pk_add_f32 v[44:45], v[38:39], v[44:45] neg_lo:[0,1] neg_hi:[0,1]
	v_add_f32_e32 v49, v23, v25
	s_delay_alu instid0(VALU_DEP_1) | instskip(NEXT) | instid1(VALU_DEP_1)
	v_pk_add_f32 v[50:51], v[38:39], v[48:49]
	v_mov_b32_e32 v45, v51
	s_delay_alu instid0(VALU_DEP_1) | instskip(SKIP_2) | instid1(VALU_DEP_3)
	v_pk_add_f32 v[52:53], v[46:47], v[44:45]
	v_mov_b32_e32 v52, v51
	v_pk_add_f32 v[44:45], v[46:47], v[44:45] neg_lo:[0,1] neg_hi:[0,1]
	v_dual_mov_b32 v48, v53 :: v_dual_mov_b32 v45, v53
	s_delay_alu instid0(VALU_DEP_1) | instskip(NEXT) | instid1(VALU_DEP_1)
	v_pk_add_f32 v[54:55], v[48:49], v[38:39] neg_lo:[0,1] neg_hi:[0,1]
	v_dual_mov_b32 v57, v54 :: v_dual_mov_b32 v23, v54
	v_dual_mov_b32 v39, v38 :: v_dual_mov_b32 v38, v49
	s_delay_alu instid0(VALU_DEP_2) | instskip(NEXT) | instid1(VALU_DEP_3)
	v_pk_add_f32 v[46:47], v[52:53], v[56:57] neg_lo:[0,1] neg_hi:[0,1]
	v_pk_add_f32 v[50:51], v[50:51], v[22:23] neg_lo:[0,1] neg_hi:[0,1]
	v_mov_b32_e32 v50, v44
	s_delay_alu instid0(VALU_DEP_3) | instskip(NEXT) | instid1(VALU_DEP_1)
	v_pk_add_f32 v[38:39], v[38:39], v[46:47] neg_lo:[0,1] neg_hi:[0,1]
	v_pk_add_f32 v[46:47], v[50:51], v[38:39]
	s_delay_alu instid0(VALU_DEP_1) | instskip(NEXT) | instid1(VALU_DEP_1)
	v_mov_b32_e32 v50, v47
	v_pk_add_f32 v[50:51], v[46:47], v[50:51]
	s_delay_alu instid0(VALU_DEP_1) | instskip(NEXT) | instid1(VALU_DEP_1)
	v_pk_add_f32 v[48:49], v[48:49], v[50:51]
	v_dual_mov_b32 v39, v50 :: v_dual_mov_b32 v47, v48
	s_delay_alu instid0(VALU_DEP_1) | instskip(NEXT) | instid1(VALU_DEP_1)
	v_pk_add_f32 v[52:53], v[46:47], v[44:45] neg_lo:[0,1] neg_hi:[0,1]
	v_sub_f32_e32 v23, v46, v52
	s_delay_alu instid0(VALU_DEP_2) | instskip(NEXT) | instid1(VALU_DEP_2)
	v_pk_add_f32 v[38:39], v[38:39], v[52:53] neg_lo:[0,1] neg_hi:[0,1]
	v_sub_f32_e32 v23, v44, v23
	s_delay_alu instid0(VALU_DEP_1) | instskip(NEXT) | instid1(VALU_DEP_1)
	v_add_f32_e32 v23, v38, v23
	v_dual_mov_b32 v38, v34 :: v_dual_add_f32 v23, v23, v39
	s_delay_alu instid0(VALU_DEP_1) | instskip(NEXT) | instid1(VALU_DEP_1)
	v_add_f32_e32 v23, v48, v23
	v_mul_f32_e32 v23, 0.5, v23
	s_delay_alu instid0(VALU_DEP_1) | instskip(NEXT) | instid1(VALU_DEP_1)
	v_cndmask_b32_e64 v23, v23, |v35|, s23
	v_cndmask_b32_e32 v23, 0x7f800000, v23, vcc_lo
	s_delay_alu instid0(VALU_DEP_1)
	v_bfi_b32 v39, 0x7fffffff, v23, v35
.LBB74_168:                             ;   in Loop: Header=BB74_4 Depth=1
	s_or_b32 exec_lo, exec_lo, s6
	v_cmp_neq_f32_e32 vcc_lo, 0, v30
	v_cmp_nle_f32_e64 s6, |v31|, 1.0
	flat_store_b32 v[6:7], v40 scope:SCOPE_SYS
	s_wait_storecnt 0x0
                                        ; implicit-def: $vgpr35
	s_or_b32 s6, vcc_lo, s6
	s_wait_xcnt 0x0
	s_and_saveexec_b32 s23, s6
	s_delay_alu instid0(SALU_CYCLE_1)
	s_xor_b32 s23, exec_lo, s23
	s_cbranch_execz .LBB74_175
; %bb.169:                              ;   in Loop: Header=BB74_4 Depth=1
                                        ; implicit-def: $vgpr35
	s_mov_b32 s6, exec_lo
	v_cmpx_neq_f32_e32 0, v31
	s_xor_b32 s24, exec_lo, s6
	s_cbranch_execz .LBB74_220
; %bb.170:                              ;   in Loop: Header=BB74_4 Depth=1
                                        ; implicit-def: $vgpr35
	s_mov_b32 s6, exec_lo
	v_cmpx_o_f32_e32 v31, v30
	s_xor_b32 s25, exec_lo, s6
	s_cbranch_execz .LBB74_209
; %bb.171:                              ;   in Loop: Header=BB74_4 Depth=1
	s_wait_dscnt 0x1
	v_max_num_f32_e64 v23, |v30|, |v30|
	v_max_num_f32_e64 v25, |v31|, |v31|
                                        ; implicit-def: $vgpr35
	s_mov_b32 s6, exec_lo
	s_delay_alu instid0(VALU_DEP_1) | instskip(NEXT) | instid1(VALU_DEP_1)
	v_max_num_f32_e32 v25, v25, v23
	v_cmpx_nlt_f32_e32 0x4b000000, v25
	s_xor_b32 s26, exec_lo, s6
	s_cbranch_execz .LBB74_194
; %bb.172:                              ;   in Loop: Header=BB74_4 Depth=1
	v_cmp_ngt_f32_e64 s6, 0x399cc471, |v31|
	v_cmp_ngt_f32_e64 s27, 0x399cc471, |v30|
                                        ; implicit-def: $vgpr35
	s_or_b32 s6, s6, s27
	s_delay_alu instid0(SALU_CYCLE_1) | instskip(NEXT) | instid1(SALU_CYCLE_1)
	s_and_saveexec_b32 s27, s6
	s_xor_b32 s27, exec_lo, s27
	s_cbranch_execz .LBB74_191
; %bb.173:                              ;   in Loop: Header=BB74_4 Depth=1
	v_cmp_neq_f32_e64 s28, |v31|, 1.0
	v_cmp_ngt_f32_e64 s6, 0x34000000, |v30|
                                        ; implicit-def: $vgpr25
	s_or_b32 s29, s28, s6
	s_delay_alu instid0(SALU_CYCLE_1) | instskip(NEXT) | instid1(SALU_CYCLE_1)
	s_and_saveexec_b32 s30, s29
	s_xor_b32 s29, exec_lo, s30
	s_cbranch_execz .LBB74_180
; %bb.174:                              ;   in Loop: Header=BB74_4 Depth=1
	v_add_f32_e64 v35, |v31|, -1.0
	v_cmp_gt_f32_e64 vcc_lo, 0x20000000, |v30|
	v_mov_b32_e32 v34, v30
	s_delay_alu instid0(VALU_DEP_1) | instskip(NEXT) | instid1(VALU_DEP_1)
	v_pk_mul_f32 v[34:35], v[34:35], v[34:35]
	v_add_f32_e32 v25, v34, v35
	v_mul_f32_e64 v34, |v31|, 4.0
	s_delay_alu instid0(VALU_DEP_2) | instskip(NEXT) | instid1(VALU_DEP_1)
	v_cndmask_b32_e32 v25, v25, v35, vcc_lo
	v_div_scale_f32 v35, null, v25, v25, v34
	v_div_scale_f32 v45, vcc_lo, v34, v25, v34
	s_delay_alu instid0(VALU_DEP_2) | instskip(SKIP_1) | instid1(TRANS32_DEP_1)
	v_rcp_f32_e32 v43, v35
	v_nop
	v_fma_f32 v44, -v35, v43, 1.0
	s_delay_alu instid0(VALU_DEP_1) | instskip(NEXT) | instid1(VALU_DEP_1)
	v_fmac_f32_e32 v43, v44, v43
	v_mul_f32_e32 v44, v45, v43
	s_delay_alu instid0(VALU_DEP_1) | instskip(NEXT) | instid1(VALU_DEP_1)
	v_fma_f32 v46, -v35, v44, v45
	v_fmac_f32_e32 v44, v46, v43
	s_delay_alu instid0(VALU_DEP_1) | instskip(NEXT) | instid1(VALU_DEP_1)
	v_fma_f32 v35, -v35, v44, v45
	v_div_fmas_f32 v35, v35, v43, v44
	s_delay_alu instid0(VALU_DEP_1) | instskip(NEXT) | instid1(VALU_DEP_1)
	v_div_fixup_f32 v34, v35, v25, v34
	v_add_f32_e32 v45, 1.0, v34
	s_delay_alu instid0(VALU_DEP_1) | instskip(SKIP_2) | instid1(VALU_DEP_2)
	v_cvt_f64_f32_e32 v[46:47], v45
	v_frexp_mant_f32_e32 v43, v45
	v_add_f32_e32 v35, -1.0, v45
	v_cmp_gt_f32_e32 vcc_lo, 0x3f2aaaab, v43
	s_delay_alu instid0(VALU_DEP_4) | instskip(NEXT) | instid1(VALU_DEP_1)
	v_frexp_exp_i32_f64_e32 v25, v[46:47]
	v_subrev_co_ci_u32_e64 v25, null, 0, v25, vcc_lo
	s_delay_alu instid0(VALU_DEP_4) | instskip(SKIP_1) | instid1(VALU_DEP_3)
	v_mov_b32_e32 v44, v35
	v_cmp_neq_f32_e32 vcc_lo, 0x7f800000, v34
	v_sub_nc_u32_e32 v43, 0, v25
	s_delay_alu instid0(VALU_DEP_3) | instskip(NEXT) | instid1(VALU_DEP_2)
	v_pk_add_f32 v[46:47], v[34:35], v[44:45] neg_lo:[0,1] neg_hi:[0,1]
	v_ldexp_f32 v35, v45, v43
	s_delay_alu instid0(VALU_DEP_2) | instskip(NEXT) | instid1(VALU_DEP_2)
	v_add_f32_e32 v44, 1.0, v47
	v_add_f32_e32 v47, 1.0, v35
	s_delay_alu instid0(VALU_DEP_1) | instskip(SKIP_1) | instid1(VALU_DEP_2)
	v_dual_add_f32 v45, -1.0, v47 :: v_dual_add_f32 v44, v46, v44
	v_add_f32_e32 v49, -1.0, v35
	v_ldexp_f32 v43, v44, v43
	s_delay_alu instid0(VALU_DEP_3) | instskip(NEXT) | instid1(VALU_DEP_1)
	v_sub_f32_e32 v44, v35, v45
	v_dual_add_f32 v45, 1.0, v49 :: v_dual_add_f32 v44, v43, v44
	s_delay_alu instid0(VALU_DEP_1) | instskip(NEXT) | instid1(VALU_DEP_1)
	v_sub_f32_e32 v35, v35, v45
	v_add_f32_e32 v35, v43, v35
	s_delay_alu instid0(VALU_DEP_1) | instskip(NEXT) | instid1(VALU_DEP_1)
	v_dual_add_f32 v50, v47, v44 :: v_dual_add_f32 v45, v49, v35
	v_rcp_f32_e32 v43, v50
	v_nop
	s_delay_alu instid0(TRANS32_DEP_1) | instskip(NEXT) | instid1(VALU_DEP_1)
	v_mul_f32_e32 v51, v45, v43
	v_mul_f32_e32 v46, v50, v51
	s_delay_alu instid0(VALU_DEP_1) | instskip(NEXT) | instid1(VALU_DEP_1)
	v_dual_sub_f32 v47, v50, v47 :: v_dual_fma_f32 v48, v51, v50, -v46
	v_sub_f32_e32 v52, v44, v47
	s_delay_alu instid0(VALU_DEP_1) | instskip(NEXT) | instid1(VALU_DEP_1)
	v_fmac_f32_e32 v48, v51, v52
	v_dual_add_f32 v44, v46, v48 :: v_dual_sub_f32 v53, v45, v49
	s_delay_alu instid0(VALU_DEP_1) | instskip(NEXT) | instid1(VALU_DEP_2)
	v_dual_mov_b32 v49, v44 :: v_dual_sub_f32 v47, v45, v44
	v_sub_f32_e32 v35, v35, v53
	s_delay_alu instid0(VALU_DEP_2) | instskip(NEXT) | instid1(VALU_DEP_1)
	v_pk_add_f32 v[44:45], v[44:45], v[46:47] neg_lo:[0,1] neg_hi:[0,1]
	v_pk_add_f32 v[44:45], v[44:45], v[48:49] neg_lo:[0,1] neg_hi:[0,1]
	s_delay_alu instid0(VALU_DEP_1) | instskip(NEXT) | instid1(VALU_DEP_1)
	v_add_f32_e32 v35, v35, v45
	v_add_f32_e32 v35, v44, v35
	s_delay_alu instid0(VALU_DEP_1) | instskip(NEXT) | instid1(VALU_DEP_1)
	v_add_f32_e32 v45, v47, v35
	v_mul_f32_e32 v53, v43, v45
	s_delay_alu instid0(VALU_DEP_1) | instskip(NEXT) | instid1(VALU_DEP_1)
	v_mul_f32_e32 v48, v50, v53
	v_fma_f32 v46, v53, v50, -v48
	s_delay_alu instid0(VALU_DEP_1) | instskip(NEXT) | instid1(VALU_DEP_1)
	v_dual_fmac_f32 v46, v53, v52 :: v_dual_sub_f32 v50, v47, v45
	v_add_f32_e32 v44, v48, v46
	s_delay_alu instid0(VALU_DEP_1) | instskip(SKIP_1) | instid1(VALU_DEP_2)
	v_dual_add_f32 v35, v35, v50 :: v_dual_sub_f32 v49, v45, v44
	v_mov_b32_e32 v47, v44
	v_pk_add_f32 v[44:45], v[44:45], v[48:49] neg_lo:[0,1] neg_hi:[0,1]
	s_delay_alu instid0(VALU_DEP_1) | instskip(NEXT) | instid1(VALU_DEP_1)
	v_pk_add_f32 v[44:45], v[44:45], v[46:47] neg_lo:[0,1] neg_hi:[0,1]
	v_add_f32_e32 v35, v35, v45
	s_delay_alu instid0(VALU_DEP_1) | instskip(NEXT) | instid1(VALU_DEP_1)
	v_dual_add_f32 v50, v51, v53 :: v_dual_add_f32 v35, v44, v35
	v_sub_f32_e32 v44, v50, v51
	s_delay_alu instid0(VALU_DEP_2) | instskip(NEXT) | instid1(VALU_DEP_1)
	v_add_f32_e32 v35, v49, v35
	v_dual_sub_f32 v44, v53, v44 :: v_dual_mul_f32 v35, v43, v35
	s_delay_alu instid0(VALU_DEP_1) | instskip(SKIP_1) | instid1(VALU_DEP_2)
	v_add_f32_e32 v35, v44, v35
	v_cvt_f32_i32_e32 v44, v25
	v_add_f32_e32 v43, v50, v35
	s_delay_alu instid0(VALU_DEP_1) | instskip(NEXT) | instid1(VALU_DEP_1)
	v_mul_f32_e32 v46, v43, v43
	v_fmaak_f32 v47, s7, v46, 0x3ecc95a3
	v_mul_f32_e32 v45, v43, v46
	s_delay_alu instid0(VALU_DEP_2) | instskip(NEXT) | instid1(VALU_DEP_1)
	v_fmaak_f32 v25, v46, v47, 0x3f2aaada
	v_pk_mul_f32 v[46:47], v[44:45], v[24:25]
	v_sub_f32_e32 v25, v43, v50
	s_delay_alu instid0(VALU_DEP_2) | instskip(NEXT) | instid1(VALU_DEP_2)
	v_fma_f32 v48, 0x3f317218, v44, -v46
	v_sub_f32_e32 v25, v35, v25
	v_ldexp_f32 v49, v43, 1
	v_mov_b32_e32 v50, v46
	s_delay_alu instid0(VALU_DEP_4) | instskip(NEXT) | instid1(VALU_DEP_4)
	v_fmac_f32_e32 v48, 0xb102e308, v44
	v_ldexp_f32 v25, v25, 1
	s_delay_alu instid0(VALU_DEP_2) | instskip(NEXT) | instid1(VALU_DEP_1)
	v_pk_add_f32 v[44:45], v[46:47], v[48:49]
	v_dual_sub_f32 v35, v45, v49 :: v_dual_mov_b32 v49, v44
	s_delay_alu instid0(VALU_DEP_1) | instskip(SKIP_1) | instid1(VALU_DEP_2)
	v_dual_mov_b32 v58, v45 :: v_dual_sub_f32 v35, v47, v35
	v_pk_add_f32 v[46:47], v[44:45], v[46:47] neg_lo:[0,1] neg_hi:[0,1]
	v_add_f32_e32 v51, v25, v35
	s_delay_alu instid0(VALU_DEP_1) | instskip(NEXT) | instid1(VALU_DEP_1)
	v_pk_add_f32 v[52:53], v[44:45], v[50:51]
	v_mov_b32_e32 v47, v53
	s_delay_alu instid0(VALU_DEP_1) | instskip(SKIP_2) | instid1(VALU_DEP_3)
	v_pk_add_f32 v[54:55], v[48:49], v[46:47]
	v_mov_b32_e32 v54, v53
	v_pk_add_f32 v[46:47], v[48:49], v[46:47] neg_lo:[0,1] neg_hi:[0,1]
	v_mov_b32_e32 v50, v55
	s_delay_alu instid0(VALU_DEP_1) | instskip(NEXT) | instid1(VALU_DEP_1)
	v_pk_add_f32 v[56:57], v[50:51], v[44:45] neg_lo:[0,1] neg_hi:[0,1]
	v_dual_mov_b32 v45, v44 :: v_dual_mov_b32 v59, v56
	v_dual_mov_b32 v44, v51 :: v_dual_mov_b32 v25, v56
	s_delay_alu instid0(VALU_DEP_2) | instskip(NEXT) | instid1(VALU_DEP_2)
	v_pk_add_f32 v[56:57], v[54:55], v[58:59] neg_lo:[0,1] neg_hi:[0,1]
	v_pk_add_f32 v[48:49], v[52:53], v[24:25] neg_lo:[0,1] neg_hi:[0,1]
	v_mov_b32_e32 v48, v46
	s_delay_alu instid0(VALU_DEP_3) | instskip(NEXT) | instid1(VALU_DEP_1)
	v_pk_add_f32 v[44:45], v[44:45], v[56:57] neg_lo:[0,1] neg_hi:[0,1]
	v_pk_add_f32 v[48:49], v[48:49], v[44:45]
	s_delay_alu instid0(VALU_DEP_1) | instskip(NEXT) | instid1(VALU_DEP_1)
	v_mov_b32_e32 v52, v49
	v_pk_add_f32 v[52:53], v[48:49], v[52:53]
	s_delay_alu instid0(VALU_DEP_1) | instskip(NEXT) | instid1(VALU_DEP_1)
	v_pk_add_f32 v[50:51], v[50:51], v[52:53]
	v_dual_mov_b32 v47, v55 :: v_dual_mov_b32 v49, v50
	s_delay_alu instid0(VALU_DEP_1) | instskip(NEXT) | instid1(VALU_DEP_1)
	v_pk_add_f32 v[54:55], v[48:49], v[46:47] neg_lo:[0,1] neg_hi:[0,1]
	v_sub_f32_e32 v25, v48, v54
	s_delay_alu instid0(VALU_DEP_1) | instskip(NEXT) | instid1(VALU_DEP_1)
	v_dual_mov_b32 v45, v52 :: v_dual_sub_f32 v25, v46, v25
	v_pk_add_f32 v[44:45], v[44:45], v[54:55] neg_lo:[0,1] neg_hi:[0,1]
	s_delay_alu instid0(VALU_DEP_1) | instskip(NEXT) | instid1(VALU_DEP_1)
	v_add_f32_e32 v25, v44, v25
	v_add_f32_e32 v25, v25, v45
	s_delay_alu instid0(VALU_DEP_1) | instskip(NEXT) | instid1(VALU_DEP_1)
	v_add_f32_e32 v25, v50, v25
	v_cndmask_b32_e32 v25, 0x7f800000, v25, vcc_lo
	v_cmp_ngt_f32_e32 vcc_lo, -1.0, v34
	s_delay_alu instid0(VALU_DEP_2) | instskip(SKIP_1) | instid1(VALU_DEP_2)
	v_cndmask_b32_e32 v25, 0x7fc00000, v25, vcc_lo
	v_cmp_neq_f32_e32 vcc_lo, -1.0, v34
	v_cndmask_b32_e32 v25, 0xff800000, v25, vcc_lo
	v_cmp_gt_f32_e64 vcc_lo, 0x33800000, |v34|
	s_delay_alu instid0(VALU_DEP_2) | instskip(NEXT) | instid1(VALU_DEP_1)
	v_cndmask_b32_e32 v25, v25, v34, vcc_lo
	v_mul_f32_e32 v25, 0x3e800000, v25
	s_and_not1_saveexec_b32 s29, s29
	s_cbranch_execz .LBB74_182
	s_branch .LBB74_181
.LBB74_175:                             ;   in Loop: Header=BB74_4 Depth=1
	s_and_not1_saveexec_b32 s6, s23
	s_cbranch_execz .LBB74_223
.LBB74_176:                             ;   in Loop: Header=BB74_4 Depth=1
	s_wait_dscnt 0x0
	v_sub_f32_e64 v23, 1.0, |v31|
	v_add_f32_e64 v34, |v31|, 1.0
	v_and_b32_e32 v46, 0x7fffffff, v31
	v_cmp_gt_f32_e64 s23, 0x39800000, |v31|
	s_delay_alu instid0(VALU_DEP_4) | instskip(SKIP_1) | instid1(VALU_DEP_1)
	v_rcp_f32_e32 v25, v23
	v_sub_f32_e32 v44, 1.0, v23
	v_sub_f32_e64 v44, v44, |v31|
	s_delay_alu instid0(TRANS32_DEP_1) | instskip(NEXT) | instid1(VALU_DEP_1)
	v_mul_f32_e32 v43, v34, v25
	v_mul_f32_e32 v35, v23, v43
	s_delay_alu instid0(VALU_DEP_1) | instskip(NEXT) | instid1(VALU_DEP_1)
	v_fma_f32 v23, v43, v23, -v35
	v_fmac_f32_e32 v23, v43, v44
	s_delay_alu instid0(VALU_DEP_1) | instskip(NEXT) | instid1(VALU_DEP_1)
	v_pk_add_f32 v[44:45], v[34:35], v[22:23]
	v_dual_sub_f32 v48, v34, v45 :: v_dual_sub_f32 v35, v45, v35
	s_delay_alu instid0(VALU_DEP_1) | instskip(NEXT) | instid1(VALU_DEP_1)
	v_dual_sub_f32 v47, v34, v48 :: v_dual_sub_f32 v23, v35, v23
	v_pk_add_f32 v[34:35], v[46:47], v[44:45] neg_lo:[0,1] neg_hi:[0,1]
	s_delay_alu instid0(VALU_DEP_1) | instskip(NEXT) | instid1(VALU_DEP_1)
	v_add_f32_e32 v23, v23, v35
	v_add_f32_e32 v23, v34, v23
	s_delay_alu instid0(VALU_DEP_1) | instskip(NEXT) | instid1(VALU_DEP_1)
	v_add_f32_e32 v23, v48, v23
	v_mul_f32_e32 v23, v25, v23
	s_delay_alu instid0(VALU_DEP_1) | instskip(NEXT) | instid1(VALU_DEP_1)
	v_add_f32_e32 v25, v43, v23
	v_cvt_f64_f32_e32 v[34:35], v25
	s_delay_alu instid0(VALU_DEP_1) | instskip(SKIP_1) | instid1(VALU_DEP_1)
	v_frexp_exp_i32_f64_e32 v34, v[34:35]
	v_frexp_mant_f32_e32 v35, v25
	v_cmp_gt_f32_e32 vcc_lo, 0x3f2aaaab, v35
	s_delay_alu instid0(VALU_DEP_3) | instskip(SKIP_1) | instid1(VALU_DEP_2)
	v_subrev_co_ci_u32_e64 v48, null, 0, v34, vcc_lo
	v_cmp_neq_f32_e64 vcc_lo, |v31|, 1.0
	v_sub_nc_u32_e32 v34, 0, v48
	s_delay_alu instid0(VALU_DEP_1) | instskip(SKIP_1) | instid1(VALU_DEP_1)
	v_ldexp_f32 v35, v25, v34
	v_sub_f32_e32 v25, v25, v43
	v_dual_add_f32 v43, 1.0, v35 :: v_dual_sub_f32 v23, v23, v25
	s_delay_alu instid0(VALU_DEP_1) | instskip(NEXT) | instid1(VALU_DEP_2)
	v_add_f32_e32 v25, -1.0, v43
	v_ldexp_f32 v23, v23, v34
	s_delay_alu instid0(VALU_DEP_2) | instskip(NEXT) | instid1(VALU_DEP_1)
	v_dual_sub_f32 v25, v35, v25 :: v_dual_add_f32 v47, -1.0, v35
	v_add_f32_e32 v25, v23, v25
	s_delay_alu instid0(VALU_DEP_1) | instskip(NEXT) | instid1(VALU_DEP_1)
	v_add_f32_e32 v49, v43, v25
	v_rcp_f32_e32 v50, v49
	s_delay_alu instid0(VALU_DEP_3) | instskip(NEXT) | instid1(VALU_DEP_1)
	v_add_f32_e32 v34, 1.0, v47
	v_sub_f32_e32 v34, v35, v34
	s_delay_alu instid0(VALU_DEP_1) | instskip(NEXT) | instid1(VALU_DEP_1)
	v_dual_add_f32 v23, v23, v34 :: v_dual_sub_f32 v34, v49, v43
	v_dual_add_f32 v35, v47, v23 :: v_dual_sub_f32 v25, v25, v34
	s_delay_alu instid0(TRANS32_DEP_1) | instid1(VALU_DEP_1)
	v_dual_mul_f32 v51, v35, v50 :: v_dual_sub_f32 v43, v35, v47
	s_delay_alu instid0(VALU_DEP_1) | instskip(NEXT) | instid1(VALU_DEP_2)
	v_mul_f32_e32 v44, v49, v51
	v_sub_f32_e32 v23, v23, v43
	s_delay_alu instid0(VALU_DEP_2) | instskip(NEXT) | instid1(VALU_DEP_1)
	v_fma_f32 v46, v51, v49, -v44
	v_fmac_f32_e32 v46, v51, v25
	s_delay_alu instid0(VALU_DEP_1) | instskip(NEXT) | instid1(VALU_DEP_1)
	v_add_f32_e32 v34, v44, v46
	v_dual_sub_f32 v45, v35, v34 :: v_dual_mov_b32 v47, v34
	s_delay_alu instid0(VALU_DEP_1) | instskip(NEXT) | instid1(VALU_DEP_1)
	v_pk_add_f32 v[34:35], v[34:35], v[44:45] neg_lo:[0,1] neg_hi:[0,1]
	v_pk_add_f32 v[34:35], v[34:35], v[46:47] neg_lo:[0,1] neg_hi:[0,1]
	s_delay_alu instid0(VALU_DEP_1) | instskip(NEXT) | instid1(VALU_DEP_1)
	v_add_f32_e32 v23, v23, v35
	v_add_f32_e32 v23, v34, v23
	s_delay_alu instid0(VALU_DEP_1) | instskip(NEXT) | instid1(VALU_DEP_1)
	v_add_f32_e32 v35, v45, v23
	v_mul_f32_e32 v43, v50, v35
	s_delay_alu instid0(VALU_DEP_1) | instskip(NEXT) | instid1(VALU_DEP_1)
	v_mul_f32_e32 v46, v49, v43
	v_fma_f32 v44, v43, v49, -v46
	s_delay_alu instid0(VALU_DEP_1) | instskip(NEXT) | instid1(VALU_DEP_1)
	v_dual_fmac_f32 v44, v43, v25 :: v_dual_sub_f32 v25, v45, v35
	v_dual_add_f32 v34, v46, v44 :: v_dual_add_f32 v23, v23, v25
	s_delay_alu instid0(VALU_DEP_1) | instskip(NEXT) | instid1(VALU_DEP_1)
	v_dual_mov_b32 v45, v34 :: v_dual_sub_f32 v47, v35, v34
	v_pk_add_f32 v[34:35], v[34:35], v[46:47] neg_lo:[0,1] neg_hi:[0,1]
	s_delay_alu instid0(VALU_DEP_1) | instskip(NEXT) | instid1(VALU_DEP_1)
	v_pk_add_f32 v[34:35], v[34:35], v[44:45] neg_lo:[0,1] neg_hi:[0,1]
	v_add_f32_e32 v23, v23, v35
	s_delay_alu instid0(VALU_DEP_1) | instskip(SKIP_2) | instid1(VALU_DEP_1)
	v_add_f32_e32 v23, v34, v23
	v_cvt_f32_i32_e32 v34, v48
	v_add_f32_e32 v49, v51, v43
	v_sub_f32_e32 v25, v49, v51
	s_delay_alu instid0(VALU_DEP_1) | instskip(SKIP_1) | instid1(VALU_DEP_1)
	v_sub_f32_e32 v25, v43, v25
	v_add_f32_e32 v23, v47, v23
	v_mul_f32_e32 v23, v50, v23
	s_delay_alu instid0(VALU_DEP_1) | instskip(NEXT) | instid1(VALU_DEP_1)
	v_add_f32_e32 v23, v25, v23
	v_add_f32_e32 v43, v49, v23
	s_delay_alu instid0(VALU_DEP_1) | instskip(NEXT) | instid1(VALU_DEP_1)
	v_mul_f32_e32 v25, v43, v43
	v_dual_fmaak_f32 v44, s7, v25, 0x3ecc95a3 :: v_dual_mul_f32 v35, v43, v25
	s_delay_alu instid0(VALU_DEP_1) | instskip(NEXT) | instid1(VALU_DEP_1)
	v_fmaak_f32 v25, v25, v44, 0x3f2aaada
	v_pk_mul_f32 v[44:45], v[34:35], v[24:25]
	s_delay_alu instid0(VALU_DEP_1) | instskip(SKIP_1) | instid1(VALU_DEP_2)
	v_fma_f32 v46, 0x3f317218, v34, -v44
	v_mov_b32_e32 v48, v44
	v_dual_fmac_f32 v46, 0xb102e308, v34 :: v_dual_sub_f32 v25, v43, v49
	s_delay_alu instid0(VALU_DEP_1) | instskip(SKIP_1) | instid1(VALU_DEP_2)
	v_sub_f32_e32 v23, v23, v25
	v_ldexp_f32 v47, v43, 1
	v_ldexp_f32 v23, v23, 1
	s_delay_alu instid0(VALU_DEP_2) | instskip(NEXT) | instid1(VALU_DEP_1)
	v_pk_add_f32 v[34:35], v[44:45], v[46:47]
	v_dual_sub_f32 v25, v35, v47 :: v_dual_mov_b32 v47, v34
	s_delay_alu instid0(VALU_DEP_1) | instskip(SKIP_1) | instid1(VALU_DEP_2)
	v_dual_mov_b32 v56, v35 :: v_dual_sub_f32 v25, v45, v25
	v_pk_add_f32 v[44:45], v[34:35], v[44:45] neg_lo:[0,1] neg_hi:[0,1]
	v_add_f32_e32 v49, v23, v25
	s_delay_alu instid0(VALU_DEP_1) | instskip(NEXT) | instid1(VALU_DEP_1)
	v_pk_add_f32 v[50:51], v[34:35], v[48:49]
	v_mov_b32_e32 v45, v51
	s_delay_alu instid0(VALU_DEP_1) | instskip(SKIP_2) | instid1(VALU_DEP_3)
	v_pk_add_f32 v[52:53], v[46:47], v[44:45]
	v_mov_b32_e32 v52, v51
	v_pk_add_f32 v[44:45], v[46:47], v[44:45] neg_lo:[0,1] neg_hi:[0,1]
	v_dual_mov_b32 v48, v53 :: v_dual_mov_b32 v45, v53
	s_delay_alu instid0(VALU_DEP_1) | instskip(NEXT) | instid1(VALU_DEP_1)
	v_pk_add_f32 v[54:55], v[48:49], v[34:35] neg_lo:[0,1] neg_hi:[0,1]
	v_dual_mov_b32 v57, v54 :: v_dual_mov_b32 v23, v54
	v_dual_mov_b32 v35, v34 :: v_dual_mov_b32 v34, v49
	s_delay_alu instid0(VALU_DEP_2) | instskip(NEXT) | instid1(VALU_DEP_3)
	v_pk_add_f32 v[46:47], v[52:53], v[56:57] neg_lo:[0,1] neg_hi:[0,1]
	v_pk_add_f32 v[50:51], v[50:51], v[22:23] neg_lo:[0,1] neg_hi:[0,1]
	v_mov_b32_e32 v50, v44
	s_delay_alu instid0(VALU_DEP_3) | instskip(NEXT) | instid1(VALU_DEP_1)
	v_pk_add_f32 v[34:35], v[34:35], v[46:47] neg_lo:[0,1] neg_hi:[0,1]
	v_pk_add_f32 v[46:47], v[50:51], v[34:35]
	s_delay_alu instid0(VALU_DEP_1) | instskip(NEXT) | instid1(VALU_DEP_1)
	v_mov_b32_e32 v50, v47
	v_pk_add_f32 v[50:51], v[46:47], v[50:51]
	s_delay_alu instid0(VALU_DEP_1) | instskip(NEXT) | instid1(VALU_DEP_1)
	v_pk_add_f32 v[48:49], v[48:49], v[50:51]
	v_dual_mov_b32 v35, v50 :: v_dual_mov_b32 v47, v48
	s_delay_alu instid0(VALU_DEP_1) | instskip(NEXT) | instid1(VALU_DEP_1)
	v_pk_add_f32 v[52:53], v[46:47], v[44:45] neg_lo:[0,1] neg_hi:[0,1]
	v_sub_f32_e32 v23, v46, v52
	s_delay_alu instid0(VALU_DEP_2) | instskip(NEXT) | instid1(VALU_DEP_2)
	v_pk_add_f32 v[34:35], v[34:35], v[52:53] neg_lo:[0,1] neg_hi:[0,1]
	v_sub_f32_e32 v23, v44, v23
	s_delay_alu instid0(VALU_DEP_1) | instskip(NEXT) | instid1(VALU_DEP_1)
	v_add_f32_e32 v23, v34, v23
	v_dual_mov_b32 v34, v30 :: v_dual_add_f32 v23, v23, v35
	s_delay_alu instid0(VALU_DEP_1) | instskip(NEXT) | instid1(VALU_DEP_1)
	v_add_f32_e32 v23, v48, v23
	v_mul_f32_e32 v23, 0.5, v23
	s_delay_alu instid0(VALU_DEP_1) | instskip(NEXT) | instid1(VALU_DEP_1)
	v_cndmask_b32_e64 v23, v23, |v31|, s23
	v_cndmask_b32_e32 v23, 0x7f800000, v23, vcc_lo
	s_delay_alu instid0(VALU_DEP_1) | instskip(SKIP_2) | instid1(SALU_CYCLE_1)
	v_bfi_b32 v35, 0x7fffffff, v23, v31
	s_or_b32 exec_lo, exec_lo, s6
	s_and_saveexec_b32 s6, s2
	s_xor_b32 s2, exec_lo, s6
	s_cbranch_execnz .LBB74_224
.LBB74_177:                             ;   in Loop: Header=BB74_4 Depth=1
	s_or_b32 exec_lo, exec_lo, s2
	s_and_saveexec_b32 s2, s3
	s_cbranch_execz .LBB74_225
.LBB74_178:                             ;   in Loop: Header=BB74_4 Depth=1
	global_store_b64 v[20:21], v[36:37], off
	s_wait_xcnt 0x0
	s_or_b32 exec_lo, exec_lo, s2
	s_and_saveexec_b32 s2, s4
	s_cbranch_execnz .LBB74_226
.LBB74_179:                             ;   in Loop: Header=BB74_4 Depth=1
	s_or_b32 exec_lo, exec_lo, s2
	s_and_saveexec_b32 s2, s5
	s_cbranch_execz .LBB74_3
	s_branch .LBB74_227
.LBB74_180:                             ;   in Loop: Header=BB74_4 Depth=1
	s_and_not1_saveexec_b32 s29, s29
	s_cbranch_execz .LBB74_182
.LBB74_181:                             ;   in Loop: Header=BB74_4 Depth=1
	v_cmp_gt_f32_e64 s30, 0x800000, |v30|
	s_delay_alu instid0(VALU_DEP_1) | instskip(NEXT) | instid1(VALU_DEP_1)
	v_cndmask_b32_e64 v25, 0, 32, s30
	v_ldexp_f32 v25, |v30|, v25
	s_delay_alu instid0(VALU_DEP_1) | instskip(SKIP_1) | instid1(TRANS32_DEP_1)
	v_log_f32_e32 v25, v25
	v_nop
	v_mul_f32_e32 v34, 0x3f317217, v25
	v_cmp_gt_f32_e64 vcc_lo, 0x7f800000, |v25|
	s_delay_alu instid0(VALU_DEP_2) | instskip(NEXT) | instid1(VALU_DEP_1)
	v_fma_f32 v34, 0x3f317217, v25, -v34
	v_fmac_f32_e32 v34, 0x3377d1cf, v25
	s_delay_alu instid0(VALU_DEP_1) | instskip(NEXT) | instid1(VALU_DEP_1)
	v_fmac_f32_e32 v34, 0x3f317217, v25
	v_cndmask_b32_e32 v25, v25, v34, vcc_lo
	v_cndmask_b32_e64 v34, 0, 0x41b17218, s30
	s_delay_alu instid0(VALU_DEP_1) | instskip(NEXT) | instid1(VALU_DEP_1)
	v_sub_f32_e32 v25, v25, v34
	v_sub_f32_e32 v25, 0x3f317218, v25
	s_delay_alu instid0(VALU_DEP_1)
	v_mul_f32_e32 v25, 0.5, v25
.LBB74_182:                             ;   in Loop: Header=BB74_4 Depth=1
	s_or_b32 exec_lo, exec_lo, s29
                                        ; implicit-def: $vgpr35
	s_and_saveexec_b32 s29, s28
	s_delay_alu instid0(SALU_CYCLE_1)
	s_xor_b32 s28, exec_lo, s29
	s_cbranch_execz .LBB74_188
; %bb.183:                              ;   in Loop: Header=BB74_4 Depth=1
	v_sub_f32_e64 v34, 1.0, |v31|
	v_add_f32_e64 v35, |v31|, 1.0
	v_add_f32_e64 v23, |v30|, |v30|
	s_delay_alu instid0(VALU_DEP_2) | instskip(NEXT) | instid1(VALU_DEP_2)
	v_mul_f32_e32 v34, v34, v35
	v_max_num_f32_e32 v43, v23, v23
                                        ; implicit-def: $vgpr35
	s_and_saveexec_b32 s29, s6
	s_delay_alu instid0(SALU_CYCLE_1)
	s_xor_b32 s29, exec_lo, s29
	s_cbranch_execz .LBB74_185
; %bb.184:                              ;   in Loop: Header=BB74_4 Depth=1
	v_fma_f32 v34, -v30, v30, v34
	s_delay_alu instid0(VALU_DEP_1) | instskip(SKIP_1) | instid1(VALU_DEP_2)
	v_max_num_f32_e64 v35, |v34|, v43
	v_min_num_f32_e64 v43, |v34|, v43
	v_frexp_mant_f32_e32 v44, v35
	v_frexp_exp_i32_f32_e32 v35, v35
	s_delay_alu instid0(VALU_DEP_3) | instskip(SKIP_1) | instid1(VALU_DEP_4)
	v_frexp_exp_i32_f32_e32 v45, v43
	v_frexp_mant_f32_e32 v43, v43
	v_rcp_f32_e32 v44, v44
	s_delay_alu instid0(VALU_DEP_2) | instskip(SKIP_3) | instid1(TRANS32_DEP_1)
	v_sub_nc_u32_e32 v35, v45, v35
	v_cmp_gt_f32_e64 vcc_lo, v23, |v34|
	v_cmp_gt_i32_e64 s6, 0, v34
	v_cmp_class_f32_e64 s30, v34, 0x204
	v_mul_f32_e32 v43, v43, v44
	s_delay_alu instid0(VALU_DEP_1) | instskip(NEXT) | instid1(VALU_DEP_1)
	v_ldexp_f32 v35, v43, v35
	v_mul_f32_e32 v43, v35, v35
	s_delay_alu instid0(VALU_DEP_1) | instskip(NEXT) | instid1(VALU_DEP_1)
	v_fmaak_f32 v44, s22, v43, 0xbc7a590c
	v_fmaak_f32 v44, v43, v44, 0x3d29fb3f
	s_delay_alu instid0(VALU_DEP_1) | instskip(NEXT) | instid1(VALU_DEP_1)
	v_fmaak_f32 v44, v43, v44, 0xbd97d4d7
	v_fmaak_f32 v44, v43, v44, 0x3dd931b2
	;; [unrolled: 3-line block ×3, first 2 shown]
	s_delay_alu instid0(VALU_DEP_1) | instskip(NEXT) | instid1(VALU_DEP_1)
	v_fmaak_f32 v44, v43, v44, 0xbeaaaa62
	v_mul_f32_e32 v43, v43, v44
	s_delay_alu instid0(VALU_DEP_1) | instskip(NEXT) | instid1(VALU_DEP_1)
	v_fmac_f32_e32 v35, v35, v43
	v_sub_f32_e32 v43, 0x3fc90fdb, v35
	s_delay_alu instid0(VALU_DEP_1) | instskip(SKIP_1) | instid1(VALU_DEP_2)
	v_cndmask_b32_e32 v35, v35, v43, vcc_lo
	v_cmp_gt_f32_e32 vcc_lo, 0, v34
	v_sub_f32_e32 v43, 0x40490fdb, v35
	v_cndmask_b32_e32 v44, 0x3f490fdb, v42, vcc_lo
	s_delay_alu instid0(VALU_DEP_2) | instskip(SKIP_3) | instid1(VALU_DEP_2)
	v_cndmask_b32_e32 v35, v35, v43, vcc_lo
	v_cndmask_b32_e64 v43, 0, 0x40490fdb, s6
	v_cmp_eq_f32_e64 s6, 0, v23
	v_cmp_eq_f32_e32 vcc_lo, 0x7f800000, v23
	v_cndmask_b32_e64 v23, |v35|, v43, s6
	s_and_b32 vcc_lo, vcc_lo, s30
                                        ; implicit-def: $vgpr43
	s_delay_alu instid0(VALU_DEP_1) | instskip(SKIP_1) | instid1(VALU_DEP_2)
	v_cndmask_b32_e32 v23, v23, v44, vcc_lo
	v_cmp_o_f32_e32 vcc_lo, v34, v34
                                        ; implicit-def: $vgpr34
	v_cndmask_b32_e32 v35, 0x7fc00000, v23, vcc_lo
                                        ; implicit-def: $vgpr23
.LBB74_185:                             ;   in Loop: Header=BB74_4 Depth=1
	s_and_not1_saveexec_b32 s29, s29
	s_cbranch_execz .LBB74_187
; %bb.186:                              ;   in Loop: Header=BB74_4 Depth=1
	v_max_num_f32_e64 v35, |v34|, |v34|
	v_cmp_gt_f32_e64 vcc_lo, v23, |v34|
	v_cmp_gt_i32_e64 s6, 0, v34
	v_cmp_class_f32_e64 s30, v34, 0x204
	s_delay_alu instid0(VALU_DEP_4) | instskip(NEXT) | instid1(VALU_DEP_1)
	v_dual_max_num_f32 v44, v35, v43 :: v_dual_min_num_f32 v35, v35, v43
	v_frexp_mant_f32_e32 v45, v44
	v_frexp_exp_i32_f32_e32 v43, v44
	s_delay_alu instid0(VALU_DEP_2)
	v_rcp_f32_e32 v44, v45
	v_nop
	v_frexp_exp_i32_f32_e32 v45, v35
	v_frexp_mant_f32_e32 v35, v35
	s_delay_alu instid0(TRANS32_DEP_1) | instid1(VALU_DEP_1)
	v_dual_sub_nc_u32 v43, v45, v43 :: v_dual_mul_f32 v35, v35, v44
	s_delay_alu instid0(VALU_DEP_1) | instskip(NEXT) | instid1(VALU_DEP_1)
	v_ldexp_f32 v35, v35, v43
	v_mul_f32_e32 v43, v35, v35
	s_delay_alu instid0(VALU_DEP_1) | instskip(NEXT) | instid1(VALU_DEP_1)
	v_fmaak_f32 v44, s22, v43, 0xbc7a590c
	v_fmaak_f32 v44, v43, v44, 0x3d29fb3f
	s_delay_alu instid0(VALU_DEP_1) | instskip(NEXT) | instid1(VALU_DEP_1)
	v_fmaak_f32 v44, v43, v44, 0xbd97d4d7
	v_fmaak_f32 v44, v43, v44, 0x3dd931b2
	;; [unrolled: 3-line block ×3, first 2 shown]
	s_delay_alu instid0(VALU_DEP_1) | instskip(NEXT) | instid1(VALU_DEP_1)
	v_fmaak_f32 v44, v43, v44, 0xbeaaaa62
	v_mul_f32_e32 v43, v43, v44
	s_delay_alu instid0(VALU_DEP_1) | instskip(NEXT) | instid1(VALU_DEP_1)
	v_fmac_f32_e32 v35, v35, v43
	v_sub_f32_e32 v43, 0x3fc90fdb, v35
	s_delay_alu instid0(VALU_DEP_1) | instskip(SKIP_1) | instid1(VALU_DEP_2)
	v_cndmask_b32_e32 v35, v35, v43, vcc_lo
	v_cmp_gt_f32_e32 vcc_lo, 0, v34
	v_sub_f32_e32 v43, 0x40490fdb, v35
	v_cndmask_b32_e32 v44, 0x3f490fdb, v42, vcc_lo
	s_delay_alu instid0(VALU_DEP_2) | instskip(SKIP_3) | instid1(VALU_DEP_2)
	v_cndmask_b32_e32 v35, v35, v43, vcc_lo
	v_cndmask_b32_e64 v43, 0, 0x40490fdb, s6
	v_cmp_eq_f32_e64 s6, 0, v23
	v_cmp_eq_f32_e32 vcc_lo, 0x7f800000, v23
	v_cndmask_b32_e64 v23, |v35|, v43, s6
	s_and_b32 vcc_lo, vcc_lo, s30
	s_delay_alu instid0(VALU_DEP_1) | instskip(SKIP_1) | instid1(VALU_DEP_2)
	v_cndmask_b32_e32 v23, v23, v44, vcc_lo
	v_cmp_o_f32_e32 vcc_lo, v34, v34
	v_cndmask_b32_e32 v35, 0x7fc00000, v23, vcc_lo
.LBB74_187:                             ;   in Loop: Header=BB74_4 Depth=1
	s_or_b32 exec_lo, exec_lo, s29
                                        ; implicit-def: $vgpr23
	s_and_not1_saveexec_b32 s6, s28
	s_cbranch_execnz .LBB74_189
	s_branch .LBB74_190
.LBB74_188:                             ;   in Loop: Header=BB74_4 Depth=1
	s_and_not1_saveexec_b32 s6, s28
	s_cbranch_execz .LBB74_190
.LBB74_189:                             ;   in Loop: Header=BB74_4 Depth=1
	v_dual_max_num_f32 v34, 2.0, v23 :: v_dual_min_num_f32 v23, 2.0, v23
	v_cmp_lt_f32_e64 vcc_lo, |v30|, 2.0
	s_delay_alu instid0(VALU_DEP_2) | instskip(SKIP_1) | instid1(VALU_DEP_4)
	v_frexp_mant_f32_e32 v35, v34
	v_frexp_exp_i32_f32_e32 v34, v34
	v_frexp_mant_f32_e32 v43, v23
	v_frexp_exp_i32_f32_e32 v23, v23
	s_delay_alu instid0(VALU_DEP_4) | instskip(NEXT) | instid1(VALU_DEP_1)
	v_rcp_f32_e32 v35, v35
	v_sub_nc_u32_e32 v23, v23, v34
	s_delay_alu instid0(TRANS32_DEP_1) | instskip(NEXT) | instid1(VALU_DEP_1)
	v_mul_f32_e32 v35, v43, v35
	v_ldexp_f32 v23, v35, v23
	s_delay_alu instid0(VALU_DEP_1) | instskip(NEXT) | instid1(VALU_DEP_1)
	v_mul_f32_e32 v34, v23, v23
	v_fmaak_f32 v35, s22, v34, 0xbc7a590c
	s_delay_alu instid0(VALU_DEP_1) | instskip(NEXT) | instid1(VALU_DEP_1)
	v_fmaak_f32 v35, v34, v35, 0x3d29fb3f
	v_fmaak_f32 v35, v34, v35, 0xbd97d4d7
	s_delay_alu instid0(VALU_DEP_1) | instskip(NEXT) | instid1(VALU_DEP_1)
	v_fmaak_f32 v35, v34, v35, 0x3dd931b2
	;; [unrolled: 3-line block ×3, first 2 shown]
	v_fmaak_f32 v35, v34, v35, 0xbeaaaa62
	s_delay_alu instid0(VALU_DEP_1) | instskip(NEXT) | instid1(VALU_DEP_1)
	v_mul_f32_e32 v34, v34, v35
	v_fmac_f32_e32 v23, v23, v34
	s_delay_alu instid0(VALU_DEP_1) | instskip(NEXT) | instid1(VALU_DEP_1)
	v_sub_f32_e32 v34, 0x3fc90fdb, v23
	v_cndmask_b32_e32 v23, v23, v34, vcc_lo
	v_cmp_lg_f32_e32 vcc_lo, 0, v30
	s_delay_alu instid0(VALU_DEP_2) | instskip(NEXT) | instid1(VALU_DEP_1)
	v_sub_f32_e32 v34, 0x40490fdb, v23
	v_cndmask_b32_e32 v23, v23, v34, vcc_lo
	s_delay_alu instid0(VALU_DEP_1)
	v_and_b32_e32 v35, 0x7fffffff, v23
.LBB74_190:                             ;   in Loop: Header=BB74_4 Depth=1
	s_or_b32 exec_lo, exec_lo, s6
	s_delay_alu instid0(VALU_DEP_1) | instskip(SKIP_1) | instid1(VALU_DEP_2)
	v_mul_f32_e32 v23, 0.5, v35
	v_bfi_b32 v35, 0x7fffffff, v25, v31
	v_bfi_b32 v34, 0x7fffffff, v23, v30
                                        ; implicit-def: $vgpr31
.LBB74_191:                             ;   in Loop: Header=BB74_4 Depth=1
	s_and_not1_saveexec_b32 s6, s27
	s_cbranch_execz .LBB74_193
; %bb.192:                              ;   in Loop: Header=BB74_4 Depth=1
	flat_store_b32 v[8:9], v41 scope:SCOPE_SYS
	s_wait_storecnt 0x0
	flat_load_b32 v23, v[8:9] scope:SCOPE_SYS
	s_wait_loadcnt 0x0
	v_dual_mov_b32 v34, v30 :: v_dual_mov_b32 v35, v31
	s_wait_dscnt 0x0
	v_add_f32_e32 v23, 1.0, v23
	flat_store_b32 v[14:15], v23 scope:SCOPE_SYS
	s_wait_storecnt 0x0
	flat_load_b32 v23, v[14:15] scope:SCOPE_SYS
	s_wait_loadcnt 0x0
.LBB74_193:                             ;   in Loop: Header=BB74_4 Depth=1
	s_wait_xcnt 0x0
	s_or_b32 exec_lo, exec_lo, s6
                                        ; implicit-def: $vgpr30
.LBB74_194:                             ;   in Loop: Header=BB74_4 Depth=1
	s_and_not1_saveexec_b32 s6, s26
	s_cbranch_execz .LBB74_208
; %bb.195:                              ;   in Loop: Header=BB74_4 Depth=1
	s_wait_dscnt 0x0
	v_and_b32_e32 v23, 0x7f800000, v31
	v_and_b32_e32 v25, 0x7f800000, v30
	v_cmp_neq_f32_e64 s26, 0x7f800000, |v31|
                                        ; implicit-def: $vgpr35
	s_delay_alu instid0(VALU_DEP_2) | instskip(NEXT) | instid1(VALU_DEP_1)
	v_sub_nc_u32_e32 v34, v23, v25
	v_cmp_gt_i32_e32 vcc_lo, 0x6800000, v34
	s_and_b32 s26, s26, vcc_lo
	s_delay_alu instid0(SALU_CYCLE_1) | instskip(NEXT) | instid1(SALU_CYCLE_1)
	s_and_saveexec_b32 s27, s26
	s_xor_b32 s26, exec_lo, s27
	s_cbranch_execz .LBB74_205
; %bb.196:                              ;   in Loop: Header=BB74_4 Depth=1
	v_sub_nc_u32_e32 v25, v25, v23
	s_mov_b32 s27, exec_lo
                                        ; implicit-def: $vgpr35
	s_delay_alu instid0(VALU_DEP_1)
	v_cmpx_gt_i32_e32 0x6800000, v25
	s_xor_b32 s27, exec_lo, s27
	s_cbranch_execz .LBB74_202
; %bb.197:                              ;   in Loop: Header=BB74_4 Depth=1
	s_mov_b32 s28, exec_lo
                                        ; implicit-def: $vgpr35
	v_cmpx_lt_u32_e32 0x59000000, v23
	s_xor_b32 s28, exec_lo, s28
	s_cbranch_execz .LBB74_199
; %bb.198:                              ;   in Loop: Header=BB74_4 Depth=1
	v_sub_nc_u32_e32 v34, 0x7f800000, v23
	s_delay_alu instid0(VALU_DEP_1) | instskip(NEXT) | instid1(VALU_DEP_1)
	v_pk_mul_f32 v[44:45], v[30:31], v[34:35] op_sel_hi:[1,0]
	v_pk_mul_f32 v[46:47], v[44:45], v[44:45]
	s_delay_alu instid0(VALU_DEP_1) | instskip(NEXT) | instid1(VALU_DEP_1)
	v_add_f32_e32 v23, v47, v46
	v_div_scale_f32 v25, null, v23, v23, v45
	s_delay_alu instid0(VALU_DEP_1) | instskip(SKIP_1) | instid1(TRANS32_DEP_1)
	v_rcp_f32_e32 v31, v25
	v_nop
	v_fma_f32 v35, -v25, v31, 1.0
	s_delay_alu instid0(VALU_DEP_1) | instskip(SKIP_1) | instid1(VALU_DEP_1)
	v_fmac_f32_e32 v31, v35, v31
	v_div_scale_f32 v35, vcc_lo, v45, v23, v45
	v_mul_f32_e32 v43, v35, v31
	s_delay_alu instid0(VALU_DEP_1) | instskip(NEXT) | instid1(VALU_DEP_1)
	v_fma_f32 v44, -v25, v43, v35
	v_fmac_f32_e32 v43, v44, v31
	s_delay_alu instid0(VALU_DEP_1) | instskip(NEXT) | instid1(VALU_DEP_1)
	v_fma_f32 v25, -v25, v43, v35
	v_div_fmas_f32 v25, v25, v31, v43
	s_delay_alu instid0(VALU_DEP_1) | instskip(NEXT) | instid1(VALU_DEP_1)
	v_div_fixup_f32 v23, v25, v23, v45
	v_mul_f32_e32 v35, v23, v34
.LBB74_199:                             ;   in Loop: Header=BB74_4 Depth=1
	s_and_not1_saveexec_b32 s28, s28
	s_cbranch_execz .LBB74_201
; %bb.200:                              ;   in Loop: Header=BB74_4 Depth=1
	v_pk_mul_f32 v[34:35], v[30:31], v[30:31]
	s_delay_alu instid0(VALU_DEP_1) | instskip(NEXT) | instid1(VALU_DEP_1)
	v_add_f32_e32 v23, v35, v34
	v_div_scale_f32 v25, null, v23, v23, v31
	s_delay_alu instid0(VALU_DEP_1) | instskip(SKIP_1) | instid1(TRANS32_DEP_1)
	v_rcp_f32_e32 v34, v25
	v_nop
	v_fma_f32 v35, -v25, v34, 1.0
	s_delay_alu instid0(VALU_DEP_1) | instskip(SKIP_1) | instid1(VALU_DEP_1)
	v_fmac_f32_e32 v34, v35, v34
	v_div_scale_f32 v35, vcc_lo, v31, v23, v31
	v_mul_f32_e32 v43, v35, v34
	s_delay_alu instid0(VALU_DEP_1) | instskip(NEXT) | instid1(VALU_DEP_1)
	v_fma_f32 v44, -v25, v43, v35
	v_fmac_f32_e32 v43, v44, v34
	s_delay_alu instid0(VALU_DEP_1) | instskip(NEXT) | instid1(VALU_DEP_1)
	v_fma_f32 v25, -v25, v43, v35
	v_div_fmas_f32 v25, v25, v34, v43
	s_delay_alu instid0(VALU_DEP_1)
	v_div_fixup_f32 v35, v25, v23, v31
.LBB74_201:                             ;   in Loop: Header=BB74_4 Depth=1
	s_or_b32 exec_lo, exec_lo, s28
.LBB74_202:                             ;   in Loop: Header=BB74_4 Depth=1
	s_and_not1_saveexec_b32 s27, s27
	s_cbranch_execz .LBB74_204
; %bb.203:                              ;   in Loop: Header=BB74_4 Depth=1
	v_div_scale_f32 v23, null, v30, v30, v31
	v_div_scale_f32 v35, vcc_lo, v31, v30, v31
	s_delay_alu instid0(VALU_DEP_2) | instskip(SKIP_1) | instid1(TRANS32_DEP_1)
	v_rcp_f32_e32 v25, v23
	v_nop
	v_fma_f32 v34, -v23, v25, 1.0
	s_delay_alu instid0(VALU_DEP_1) | instskip(NEXT) | instid1(VALU_DEP_1)
	v_fmac_f32_e32 v25, v34, v25
	v_mul_f32_e32 v34, v35, v25
	s_delay_alu instid0(VALU_DEP_1) | instskip(NEXT) | instid1(VALU_DEP_1)
	v_fma_f32 v43, -v23, v34, v35
	v_fmac_f32_e32 v34, v43, v25
	s_delay_alu instid0(VALU_DEP_1) | instskip(NEXT) | instid1(VALU_DEP_1)
	v_fma_f32 v23, -v23, v34, v35
	v_div_fmas_f32 v23, v23, v25, v34
	s_delay_alu instid0(VALU_DEP_1) | instskip(NEXT) | instid1(VALU_DEP_1)
	v_div_fixup_f32 v23, v23, v30, v31
	v_div_scale_f32 v25, null, v30, v30, v23
	s_delay_alu instid0(VALU_DEP_1) | instskip(SKIP_1) | instid1(TRANS32_DEP_1)
	v_rcp_f32_e32 v31, v25
	v_nop
	v_fma_f32 v34, -v25, v31, 1.0
	s_delay_alu instid0(VALU_DEP_1) | instskip(SKIP_1) | instid1(VALU_DEP_1)
	v_fmac_f32_e32 v31, v34, v31
	v_div_scale_f32 v34, vcc_lo, v23, v30, v23
	v_mul_f32_e32 v35, v34, v31
	s_delay_alu instid0(VALU_DEP_1) | instskip(NEXT) | instid1(VALU_DEP_1)
	v_fma_f32 v43, -v25, v35, v34
	v_fmac_f32_e32 v35, v43, v31
	s_delay_alu instid0(VALU_DEP_1) | instskip(NEXT) | instid1(VALU_DEP_1)
	v_fma_f32 v25, -v25, v35, v34
	v_div_fmas_f32 v25, v25, v31, v35
	s_delay_alu instid0(VALU_DEP_1)
	v_div_fixup_f32 v35, v25, v30, v23
.LBB74_204:                             ;   in Loop: Header=BB74_4 Depth=1
	s_or_b32 exec_lo, exec_lo, s27
.LBB74_205:                             ;   in Loop: Header=BB74_4 Depth=1
	s_and_not1_saveexec_b32 s26, s26
	s_cbranch_execz .LBB74_207
; %bb.206:                              ;   in Loop: Header=BB74_4 Depth=1
	v_div_scale_f32 v23, null, v31, v31, 1.0
	s_delay_alu instid0(VALU_DEP_1) | instskip(SKIP_1) | instid1(TRANS32_DEP_1)
	v_rcp_f32_e32 v25, v23
	v_nop
	v_fma_f32 v34, -v23, v25, 1.0
	s_delay_alu instid0(VALU_DEP_1) | instskip(SKIP_1) | instid1(VALU_DEP_1)
	v_fmac_f32_e32 v25, v34, v25
	v_div_scale_f32 v34, vcc_lo, 1.0, v31, 1.0
	v_mul_f32_e32 v35, v34, v25
	s_delay_alu instid0(VALU_DEP_1) | instskip(NEXT) | instid1(VALU_DEP_1)
	v_fma_f32 v43, -v23, v35, v34
	v_fmac_f32_e32 v35, v43, v25
	s_delay_alu instid0(VALU_DEP_1) | instskip(NEXT) | instid1(VALU_DEP_1)
	v_fma_f32 v23, -v23, v35, v34
	v_div_fmas_f32 v23, v23, v25, v35
	s_delay_alu instid0(VALU_DEP_1)
	v_div_fixup_f32 v35, v23, v31, 1.0
.LBB74_207:                             ;   in Loop: Header=BB74_4 Depth=1
	s_or_b32 exec_lo, exec_lo, s26
	flat_load_b32 v23, v[6:7] scope:SCOPE_SYS
	s_wait_loadcnt_dscnt 0x0
	v_add_f32_e32 v23, 0x3fc90fdb, v23
	s_delay_alu instid0(VALU_DEP_1)
	v_bfi_b32 v34, 0x7fffffff, v23, v30
.LBB74_208:                             ;   in Loop: Header=BB74_4 Depth=1
	s_or_b32 exec_lo, exec_lo, s6
                                        ; implicit-def: $vgpr31
.LBB74_209:                             ;   in Loop: Header=BB74_4 Depth=1
	s_and_not1_saveexec_b32 s6, s25
	s_cbranch_execz .LBB74_219
; %bb.210:                              ;   in Loop: Header=BB74_4 Depth=1
	v_cmp_neq_f32_e64 s25, 0x7f800000, |v31|
                                        ; implicit-def: $vgpr35
	s_and_saveexec_b32 s26, s25
	s_delay_alu instid0(SALU_CYCLE_1)
	s_xor_b32 s25, exec_lo, s26
	s_cbranch_execz .LBB74_216
; %bb.211:                              ;   in Loop: Header=BB74_4 Depth=1
	v_cmp_neq_f32_e64 s26, 0x7f800000, |v30|
                                        ; implicit-def: $vgpr35
	s_and_saveexec_b32 s27, s26
	s_delay_alu instid0(SALU_CYCLE_1)
	s_xor_b32 s26, exec_lo, s27
	s_cbranch_execz .LBB74_213
; %bb.212:                              ;   in Loop: Header=BB74_4 Depth=1
	s_wait_dscnt 0x0
	v_add_f32_e32 v23, 0, v30
	s_delay_alu instid0(VALU_DEP_1)
	v_add_f32_e32 v35, v31, v23
                                        ; implicit-def: $vgpr30_vgpr31
.LBB74_213:                             ;   in Loop: Header=BB74_4 Depth=1
	s_or_saveexec_b32 s26, s26
	s_delay_alu instid0(VALU_DEP_1)
	v_mov_b32_e32 v34, v35
	s_xor_b32 exec_lo, exec_lo, s26
	s_cbranch_execz .LBB74_215
; %bb.214:                              ;   in Loop: Header=BB74_4 Depth=1
	s_wait_dscnt 0x0
	flat_load_b32 v23, v[6:7] scope:SCOPE_SYS
	s_wait_loadcnt 0x0
	v_bfi_b32 v35, 0x7fffffff, 0, v31
	s_wait_dscnt 0x0
	v_add_f32_e32 v23, 0x3fc90fdb, v23
	s_delay_alu instid0(VALU_DEP_1)
	v_bfi_b32 v34, 0x7fffffff, v23, v30
.LBB74_215:                             ;   in Loop: Header=BB74_4 Depth=1
	s_wait_xcnt 0x0
	s_or_b32 exec_lo, exec_lo, s26
                                        ; implicit-def: $vgpr31
.LBB74_216:                             ;   in Loop: Header=BB74_4 Depth=1
	s_and_not1_saveexec_b32 s25, s25
; %bb.217:                              ;   in Loop: Header=BB74_4 Depth=1
	v_bfi_b32 v35, 0x7fffffff, 0, v31
	v_add_f32_e32 v34, v30, v30
; %bb.218:                              ;   in Loop: Header=BB74_4 Depth=1
	s_or_b32 exec_lo, exec_lo, s25
.LBB74_219:                             ;   in Loop: Header=BB74_4 Depth=1
	s_delay_alu instid0(SALU_CYCLE_1)
	s_or_b32 exec_lo, exec_lo, s6
                                        ; implicit-def: $vgpr30
.LBB74_220:                             ;   in Loop: Header=BB74_4 Depth=1
	s_and_not1_saveexec_b32 s6, s24
	s_cbranch_execz .LBB74_222
; %bb.221:                              ;   in Loop: Header=BB74_4 Depth=1
	s_wait_dscnt 0x0
	v_rcp_f32_e64 v23, |v30|
	v_cmp_gt_f32_e64 vcc_lo, |v30|, 1.0
	v_mov_b32_e32 v35, v31
	s_delay_alu instid0(TRANS32_DEP_1) | instid1(VALU_DEP_2)
	v_cndmask_b32_e64 v23, |v30|, v23, vcc_lo
	s_delay_alu instid0(VALU_DEP_1) | instskip(NEXT) | instid1(VALU_DEP_1)
	v_mul_f32_e32 v25, v23, v23
	v_fmaak_f32 v34, s22, v25, 0xbc7a590c
	s_delay_alu instid0(VALU_DEP_1) | instskip(NEXT) | instid1(VALU_DEP_1)
	v_fmaak_f32 v34, v25, v34, 0x3d29fb3f
	v_fmaak_f32 v34, v25, v34, 0xbd97d4d7
	s_delay_alu instid0(VALU_DEP_1) | instskip(NEXT) | instid1(VALU_DEP_1)
	v_fmaak_f32 v34, v25, v34, 0x3dd931b2
	v_fmaak_f32 v34, v25, v34, 0xbe1160e6
	s_delay_alu instid0(VALU_DEP_1) | instskip(NEXT) | instid1(VALU_DEP_1)
	v_fmaak_f32 v34, v25, v34, 0x3e4cb8bf
	v_fmaak_f32 v34, v25, v34, 0xbeaaaa62
	s_delay_alu instid0(VALU_DEP_1) | instskip(NEXT) | instid1(VALU_DEP_1)
	v_mul_f32_e32 v25, v25, v34
	v_fmac_f32_e32 v23, v23, v25
	s_delay_alu instid0(VALU_DEP_1) | instskip(NEXT) | instid1(VALU_DEP_1)
	v_sub_f32_e32 v25, 0x3fc90fdb, v23
	v_cndmask_b32_e32 v23, v23, v25, vcc_lo
	s_delay_alu instid0(VALU_DEP_1)
	v_bfi_b32 v34, 0x7fffffff, v23, v30
.LBB74_222:                             ;   in Loop: Header=BB74_4 Depth=1
	s_or_b32 exec_lo, exec_lo, s6
                                        ; implicit-def: $vgpr31
	s_and_not1_saveexec_b32 s6, s23
	s_cbranch_execnz .LBB74_176
.LBB74_223:                             ;   in Loop: Header=BB74_4 Depth=1
	s_or_b32 exec_lo, exec_lo, s6
	s_and_saveexec_b32 s6, s2
	s_delay_alu instid0(SALU_CYCLE_1)
	s_xor_b32 s2, exec_lo, s6
	s_cbranch_execz .LBB74_177
.LBB74_224:                             ;   in Loop: Header=BB74_4 Depth=1
	global_store_b64 v[12:13], v[32:33], off
	s_wait_xcnt 0x0
	s_or_b32 exec_lo, exec_lo, s2
	s_and_saveexec_b32 s2, s3
	s_cbranch_execnz .LBB74_178
.LBB74_225:                             ;   in Loop: Header=BB74_4 Depth=1
	s_or_b32 exec_lo, exec_lo, s2
	s_and_saveexec_b32 s2, s4
	s_cbranch_execz .LBB74_179
.LBB74_226:                             ;   in Loop: Header=BB74_4 Depth=1
	global_store_b64 v[26:27], v[38:39], off
	s_wait_xcnt 0x0
	s_or_b32 exec_lo, exec_lo, s2
	s_and_saveexec_b32 s2, s5
	s_cbranch_execz .LBB74_3
.LBB74_227:                             ;   in Loop: Header=BB74_4 Depth=1
	global_store_b64 v[28:29], v[34:35], off
	s_branch .LBB74_3
.LBB74_228:
	s_cbranch_execz .LBB74_230
	s_branch .LBB74_441
.LBB74_229:
.LBB74_230:
	v_min_i64 v[14:15], 0x10000, s[10:11]
	v_dual_mov_b32 v3, 0 :: v_dual_lshlrev_b32 v2, 2, v0
	s_mov_b32 s2, exec_lo
	s_delay_alu instid0(VALU_DEP_1)
	v_cmpx_lt_i64_e64 v[2:3], v[14:15]
	s_cbranch_execz .LBB74_441
; %bb.231:
	v_mbcnt_lo_u32_b32 v1, -1, 0
	v_mov_b32_e32 v4, 8
	v_mov_b32_e32 v28, 0x248d3132
	v_mov_b32_e32 v22, -1.0
	s_delay_alu instid0(VALU_DEP_4)
	v_dual_mov_b32 v24, 0x3f317218 :: v_dual_lshlrev_b32 v5, 20, v1
	v_mov_b32_e32 v30, 0x4016cbe4
	s_add_nc_u64 s[2:3], s[0:1], 0xd30
	s_mov_b32 s1, 0
	s_mov_b32 s4, 0x3e9b6dac
	v_add_nc_u64_e32 v[16:17], src_flat_scratch_base_lo, v[4:5]
	v_dual_mov_b32 v4, 0 :: v_dual_mov_b32 v1, v3
	s_mov_b32 s5, 0x3b2d2a58
	s_mov_b32 s6, 0
	v_mov_b32_e32 v29, 0xd800000
	s_delay_alu instid0(VALU_DEP_2) | instskip(SKIP_1) | instid1(VALU_DEP_1)
	v_add_nc_u64_e32 v[18:19], src_flat_scratch_base_lo, v[4:5]
	v_mov_b32_e32 v4, 4
	v_add_nc_u64_e32 v[20:21], src_flat_scratch_base_lo, v[4:5]
	s_branch .LBB74_233
.LBB74_232:                             ;   in Loop: Header=BB74_233 Depth=1
	s_or_b32 exec_lo, exec_lo, s0
	s_clause 0x1
	global_store_b128 v[26:27], v[6:9], off
	global_store_b128 v[26:27], v[10:13], off offset:16
	s_load_b32 s0, s[2:3], 0xc
	s_wait_kmcnt 0x0
	s_and_b32 s0, s0, 0xffff
	s_delay_alu instid0(SALU_CYCLE_1) | instskip(SKIP_1) | instid1(VALU_DEP_1)
	v_add_nc_u64_e32 v[0:1], s[0:1], v[0:1]
	s_wait_dscnt 0x0
	v_lshlrev_b64_e32 v[2:3], 2, v[0:1]
	s_delay_alu instid0(VALU_DEP_1) | instskip(SKIP_1) | instid1(SALU_CYCLE_1)
	v_cmp_ge_i64_e32 vcc_lo, v[2:3], v[14:15]
	s_or_b32 s6, vcc_lo, s6
	s_and_not1_b32 exec_lo, exec_lo, s6
	s_cbranch_execz .LBB74_441
.LBB74_233:                             ; =>This Inner Loop Header: Depth=1
	v_lshlrev_b64_e32 v[2:3], 5, v[0:1]
                                        ; implicit-def: $vgpr7
	s_delay_alu instid0(VALU_DEP_1)
	v_add_nc_u64_e32 v[26:27], s[8:9], v[2:3]
	s_clause 0x1
	global_load_b128 v[10:13], v[26:27], off
	global_load_b128 v[2:5], v[26:27], off offset:16
	flat_store_b32 v[16:17], v28 scope:SCOPE_SYS
	s_wait_storecnt 0x0
	s_wait_loadcnt 0x1
	v_cmp_neq_f32_e32 vcc_lo, 0, v10
	v_cmp_nle_f32_e64 s0, |v11|, 1.0
	s_or_b32 s0, vcc_lo, s0
	s_wait_xcnt 0x0
	s_and_saveexec_b32 s7, s0
	s_delay_alu instid0(SALU_CYCLE_1)
	s_xor_b32 s7, exec_lo, s7
	s_cbranch_execz .LBB74_283
; %bb.234:                              ;   in Loop: Header=BB74_233 Depth=1
                                        ; implicit-def: $vgpr7
	s_mov_b32 s0, exec_lo
	v_cmpx_neq_f32_e32 0, v11
	s_xor_b32 s10, exec_lo, s0
	s_cbranch_execz .LBB74_280
; %bb.235:                              ;   in Loop: Header=BB74_233 Depth=1
                                        ; implicit-def: $vgpr7
	s_mov_b32 s0, exec_lo
	v_cmpx_o_f32_e32 v11, v10
	s_xor_b32 s11, exec_lo, s0
	s_cbranch_execz .LBB74_269
; %bb.236:                              ;   in Loop: Header=BB74_233 Depth=1
	v_max_num_f32_e64 v7, |v11|, |v11|
	v_max_num_f32_e64 v6, |v10|, |v10|
	s_delay_alu instid0(VALU_DEP_1) | instskip(NEXT) | instid1(VALU_DEP_1)
	v_max_num_f32_e32 v7, v6, v7
	v_cmp_nlt_f32_e32 vcc_lo, 0x4b000000, v7
                                        ; implicit-def: $vgpr7
	s_and_saveexec_b32 s0, vcc_lo
	s_delay_alu instid0(SALU_CYCLE_1)
	s_xor_b32 s12, exec_lo, s0
	s_cbranch_execz .LBB74_254
; %bb.237:                              ;   in Loop: Header=BB74_233 Depth=1
	v_cmp_ngt_f32_e64 s0, 0x399cc471, |v11|
	v_cmp_ngt_f32_e64 s13, 0x399cc471, |v10|
                                        ; implicit-def: $vgpr7
	s_or_b32 s0, s13, s0
	s_delay_alu instid0(SALU_CYCLE_1) | instskip(NEXT) | instid1(SALU_CYCLE_1)
	s_and_saveexec_b32 s13, s0
	s_xor_b32 s13, exec_lo, s13
	s_cbranch_execz .LBB74_251
; %bb.238:                              ;   in Loop: Header=BB74_233 Depth=1
	v_cmp_neq_f32_e64 s14, |v11|, 1.0
	v_cmp_ngt_f32_e64 s0, 0x34000000, |v10|
                                        ; implicit-def: $vgpr7
	s_or_b32 s15, s0, s14
	s_delay_alu instid0(SALU_CYCLE_1) | instskip(NEXT) | instid1(SALU_CYCLE_1)
	s_and_saveexec_b32 s16, s15
	s_xor_b32 s15, exec_lo, s16
	s_cbranch_execz .LBB74_240
; %bb.239:                              ;   in Loop: Header=BB74_233 Depth=1
	v_add_f32_e64 v9, |v11|, -1.0
	v_cmp_gt_f32_e64 vcc_lo, 0x20000000, |v10|
	v_mov_b32_e32 v8, v10
	s_delay_alu instid0(VALU_DEP_1) | instskip(NEXT) | instid1(VALU_DEP_1)
	v_pk_mul_f32 v[8:9], v[8:9], v[8:9]
	v_add_f32_e32 v7, v8, v9
	v_mul_f32_e64 v8, |v11|, 4.0
	s_delay_alu instid0(VALU_DEP_2) | instskip(NEXT) | instid1(VALU_DEP_1)
	v_cndmask_b32_e32 v7, v7, v9, vcc_lo
	v_div_scale_f32 v9, null, v7, v7, v8
	v_div_scale_f32 v31, vcc_lo, v8, v7, v8
	s_wait_dscnt 0x1
	s_delay_alu instid0(VALU_DEP_2) | instskip(SKIP_1) | instid1(TRANS32_DEP_1)
	v_rcp_f32_e32 v23, v9
	v_nop
	v_fma_f32 v25, -v9, v23, 1.0
	s_delay_alu instid0(VALU_DEP_1) | instskip(NEXT) | instid1(VALU_DEP_1)
	v_fmac_f32_e32 v23, v25, v23
	v_mul_f32_e32 v25, v31, v23
	s_delay_alu instid0(VALU_DEP_1) | instskip(NEXT) | instid1(VALU_DEP_1)
	v_fma_f32 v32, -v9, v25, v31
	v_fmac_f32_e32 v25, v32, v23
	s_delay_alu instid0(VALU_DEP_1) | instskip(NEXT) | instid1(VALU_DEP_1)
	v_fma_f32 v9, -v9, v25, v31
	v_div_fmas_f32 v9, v9, v23, v25
	s_delay_alu instid0(VALU_DEP_1) | instskip(NEXT) | instid1(VALU_DEP_1)
	v_div_fixup_f32 v8, v9, v7, v8
	v_add_f32_e32 v33, 1.0, v8
	s_delay_alu instid0(VALU_DEP_1) | instskip(SKIP_2) | instid1(VALU_DEP_2)
	v_cvt_f64_f32_e32 v[34:35], v33
	v_frexp_mant_f32_e32 v23, v33
	v_add_f32_e32 v9, -1.0, v33
	v_cmp_gt_f32_e32 vcc_lo, 0x3f2aaaab, v23
	s_delay_alu instid0(VALU_DEP_4) | instskip(NEXT) | instid1(VALU_DEP_1)
	v_frexp_exp_i32_f64_e32 v7, v[34:35]
	v_subrev_co_ci_u32_e64 v7, null, 0, v7, vcc_lo
	s_delay_alu instid0(VALU_DEP_4) | instskip(SKIP_1) | instid1(VALU_DEP_3)
	v_mov_b32_e32 v32, v9
	v_cmp_neq_f32_e32 vcc_lo, 0x7f800000, v8
	v_sub_nc_u32_e32 v23, 0, v7
	s_delay_alu instid0(VALU_DEP_3) | instskip(NEXT) | instid1(VALU_DEP_2)
	v_pk_add_f32 v[34:35], v[8:9], v[32:33] neg_lo:[0,1] neg_hi:[0,1]
	v_ldexp_f32 v9, v33, v23
	s_delay_alu instid0(VALU_DEP_1) | instskip(NEXT) | instid1(VALU_DEP_1)
	v_dual_add_f32 v25, 1.0, v35 :: v_dual_add_f32 v31, 1.0, v9
	v_dual_add_f32 v25, v34, v25 :: v_dual_add_f32 v32, -1.0, v31
	v_add_f32_e32 v37, -1.0, v9
	s_delay_alu instid0(VALU_DEP_2) | instskip(NEXT) | instid1(VALU_DEP_2)
	v_ldexp_f32 v23, v25, v23
	v_dual_sub_f32 v25, v9, v32 :: v_dual_add_f32 v32, 1.0, v37
	s_delay_alu instid0(VALU_DEP_1) | instskip(NEXT) | instid1(VALU_DEP_1)
	v_dual_add_f32 v25, v23, v25 :: v_dual_sub_f32 v9, v9, v32
	v_add_f32_e32 v38, v31, v25
	s_delay_alu instid0(VALU_DEP_1) | instskip(NEXT) | instid1(VALU_DEP_1)
	v_dual_add_f32 v9, v23, v9 :: v_dual_sub_f32 v31, v38, v31
	v_sub_f32_e32 v25, v25, v31
	v_rcp_f32_e32 v23, v38
	s_delay_alu instid0(VALU_DEP_2)
	v_add_f32_e32 v33, v37, v9
	s_delay_alu instid0(TRANS32_DEP_1) | instid1(VALU_DEP_1)
	v_mul_f32_e32 v39, v33, v23
	s_delay_alu instid0(VALU_DEP_1) | instskip(NEXT) | instid1(VALU_DEP_1)
	v_dual_mul_f32 v34, v38, v39 :: v_dual_sub_f32 v31, v33, v37
	v_dual_fma_f32 v36, v39, v38, -v34 :: v_dual_sub_f32 v9, v9, v31
	s_delay_alu instid0(VALU_DEP_1) | instskip(NEXT) | instid1(VALU_DEP_1)
	v_fmac_f32_e32 v36, v39, v25
	v_add_f32_e32 v32, v34, v36
	s_delay_alu instid0(VALU_DEP_1) | instskip(NEXT) | instid1(VALU_DEP_1)
	v_dual_sub_f32 v35, v33, v32 :: v_dual_mov_b32 v37, v32
	v_pk_add_f32 v[32:33], v[32:33], v[34:35] neg_lo:[0,1] neg_hi:[0,1]
	s_delay_alu instid0(VALU_DEP_1) | instskip(NEXT) | instid1(VALU_DEP_1)
	v_pk_add_f32 v[32:33], v[32:33], v[36:37] neg_lo:[0,1] neg_hi:[0,1]
	v_add_f32_e32 v9, v9, v33
	s_delay_alu instid0(VALU_DEP_1) | instskip(NEXT) | instid1(VALU_DEP_1)
	v_add_f32_e32 v9, v32, v9
	v_add_f32_e32 v33, v35, v9
	s_delay_alu instid0(VALU_DEP_1) | instskip(NEXT) | instid1(VALU_DEP_1)
	v_mul_f32_e32 v31, v23, v33
	v_mul_f32_e32 v36, v38, v31
	s_delay_alu instid0(VALU_DEP_1) | instskip(SKIP_1) | instid1(VALU_DEP_2)
	v_fma_f32 v34, v31, v38, -v36
	v_add_f32_e32 v38, v39, v31
	v_fmac_f32_e32 v34, v31, v25
	s_delay_alu instid0(VALU_DEP_1) | instskip(NEXT) | instid1(VALU_DEP_1)
	v_dual_add_f32 v32, v36, v34 :: v_dual_sub_f32 v25, v35, v33
	v_dual_mov_b32 v35, v32 :: v_dual_sub_f32 v37, v33, v32
	s_delay_alu instid0(VALU_DEP_2) | instskip(NEXT) | instid1(VALU_DEP_2)
	v_dual_add_f32 v9, v9, v25 :: v_dual_sub_f32 v25, v38, v39
	v_pk_add_f32 v[32:33], v[32:33], v[36:37] neg_lo:[0,1] neg_hi:[0,1]
	s_delay_alu instid0(VALU_DEP_2) | instskip(NEXT) | instid1(VALU_DEP_2)
	v_sub_f32_e32 v25, v31, v25
	v_pk_add_f32 v[32:33], v[32:33], v[34:35] neg_lo:[0,1] neg_hi:[0,1]
	s_delay_alu instid0(VALU_DEP_1) | instskip(NEXT) | instid1(VALU_DEP_1)
	v_add_f32_e32 v9, v9, v33
	v_add_f32_e32 v9, v32, v9
	v_cvt_f32_i32_e32 v32, v7
	s_delay_alu instid0(VALU_DEP_2) | instskip(NEXT) | instid1(VALU_DEP_1)
	v_add_f32_e32 v9, v37, v9
	v_mul_f32_e32 v9, v23, v9
	s_delay_alu instid0(VALU_DEP_1) | instskip(NEXT) | instid1(VALU_DEP_1)
	v_add_f32_e32 v9, v25, v9
	v_add_f32_e32 v23, v38, v9
	s_delay_alu instid0(VALU_DEP_1) | instskip(SKIP_2) | instid1(VALU_DEP_3)
	v_mul_f32_e32 v25, v23, v23
	v_ldexp_f32 v37, v23, 1
	v_sub_f32_e32 v7, v23, v38
	v_fmaak_f32 v31, s4, v25, 0x3ecc95a3
	v_mul_f32_e32 v33, v23, v25
	s_delay_alu instid0(VALU_DEP_2) | instskip(NEXT) | instid1(VALU_DEP_1)
	v_fmaak_f32 v25, v25, v31, 0x3f2aaada
	v_pk_mul_f32 v[34:35], v[32:33], v[24:25]
	s_delay_alu instid0(VALU_DEP_1) | instskip(SKIP_1) | instid1(VALU_DEP_2)
	v_fma_f32 v36, 0x3f317218, v32, -v34
	v_dual_mov_b32 v38, v34 :: v_dual_sub_f32 v7, v9, v7
	v_fmac_f32_e32 v36, 0xb102e308, v32
	s_delay_alu instid0(VALU_DEP_2) | instskip(NEXT) | instid1(VALU_DEP_2)
	v_ldexp_f32 v7, v7, 1
	v_pk_add_f32 v[32:33], v[34:35], v[36:37]
	s_delay_alu instid0(VALU_DEP_1) | instskip(NEXT) | instid1(VALU_DEP_1)
	v_dual_sub_f32 v9, v33, v37 :: v_dual_mov_b32 v46, v33
	v_dual_mov_b32 v37, v32 :: v_dual_sub_f32 v9, v35, v9
	v_pk_add_f32 v[34:35], v[32:33], v[34:35] neg_lo:[0,1] neg_hi:[0,1]
	s_delay_alu instid0(VALU_DEP_2) | instskip(NEXT) | instid1(VALU_DEP_1)
	v_add_f32_e32 v39, v7, v9
	v_pk_add_f32 v[40:41], v[32:33], v[38:39]
	s_delay_alu instid0(VALU_DEP_1) | instskip(NEXT) | instid1(VALU_DEP_1)
	v_mov_b32_e32 v35, v41
	v_pk_add_f32 v[42:43], v[36:37], v[34:35]
	v_pk_add_f32 v[34:35], v[36:37], v[34:35] neg_lo:[0,1] neg_hi:[0,1]
	s_delay_alu instid0(VALU_DEP_2) | instskip(NEXT) | instid1(VALU_DEP_1)
	v_mov_b32_e32 v38, v43
	v_pk_add_f32 v[44:45], v[38:39], v[32:33] neg_lo:[0,1] neg_hi:[0,1]
	v_dual_mov_b32 v42, v41 :: v_dual_mov_b32 v33, v32
	s_delay_alu instid0(VALU_DEP_2) | instskip(SKIP_1) | instid1(VALU_DEP_2)
	v_dual_mov_b32 v32, v39 :: v_dual_mov_b32 v47, v44
	v_mov_b32_e32 v7, v44
	v_pk_add_f32 v[44:45], v[42:43], v[46:47] neg_lo:[0,1] neg_hi:[0,1]
	s_delay_alu instid0(VALU_DEP_2) | instskip(SKIP_1) | instid1(VALU_DEP_3)
	v_pk_add_f32 v[36:37], v[40:41], v[6:7] neg_lo:[0,1] neg_hi:[0,1]
	v_mov_b32_e32 v36, v34
	v_pk_add_f32 v[32:33], v[32:33], v[44:45] neg_lo:[0,1] neg_hi:[0,1]
	s_delay_alu instid0(VALU_DEP_1) | instskip(NEXT) | instid1(VALU_DEP_1)
	v_pk_add_f32 v[36:37], v[36:37], v[32:33]
	v_mov_b32_e32 v40, v37
	s_delay_alu instid0(VALU_DEP_1) | instskip(NEXT) | instid1(VALU_DEP_1)
	v_pk_add_f32 v[40:41], v[36:37], v[40:41]
	v_pk_add_f32 v[38:39], v[38:39], v[40:41]
	s_delay_alu instid0(VALU_DEP_1) | instskip(NEXT) | instid1(VALU_DEP_1)
	v_dual_mov_b32 v35, v43 :: v_dual_mov_b32 v37, v38
	v_pk_add_f32 v[42:43], v[36:37], v[34:35] neg_lo:[0,1] neg_hi:[0,1]
	s_delay_alu instid0(VALU_DEP_1) | instskip(NEXT) | instid1(VALU_DEP_1)
	v_sub_f32_e32 v7, v36, v42
	v_dual_mov_b32 v33, v40 :: v_dual_sub_f32 v7, v34, v7
	s_delay_alu instid0(VALU_DEP_1) | instskip(NEXT) | instid1(VALU_DEP_1)
	v_pk_add_f32 v[32:33], v[32:33], v[42:43] neg_lo:[0,1] neg_hi:[0,1]
	v_add_f32_e32 v7, v32, v7
	s_delay_alu instid0(VALU_DEP_1) | instskip(NEXT) | instid1(VALU_DEP_1)
	v_add_f32_e32 v7, v7, v33
	v_add_f32_e32 v7, v38, v7
	s_delay_alu instid0(VALU_DEP_1) | instskip(SKIP_1) | instid1(VALU_DEP_2)
	v_cndmask_b32_e32 v7, 0x7f800000, v7, vcc_lo
	v_cmp_ngt_f32_e32 vcc_lo, -1.0, v8
	v_cndmask_b32_e32 v7, 0x7fc00000, v7, vcc_lo
	v_cmp_neq_f32_e32 vcc_lo, -1.0, v8
	s_delay_alu instid0(VALU_DEP_2) | instskip(SKIP_1) | instid1(VALU_DEP_2)
	v_cndmask_b32_e32 v7, 0xff800000, v7, vcc_lo
	v_cmp_gt_f32_e64 vcc_lo, 0x33800000, |v8|
	v_cndmask_b32_e32 v7, v7, v8, vcc_lo
	s_delay_alu instid0(VALU_DEP_1)
	v_mul_f32_e32 v7, 0x3e800000, v7
	s_and_not1_saveexec_b32 s15, s15
	s_cbranch_execz .LBB74_242
	s_branch .LBB74_241
.LBB74_240:                             ;   in Loop: Header=BB74_233 Depth=1
	s_and_not1_saveexec_b32 s15, s15
	s_cbranch_execz .LBB74_242
.LBB74_241:                             ;   in Loop: Header=BB74_233 Depth=1
	v_cmp_gt_f32_e64 s16, 0x800000, |v10|
	s_delay_alu instid0(VALU_DEP_1) | instskip(NEXT) | instid1(VALU_DEP_1)
	v_cndmask_b32_e64 v7, 0, 32, s16
	v_ldexp_f32 v7, |v10|, v7
	s_delay_alu instid0(VALU_DEP_1) | instskip(SKIP_1) | instid1(TRANS32_DEP_1)
	v_log_f32_e32 v7, v7
	v_nop
	v_mul_f32_e32 v8, 0x3f317217, v7
	v_cmp_gt_f32_e64 vcc_lo, 0x7f800000, |v7|
	s_delay_alu instid0(VALU_DEP_2) | instskip(NEXT) | instid1(VALU_DEP_1)
	v_fma_f32 v8, 0x3f317217, v7, -v8
	v_fmac_f32_e32 v8, 0x3377d1cf, v7
	s_delay_alu instid0(VALU_DEP_1) | instskip(NEXT) | instid1(VALU_DEP_1)
	v_fmac_f32_e32 v8, 0x3f317217, v7
	v_cndmask_b32_e32 v7, v7, v8, vcc_lo
	v_cndmask_b32_e64 v8, 0, 0x41b17218, s16
	s_delay_alu instid0(VALU_DEP_1) | instskip(NEXT) | instid1(VALU_DEP_1)
	v_sub_f32_e32 v7, v7, v8
	v_sub_f32_e32 v7, 0x3f317218, v7
	s_delay_alu instid0(VALU_DEP_1)
	v_mul_f32_e32 v7, 0.5, v7
.LBB74_242:                             ;   in Loop: Header=BB74_233 Depth=1
	s_or_b32 exec_lo, exec_lo, s15
                                        ; implicit-def: $vgpr9
	s_and_saveexec_b32 s15, s14
	s_delay_alu instid0(SALU_CYCLE_1)
	s_xor_b32 s14, exec_lo, s15
	s_cbranch_execz .LBB74_248
; %bb.243:                              ;   in Loop: Header=BB74_233 Depth=1
	v_sub_f32_e64 v8, 1.0, |v11|
	v_add_f32_e64 v9, |v11|, 1.0
	v_add_f32_e64 v6, |v10|, |v10|
	s_delay_alu instid0(VALU_DEP_2) | instskip(SKIP_1) | instid1(SALU_CYCLE_1)
	v_mul_f32_e32 v8, v8, v9
                                        ; implicit-def: $vgpr9
	s_and_saveexec_b32 s15, s0
	s_xor_b32 s15, exec_lo, s15
	s_cbranch_execz .LBB74_245
; %bb.244:                              ;   in Loop: Header=BB74_233 Depth=1
	s_delay_alu instid0(VALU_DEP_1) | instskip(SKIP_2) | instid1(VALU_DEP_1)
	v_fma_f32 v8, -v10, v10, v8
	v_max_num_f32_e32 v9, v6, v6
	s_wait_dscnt 0x1
	v_max_num_f32_e64 v23, |v8|, v9
	v_min_num_f32_e64 v9, |v8|, v9
	s_delay_alu instid0(VALU_DEP_2) | instskip(SKIP_1) | instid1(VALU_DEP_3)
	v_frexp_mant_f32_e32 v25, v23
	v_frexp_exp_i32_f32_e32 v23, v23
	v_frexp_exp_i32_f32_e32 v31, v9
	v_frexp_mant_f32_e32 v9, v9
	s_delay_alu instid0(VALU_DEP_4) | instskip(NEXT) | instid1(VALU_DEP_2)
	v_rcp_f32_e32 v25, v25
	v_sub_nc_u32_e32 v23, v31, v23
	v_cmp_gt_f32_e64 vcc_lo, v6, |v8|
	v_cmp_gt_i32_e64 s0, 0, v8
	v_cmp_class_f32_e64 s16, v8, 0x204
	s_delay_alu instid0(TRANS32_DEP_1) | instskip(NEXT) | instid1(VALU_DEP_1)
	v_mul_f32_e32 v9, v9, v25
	v_ldexp_f32 v9, v9, v23
	s_delay_alu instid0(VALU_DEP_1) | instskip(NEXT) | instid1(VALU_DEP_1)
	v_mul_f32_e32 v23, v9, v9
	v_fmaak_f32 v25, s5, v23, 0xbc7a590c
	s_delay_alu instid0(VALU_DEP_1) | instskip(NEXT) | instid1(VALU_DEP_1)
	v_fmaak_f32 v25, v23, v25, 0x3d29fb3f
	v_fmaak_f32 v25, v23, v25, 0xbd97d4d7
	s_delay_alu instid0(VALU_DEP_1) | instskip(NEXT) | instid1(VALU_DEP_1)
	v_fmaak_f32 v25, v23, v25, 0x3dd931b2
	;; [unrolled: 3-line block ×3, first 2 shown]
	v_fmaak_f32 v25, v23, v25, 0xbeaaaa62
	s_delay_alu instid0(VALU_DEP_1) | instskip(NEXT) | instid1(VALU_DEP_1)
	v_mul_f32_e32 v23, v23, v25
	v_fmac_f32_e32 v9, v9, v23
	s_delay_alu instid0(VALU_DEP_1) | instskip(NEXT) | instid1(VALU_DEP_1)
	v_sub_f32_e32 v23, 0x3fc90fdb, v9
	v_cndmask_b32_e32 v9, v9, v23, vcc_lo
	v_cmp_gt_f32_e32 vcc_lo, 0, v8
	s_delay_alu instid0(VALU_DEP_2) | instskip(SKIP_1) | instid1(VALU_DEP_2)
	v_sub_f32_e32 v23, 0x40490fdb, v9
	v_cndmask_b32_e32 v25, 0x3f490fdb, v30, vcc_lo
	v_cndmask_b32_e32 v9, v9, v23, vcc_lo
	v_cndmask_b32_e64 v23, 0, 0x40490fdb, s0
	v_cmp_eq_f32_e64 s0, 0, v6
	v_cmp_eq_f32_e32 vcc_lo, 0x7f800000, v6
	s_delay_alu instid0(VALU_DEP_2) | instskip(SKIP_1) | instid1(VALU_DEP_1)
	v_cndmask_b32_e64 v6, |v9|, v23, s0
	s_and_b32 vcc_lo, vcc_lo, s16
	v_cndmask_b32_e32 v6, v6, v25, vcc_lo
	v_cmp_o_f32_e32 vcc_lo, v8, v8
                                        ; implicit-def: $vgpr8
	s_delay_alu instid0(VALU_DEP_2)
	v_cndmask_b32_e32 v9, 0x7fc00000, v6, vcc_lo
                                        ; implicit-def: $vgpr6
.LBB74_245:                             ;   in Loop: Header=BB74_233 Depth=1
	s_and_not1_saveexec_b32 s15, s15
	s_cbranch_execz .LBB74_247
; %bb.246:                              ;   in Loop: Header=BB74_233 Depth=1
	v_max_num_f32_e32 v9, v6, v6
	s_wait_dscnt 0x1
	v_max_num_f32_e64 v23, |v8|, |v8|
	v_cmp_gt_f32_e64 vcc_lo, v6, |v8|
	v_cmp_gt_i32_e64 s0, 0, v8
	v_cmp_class_f32_e64 s16, v8, 0x204
	s_delay_alu instid0(VALU_DEP_4) | instskip(NEXT) | instid1(VALU_DEP_1)
	v_dual_max_num_f32 v25, v23, v9 :: v_dual_min_num_f32 v9, v23, v9
	v_frexp_mant_f32_e32 v31, v25
	v_frexp_exp_i32_f32_e32 v23, v25
	s_delay_alu instid0(VALU_DEP_2)
	v_rcp_f32_e32 v25, v31
	v_nop
	v_frexp_exp_i32_f32_e32 v31, v9
	v_frexp_mant_f32_e32 v9, v9
	s_delay_alu instid0(TRANS32_DEP_1) | instid1(VALU_DEP_1)
	v_dual_sub_nc_u32 v23, v31, v23 :: v_dual_mul_f32 v9, v9, v25
	s_delay_alu instid0(VALU_DEP_1) | instskip(NEXT) | instid1(VALU_DEP_1)
	v_ldexp_f32 v9, v9, v23
	v_mul_f32_e32 v23, v9, v9
	s_delay_alu instid0(VALU_DEP_1) | instskip(NEXT) | instid1(VALU_DEP_1)
	v_fmaak_f32 v25, s5, v23, 0xbc7a590c
	v_fmaak_f32 v25, v23, v25, 0x3d29fb3f
	s_delay_alu instid0(VALU_DEP_1) | instskip(NEXT) | instid1(VALU_DEP_1)
	v_fmaak_f32 v25, v23, v25, 0xbd97d4d7
	v_fmaak_f32 v25, v23, v25, 0x3dd931b2
	s_delay_alu instid0(VALU_DEP_1) | instskip(NEXT) | instid1(VALU_DEP_1)
	v_fmaak_f32 v25, v23, v25, 0xbe1160e6
	v_fmaak_f32 v25, v23, v25, 0x3e4cb8bf
	s_delay_alu instid0(VALU_DEP_1) | instskip(NEXT) | instid1(VALU_DEP_1)
	v_fmaak_f32 v25, v23, v25, 0xbeaaaa62
	v_mul_f32_e32 v23, v23, v25
	s_delay_alu instid0(VALU_DEP_1) | instskip(NEXT) | instid1(VALU_DEP_1)
	v_fmac_f32_e32 v9, v9, v23
	v_sub_f32_e32 v23, 0x3fc90fdb, v9
	s_delay_alu instid0(VALU_DEP_1) | instskip(SKIP_1) | instid1(VALU_DEP_2)
	v_cndmask_b32_e32 v9, v9, v23, vcc_lo
	v_cmp_gt_f32_e32 vcc_lo, 0, v8
	v_sub_f32_e32 v23, 0x40490fdb, v9
	v_cndmask_b32_e32 v25, 0x3f490fdb, v30, vcc_lo
	s_delay_alu instid0(VALU_DEP_2) | instskip(SKIP_3) | instid1(VALU_DEP_2)
	v_cndmask_b32_e32 v9, v9, v23, vcc_lo
	v_cndmask_b32_e64 v23, 0, 0x40490fdb, s0
	v_cmp_eq_f32_e64 s0, 0, v6
	v_cmp_eq_f32_e32 vcc_lo, 0x7f800000, v6
	v_cndmask_b32_e64 v6, |v9|, v23, s0
	s_and_b32 vcc_lo, vcc_lo, s16
	s_delay_alu instid0(VALU_DEP_1) | instskip(SKIP_1) | instid1(VALU_DEP_2)
	v_cndmask_b32_e32 v6, v6, v25, vcc_lo
	v_cmp_o_f32_e32 vcc_lo, v8, v8
	v_cndmask_b32_e32 v9, 0x7fc00000, v6, vcc_lo
.LBB74_247:                             ;   in Loop: Header=BB74_233 Depth=1
	s_or_b32 exec_lo, exec_lo, s15
                                        ; implicit-def: $vgpr6
	s_and_not1_saveexec_b32 s0, s14
	s_cbranch_execnz .LBB74_249
	s_branch .LBB74_250
.LBB74_248:                             ;   in Loop: Header=BB74_233 Depth=1
	s_and_not1_saveexec_b32 s0, s14
	s_cbranch_execz .LBB74_250
.LBB74_249:                             ;   in Loop: Header=BB74_233 Depth=1
	v_dual_max_num_f32 v8, 2.0, v6 :: v_dual_min_num_f32 v6, 2.0, v6
	v_cmp_lt_f32_e64 vcc_lo, |v10|, 2.0
	s_delay_alu instid0(VALU_DEP_2)
	v_frexp_mant_f32_e32 v9, v8
	v_frexp_exp_i32_f32_e32 v8, v8
	s_wait_dscnt 0x1
	v_frexp_mant_f32_e32 v23, v6
	v_frexp_exp_i32_f32_e32 v6, v6
	v_rcp_f32_e32 v9, v9
	v_nop
	s_delay_alu instid0(TRANS32_DEP_1) | instskip(NEXT) | instid1(VALU_DEP_1)
	v_dual_mul_f32 v9, v23, v9 :: v_dual_sub_nc_u32 v6, v6, v8
	v_ldexp_f32 v6, v9, v6
	s_delay_alu instid0(VALU_DEP_1) | instskip(NEXT) | instid1(VALU_DEP_1)
	v_mul_f32_e32 v8, v6, v6
	v_fmaak_f32 v9, s5, v8, 0xbc7a590c
	s_delay_alu instid0(VALU_DEP_1) | instskip(NEXT) | instid1(VALU_DEP_1)
	v_fmaak_f32 v9, v8, v9, 0x3d29fb3f
	v_fmaak_f32 v9, v8, v9, 0xbd97d4d7
	s_delay_alu instid0(VALU_DEP_1) | instskip(NEXT) | instid1(VALU_DEP_1)
	v_fmaak_f32 v9, v8, v9, 0x3dd931b2
	;; [unrolled: 3-line block ×3, first 2 shown]
	v_fmaak_f32 v9, v8, v9, 0xbeaaaa62
	s_delay_alu instid0(VALU_DEP_1) | instskip(NEXT) | instid1(VALU_DEP_1)
	v_mul_f32_e32 v8, v8, v9
	v_fmac_f32_e32 v6, v6, v8
	s_delay_alu instid0(VALU_DEP_1) | instskip(NEXT) | instid1(VALU_DEP_1)
	v_sub_f32_e32 v8, 0x3fc90fdb, v6
	v_cndmask_b32_e32 v6, v6, v8, vcc_lo
	v_cmp_lg_f32_e32 vcc_lo, 0, v10
	s_delay_alu instid0(VALU_DEP_2) | instskip(NEXT) | instid1(VALU_DEP_1)
	v_sub_f32_e32 v8, 0x40490fdb, v6
	v_cndmask_b32_e32 v6, v6, v8, vcc_lo
	s_delay_alu instid0(VALU_DEP_1)
	v_and_b32_e32 v9, 0x7fffffff, v6
.LBB74_250:                             ;   in Loop: Header=BB74_233 Depth=1
	s_or_b32 exec_lo, exec_lo, s0
	s_delay_alu instid0(VALU_DEP_1) | instskip(SKIP_1) | instid1(VALU_DEP_2)
	v_mul_f32_e32 v6, 0.5, v9
	v_bfi_b32 v7, 0x7fffffff, v7, v11
	v_bfi_b32 v6, 0x7fffffff, v6, v10
.LBB74_251:                             ;   in Loop: Header=BB74_233 Depth=1
	s_and_not1_saveexec_b32 s0, s13
	s_cbranch_execz .LBB74_253
; %bb.252:                              ;   in Loop: Header=BB74_233 Depth=1
	flat_store_b32 v[18:19], v29 scope:SCOPE_SYS
	s_wait_storecnt 0x0
	flat_load_b32 v6, v[18:19] scope:SCOPE_SYS
	s_wait_loadcnt_dscnt 0x0
	v_dual_mov_b32 v7, v11 :: v_dual_add_f32 v6, 1.0, v6
	flat_store_b32 v[20:21], v6 scope:SCOPE_SYS
	s_wait_storecnt 0x0
	flat_load_b32 v6, v[20:21] scope:SCOPE_SYS
	s_wait_loadcnt_dscnt 0x0
	v_mov_b32_e32 v6, v10
.LBB74_253:                             ;   in Loop: Header=BB74_233 Depth=1
	s_or_b32 exec_lo, exec_lo, s0
.LBB74_254:                             ;   in Loop: Header=BB74_233 Depth=1
	s_and_not1_saveexec_b32 s0, s12
	s_cbranch_execz .LBB74_268
; %bb.255:                              ;   in Loop: Header=BB74_233 Depth=1
	v_and_b32_e32 v6, 0x7f800000, v11
	v_and_b32_e32 v8, 0x7f800000, v10
	v_cmp_neq_f32_e64 s12, 0x7f800000, |v11|
	s_delay_alu instid0(VALU_DEP_2) | instskip(NEXT) | instid1(VALU_DEP_1)
	v_sub_nc_u32_e32 v7, v6, v8
	v_cmp_gt_i32_e32 vcc_lo, 0x6800000, v7
                                        ; implicit-def: $vgpr7
	s_and_b32 s12, s12, vcc_lo
	s_delay_alu instid0(SALU_CYCLE_1) | instskip(NEXT) | instid1(SALU_CYCLE_1)
	s_and_saveexec_b32 s13, s12
	s_xor_b32 s12, exec_lo, s13
	s_cbranch_execz .LBB74_265
; %bb.256:                              ;   in Loop: Header=BB74_233 Depth=1
	v_sub_nc_u32_e32 v7, v8, v6
	s_delay_alu instid0(VALU_DEP_1) | instskip(SKIP_1) | instid1(SALU_CYCLE_1)
	v_cmp_gt_i32_e32 vcc_lo, 0x6800000, v7
                                        ; implicit-def: $vgpr7
	s_and_saveexec_b32 s13, vcc_lo
	s_xor_b32 s13, exec_lo, s13
	s_cbranch_execz .LBB74_262
; %bb.257:                              ;   in Loop: Header=BB74_233 Depth=1
	s_mov_b32 s14, exec_lo
                                        ; implicit-def: $vgpr7
	v_cmpx_lt_u32_e32 0x59000000, v6
	s_xor_b32 s14, exec_lo, s14
	s_cbranch_execz .LBB74_259
; %bb.258:                              ;   in Loop: Header=BB74_233 Depth=1
	v_sub_nc_u32_e32 v6, 0x7f800000, v6
	s_delay_alu instid0(VALU_DEP_1) | instskip(NEXT) | instid1(VALU_DEP_1)
	v_pk_mul_f32 v[8:9], v[10:11], v[6:7] op_sel_hi:[1,0]
	v_pk_mul_f32 v[32:33], v[8:9], v[8:9]
	s_delay_alu instid0(VALU_DEP_1) | instskip(NEXT) | instid1(VALU_DEP_1)
	v_add_f32_e32 v7, v33, v32
	v_div_scale_f32 v8, null, v7, v7, v9
	s_wait_dscnt 0x1
	s_delay_alu instid0(VALU_DEP_1) | instskip(SKIP_1) | instid1(TRANS32_DEP_1)
	v_rcp_f32_e32 v23, v8
	v_nop
	v_fma_f32 v25, -v8, v23, 1.0
	s_delay_alu instid0(VALU_DEP_1) | instskip(SKIP_1) | instid1(VALU_DEP_1)
	v_fmac_f32_e32 v23, v25, v23
	v_div_scale_f32 v25, vcc_lo, v9, v7, v9
	v_mul_f32_e32 v31, v25, v23
	s_delay_alu instid0(VALU_DEP_1) | instskip(NEXT) | instid1(VALU_DEP_1)
	v_fma_f32 v32, -v8, v31, v25
	v_fmac_f32_e32 v31, v32, v23
	s_delay_alu instid0(VALU_DEP_1) | instskip(NEXT) | instid1(VALU_DEP_1)
	v_fma_f32 v8, -v8, v31, v25
	v_div_fmas_f32 v8, v8, v23, v31
	s_delay_alu instid0(VALU_DEP_1) | instskip(NEXT) | instid1(VALU_DEP_1)
	v_div_fixup_f32 v7, v8, v7, v9
	v_mul_f32_e32 v7, v7, v6
.LBB74_259:                             ;   in Loop: Header=BB74_233 Depth=1
	s_and_not1_saveexec_b32 s14, s14
	s_cbranch_execz .LBB74_261
; %bb.260:                              ;   in Loop: Header=BB74_233 Depth=1
	v_pk_mul_f32 v[6:7], v[10:11], v[10:11]
	s_delay_alu instid0(VALU_DEP_1) | instskip(NEXT) | instid1(VALU_DEP_1)
	v_add_f32_e32 v6, v6, v7
	v_div_scale_f32 v7, null, v6, v6, v11
	s_delay_alu instid0(VALU_DEP_1) | instskip(SKIP_1) | instid1(TRANS32_DEP_1)
	v_rcp_f32_e32 v8, v7
	v_nop
	v_fma_f32 v9, -v7, v8, 1.0
	s_delay_alu instid0(VALU_DEP_1) | instskip(SKIP_2) | instid1(VALU_DEP_1)
	v_fmac_f32_e32 v8, v9, v8
	v_div_scale_f32 v9, vcc_lo, v11, v6, v11
	s_wait_dscnt 0x1
	v_mul_f32_e32 v23, v9, v8
	s_delay_alu instid0(VALU_DEP_1) | instskip(NEXT) | instid1(VALU_DEP_1)
	v_fma_f32 v25, -v7, v23, v9
	v_fmac_f32_e32 v23, v25, v8
	s_delay_alu instid0(VALU_DEP_1) | instskip(NEXT) | instid1(VALU_DEP_1)
	v_fma_f32 v7, -v7, v23, v9
	v_div_fmas_f32 v7, v7, v8, v23
	s_delay_alu instid0(VALU_DEP_1)
	v_div_fixup_f32 v7, v7, v6, v11
.LBB74_261:                             ;   in Loop: Header=BB74_233 Depth=1
	s_or_b32 exec_lo, exec_lo, s14
.LBB74_262:                             ;   in Loop: Header=BB74_233 Depth=1
	s_and_not1_saveexec_b32 s13, s13
	s_cbranch_execz .LBB74_264
; %bb.263:                              ;   in Loop: Header=BB74_233 Depth=1
	v_div_scale_f32 v6, null, v10, v10, v11
	v_div_scale_f32 v9, vcc_lo, v11, v10, v11
	s_delay_alu instid0(VALU_DEP_2) | instskip(SKIP_1) | instid1(TRANS32_DEP_1)
	v_rcp_f32_e32 v7, v6
	v_nop
	v_fma_f32 v8, -v6, v7, 1.0
	s_delay_alu instid0(VALU_DEP_1) | instskip(NEXT) | instid1(VALU_DEP_1)
	v_fmac_f32_e32 v7, v8, v7
	v_mul_f32_e32 v8, v9, v7
	s_wait_dscnt 0x1
	s_delay_alu instid0(VALU_DEP_1) | instskip(NEXT) | instid1(VALU_DEP_1)
	v_fma_f32 v23, -v6, v8, v9
	v_fmac_f32_e32 v8, v23, v7
	s_delay_alu instid0(VALU_DEP_1) | instskip(NEXT) | instid1(VALU_DEP_1)
	v_fma_f32 v6, -v6, v8, v9
	v_div_fmas_f32 v6, v6, v7, v8
	s_delay_alu instid0(VALU_DEP_1) | instskip(NEXT) | instid1(VALU_DEP_1)
	v_div_fixup_f32 v6, v6, v10, v11
	v_div_scale_f32 v7, null, v10, v10, v6
	s_delay_alu instid0(VALU_DEP_1) | instskip(SKIP_1) | instid1(TRANS32_DEP_1)
	v_rcp_f32_e32 v8, v7
	v_nop
	v_fma_f32 v9, -v7, v8, 1.0
	s_delay_alu instid0(VALU_DEP_1) | instskip(SKIP_1) | instid1(VALU_DEP_1)
	v_fmac_f32_e32 v8, v9, v8
	v_div_scale_f32 v9, vcc_lo, v6, v10, v6
	v_mul_f32_e32 v23, v9, v8
	s_delay_alu instid0(VALU_DEP_1) | instskip(NEXT) | instid1(VALU_DEP_1)
	v_fma_f32 v25, -v7, v23, v9
	v_fmac_f32_e32 v23, v25, v8
	s_delay_alu instid0(VALU_DEP_1) | instskip(NEXT) | instid1(VALU_DEP_1)
	v_fma_f32 v7, -v7, v23, v9
	v_div_fmas_f32 v7, v7, v8, v23
	s_delay_alu instid0(VALU_DEP_1)
	v_div_fixup_f32 v7, v7, v10, v6
.LBB74_264:                             ;   in Loop: Header=BB74_233 Depth=1
	s_or_b32 exec_lo, exec_lo, s13
.LBB74_265:                             ;   in Loop: Header=BB74_233 Depth=1
	s_and_not1_saveexec_b32 s12, s12
	s_cbranch_execz .LBB74_267
; %bb.266:                              ;   in Loop: Header=BB74_233 Depth=1
	v_div_scale_f32 v6, null, v11, v11, 1.0
	s_delay_alu instid0(VALU_DEP_1) | instskip(SKIP_1) | instid1(TRANS32_DEP_1)
	v_rcp_f32_e32 v7, v6
	v_nop
	v_fma_f32 v8, -v6, v7, 1.0
	s_delay_alu instid0(VALU_DEP_1) | instskip(SKIP_1) | instid1(VALU_DEP_1)
	v_fmac_f32_e32 v7, v8, v7
	v_div_scale_f32 v8, vcc_lo, 1.0, v11, 1.0
	v_mul_f32_e32 v9, v8, v7
	s_wait_dscnt 0x1
	s_delay_alu instid0(VALU_DEP_1) | instskip(NEXT) | instid1(VALU_DEP_1)
	v_fma_f32 v23, -v6, v9, v8
	v_fmac_f32_e32 v9, v23, v7
	s_delay_alu instid0(VALU_DEP_1) | instskip(NEXT) | instid1(VALU_DEP_1)
	v_fma_f32 v6, -v6, v9, v8
	v_div_fmas_f32 v6, v6, v7, v9
	s_delay_alu instid0(VALU_DEP_1)
	v_div_fixup_f32 v7, v6, v11, 1.0
.LBB74_267:                             ;   in Loop: Header=BB74_233 Depth=1
	s_or_b32 exec_lo, exec_lo, s12
	flat_load_b32 v6, v[16:17] scope:SCOPE_SYS
	s_wait_loadcnt_dscnt 0x0
	v_add_f32_e32 v6, 0x3fc90fdb, v6
	s_delay_alu instid0(VALU_DEP_1)
	v_bfi_b32 v6, 0x7fffffff, v6, v10
.LBB74_268:                             ;   in Loop: Header=BB74_233 Depth=1
	s_or_b32 exec_lo, exec_lo, s0
.LBB74_269:                             ;   in Loop: Header=BB74_233 Depth=1
	s_and_not1_saveexec_b32 s0, s11
	s_cbranch_execz .LBB74_279
; %bb.270:                              ;   in Loop: Header=BB74_233 Depth=1
	v_cmp_neq_f32_e64 s11, 0x7f800000, |v11|
                                        ; implicit-def: $vgpr7
	s_and_saveexec_b32 s12, s11
	s_delay_alu instid0(SALU_CYCLE_1)
	s_xor_b32 s11, exec_lo, s12
	s_cbranch_execz .LBB74_276
; %bb.271:                              ;   in Loop: Header=BB74_233 Depth=1
	v_cmp_neq_f32_e64 s12, 0x7f800000, |v10|
                                        ; implicit-def: $vgpr7
	s_and_saveexec_b32 s13, s12
	s_delay_alu instid0(SALU_CYCLE_1)
	s_xor_b32 s12, exec_lo, s13
; %bb.272:                              ;   in Loop: Header=BB74_233 Depth=1
	v_add_f32_e32 v6, 0, v10
	s_delay_alu instid0(VALU_DEP_1)
	v_add_f32_e32 v7, v6, v11
; %bb.273:                              ;   in Loop: Header=BB74_233 Depth=1
	s_or_saveexec_b32 s12, s12
	s_delay_alu instid0(VALU_DEP_1)
	v_mov_b32_e32 v6, v7
	s_xor_b32 exec_lo, exec_lo, s12
	s_cbranch_execz .LBB74_275
; %bb.274:                              ;   in Loop: Header=BB74_233 Depth=1
	flat_load_b32 v6, v[16:17] scope:SCOPE_SYS
	s_wait_loadcnt 0x0
	v_bfi_b32 v7, 0x7fffffff, 0, v11
	s_wait_dscnt 0x0
	v_add_f32_e32 v6, 0x3fc90fdb, v6
	s_delay_alu instid0(VALU_DEP_1)
	v_bfi_b32 v6, 0x7fffffff, v6, v10
.LBB74_275:                             ;   in Loop: Header=BB74_233 Depth=1
	s_wait_xcnt 0x0
	s_or_b32 exec_lo, exec_lo, s12
.LBB74_276:                             ;   in Loop: Header=BB74_233 Depth=1
	s_and_not1_saveexec_b32 s11, s11
; %bb.277:                              ;   in Loop: Header=BB74_233 Depth=1
	v_bfi_b32 v7, 0x7fffffff, 0, v11
	v_add_f32_e32 v6, v10, v10
; %bb.278:                              ;   in Loop: Header=BB74_233 Depth=1
	s_or_b32 exec_lo, exec_lo, s11
.LBB74_279:                             ;   in Loop: Header=BB74_233 Depth=1
	s_delay_alu instid0(SALU_CYCLE_1)
	s_or_b32 exec_lo, exec_lo, s0
.LBB74_280:                             ;   in Loop: Header=BB74_233 Depth=1
	s_and_not1_saveexec_b32 s0, s10
	s_cbranch_execz .LBB74_282
; %bb.281:                              ;   in Loop: Header=BB74_233 Depth=1
	v_rcp_f32_e64 v6, |v10|
	v_cmp_gt_f32_e64 vcc_lo, |v10|, 1.0
	s_delay_alu instid0(TRANS32_DEP_1) | instid1(VALU_DEP_1)
	v_cndmask_b32_e64 v6, |v10|, v6, vcc_lo
	s_delay_alu instid0(VALU_DEP_1) | instskip(NEXT) | instid1(VALU_DEP_1)
	v_mul_f32_e32 v7, v6, v6
	v_fmaak_f32 v8, s5, v7, 0xbc7a590c
	s_delay_alu instid0(VALU_DEP_1) | instskip(NEXT) | instid1(VALU_DEP_1)
	v_fmaak_f32 v8, v7, v8, 0x3d29fb3f
	v_fmaak_f32 v8, v7, v8, 0xbd97d4d7
	s_delay_alu instid0(VALU_DEP_1) | instskip(NEXT) | instid1(VALU_DEP_1)
	v_fmaak_f32 v8, v7, v8, 0x3dd931b2
	;; [unrolled: 3-line block ×3, first 2 shown]
	v_fmaak_f32 v8, v7, v8, 0xbeaaaa62
	s_delay_alu instid0(VALU_DEP_1) | instskip(NEXT) | instid1(VALU_DEP_1)
	v_mul_f32_e32 v7, v7, v8
	v_fmac_f32_e32 v6, v6, v7
	s_delay_alu instid0(VALU_DEP_1) | instskip(NEXT) | instid1(VALU_DEP_1)
	v_sub_f32_e32 v7, 0x3fc90fdb, v6
	v_dual_cndmask_b32 v6, v6, v7 :: v_dual_mov_b32 v7, v11
	s_delay_alu instid0(VALU_DEP_1)
	v_bfi_b32 v6, 0x7fffffff, v6, v10
.LBB74_282:                             ;   in Loop: Header=BB74_233 Depth=1
	s_or_b32 exec_lo, exec_lo, s0
.LBB74_283:                             ;   in Loop: Header=BB74_233 Depth=1
	s_and_not1_saveexec_b32 s0, s7
	s_cbranch_execz .LBB74_285
; %bb.284:                              ;   in Loop: Header=BB74_233 Depth=1
	v_sub_f32_e64 v8, 1.0, |v11|
	v_add_f32_e64 v6, |v11|, 1.0
	v_and_b32_e32 v32, 0x7fffffff, v11
	v_cmp_gt_f32_e64 s7, 0x39800000, |v11|
	s_delay_alu instid0(VALU_DEP_4) | instskip(SKIP_1) | instid1(VALU_DEP_1)
	v_rcp_f32_e32 v25, v8
	v_sub_f32_e32 v9, 1.0, v8
	v_sub_f32_e64 v9, v9, |v11|
	s_delay_alu instid0(TRANS32_DEP_1) | instskip(NEXT) | instid1(VALU_DEP_1)
	v_mul_f32_e32 v31, v6, v25
	v_mul_f32_e32 v7, v8, v31
	s_wait_dscnt 0x1
	s_delay_alu instid0(VALU_DEP_1) | instskip(NEXT) | instid1(VALU_DEP_1)
	v_fma_f32 v23, v31, v8, -v7
	v_fmac_f32_e32 v23, v31, v9
	s_delay_alu instid0(VALU_DEP_1) | instskip(NEXT) | instid1(VALU_DEP_1)
	v_pk_add_f32 v[8:9], v[6:7], v[22:23]
	v_dual_sub_f32 v34, v6, v9 :: v_dual_sub_f32 v7, v9, v7
	s_delay_alu instid0(VALU_DEP_1) | instskip(NEXT) | instid1(VALU_DEP_1)
	v_dual_sub_f32 v33, v6, v34 :: v_dual_sub_f32 v23, v7, v23
	v_pk_add_f32 v[6:7], v[32:33], v[8:9] neg_lo:[0,1] neg_hi:[0,1]
	s_delay_alu instid0(VALU_DEP_1) | instskip(NEXT) | instid1(VALU_DEP_1)
	v_add_f32_e32 v7, v23, v7
	v_add_f32_e32 v6, v6, v7
	s_delay_alu instid0(VALU_DEP_1) | instskip(NEXT) | instid1(VALU_DEP_1)
	v_add_f32_e32 v6, v34, v6
	v_mul_f32_e32 v8, v25, v6
	s_delay_alu instid0(VALU_DEP_1) | instskip(NEXT) | instid1(VALU_DEP_1)
	v_add_f32_e32 v9, v31, v8
	v_cvt_f64_f32_e32 v[6:7], v9
	s_delay_alu instid0(VALU_DEP_1) | instskip(SKIP_1) | instid1(VALU_DEP_1)
	v_frexp_exp_i32_f64_e32 v6, v[6:7]
	v_frexp_mant_f32_e32 v7, v9
	v_cmp_gt_f32_e32 vcc_lo, 0x3f2aaaab, v7
	s_delay_alu instid0(VALU_DEP_3) | instskip(SKIP_1) | instid1(VALU_DEP_2)
	v_subrev_co_ci_u32_e64 v23, null, 0, v6, vcc_lo
	v_cmp_neq_f32_e64 vcc_lo, |v11|, 1.0
	v_sub_nc_u32_e32 v6, 0, v23
	s_delay_alu instid0(VALU_DEP_1) | instskip(SKIP_1) | instid1(VALU_DEP_2)
	v_ldexp_f32 v7, v9, v6
	v_sub_f32_e32 v9, v9, v31
	v_dual_add_f32 v25, 1.0, v7 :: v_dual_add_f32 v31, -1.0, v7
	s_delay_alu instid0(VALU_DEP_2) | instskip(NEXT) | instid1(VALU_DEP_2)
	v_sub_f32_e32 v8, v8, v9
	v_add_f32_e32 v9, -1.0, v25
	s_delay_alu instid0(VALU_DEP_2) | instskip(NEXT) | instid1(VALU_DEP_2)
	v_ldexp_f32 v6, v8, v6
	v_dual_sub_f32 v8, v7, v9 :: v_dual_add_f32 v9, 1.0, v31
	s_delay_alu instid0(VALU_DEP_1) | instskip(NEXT) | instid1(VALU_DEP_1)
	v_dual_add_f32 v32, v6, v8 :: v_dual_sub_f32 v7, v7, v9
	v_add_f32_e32 v34, v25, v32
	s_delay_alu instid0(VALU_DEP_1) | instskip(NEXT) | instid1(VALU_DEP_2)
	v_rcp_f32_e32 v36, v34
	v_add_f32_e32 v35, v6, v7
	s_delay_alu instid0(VALU_DEP_1)
	v_dual_sub_f32 v6, v34, v25 :: v_dual_add_f32 v7, v31, v35
	s_delay_alu instid0(TRANS32_DEP_1) | instid1(VALU_DEP_1)
	v_dual_sub_f32 v25, v32, v6 :: v_dual_mul_f32 v37, v7, v36
	s_delay_alu instid0(VALU_DEP_1) | instskip(NEXT) | instid1(VALU_DEP_1)
	v_dual_sub_f32 v31, v7, v31 :: v_dual_mul_f32 v8, v34, v37
	v_fma_f32 v32, v37, v34, -v8
	s_delay_alu instid0(VALU_DEP_1) | instskip(NEXT) | instid1(VALU_DEP_1)
	v_fmac_f32_e32 v32, v37, v25
	v_add_f32_e32 v6, v8, v32
	s_delay_alu instid0(VALU_DEP_1) | instskip(NEXT) | instid1(VALU_DEP_1)
	v_dual_sub_f32 v9, v7, v6 :: v_dual_mov_b32 v33, v6
	v_pk_add_f32 v[6:7], v[6:7], v[8:9] neg_lo:[0,1] neg_hi:[0,1]
	v_sub_f32_e32 v8, v35, v31
	s_delay_alu instid0(VALU_DEP_2) | instskip(NEXT) | instid1(VALU_DEP_1)
	v_pk_add_f32 v[6:7], v[6:7], v[32:33] neg_lo:[0,1] neg_hi:[0,1]
	v_add_f32_e32 v7, v8, v7
	s_delay_alu instid0(VALU_DEP_1) | instskip(NEXT) | instid1(VALU_DEP_1)
	v_add_f32_e32 v31, v6, v7
	v_add_f32_e32 v7, v9, v31
	s_delay_alu instid0(VALU_DEP_1) | instskip(NEXT) | instid1(VALU_DEP_1)
	v_mul_f32_e32 v35, v36, v7
	v_mul_f32_e32 v32, v34, v35
	s_delay_alu instid0(VALU_DEP_1) | instskip(NEXT) | instid1(VALU_DEP_1)
	v_fma_f32 v8, v35, v34, -v32
	v_dual_fmac_f32 v8, v35, v25 :: v_dual_sub_f32 v25, v9, v7
	s_delay_alu instid0(VALU_DEP_1) | instskip(NEXT) | instid1(VALU_DEP_1)
	v_dual_add_f32 v6, v32, v8 :: v_dual_add_f32 v25, v31, v25
	v_dual_mov_b32 v9, v6 :: v_dual_sub_f32 v33, v7, v6
	s_delay_alu instid0(VALU_DEP_1) | instskip(NEXT) | instid1(VALU_DEP_1)
	v_pk_add_f32 v[6:7], v[6:7], v[32:33] neg_lo:[0,1] neg_hi:[0,1]
	v_pk_add_f32 v[6:7], v[6:7], v[8:9] neg_lo:[0,1] neg_hi:[0,1]
	s_delay_alu instid0(VALU_DEP_1) | instskip(NEXT) | instid1(VALU_DEP_1)
	v_add_f32_e32 v7, v25, v7
	v_add_f32_e32 v6, v6, v7
	s_delay_alu instid0(VALU_DEP_1) | instskip(NEXT) | instid1(VALU_DEP_1)
	v_add_f32_e32 v6, v33, v6
	v_dual_mul_f32 v6, v36, v6 :: v_dual_add_f32 v31, v37, v35
	s_delay_alu instid0(VALU_DEP_1) | instskip(NEXT) | instid1(VALU_DEP_1)
	v_sub_f32_e32 v7, v31, v37
	v_sub_f32_e32 v7, v35, v7
	s_delay_alu instid0(VALU_DEP_1) | instskip(SKIP_1) | instid1(VALU_DEP_2)
	v_add_f32_e32 v34, v7, v6
	v_cvt_f32_i32_e32 v6, v23
	v_add_f32_e32 v35, v31, v34
	s_delay_alu instid0(VALU_DEP_1) | instskip(NEXT) | instid1(VALU_DEP_1)
	v_sub_f32_e32 v23, v35, v31
	v_sub_f32_e32 v23, v34, v23
	v_mul_f32_e32 v8, v35, v35
	v_ldexp_f32 v33, v35, 1
	s_delay_alu instid0(VALU_DEP_3) | instskip(NEXT) | instid1(VALU_DEP_3)
	v_ldexp_f32 v23, v23, 1
	v_fmaak_f32 v9, s4, v8, 0x3ecc95a3
	v_mul_f32_e32 v7, v35, v8
	s_delay_alu instid0(VALU_DEP_2) | instskip(NEXT) | instid1(VALU_DEP_1)
	v_fmaak_f32 v25, v8, v9, 0x3f2aaada
	v_pk_mul_f32 v[8:9], v[6:7], v[24:25]
	s_delay_alu instid0(VALU_DEP_1) | instskip(SKIP_1) | instid1(VALU_DEP_2)
	v_fma_f32 v32, 0x3f317218, v6, -v8
	v_mov_b32_e32 v34, v8
	v_fmac_f32_e32 v32, 0xb102e308, v6
	s_delay_alu instid0(VALU_DEP_1) | instskip(NEXT) | instid1(VALU_DEP_1)
	v_pk_add_f32 v[6:7], v[8:9], v[32:33]
	v_dual_sub_f32 v25, v7, v33 :: v_dual_mov_b32 v33, v6
	s_delay_alu instid0(VALU_DEP_1) | instskip(SKIP_1) | instid1(VALU_DEP_2)
	v_sub_f32_e32 v25, v9, v25
	v_pk_add_f32 v[8:9], v[6:7], v[8:9] neg_lo:[0,1] neg_hi:[0,1]
	v_add_f32_e32 v35, v23, v25
	s_delay_alu instid0(VALU_DEP_1) | instskip(NEXT) | instid1(VALU_DEP_1)
	v_pk_add_f32 v[36:37], v[6:7], v[34:35]
	v_mov_b32_e32 v9, v37
	s_delay_alu instid0(VALU_DEP_1) | instskip(SKIP_2) | instid1(VALU_DEP_3)
	v_pk_add_f32 v[38:39], v[32:33], v[8:9]
	v_mov_b32_e32 v38, v37
	v_pk_add_f32 v[8:9], v[32:33], v[8:9] neg_lo:[0,1] neg_hi:[0,1]
	v_dual_mov_b32 v34, v39 :: v_dual_mov_b32 v9, v39
	s_delay_alu instid0(VALU_DEP_1) | instskip(SKIP_1) | instid1(VALU_DEP_2)
	v_pk_add_f32 v[40:41], v[34:35], v[6:7] neg_lo:[0,1] neg_hi:[0,1]
	v_dual_mov_b32 v42, v7 :: v_dual_mov_b32 v7, v6
	v_dual_mov_b32 v6, v35 :: v_dual_mov_b32 v43, v40
	v_mov_b32_e32 v23, v40
	s_delay_alu instid0(VALU_DEP_2) | instskip(NEXT) | instid1(VALU_DEP_2)
	v_pk_add_f32 v[32:33], v[38:39], v[42:43] neg_lo:[0,1] neg_hi:[0,1]
	v_pk_add_f32 v[36:37], v[36:37], v[22:23] neg_lo:[0,1] neg_hi:[0,1]
	v_mov_b32_e32 v36, v8
	s_delay_alu instid0(VALU_DEP_3) | instskip(NEXT) | instid1(VALU_DEP_1)
	v_pk_add_f32 v[6:7], v[6:7], v[32:33] neg_lo:[0,1] neg_hi:[0,1]
	v_pk_add_f32 v[32:33], v[36:37], v[6:7]
	s_delay_alu instid0(VALU_DEP_1) | instskip(NEXT) | instid1(VALU_DEP_1)
	v_mov_b32_e32 v36, v33
	v_pk_add_f32 v[36:37], v[32:33], v[36:37]
	s_delay_alu instid0(VALU_DEP_1) | instskip(NEXT) | instid1(VALU_DEP_1)
	v_pk_add_f32 v[34:35], v[34:35], v[36:37]
	v_dual_mov_b32 v7, v36 :: v_dual_mov_b32 v33, v34
	s_delay_alu instid0(VALU_DEP_1) | instskip(NEXT) | instid1(VALU_DEP_1)
	v_pk_add_f32 v[38:39], v[32:33], v[8:9] neg_lo:[0,1] neg_hi:[0,1]
	v_pk_add_f32 v[6:7], v[6:7], v[38:39] neg_lo:[0,1] neg_hi:[0,1]
	v_sub_f32_e32 v9, v32, v38
	s_delay_alu instid0(VALU_DEP_1) | instskip(NEXT) | instid1(VALU_DEP_1)
	v_sub_f32_e32 v8, v8, v9
	v_add_f32_e32 v6, v6, v8
	s_delay_alu instid0(VALU_DEP_1) | instskip(NEXT) | instid1(VALU_DEP_1)
	v_add_f32_e32 v6, v6, v7
	v_add_f32_e32 v6, v34, v6
	s_delay_alu instid0(VALU_DEP_1) | instskip(NEXT) | instid1(VALU_DEP_1)
	v_mul_f32_e32 v6, 0.5, v6
	v_cndmask_b32_e64 v6, v6, |v11|, s7
	s_delay_alu instid0(VALU_DEP_1) | instskip(NEXT) | instid1(VALU_DEP_1)
	v_cndmask_b32_e32 v6, 0x7f800000, v6, vcc_lo
	v_bfi_b32 v7, 0x7fffffff, v6, v11
	v_mov_b32_e32 v6, v10
.LBB74_285:                             ;   in Loop: Header=BB74_233 Depth=1
	s_or_b32 exec_lo, exec_lo, s0
	v_cmp_neq_f32_e32 vcc_lo, 0, v12
	v_cmp_nle_f32_e64 s0, |v13|, 1.0
	flat_store_b32 v[16:17], v28 scope:SCOPE_SYS
	s_wait_storecnt 0x0
	s_or_b32 s0, vcc_lo, s0
	s_wait_xcnt 0x0
	s_and_saveexec_b32 s7, s0
	s_delay_alu instid0(SALU_CYCLE_1)
	s_xor_b32 s7, exec_lo, s7
	s_cbranch_execz .LBB74_335
; %bb.286:                              ;   in Loop: Header=BB74_233 Depth=1
	s_mov_b32 s0, exec_lo
	v_cmpx_neq_f32_e32 0, v13
	s_xor_b32 s10, exec_lo, s0
	s_cbranch_execz .LBB74_332
; %bb.287:                              ;   in Loop: Header=BB74_233 Depth=1
	s_mov_b32 s0, exec_lo
	v_cmpx_o_f32_e32 v13, v12
	s_xor_b32 s11, exec_lo, s0
	s_cbranch_execz .LBB74_321
; %bb.288:                              ;   in Loop: Header=BB74_233 Depth=1
	v_max_num_f32_e64 v9, |v13|, |v13|
	v_max_num_f32_e64 v8, |v12|, |v12|
	s_mov_b32 s0, exec_lo
	s_delay_alu instid0(VALU_DEP_1) | instskip(NEXT) | instid1(VALU_DEP_1)
	v_max_num_f32_e32 v9, v8, v9
	v_cmpx_nlt_f32_e32 0x4b000000, v9
	s_xor_b32 s12, exec_lo, s0
	s_cbranch_execz .LBB74_306
; %bb.289:                              ;   in Loop: Header=BB74_233 Depth=1
	v_cmp_ngt_f32_e64 s0, 0x399cc471, |v13|
	v_cmp_ngt_f32_e64 s13, 0x399cc471, |v12|
	s_or_b32 s0, s13, s0
	s_delay_alu instid0(SALU_CYCLE_1) | instskip(NEXT) | instid1(SALU_CYCLE_1)
	s_and_saveexec_b32 s13, s0
	s_xor_b32 s13, exec_lo, s13
	s_cbranch_execz .LBB74_303
; %bb.290:                              ;   in Loop: Header=BB74_233 Depth=1
	v_cmp_neq_f32_e64 s14, |v13|, 1.0
	v_cmp_ngt_f32_e64 s0, 0x34000000, |v12|
                                        ; implicit-def: $vgpr9
	s_or_b32 s15, s0, s14
	s_delay_alu instid0(SALU_CYCLE_1) | instskip(NEXT) | instid1(SALU_CYCLE_1)
	s_and_saveexec_b32 s16, s15
	s_xor_b32 s15, exec_lo, s16
	s_cbranch_execz .LBB74_292
; %bb.291:                              ;   in Loop: Header=BB74_233 Depth=1
	v_add_f32_e64 v11, |v13|, -1.0
	v_cmp_gt_f32_e64 vcc_lo, 0x20000000, |v12|
	v_mov_b32_e32 v10, v12
	s_delay_alu instid0(VALU_DEP_1) | instskip(NEXT) | instid1(VALU_DEP_1)
	v_pk_mul_f32 v[10:11], v[10:11], v[10:11]
	v_add_f32_e32 v9, v10, v11
	v_mul_f32_e64 v10, |v13|, 4.0
	s_delay_alu instid0(VALU_DEP_2) | instskip(NEXT) | instid1(VALU_DEP_1)
	v_cndmask_b32_e32 v9, v9, v11, vcc_lo
	v_div_scale_f32 v11, null, v9, v9, v10
	v_div_scale_f32 v31, vcc_lo, v10, v9, v10
	s_wait_dscnt 0x2
	s_delay_alu instid0(VALU_DEP_2) | instskip(SKIP_1) | instid1(TRANS32_DEP_1)
	v_rcp_f32_e32 v23, v11
	v_nop
	v_fma_f32 v25, -v11, v23, 1.0
	s_delay_alu instid0(VALU_DEP_1) | instskip(NEXT) | instid1(VALU_DEP_1)
	v_fmac_f32_e32 v23, v25, v23
	v_mul_f32_e32 v25, v31, v23
	s_delay_alu instid0(VALU_DEP_1) | instskip(NEXT) | instid1(VALU_DEP_1)
	v_fma_f32 v32, -v11, v25, v31
	v_fmac_f32_e32 v25, v32, v23
	s_delay_alu instid0(VALU_DEP_1) | instskip(NEXT) | instid1(VALU_DEP_1)
	v_fma_f32 v11, -v11, v25, v31
	v_div_fmas_f32 v11, v11, v23, v25
	s_delay_alu instid0(VALU_DEP_1) | instskip(NEXT) | instid1(VALU_DEP_1)
	v_div_fixup_f32 v10, v11, v9, v10
	v_add_f32_e32 v33, 1.0, v10
	s_delay_alu instid0(VALU_DEP_1) | instskip(SKIP_2) | instid1(VALU_DEP_2)
	v_cvt_f64_f32_e32 v[34:35], v33
	v_frexp_mant_f32_e32 v23, v33
	v_add_f32_e32 v11, -1.0, v33
	v_cmp_gt_f32_e32 vcc_lo, 0x3f2aaaab, v23
	s_delay_alu instid0(VALU_DEP_2) | instskip(SKIP_1) | instid1(VALU_DEP_2)
	v_mov_b32_e32 v32, v11
	v_frexp_exp_i32_f64_e32 v9, v[34:35]
	v_pk_add_f32 v[34:35], v[10:11], v[32:33] neg_lo:[0,1] neg_hi:[0,1]
	s_delay_alu instid0(VALU_DEP_1) | instskip(NEXT) | instid1(VALU_DEP_3)
	v_add_f32_e32 v25, 1.0, v35
	v_subrev_co_ci_u32_e64 v9, null, 0, v9, vcc_lo
	v_cmp_neq_f32_e32 vcc_lo, 0x7f800000, v10
	s_delay_alu instid0(VALU_DEP_2) | instskip(NEXT) | instid1(VALU_DEP_1)
	v_sub_nc_u32_e32 v23, 0, v9
	v_ldexp_f32 v11, v33, v23
	s_delay_alu instid0(VALU_DEP_1) | instskip(NEXT) | instid1(VALU_DEP_1)
	v_dual_add_f32 v31, 1.0, v11 :: v_dual_add_f32 v25, v34, v25
	v_add_f32_e32 v32, -1.0, v31
	v_add_f32_e32 v37, -1.0, v11
	s_delay_alu instid0(VALU_DEP_3) | instskip(NEXT) | instid1(VALU_DEP_2)
	v_ldexp_f32 v23, v25, v23
	v_dual_sub_f32 v25, v11, v32 :: v_dual_add_f32 v32, 1.0, v37
	s_delay_alu instid0(VALU_DEP_1) | instskip(NEXT) | instid1(VALU_DEP_1)
	v_sub_f32_e32 v11, v11, v32
	v_dual_add_f32 v11, v23, v11 :: v_dual_add_f32 v25, v23, v25
	s_delay_alu instid0(VALU_DEP_1) | instskip(NEXT) | instid1(VALU_DEP_1)
	v_dual_add_f32 v33, v37, v11 :: v_dual_add_f32 v38, v31, v25
	v_sub_f32_e32 v31, v38, v31
	s_delay_alu instid0(VALU_DEP_1) | instskip(SKIP_1) | instid1(VALU_DEP_3)
	v_sub_f32_e32 v25, v25, v31
	v_rcp_f32_e32 v23, v38
	v_sub_f32_e32 v31, v33, v37
	s_delay_alu instid0(VALU_DEP_1) | instskip(NEXT) | instid1(TRANS32_DEP_1)
	v_sub_f32_e32 v11, v11, v31
	v_mul_f32_e32 v39, v33, v23
	s_delay_alu instid0(VALU_DEP_1) | instskip(NEXT) | instid1(VALU_DEP_1)
	v_mul_f32_e32 v34, v38, v39
	v_fma_f32 v36, v39, v38, -v34
	s_delay_alu instid0(VALU_DEP_1) | instskip(NEXT) | instid1(VALU_DEP_1)
	v_fmac_f32_e32 v36, v39, v25
	v_add_f32_e32 v32, v34, v36
	s_delay_alu instid0(VALU_DEP_1) | instskip(NEXT) | instid1(VALU_DEP_1)
	v_dual_sub_f32 v35, v33, v32 :: v_dual_mov_b32 v37, v32
	v_pk_add_f32 v[32:33], v[32:33], v[34:35] neg_lo:[0,1] neg_hi:[0,1]
	s_delay_alu instid0(VALU_DEP_1) | instskip(NEXT) | instid1(VALU_DEP_1)
	v_pk_add_f32 v[32:33], v[32:33], v[36:37] neg_lo:[0,1] neg_hi:[0,1]
	v_add_f32_e32 v11, v11, v33
	s_delay_alu instid0(VALU_DEP_1) | instskip(NEXT) | instid1(VALU_DEP_1)
	v_add_f32_e32 v11, v32, v11
	v_add_f32_e32 v33, v35, v11
	s_delay_alu instid0(VALU_DEP_1) | instskip(NEXT) | instid1(VALU_DEP_1)
	v_mul_f32_e32 v31, v23, v33
	v_mul_f32_e32 v36, v38, v31
	s_delay_alu instid0(VALU_DEP_1) | instskip(SKIP_1) | instid1(VALU_DEP_2)
	v_fma_f32 v34, v31, v38, -v36
	v_add_f32_e32 v38, v39, v31
	v_fmac_f32_e32 v34, v31, v25
	s_delay_alu instid0(VALU_DEP_1) | instskip(NEXT) | instid1(VALU_DEP_1)
	v_dual_sub_f32 v25, v35, v33 :: v_dual_add_f32 v32, v36, v34
	v_dual_add_f32 v11, v11, v25 :: v_dual_sub_f32 v25, v38, v39
	s_delay_alu instid0(VALU_DEP_2) | instskip(NEXT) | instid1(VALU_DEP_2)
	v_dual_mov_b32 v35, v32 :: v_dual_sub_f32 v37, v33, v32
	v_sub_f32_e32 v25, v31, v25
	s_delay_alu instid0(VALU_DEP_2) | instskip(NEXT) | instid1(VALU_DEP_1)
	v_pk_add_f32 v[32:33], v[32:33], v[36:37] neg_lo:[0,1] neg_hi:[0,1]
	v_pk_add_f32 v[32:33], v[32:33], v[34:35] neg_lo:[0,1] neg_hi:[0,1]
	s_delay_alu instid0(VALU_DEP_1) | instskip(NEXT) | instid1(VALU_DEP_1)
	v_add_f32_e32 v11, v11, v33
	v_add_f32_e32 v11, v32, v11
	v_cvt_f32_i32_e32 v32, v9
	s_delay_alu instid0(VALU_DEP_2) | instskip(NEXT) | instid1(VALU_DEP_1)
	v_add_f32_e32 v11, v37, v11
	v_mul_f32_e32 v11, v23, v11
	s_delay_alu instid0(VALU_DEP_1) | instskip(NEXT) | instid1(VALU_DEP_1)
	v_add_f32_e32 v11, v25, v11
	v_add_f32_e32 v23, v38, v11
	s_delay_alu instid0(VALU_DEP_1) | instskip(SKIP_1) | instid1(VALU_DEP_1)
	v_ldexp_f32 v37, v23, 1
	v_mul_f32_e32 v25, v23, v23
	v_fmaak_f32 v31, s4, v25, 0x3ecc95a3
	v_dual_mul_f32 v33, v23, v25 :: v_dual_sub_f32 v9, v23, v38
	s_delay_alu instid0(VALU_DEP_2) | instskip(NEXT) | instid1(VALU_DEP_1)
	v_fmaak_f32 v25, v25, v31, 0x3f2aaada
	v_pk_mul_f32 v[34:35], v[32:33], v[24:25]
	s_delay_alu instid0(VALU_DEP_1) | instskip(SKIP_1) | instid1(VALU_DEP_2)
	v_fma_f32 v36, 0x3f317218, v32, -v34
	v_mov_b32_e32 v38, v34
	v_fmac_f32_e32 v36, 0xb102e308, v32
	s_delay_alu instid0(VALU_DEP_1) | instskip(SKIP_1) | instid1(VALU_DEP_2)
	v_pk_add_f32 v[32:33], v[34:35], v[36:37]
	v_sub_f32_e32 v9, v11, v9
	v_dual_sub_f32 v11, v33, v37 :: v_dual_mov_b32 v37, v32
	s_delay_alu instid0(VALU_DEP_2) | instskip(NEXT) | instid1(VALU_DEP_2)
	v_ldexp_f32 v9, v9, 1
	v_sub_f32_e32 v11, v35, v11
	v_pk_add_f32 v[34:35], v[32:33], v[34:35] neg_lo:[0,1] neg_hi:[0,1]
	s_delay_alu instid0(VALU_DEP_2) | instskip(NEXT) | instid1(VALU_DEP_1)
	v_add_f32_e32 v39, v9, v11
	v_pk_add_f32 v[40:41], v[32:33], v[38:39]
	s_delay_alu instid0(VALU_DEP_1) | instskip(NEXT) | instid1(VALU_DEP_1)
	v_dual_mov_b32 v46, v33 :: v_dual_mov_b32 v35, v41
	v_pk_add_f32 v[42:43], v[36:37], v[34:35]
	v_mov_b32_e32 v42, v41
	v_pk_add_f32 v[34:35], v[36:37], v[34:35] neg_lo:[0,1] neg_hi:[0,1]
	s_delay_alu instid0(VALU_DEP_3) | instskip(NEXT) | instid1(VALU_DEP_1)
	v_mov_b32_e32 v38, v43
	v_pk_add_f32 v[44:45], v[38:39], v[32:33] neg_lo:[0,1] neg_hi:[0,1]
	v_dual_mov_b32 v33, v32 :: v_dual_mov_b32 v32, v39
	s_delay_alu instid0(VALU_DEP_2) | instskip(NEXT) | instid1(VALU_DEP_1)
	v_dual_mov_b32 v9, v44 :: v_dual_mov_b32 v47, v44
	v_pk_add_f32 v[36:37], v[40:41], v[8:9] neg_lo:[0,1] neg_hi:[0,1]
	s_delay_alu instid0(VALU_DEP_2) | instskip(SKIP_1) | instid1(VALU_DEP_2)
	v_pk_add_f32 v[44:45], v[42:43], v[46:47] neg_lo:[0,1] neg_hi:[0,1]
	v_mov_b32_e32 v36, v34
	v_pk_add_f32 v[32:33], v[32:33], v[44:45] neg_lo:[0,1] neg_hi:[0,1]
	s_delay_alu instid0(VALU_DEP_1) | instskip(NEXT) | instid1(VALU_DEP_1)
	v_pk_add_f32 v[36:37], v[36:37], v[32:33]
	v_mov_b32_e32 v40, v37
	s_delay_alu instid0(VALU_DEP_1) | instskip(NEXT) | instid1(VALU_DEP_1)
	v_pk_add_f32 v[40:41], v[36:37], v[40:41]
	v_pk_add_f32 v[38:39], v[38:39], v[40:41]
	s_delay_alu instid0(VALU_DEP_1) | instskip(NEXT) | instid1(VALU_DEP_1)
	v_dual_mov_b32 v35, v43 :: v_dual_mov_b32 v37, v38
	v_pk_add_f32 v[42:43], v[36:37], v[34:35] neg_lo:[0,1] neg_hi:[0,1]
	s_delay_alu instid0(VALU_DEP_1) | instskip(NEXT) | instid1(VALU_DEP_1)
	v_sub_f32_e32 v9, v36, v42
	v_dual_mov_b32 v33, v40 :: v_dual_sub_f32 v9, v34, v9
	s_delay_alu instid0(VALU_DEP_1) | instskip(NEXT) | instid1(VALU_DEP_1)
	v_pk_add_f32 v[32:33], v[32:33], v[42:43] neg_lo:[0,1] neg_hi:[0,1]
	v_add_f32_e32 v9, v32, v9
	s_delay_alu instid0(VALU_DEP_1) | instskip(NEXT) | instid1(VALU_DEP_1)
	v_add_f32_e32 v9, v9, v33
	v_add_f32_e32 v9, v38, v9
	s_delay_alu instid0(VALU_DEP_1) | instskip(SKIP_1) | instid1(VALU_DEP_2)
	v_cndmask_b32_e32 v9, 0x7f800000, v9, vcc_lo
	v_cmp_ngt_f32_e32 vcc_lo, -1.0, v10
	v_cndmask_b32_e32 v9, 0x7fc00000, v9, vcc_lo
	v_cmp_neq_f32_e32 vcc_lo, -1.0, v10
	s_delay_alu instid0(VALU_DEP_2) | instskip(SKIP_1) | instid1(VALU_DEP_2)
	v_cndmask_b32_e32 v9, 0xff800000, v9, vcc_lo
	v_cmp_gt_f32_e64 vcc_lo, 0x33800000, |v10|
	v_cndmask_b32_e32 v9, v9, v10, vcc_lo
	s_delay_alu instid0(VALU_DEP_1)
	v_mul_f32_e32 v9, 0x3e800000, v9
	s_and_not1_saveexec_b32 s15, s15
	s_cbranch_execz .LBB74_294
	s_branch .LBB74_293
.LBB74_292:                             ;   in Loop: Header=BB74_233 Depth=1
	s_and_not1_saveexec_b32 s15, s15
	s_cbranch_execz .LBB74_294
.LBB74_293:                             ;   in Loop: Header=BB74_233 Depth=1
	v_cmp_gt_f32_e64 s16, 0x800000, |v12|
	s_delay_alu instid0(VALU_DEP_1) | instskip(NEXT) | instid1(VALU_DEP_1)
	v_cndmask_b32_e64 v9, 0, 32, s16
	v_ldexp_f32 v9, |v12|, v9
	s_delay_alu instid0(VALU_DEP_1) | instskip(SKIP_1) | instid1(TRANS32_DEP_1)
	v_log_f32_e32 v9, v9
	v_nop
	v_mul_f32_e32 v10, 0x3f317217, v9
	v_cmp_gt_f32_e64 vcc_lo, 0x7f800000, |v9|
	s_delay_alu instid0(VALU_DEP_2) | instskip(NEXT) | instid1(VALU_DEP_1)
	v_fma_f32 v10, 0x3f317217, v9, -v10
	v_fmac_f32_e32 v10, 0x3377d1cf, v9
	s_delay_alu instid0(VALU_DEP_1) | instskip(NEXT) | instid1(VALU_DEP_1)
	v_fmac_f32_e32 v10, 0x3f317217, v9
	v_cndmask_b32_e32 v9, v9, v10, vcc_lo
	v_cndmask_b32_e64 v10, 0, 0x41b17218, s16
	s_delay_alu instid0(VALU_DEP_1) | instskip(NEXT) | instid1(VALU_DEP_1)
	v_sub_f32_e32 v9, v9, v10
	v_sub_f32_e32 v9, 0x3f317218, v9
	s_delay_alu instid0(VALU_DEP_1)
	v_mul_f32_e32 v9, 0.5, v9
.LBB74_294:                             ;   in Loop: Header=BB74_233 Depth=1
	s_or_b32 exec_lo, exec_lo, s15
                                        ; implicit-def: $vgpr11
	s_and_saveexec_b32 s15, s14
	s_delay_alu instid0(SALU_CYCLE_1)
	s_xor_b32 s14, exec_lo, s15
	s_cbranch_execz .LBB74_300
; %bb.295:                              ;   in Loop: Header=BB74_233 Depth=1
	v_sub_f32_e64 v10, 1.0, |v13|
	v_add_f32_e64 v11, |v13|, 1.0
	v_add_f32_e64 v8, |v12|, |v12|
	s_delay_alu instid0(VALU_DEP_2) | instskip(SKIP_1) | instid1(SALU_CYCLE_1)
	v_mul_f32_e32 v10, v10, v11
                                        ; implicit-def: $vgpr11
	s_and_saveexec_b32 s15, s0
	s_xor_b32 s15, exec_lo, s15
	s_cbranch_execz .LBB74_297
; %bb.296:                              ;   in Loop: Header=BB74_233 Depth=1
	s_delay_alu instid0(VALU_DEP_1) | instskip(SKIP_2) | instid1(VALU_DEP_1)
	v_fma_f32 v10, -v12, v12, v10
	v_max_num_f32_e32 v11, v8, v8
	s_wait_dscnt 0x2
	v_max_num_f32_e64 v23, |v10|, v11
	v_min_num_f32_e64 v11, |v10|, v11
	s_delay_alu instid0(VALU_DEP_2) | instskip(SKIP_1) | instid1(VALU_DEP_3)
	v_frexp_mant_f32_e32 v25, v23
	v_frexp_exp_i32_f32_e32 v23, v23
	v_frexp_exp_i32_f32_e32 v31, v11
	v_frexp_mant_f32_e32 v11, v11
	s_delay_alu instid0(VALU_DEP_4) | instskip(NEXT) | instid1(VALU_DEP_2)
	v_rcp_f32_e32 v25, v25
	v_sub_nc_u32_e32 v23, v31, v23
	v_cmp_gt_f32_e64 vcc_lo, v8, |v10|
	v_cmp_gt_i32_e64 s0, 0, v10
	v_cmp_class_f32_e64 s16, v10, 0x204
	s_delay_alu instid0(TRANS32_DEP_1) | instskip(NEXT) | instid1(VALU_DEP_1)
	v_mul_f32_e32 v11, v11, v25
	v_ldexp_f32 v11, v11, v23
	s_delay_alu instid0(VALU_DEP_1) | instskip(NEXT) | instid1(VALU_DEP_1)
	v_mul_f32_e32 v23, v11, v11
	v_fmaak_f32 v25, s5, v23, 0xbc7a590c
	s_delay_alu instid0(VALU_DEP_1) | instskip(NEXT) | instid1(VALU_DEP_1)
	v_fmaak_f32 v25, v23, v25, 0x3d29fb3f
	v_fmaak_f32 v25, v23, v25, 0xbd97d4d7
	s_delay_alu instid0(VALU_DEP_1) | instskip(NEXT) | instid1(VALU_DEP_1)
	v_fmaak_f32 v25, v23, v25, 0x3dd931b2
	;; [unrolled: 3-line block ×3, first 2 shown]
	v_fmaak_f32 v25, v23, v25, 0xbeaaaa62
	s_delay_alu instid0(VALU_DEP_1) | instskip(NEXT) | instid1(VALU_DEP_1)
	v_mul_f32_e32 v23, v23, v25
	v_fmac_f32_e32 v11, v11, v23
	s_delay_alu instid0(VALU_DEP_1) | instskip(NEXT) | instid1(VALU_DEP_1)
	v_sub_f32_e32 v23, 0x3fc90fdb, v11
	v_cndmask_b32_e32 v11, v11, v23, vcc_lo
	v_cmp_gt_f32_e32 vcc_lo, 0, v10
	s_delay_alu instid0(VALU_DEP_2) | instskip(SKIP_1) | instid1(VALU_DEP_2)
	v_sub_f32_e32 v23, 0x40490fdb, v11
	v_cndmask_b32_e32 v25, 0x3f490fdb, v30, vcc_lo
	v_cndmask_b32_e32 v11, v11, v23, vcc_lo
	v_cndmask_b32_e64 v23, 0, 0x40490fdb, s0
	v_cmp_eq_f32_e64 s0, 0, v8
	v_cmp_eq_f32_e32 vcc_lo, 0x7f800000, v8
	s_delay_alu instid0(VALU_DEP_2) | instskip(SKIP_1) | instid1(VALU_DEP_1)
	v_cndmask_b32_e64 v8, |v11|, v23, s0
	s_and_b32 vcc_lo, vcc_lo, s16
	v_cndmask_b32_e32 v8, v8, v25, vcc_lo
	v_cmp_o_f32_e32 vcc_lo, v10, v10
                                        ; implicit-def: $vgpr10
	s_delay_alu instid0(VALU_DEP_2)
	v_cndmask_b32_e32 v11, 0x7fc00000, v8, vcc_lo
                                        ; implicit-def: $vgpr8
.LBB74_297:                             ;   in Loop: Header=BB74_233 Depth=1
	s_and_not1_saveexec_b32 s15, s15
	s_cbranch_execz .LBB74_299
; %bb.298:                              ;   in Loop: Header=BB74_233 Depth=1
	v_max_num_f32_e32 v11, v8, v8
	s_wait_dscnt 0x2
	v_max_num_f32_e64 v23, |v10|, |v10|
	v_cmp_gt_f32_e64 vcc_lo, v8, |v10|
	v_cmp_gt_i32_e64 s0, 0, v10
	v_cmp_class_f32_e64 s16, v10, 0x204
	s_delay_alu instid0(VALU_DEP_4) | instskip(NEXT) | instid1(VALU_DEP_1)
	v_dual_max_num_f32 v25, v23, v11 :: v_dual_min_num_f32 v11, v23, v11
	v_frexp_mant_f32_e32 v31, v25
	v_frexp_exp_i32_f32_e32 v23, v25
	s_delay_alu instid0(VALU_DEP_2) | instskip(SKIP_3) | instid1(VALU_DEP_2)
	v_rcp_f32_e32 v25, v31
	v_nop
	v_frexp_exp_i32_f32_e32 v31, v11
	v_frexp_mant_f32_e32 v11, v11
	v_sub_nc_u32_e32 v23, v31, v23
	s_delay_alu instid0(TRANS32_DEP_1) | instid1(VALU_DEP_2)
	v_mul_f32_e32 v11, v11, v25
	s_delay_alu instid0(VALU_DEP_1) | instskip(NEXT) | instid1(VALU_DEP_1)
	v_ldexp_f32 v11, v11, v23
	v_mul_f32_e32 v23, v11, v11
	s_delay_alu instid0(VALU_DEP_1) | instskip(NEXT) | instid1(VALU_DEP_1)
	v_fmaak_f32 v25, s5, v23, 0xbc7a590c
	v_fmaak_f32 v25, v23, v25, 0x3d29fb3f
	s_delay_alu instid0(VALU_DEP_1) | instskip(NEXT) | instid1(VALU_DEP_1)
	v_fmaak_f32 v25, v23, v25, 0xbd97d4d7
	v_fmaak_f32 v25, v23, v25, 0x3dd931b2
	;; [unrolled: 3-line block ×3, first 2 shown]
	s_delay_alu instid0(VALU_DEP_1) | instskip(NEXT) | instid1(VALU_DEP_1)
	v_fmaak_f32 v25, v23, v25, 0xbeaaaa62
	v_mul_f32_e32 v23, v23, v25
	s_delay_alu instid0(VALU_DEP_1) | instskip(NEXT) | instid1(VALU_DEP_1)
	v_fmac_f32_e32 v11, v11, v23
	v_sub_f32_e32 v23, 0x3fc90fdb, v11
	s_delay_alu instid0(VALU_DEP_1) | instskip(SKIP_1) | instid1(VALU_DEP_2)
	v_cndmask_b32_e32 v11, v11, v23, vcc_lo
	v_cmp_gt_f32_e32 vcc_lo, 0, v10
	v_sub_f32_e32 v23, 0x40490fdb, v11
	v_cndmask_b32_e32 v25, 0x3f490fdb, v30, vcc_lo
	s_delay_alu instid0(VALU_DEP_2) | instskip(SKIP_3) | instid1(VALU_DEP_2)
	v_cndmask_b32_e32 v11, v11, v23, vcc_lo
	v_cndmask_b32_e64 v23, 0, 0x40490fdb, s0
	v_cmp_eq_f32_e64 s0, 0, v8
	v_cmp_eq_f32_e32 vcc_lo, 0x7f800000, v8
	v_cndmask_b32_e64 v8, |v11|, v23, s0
	s_and_b32 vcc_lo, vcc_lo, s16
	s_delay_alu instid0(VALU_DEP_1) | instskip(SKIP_1) | instid1(VALU_DEP_2)
	v_cndmask_b32_e32 v8, v8, v25, vcc_lo
	v_cmp_o_f32_e32 vcc_lo, v10, v10
	v_cndmask_b32_e32 v11, 0x7fc00000, v8, vcc_lo
.LBB74_299:                             ;   in Loop: Header=BB74_233 Depth=1
	s_or_b32 exec_lo, exec_lo, s15
                                        ; implicit-def: $vgpr8
	s_and_not1_saveexec_b32 s0, s14
	s_cbranch_execnz .LBB74_301
	s_branch .LBB74_302
.LBB74_300:                             ;   in Loop: Header=BB74_233 Depth=1
	s_and_not1_saveexec_b32 s0, s14
	s_cbranch_execz .LBB74_302
.LBB74_301:                             ;   in Loop: Header=BB74_233 Depth=1
	v_dual_max_num_f32 v10, 2.0, v8 :: v_dual_min_num_f32 v8, 2.0, v8
	v_cmp_lt_f32_e64 vcc_lo, |v12|, 2.0
	s_delay_alu instid0(VALU_DEP_2)
	v_frexp_mant_f32_e32 v11, v10
	v_frexp_exp_i32_f32_e32 v10, v10
	s_wait_dscnt 0x2
	v_frexp_mant_f32_e32 v23, v8
	v_frexp_exp_i32_f32_e32 v8, v8
	v_rcp_f32_e32 v11, v11
	v_nop
	s_delay_alu instid0(TRANS32_DEP_1) | instskip(NEXT) | instid1(VALU_DEP_1)
	v_dual_mul_f32 v11, v23, v11 :: v_dual_sub_nc_u32 v8, v8, v10
	v_ldexp_f32 v8, v11, v8
	s_delay_alu instid0(VALU_DEP_1) | instskip(NEXT) | instid1(VALU_DEP_1)
	v_mul_f32_e32 v10, v8, v8
	v_fmaak_f32 v11, s5, v10, 0xbc7a590c
	s_delay_alu instid0(VALU_DEP_1) | instskip(NEXT) | instid1(VALU_DEP_1)
	v_fmaak_f32 v11, v10, v11, 0x3d29fb3f
	v_fmaak_f32 v11, v10, v11, 0xbd97d4d7
	s_delay_alu instid0(VALU_DEP_1) | instskip(NEXT) | instid1(VALU_DEP_1)
	v_fmaak_f32 v11, v10, v11, 0x3dd931b2
	v_fmaak_f32 v11, v10, v11, 0xbe1160e6
	s_delay_alu instid0(VALU_DEP_1) | instskip(NEXT) | instid1(VALU_DEP_1)
	v_fmaak_f32 v11, v10, v11, 0x3e4cb8bf
	v_fmaak_f32 v11, v10, v11, 0xbeaaaa62
	s_delay_alu instid0(VALU_DEP_1) | instskip(NEXT) | instid1(VALU_DEP_1)
	v_mul_f32_e32 v10, v10, v11
	v_fmac_f32_e32 v8, v8, v10
	s_delay_alu instid0(VALU_DEP_1) | instskip(NEXT) | instid1(VALU_DEP_1)
	v_sub_f32_e32 v10, 0x3fc90fdb, v8
	v_cndmask_b32_e32 v8, v8, v10, vcc_lo
	v_cmp_lg_f32_e32 vcc_lo, 0, v12
	s_delay_alu instid0(VALU_DEP_2) | instskip(NEXT) | instid1(VALU_DEP_1)
	v_sub_f32_e32 v10, 0x40490fdb, v8
	v_cndmask_b32_e32 v8, v8, v10, vcc_lo
	s_delay_alu instid0(VALU_DEP_1)
	v_and_b32_e32 v11, 0x7fffffff, v8
.LBB74_302:                             ;   in Loop: Header=BB74_233 Depth=1
	s_or_b32 exec_lo, exec_lo, s0
	s_delay_alu instid0(VALU_DEP_1) | instskip(SKIP_1) | instid1(VALU_DEP_2)
	v_mul_f32_e32 v8, 0.5, v11
	v_bfi_b32 v9, 0x7fffffff, v9, v13
	v_bfi_b32 v8, 0x7fffffff, v8, v12
                                        ; implicit-def: $vgpr13
.LBB74_303:                             ;   in Loop: Header=BB74_233 Depth=1
	s_and_not1_saveexec_b32 s0, s13
	s_cbranch_execz .LBB74_305
; %bb.304:                              ;   in Loop: Header=BB74_233 Depth=1
	flat_store_b32 v[18:19], v29 scope:SCOPE_SYS
	s_wait_storecnt 0x0
	flat_load_b32 v8, v[18:19] scope:SCOPE_SYS
	s_wait_loadcnt_dscnt 0x0
	v_dual_mov_b32 v9, v13 :: v_dual_add_f32 v8, 1.0, v8
	flat_store_b32 v[20:21], v8 scope:SCOPE_SYS
	s_wait_storecnt 0x0
	flat_load_b32 v8, v[20:21] scope:SCOPE_SYS
	s_wait_loadcnt_dscnt 0x0
	v_mov_b32_e32 v8, v12
.LBB74_305:                             ;   in Loop: Header=BB74_233 Depth=1
	s_or_b32 exec_lo, exec_lo, s0
                                        ; implicit-def: $vgpr10_vgpr11_vgpr12_vgpr13
.LBB74_306:                             ;   in Loop: Header=BB74_233 Depth=1
	s_and_not1_saveexec_b32 s0, s12
	s_cbranch_execz .LBB74_320
; %bb.307:                              ;   in Loop: Header=BB74_233 Depth=1
	v_and_b32_e32 v8, 0x7f800000, v13
	v_and_b32_e32 v9, 0x7f800000, v12
	v_cmp_neq_f32_e64 s12, 0x7f800000, |v13|
	s_delay_alu instid0(VALU_DEP_2) | instskip(NEXT) | instid1(VALU_DEP_1)
	v_sub_nc_u32_e32 v10, v8, v9
	v_cmp_gt_i32_e32 vcc_lo, 0x6800000, v10
	s_and_b32 s12, s12, vcc_lo
	s_delay_alu instid0(SALU_CYCLE_1) | instskip(NEXT) | instid1(SALU_CYCLE_1)
	s_and_saveexec_b32 s13, s12
	s_xor_b32 s12, exec_lo, s13
	s_cbranch_execz .LBB74_317
; %bb.308:                              ;   in Loop: Header=BB74_233 Depth=1
	v_sub_nc_u32_e32 v9, v9, v8
	s_mov_b32 s13, exec_lo
	s_delay_alu instid0(VALU_DEP_1)
	v_cmpx_gt_i32_e32 0x6800000, v9
	s_xor_b32 s13, exec_lo, s13
	s_cbranch_execz .LBB74_314
; %bb.309:                              ;   in Loop: Header=BB74_233 Depth=1
	s_mov_b32 s14, exec_lo
	v_cmpx_lt_u32_e32 0x59000000, v8
	s_xor_b32 s14, exec_lo, s14
	s_cbranch_execz .LBB74_311
; %bb.310:                              ;   in Loop: Header=BB74_233 Depth=1
	v_sub_nc_u32_e32 v8, 0x7f800000, v8
	s_delay_alu instid0(VALU_DEP_1) | instskip(NEXT) | instid1(VALU_DEP_1)
	v_pk_mul_f32 v[10:11], v[12:13], v[8:9] op_sel_hi:[1,0]
	v_pk_mul_f32 v[32:33], v[10:11], v[10:11]
	s_delay_alu instid0(VALU_DEP_1) | instskip(NEXT) | instid1(VALU_DEP_1)
	v_add_f32_e32 v9, v33, v32
	v_div_scale_f32 v10, null, v9, v9, v11
	s_wait_dscnt 0x2
	s_delay_alu instid0(VALU_DEP_1) | instskip(SKIP_1) | instid1(TRANS32_DEP_1)
	v_rcp_f32_e32 v23, v10
	v_nop
	v_fma_f32 v25, -v10, v23, 1.0
	s_delay_alu instid0(VALU_DEP_1) | instskip(SKIP_1) | instid1(VALU_DEP_1)
	v_fmac_f32_e32 v23, v25, v23
	v_div_scale_f32 v25, vcc_lo, v11, v9, v11
	v_mul_f32_e32 v31, v25, v23
	s_delay_alu instid0(VALU_DEP_1) | instskip(NEXT) | instid1(VALU_DEP_1)
	v_fma_f32 v32, -v10, v31, v25
	v_fmac_f32_e32 v31, v32, v23
	s_delay_alu instid0(VALU_DEP_1) | instskip(NEXT) | instid1(VALU_DEP_1)
	v_fma_f32 v10, -v10, v31, v25
	v_div_fmas_f32 v10, v10, v23, v31
	s_delay_alu instid0(VALU_DEP_1) | instskip(NEXT) | instid1(VALU_DEP_1)
	v_div_fixup_f32 v9, v10, v9, v11
	v_mul_f32_e32 v9, v9, v8
.LBB74_311:                             ;   in Loop: Header=BB74_233 Depth=1
	s_and_not1_saveexec_b32 s14, s14
	s_cbranch_execz .LBB74_313
; %bb.312:                              ;   in Loop: Header=BB74_233 Depth=1
	v_pk_mul_f32 v[8:9], v[12:13], v[12:13]
	s_delay_alu instid0(VALU_DEP_1) | instskip(NEXT) | instid1(VALU_DEP_1)
	v_add_f32_e32 v8, v8, v9
	v_div_scale_f32 v9, null, v8, v8, v13
	s_delay_alu instid0(VALU_DEP_1) | instskip(SKIP_1) | instid1(TRANS32_DEP_1)
	v_rcp_f32_e32 v10, v9
	v_nop
	v_fma_f32 v11, -v9, v10, 1.0
	s_delay_alu instid0(VALU_DEP_1) | instskip(SKIP_2) | instid1(VALU_DEP_1)
	v_fmac_f32_e32 v10, v11, v10
	v_div_scale_f32 v11, vcc_lo, v13, v8, v13
	s_wait_dscnt 0x2
	v_mul_f32_e32 v23, v11, v10
	s_delay_alu instid0(VALU_DEP_1) | instskip(NEXT) | instid1(VALU_DEP_1)
	v_fma_f32 v25, -v9, v23, v11
	v_fmac_f32_e32 v23, v25, v10
	s_delay_alu instid0(VALU_DEP_1) | instskip(NEXT) | instid1(VALU_DEP_1)
	v_fma_f32 v9, -v9, v23, v11
	v_div_fmas_f32 v9, v9, v10, v23
	s_delay_alu instid0(VALU_DEP_1)
	v_div_fixup_f32 v9, v9, v8, v13
.LBB74_313:                             ;   in Loop: Header=BB74_233 Depth=1
	s_or_b32 exec_lo, exec_lo, s14
.LBB74_314:                             ;   in Loop: Header=BB74_233 Depth=1
	s_and_not1_saveexec_b32 s13, s13
	s_cbranch_execz .LBB74_316
; %bb.315:                              ;   in Loop: Header=BB74_233 Depth=1
	v_div_scale_f32 v8, null, v12, v12, v13
	v_div_scale_f32 v11, vcc_lo, v13, v12, v13
	s_delay_alu instid0(VALU_DEP_2) | instskip(SKIP_1) | instid1(TRANS32_DEP_1)
	v_rcp_f32_e32 v9, v8
	v_nop
	v_fma_f32 v10, -v8, v9, 1.0
	s_delay_alu instid0(VALU_DEP_1) | instskip(NEXT) | instid1(VALU_DEP_1)
	v_fmac_f32_e32 v9, v10, v9
	v_mul_f32_e32 v10, v11, v9
	s_wait_dscnt 0x2
	s_delay_alu instid0(VALU_DEP_1) | instskip(NEXT) | instid1(VALU_DEP_1)
	v_fma_f32 v23, -v8, v10, v11
	v_fmac_f32_e32 v10, v23, v9
	s_delay_alu instid0(VALU_DEP_1) | instskip(NEXT) | instid1(VALU_DEP_1)
	v_fma_f32 v8, -v8, v10, v11
	v_div_fmas_f32 v8, v8, v9, v10
	s_delay_alu instid0(VALU_DEP_1) | instskip(NEXT) | instid1(VALU_DEP_1)
	v_div_fixup_f32 v8, v8, v12, v13
	v_div_scale_f32 v9, null, v12, v12, v8
	s_delay_alu instid0(VALU_DEP_1) | instskip(SKIP_1) | instid1(TRANS32_DEP_1)
	v_rcp_f32_e32 v10, v9
	v_nop
	v_fma_f32 v11, -v9, v10, 1.0
	s_delay_alu instid0(VALU_DEP_1) | instskip(SKIP_1) | instid1(VALU_DEP_1)
	v_fmac_f32_e32 v10, v11, v10
	v_div_scale_f32 v11, vcc_lo, v8, v12, v8
	v_mul_f32_e32 v23, v11, v10
	s_delay_alu instid0(VALU_DEP_1) | instskip(NEXT) | instid1(VALU_DEP_1)
	v_fma_f32 v25, -v9, v23, v11
	v_fmac_f32_e32 v23, v25, v10
	s_delay_alu instid0(VALU_DEP_1) | instskip(NEXT) | instid1(VALU_DEP_1)
	v_fma_f32 v9, -v9, v23, v11
	v_div_fmas_f32 v9, v9, v10, v23
	s_delay_alu instid0(VALU_DEP_1)
	v_div_fixup_f32 v9, v9, v12, v8
.LBB74_316:                             ;   in Loop: Header=BB74_233 Depth=1
	s_or_b32 exec_lo, exec_lo, s13
.LBB74_317:                             ;   in Loop: Header=BB74_233 Depth=1
	s_and_not1_saveexec_b32 s12, s12
	s_cbranch_execz .LBB74_319
; %bb.318:                              ;   in Loop: Header=BB74_233 Depth=1
	v_div_scale_f32 v8, null, v13, v13, 1.0
	s_delay_alu instid0(VALU_DEP_1) | instskip(SKIP_1) | instid1(TRANS32_DEP_1)
	v_rcp_f32_e32 v9, v8
	v_nop
	v_fma_f32 v10, -v8, v9, 1.0
	s_delay_alu instid0(VALU_DEP_1) | instskip(SKIP_1) | instid1(VALU_DEP_1)
	v_fmac_f32_e32 v9, v10, v9
	v_div_scale_f32 v10, vcc_lo, 1.0, v13, 1.0
	v_mul_f32_e32 v11, v10, v9
	s_wait_dscnt 0x2
	s_delay_alu instid0(VALU_DEP_1) | instskip(NEXT) | instid1(VALU_DEP_1)
	v_fma_f32 v23, -v8, v11, v10
	v_fmac_f32_e32 v11, v23, v9
	s_delay_alu instid0(VALU_DEP_1) | instskip(NEXT) | instid1(VALU_DEP_1)
	v_fma_f32 v8, -v8, v11, v10
	v_div_fmas_f32 v8, v8, v9, v11
	s_delay_alu instid0(VALU_DEP_1)
	v_div_fixup_f32 v9, v8, v13, 1.0
.LBB74_319:                             ;   in Loop: Header=BB74_233 Depth=1
	s_or_b32 exec_lo, exec_lo, s12
	flat_load_b32 v8, v[16:17] scope:SCOPE_SYS
	s_wait_loadcnt_dscnt 0x0
	v_add_f32_e32 v8, 0x3fc90fdb, v8
	s_delay_alu instid0(VALU_DEP_1)
	v_bfi_b32 v8, 0x7fffffff, v8, v12
.LBB74_320:                             ;   in Loop: Header=BB74_233 Depth=1
	s_or_b32 exec_lo, exec_lo, s0
                                        ; implicit-def: $vgpr10_vgpr11_vgpr12_vgpr13
.LBB74_321:                             ;   in Loop: Header=BB74_233 Depth=1
	s_and_not1_saveexec_b32 s0, s11
	s_cbranch_execz .LBB74_331
; %bb.322:                              ;   in Loop: Header=BB74_233 Depth=1
	v_cmp_neq_f32_e64 s11, 0x7f800000, |v13|
	s_and_saveexec_b32 s12, s11
	s_delay_alu instid0(SALU_CYCLE_1)
	s_xor_b32 s11, exec_lo, s12
	s_cbranch_execz .LBB74_328
; %bb.323:                              ;   in Loop: Header=BB74_233 Depth=1
	v_cmp_neq_f32_e64 s12, 0x7f800000, |v12|
	s_and_saveexec_b32 s13, s12
	s_delay_alu instid0(SALU_CYCLE_1)
	s_xor_b32 s12, exec_lo, s13
; %bb.324:                              ;   in Loop: Header=BB74_233 Depth=1
	v_add_f32_e32 v8, 0, v12
	s_delay_alu instid0(VALU_DEP_1)
	v_add_f32_e32 v9, v8, v13
                                        ; implicit-def: $vgpr12_vgpr13
; %bb.325:                              ;   in Loop: Header=BB74_233 Depth=1
	s_or_saveexec_b32 s12, s12
	s_delay_alu instid0(VALU_DEP_1)
	v_mov_b32_e32 v8, v9
	s_xor_b32 exec_lo, exec_lo, s12
	s_cbranch_execz .LBB74_327
; %bb.326:                              ;   in Loop: Header=BB74_233 Depth=1
	flat_load_b32 v8, v[16:17] scope:SCOPE_SYS
	s_wait_loadcnt 0x0
	v_bfi_b32 v9, 0x7fffffff, 0, v13
	s_wait_dscnt 0x0
	v_add_f32_e32 v8, 0x3fc90fdb, v8
	s_delay_alu instid0(VALU_DEP_1)
	v_bfi_b32 v8, 0x7fffffff, v8, v12
.LBB74_327:                             ;   in Loop: Header=BB74_233 Depth=1
	s_wait_xcnt 0x0
	s_or_b32 exec_lo, exec_lo, s12
                                        ; implicit-def: $vgpr10_vgpr11_vgpr12_vgpr13
.LBB74_328:                             ;   in Loop: Header=BB74_233 Depth=1
	s_and_not1_saveexec_b32 s11, s11
; %bb.329:                              ;   in Loop: Header=BB74_233 Depth=1
	v_bfi_b32 v9, 0x7fffffff, 0, v13
	v_add_f32_e32 v8, v12, v12
; %bb.330:                              ;   in Loop: Header=BB74_233 Depth=1
	s_or_b32 exec_lo, exec_lo, s11
.LBB74_331:                             ;   in Loop: Header=BB74_233 Depth=1
	s_delay_alu instid0(SALU_CYCLE_1)
	s_or_b32 exec_lo, exec_lo, s0
                                        ; implicit-def: $vgpr10_vgpr11_vgpr12_vgpr13
.LBB74_332:                             ;   in Loop: Header=BB74_233 Depth=1
	s_and_not1_saveexec_b32 s0, s10
	s_cbranch_execz .LBB74_334
; %bb.333:                              ;   in Loop: Header=BB74_233 Depth=1
	v_rcp_f32_e64 v8, |v12|
	v_cmp_gt_f32_e64 vcc_lo, |v12|, 1.0
	s_delay_alu instid0(TRANS32_DEP_1) | instid1(VALU_DEP_1)
	v_cndmask_b32_e64 v8, |v12|, v8, vcc_lo
	s_delay_alu instid0(VALU_DEP_1) | instskip(NEXT) | instid1(VALU_DEP_1)
	v_mul_f32_e32 v9, v8, v8
	v_fmaak_f32 v10, s5, v9, 0xbc7a590c
	s_delay_alu instid0(VALU_DEP_1) | instskip(NEXT) | instid1(VALU_DEP_1)
	v_fmaak_f32 v10, v9, v10, 0x3d29fb3f
	v_fmaak_f32 v10, v9, v10, 0xbd97d4d7
	s_delay_alu instid0(VALU_DEP_1) | instskip(NEXT) | instid1(VALU_DEP_1)
	v_fmaak_f32 v10, v9, v10, 0x3dd931b2
	;; [unrolled: 3-line block ×3, first 2 shown]
	v_fmaak_f32 v10, v9, v10, 0xbeaaaa62
	s_delay_alu instid0(VALU_DEP_1) | instskip(NEXT) | instid1(VALU_DEP_1)
	v_mul_f32_e32 v9, v9, v10
	v_fmac_f32_e32 v8, v8, v9
	s_delay_alu instid0(VALU_DEP_1) | instskip(NEXT) | instid1(VALU_DEP_1)
	v_sub_f32_e32 v9, 0x3fc90fdb, v8
	v_dual_cndmask_b32 v8, v8, v9 :: v_dual_mov_b32 v9, v13
	s_delay_alu instid0(VALU_DEP_1)
	v_bfi_b32 v8, 0x7fffffff, v8, v12
.LBB74_334:                             ;   in Loop: Header=BB74_233 Depth=1
	s_or_b32 exec_lo, exec_lo, s0
                                        ; implicit-def: $vgpr10_vgpr11_vgpr12_vgpr13
.LBB74_335:                             ;   in Loop: Header=BB74_233 Depth=1
	s_and_not1_saveexec_b32 s0, s7
	s_cbranch_execz .LBB74_337
; %bb.336:                              ;   in Loop: Header=BB74_233 Depth=1
	v_sub_f32_e64 v10, 1.0, |v13|
	v_add_f32_e64 v8, |v13|, 1.0
	v_and_b32_e32 v32, 0x7fffffff, v13
	v_cmp_gt_f32_e64 s7, 0x39800000, |v13|
	s_delay_alu instid0(VALU_DEP_4) | instskip(SKIP_1) | instid1(VALU_DEP_1)
	v_rcp_f32_e32 v25, v10
	v_sub_f32_e32 v11, 1.0, v10
	v_sub_f32_e64 v11, v11, |v13|
	s_delay_alu instid0(TRANS32_DEP_1) | instskip(NEXT) | instid1(VALU_DEP_1)
	v_mul_f32_e32 v31, v8, v25
	v_mul_f32_e32 v9, v10, v31
	s_wait_dscnt 0x2
	s_delay_alu instid0(VALU_DEP_1) | instskip(NEXT) | instid1(VALU_DEP_1)
	v_fma_f32 v23, v31, v10, -v9
	v_fmac_f32_e32 v23, v31, v11
	s_delay_alu instid0(VALU_DEP_1) | instskip(NEXT) | instid1(VALU_DEP_1)
	v_pk_add_f32 v[10:11], v[8:9], v[22:23]
	v_sub_f32_e32 v34, v8, v11
	s_delay_alu instid0(VALU_DEP_1) | instskip(NEXT) | instid1(VALU_DEP_1)
	v_dual_sub_f32 v33, v8, v34 :: v_dual_sub_f32 v9, v11, v9
	v_sub_f32_e32 v23, v9, v23
	s_delay_alu instid0(VALU_DEP_2) | instskip(NEXT) | instid1(VALU_DEP_1)
	v_pk_add_f32 v[8:9], v[32:33], v[10:11] neg_lo:[0,1] neg_hi:[0,1]
	v_add_f32_e32 v9, v23, v9
	s_delay_alu instid0(VALU_DEP_1) | instskip(NEXT) | instid1(VALU_DEP_1)
	v_add_f32_e32 v8, v8, v9
	v_add_f32_e32 v8, v34, v8
	s_delay_alu instid0(VALU_DEP_1) | instskip(NEXT) | instid1(VALU_DEP_1)
	v_mul_f32_e32 v10, v25, v8
	v_add_f32_e32 v11, v31, v10
	s_delay_alu instid0(VALU_DEP_1) | instskip(NEXT) | instid1(VALU_DEP_1)
	v_cvt_f64_f32_e32 v[8:9], v11
	v_frexp_exp_i32_f64_e32 v8, v[8:9]
	v_frexp_mant_f32_e32 v9, v11
	s_delay_alu instid0(VALU_DEP_1) | instskip(NEXT) | instid1(VALU_DEP_3)
	v_cmp_gt_f32_e32 vcc_lo, 0x3f2aaaab, v9
	v_subrev_co_ci_u32_e64 v23, null, 0, v8, vcc_lo
	v_cmp_neq_f32_e64 vcc_lo, |v13|, 1.0
	s_delay_alu instid0(VALU_DEP_2) | instskip(NEXT) | instid1(VALU_DEP_1)
	v_sub_nc_u32_e32 v8, 0, v23
	v_ldexp_f32 v9, v11, v8
	s_delay_alu instid0(VALU_DEP_1) | instskip(NEXT) | instid1(VALU_DEP_1)
	v_dual_sub_f32 v11, v11, v31 :: v_dual_add_f32 v31, -1.0, v9
	v_dual_add_f32 v25, 1.0, v9 :: v_dual_sub_f32 v10, v10, v11
	s_delay_alu instid0(VALU_DEP_1) | instskip(NEXT) | instid1(VALU_DEP_2)
	v_add_f32_e32 v11, -1.0, v25
	v_ldexp_f32 v8, v10, v8
	s_delay_alu instid0(VALU_DEP_2) | instskip(SKIP_1) | instid1(VALU_DEP_1)
	v_sub_f32_e32 v10, v9, v11
	v_add_f32_e32 v11, 1.0, v31
	v_dual_sub_f32 v9, v9, v11 :: v_dual_add_f32 v32, v8, v10
	s_delay_alu instid0(VALU_DEP_1) | instskip(NEXT) | instid1(VALU_DEP_1)
	v_dual_add_f32 v35, v8, v9 :: v_dual_add_f32 v34, v25, v32
	v_dual_add_f32 v9, v31, v35 :: v_dual_sub_f32 v8, v34, v25
	v_rcp_f32_e32 v36, v34
	s_delay_alu instid0(VALU_DEP_1) | instskip(NEXT) | instid1(TRANS32_DEP_1)
	v_dual_sub_f32 v31, v9, v31 :: v_dual_sub_f32 v25, v32, v8
	v_mul_f32_e32 v37, v9, v36
	s_delay_alu instid0(VALU_DEP_1) | instskip(NEXT) | instid1(VALU_DEP_1)
	v_mul_f32_e32 v10, v34, v37
	v_fma_f32 v32, v37, v34, -v10
	s_delay_alu instid0(VALU_DEP_1) | instskip(NEXT) | instid1(VALU_DEP_1)
	v_fmac_f32_e32 v32, v37, v25
	v_add_f32_e32 v8, v10, v32
	s_delay_alu instid0(VALU_DEP_1) | instskip(NEXT) | instid1(VALU_DEP_1)
	v_dual_sub_f32 v11, v9, v8 :: v_dual_mov_b32 v33, v8
	v_pk_add_f32 v[8:9], v[8:9], v[10:11] neg_lo:[0,1] neg_hi:[0,1]
	v_sub_f32_e32 v10, v35, v31
	s_delay_alu instid0(VALU_DEP_2) | instskip(NEXT) | instid1(VALU_DEP_1)
	v_pk_add_f32 v[8:9], v[8:9], v[32:33] neg_lo:[0,1] neg_hi:[0,1]
	v_add_f32_e32 v9, v10, v9
	s_delay_alu instid0(VALU_DEP_1) | instskip(NEXT) | instid1(VALU_DEP_1)
	v_add_f32_e32 v31, v8, v9
	v_add_f32_e32 v9, v11, v31
	s_delay_alu instid0(VALU_DEP_1) | instskip(NEXT) | instid1(VALU_DEP_1)
	v_mul_f32_e32 v35, v36, v9
	v_mul_f32_e32 v32, v34, v35
	s_delay_alu instid0(VALU_DEP_1) | instskip(NEXT) | instid1(VALU_DEP_1)
	v_fma_f32 v10, v35, v34, -v32
	v_fmac_f32_e32 v10, v35, v25
	s_delay_alu instid0(VALU_DEP_1) | instskip(NEXT) | instid1(VALU_DEP_1)
	v_add_f32_e32 v8, v32, v10
	v_dual_sub_f32 v33, v9, v8 :: v_dual_sub_f32 v25, v11, v9
	v_mov_b32_e32 v11, v8
	s_delay_alu instid0(VALU_DEP_2) | instskip(NEXT) | instid1(VALU_DEP_3)
	v_pk_add_f32 v[8:9], v[8:9], v[32:33] neg_lo:[0,1] neg_hi:[0,1]
	v_dual_add_f32 v25, v31, v25 :: v_dual_add_f32 v31, v37, v35
	s_delay_alu instid0(VALU_DEP_2) | instskip(NEXT) | instid1(VALU_DEP_1)
	v_pk_add_f32 v[8:9], v[8:9], v[10:11] neg_lo:[0,1] neg_hi:[0,1]
	v_add_f32_e32 v9, v25, v9
	s_delay_alu instid0(VALU_DEP_1) | instskip(NEXT) | instid1(VALU_DEP_4)
	v_add_f32_e32 v8, v8, v9
	v_sub_f32_e32 v9, v31, v37
	s_delay_alu instid0(VALU_DEP_1) | instskip(NEXT) | instid1(VALU_DEP_1)
	v_dual_sub_f32 v9, v35, v9 :: v_dual_add_f32 v8, v33, v8
	v_mul_f32_e32 v8, v36, v8
	s_delay_alu instid0(VALU_DEP_1) | instskip(SKIP_1) | instid1(VALU_DEP_2)
	v_add_f32_e32 v34, v9, v8
	v_cvt_f32_i32_e32 v8, v23
	v_add_f32_e32 v35, v31, v34
	s_delay_alu instid0(VALU_DEP_1) | instskip(SKIP_1) | instid1(VALU_DEP_2)
	v_mul_f32_e32 v10, v35, v35
	v_ldexp_f32 v33, v35, 1
	v_fmaak_f32 v11, s4, v10, 0x3ecc95a3
	v_mul_f32_e32 v9, v35, v10
	s_delay_alu instid0(VALU_DEP_2) | instskip(NEXT) | instid1(VALU_DEP_1)
	v_fmaak_f32 v25, v10, v11, 0x3f2aaada
	v_pk_mul_f32 v[10:11], v[8:9], v[24:25]
	s_delay_alu instid0(VALU_DEP_1) | instskip(NEXT) | instid1(VALU_DEP_1)
	v_fma_f32 v32, 0x3f317218, v8, -v10
	v_fmac_f32_e32 v32, 0xb102e308, v8
	s_delay_alu instid0(VALU_DEP_1) | instskip(NEXT) | instid1(VALU_DEP_1)
	v_pk_add_f32 v[8:9], v[10:11], v[32:33]
	v_dual_sub_f32 v23, v35, v31 :: v_dual_sub_f32 v25, v9, v33
	s_delay_alu instid0(VALU_DEP_1) | instskip(NEXT) | instid1(VALU_DEP_3)
	v_sub_f32_e32 v23, v34, v23
	v_dual_mov_b32 v34, v10 :: v_dual_mov_b32 v33, v8
	s_delay_alu instid0(VALU_DEP_3) | instskip(NEXT) | instid1(VALU_DEP_3)
	v_dual_mov_b32 v42, v9 :: v_dual_sub_f32 v25, v11, v25
	v_ldexp_f32 v23, v23, 1
	v_pk_add_f32 v[10:11], v[8:9], v[10:11] neg_lo:[0,1] neg_hi:[0,1]
	s_delay_alu instid0(VALU_DEP_2) | instskip(NEXT) | instid1(VALU_DEP_1)
	v_add_f32_e32 v35, v23, v25
	v_pk_add_f32 v[36:37], v[8:9], v[34:35]
	s_delay_alu instid0(VALU_DEP_1) | instskip(NEXT) | instid1(VALU_DEP_1)
	v_mov_b32_e32 v11, v37
	v_pk_add_f32 v[38:39], v[32:33], v[10:11]
	v_pk_add_f32 v[10:11], v[32:33], v[10:11] neg_lo:[0,1] neg_hi:[0,1]
	s_delay_alu instid0(VALU_DEP_2) | instskip(NEXT) | instid1(VALU_DEP_1)
	v_dual_mov_b32 v34, v39 :: v_dual_mov_b32 v11, v39
	v_pk_add_f32 v[40:41], v[34:35], v[8:9] neg_lo:[0,1] neg_hi:[0,1]
	v_dual_mov_b32 v38, v37 :: v_dual_mov_b32 v9, v8
	s_delay_alu instid0(VALU_DEP_2) | instskip(SKIP_1) | instid1(VALU_DEP_2)
	v_dual_mov_b32 v8, v35 :: v_dual_mov_b32 v43, v40
	v_mov_b32_e32 v23, v40
	v_pk_add_f32 v[32:33], v[38:39], v[42:43] neg_lo:[0,1] neg_hi:[0,1]
	s_delay_alu instid0(VALU_DEP_2) | instskip(SKIP_1) | instid1(VALU_DEP_3)
	v_pk_add_f32 v[36:37], v[36:37], v[22:23] neg_lo:[0,1] neg_hi:[0,1]
	v_mov_b32_e32 v36, v10
	v_pk_add_f32 v[8:9], v[8:9], v[32:33] neg_lo:[0,1] neg_hi:[0,1]
	s_delay_alu instid0(VALU_DEP_1) | instskip(NEXT) | instid1(VALU_DEP_1)
	v_pk_add_f32 v[32:33], v[36:37], v[8:9]
	v_mov_b32_e32 v36, v33
	s_delay_alu instid0(VALU_DEP_1) | instskip(NEXT) | instid1(VALU_DEP_1)
	v_pk_add_f32 v[36:37], v[32:33], v[36:37]
	v_pk_add_f32 v[34:35], v[34:35], v[36:37]
	s_delay_alu instid0(VALU_DEP_1) | instskip(NEXT) | instid1(VALU_DEP_1)
	v_dual_mov_b32 v9, v36 :: v_dual_mov_b32 v33, v34
	v_pk_add_f32 v[38:39], v[32:33], v[10:11] neg_lo:[0,1] neg_hi:[0,1]
	s_delay_alu instid0(VALU_DEP_1) | instskip(NEXT) | instid1(VALU_DEP_2)
	v_sub_f32_e32 v11, v32, v38
	v_pk_add_f32 v[8:9], v[8:9], v[38:39] neg_lo:[0,1] neg_hi:[0,1]
	s_delay_alu instid0(VALU_DEP_2) | instskip(NEXT) | instid1(VALU_DEP_1)
	v_sub_f32_e32 v10, v10, v11
	v_add_f32_e32 v8, v8, v10
	s_delay_alu instid0(VALU_DEP_1) | instskip(NEXT) | instid1(VALU_DEP_1)
	v_add_f32_e32 v8, v8, v9
	v_add_f32_e32 v8, v34, v8
	s_delay_alu instid0(VALU_DEP_1) | instskip(NEXT) | instid1(VALU_DEP_1)
	v_mul_f32_e32 v8, 0.5, v8
	v_cndmask_b32_e64 v8, v8, |v13|, s7
	s_delay_alu instid0(VALU_DEP_1) | instskip(NEXT) | instid1(VALU_DEP_1)
	v_cndmask_b32_e32 v8, 0x7f800000, v8, vcc_lo
	v_bfi_b32 v9, 0x7fffffff, v8, v13
	v_mov_b32_e32 v8, v12
.LBB74_337:                             ;   in Loop: Header=BB74_233 Depth=1
	s_or_b32 exec_lo, exec_lo, s0
	s_wait_loadcnt 0x0
	v_cmp_neq_f32_e32 vcc_lo, 0, v2
	v_cmp_nle_f32_e64 s0, |v3|, 1.0
	flat_store_b32 v[16:17], v28 scope:SCOPE_SYS
	s_wait_storecnt 0x0
                                        ; implicit-def: $vgpr11
	s_or_b32 s0, vcc_lo, s0
	s_wait_xcnt 0x0
	s_and_saveexec_b32 s7, s0
	s_delay_alu instid0(SALU_CYCLE_1)
	s_xor_b32 s7, exec_lo, s7
	s_cbranch_execz .LBB74_387
; %bb.338:                              ;   in Loop: Header=BB74_233 Depth=1
                                        ; implicit-def: $vgpr11
	s_mov_b32 s0, exec_lo
	v_cmpx_neq_f32_e32 0, v3
	s_xor_b32 s10, exec_lo, s0
	s_cbranch_execz .LBB74_384
; %bb.339:                              ;   in Loop: Header=BB74_233 Depth=1
                                        ; implicit-def: $vgpr11
	s_mov_b32 s0, exec_lo
	v_cmpx_o_f32_e32 v3, v2
	s_xor_b32 s11, exec_lo, s0
	s_cbranch_execz .LBB74_373
; %bb.340:                              ;   in Loop: Header=BB74_233 Depth=1
	v_max_num_f32_e64 v11, |v3|, |v3|
	v_max_num_f32_e64 v10, |v2|, |v2|
	s_delay_alu instid0(VALU_DEP_1) | instskip(NEXT) | instid1(VALU_DEP_1)
	v_max_num_f32_e32 v11, v10, v11
	v_cmp_nlt_f32_e32 vcc_lo, 0x4b000000, v11
                                        ; implicit-def: $vgpr11
	s_and_saveexec_b32 s0, vcc_lo
	s_delay_alu instid0(SALU_CYCLE_1)
	s_xor_b32 s12, exec_lo, s0
	s_cbranch_execz .LBB74_358
; %bb.341:                              ;   in Loop: Header=BB74_233 Depth=1
	v_cmp_ngt_f32_e64 s0, 0x399cc471, |v3|
	v_cmp_ngt_f32_e64 s13, 0x399cc471, |v2|
                                        ; implicit-def: $vgpr11
	s_or_b32 s0, s13, s0
	s_delay_alu instid0(SALU_CYCLE_1) | instskip(NEXT) | instid1(SALU_CYCLE_1)
	s_and_saveexec_b32 s13, s0
	s_xor_b32 s13, exec_lo, s13
	s_cbranch_execz .LBB74_355
; %bb.342:                              ;   in Loop: Header=BB74_233 Depth=1
	v_cmp_neq_f32_e64 s14, |v3|, 1.0
	v_cmp_ngt_f32_e64 s0, 0x34000000, |v2|
                                        ; implicit-def: $vgpr11
	s_or_b32 s15, s0, s14
	s_delay_alu instid0(SALU_CYCLE_1) | instskip(NEXT) | instid1(SALU_CYCLE_1)
	s_and_saveexec_b32 s16, s15
	s_xor_b32 s15, exec_lo, s16
	s_cbranch_execz .LBB74_344
; %bb.343:                              ;   in Loop: Header=BB74_233 Depth=1
	v_add_f32_e64 v13, |v3|, -1.0
	v_cmp_gt_f32_e64 vcc_lo, 0x20000000, |v2|
	v_mov_b32_e32 v12, v2
	s_delay_alu instid0(VALU_DEP_1) | instskip(NEXT) | instid1(VALU_DEP_1)
	v_pk_mul_f32 v[12:13], v[12:13], v[12:13]
	v_add_f32_e32 v11, v12, v13
	v_mul_f32_e64 v12, |v3|, 4.0
	s_delay_alu instid0(VALU_DEP_2) | instskip(NEXT) | instid1(VALU_DEP_1)
	v_cndmask_b32_e32 v11, v11, v13, vcc_lo
	v_div_scale_f32 v13, null, v11, v11, v12
	v_div_scale_f32 v31, vcc_lo, v12, v11, v12
	s_wait_dscnt 0x3
	s_delay_alu instid0(VALU_DEP_2) | instskip(SKIP_1) | instid1(TRANS32_DEP_1)
	v_rcp_f32_e32 v23, v13
	v_nop
	v_fma_f32 v25, -v13, v23, 1.0
	s_delay_alu instid0(VALU_DEP_1) | instskip(NEXT) | instid1(VALU_DEP_1)
	v_fmac_f32_e32 v23, v25, v23
	v_mul_f32_e32 v25, v31, v23
	s_delay_alu instid0(VALU_DEP_1) | instskip(NEXT) | instid1(VALU_DEP_1)
	v_fma_f32 v32, -v13, v25, v31
	v_fmac_f32_e32 v25, v32, v23
	s_delay_alu instid0(VALU_DEP_1) | instskip(NEXT) | instid1(VALU_DEP_1)
	v_fma_f32 v13, -v13, v25, v31
	v_div_fmas_f32 v13, v13, v23, v25
	s_delay_alu instid0(VALU_DEP_1) | instskip(NEXT) | instid1(VALU_DEP_1)
	v_div_fixup_f32 v12, v13, v11, v12
	v_add_f32_e32 v33, 1.0, v12
	s_delay_alu instid0(VALU_DEP_1) | instskip(SKIP_2) | instid1(VALU_DEP_2)
	v_cvt_f64_f32_e32 v[34:35], v33
	v_frexp_mant_f32_e32 v23, v33
	v_add_f32_e32 v13, -1.0, v33
	v_cmp_gt_f32_e32 vcc_lo, 0x3f2aaaab, v23
	s_delay_alu instid0(VALU_DEP_4) | instskip(NEXT) | instid1(VALU_DEP_1)
	v_frexp_exp_i32_f64_e32 v11, v[34:35]
	v_subrev_co_ci_u32_e64 v11, null, 0, v11, vcc_lo
	s_delay_alu instid0(VALU_DEP_4) | instskip(SKIP_1) | instid1(VALU_DEP_3)
	v_mov_b32_e32 v32, v13
	v_cmp_neq_f32_e32 vcc_lo, 0x7f800000, v12
	v_sub_nc_u32_e32 v23, 0, v11
	s_delay_alu instid0(VALU_DEP_3) | instskip(NEXT) | instid1(VALU_DEP_2)
	v_pk_add_f32 v[34:35], v[12:13], v[32:33] neg_lo:[0,1] neg_hi:[0,1]
	v_ldexp_f32 v13, v33, v23
	s_delay_alu instid0(VALU_DEP_1) | instskip(NEXT) | instid1(VALU_DEP_1)
	v_dual_add_f32 v25, 1.0, v35 :: v_dual_add_f32 v31, 1.0, v13
	v_dual_add_f32 v25, v34, v25 :: v_dual_add_f32 v32, -1.0, v31
	v_add_f32_e32 v37, -1.0, v13
	s_delay_alu instid0(VALU_DEP_2) | instskip(NEXT) | instid1(VALU_DEP_2)
	v_ldexp_f32 v23, v25, v23
	v_dual_sub_f32 v25, v13, v32 :: v_dual_add_f32 v32, 1.0, v37
	s_delay_alu instid0(VALU_DEP_1) | instskip(NEXT) | instid1(VALU_DEP_1)
	v_dual_add_f32 v25, v23, v25 :: v_dual_sub_f32 v13, v13, v32
	v_add_f32_e32 v38, v31, v25
	s_delay_alu instid0(VALU_DEP_1) | instskip(NEXT) | instid1(VALU_DEP_1)
	v_dual_add_f32 v13, v23, v13 :: v_dual_sub_f32 v31, v38, v31
	v_sub_f32_e32 v25, v25, v31
	v_rcp_f32_e32 v23, v38
	s_delay_alu instid0(VALU_DEP_2)
	v_add_f32_e32 v33, v37, v13
	s_delay_alu instid0(TRANS32_DEP_1) | instid1(VALU_DEP_1)
	v_mul_f32_e32 v39, v33, v23
	s_delay_alu instid0(VALU_DEP_1) | instskip(NEXT) | instid1(VALU_DEP_1)
	v_dual_mul_f32 v34, v38, v39 :: v_dual_sub_f32 v31, v33, v37
	v_dual_fma_f32 v36, v39, v38, -v34 :: v_dual_sub_f32 v13, v13, v31
	s_delay_alu instid0(VALU_DEP_1) | instskip(NEXT) | instid1(VALU_DEP_1)
	v_fmac_f32_e32 v36, v39, v25
	v_add_f32_e32 v32, v34, v36
	s_delay_alu instid0(VALU_DEP_1) | instskip(NEXT) | instid1(VALU_DEP_1)
	v_dual_sub_f32 v35, v33, v32 :: v_dual_mov_b32 v37, v32
	v_pk_add_f32 v[32:33], v[32:33], v[34:35] neg_lo:[0,1] neg_hi:[0,1]
	s_delay_alu instid0(VALU_DEP_1) | instskip(NEXT) | instid1(VALU_DEP_1)
	v_pk_add_f32 v[32:33], v[32:33], v[36:37] neg_lo:[0,1] neg_hi:[0,1]
	v_add_f32_e32 v13, v13, v33
	s_delay_alu instid0(VALU_DEP_1) | instskip(NEXT) | instid1(VALU_DEP_1)
	v_add_f32_e32 v13, v32, v13
	v_add_f32_e32 v33, v35, v13
	s_delay_alu instid0(VALU_DEP_1) | instskip(NEXT) | instid1(VALU_DEP_1)
	v_mul_f32_e32 v31, v23, v33
	v_mul_f32_e32 v36, v38, v31
	s_delay_alu instid0(VALU_DEP_1) | instskip(SKIP_1) | instid1(VALU_DEP_2)
	v_fma_f32 v34, v31, v38, -v36
	v_add_f32_e32 v38, v39, v31
	v_fmac_f32_e32 v34, v31, v25
	s_delay_alu instid0(VALU_DEP_1) | instskip(NEXT) | instid1(VALU_DEP_1)
	v_dual_add_f32 v32, v36, v34 :: v_dual_sub_f32 v25, v35, v33
	v_dual_mov_b32 v35, v32 :: v_dual_sub_f32 v37, v33, v32
	s_delay_alu instid0(VALU_DEP_2) | instskip(NEXT) | instid1(VALU_DEP_2)
	v_dual_add_f32 v13, v13, v25 :: v_dual_sub_f32 v25, v38, v39
	v_pk_add_f32 v[32:33], v[32:33], v[36:37] neg_lo:[0,1] neg_hi:[0,1]
	s_delay_alu instid0(VALU_DEP_2) | instskip(NEXT) | instid1(VALU_DEP_2)
	v_sub_f32_e32 v25, v31, v25
	v_pk_add_f32 v[32:33], v[32:33], v[34:35] neg_lo:[0,1] neg_hi:[0,1]
	s_delay_alu instid0(VALU_DEP_1) | instskip(NEXT) | instid1(VALU_DEP_1)
	v_add_f32_e32 v13, v13, v33
	v_add_f32_e32 v13, v32, v13
	v_cvt_f32_i32_e32 v32, v11
	s_delay_alu instid0(VALU_DEP_2) | instskip(NEXT) | instid1(VALU_DEP_1)
	v_add_f32_e32 v13, v37, v13
	v_mul_f32_e32 v13, v23, v13
	s_delay_alu instid0(VALU_DEP_1) | instskip(NEXT) | instid1(VALU_DEP_1)
	v_add_f32_e32 v13, v25, v13
	v_add_f32_e32 v23, v38, v13
	s_delay_alu instid0(VALU_DEP_1) | instskip(SKIP_2) | instid1(VALU_DEP_3)
	v_mul_f32_e32 v25, v23, v23
	v_ldexp_f32 v37, v23, 1
	v_sub_f32_e32 v11, v23, v38
	v_fmaak_f32 v31, s4, v25, 0x3ecc95a3
	v_mul_f32_e32 v33, v23, v25
	s_delay_alu instid0(VALU_DEP_2) | instskip(NEXT) | instid1(VALU_DEP_1)
	v_fmaak_f32 v25, v25, v31, 0x3f2aaada
	v_pk_mul_f32 v[34:35], v[32:33], v[24:25]
	s_delay_alu instid0(VALU_DEP_1) | instskip(SKIP_1) | instid1(VALU_DEP_2)
	v_fma_f32 v36, 0x3f317218, v32, -v34
	v_dual_mov_b32 v38, v34 :: v_dual_sub_f32 v11, v13, v11
	v_fmac_f32_e32 v36, 0xb102e308, v32
	s_delay_alu instid0(VALU_DEP_2) | instskip(NEXT) | instid1(VALU_DEP_2)
	v_ldexp_f32 v11, v11, 1
	v_pk_add_f32 v[32:33], v[34:35], v[36:37]
	s_delay_alu instid0(VALU_DEP_1) | instskip(NEXT) | instid1(VALU_DEP_1)
	v_dual_sub_f32 v13, v33, v37 :: v_dual_mov_b32 v46, v33
	v_dual_mov_b32 v37, v32 :: v_dual_sub_f32 v13, v35, v13
	v_pk_add_f32 v[34:35], v[32:33], v[34:35] neg_lo:[0,1] neg_hi:[0,1]
	s_delay_alu instid0(VALU_DEP_2) | instskip(NEXT) | instid1(VALU_DEP_1)
	v_add_f32_e32 v39, v11, v13
	v_pk_add_f32 v[40:41], v[32:33], v[38:39]
	s_delay_alu instid0(VALU_DEP_1) | instskip(NEXT) | instid1(VALU_DEP_1)
	v_mov_b32_e32 v35, v41
	v_pk_add_f32 v[42:43], v[36:37], v[34:35]
	v_pk_add_f32 v[34:35], v[36:37], v[34:35] neg_lo:[0,1] neg_hi:[0,1]
	s_delay_alu instid0(VALU_DEP_2) | instskip(NEXT) | instid1(VALU_DEP_1)
	v_mov_b32_e32 v38, v43
	v_pk_add_f32 v[44:45], v[38:39], v[32:33] neg_lo:[0,1] neg_hi:[0,1]
	v_dual_mov_b32 v42, v41 :: v_dual_mov_b32 v33, v32
	s_delay_alu instid0(VALU_DEP_2) | instskip(SKIP_1) | instid1(VALU_DEP_2)
	v_dual_mov_b32 v32, v39 :: v_dual_mov_b32 v47, v44
	v_mov_b32_e32 v11, v44
	v_pk_add_f32 v[44:45], v[42:43], v[46:47] neg_lo:[0,1] neg_hi:[0,1]
	s_delay_alu instid0(VALU_DEP_2) | instskip(SKIP_1) | instid1(VALU_DEP_3)
	v_pk_add_f32 v[36:37], v[40:41], v[10:11] neg_lo:[0,1] neg_hi:[0,1]
	v_mov_b32_e32 v36, v34
	v_pk_add_f32 v[32:33], v[32:33], v[44:45] neg_lo:[0,1] neg_hi:[0,1]
	s_delay_alu instid0(VALU_DEP_1) | instskip(NEXT) | instid1(VALU_DEP_1)
	v_pk_add_f32 v[36:37], v[36:37], v[32:33]
	v_mov_b32_e32 v40, v37
	s_delay_alu instid0(VALU_DEP_1) | instskip(NEXT) | instid1(VALU_DEP_1)
	v_pk_add_f32 v[40:41], v[36:37], v[40:41]
	v_pk_add_f32 v[38:39], v[38:39], v[40:41]
	s_delay_alu instid0(VALU_DEP_1) | instskip(NEXT) | instid1(VALU_DEP_1)
	v_dual_mov_b32 v35, v43 :: v_dual_mov_b32 v37, v38
	v_pk_add_f32 v[42:43], v[36:37], v[34:35] neg_lo:[0,1] neg_hi:[0,1]
	s_delay_alu instid0(VALU_DEP_1) | instskip(NEXT) | instid1(VALU_DEP_1)
	v_sub_f32_e32 v11, v36, v42
	v_dual_mov_b32 v33, v40 :: v_dual_sub_f32 v11, v34, v11
	s_delay_alu instid0(VALU_DEP_1) | instskip(NEXT) | instid1(VALU_DEP_1)
	v_pk_add_f32 v[32:33], v[32:33], v[42:43] neg_lo:[0,1] neg_hi:[0,1]
	v_add_f32_e32 v11, v32, v11
	s_delay_alu instid0(VALU_DEP_1) | instskip(NEXT) | instid1(VALU_DEP_1)
	v_add_f32_e32 v11, v11, v33
	v_add_f32_e32 v11, v38, v11
	s_delay_alu instid0(VALU_DEP_1) | instskip(SKIP_1) | instid1(VALU_DEP_2)
	v_cndmask_b32_e32 v11, 0x7f800000, v11, vcc_lo
	v_cmp_ngt_f32_e32 vcc_lo, -1.0, v12
	v_cndmask_b32_e32 v11, 0x7fc00000, v11, vcc_lo
	v_cmp_neq_f32_e32 vcc_lo, -1.0, v12
	s_delay_alu instid0(VALU_DEP_2) | instskip(SKIP_1) | instid1(VALU_DEP_2)
	v_cndmask_b32_e32 v11, 0xff800000, v11, vcc_lo
	v_cmp_gt_f32_e64 vcc_lo, 0x33800000, |v12|
	v_cndmask_b32_e32 v11, v11, v12, vcc_lo
	s_delay_alu instid0(VALU_DEP_1)
	v_mul_f32_e32 v11, 0x3e800000, v11
	s_and_not1_saveexec_b32 s15, s15
	s_cbranch_execz .LBB74_346
	s_branch .LBB74_345
.LBB74_344:                             ;   in Loop: Header=BB74_233 Depth=1
	s_and_not1_saveexec_b32 s15, s15
	s_cbranch_execz .LBB74_346
.LBB74_345:                             ;   in Loop: Header=BB74_233 Depth=1
	v_cmp_gt_f32_e64 s16, 0x800000, |v2|
	s_delay_alu instid0(VALU_DEP_1) | instskip(NEXT) | instid1(VALU_DEP_1)
	v_cndmask_b32_e64 v11, 0, 32, s16
	v_ldexp_f32 v11, |v2|, v11
	s_delay_alu instid0(VALU_DEP_1) | instskip(SKIP_1) | instid1(TRANS32_DEP_1)
	v_log_f32_e32 v11, v11
	v_nop
	v_mul_f32_e32 v12, 0x3f317217, v11
	v_cmp_gt_f32_e64 vcc_lo, 0x7f800000, |v11|
	s_delay_alu instid0(VALU_DEP_2) | instskip(NEXT) | instid1(VALU_DEP_1)
	v_fma_f32 v12, 0x3f317217, v11, -v12
	v_fmac_f32_e32 v12, 0x3377d1cf, v11
	s_delay_alu instid0(VALU_DEP_1) | instskip(NEXT) | instid1(VALU_DEP_1)
	v_fmac_f32_e32 v12, 0x3f317217, v11
	v_cndmask_b32_e32 v11, v11, v12, vcc_lo
	v_cndmask_b32_e64 v12, 0, 0x41b17218, s16
	s_delay_alu instid0(VALU_DEP_1) | instskip(NEXT) | instid1(VALU_DEP_1)
	v_sub_f32_e32 v11, v11, v12
	v_sub_f32_e32 v11, 0x3f317218, v11
	s_delay_alu instid0(VALU_DEP_1)
	v_mul_f32_e32 v11, 0.5, v11
.LBB74_346:                             ;   in Loop: Header=BB74_233 Depth=1
	s_or_b32 exec_lo, exec_lo, s15
                                        ; implicit-def: $vgpr13
	s_and_saveexec_b32 s15, s14
	s_delay_alu instid0(SALU_CYCLE_1)
	s_xor_b32 s14, exec_lo, s15
	s_cbranch_execz .LBB74_352
; %bb.347:                              ;   in Loop: Header=BB74_233 Depth=1
	v_sub_f32_e64 v12, 1.0, |v3|
	v_add_f32_e64 v13, |v3|, 1.0
	v_add_f32_e64 v10, |v2|, |v2|
	s_delay_alu instid0(VALU_DEP_2) | instskip(SKIP_1) | instid1(SALU_CYCLE_1)
	v_mul_f32_e32 v12, v12, v13
                                        ; implicit-def: $vgpr13
	s_and_saveexec_b32 s15, s0
	s_xor_b32 s15, exec_lo, s15
	s_cbranch_execz .LBB74_349
; %bb.348:                              ;   in Loop: Header=BB74_233 Depth=1
	s_delay_alu instid0(VALU_DEP_1) | instskip(SKIP_2) | instid1(VALU_DEP_1)
	v_fma_f32 v12, -v2, v2, v12
	v_max_num_f32_e32 v13, v10, v10
	s_wait_dscnt 0x3
	v_max_num_f32_e64 v23, |v12|, v13
	v_min_num_f32_e64 v13, |v12|, v13
	s_delay_alu instid0(VALU_DEP_2) | instskip(SKIP_1) | instid1(VALU_DEP_3)
	v_frexp_mant_f32_e32 v25, v23
	v_frexp_exp_i32_f32_e32 v23, v23
	v_frexp_exp_i32_f32_e32 v31, v13
	v_frexp_mant_f32_e32 v13, v13
	s_delay_alu instid0(VALU_DEP_4) | instskip(NEXT) | instid1(VALU_DEP_2)
	v_rcp_f32_e32 v25, v25
	v_sub_nc_u32_e32 v23, v31, v23
	v_cmp_gt_f32_e64 vcc_lo, v10, |v12|
	v_cmp_gt_i32_e64 s0, 0, v12
	v_cmp_class_f32_e64 s16, v12, 0x204
	s_delay_alu instid0(TRANS32_DEP_1) | instskip(NEXT) | instid1(VALU_DEP_1)
	v_mul_f32_e32 v13, v13, v25
	v_ldexp_f32 v13, v13, v23
	s_delay_alu instid0(VALU_DEP_1) | instskip(NEXT) | instid1(VALU_DEP_1)
	v_mul_f32_e32 v23, v13, v13
	v_fmaak_f32 v25, s5, v23, 0xbc7a590c
	s_delay_alu instid0(VALU_DEP_1) | instskip(NEXT) | instid1(VALU_DEP_1)
	v_fmaak_f32 v25, v23, v25, 0x3d29fb3f
	v_fmaak_f32 v25, v23, v25, 0xbd97d4d7
	s_delay_alu instid0(VALU_DEP_1) | instskip(NEXT) | instid1(VALU_DEP_1)
	v_fmaak_f32 v25, v23, v25, 0x3dd931b2
	;; [unrolled: 3-line block ×3, first 2 shown]
	v_fmaak_f32 v25, v23, v25, 0xbeaaaa62
	s_delay_alu instid0(VALU_DEP_1) | instskip(NEXT) | instid1(VALU_DEP_1)
	v_mul_f32_e32 v23, v23, v25
	v_fmac_f32_e32 v13, v13, v23
	s_delay_alu instid0(VALU_DEP_1) | instskip(NEXT) | instid1(VALU_DEP_1)
	v_sub_f32_e32 v23, 0x3fc90fdb, v13
	v_cndmask_b32_e32 v13, v13, v23, vcc_lo
	v_cmp_gt_f32_e32 vcc_lo, 0, v12
	s_delay_alu instid0(VALU_DEP_2) | instskip(SKIP_1) | instid1(VALU_DEP_2)
	v_sub_f32_e32 v23, 0x40490fdb, v13
	v_cndmask_b32_e32 v25, 0x3f490fdb, v30, vcc_lo
	v_cndmask_b32_e32 v13, v13, v23, vcc_lo
	v_cndmask_b32_e64 v23, 0, 0x40490fdb, s0
	v_cmp_eq_f32_e64 s0, 0, v10
	v_cmp_eq_f32_e32 vcc_lo, 0x7f800000, v10
	s_delay_alu instid0(VALU_DEP_2) | instskip(SKIP_1) | instid1(VALU_DEP_1)
	v_cndmask_b32_e64 v10, |v13|, v23, s0
	s_and_b32 vcc_lo, vcc_lo, s16
	v_cndmask_b32_e32 v10, v10, v25, vcc_lo
	v_cmp_o_f32_e32 vcc_lo, v12, v12
                                        ; implicit-def: $vgpr12
	s_delay_alu instid0(VALU_DEP_2)
	v_cndmask_b32_e32 v13, 0x7fc00000, v10, vcc_lo
                                        ; implicit-def: $vgpr10
.LBB74_349:                             ;   in Loop: Header=BB74_233 Depth=1
	s_and_not1_saveexec_b32 s15, s15
	s_cbranch_execz .LBB74_351
; %bb.350:                              ;   in Loop: Header=BB74_233 Depth=1
	v_max_num_f32_e32 v13, v10, v10
	s_wait_dscnt 0x3
	v_max_num_f32_e64 v23, |v12|, |v12|
	v_cmp_gt_f32_e64 vcc_lo, v10, |v12|
	v_cmp_gt_i32_e64 s0, 0, v12
	v_cmp_class_f32_e64 s16, v12, 0x204
	s_delay_alu instid0(VALU_DEP_4) | instskip(NEXT) | instid1(VALU_DEP_1)
	v_dual_max_num_f32 v25, v23, v13 :: v_dual_min_num_f32 v13, v23, v13
	v_frexp_mant_f32_e32 v31, v25
	v_frexp_exp_i32_f32_e32 v23, v25
	s_delay_alu instid0(VALU_DEP_2)
	v_rcp_f32_e32 v25, v31
	v_nop
	v_frexp_exp_i32_f32_e32 v31, v13
	v_frexp_mant_f32_e32 v13, v13
	s_delay_alu instid0(TRANS32_DEP_1) | instid1(VALU_DEP_1)
	v_dual_sub_nc_u32 v23, v31, v23 :: v_dual_mul_f32 v13, v13, v25
	s_delay_alu instid0(VALU_DEP_1) | instskip(NEXT) | instid1(VALU_DEP_1)
	v_ldexp_f32 v13, v13, v23
	v_mul_f32_e32 v23, v13, v13
	s_delay_alu instid0(VALU_DEP_1) | instskip(NEXT) | instid1(VALU_DEP_1)
	v_fmaak_f32 v25, s5, v23, 0xbc7a590c
	v_fmaak_f32 v25, v23, v25, 0x3d29fb3f
	s_delay_alu instid0(VALU_DEP_1) | instskip(NEXT) | instid1(VALU_DEP_1)
	v_fmaak_f32 v25, v23, v25, 0xbd97d4d7
	v_fmaak_f32 v25, v23, v25, 0x3dd931b2
	;; [unrolled: 3-line block ×3, first 2 shown]
	s_delay_alu instid0(VALU_DEP_1) | instskip(NEXT) | instid1(VALU_DEP_1)
	v_fmaak_f32 v25, v23, v25, 0xbeaaaa62
	v_mul_f32_e32 v23, v23, v25
	s_delay_alu instid0(VALU_DEP_1) | instskip(NEXT) | instid1(VALU_DEP_1)
	v_fmac_f32_e32 v13, v13, v23
	v_sub_f32_e32 v23, 0x3fc90fdb, v13
	s_delay_alu instid0(VALU_DEP_1) | instskip(SKIP_1) | instid1(VALU_DEP_2)
	v_cndmask_b32_e32 v13, v13, v23, vcc_lo
	v_cmp_gt_f32_e32 vcc_lo, 0, v12
	v_sub_f32_e32 v23, 0x40490fdb, v13
	v_cndmask_b32_e32 v25, 0x3f490fdb, v30, vcc_lo
	s_delay_alu instid0(VALU_DEP_2) | instskip(SKIP_3) | instid1(VALU_DEP_2)
	v_cndmask_b32_e32 v13, v13, v23, vcc_lo
	v_cndmask_b32_e64 v23, 0, 0x40490fdb, s0
	v_cmp_eq_f32_e64 s0, 0, v10
	v_cmp_eq_f32_e32 vcc_lo, 0x7f800000, v10
	v_cndmask_b32_e64 v10, |v13|, v23, s0
	s_and_b32 vcc_lo, vcc_lo, s16
	s_delay_alu instid0(VALU_DEP_1) | instskip(SKIP_1) | instid1(VALU_DEP_2)
	v_cndmask_b32_e32 v10, v10, v25, vcc_lo
	v_cmp_o_f32_e32 vcc_lo, v12, v12
	v_cndmask_b32_e32 v13, 0x7fc00000, v10, vcc_lo
.LBB74_351:                             ;   in Loop: Header=BB74_233 Depth=1
	s_or_b32 exec_lo, exec_lo, s15
                                        ; implicit-def: $vgpr10
	s_and_not1_saveexec_b32 s0, s14
	s_cbranch_execnz .LBB74_353
	s_branch .LBB74_354
.LBB74_352:                             ;   in Loop: Header=BB74_233 Depth=1
	s_and_not1_saveexec_b32 s0, s14
	s_cbranch_execz .LBB74_354
.LBB74_353:                             ;   in Loop: Header=BB74_233 Depth=1
	v_dual_max_num_f32 v12, 2.0, v10 :: v_dual_min_num_f32 v10, 2.0, v10
	v_cmp_lt_f32_e64 vcc_lo, |v2|, 2.0
	s_delay_alu instid0(VALU_DEP_2)
	v_frexp_mant_f32_e32 v13, v12
	v_frexp_exp_i32_f32_e32 v12, v12
	s_wait_dscnt 0x3
	v_frexp_mant_f32_e32 v23, v10
	v_frexp_exp_i32_f32_e32 v10, v10
	v_rcp_f32_e32 v13, v13
	v_nop
	s_delay_alu instid0(TRANS32_DEP_1) | instskip(NEXT) | instid1(VALU_DEP_1)
	v_dual_mul_f32 v13, v23, v13 :: v_dual_sub_nc_u32 v10, v10, v12
	v_ldexp_f32 v10, v13, v10
	s_delay_alu instid0(VALU_DEP_1) | instskip(NEXT) | instid1(VALU_DEP_1)
	v_mul_f32_e32 v12, v10, v10
	v_fmaak_f32 v13, s5, v12, 0xbc7a590c
	s_delay_alu instid0(VALU_DEP_1) | instskip(NEXT) | instid1(VALU_DEP_1)
	v_fmaak_f32 v13, v12, v13, 0x3d29fb3f
	v_fmaak_f32 v13, v12, v13, 0xbd97d4d7
	s_delay_alu instid0(VALU_DEP_1) | instskip(NEXT) | instid1(VALU_DEP_1)
	v_fmaak_f32 v13, v12, v13, 0x3dd931b2
	;; [unrolled: 3-line block ×3, first 2 shown]
	v_fmaak_f32 v13, v12, v13, 0xbeaaaa62
	s_delay_alu instid0(VALU_DEP_1) | instskip(NEXT) | instid1(VALU_DEP_1)
	v_mul_f32_e32 v12, v12, v13
	v_fmac_f32_e32 v10, v10, v12
	s_delay_alu instid0(VALU_DEP_1) | instskip(NEXT) | instid1(VALU_DEP_1)
	v_sub_f32_e32 v12, 0x3fc90fdb, v10
	v_cndmask_b32_e32 v10, v10, v12, vcc_lo
	v_cmp_lg_f32_e32 vcc_lo, 0, v2
	s_delay_alu instid0(VALU_DEP_2) | instskip(NEXT) | instid1(VALU_DEP_1)
	v_sub_f32_e32 v12, 0x40490fdb, v10
	v_cndmask_b32_e32 v10, v10, v12, vcc_lo
	s_delay_alu instid0(VALU_DEP_1)
	v_and_b32_e32 v13, 0x7fffffff, v10
.LBB74_354:                             ;   in Loop: Header=BB74_233 Depth=1
	s_or_b32 exec_lo, exec_lo, s0
	s_delay_alu instid0(VALU_DEP_1) | instskip(SKIP_1) | instid1(VALU_DEP_2)
	v_mul_f32_e32 v10, 0.5, v13
	v_bfi_b32 v11, 0x7fffffff, v11, v3
	v_bfi_b32 v10, 0x7fffffff, v10, v2
.LBB74_355:                             ;   in Loop: Header=BB74_233 Depth=1
	s_and_not1_saveexec_b32 s0, s13
	s_cbranch_execz .LBB74_357
; %bb.356:                              ;   in Loop: Header=BB74_233 Depth=1
	flat_store_b32 v[18:19], v29 scope:SCOPE_SYS
	s_wait_storecnt 0x0
	flat_load_b32 v10, v[18:19] scope:SCOPE_SYS
	s_wait_loadcnt_dscnt 0x0
	v_dual_mov_b32 v11, v3 :: v_dual_add_f32 v10, 1.0, v10
	flat_store_b32 v[20:21], v10 scope:SCOPE_SYS
	s_wait_storecnt 0x0
	flat_load_b32 v10, v[20:21] scope:SCOPE_SYS
	s_wait_loadcnt_dscnt 0x0
	v_mov_b32_e32 v10, v2
.LBB74_357:                             ;   in Loop: Header=BB74_233 Depth=1
	s_or_b32 exec_lo, exec_lo, s0
.LBB74_358:                             ;   in Loop: Header=BB74_233 Depth=1
	s_and_not1_saveexec_b32 s0, s12
	s_cbranch_execz .LBB74_372
; %bb.359:                              ;   in Loop: Header=BB74_233 Depth=1
	v_and_b32_e32 v10, 0x7f800000, v3
	v_and_b32_e32 v12, 0x7f800000, v2
	v_cmp_neq_f32_e64 s12, 0x7f800000, |v3|
	s_delay_alu instid0(VALU_DEP_2) | instskip(NEXT) | instid1(VALU_DEP_1)
	v_sub_nc_u32_e32 v11, v10, v12
	v_cmp_gt_i32_e32 vcc_lo, 0x6800000, v11
                                        ; implicit-def: $vgpr11
	s_and_b32 s12, s12, vcc_lo
	s_delay_alu instid0(SALU_CYCLE_1) | instskip(NEXT) | instid1(SALU_CYCLE_1)
	s_and_saveexec_b32 s13, s12
	s_xor_b32 s12, exec_lo, s13
	s_cbranch_execz .LBB74_369
; %bb.360:                              ;   in Loop: Header=BB74_233 Depth=1
	v_sub_nc_u32_e32 v11, v12, v10
	s_delay_alu instid0(VALU_DEP_1) | instskip(SKIP_1) | instid1(SALU_CYCLE_1)
	v_cmp_gt_i32_e32 vcc_lo, 0x6800000, v11
                                        ; implicit-def: $vgpr11
	s_and_saveexec_b32 s13, vcc_lo
	s_xor_b32 s13, exec_lo, s13
	s_cbranch_execz .LBB74_366
; %bb.361:                              ;   in Loop: Header=BB74_233 Depth=1
	s_mov_b32 s14, exec_lo
                                        ; implicit-def: $vgpr11
	v_cmpx_lt_u32_e32 0x59000000, v10
	s_xor_b32 s14, exec_lo, s14
	s_cbranch_execz .LBB74_363
; %bb.362:                              ;   in Loop: Header=BB74_233 Depth=1
	v_sub_nc_u32_e32 v10, 0x7f800000, v10
	s_delay_alu instid0(VALU_DEP_1) | instskip(NEXT) | instid1(VALU_DEP_1)
	v_pk_mul_f32 v[12:13], v[2:3], v[10:11] op_sel_hi:[1,0]
	v_pk_mul_f32 v[32:33], v[12:13], v[12:13]
	s_delay_alu instid0(VALU_DEP_1) | instskip(NEXT) | instid1(VALU_DEP_1)
	v_add_f32_e32 v11, v33, v32
	v_div_scale_f32 v12, null, v11, v11, v13
	s_wait_dscnt 0x3
	s_delay_alu instid0(VALU_DEP_1) | instskip(SKIP_1) | instid1(TRANS32_DEP_1)
	v_rcp_f32_e32 v23, v12
	v_nop
	v_fma_f32 v25, -v12, v23, 1.0
	s_delay_alu instid0(VALU_DEP_1) | instskip(SKIP_1) | instid1(VALU_DEP_1)
	v_fmac_f32_e32 v23, v25, v23
	v_div_scale_f32 v25, vcc_lo, v13, v11, v13
	v_mul_f32_e32 v31, v25, v23
	s_delay_alu instid0(VALU_DEP_1) | instskip(NEXT) | instid1(VALU_DEP_1)
	v_fma_f32 v32, -v12, v31, v25
	v_fmac_f32_e32 v31, v32, v23
	s_delay_alu instid0(VALU_DEP_1) | instskip(NEXT) | instid1(VALU_DEP_1)
	v_fma_f32 v12, -v12, v31, v25
	v_div_fmas_f32 v12, v12, v23, v31
	s_delay_alu instid0(VALU_DEP_1) | instskip(NEXT) | instid1(VALU_DEP_1)
	v_div_fixup_f32 v11, v12, v11, v13
	v_mul_f32_e32 v11, v11, v10
.LBB74_363:                             ;   in Loop: Header=BB74_233 Depth=1
	s_and_not1_saveexec_b32 s14, s14
	s_cbranch_execz .LBB74_365
; %bb.364:                              ;   in Loop: Header=BB74_233 Depth=1
	v_pk_mul_f32 v[10:11], v[2:3], v[2:3]
	s_delay_alu instid0(VALU_DEP_1) | instskip(NEXT) | instid1(VALU_DEP_1)
	v_add_f32_e32 v10, v10, v11
	v_div_scale_f32 v11, null, v10, v10, v3
	s_delay_alu instid0(VALU_DEP_1) | instskip(SKIP_1) | instid1(TRANS32_DEP_1)
	v_rcp_f32_e32 v12, v11
	v_nop
	v_fma_f32 v13, -v11, v12, 1.0
	s_delay_alu instid0(VALU_DEP_1) | instskip(SKIP_2) | instid1(VALU_DEP_1)
	v_fmac_f32_e32 v12, v13, v12
	v_div_scale_f32 v13, vcc_lo, v3, v10, v3
	s_wait_dscnt 0x3
	v_mul_f32_e32 v23, v13, v12
	s_delay_alu instid0(VALU_DEP_1) | instskip(NEXT) | instid1(VALU_DEP_1)
	v_fma_f32 v25, -v11, v23, v13
	v_fmac_f32_e32 v23, v25, v12
	s_delay_alu instid0(VALU_DEP_1) | instskip(NEXT) | instid1(VALU_DEP_1)
	v_fma_f32 v11, -v11, v23, v13
	v_div_fmas_f32 v11, v11, v12, v23
	s_delay_alu instid0(VALU_DEP_1)
	v_div_fixup_f32 v11, v11, v10, v3
.LBB74_365:                             ;   in Loop: Header=BB74_233 Depth=1
	s_or_b32 exec_lo, exec_lo, s14
.LBB74_366:                             ;   in Loop: Header=BB74_233 Depth=1
	s_and_not1_saveexec_b32 s13, s13
	s_cbranch_execz .LBB74_368
; %bb.367:                              ;   in Loop: Header=BB74_233 Depth=1
	v_div_scale_f32 v10, null, v2, v2, v3
	v_div_scale_f32 v13, vcc_lo, v3, v2, v3
	s_delay_alu instid0(VALU_DEP_2) | instskip(SKIP_1) | instid1(TRANS32_DEP_1)
	v_rcp_f32_e32 v11, v10
	v_nop
	v_fma_f32 v12, -v10, v11, 1.0
	s_delay_alu instid0(VALU_DEP_1) | instskip(NEXT) | instid1(VALU_DEP_1)
	v_fmac_f32_e32 v11, v12, v11
	v_mul_f32_e32 v12, v13, v11
	s_wait_dscnt 0x3
	s_delay_alu instid0(VALU_DEP_1) | instskip(NEXT) | instid1(VALU_DEP_1)
	v_fma_f32 v23, -v10, v12, v13
	v_fmac_f32_e32 v12, v23, v11
	s_delay_alu instid0(VALU_DEP_1) | instskip(NEXT) | instid1(VALU_DEP_1)
	v_fma_f32 v10, -v10, v12, v13
	v_div_fmas_f32 v10, v10, v11, v12
	s_delay_alu instid0(VALU_DEP_1) | instskip(NEXT) | instid1(VALU_DEP_1)
	v_div_fixup_f32 v10, v10, v2, v3
	v_div_scale_f32 v11, null, v2, v2, v10
	s_delay_alu instid0(VALU_DEP_1) | instskip(SKIP_1) | instid1(TRANS32_DEP_1)
	v_rcp_f32_e32 v12, v11
	v_nop
	v_fma_f32 v13, -v11, v12, 1.0
	s_delay_alu instid0(VALU_DEP_1) | instskip(SKIP_1) | instid1(VALU_DEP_1)
	v_fmac_f32_e32 v12, v13, v12
	v_div_scale_f32 v13, vcc_lo, v10, v2, v10
	v_mul_f32_e32 v23, v13, v12
	s_delay_alu instid0(VALU_DEP_1) | instskip(NEXT) | instid1(VALU_DEP_1)
	v_fma_f32 v25, -v11, v23, v13
	v_fmac_f32_e32 v23, v25, v12
	s_delay_alu instid0(VALU_DEP_1) | instskip(NEXT) | instid1(VALU_DEP_1)
	v_fma_f32 v11, -v11, v23, v13
	v_div_fmas_f32 v11, v11, v12, v23
	s_delay_alu instid0(VALU_DEP_1)
	v_div_fixup_f32 v11, v11, v2, v10
.LBB74_368:                             ;   in Loop: Header=BB74_233 Depth=1
	s_or_b32 exec_lo, exec_lo, s13
.LBB74_369:                             ;   in Loop: Header=BB74_233 Depth=1
	s_and_not1_saveexec_b32 s12, s12
	s_cbranch_execz .LBB74_371
; %bb.370:                              ;   in Loop: Header=BB74_233 Depth=1
	v_div_scale_f32 v10, null, v3, v3, 1.0
	s_delay_alu instid0(VALU_DEP_1) | instskip(SKIP_1) | instid1(TRANS32_DEP_1)
	v_rcp_f32_e32 v11, v10
	v_nop
	v_fma_f32 v12, -v10, v11, 1.0
	s_delay_alu instid0(VALU_DEP_1) | instskip(SKIP_1) | instid1(VALU_DEP_1)
	v_fmac_f32_e32 v11, v12, v11
	v_div_scale_f32 v12, vcc_lo, 1.0, v3, 1.0
	v_mul_f32_e32 v13, v12, v11
	s_wait_dscnt 0x3
	s_delay_alu instid0(VALU_DEP_1) | instskip(NEXT) | instid1(VALU_DEP_1)
	v_fma_f32 v23, -v10, v13, v12
	v_fmac_f32_e32 v13, v23, v11
	s_delay_alu instid0(VALU_DEP_1) | instskip(NEXT) | instid1(VALU_DEP_1)
	v_fma_f32 v10, -v10, v13, v12
	v_div_fmas_f32 v10, v10, v11, v13
	s_delay_alu instid0(VALU_DEP_1)
	v_div_fixup_f32 v11, v10, v3, 1.0
.LBB74_371:                             ;   in Loop: Header=BB74_233 Depth=1
	s_or_b32 exec_lo, exec_lo, s12
	flat_load_b32 v10, v[16:17] scope:SCOPE_SYS
	s_wait_loadcnt_dscnt 0x0
	v_add_f32_e32 v10, 0x3fc90fdb, v10
	s_delay_alu instid0(VALU_DEP_1)
	v_bfi_b32 v10, 0x7fffffff, v10, v2
.LBB74_372:                             ;   in Loop: Header=BB74_233 Depth=1
	s_or_b32 exec_lo, exec_lo, s0
.LBB74_373:                             ;   in Loop: Header=BB74_233 Depth=1
	s_and_not1_saveexec_b32 s0, s11
	s_cbranch_execz .LBB74_383
; %bb.374:                              ;   in Loop: Header=BB74_233 Depth=1
	v_cmp_neq_f32_e64 s11, 0x7f800000, |v3|
                                        ; implicit-def: $vgpr11
	s_and_saveexec_b32 s12, s11
	s_delay_alu instid0(SALU_CYCLE_1)
	s_xor_b32 s11, exec_lo, s12
	s_cbranch_execz .LBB74_380
; %bb.375:                              ;   in Loop: Header=BB74_233 Depth=1
	v_cmp_neq_f32_e64 s12, 0x7f800000, |v2|
                                        ; implicit-def: $vgpr11
	s_and_saveexec_b32 s13, s12
	s_delay_alu instid0(SALU_CYCLE_1)
	s_xor_b32 s12, exec_lo, s13
; %bb.376:                              ;   in Loop: Header=BB74_233 Depth=1
	v_add_f32_e32 v10, 0, v2
	s_delay_alu instid0(VALU_DEP_1)
	v_add_f32_e32 v11, v10, v3
; %bb.377:                              ;   in Loop: Header=BB74_233 Depth=1
	s_or_saveexec_b32 s12, s12
	s_delay_alu instid0(VALU_DEP_1)
	v_mov_b32_e32 v10, v11
	s_xor_b32 exec_lo, exec_lo, s12
	s_cbranch_execz .LBB74_379
; %bb.378:                              ;   in Loop: Header=BB74_233 Depth=1
	flat_load_b32 v10, v[16:17] scope:SCOPE_SYS
	s_wait_loadcnt 0x0
	v_bfi_b32 v11, 0x7fffffff, 0, v3
	s_wait_dscnt 0x0
	v_add_f32_e32 v10, 0x3fc90fdb, v10
	s_delay_alu instid0(VALU_DEP_1)
	v_bfi_b32 v10, 0x7fffffff, v10, v2
.LBB74_379:                             ;   in Loop: Header=BB74_233 Depth=1
	s_wait_xcnt 0x0
	s_or_b32 exec_lo, exec_lo, s12
.LBB74_380:                             ;   in Loop: Header=BB74_233 Depth=1
	s_and_not1_saveexec_b32 s11, s11
; %bb.381:                              ;   in Loop: Header=BB74_233 Depth=1
	v_bfi_b32 v11, 0x7fffffff, 0, v3
	v_add_f32_e32 v10, v2, v2
; %bb.382:                              ;   in Loop: Header=BB74_233 Depth=1
	s_or_b32 exec_lo, exec_lo, s11
.LBB74_383:                             ;   in Loop: Header=BB74_233 Depth=1
	s_delay_alu instid0(SALU_CYCLE_1)
	s_or_b32 exec_lo, exec_lo, s0
.LBB74_384:                             ;   in Loop: Header=BB74_233 Depth=1
	s_and_not1_saveexec_b32 s0, s10
	s_cbranch_execz .LBB74_386
; %bb.385:                              ;   in Loop: Header=BB74_233 Depth=1
	v_rcp_f32_e64 v10, |v2|
	v_cmp_gt_f32_e64 vcc_lo, |v2|, 1.0
	s_delay_alu instid0(TRANS32_DEP_1) | instid1(VALU_DEP_1)
	v_cndmask_b32_e64 v10, |v2|, v10, vcc_lo
	s_delay_alu instid0(VALU_DEP_1) | instskip(NEXT) | instid1(VALU_DEP_1)
	v_mul_f32_e32 v11, v10, v10
	v_fmaak_f32 v12, s5, v11, 0xbc7a590c
	s_delay_alu instid0(VALU_DEP_1) | instskip(NEXT) | instid1(VALU_DEP_1)
	v_fmaak_f32 v12, v11, v12, 0x3d29fb3f
	v_fmaak_f32 v12, v11, v12, 0xbd97d4d7
	s_delay_alu instid0(VALU_DEP_1) | instskip(NEXT) | instid1(VALU_DEP_1)
	v_fmaak_f32 v12, v11, v12, 0x3dd931b2
	;; [unrolled: 3-line block ×3, first 2 shown]
	v_fmaak_f32 v12, v11, v12, 0xbeaaaa62
	s_delay_alu instid0(VALU_DEP_1) | instskip(NEXT) | instid1(VALU_DEP_1)
	v_mul_f32_e32 v11, v11, v12
	v_fmac_f32_e32 v10, v10, v11
	s_delay_alu instid0(VALU_DEP_1) | instskip(NEXT) | instid1(VALU_DEP_1)
	v_sub_f32_e32 v11, 0x3fc90fdb, v10
	v_dual_cndmask_b32 v10, v10, v11 :: v_dual_mov_b32 v11, v3
	s_delay_alu instid0(VALU_DEP_1)
	v_bfi_b32 v10, 0x7fffffff, v10, v2
.LBB74_386:                             ;   in Loop: Header=BB74_233 Depth=1
	s_or_b32 exec_lo, exec_lo, s0
.LBB74_387:                             ;   in Loop: Header=BB74_233 Depth=1
	s_and_not1_saveexec_b32 s0, s7
	s_cbranch_execz .LBB74_389
; %bb.388:                              ;   in Loop: Header=BB74_233 Depth=1
	v_sub_f32_e64 v12, 1.0, |v3|
	v_add_f32_e64 v10, |v3|, 1.0
	v_and_b32_e32 v32, 0x7fffffff, v3
	v_cmp_gt_f32_e64 s7, 0x39800000, |v3|
	s_delay_alu instid0(VALU_DEP_4) | instskip(SKIP_1) | instid1(VALU_DEP_1)
	v_rcp_f32_e32 v25, v12
	v_sub_f32_e32 v13, 1.0, v12
	v_sub_f32_e64 v13, v13, |v3|
	s_delay_alu instid0(TRANS32_DEP_1) | instskip(NEXT) | instid1(VALU_DEP_1)
	v_mul_f32_e32 v31, v10, v25
	v_mul_f32_e32 v11, v12, v31
	s_wait_dscnt 0x3
	s_delay_alu instid0(VALU_DEP_1) | instskip(NEXT) | instid1(VALU_DEP_1)
	v_fma_f32 v23, v31, v12, -v11
	v_fmac_f32_e32 v23, v31, v13
	s_delay_alu instid0(VALU_DEP_1) | instskip(NEXT) | instid1(VALU_DEP_1)
	v_pk_add_f32 v[12:13], v[10:11], v[22:23]
	v_dual_sub_f32 v34, v10, v13 :: v_dual_sub_f32 v11, v13, v11
	s_delay_alu instid0(VALU_DEP_1) | instskip(NEXT) | instid1(VALU_DEP_1)
	v_dual_sub_f32 v33, v10, v34 :: v_dual_sub_f32 v23, v11, v23
	v_pk_add_f32 v[10:11], v[32:33], v[12:13] neg_lo:[0,1] neg_hi:[0,1]
	s_delay_alu instid0(VALU_DEP_1) | instskip(NEXT) | instid1(VALU_DEP_1)
	v_add_f32_e32 v11, v23, v11
	v_add_f32_e32 v10, v10, v11
	s_delay_alu instid0(VALU_DEP_1) | instskip(NEXT) | instid1(VALU_DEP_1)
	v_add_f32_e32 v10, v34, v10
	v_mul_f32_e32 v12, v25, v10
	s_delay_alu instid0(VALU_DEP_1) | instskip(NEXT) | instid1(VALU_DEP_1)
	v_add_f32_e32 v13, v31, v12
	v_cvt_f64_f32_e32 v[10:11], v13
	s_delay_alu instid0(VALU_DEP_1) | instskip(SKIP_1) | instid1(VALU_DEP_1)
	v_frexp_exp_i32_f64_e32 v10, v[10:11]
	v_frexp_mant_f32_e32 v11, v13
	v_cmp_gt_f32_e32 vcc_lo, 0x3f2aaaab, v11
	s_delay_alu instid0(VALU_DEP_3) | instskip(SKIP_1) | instid1(VALU_DEP_2)
	v_subrev_co_ci_u32_e64 v23, null, 0, v10, vcc_lo
	v_cmp_neq_f32_e64 vcc_lo, |v3|, 1.0
	v_sub_nc_u32_e32 v10, 0, v23
	s_delay_alu instid0(VALU_DEP_1) | instskip(SKIP_1) | instid1(VALU_DEP_2)
	v_ldexp_f32 v11, v13, v10
	v_sub_f32_e32 v13, v13, v31
	v_dual_add_f32 v25, 1.0, v11 :: v_dual_add_f32 v31, -1.0, v11
	s_delay_alu instid0(VALU_DEP_2) | instskip(NEXT) | instid1(VALU_DEP_2)
	v_sub_f32_e32 v12, v12, v13
	v_add_f32_e32 v13, -1.0, v25
	s_delay_alu instid0(VALU_DEP_2) | instskip(NEXT) | instid1(VALU_DEP_2)
	v_ldexp_f32 v10, v12, v10
	v_dual_sub_f32 v12, v11, v13 :: v_dual_add_f32 v13, 1.0, v31
	s_delay_alu instid0(VALU_DEP_1) | instskip(NEXT) | instid1(VALU_DEP_1)
	v_dual_add_f32 v32, v10, v12 :: v_dual_sub_f32 v11, v11, v13
	v_add_f32_e32 v34, v25, v32
	s_delay_alu instid0(VALU_DEP_1) | instskip(NEXT) | instid1(VALU_DEP_2)
	v_rcp_f32_e32 v36, v34
	v_add_f32_e32 v35, v10, v11
	s_delay_alu instid0(VALU_DEP_1)
	v_dual_sub_f32 v10, v34, v25 :: v_dual_add_f32 v11, v31, v35
	s_delay_alu instid0(TRANS32_DEP_1) | instid1(VALU_DEP_1)
	v_dual_sub_f32 v25, v32, v10 :: v_dual_mul_f32 v37, v11, v36
	s_delay_alu instid0(VALU_DEP_1) | instskip(NEXT) | instid1(VALU_DEP_1)
	v_dual_sub_f32 v31, v11, v31 :: v_dual_mul_f32 v12, v34, v37
	v_fma_f32 v32, v37, v34, -v12
	s_delay_alu instid0(VALU_DEP_1) | instskip(NEXT) | instid1(VALU_DEP_1)
	v_fmac_f32_e32 v32, v37, v25
	v_add_f32_e32 v10, v12, v32
	s_delay_alu instid0(VALU_DEP_1) | instskip(NEXT) | instid1(VALU_DEP_1)
	v_dual_sub_f32 v13, v11, v10 :: v_dual_mov_b32 v33, v10
	v_pk_add_f32 v[10:11], v[10:11], v[12:13] neg_lo:[0,1] neg_hi:[0,1]
	v_sub_f32_e32 v12, v35, v31
	s_delay_alu instid0(VALU_DEP_2) | instskip(NEXT) | instid1(VALU_DEP_1)
	v_pk_add_f32 v[10:11], v[10:11], v[32:33] neg_lo:[0,1] neg_hi:[0,1]
	v_add_f32_e32 v11, v12, v11
	s_delay_alu instid0(VALU_DEP_1) | instskip(NEXT) | instid1(VALU_DEP_1)
	v_add_f32_e32 v31, v10, v11
	v_add_f32_e32 v11, v13, v31
	s_delay_alu instid0(VALU_DEP_1) | instskip(NEXT) | instid1(VALU_DEP_1)
	v_mul_f32_e32 v35, v36, v11
	v_mul_f32_e32 v32, v34, v35
	s_delay_alu instid0(VALU_DEP_1) | instskip(NEXT) | instid1(VALU_DEP_1)
	v_fma_f32 v12, v35, v34, -v32
	v_dual_fmac_f32 v12, v35, v25 :: v_dual_sub_f32 v25, v13, v11
	s_delay_alu instid0(VALU_DEP_1) | instskip(NEXT) | instid1(VALU_DEP_1)
	v_dual_add_f32 v10, v32, v12 :: v_dual_add_f32 v25, v31, v25
	v_dual_mov_b32 v13, v10 :: v_dual_sub_f32 v33, v11, v10
	s_delay_alu instid0(VALU_DEP_1) | instskip(NEXT) | instid1(VALU_DEP_1)
	v_pk_add_f32 v[10:11], v[10:11], v[32:33] neg_lo:[0,1] neg_hi:[0,1]
	v_pk_add_f32 v[10:11], v[10:11], v[12:13] neg_lo:[0,1] neg_hi:[0,1]
	s_delay_alu instid0(VALU_DEP_1) | instskip(NEXT) | instid1(VALU_DEP_1)
	v_add_f32_e32 v11, v25, v11
	v_add_f32_e32 v10, v10, v11
	s_delay_alu instid0(VALU_DEP_1) | instskip(NEXT) | instid1(VALU_DEP_1)
	v_add_f32_e32 v10, v33, v10
	v_dual_mul_f32 v10, v36, v10 :: v_dual_add_f32 v31, v37, v35
	s_delay_alu instid0(VALU_DEP_1) | instskip(NEXT) | instid1(VALU_DEP_1)
	v_sub_f32_e32 v11, v31, v37
	v_sub_f32_e32 v11, v35, v11
	s_delay_alu instid0(VALU_DEP_1) | instskip(SKIP_1) | instid1(VALU_DEP_2)
	v_add_f32_e32 v34, v11, v10
	v_cvt_f32_i32_e32 v10, v23
	v_add_f32_e32 v35, v31, v34
	s_delay_alu instid0(VALU_DEP_1) | instskip(NEXT) | instid1(VALU_DEP_1)
	v_sub_f32_e32 v23, v35, v31
	v_sub_f32_e32 v23, v34, v23
	v_mul_f32_e32 v12, v35, v35
	v_ldexp_f32 v33, v35, 1
	s_delay_alu instid0(VALU_DEP_3) | instskip(NEXT) | instid1(VALU_DEP_3)
	v_ldexp_f32 v23, v23, 1
	v_fmaak_f32 v13, s4, v12, 0x3ecc95a3
	v_mul_f32_e32 v11, v35, v12
	s_delay_alu instid0(VALU_DEP_2) | instskip(NEXT) | instid1(VALU_DEP_1)
	v_fmaak_f32 v25, v12, v13, 0x3f2aaada
	v_pk_mul_f32 v[12:13], v[10:11], v[24:25]
	s_delay_alu instid0(VALU_DEP_1) | instskip(SKIP_1) | instid1(VALU_DEP_2)
	v_fma_f32 v32, 0x3f317218, v10, -v12
	v_mov_b32_e32 v34, v12
	v_fmac_f32_e32 v32, 0xb102e308, v10
	s_delay_alu instid0(VALU_DEP_1) | instskip(NEXT) | instid1(VALU_DEP_1)
	v_pk_add_f32 v[10:11], v[12:13], v[32:33]
	v_dual_sub_f32 v25, v11, v33 :: v_dual_mov_b32 v33, v10
	s_delay_alu instid0(VALU_DEP_1) | instskip(SKIP_1) | instid1(VALU_DEP_2)
	v_sub_f32_e32 v25, v13, v25
	v_pk_add_f32 v[12:13], v[10:11], v[12:13] neg_lo:[0,1] neg_hi:[0,1]
	v_add_f32_e32 v35, v23, v25
	s_delay_alu instid0(VALU_DEP_1) | instskip(NEXT) | instid1(VALU_DEP_1)
	v_pk_add_f32 v[36:37], v[10:11], v[34:35]
	v_mov_b32_e32 v13, v37
	s_delay_alu instid0(VALU_DEP_1) | instskip(SKIP_2) | instid1(VALU_DEP_3)
	v_pk_add_f32 v[38:39], v[32:33], v[12:13]
	v_mov_b32_e32 v38, v37
	v_pk_add_f32 v[12:13], v[32:33], v[12:13] neg_lo:[0,1] neg_hi:[0,1]
	v_dual_mov_b32 v34, v39 :: v_dual_mov_b32 v13, v39
	s_delay_alu instid0(VALU_DEP_1) | instskip(SKIP_1) | instid1(VALU_DEP_2)
	v_pk_add_f32 v[40:41], v[34:35], v[10:11] neg_lo:[0,1] neg_hi:[0,1]
	v_dual_mov_b32 v42, v11 :: v_dual_mov_b32 v11, v10
	v_dual_mov_b32 v10, v35 :: v_dual_mov_b32 v43, v40
	v_mov_b32_e32 v23, v40
	s_delay_alu instid0(VALU_DEP_2) | instskip(NEXT) | instid1(VALU_DEP_2)
	v_pk_add_f32 v[32:33], v[38:39], v[42:43] neg_lo:[0,1] neg_hi:[0,1]
	v_pk_add_f32 v[36:37], v[36:37], v[22:23] neg_lo:[0,1] neg_hi:[0,1]
	v_mov_b32_e32 v36, v12
	s_delay_alu instid0(VALU_DEP_3) | instskip(NEXT) | instid1(VALU_DEP_1)
	v_pk_add_f32 v[10:11], v[10:11], v[32:33] neg_lo:[0,1] neg_hi:[0,1]
	v_pk_add_f32 v[32:33], v[36:37], v[10:11]
	s_delay_alu instid0(VALU_DEP_1) | instskip(NEXT) | instid1(VALU_DEP_1)
	v_mov_b32_e32 v36, v33
	v_pk_add_f32 v[36:37], v[32:33], v[36:37]
	s_delay_alu instid0(VALU_DEP_1) | instskip(NEXT) | instid1(VALU_DEP_1)
	v_pk_add_f32 v[34:35], v[34:35], v[36:37]
	v_dual_mov_b32 v11, v36 :: v_dual_mov_b32 v33, v34
	s_delay_alu instid0(VALU_DEP_1) | instskip(NEXT) | instid1(VALU_DEP_1)
	v_pk_add_f32 v[38:39], v[32:33], v[12:13] neg_lo:[0,1] neg_hi:[0,1]
	v_pk_add_f32 v[10:11], v[10:11], v[38:39] neg_lo:[0,1] neg_hi:[0,1]
	v_sub_f32_e32 v13, v32, v38
	s_delay_alu instid0(VALU_DEP_1) | instskip(NEXT) | instid1(VALU_DEP_1)
	v_sub_f32_e32 v12, v12, v13
	v_add_f32_e32 v10, v10, v12
	s_delay_alu instid0(VALU_DEP_1) | instskip(NEXT) | instid1(VALU_DEP_1)
	v_add_f32_e32 v10, v10, v11
	v_add_f32_e32 v10, v34, v10
	s_delay_alu instid0(VALU_DEP_1) | instskip(NEXT) | instid1(VALU_DEP_1)
	v_mul_f32_e32 v10, 0.5, v10
	v_cndmask_b32_e64 v10, v10, |v3|, s7
	s_delay_alu instid0(VALU_DEP_1) | instskip(NEXT) | instid1(VALU_DEP_1)
	v_cndmask_b32_e32 v10, 0x7f800000, v10, vcc_lo
	v_bfi_b32 v11, 0x7fffffff, v10, v3
	v_mov_b32_e32 v10, v2
.LBB74_389:                             ;   in Loop: Header=BB74_233 Depth=1
	s_or_b32 exec_lo, exec_lo, s0
	v_cmp_neq_f32_e32 vcc_lo, 0, v4
	v_cmp_nle_f32_e64 s0, |v5|, 1.0
	flat_store_b32 v[16:17], v28 scope:SCOPE_SYS
	s_wait_storecnt 0x0
	s_or_b32 s0, vcc_lo, s0
	s_wait_xcnt 0x0
	s_and_saveexec_b32 s7, s0
	s_delay_alu instid0(SALU_CYCLE_1)
	s_xor_b32 s7, exec_lo, s7
	s_cbranch_execz .LBB74_439
; %bb.390:                              ;   in Loop: Header=BB74_233 Depth=1
	s_mov_b32 s0, exec_lo
	v_cmpx_neq_f32_e32 0, v5
	s_xor_b32 s10, exec_lo, s0
	s_cbranch_execz .LBB74_436
; %bb.391:                              ;   in Loop: Header=BB74_233 Depth=1
	s_mov_b32 s0, exec_lo
	v_cmpx_o_f32_e32 v5, v4
	s_xor_b32 s11, exec_lo, s0
	s_cbranch_execz .LBB74_425
; %bb.392:                              ;   in Loop: Header=BB74_233 Depth=1
	v_max_num_f32_e64 v3, |v5|, |v5|
	v_max_num_f32_e64 v2, |v4|, |v4|
	s_mov_b32 s0, exec_lo
	s_delay_alu instid0(VALU_DEP_1) | instskip(NEXT) | instid1(VALU_DEP_1)
	v_max_num_f32_e32 v3, v2, v3
	v_cmpx_nlt_f32_e32 0x4b000000, v3
	s_xor_b32 s12, exec_lo, s0
	s_cbranch_execz .LBB74_410
; %bb.393:                              ;   in Loop: Header=BB74_233 Depth=1
	v_cmp_ngt_f32_e64 s0, 0x399cc471, |v5|
	v_cmp_ngt_f32_e64 s13, 0x399cc471, |v4|
	s_or_b32 s0, s13, s0
	s_delay_alu instid0(SALU_CYCLE_1) | instskip(NEXT) | instid1(SALU_CYCLE_1)
	s_and_saveexec_b32 s13, s0
	s_xor_b32 s13, exec_lo, s13
	s_cbranch_execz .LBB74_407
; %bb.394:                              ;   in Loop: Header=BB74_233 Depth=1
	v_cmp_neq_f32_e64 s14, |v5|, 1.0
	v_cmp_ngt_f32_e64 s0, 0x34000000, |v4|
                                        ; implicit-def: $vgpr3
	s_or_b32 s15, s0, s14
	s_delay_alu instid0(SALU_CYCLE_1) | instskip(NEXT) | instid1(SALU_CYCLE_1)
	s_and_saveexec_b32 s16, s15
	s_xor_b32 s15, exec_lo, s16
	s_cbranch_execz .LBB74_396
; %bb.395:                              ;   in Loop: Header=BB74_233 Depth=1
	v_add_f32_e64 v13, |v5|, -1.0
	v_cmp_gt_f32_e64 vcc_lo, 0x20000000, |v4|
	v_mov_b32_e32 v12, v4
	s_delay_alu instid0(VALU_DEP_1) | instskip(NEXT) | instid1(VALU_DEP_1)
	v_pk_mul_f32 v[12:13], v[12:13], v[12:13]
	v_add_f32_e32 v3, v12, v13
	v_mul_f32_e64 v12, |v5|, 4.0
	s_delay_alu instid0(VALU_DEP_2) | instskip(NEXT) | instid1(VALU_DEP_1)
	v_cndmask_b32_e32 v3, v3, v13, vcc_lo
	v_div_scale_f32 v13, null, v3, v3, v12
	v_div_scale_f32 v31, vcc_lo, v12, v3, v12
	s_wait_dscnt 0x4
	s_delay_alu instid0(VALU_DEP_2) | instskip(SKIP_1) | instid1(TRANS32_DEP_1)
	v_rcp_f32_e32 v23, v13
	v_nop
	v_fma_f32 v25, -v13, v23, 1.0
	s_delay_alu instid0(VALU_DEP_1) | instskip(NEXT) | instid1(VALU_DEP_1)
	v_fmac_f32_e32 v23, v25, v23
	v_mul_f32_e32 v25, v31, v23
	s_delay_alu instid0(VALU_DEP_1) | instskip(NEXT) | instid1(VALU_DEP_1)
	v_fma_f32 v32, -v13, v25, v31
	v_fmac_f32_e32 v25, v32, v23
	s_delay_alu instid0(VALU_DEP_1) | instskip(NEXT) | instid1(VALU_DEP_1)
	v_fma_f32 v13, -v13, v25, v31
	v_div_fmas_f32 v13, v13, v23, v25
	s_delay_alu instid0(VALU_DEP_1) | instskip(NEXT) | instid1(VALU_DEP_1)
	v_div_fixup_f32 v12, v13, v3, v12
	v_add_f32_e32 v33, 1.0, v12
	s_delay_alu instid0(VALU_DEP_1) | instskip(SKIP_2) | instid1(VALU_DEP_2)
	v_cvt_f64_f32_e32 v[34:35], v33
	v_frexp_mant_f32_e32 v23, v33
	v_add_f32_e32 v13, -1.0, v33
	v_cmp_gt_f32_e32 vcc_lo, 0x3f2aaaab, v23
	s_delay_alu instid0(VALU_DEP_4) | instskip(NEXT) | instid1(VALU_DEP_1)
	v_frexp_exp_i32_f64_e32 v3, v[34:35]
	v_subrev_co_ci_u32_e64 v3, null, 0, v3, vcc_lo
	s_delay_alu instid0(VALU_DEP_4) | instskip(SKIP_1) | instid1(VALU_DEP_3)
	v_mov_b32_e32 v32, v13
	v_cmp_neq_f32_e32 vcc_lo, 0x7f800000, v12
	v_sub_nc_u32_e32 v23, 0, v3
	s_delay_alu instid0(VALU_DEP_3) | instskip(NEXT) | instid1(VALU_DEP_2)
	v_pk_add_f32 v[34:35], v[12:13], v[32:33] neg_lo:[0,1] neg_hi:[0,1]
	v_ldexp_f32 v13, v33, v23
	s_delay_alu instid0(VALU_DEP_1) | instskip(NEXT) | instid1(VALU_DEP_1)
	v_dual_add_f32 v25, 1.0, v35 :: v_dual_add_f32 v31, 1.0, v13
	v_dual_add_f32 v25, v34, v25 :: v_dual_add_f32 v32, -1.0, v31
	v_add_f32_e32 v37, -1.0, v13
	s_delay_alu instid0(VALU_DEP_2) | instskip(NEXT) | instid1(VALU_DEP_2)
	v_ldexp_f32 v23, v25, v23
	v_dual_sub_f32 v25, v13, v32 :: v_dual_add_f32 v32, 1.0, v37
	s_delay_alu instid0(VALU_DEP_1) | instskip(NEXT) | instid1(VALU_DEP_1)
	v_dual_add_f32 v25, v23, v25 :: v_dual_sub_f32 v13, v13, v32
	v_add_f32_e32 v38, v31, v25
	s_delay_alu instid0(VALU_DEP_1) | instskip(NEXT) | instid1(VALU_DEP_1)
	v_dual_add_f32 v13, v23, v13 :: v_dual_sub_f32 v31, v38, v31
	v_sub_f32_e32 v25, v25, v31
	v_rcp_f32_e32 v23, v38
	s_delay_alu instid0(VALU_DEP_2)
	v_add_f32_e32 v33, v37, v13
	s_delay_alu instid0(TRANS32_DEP_1) | instid1(VALU_DEP_1)
	v_mul_f32_e32 v39, v33, v23
	s_delay_alu instid0(VALU_DEP_1) | instskip(NEXT) | instid1(VALU_DEP_1)
	v_dual_mul_f32 v34, v38, v39 :: v_dual_sub_f32 v31, v33, v37
	v_dual_fma_f32 v36, v39, v38, -v34 :: v_dual_sub_f32 v13, v13, v31
	s_delay_alu instid0(VALU_DEP_1) | instskip(NEXT) | instid1(VALU_DEP_1)
	v_fmac_f32_e32 v36, v39, v25
	v_add_f32_e32 v32, v34, v36
	s_delay_alu instid0(VALU_DEP_1) | instskip(NEXT) | instid1(VALU_DEP_1)
	v_dual_sub_f32 v35, v33, v32 :: v_dual_mov_b32 v37, v32
	v_pk_add_f32 v[32:33], v[32:33], v[34:35] neg_lo:[0,1] neg_hi:[0,1]
	s_delay_alu instid0(VALU_DEP_1) | instskip(NEXT) | instid1(VALU_DEP_1)
	v_pk_add_f32 v[32:33], v[32:33], v[36:37] neg_lo:[0,1] neg_hi:[0,1]
	v_add_f32_e32 v13, v13, v33
	s_delay_alu instid0(VALU_DEP_1) | instskip(NEXT) | instid1(VALU_DEP_1)
	v_add_f32_e32 v13, v32, v13
	v_add_f32_e32 v33, v35, v13
	s_delay_alu instid0(VALU_DEP_1) | instskip(NEXT) | instid1(VALU_DEP_1)
	v_mul_f32_e32 v31, v23, v33
	v_mul_f32_e32 v36, v38, v31
	s_delay_alu instid0(VALU_DEP_1) | instskip(SKIP_1) | instid1(VALU_DEP_2)
	v_fma_f32 v34, v31, v38, -v36
	v_add_f32_e32 v38, v39, v31
	v_fmac_f32_e32 v34, v31, v25
	s_delay_alu instid0(VALU_DEP_1) | instskip(NEXT) | instid1(VALU_DEP_1)
	v_dual_add_f32 v32, v36, v34 :: v_dual_sub_f32 v25, v35, v33
	v_dual_mov_b32 v35, v32 :: v_dual_sub_f32 v37, v33, v32
	s_delay_alu instid0(VALU_DEP_2) | instskip(NEXT) | instid1(VALU_DEP_2)
	v_dual_add_f32 v13, v13, v25 :: v_dual_sub_f32 v25, v38, v39
	v_pk_add_f32 v[32:33], v[32:33], v[36:37] neg_lo:[0,1] neg_hi:[0,1]
	s_delay_alu instid0(VALU_DEP_2) | instskip(NEXT) | instid1(VALU_DEP_2)
	v_sub_f32_e32 v25, v31, v25
	v_pk_add_f32 v[32:33], v[32:33], v[34:35] neg_lo:[0,1] neg_hi:[0,1]
	s_delay_alu instid0(VALU_DEP_1) | instskip(NEXT) | instid1(VALU_DEP_1)
	v_add_f32_e32 v13, v13, v33
	v_add_f32_e32 v13, v32, v13
	v_cvt_f32_i32_e32 v32, v3
	s_delay_alu instid0(VALU_DEP_2) | instskip(NEXT) | instid1(VALU_DEP_1)
	v_add_f32_e32 v13, v37, v13
	v_mul_f32_e32 v13, v23, v13
	s_delay_alu instid0(VALU_DEP_1) | instskip(NEXT) | instid1(VALU_DEP_1)
	v_add_f32_e32 v13, v25, v13
	v_add_f32_e32 v23, v38, v13
	s_delay_alu instid0(VALU_DEP_1) | instskip(SKIP_2) | instid1(VALU_DEP_3)
	v_mul_f32_e32 v25, v23, v23
	v_ldexp_f32 v37, v23, 1
	v_sub_f32_e32 v3, v23, v38
	v_fmaak_f32 v31, s4, v25, 0x3ecc95a3
	v_mul_f32_e32 v33, v23, v25
	s_delay_alu instid0(VALU_DEP_2) | instskip(NEXT) | instid1(VALU_DEP_1)
	v_fmaak_f32 v25, v25, v31, 0x3f2aaada
	v_pk_mul_f32 v[34:35], v[32:33], v[24:25]
	s_delay_alu instid0(VALU_DEP_1) | instskip(SKIP_1) | instid1(VALU_DEP_2)
	v_fma_f32 v36, 0x3f317218, v32, -v34
	v_dual_mov_b32 v38, v34 :: v_dual_sub_f32 v3, v13, v3
	v_fmac_f32_e32 v36, 0xb102e308, v32
	s_delay_alu instid0(VALU_DEP_2) | instskip(NEXT) | instid1(VALU_DEP_2)
	v_ldexp_f32 v3, v3, 1
	v_pk_add_f32 v[32:33], v[34:35], v[36:37]
	s_delay_alu instid0(VALU_DEP_1) | instskip(NEXT) | instid1(VALU_DEP_1)
	v_dual_sub_f32 v13, v33, v37 :: v_dual_mov_b32 v46, v33
	v_dual_mov_b32 v37, v32 :: v_dual_sub_f32 v13, v35, v13
	v_pk_add_f32 v[34:35], v[32:33], v[34:35] neg_lo:[0,1] neg_hi:[0,1]
	s_delay_alu instid0(VALU_DEP_2) | instskip(NEXT) | instid1(VALU_DEP_1)
	v_add_f32_e32 v39, v3, v13
	v_pk_add_f32 v[40:41], v[32:33], v[38:39]
	s_delay_alu instid0(VALU_DEP_1) | instskip(NEXT) | instid1(VALU_DEP_1)
	v_mov_b32_e32 v35, v41
	v_pk_add_f32 v[42:43], v[36:37], v[34:35]
	v_pk_add_f32 v[34:35], v[36:37], v[34:35] neg_lo:[0,1] neg_hi:[0,1]
	s_delay_alu instid0(VALU_DEP_2) | instskip(NEXT) | instid1(VALU_DEP_1)
	v_mov_b32_e32 v38, v43
	v_pk_add_f32 v[44:45], v[38:39], v[32:33] neg_lo:[0,1] neg_hi:[0,1]
	v_dual_mov_b32 v42, v41 :: v_dual_mov_b32 v33, v32
	s_delay_alu instid0(VALU_DEP_2) | instskip(SKIP_1) | instid1(VALU_DEP_2)
	v_dual_mov_b32 v32, v39 :: v_dual_mov_b32 v47, v44
	v_mov_b32_e32 v3, v44
	v_pk_add_f32 v[44:45], v[42:43], v[46:47] neg_lo:[0,1] neg_hi:[0,1]
	s_delay_alu instid0(VALU_DEP_2) | instskip(SKIP_1) | instid1(VALU_DEP_3)
	v_pk_add_f32 v[36:37], v[40:41], v[2:3] neg_lo:[0,1] neg_hi:[0,1]
	v_mov_b32_e32 v36, v34
	v_pk_add_f32 v[32:33], v[32:33], v[44:45] neg_lo:[0,1] neg_hi:[0,1]
	s_delay_alu instid0(VALU_DEP_1) | instskip(NEXT) | instid1(VALU_DEP_1)
	v_pk_add_f32 v[36:37], v[36:37], v[32:33]
	v_mov_b32_e32 v40, v37
	s_delay_alu instid0(VALU_DEP_1) | instskip(NEXT) | instid1(VALU_DEP_1)
	v_pk_add_f32 v[40:41], v[36:37], v[40:41]
	v_pk_add_f32 v[38:39], v[38:39], v[40:41]
	s_delay_alu instid0(VALU_DEP_1) | instskip(NEXT) | instid1(VALU_DEP_1)
	v_dual_mov_b32 v35, v43 :: v_dual_mov_b32 v37, v38
	v_pk_add_f32 v[42:43], v[36:37], v[34:35] neg_lo:[0,1] neg_hi:[0,1]
	s_delay_alu instid0(VALU_DEP_1) | instskip(NEXT) | instid1(VALU_DEP_1)
	v_sub_f32_e32 v3, v36, v42
	v_dual_mov_b32 v33, v40 :: v_dual_sub_f32 v3, v34, v3
	s_delay_alu instid0(VALU_DEP_1) | instskip(NEXT) | instid1(VALU_DEP_1)
	v_pk_add_f32 v[32:33], v[32:33], v[42:43] neg_lo:[0,1] neg_hi:[0,1]
	v_add_f32_e32 v3, v32, v3
	s_delay_alu instid0(VALU_DEP_1) | instskip(NEXT) | instid1(VALU_DEP_1)
	v_add_f32_e32 v3, v3, v33
	v_add_f32_e32 v3, v38, v3
	s_delay_alu instid0(VALU_DEP_1) | instskip(SKIP_1) | instid1(VALU_DEP_2)
	v_cndmask_b32_e32 v3, 0x7f800000, v3, vcc_lo
	v_cmp_ngt_f32_e32 vcc_lo, -1.0, v12
	v_cndmask_b32_e32 v3, 0x7fc00000, v3, vcc_lo
	v_cmp_neq_f32_e32 vcc_lo, -1.0, v12
	s_delay_alu instid0(VALU_DEP_2) | instskip(SKIP_1) | instid1(VALU_DEP_2)
	v_cndmask_b32_e32 v3, 0xff800000, v3, vcc_lo
	v_cmp_gt_f32_e64 vcc_lo, 0x33800000, |v12|
	v_cndmask_b32_e32 v3, v3, v12, vcc_lo
	s_delay_alu instid0(VALU_DEP_1)
	v_mul_f32_e32 v3, 0x3e800000, v3
	s_and_not1_saveexec_b32 s15, s15
	s_cbranch_execz .LBB74_398
	s_branch .LBB74_397
.LBB74_396:                             ;   in Loop: Header=BB74_233 Depth=1
	s_and_not1_saveexec_b32 s15, s15
	s_cbranch_execz .LBB74_398
.LBB74_397:                             ;   in Loop: Header=BB74_233 Depth=1
	v_cmp_gt_f32_e64 s16, 0x800000, |v4|
	s_delay_alu instid0(VALU_DEP_1) | instskip(NEXT) | instid1(VALU_DEP_1)
	v_cndmask_b32_e64 v3, 0, 32, s16
	v_ldexp_f32 v3, |v4|, v3
	s_delay_alu instid0(VALU_DEP_1) | instskip(SKIP_1) | instid1(TRANS32_DEP_1)
	v_log_f32_e32 v3, v3
	v_nop
	v_mul_f32_e32 v12, 0x3f317217, v3
	v_cmp_gt_f32_e64 vcc_lo, 0x7f800000, |v3|
	s_delay_alu instid0(VALU_DEP_2) | instskip(NEXT) | instid1(VALU_DEP_1)
	v_fma_f32 v12, 0x3f317217, v3, -v12
	v_fmac_f32_e32 v12, 0x3377d1cf, v3
	s_delay_alu instid0(VALU_DEP_1) | instskip(NEXT) | instid1(VALU_DEP_1)
	v_fmac_f32_e32 v12, 0x3f317217, v3
	v_cndmask_b32_e32 v3, v3, v12, vcc_lo
	v_cndmask_b32_e64 v12, 0, 0x41b17218, s16
	s_delay_alu instid0(VALU_DEP_1) | instskip(NEXT) | instid1(VALU_DEP_1)
	v_sub_f32_e32 v3, v3, v12
	v_sub_f32_e32 v3, 0x3f317218, v3
	s_delay_alu instid0(VALU_DEP_1)
	v_mul_f32_e32 v3, 0.5, v3
.LBB74_398:                             ;   in Loop: Header=BB74_233 Depth=1
	s_or_b32 exec_lo, exec_lo, s15
                                        ; implicit-def: $vgpr13
	s_and_saveexec_b32 s15, s14
	s_delay_alu instid0(SALU_CYCLE_1)
	s_xor_b32 s14, exec_lo, s15
	s_cbranch_execz .LBB74_404
; %bb.399:                              ;   in Loop: Header=BB74_233 Depth=1
	v_sub_f32_e64 v12, 1.0, |v5|
	v_add_f32_e64 v13, |v5|, 1.0
	v_add_f32_e64 v2, |v4|, |v4|
	s_delay_alu instid0(VALU_DEP_2) | instskip(SKIP_1) | instid1(SALU_CYCLE_1)
	v_mul_f32_e32 v12, v12, v13
                                        ; implicit-def: $vgpr13
	s_and_saveexec_b32 s15, s0
	s_xor_b32 s15, exec_lo, s15
	s_cbranch_execz .LBB74_401
; %bb.400:                              ;   in Loop: Header=BB74_233 Depth=1
	s_delay_alu instid0(VALU_DEP_1) | instskip(NEXT) | instid1(VALU_DEP_1)
	v_dual_fma_f32 v12, -v4, v4, v12 :: v_dual_max_num_f32 v13, v2, v2
	v_cmp_gt_f32_e64 vcc_lo, v2, |v12|
	s_wait_dscnt 0x4
	s_delay_alu instid0(VALU_DEP_2) | instskip(SKIP_3) | instid1(VALU_DEP_4)
	v_max_num_f32_e64 v23, |v12|, v13
	v_min_num_f32_e64 v13, |v12|, v13
	v_cmp_gt_i32_e64 s0, 0, v12
	v_cmp_class_f32_e64 s16, v12, 0x204
	v_frexp_mant_f32_e32 v25, v23
	v_frexp_exp_i32_f32_e32 v23, v23
	v_frexp_exp_i32_f32_e32 v31, v13
	v_frexp_mant_f32_e32 v13, v13
	s_delay_alu instid0(VALU_DEP_4) | instskip(SKIP_1) | instid1(TRANS32_DEP_1)
	v_rcp_f32_e32 v25, v25
	v_nop
	v_dual_sub_nc_u32 v23, v31, v23 :: v_dual_mul_f32 v13, v13, v25
	s_delay_alu instid0(VALU_DEP_1) | instskip(NEXT) | instid1(VALU_DEP_1)
	v_ldexp_f32 v13, v13, v23
	v_mul_f32_e32 v23, v13, v13
	s_delay_alu instid0(VALU_DEP_1) | instskip(NEXT) | instid1(VALU_DEP_1)
	v_fmaak_f32 v25, s5, v23, 0xbc7a590c
	v_fmaak_f32 v25, v23, v25, 0x3d29fb3f
	s_delay_alu instid0(VALU_DEP_1) | instskip(NEXT) | instid1(VALU_DEP_1)
	v_fmaak_f32 v25, v23, v25, 0xbd97d4d7
	v_fmaak_f32 v25, v23, v25, 0x3dd931b2
	;; [unrolled: 3-line block ×3, first 2 shown]
	s_delay_alu instid0(VALU_DEP_1) | instskip(NEXT) | instid1(VALU_DEP_1)
	v_fmaak_f32 v25, v23, v25, 0xbeaaaa62
	v_mul_f32_e32 v23, v23, v25
	s_delay_alu instid0(VALU_DEP_1) | instskip(NEXT) | instid1(VALU_DEP_1)
	v_fmac_f32_e32 v13, v13, v23
	v_sub_f32_e32 v23, 0x3fc90fdb, v13
	s_delay_alu instid0(VALU_DEP_1) | instskip(SKIP_1) | instid1(VALU_DEP_2)
	v_cndmask_b32_e32 v13, v13, v23, vcc_lo
	v_cmp_gt_f32_e32 vcc_lo, 0, v12
	v_sub_f32_e32 v23, 0x40490fdb, v13
	v_cndmask_b32_e32 v25, 0x3f490fdb, v30, vcc_lo
	s_delay_alu instid0(VALU_DEP_2) | instskip(SKIP_3) | instid1(VALU_DEP_2)
	v_cndmask_b32_e32 v13, v13, v23, vcc_lo
	v_cndmask_b32_e64 v23, 0, 0x40490fdb, s0
	v_cmp_eq_f32_e64 s0, 0, v2
	v_cmp_eq_f32_e32 vcc_lo, 0x7f800000, v2
	v_cndmask_b32_e64 v2, |v13|, v23, s0
	s_and_b32 vcc_lo, vcc_lo, s16
	s_delay_alu instid0(VALU_DEP_1) | instskip(SKIP_1) | instid1(VALU_DEP_2)
	v_cndmask_b32_e32 v2, v2, v25, vcc_lo
	v_cmp_o_f32_e32 vcc_lo, v12, v12
                                        ; implicit-def: $vgpr12
	v_cndmask_b32_e32 v13, 0x7fc00000, v2, vcc_lo
                                        ; implicit-def: $vgpr2
.LBB74_401:                             ;   in Loop: Header=BB74_233 Depth=1
	s_and_not1_saveexec_b32 s15, s15
	s_cbranch_execz .LBB74_403
; %bb.402:                              ;   in Loop: Header=BB74_233 Depth=1
	v_max_num_f32_e32 v13, v2, v2
	s_wait_dscnt 0x4
	v_max_num_f32_e64 v23, |v12|, |v12|
	v_cmp_gt_f32_e64 vcc_lo, v2, |v12|
	v_cmp_gt_i32_e64 s0, 0, v12
	v_cmp_class_f32_e64 s16, v12, 0x204
	s_delay_alu instid0(VALU_DEP_4) | instskip(NEXT) | instid1(VALU_DEP_1)
	v_dual_max_num_f32 v25, v23, v13 :: v_dual_min_num_f32 v13, v23, v13
	v_frexp_mant_f32_e32 v31, v25
	v_frexp_exp_i32_f32_e32 v23, v25
	s_delay_alu instid0(VALU_DEP_2)
	v_rcp_f32_e32 v25, v31
	v_nop
	v_frexp_exp_i32_f32_e32 v31, v13
	v_frexp_mant_f32_e32 v13, v13
	s_delay_alu instid0(TRANS32_DEP_1) | instid1(VALU_DEP_1)
	v_dual_sub_nc_u32 v23, v31, v23 :: v_dual_mul_f32 v13, v13, v25
	s_delay_alu instid0(VALU_DEP_1) | instskip(NEXT) | instid1(VALU_DEP_1)
	v_ldexp_f32 v13, v13, v23
	v_mul_f32_e32 v23, v13, v13
	s_delay_alu instid0(VALU_DEP_1) | instskip(NEXT) | instid1(VALU_DEP_1)
	v_fmaak_f32 v25, s5, v23, 0xbc7a590c
	v_fmaak_f32 v25, v23, v25, 0x3d29fb3f
	s_delay_alu instid0(VALU_DEP_1) | instskip(NEXT) | instid1(VALU_DEP_1)
	v_fmaak_f32 v25, v23, v25, 0xbd97d4d7
	v_fmaak_f32 v25, v23, v25, 0x3dd931b2
	;; [unrolled: 3-line block ×3, first 2 shown]
	s_delay_alu instid0(VALU_DEP_1) | instskip(NEXT) | instid1(VALU_DEP_1)
	v_fmaak_f32 v25, v23, v25, 0xbeaaaa62
	v_mul_f32_e32 v23, v23, v25
	s_delay_alu instid0(VALU_DEP_1) | instskip(NEXT) | instid1(VALU_DEP_1)
	v_fmac_f32_e32 v13, v13, v23
	v_sub_f32_e32 v23, 0x3fc90fdb, v13
	s_delay_alu instid0(VALU_DEP_1) | instskip(SKIP_1) | instid1(VALU_DEP_2)
	v_cndmask_b32_e32 v13, v13, v23, vcc_lo
	v_cmp_gt_f32_e32 vcc_lo, 0, v12
	v_sub_f32_e32 v23, 0x40490fdb, v13
	v_cndmask_b32_e32 v25, 0x3f490fdb, v30, vcc_lo
	s_delay_alu instid0(VALU_DEP_2) | instskip(SKIP_3) | instid1(VALU_DEP_2)
	v_cndmask_b32_e32 v13, v13, v23, vcc_lo
	v_cndmask_b32_e64 v23, 0, 0x40490fdb, s0
	v_cmp_eq_f32_e64 s0, 0, v2
	v_cmp_eq_f32_e32 vcc_lo, 0x7f800000, v2
	v_cndmask_b32_e64 v2, |v13|, v23, s0
	s_and_b32 vcc_lo, vcc_lo, s16
	s_delay_alu instid0(VALU_DEP_1) | instskip(SKIP_1) | instid1(VALU_DEP_2)
	v_cndmask_b32_e32 v2, v2, v25, vcc_lo
	v_cmp_o_f32_e32 vcc_lo, v12, v12
	v_cndmask_b32_e32 v13, 0x7fc00000, v2, vcc_lo
.LBB74_403:                             ;   in Loop: Header=BB74_233 Depth=1
	s_or_b32 exec_lo, exec_lo, s15
                                        ; implicit-def: $vgpr2
	s_and_not1_saveexec_b32 s0, s14
	s_cbranch_execnz .LBB74_405
	s_branch .LBB74_406
.LBB74_404:                             ;   in Loop: Header=BB74_233 Depth=1
	s_and_not1_saveexec_b32 s0, s14
	s_cbranch_execz .LBB74_406
.LBB74_405:                             ;   in Loop: Header=BB74_233 Depth=1
	v_dual_max_num_f32 v12, 2.0, v2 :: v_dual_min_num_f32 v2, 2.0, v2
	v_cmp_lt_f32_e64 vcc_lo, |v4|, 2.0
	s_delay_alu instid0(VALU_DEP_2)
	v_frexp_mant_f32_e32 v13, v12
	v_frexp_exp_i32_f32_e32 v12, v12
	s_wait_dscnt 0x4
	v_frexp_mant_f32_e32 v23, v2
	v_frexp_exp_i32_f32_e32 v2, v2
	v_rcp_f32_e32 v13, v13
	v_nop
	s_delay_alu instid0(TRANS32_DEP_1) | instskip(NEXT) | instid1(VALU_DEP_1)
	v_dual_mul_f32 v13, v23, v13 :: v_dual_sub_nc_u32 v2, v2, v12
	v_ldexp_f32 v2, v13, v2
	s_delay_alu instid0(VALU_DEP_1) | instskip(NEXT) | instid1(VALU_DEP_1)
	v_mul_f32_e32 v12, v2, v2
	v_fmaak_f32 v13, s5, v12, 0xbc7a590c
	s_delay_alu instid0(VALU_DEP_1) | instskip(NEXT) | instid1(VALU_DEP_1)
	v_fmaak_f32 v13, v12, v13, 0x3d29fb3f
	v_fmaak_f32 v13, v12, v13, 0xbd97d4d7
	s_delay_alu instid0(VALU_DEP_1) | instskip(NEXT) | instid1(VALU_DEP_1)
	v_fmaak_f32 v13, v12, v13, 0x3dd931b2
	;; [unrolled: 3-line block ×3, first 2 shown]
	v_fmaak_f32 v13, v12, v13, 0xbeaaaa62
	s_delay_alu instid0(VALU_DEP_1) | instskip(NEXT) | instid1(VALU_DEP_1)
	v_mul_f32_e32 v12, v12, v13
	v_fmac_f32_e32 v2, v2, v12
	s_delay_alu instid0(VALU_DEP_1) | instskip(NEXT) | instid1(VALU_DEP_1)
	v_sub_f32_e32 v12, 0x3fc90fdb, v2
	v_cndmask_b32_e32 v2, v2, v12, vcc_lo
	v_cmp_lg_f32_e32 vcc_lo, 0, v4
	s_delay_alu instid0(VALU_DEP_2) | instskip(NEXT) | instid1(VALU_DEP_1)
	v_sub_f32_e32 v12, 0x40490fdb, v2
	v_cndmask_b32_e32 v2, v2, v12, vcc_lo
	s_delay_alu instid0(VALU_DEP_1)
	v_and_b32_e32 v13, 0x7fffffff, v2
.LBB74_406:                             ;   in Loop: Header=BB74_233 Depth=1
	s_or_b32 exec_lo, exec_lo, s0
	s_delay_alu instid0(VALU_DEP_1) | instskip(SKIP_1) | instid1(VALU_DEP_2)
	v_mul_f32_e32 v2, 0.5, v13
	v_bfi_b32 v13, 0x7fffffff, v3, v5
	v_bfi_b32 v12, 0x7fffffff, v2, v4
                                        ; implicit-def: $vgpr5
.LBB74_407:                             ;   in Loop: Header=BB74_233 Depth=1
	s_and_not1_saveexec_b32 s0, s13
	s_cbranch_execz .LBB74_409
; %bb.408:                              ;   in Loop: Header=BB74_233 Depth=1
	flat_store_b32 v[18:19], v29 scope:SCOPE_SYS
	s_wait_storecnt 0x0
	flat_load_b32 v2, v[18:19] scope:SCOPE_SYS
	s_wait_loadcnt 0x0
	v_dual_mov_b32 v12, v4 :: v_dual_mov_b32 v13, v5
	s_wait_dscnt 0x0
	v_add_f32_e32 v2, 1.0, v2
	flat_store_b32 v[20:21], v2 scope:SCOPE_SYS
	s_wait_storecnt 0x0
	flat_load_b32 v2, v[20:21] scope:SCOPE_SYS
	s_wait_loadcnt 0x0
.LBB74_409:                             ;   in Loop: Header=BB74_233 Depth=1
	s_wait_xcnt 0x0
	s_or_b32 exec_lo, exec_lo, s0
                                        ; implicit-def: $vgpr2_vgpr3_vgpr4_vgpr5
.LBB74_410:                             ;   in Loop: Header=BB74_233 Depth=1
	s_and_not1_saveexec_b32 s0, s12
	s_cbranch_execz .LBB74_424
; %bb.411:                              ;   in Loop: Header=BB74_233 Depth=1
	s_wait_dscnt 0x0
	v_and_b32_e32 v2, 0x7f800000, v5
	v_and_b32_e32 v3, 0x7f800000, v4
	v_cmp_neq_f32_e64 s12, 0x7f800000, |v5|
	s_delay_alu instid0(VALU_DEP_2) | instskip(NEXT) | instid1(VALU_DEP_1)
	v_sub_nc_u32_e32 v12, v2, v3
	v_cmp_gt_i32_e32 vcc_lo, 0x6800000, v12
	s_and_b32 s12, s12, vcc_lo
	s_delay_alu instid0(SALU_CYCLE_1) | instskip(NEXT) | instid1(SALU_CYCLE_1)
	s_and_saveexec_b32 s13, s12
	s_xor_b32 s12, exec_lo, s13
	s_cbranch_execz .LBB74_421
; %bb.412:                              ;   in Loop: Header=BB74_233 Depth=1
	v_sub_nc_u32_e32 v3, v3, v2
	s_mov_b32 s13, exec_lo
	s_delay_alu instid0(VALU_DEP_1)
	v_cmpx_gt_i32_e32 0x6800000, v3
	s_xor_b32 s13, exec_lo, s13
	s_cbranch_execz .LBB74_418
; %bb.413:                              ;   in Loop: Header=BB74_233 Depth=1
	s_mov_b32 s14, exec_lo
	v_cmpx_lt_u32_e32 0x59000000, v2
	s_xor_b32 s14, exec_lo, s14
	s_cbranch_execz .LBB74_415
; %bb.414:                              ;   in Loop: Header=BB74_233 Depth=1
	v_sub_nc_u32_e32 v2, 0x7f800000, v2
	s_delay_alu instid0(VALU_DEP_1) | instskip(NEXT) | instid1(VALU_DEP_1)
	v_pk_mul_f32 v[12:13], v[4:5], v[2:3] op_sel_hi:[1,0]
	v_pk_mul_f32 v[32:33], v[12:13], v[12:13]
	s_delay_alu instid0(VALU_DEP_1) | instskip(NEXT) | instid1(VALU_DEP_1)
	v_add_f32_e32 v3, v33, v32
	v_div_scale_f32 v12, null, v3, v3, v13
	s_delay_alu instid0(VALU_DEP_1) | instskip(SKIP_1) | instid1(TRANS32_DEP_1)
	v_rcp_f32_e32 v23, v12
	v_nop
	v_fma_f32 v25, -v12, v23, 1.0
	s_delay_alu instid0(VALU_DEP_1) | instskip(SKIP_1) | instid1(VALU_DEP_1)
	v_fmac_f32_e32 v23, v25, v23
	v_div_scale_f32 v25, vcc_lo, v13, v3, v13
	v_mul_f32_e32 v31, v25, v23
	s_delay_alu instid0(VALU_DEP_1) | instskip(NEXT) | instid1(VALU_DEP_1)
	v_fma_f32 v32, -v12, v31, v25
	v_fmac_f32_e32 v31, v32, v23
	s_delay_alu instid0(VALU_DEP_1) | instskip(NEXT) | instid1(VALU_DEP_1)
	v_fma_f32 v12, -v12, v31, v25
	v_div_fmas_f32 v12, v12, v23, v31
	s_delay_alu instid0(VALU_DEP_1) | instskip(NEXT) | instid1(VALU_DEP_1)
	v_div_fixup_f32 v3, v12, v3, v13
	v_mul_f32_e32 v13, v3, v2
.LBB74_415:                             ;   in Loop: Header=BB74_233 Depth=1
	s_and_not1_saveexec_b32 s14, s14
	s_cbranch_execz .LBB74_417
; %bb.416:                              ;   in Loop: Header=BB74_233 Depth=1
	v_pk_mul_f32 v[2:3], v[4:5], v[4:5]
	s_delay_alu instid0(VALU_DEP_1) | instskip(NEXT) | instid1(VALU_DEP_1)
	v_add_f32_e32 v2, v2, v3
	v_div_scale_f32 v3, null, v2, v2, v5
	s_delay_alu instid0(VALU_DEP_1) | instskip(SKIP_1) | instid1(TRANS32_DEP_1)
	v_rcp_f32_e32 v12, v3
	v_nop
	v_fma_f32 v13, -v3, v12, 1.0
	s_delay_alu instid0(VALU_DEP_1) | instskip(SKIP_1) | instid1(VALU_DEP_1)
	v_fmac_f32_e32 v12, v13, v12
	v_div_scale_f32 v13, vcc_lo, v5, v2, v5
	v_mul_f32_e32 v23, v13, v12
	s_delay_alu instid0(VALU_DEP_1) | instskip(NEXT) | instid1(VALU_DEP_1)
	v_fma_f32 v25, -v3, v23, v13
	v_fmac_f32_e32 v23, v25, v12
	s_delay_alu instid0(VALU_DEP_1) | instskip(NEXT) | instid1(VALU_DEP_1)
	v_fma_f32 v3, -v3, v23, v13
	v_div_fmas_f32 v3, v3, v12, v23
	s_delay_alu instid0(VALU_DEP_1)
	v_div_fixup_f32 v13, v3, v2, v5
.LBB74_417:                             ;   in Loop: Header=BB74_233 Depth=1
	s_or_b32 exec_lo, exec_lo, s14
.LBB74_418:                             ;   in Loop: Header=BB74_233 Depth=1
	s_and_not1_saveexec_b32 s13, s13
	s_cbranch_execz .LBB74_420
; %bb.419:                              ;   in Loop: Header=BB74_233 Depth=1
	v_div_scale_f32 v2, null, v4, v4, v5
	v_div_scale_f32 v13, vcc_lo, v5, v4, v5
	s_delay_alu instid0(VALU_DEP_2) | instskip(SKIP_1) | instid1(TRANS32_DEP_1)
	v_rcp_f32_e32 v3, v2
	v_nop
	v_fma_f32 v12, -v2, v3, 1.0
	s_delay_alu instid0(VALU_DEP_1) | instskip(NEXT) | instid1(VALU_DEP_1)
	v_fmac_f32_e32 v3, v12, v3
	v_mul_f32_e32 v12, v13, v3
	s_delay_alu instid0(VALU_DEP_1) | instskip(NEXT) | instid1(VALU_DEP_1)
	v_fma_f32 v23, -v2, v12, v13
	v_fmac_f32_e32 v12, v23, v3
	s_delay_alu instid0(VALU_DEP_1) | instskip(NEXT) | instid1(VALU_DEP_1)
	v_fma_f32 v2, -v2, v12, v13
	v_div_fmas_f32 v2, v2, v3, v12
	s_delay_alu instid0(VALU_DEP_1) | instskip(NEXT) | instid1(VALU_DEP_1)
	v_div_fixup_f32 v2, v2, v4, v5
	v_div_scale_f32 v3, null, v4, v4, v2
	s_delay_alu instid0(VALU_DEP_1) | instskip(SKIP_1) | instid1(TRANS32_DEP_1)
	v_rcp_f32_e32 v12, v3
	v_nop
	v_fma_f32 v13, -v3, v12, 1.0
	s_delay_alu instid0(VALU_DEP_1) | instskip(SKIP_1) | instid1(VALU_DEP_1)
	v_fmac_f32_e32 v12, v13, v12
	v_div_scale_f32 v13, vcc_lo, v2, v4, v2
	v_mul_f32_e32 v23, v13, v12
	s_delay_alu instid0(VALU_DEP_1) | instskip(NEXT) | instid1(VALU_DEP_1)
	v_fma_f32 v25, -v3, v23, v13
	v_fmac_f32_e32 v23, v25, v12
	s_delay_alu instid0(VALU_DEP_1) | instskip(NEXT) | instid1(VALU_DEP_1)
	v_fma_f32 v3, -v3, v23, v13
	v_div_fmas_f32 v3, v3, v12, v23
	s_delay_alu instid0(VALU_DEP_1)
	v_div_fixup_f32 v13, v3, v4, v2
.LBB74_420:                             ;   in Loop: Header=BB74_233 Depth=1
	s_or_b32 exec_lo, exec_lo, s13
.LBB74_421:                             ;   in Loop: Header=BB74_233 Depth=1
	s_and_not1_saveexec_b32 s12, s12
	s_cbranch_execz .LBB74_423
; %bb.422:                              ;   in Loop: Header=BB74_233 Depth=1
	v_div_scale_f32 v2, null, v5, v5, 1.0
	s_delay_alu instid0(VALU_DEP_1) | instskip(SKIP_1) | instid1(TRANS32_DEP_1)
	v_rcp_f32_e32 v3, v2
	v_nop
	v_fma_f32 v12, -v2, v3, 1.0
	s_delay_alu instid0(VALU_DEP_1) | instskip(SKIP_1) | instid1(VALU_DEP_1)
	v_fmac_f32_e32 v3, v12, v3
	v_div_scale_f32 v12, vcc_lo, 1.0, v5, 1.0
	v_mul_f32_e32 v13, v12, v3
	s_delay_alu instid0(VALU_DEP_1) | instskip(NEXT) | instid1(VALU_DEP_1)
	v_fma_f32 v23, -v2, v13, v12
	v_fmac_f32_e32 v13, v23, v3
	s_delay_alu instid0(VALU_DEP_1) | instskip(NEXT) | instid1(VALU_DEP_1)
	v_fma_f32 v2, -v2, v13, v12
	v_div_fmas_f32 v2, v2, v3, v13
	s_delay_alu instid0(VALU_DEP_1)
	v_div_fixup_f32 v13, v2, v5, 1.0
.LBB74_423:                             ;   in Loop: Header=BB74_233 Depth=1
	s_or_b32 exec_lo, exec_lo, s12
	flat_load_b32 v2, v[16:17] scope:SCOPE_SYS
	s_wait_loadcnt_dscnt 0x0
	v_add_f32_e32 v2, 0x3fc90fdb, v2
	s_delay_alu instid0(VALU_DEP_1)
	v_bfi_b32 v12, 0x7fffffff, v2, v4
.LBB74_424:                             ;   in Loop: Header=BB74_233 Depth=1
	s_or_b32 exec_lo, exec_lo, s0
                                        ; implicit-def: $vgpr2_vgpr3_vgpr4_vgpr5
.LBB74_425:                             ;   in Loop: Header=BB74_233 Depth=1
	s_and_not1_saveexec_b32 s0, s11
	s_cbranch_execz .LBB74_435
; %bb.426:                              ;   in Loop: Header=BB74_233 Depth=1
	v_cmp_neq_f32_e64 s11, 0x7f800000, |v5|
	s_and_saveexec_b32 s12, s11
	s_delay_alu instid0(SALU_CYCLE_1)
	s_xor_b32 s11, exec_lo, s12
	s_cbranch_execz .LBB74_432
; %bb.427:                              ;   in Loop: Header=BB74_233 Depth=1
	v_cmp_neq_f32_e64 s12, 0x7f800000, |v4|
	s_and_saveexec_b32 s13, s12
	s_delay_alu instid0(SALU_CYCLE_1)
	s_xor_b32 s12, exec_lo, s13
	s_cbranch_execz .LBB74_429
; %bb.428:                              ;   in Loop: Header=BB74_233 Depth=1
	s_wait_dscnt 0x0
	v_add_f32_e32 v2, 0, v4
	s_delay_alu instid0(VALU_DEP_1)
	v_add_f32_e32 v13, v2, v5
                                        ; implicit-def: $vgpr4_vgpr5
.LBB74_429:                             ;   in Loop: Header=BB74_233 Depth=1
	s_or_saveexec_b32 s12, s12
	s_delay_alu instid0(VALU_DEP_1)
	v_mov_b32_e32 v12, v13
	s_xor_b32 exec_lo, exec_lo, s12
	s_cbranch_execz .LBB74_431
; %bb.430:                              ;   in Loop: Header=BB74_233 Depth=1
	s_wait_dscnt 0x0
	flat_load_b32 v2, v[16:17] scope:SCOPE_SYS
	s_wait_loadcnt 0x0
	v_bfi_b32 v13, 0x7fffffff, 0, v5
	s_wait_dscnt 0x0
	v_add_f32_e32 v2, 0x3fc90fdb, v2
	s_delay_alu instid0(VALU_DEP_1)
	v_bfi_b32 v12, 0x7fffffff, v2, v4
.LBB74_431:                             ;   in Loop: Header=BB74_233 Depth=1
	s_wait_xcnt 0x0
	s_or_b32 exec_lo, exec_lo, s12
                                        ; implicit-def: $vgpr2_vgpr3_vgpr4_vgpr5
.LBB74_432:                             ;   in Loop: Header=BB74_233 Depth=1
	s_and_not1_saveexec_b32 s11, s11
; %bb.433:                              ;   in Loop: Header=BB74_233 Depth=1
	v_bfi_b32 v13, 0x7fffffff, 0, v5
	v_add_f32_e32 v12, v4, v4
; %bb.434:                              ;   in Loop: Header=BB74_233 Depth=1
	s_or_b32 exec_lo, exec_lo, s11
.LBB74_435:                             ;   in Loop: Header=BB74_233 Depth=1
	s_delay_alu instid0(SALU_CYCLE_1)
	s_or_b32 exec_lo, exec_lo, s0
                                        ; implicit-def: $vgpr2_vgpr3_vgpr4_vgpr5
.LBB74_436:                             ;   in Loop: Header=BB74_233 Depth=1
	s_and_not1_saveexec_b32 s0, s10
	s_cbranch_execz .LBB74_438
; %bb.437:                              ;   in Loop: Header=BB74_233 Depth=1
	s_wait_dscnt 0x0
	v_rcp_f32_e64 v2, |v4|
	v_cmp_gt_f32_e64 vcc_lo, |v4|, 1.0
	v_mov_b32_e32 v13, v5
	s_delay_alu instid0(TRANS32_DEP_1) | instid1(VALU_DEP_2)
	v_cndmask_b32_e64 v2, |v4|, v2, vcc_lo
	s_delay_alu instid0(VALU_DEP_1) | instskip(NEXT) | instid1(VALU_DEP_1)
	v_mul_f32_e32 v3, v2, v2
	v_fmaak_f32 v12, s5, v3, 0xbc7a590c
	s_delay_alu instid0(VALU_DEP_1) | instskip(NEXT) | instid1(VALU_DEP_1)
	v_fmaak_f32 v12, v3, v12, 0x3d29fb3f
	v_fmaak_f32 v12, v3, v12, 0xbd97d4d7
	s_delay_alu instid0(VALU_DEP_1) | instskip(NEXT) | instid1(VALU_DEP_1)
	v_fmaak_f32 v12, v3, v12, 0x3dd931b2
	;; [unrolled: 3-line block ×3, first 2 shown]
	v_fmaak_f32 v12, v3, v12, 0xbeaaaa62
	s_delay_alu instid0(VALU_DEP_1) | instskip(NEXT) | instid1(VALU_DEP_1)
	v_mul_f32_e32 v3, v3, v12
	v_fmac_f32_e32 v2, v2, v3
	s_delay_alu instid0(VALU_DEP_1) | instskip(NEXT) | instid1(VALU_DEP_1)
	v_sub_f32_e32 v3, 0x3fc90fdb, v2
	v_cndmask_b32_e32 v2, v2, v3, vcc_lo
	s_delay_alu instid0(VALU_DEP_1)
	v_bfi_b32 v12, 0x7fffffff, v2, v4
.LBB74_438:                             ;   in Loop: Header=BB74_233 Depth=1
	s_or_b32 exec_lo, exec_lo, s0
                                        ; implicit-def: $vgpr2_vgpr3_vgpr4_vgpr5
.LBB74_439:                             ;   in Loop: Header=BB74_233 Depth=1
	s_and_not1_saveexec_b32 s0, s7
	s_cbranch_execz .LBB74_232
; %bb.440:                              ;   in Loop: Header=BB74_233 Depth=1
	v_sub_f32_e64 v12, 1.0, |v5|
	s_wait_dscnt 0x0
	v_add_f32_e64 v2, |v5|, 1.0
	v_and_b32_e32 v32, 0x7fffffff, v5
	v_cmp_gt_f32_e64 s7, 0x39800000, |v5|
	v_rcp_f32_e32 v25, v12
	v_sub_f32_e32 v13, 1.0, v12
	s_delay_alu instid0(VALU_DEP_1) | instskip(NEXT) | instid1(TRANS32_DEP_1)
	v_sub_f32_e64 v13, v13, |v5|
	v_mul_f32_e32 v31, v2, v25
	s_delay_alu instid0(VALU_DEP_1) | instskip(NEXT) | instid1(VALU_DEP_1)
	v_mul_f32_e32 v3, v12, v31
	v_fma_f32 v23, v31, v12, -v3
	s_delay_alu instid0(VALU_DEP_1) | instskip(NEXT) | instid1(VALU_DEP_1)
	v_fmac_f32_e32 v23, v31, v13
	v_pk_add_f32 v[12:13], v[2:3], v[22:23]
	s_delay_alu instid0(VALU_DEP_1) | instskip(NEXT) | instid1(VALU_DEP_1)
	v_dual_sub_f32 v34, v2, v13 :: v_dual_sub_f32 v3, v13, v3
	v_dual_sub_f32 v33, v2, v34 :: v_dual_sub_f32 v23, v3, v23
	s_delay_alu instid0(VALU_DEP_1) | instskip(NEXT) | instid1(VALU_DEP_1)
	v_pk_add_f32 v[2:3], v[32:33], v[12:13] neg_lo:[0,1] neg_hi:[0,1]
	v_add_f32_e32 v3, v23, v3
	s_delay_alu instid0(VALU_DEP_1) | instskip(NEXT) | instid1(VALU_DEP_1)
	v_add_f32_e32 v2, v2, v3
	v_add_f32_e32 v2, v34, v2
	s_delay_alu instid0(VALU_DEP_1) | instskip(NEXT) | instid1(VALU_DEP_1)
	v_mul_f32_e32 v12, v25, v2
	v_add_f32_e32 v13, v31, v12
	s_delay_alu instid0(VALU_DEP_1) | instskip(NEXT) | instid1(VALU_DEP_1)
	v_cvt_f64_f32_e32 v[2:3], v13
	v_frexp_exp_i32_f64_e32 v2, v[2:3]
	v_frexp_mant_f32_e32 v3, v13
	s_delay_alu instid0(VALU_DEP_1) | instskip(NEXT) | instid1(VALU_DEP_3)
	v_cmp_gt_f32_e32 vcc_lo, 0x3f2aaaab, v3
	v_subrev_co_ci_u32_e64 v23, null, 0, v2, vcc_lo
	v_cmp_neq_f32_e64 vcc_lo, |v5|, 1.0
	s_delay_alu instid0(VALU_DEP_2) | instskip(NEXT) | instid1(VALU_DEP_1)
	v_sub_nc_u32_e32 v2, 0, v23
	v_ldexp_f32 v3, v13, v2
	v_sub_f32_e32 v13, v13, v31
	s_delay_alu instid0(VALU_DEP_2) | instskip(NEXT) | instid1(VALU_DEP_2)
	v_dual_add_f32 v25, 1.0, v3 :: v_dual_add_f32 v31, -1.0, v3
	v_sub_f32_e32 v12, v12, v13
	s_delay_alu instid0(VALU_DEP_2) | instskip(NEXT) | instid1(VALU_DEP_2)
	v_add_f32_e32 v13, -1.0, v25
	v_ldexp_f32 v2, v12, v2
	s_delay_alu instid0(VALU_DEP_2) | instskip(NEXT) | instid1(VALU_DEP_1)
	v_dual_sub_f32 v12, v3, v13 :: v_dual_add_f32 v13, 1.0, v31
	v_dual_add_f32 v32, v2, v12 :: v_dual_sub_f32 v3, v3, v13
	s_delay_alu instid0(VALU_DEP_1) | instskip(NEXT) | instid1(VALU_DEP_1)
	v_add_f32_e32 v34, v25, v32
	v_rcp_f32_e32 v36, v34
	s_delay_alu instid0(VALU_DEP_2) | instskip(NEXT) | instid1(VALU_DEP_1)
	v_add_f32_e32 v35, v2, v3
	v_dual_sub_f32 v2, v34, v25 :: v_dual_add_f32 v3, v31, v35
	s_delay_alu instid0(TRANS32_DEP_1) | instid1(VALU_DEP_1)
	v_dual_sub_f32 v25, v32, v2 :: v_dual_mul_f32 v37, v3, v36
	s_delay_alu instid0(VALU_DEP_1) | instskip(NEXT) | instid1(VALU_DEP_1)
	v_dual_sub_f32 v31, v3, v31 :: v_dual_mul_f32 v12, v34, v37
	v_fma_f32 v32, v37, v34, -v12
	s_delay_alu instid0(VALU_DEP_1) | instskip(NEXT) | instid1(VALU_DEP_1)
	v_fmac_f32_e32 v32, v37, v25
	v_add_f32_e32 v2, v12, v32
	s_delay_alu instid0(VALU_DEP_1) | instskip(NEXT) | instid1(VALU_DEP_1)
	v_dual_sub_f32 v13, v3, v2 :: v_dual_mov_b32 v33, v2
	v_pk_add_f32 v[2:3], v[2:3], v[12:13] neg_lo:[0,1] neg_hi:[0,1]
	v_sub_f32_e32 v12, v35, v31
	s_delay_alu instid0(VALU_DEP_2) | instskip(NEXT) | instid1(VALU_DEP_1)
	v_pk_add_f32 v[2:3], v[2:3], v[32:33] neg_lo:[0,1] neg_hi:[0,1]
	v_add_f32_e32 v3, v12, v3
	s_delay_alu instid0(VALU_DEP_1) | instskip(NEXT) | instid1(VALU_DEP_1)
	v_add_f32_e32 v31, v2, v3
	v_add_f32_e32 v3, v13, v31
	s_delay_alu instid0(VALU_DEP_1) | instskip(NEXT) | instid1(VALU_DEP_1)
	v_mul_f32_e32 v35, v36, v3
	v_mul_f32_e32 v32, v34, v35
	s_delay_alu instid0(VALU_DEP_1) | instskip(NEXT) | instid1(VALU_DEP_1)
	v_fma_f32 v12, v35, v34, -v32
	v_dual_fmac_f32 v12, v35, v25 :: v_dual_sub_f32 v25, v13, v3
	s_delay_alu instid0(VALU_DEP_1) | instskip(NEXT) | instid1(VALU_DEP_1)
	v_dual_add_f32 v2, v32, v12 :: v_dual_add_f32 v25, v31, v25
	v_dual_mov_b32 v13, v2 :: v_dual_sub_f32 v33, v3, v2
	s_delay_alu instid0(VALU_DEP_1) | instskip(NEXT) | instid1(VALU_DEP_1)
	v_pk_add_f32 v[2:3], v[2:3], v[32:33] neg_lo:[0,1] neg_hi:[0,1]
	v_pk_add_f32 v[2:3], v[2:3], v[12:13] neg_lo:[0,1] neg_hi:[0,1]
	s_delay_alu instid0(VALU_DEP_1) | instskip(NEXT) | instid1(VALU_DEP_1)
	v_add_f32_e32 v3, v25, v3
	v_add_f32_e32 v2, v2, v3
	s_delay_alu instid0(VALU_DEP_1) | instskip(NEXT) | instid1(VALU_DEP_1)
	v_add_f32_e32 v2, v33, v2
	v_dual_mul_f32 v2, v36, v2 :: v_dual_add_f32 v31, v37, v35
	s_delay_alu instid0(VALU_DEP_1) | instskip(NEXT) | instid1(VALU_DEP_1)
	v_sub_f32_e32 v3, v31, v37
	v_sub_f32_e32 v3, v35, v3
	s_delay_alu instid0(VALU_DEP_1) | instskip(SKIP_1) | instid1(VALU_DEP_2)
	v_add_f32_e32 v34, v3, v2
	v_cvt_f32_i32_e32 v2, v23
	v_add_f32_e32 v35, v31, v34
	s_delay_alu instid0(VALU_DEP_1) | instskip(NEXT) | instid1(VALU_DEP_1)
	v_sub_f32_e32 v23, v35, v31
	v_sub_f32_e32 v23, v34, v23
	v_mul_f32_e32 v12, v35, v35
	v_ldexp_f32 v33, v35, 1
	s_delay_alu instid0(VALU_DEP_3) | instskip(NEXT) | instid1(VALU_DEP_3)
	v_ldexp_f32 v23, v23, 1
	v_fmaak_f32 v13, s4, v12, 0x3ecc95a3
	v_mul_f32_e32 v3, v35, v12
	s_delay_alu instid0(VALU_DEP_2) | instskip(NEXT) | instid1(VALU_DEP_1)
	v_fmaak_f32 v25, v12, v13, 0x3f2aaada
	v_pk_mul_f32 v[12:13], v[2:3], v[24:25]
	s_delay_alu instid0(VALU_DEP_1) | instskip(SKIP_1) | instid1(VALU_DEP_2)
	v_fma_f32 v32, 0x3f317218, v2, -v12
	v_mov_b32_e32 v34, v12
	v_fmac_f32_e32 v32, 0xb102e308, v2
	s_delay_alu instid0(VALU_DEP_1) | instskip(NEXT) | instid1(VALU_DEP_1)
	v_pk_add_f32 v[2:3], v[12:13], v[32:33]
	v_dual_sub_f32 v25, v3, v33 :: v_dual_mov_b32 v33, v2
	s_delay_alu instid0(VALU_DEP_1) | instskip(SKIP_1) | instid1(VALU_DEP_2)
	v_sub_f32_e32 v25, v13, v25
	v_pk_add_f32 v[12:13], v[2:3], v[12:13] neg_lo:[0,1] neg_hi:[0,1]
	v_add_f32_e32 v35, v23, v25
	s_delay_alu instid0(VALU_DEP_1) | instskip(NEXT) | instid1(VALU_DEP_1)
	v_pk_add_f32 v[36:37], v[2:3], v[34:35]
	v_mov_b32_e32 v13, v37
	s_delay_alu instid0(VALU_DEP_1) | instskip(SKIP_2) | instid1(VALU_DEP_3)
	v_pk_add_f32 v[38:39], v[32:33], v[12:13]
	v_mov_b32_e32 v38, v37
	v_pk_add_f32 v[12:13], v[32:33], v[12:13] neg_lo:[0,1] neg_hi:[0,1]
	v_dual_mov_b32 v34, v39 :: v_dual_mov_b32 v13, v39
	s_delay_alu instid0(VALU_DEP_1) | instskip(SKIP_1) | instid1(VALU_DEP_2)
	v_pk_add_f32 v[40:41], v[34:35], v[2:3] neg_lo:[0,1] neg_hi:[0,1]
	v_dual_mov_b32 v42, v3 :: v_dual_mov_b32 v3, v2
	v_dual_mov_b32 v2, v35 :: v_dual_mov_b32 v43, v40
	v_mov_b32_e32 v23, v40
	s_delay_alu instid0(VALU_DEP_2) | instskip(NEXT) | instid1(VALU_DEP_2)
	v_pk_add_f32 v[32:33], v[38:39], v[42:43] neg_lo:[0,1] neg_hi:[0,1]
	v_pk_add_f32 v[36:37], v[36:37], v[22:23] neg_lo:[0,1] neg_hi:[0,1]
	v_mov_b32_e32 v36, v12
	s_delay_alu instid0(VALU_DEP_3) | instskip(NEXT) | instid1(VALU_DEP_1)
	v_pk_add_f32 v[2:3], v[2:3], v[32:33] neg_lo:[0,1] neg_hi:[0,1]
	v_pk_add_f32 v[32:33], v[36:37], v[2:3]
	s_delay_alu instid0(VALU_DEP_1) | instskip(NEXT) | instid1(VALU_DEP_1)
	v_mov_b32_e32 v36, v33
	v_pk_add_f32 v[36:37], v[32:33], v[36:37]
	s_delay_alu instid0(VALU_DEP_1) | instskip(NEXT) | instid1(VALU_DEP_1)
	v_pk_add_f32 v[34:35], v[34:35], v[36:37]
	v_dual_mov_b32 v3, v36 :: v_dual_mov_b32 v33, v34
	s_delay_alu instid0(VALU_DEP_1) | instskip(NEXT) | instid1(VALU_DEP_1)
	v_pk_add_f32 v[38:39], v[32:33], v[12:13] neg_lo:[0,1] neg_hi:[0,1]
	v_pk_add_f32 v[2:3], v[2:3], v[38:39] neg_lo:[0,1] neg_hi:[0,1]
	v_sub_f32_e32 v13, v32, v38
	s_delay_alu instid0(VALU_DEP_1) | instskip(NEXT) | instid1(VALU_DEP_1)
	v_sub_f32_e32 v12, v12, v13
	v_dual_add_f32 v2, v2, v12 :: v_dual_mov_b32 v12, v4
	s_delay_alu instid0(VALU_DEP_1) | instskip(NEXT) | instid1(VALU_DEP_1)
	v_add_f32_e32 v2, v2, v3
	v_add_f32_e32 v2, v34, v2
	s_delay_alu instid0(VALU_DEP_1) | instskip(NEXT) | instid1(VALU_DEP_1)
	v_mul_f32_e32 v2, 0.5, v2
	v_cndmask_b32_e64 v2, v2, |v5|, s7
	s_delay_alu instid0(VALU_DEP_1) | instskip(NEXT) | instid1(VALU_DEP_1)
	v_cndmask_b32_e32 v2, 0x7f800000, v2, vcc_lo
	v_bfi_b32 v13, 0x7fffffff, v2, v5
	s_branch .LBB74_232
.LBB74_441:
	s_endpgm
	.section	.rodata,"a",@progbits
	.p2align	6, 0x0
	.amdhsa_kernel _ZN2at6native12_GLOBAL__N_125multi_tensor_apply_kernelINS1_18TensorListMetadataILi1EEENS1_14UnaryOpFunctorIN3c107complexIfEELi1ELi1ELi0EEEJNS0_4AtanIS8_EEEEEvT_T0_DpT1_
		.amdhsa_group_segment_fixed_size 0
		.amdhsa_private_segment_fixed_size 16
		.amdhsa_kernarg_size 3632
		.amdhsa_user_sgpr_count 2
		.amdhsa_user_sgpr_dispatch_ptr 0
		.amdhsa_user_sgpr_queue_ptr 0
		.amdhsa_user_sgpr_kernarg_segment_ptr 1
		.amdhsa_user_sgpr_dispatch_id 0
		.amdhsa_user_sgpr_kernarg_preload_length 0
		.amdhsa_user_sgpr_kernarg_preload_offset 0
		.amdhsa_user_sgpr_private_segment_size 0
		.amdhsa_wavefront_size32 1
		.amdhsa_uses_dynamic_stack 0
		.amdhsa_enable_private_segment 1
		.amdhsa_system_sgpr_workgroup_id_x 1
		.amdhsa_system_sgpr_workgroup_id_y 0
		.amdhsa_system_sgpr_workgroup_id_z 0
		.amdhsa_system_sgpr_workgroup_info 0
		.amdhsa_system_vgpr_workitem_id 0
		.amdhsa_next_free_vgpr 60
		.amdhsa_next_free_sgpr 31
		.amdhsa_named_barrier_count 0
		.amdhsa_reserve_vcc 1
		.amdhsa_float_round_mode_32 0
		.amdhsa_float_round_mode_16_64 0
		.amdhsa_float_denorm_mode_32 3
		.amdhsa_float_denorm_mode_16_64 3
		.amdhsa_fp16_overflow 0
		.amdhsa_memory_ordered 1
		.amdhsa_forward_progress 1
		.amdhsa_inst_pref_size 255
		.amdhsa_round_robin_scheduling 0
		.amdhsa_exception_fp_ieee_invalid_op 0
		.amdhsa_exception_fp_denorm_src 0
		.amdhsa_exception_fp_ieee_div_zero 0
		.amdhsa_exception_fp_ieee_overflow 0
		.amdhsa_exception_fp_ieee_underflow 0
		.amdhsa_exception_fp_ieee_inexact 0
		.amdhsa_exception_int_div_zero 0
	.end_amdhsa_kernel
	.section	.text._ZN2at6native12_GLOBAL__N_125multi_tensor_apply_kernelINS1_18TensorListMetadataILi1EEENS1_14UnaryOpFunctorIN3c107complexIfEELi1ELi1ELi0EEEJNS0_4AtanIS8_EEEEEvT_T0_DpT1_,"axG",@progbits,_ZN2at6native12_GLOBAL__N_125multi_tensor_apply_kernelINS1_18TensorListMetadataILi1EEENS1_14UnaryOpFunctorIN3c107complexIfEELi1ELi1ELi0EEEJNS0_4AtanIS8_EEEEEvT_T0_DpT1_,comdat
.Lfunc_end74:
	.size	_ZN2at6native12_GLOBAL__N_125multi_tensor_apply_kernelINS1_18TensorListMetadataILi1EEENS1_14UnaryOpFunctorIN3c107complexIfEELi1ELi1ELi0EEEJNS0_4AtanIS8_EEEEEvT_T0_DpT1_, .Lfunc_end74-_ZN2at6native12_GLOBAL__N_125multi_tensor_apply_kernelINS1_18TensorListMetadataILi1EEENS1_14UnaryOpFunctorIN3c107complexIfEELi1ELi1ELi0EEEJNS0_4AtanIS8_EEEEEvT_T0_DpT1_
                                        ; -- End function
	.set _ZN2at6native12_GLOBAL__N_125multi_tensor_apply_kernelINS1_18TensorListMetadataILi1EEENS1_14UnaryOpFunctorIN3c107complexIfEELi1ELi1ELi0EEEJNS0_4AtanIS8_EEEEEvT_T0_DpT1_.num_vgpr, 60
	.set _ZN2at6native12_GLOBAL__N_125multi_tensor_apply_kernelINS1_18TensorListMetadataILi1EEENS1_14UnaryOpFunctorIN3c107complexIfEELi1ELi1ELi0EEEJNS0_4AtanIS8_EEEEEvT_T0_DpT1_.num_agpr, 0
	.set _ZN2at6native12_GLOBAL__N_125multi_tensor_apply_kernelINS1_18TensorListMetadataILi1EEENS1_14UnaryOpFunctorIN3c107complexIfEELi1ELi1ELi0EEEJNS0_4AtanIS8_EEEEEvT_T0_DpT1_.numbered_sgpr, 31
	.set _ZN2at6native12_GLOBAL__N_125multi_tensor_apply_kernelINS1_18TensorListMetadataILi1EEENS1_14UnaryOpFunctorIN3c107complexIfEELi1ELi1ELi0EEEJNS0_4AtanIS8_EEEEEvT_T0_DpT1_.num_named_barrier, 0
	.set _ZN2at6native12_GLOBAL__N_125multi_tensor_apply_kernelINS1_18TensorListMetadataILi1EEENS1_14UnaryOpFunctorIN3c107complexIfEELi1ELi1ELi0EEEJNS0_4AtanIS8_EEEEEvT_T0_DpT1_.private_seg_size, 16
	.set _ZN2at6native12_GLOBAL__N_125multi_tensor_apply_kernelINS1_18TensorListMetadataILi1EEENS1_14UnaryOpFunctorIN3c107complexIfEELi1ELi1ELi0EEEJNS0_4AtanIS8_EEEEEvT_T0_DpT1_.uses_vcc, 1
	.set _ZN2at6native12_GLOBAL__N_125multi_tensor_apply_kernelINS1_18TensorListMetadataILi1EEENS1_14UnaryOpFunctorIN3c107complexIfEELi1ELi1ELi0EEEJNS0_4AtanIS8_EEEEEvT_T0_DpT1_.uses_flat_scratch, 0
	.set _ZN2at6native12_GLOBAL__N_125multi_tensor_apply_kernelINS1_18TensorListMetadataILi1EEENS1_14UnaryOpFunctorIN3c107complexIfEELi1ELi1ELi0EEEJNS0_4AtanIS8_EEEEEvT_T0_DpT1_.has_dyn_sized_stack, 0
	.set _ZN2at6native12_GLOBAL__N_125multi_tensor_apply_kernelINS1_18TensorListMetadataILi1EEENS1_14UnaryOpFunctorIN3c107complexIfEELi1ELi1ELi0EEEJNS0_4AtanIS8_EEEEEvT_T0_DpT1_.has_recursion, 0
	.set _ZN2at6native12_GLOBAL__N_125multi_tensor_apply_kernelINS1_18TensorListMetadataILi1EEENS1_14UnaryOpFunctorIN3c107complexIfEELi1ELi1ELi0EEEJNS0_4AtanIS8_EEEEEvT_T0_DpT1_.has_indirect_call, 0
	.section	.AMDGPU.csdata,"",@progbits
; Kernel info:
; codeLenInByte = 36952
; TotalNumSgprs: 33
; NumVgprs: 60
; ScratchSize: 16
; MemoryBound: 0
; FloatMode: 240
; IeeeMode: 1
; LDSByteSize: 0 bytes/workgroup (compile time only)
; SGPRBlocks: 0
; VGPRBlocks: 3
; NumSGPRsForWavesPerEU: 33
; NumVGPRsForWavesPerEU: 60
; NamedBarCnt: 0
; Occupancy: 16
; WaveLimiterHint : 0
; COMPUTE_PGM_RSRC2:SCRATCH_EN: 1
; COMPUTE_PGM_RSRC2:USER_SGPR: 2
; COMPUTE_PGM_RSRC2:TRAP_HANDLER: 0
; COMPUTE_PGM_RSRC2:TGID_X_EN: 1
; COMPUTE_PGM_RSRC2:TGID_Y_EN: 0
; COMPUTE_PGM_RSRC2:TGID_Z_EN: 0
; COMPUTE_PGM_RSRC2:TIDIG_COMP_CNT: 0
	.section	.text._ZN2at6native12_GLOBAL__N_125multi_tensor_apply_kernelINS1_18TensorListMetadataILi1EEENS1_14UnaryOpFunctorIN3c104HalfELi1ELi1ELi0EEEJNS0_4AtanIfEEEEEvT_T0_DpT1_,"axG",@progbits,_ZN2at6native12_GLOBAL__N_125multi_tensor_apply_kernelINS1_18TensorListMetadataILi1EEENS1_14UnaryOpFunctorIN3c104HalfELi1ELi1ELi0EEEJNS0_4AtanIfEEEEEvT_T0_DpT1_,comdat
	.globl	_ZN2at6native12_GLOBAL__N_125multi_tensor_apply_kernelINS1_18TensorListMetadataILi1EEENS1_14UnaryOpFunctorIN3c104HalfELi1ELi1ELi0EEEJNS0_4AtanIfEEEEEvT_T0_DpT1_ ; -- Begin function _ZN2at6native12_GLOBAL__N_125multi_tensor_apply_kernelINS1_18TensorListMetadataILi1EEENS1_14UnaryOpFunctorIN3c104HalfELi1ELi1ELi0EEEJNS0_4AtanIfEEEEEvT_T0_DpT1_
	.p2align	8
	.type	_ZN2at6native12_GLOBAL__N_125multi_tensor_apply_kernelINS1_18TensorListMetadataILi1EEENS1_14UnaryOpFunctorIN3c104HalfELi1ELi1ELi0EEEJNS0_4AtanIfEEEEEvT_T0_DpT1_,@function
_ZN2at6native12_GLOBAL__N_125multi_tensor_apply_kernelINS1_18TensorListMetadataILi1EEENS1_14UnaryOpFunctorIN3c104HalfELi1ELi1ELi0EEEJNS0_4AtanIfEEEEEvT_T0_DpT1_: ; @_ZN2at6native12_GLOBAL__N_125multi_tensor_apply_kernelINS1_18TensorListMetadataILi1EEENS1_14UnaryOpFunctorIN3c104HalfELi1ELi1ELi0EEEJNS0_4AtanIfEEEEEvT_T0_DpT1_
; %bb.0:
	s_bfe_u32 s2, ttmp6, 0x4000c
	s_and_b32 s3, ttmp6, 15
	s_add_co_i32 s2, s2, 1
	s_getreg_b32 s4, hwreg(HW_REG_IB_STS2, 6, 4)
	s_mul_i32 s2, ttmp9, s2
	s_delay_alu instid0(SALU_CYCLE_1)
	s_add_co_i32 s3, s3, s2
	s_cmp_eq_u32 s4, 0
	s_cselect_b32 s2, ttmp9, s3
	s_mov_b32 s3, 0
	s_load_u8 s8, s[0:1], s2 offset:0x6e0
	s_add_nc_u64 s[4:5], s[0:1], s[2:3]
	s_mul_u64 s[6:7], s[2:3], 3
	s_delay_alu instid0(SALU_CYCLE_1)
	s_add_nc_u64 s[4:5], s[4:5], s[6:7]
	s_load_b32 s10, s[4:5], 0x820
	s_wait_kmcnt 0x0
	s_clause 0x1
	s_load_b64 s[6:7], s[0:1], s8 offset:0x0 scale_offset
	s_load_b64 s[12:13], s[0:1], s8 offset:0x370 scale_offset
	s_ashr_i32 s11, s10, 31
	s_wait_kmcnt 0x0
	s_and_b64 s[4:5], s[6:7], 7
	s_and_b32 s2, s12, 3
	s_lshl_b64 s[8:9], s[10:11], 17
	s_or_b64 s[2:3], s[4:5], s[2:3]
	s_lshl_b64 s[4:5], s[10:11], 16
	s_cmp_eq_u64 s[2:3], 0
	s_sub_nc_u64 s[10:11], s[12:13], s[4:5]
	s_cbranch_scc1 .LBB75_21
; %bb.1:
	v_cmp_lt_i64_e64 s2, s[10:11], 1
	s_and_b32 vcc_lo, exec_lo, s2
	s_cbranch_vccnz .LBB75_20
; %bb.2:
	s_load_b32 s2, s[0:1], 0xd3c
	v_min_i64 v[2:3], 0x10000, s[10:11]
	v_min_u64 v[4:5], 0x10000, s[10:11]
	v_dual_mov_b32 v1, 0 :: v_dual_lshlrev_b32 v8, 1, v0
	s_mov_b32 s3, 0
	s_add_nc_u64 s[4:5], s[6:7], s[8:9]
	s_mov_b32 s15, s3
	s_delay_alu instid0(VALU_DEP_1)
	v_mov_b32_e32 v15, v1
	s_mov_b32 s17, s3
	s_mov_b32 s13, s3
	s_mov_b64 s[18:19], 0
	s_wait_kmcnt 0x0
	s_and_b32 s2, s2, 0xffff
	s_delay_alu instid0(SALU_CYCLE_1)
	v_add_nc_u64_e32 v[6:7], s[2:3], v[0:1]
	v_mov_b32_e32 v9, v1
	s_lshl_b32 s14, s2, 1
	s_mul_i32 s16, s2, 3
	v_add_nc_u64_e32 v[12:13], s[14:15], v[0:1]
	v_add_nc_u64_e32 v[10:11], s[16:17], v[0:1]
	s_lshl_b32 s12, s2, 2
	v_lshlrev_b32_e32 v14, 1, v6
	v_add_nc_u64_e32 v[8:9], s[4:5], v[8:9]
	s_lshl_b32 s14, s2, 3
	s_mul_u64 s[16:17], s[2:3], 6
	s_delay_alu instid0(VALU_DEP_2)
	v_add_nc_u64_e32 v[14:15], s[4:5], v[14:15]
	s_mov_b32 s5, 0x3b2d2a58
	s_branch .LBB75_4
.LBB75_3:                               ;   in Loop: Header=BB75_4 Depth=1
	s_wait_xcnt 0x0
	s_or_b32 exec_lo, exec_lo, s2
	s_add_nc_u64 s[18:19], s[18:19], s[12:13]
	v_add_nc_u64_e32 v[8:9], s[14:15], v[8:9]
	v_cmp_lt_i64_e32 vcc_lo, s[18:19], v[2:3]
	v_add_nc_u64_e32 v[14:15], s[14:15], v[14:15]
	s_cbranch_vccz .LBB75_20
.LBB75_4:                               ; =>This Inner Loop Header: Depth=1
	v_add_nc_u64_e32 v[16:17], s[18:19], v[0:1]
	v_mov_b32_e32 v23, 0
	s_delay_alu instid0(VALU_DEP_2)
	v_cmp_lt_u64_e64 s4, v[16:17], v[4:5]
	s_and_saveexec_b32 s2, s4
	s_cbranch_execz .LBB75_6
; %bb.5:                                ;   in Loop: Header=BB75_4 Depth=1
	global_load_u16 v16, v[8:9], off
	s_wait_loadcnt 0x0
	v_cvt_f32_f16_e32 v23, v16
.LBB75_6:                               ;   in Loop: Header=BB75_4 Depth=1
	s_wait_xcnt 0x0
	s_or_b32 exec_lo, exec_lo, s2
	v_add_nc_u64_e32 v[16:17], s[18:19], v[6:7]
	v_dual_mov_b32 v20, 0 :: v_dual_mov_b32 v22, 0
	s_delay_alu instid0(VALU_DEP_2)
	v_cmp_lt_u64_e64 s3, v[16:17], v[4:5]
	s_and_saveexec_b32 s2, s3
	s_cbranch_execz .LBB75_8
; %bb.7:                                ;   in Loop: Header=BB75_4 Depth=1
	global_load_u16 v16, v[14:15], off
	s_wait_loadcnt 0x0
	v_cvt_f32_f16_e32 v22, v16
.LBB75_8:                               ;   in Loop: Header=BB75_4 Depth=1
	s_wait_xcnt 0x0
	s_or_b32 exec_lo, exec_lo, s2
	v_add_nc_u64_e32 v[16:17], s[18:19], v[12:13]
	v_add_nc_u64_e32 v[18:19], s[12:13], v[8:9]
	s_delay_alu instid0(VALU_DEP_2)
	v_cmp_lt_u64_e64 s2, v[16:17], v[4:5]
	s_and_saveexec_b32 s20, s2
	s_cbranch_execz .LBB75_10
; %bb.9:                                ;   in Loop: Header=BB75_4 Depth=1
	global_load_u16 v16, v[18:19], off
	s_wait_loadcnt 0x0
	v_cvt_f32_f16_e32 v20, v16
.LBB75_10:                              ;   in Loop: Header=BB75_4 Depth=1
	s_wait_xcnt 0x0
	s_or_b32 exec_lo, exec_lo, s20
	v_add_nc_u64_e32 v[16:17], s[18:19], v[10:11]
	v_mov_b32_e32 v21, 0
	s_delay_alu instid0(VALU_DEP_2)
	v_cmp_lt_u64_e32 vcc_lo, v[16:17], v[4:5]
	v_add_nc_u64_e32 v[16:17], s[16:17], v[8:9]
	s_and_saveexec_b32 s20, vcc_lo
	s_cbranch_execnz .LBB75_15
; %bb.11:                               ;   in Loop: Header=BB75_4 Depth=1
	s_or_b32 exec_lo, exec_lo, s20
	s_and_saveexec_b32 s20, s4
	s_cbranch_execnz .LBB75_16
.LBB75_12:                              ;   in Loop: Header=BB75_4 Depth=1
	s_or_b32 exec_lo, exec_lo, s20
	s_and_saveexec_b32 s4, s3
	s_cbranch_execnz .LBB75_17
.LBB75_13:                              ;   in Loop: Header=BB75_4 Depth=1
	s_or_b32 exec_lo, exec_lo, s4
	s_and_saveexec_b32 s3, s2
	s_cbranch_execnz .LBB75_18
.LBB75_14:                              ;   in Loop: Header=BB75_4 Depth=1
	s_or_b32 exec_lo, exec_lo, s3
	s_and_saveexec_b32 s2, vcc_lo
	s_cbranch_execz .LBB75_3
	s_branch .LBB75_19
.LBB75_15:                              ;   in Loop: Header=BB75_4 Depth=1
	global_load_u16 v21, v[16:17], off
	s_wait_loadcnt 0x0
	v_cvt_f32_f16_e32 v21, v21
	s_wait_xcnt 0x0
	s_or_b32 exec_lo, exec_lo, s20
	s_and_saveexec_b32 s20, s4
	s_cbranch_execz .LBB75_12
.LBB75_16:                              ;   in Loop: Header=BB75_4 Depth=1
	v_rcp_f32_e64 v24, |v23|
	v_cmp_gt_f32_e64 s4, |v23|, 1.0
	s_delay_alu instid0(TRANS32_DEP_1) | instid1(VALU_DEP_1)
	v_cndmask_b32_e64 v24, |v23|, v24, s4
	s_delay_alu instid0(VALU_DEP_1) | instskip(NEXT) | instid1(VALU_DEP_1)
	v_dual_lshrrev_b32 v23, 16, v23 :: v_dual_mul_f32 v25, v24, v24
	v_fmaak_f32 v26, s5, v25, 0xbc7a590c
	s_delay_alu instid0(VALU_DEP_1) | instskip(NEXT) | instid1(VALU_DEP_1)
	v_fmaak_f32 v26, v25, v26, 0x3d29fb3f
	v_fmaak_f32 v26, v25, v26, 0xbd97d4d7
	s_delay_alu instid0(VALU_DEP_1) | instskip(NEXT) | instid1(VALU_DEP_1)
	v_fmaak_f32 v26, v25, v26, 0x3dd931b2
	;; [unrolled: 3-line block ×3, first 2 shown]
	v_fmaak_f32 v26, v25, v26, 0xbeaaaa62
	s_delay_alu instid0(VALU_DEP_1) | instskip(NEXT) | instid1(VALU_DEP_1)
	v_mul_f32_e32 v25, v25, v26
	v_fmac_f32_e32 v24, v24, v25
	s_delay_alu instid0(VALU_DEP_1) | instskip(NEXT) | instid1(VALU_DEP_1)
	v_sub_f32_e32 v25, 0x3fc90fdb, v24
	v_cndmask_b32_e64 v24, v24, v25, s4
	s_delay_alu instid0(VALU_DEP_1) | instskip(NEXT) | instid1(VALU_DEP_1)
	v_cvt_f16_f32_e32 v24, v24
	v_bfi_b32 v23, 0x7fff, v24, v23
	global_store_b16 v[8:9], v23, off
	s_wait_xcnt 0x0
	s_or_b32 exec_lo, exec_lo, s20
	s_and_saveexec_b32 s4, s3
	s_cbranch_execz .LBB75_13
.LBB75_17:                              ;   in Loop: Header=BB75_4 Depth=1
	v_rcp_f32_e64 v23, |v22|
	v_cmp_gt_f32_e64 s3, |v22|, 1.0
	s_delay_alu instid0(TRANS32_DEP_1) | instid1(VALU_DEP_1)
	v_cndmask_b32_e64 v23, |v22|, v23, s3
	s_delay_alu instid0(VALU_DEP_1) | instskip(NEXT) | instid1(VALU_DEP_1)
	v_dual_lshrrev_b32 v22, 16, v22 :: v_dual_mul_f32 v24, v23, v23
	v_fmaak_f32 v25, s5, v24, 0xbc7a590c
	s_delay_alu instid0(VALU_DEP_1) | instskip(NEXT) | instid1(VALU_DEP_1)
	v_fmaak_f32 v25, v24, v25, 0x3d29fb3f
	v_fmaak_f32 v25, v24, v25, 0xbd97d4d7
	s_delay_alu instid0(VALU_DEP_1) | instskip(NEXT) | instid1(VALU_DEP_1)
	v_fmaak_f32 v25, v24, v25, 0x3dd931b2
	;; [unrolled: 3-line block ×3, first 2 shown]
	v_fmaak_f32 v25, v24, v25, 0xbeaaaa62
	s_delay_alu instid0(VALU_DEP_1) | instskip(NEXT) | instid1(VALU_DEP_1)
	v_mul_f32_e32 v24, v24, v25
	v_fmac_f32_e32 v23, v23, v24
	s_delay_alu instid0(VALU_DEP_1) | instskip(NEXT) | instid1(VALU_DEP_1)
	v_sub_f32_e32 v24, 0x3fc90fdb, v23
	v_cndmask_b32_e64 v23, v23, v24, s3
	s_delay_alu instid0(VALU_DEP_1) | instskip(NEXT) | instid1(VALU_DEP_1)
	v_cvt_f16_f32_e32 v23, v23
	v_bfi_b32 v22, 0x7fff, v23, v22
	global_store_b16 v[14:15], v22, off
	s_wait_xcnt 0x0
	s_or_b32 exec_lo, exec_lo, s4
	s_and_saveexec_b32 s3, s2
	s_cbranch_execz .LBB75_14
.LBB75_18:                              ;   in Loop: Header=BB75_4 Depth=1
	v_rcp_f32_e64 v22, |v20|
	v_cmp_gt_f32_e64 s2, |v20|, 1.0
	s_delay_alu instid0(TRANS32_DEP_1) | instid1(VALU_DEP_1)
	v_cndmask_b32_e64 v22, |v20|, v22, s2
	s_delay_alu instid0(VALU_DEP_1) | instskip(NEXT) | instid1(VALU_DEP_1)
	v_dual_mul_f32 v23, v22, v22 :: v_dual_lshrrev_b32 v20, 16, v20
	v_fmaak_f32 v24, s5, v23, 0xbc7a590c
	s_delay_alu instid0(VALU_DEP_1) | instskip(NEXT) | instid1(VALU_DEP_1)
	v_fmaak_f32 v24, v23, v24, 0x3d29fb3f
	v_fmaak_f32 v24, v23, v24, 0xbd97d4d7
	s_delay_alu instid0(VALU_DEP_1) | instskip(NEXT) | instid1(VALU_DEP_1)
	v_fmaak_f32 v24, v23, v24, 0x3dd931b2
	;; [unrolled: 3-line block ×3, first 2 shown]
	v_fmaak_f32 v24, v23, v24, 0xbeaaaa62
	s_delay_alu instid0(VALU_DEP_1) | instskip(NEXT) | instid1(VALU_DEP_1)
	v_mul_f32_e32 v23, v23, v24
	v_fmac_f32_e32 v22, v22, v23
	s_delay_alu instid0(VALU_DEP_1) | instskip(NEXT) | instid1(VALU_DEP_1)
	v_sub_f32_e32 v23, 0x3fc90fdb, v22
	v_cndmask_b32_e64 v22, v22, v23, s2
	s_delay_alu instid0(VALU_DEP_1) | instskip(NEXT) | instid1(VALU_DEP_1)
	v_cvt_f16_f32_e32 v22, v22
	v_bfi_b32 v20, 0x7fff, v22, v20
	global_store_b16 v[18:19], v20, off
	s_wait_xcnt 0x0
	s_or_b32 exec_lo, exec_lo, s3
	s_and_saveexec_b32 s2, vcc_lo
	s_cbranch_execz .LBB75_3
.LBB75_19:                              ;   in Loop: Header=BB75_4 Depth=1
	v_rcp_f32_e64 v18, |v21|
	v_cmp_gt_f32_e64 vcc_lo, |v21|, 1.0
	s_delay_alu instid0(TRANS32_DEP_1) | instid1(VALU_DEP_1)
	v_cndmask_b32_e64 v18, |v21|, v18, vcc_lo
	s_delay_alu instid0(VALU_DEP_1) | instskip(NEXT) | instid1(VALU_DEP_1)
	v_mul_f32_e32 v19, v18, v18
	v_fmaak_f32 v20, s5, v19, 0xbc7a590c
	s_delay_alu instid0(VALU_DEP_1) | instskip(NEXT) | instid1(VALU_DEP_1)
	v_fmaak_f32 v20, v19, v20, 0x3d29fb3f
	v_fmaak_f32 v20, v19, v20, 0xbd97d4d7
	s_delay_alu instid0(VALU_DEP_1) | instskip(NEXT) | instid1(VALU_DEP_1)
	v_fmaak_f32 v20, v19, v20, 0x3dd931b2
	;; [unrolled: 3-line block ×3, first 2 shown]
	v_fmaak_f32 v20, v19, v20, 0xbeaaaa62
	s_delay_alu instid0(VALU_DEP_1) | instskip(NEXT) | instid1(VALU_DEP_1)
	v_mul_f32_e32 v19, v19, v20
	v_fmac_f32_e32 v18, v18, v19
	s_delay_alu instid0(VALU_DEP_1) | instskip(NEXT) | instid1(VALU_DEP_1)
	v_sub_f32_e32 v19, 0x3fc90fdb, v18
	v_dual_cndmask_b32 v18, v18, v19 :: v_dual_lshrrev_b32 v19, 16, v21
	s_delay_alu instid0(VALU_DEP_1) | instskip(NEXT) | instid1(VALU_DEP_1)
	v_cvt_f16_f32_e32 v18, v18
	v_bfi_b32 v18, 0x7fff, v18, v19
	global_store_b16 v[16:17], v18, off
	s_branch .LBB75_3
.LBB75_20:
	s_cbranch_execz .LBB75_22
	s_branch .LBB75_25
.LBB75_21:
.LBB75_22:
	v_min_i64 v[2:3], 0x10000, s[10:11]
	v_dual_mov_b32 v5, 0 :: v_dual_lshlrev_b32 v4, 2, v0
	s_mov_b32 s2, exec_lo
	s_delay_alu instid0(VALU_DEP_1)
	v_cmpx_lt_i64_e64 v[4:5], v[2:3]
	s_cbranch_execz .LBB75_25
; %bb.23:
	s_load_b32 s2, s[0:1], 0xd3c
	v_dual_mov_b32 v1, v5 :: v_dual_lshlrev_b32 v4, 3, v0
	s_wait_xcnt 0x0
	s_add_nc_u64 s[0:1], s[6:7], s[8:9]
	s_mov_b32 s5, 0
	s_mov_b32 s6, 0xbc7a590c
	;; [unrolled: 1-line block ×3, first 2 shown]
	v_add_nc_u64_e32 v[4:5], s[0:1], v[4:5]
	s_mov_b32 s10, 0x3d29fb3f
	s_mov_b32 s12, 0xbd97d4d7
	;; [unrolled: 1-line block ×8, first 2 shown]
	s_wait_kmcnt 0x0
	s_and_b32 s4, s2, 0xffff
	s_delay_alu instid0(SALU_CYCLE_1)
	s_lshl_b32 s22, s4, 3
.LBB75_24:                              ; =>This Inner Loop Header: Depth=1
	global_load_b64 v[6:7], v[4:5], off
	v_add_nc_u64_e32 v[0:1], s[4:5], v[0:1]
	s_wait_loadcnt 0x0
	v_dual_lshrrev_b32 v20, 16, v7 :: v_dual_lshrrev_b32 v21, 16, v6
	v_cvt_f32_f16_e32 v8, v7
	v_cvt_f32_f16_e32 v9, v6
	v_dual_lshlrev_b32 v6, 16, v6 :: v_dual_lshlrev_b32 v7, 16, v7
	s_delay_alu instid0(VALU_DEP_4)
	v_cvt_f32_f16_e32 v12, v20
	v_cvt_f32_f16_e32 v11, v21
	v_rcp_f32_e64 v10, |v8|
	v_rcp_f32_e64 v13, |v9|
	v_cmp_gt_f32_e64 vcc_lo, |v8|, 1.0
	v_rcp_f32_e64 v15, |v12|
	v_rcp_f32_e64 v14, |v11|
	v_cmp_gt_f32_e64 s0, |v9|, 1.0
	v_cmp_gt_f32_e64 s1, |v11|, 1.0
	;; [unrolled: 1-line block ×3, first 2 shown]
	v_cndmask_b32_e64 v8, |v8|, v10, vcc_lo
	s_delay_alu instid0(VALU_DEP_4)
	v_cndmask_b32_e64 v10, |v9|, v13, s0
	s_delay_alu instid0(TRANS32_DEP_1) | instid1(VALU_DEP_4)
	v_cndmask_b32_e64 v11, |v11|, v14, s1
	s_delay_alu instid0(VALU_DEP_4) | instskip(NEXT) | instid1(VALU_DEP_2)
	v_cndmask_b32_e64 v9, |v12|, v15, s2
	v_pk_mul_f32 v[12:13], v[10:11], v[10:11]
	s_delay_alu instid0(VALU_DEP_2) | instskip(NEXT) | instid1(VALU_DEP_2)
	v_pk_mul_f32 v[14:15], v[8:9], v[8:9]
	v_pk_fma_f32 v[16:17], v[12:13], s[8:9], s[6:7] op_sel_hi:[1,0,0]
	s_delay_alu instid0(VALU_DEP_2) | instskip(NEXT) | instid1(VALU_DEP_2)
	v_pk_fma_f32 v[18:19], v[14:15], s[8:9], s[6:7] op_sel_hi:[1,0,0]
	v_pk_fma_f32 v[16:17], v[12:13], v[16:17], s[10:11] op_sel_hi:[1,1,0]
	s_delay_alu instid0(VALU_DEP_2) | instskip(NEXT) | instid1(VALU_DEP_2)
	v_pk_fma_f32 v[18:19], v[14:15], v[18:19], s[10:11] op_sel_hi:[1,1,0]
	;; [unrolled: 3-line block ×7, first 2 shown]
	v_pk_mul_f32 v[12:13], v[12:13], v[16:17]
	s_delay_alu instid0(VALU_DEP_2) | instskip(SKIP_1) | instid1(VALU_DEP_3)
	v_pk_mul_f32 v[14:15], v[14:15], v[18:19]
	v_lshlrev_b32_e32 v17, 16, v20
	v_pk_fma_f32 v[10:11], v[10:11], v[12:13], v[10:11]
	s_delay_alu instid0(VALU_DEP_3) | instskip(NEXT) | instid1(VALU_DEP_2)
	v_pk_fma_f32 v[8:9], v[8:9], v[14:15], v[8:9]
	v_dual_sub_f32 v13, 0x3fc90fdb, v11 :: v_dual_lshlrev_b32 v12, 16, v21
	s_delay_alu instid0(VALU_DEP_2) | instskip(NEXT) | instid1(VALU_DEP_4)
	v_dual_sub_f32 v14, 0x3fc90fdb, v9 :: v_dual_sub_f32 v15, 0x3fc90fdb, v8
	v_sub_f32_e32 v16, 0x3fc90fdb, v10
	s_delay_alu instid0(VALU_DEP_2) | instskip(NEXT) | instid1(VALU_DEP_2)
	v_dual_cndmask_b32 v11, v11, v13, s1 :: v_dual_cndmask_b32 v9, v9, v14, s2
	v_dual_cndmask_b32 v8, v8, v15, vcc_lo :: v_dual_cndmask_b32 v10, v10, v16, s0
	s_delay_alu instid0(VALU_DEP_2) | instskip(NEXT) | instid1(VALU_DEP_3)
	v_bfi_b32 v11, 0x7fffffff, v11, v12
	v_bfi_b32 v9, 0x7fffffff, v9, v17
	s_delay_alu instid0(VALU_DEP_3) | instskip(NEXT) | instid1(VALU_DEP_4)
	v_bfi_b32 v8, 0x7fffffff, v8, v7
	v_bfi_b32 v10, 0x7fffffff, v10, v6
	v_lshlrev_b64_e32 v[6:7], 2, v[0:1]
	s_delay_alu instid0(VALU_DEP_3) | instskip(NEXT) | instid1(VALU_DEP_3)
	v_cvt_pk_f16_f32 v9, v8, v9
	v_cvt_pk_f16_f32 v8, v10, v11
	s_delay_alu instid0(VALU_DEP_3) | instskip(SKIP_4) | instid1(SALU_CYCLE_1)
	v_cmp_ge_i64_e32 vcc_lo, v[6:7], v[2:3]
	global_store_b64 v[4:5], v[8:9], off
	s_wait_xcnt 0x0
	v_add_nc_u64_e32 v[4:5], s[22:23], v[4:5]
	s_or_b32 s3, vcc_lo, s3
	s_and_not1_b32 exec_lo, exec_lo, s3
	s_cbranch_execnz .LBB75_24
.LBB75_25:
	s_endpgm
	.section	.rodata,"a",@progbits
	.p2align	6, 0x0
	.amdhsa_kernel _ZN2at6native12_GLOBAL__N_125multi_tensor_apply_kernelINS1_18TensorListMetadataILi1EEENS1_14UnaryOpFunctorIN3c104HalfELi1ELi1ELi0EEEJNS0_4AtanIfEEEEEvT_T0_DpT1_
		.amdhsa_group_segment_fixed_size 0
		.amdhsa_private_segment_fixed_size 0
		.amdhsa_kernarg_size 3632
		.amdhsa_user_sgpr_count 2
		.amdhsa_user_sgpr_dispatch_ptr 0
		.amdhsa_user_sgpr_queue_ptr 0
		.amdhsa_user_sgpr_kernarg_segment_ptr 1
		.amdhsa_user_sgpr_dispatch_id 0
		.amdhsa_user_sgpr_kernarg_preload_length 0
		.amdhsa_user_sgpr_kernarg_preload_offset 0
		.amdhsa_user_sgpr_private_segment_size 0
		.amdhsa_wavefront_size32 1
		.amdhsa_uses_dynamic_stack 0
		.amdhsa_enable_private_segment 0
		.amdhsa_system_sgpr_workgroup_id_x 1
		.amdhsa_system_sgpr_workgroup_id_y 0
		.amdhsa_system_sgpr_workgroup_id_z 0
		.amdhsa_system_sgpr_workgroup_info 0
		.amdhsa_system_vgpr_workitem_id 0
		.amdhsa_next_free_vgpr 27
		.amdhsa_next_free_sgpr 24
		.amdhsa_named_barrier_count 0
		.amdhsa_reserve_vcc 1
		.amdhsa_float_round_mode_32 0
		.amdhsa_float_round_mode_16_64 0
		.amdhsa_float_denorm_mode_32 3
		.amdhsa_float_denorm_mode_16_64 3
		.amdhsa_fp16_overflow 0
		.amdhsa_memory_ordered 1
		.amdhsa_forward_progress 1
		.amdhsa_inst_pref_size 17
		.amdhsa_round_robin_scheduling 0
		.amdhsa_exception_fp_ieee_invalid_op 0
		.amdhsa_exception_fp_denorm_src 0
		.amdhsa_exception_fp_ieee_div_zero 0
		.amdhsa_exception_fp_ieee_overflow 0
		.amdhsa_exception_fp_ieee_underflow 0
		.amdhsa_exception_fp_ieee_inexact 0
		.amdhsa_exception_int_div_zero 0
	.end_amdhsa_kernel
	.section	.text._ZN2at6native12_GLOBAL__N_125multi_tensor_apply_kernelINS1_18TensorListMetadataILi1EEENS1_14UnaryOpFunctorIN3c104HalfELi1ELi1ELi0EEEJNS0_4AtanIfEEEEEvT_T0_DpT1_,"axG",@progbits,_ZN2at6native12_GLOBAL__N_125multi_tensor_apply_kernelINS1_18TensorListMetadataILi1EEENS1_14UnaryOpFunctorIN3c104HalfELi1ELi1ELi0EEEJNS0_4AtanIfEEEEEvT_T0_DpT1_,comdat
.Lfunc_end75:
	.size	_ZN2at6native12_GLOBAL__N_125multi_tensor_apply_kernelINS1_18TensorListMetadataILi1EEENS1_14UnaryOpFunctorIN3c104HalfELi1ELi1ELi0EEEJNS0_4AtanIfEEEEEvT_T0_DpT1_, .Lfunc_end75-_ZN2at6native12_GLOBAL__N_125multi_tensor_apply_kernelINS1_18TensorListMetadataILi1EEENS1_14UnaryOpFunctorIN3c104HalfELi1ELi1ELi0EEEJNS0_4AtanIfEEEEEvT_T0_DpT1_
                                        ; -- End function
	.set _ZN2at6native12_GLOBAL__N_125multi_tensor_apply_kernelINS1_18TensorListMetadataILi1EEENS1_14UnaryOpFunctorIN3c104HalfELi1ELi1ELi0EEEJNS0_4AtanIfEEEEEvT_T0_DpT1_.num_vgpr, 27
	.set _ZN2at6native12_GLOBAL__N_125multi_tensor_apply_kernelINS1_18TensorListMetadataILi1EEENS1_14UnaryOpFunctorIN3c104HalfELi1ELi1ELi0EEEJNS0_4AtanIfEEEEEvT_T0_DpT1_.num_agpr, 0
	.set _ZN2at6native12_GLOBAL__N_125multi_tensor_apply_kernelINS1_18TensorListMetadataILi1EEENS1_14UnaryOpFunctorIN3c104HalfELi1ELi1ELi0EEEJNS0_4AtanIfEEEEEvT_T0_DpT1_.numbered_sgpr, 24
	.set _ZN2at6native12_GLOBAL__N_125multi_tensor_apply_kernelINS1_18TensorListMetadataILi1EEENS1_14UnaryOpFunctorIN3c104HalfELi1ELi1ELi0EEEJNS0_4AtanIfEEEEEvT_T0_DpT1_.num_named_barrier, 0
	.set _ZN2at6native12_GLOBAL__N_125multi_tensor_apply_kernelINS1_18TensorListMetadataILi1EEENS1_14UnaryOpFunctorIN3c104HalfELi1ELi1ELi0EEEJNS0_4AtanIfEEEEEvT_T0_DpT1_.private_seg_size, 0
	.set _ZN2at6native12_GLOBAL__N_125multi_tensor_apply_kernelINS1_18TensorListMetadataILi1EEENS1_14UnaryOpFunctorIN3c104HalfELi1ELi1ELi0EEEJNS0_4AtanIfEEEEEvT_T0_DpT1_.uses_vcc, 1
	.set _ZN2at6native12_GLOBAL__N_125multi_tensor_apply_kernelINS1_18TensorListMetadataILi1EEENS1_14UnaryOpFunctorIN3c104HalfELi1ELi1ELi0EEEJNS0_4AtanIfEEEEEvT_T0_DpT1_.uses_flat_scratch, 0
	.set _ZN2at6native12_GLOBAL__N_125multi_tensor_apply_kernelINS1_18TensorListMetadataILi1EEENS1_14UnaryOpFunctorIN3c104HalfELi1ELi1ELi0EEEJNS0_4AtanIfEEEEEvT_T0_DpT1_.has_dyn_sized_stack, 0
	.set _ZN2at6native12_GLOBAL__N_125multi_tensor_apply_kernelINS1_18TensorListMetadataILi1EEENS1_14UnaryOpFunctorIN3c104HalfELi1ELi1ELi0EEEJNS0_4AtanIfEEEEEvT_T0_DpT1_.has_recursion, 0
	.set _ZN2at6native12_GLOBAL__N_125multi_tensor_apply_kernelINS1_18TensorListMetadataILi1EEENS1_14UnaryOpFunctorIN3c104HalfELi1ELi1ELi0EEEJNS0_4AtanIfEEEEEvT_T0_DpT1_.has_indirect_call, 0
	.section	.AMDGPU.csdata,"",@progbits
; Kernel info:
; codeLenInByte = 2108
; TotalNumSgprs: 26
; NumVgprs: 27
; ScratchSize: 0
; MemoryBound: 0
; FloatMode: 240
; IeeeMode: 1
; LDSByteSize: 0 bytes/workgroup (compile time only)
; SGPRBlocks: 0
; VGPRBlocks: 1
; NumSGPRsForWavesPerEU: 26
; NumVGPRsForWavesPerEU: 27
; NamedBarCnt: 0
; Occupancy: 16
; WaveLimiterHint : 0
; COMPUTE_PGM_RSRC2:SCRATCH_EN: 0
; COMPUTE_PGM_RSRC2:USER_SGPR: 2
; COMPUTE_PGM_RSRC2:TRAP_HANDLER: 0
; COMPUTE_PGM_RSRC2:TGID_X_EN: 1
; COMPUTE_PGM_RSRC2:TGID_Y_EN: 0
; COMPUTE_PGM_RSRC2:TGID_Z_EN: 0
; COMPUTE_PGM_RSRC2:TIDIG_COMP_CNT: 0
	.section	.text._ZN2at6native12_GLOBAL__N_125multi_tensor_apply_kernelINS1_18TensorListMetadataILi1EEENS1_14UnaryOpFunctorIN3c108BFloat16ELi1ELi1ELi0EEEJNS0_4AtanIfEEEEEvT_T0_DpT1_,"axG",@progbits,_ZN2at6native12_GLOBAL__N_125multi_tensor_apply_kernelINS1_18TensorListMetadataILi1EEENS1_14UnaryOpFunctorIN3c108BFloat16ELi1ELi1ELi0EEEJNS0_4AtanIfEEEEEvT_T0_DpT1_,comdat
	.globl	_ZN2at6native12_GLOBAL__N_125multi_tensor_apply_kernelINS1_18TensorListMetadataILi1EEENS1_14UnaryOpFunctorIN3c108BFloat16ELi1ELi1ELi0EEEJNS0_4AtanIfEEEEEvT_T0_DpT1_ ; -- Begin function _ZN2at6native12_GLOBAL__N_125multi_tensor_apply_kernelINS1_18TensorListMetadataILi1EEENS1_14UnaryOpFunctorIN3c108BFloat16ELi1ELi1ELi0EEEJNS0_4AtanIfEEEEEvT_T0_DpT1_
	.p2align	8
	.type	_ZN2at6native12_GLOBAL__N_125multi_tensor_apply_kernelINS1_18TensorListMetadataILi1EEENS1_14UnaryOpFunctorIN3c108BFloat16ELi1ELi1ELi0EEEJNS0_4AtanIfEEEEEvT_T0_DpT1_,@function
_ZN2at6native12_GLOBAL__N_125multi_tensor_apply_kernelINS1_18TensorListMetadataILi1EEENS1_14UnaryOpFunctorIN3c108BFloat16ELi1ELi1ELi0EEEJNS0_4AtanIfEEEEEvT_T0_DpT1_: ; @_ZN2at6native12_GLOBAL__N_125multi_tensor_apply_kernelINS1_18TensorListMetadataILi1EEENS1_14UnaryOpFunctorIN3c108BFloat16ELi1ELi1ELi0EEEJNS0_4AtanIfEEEEEvT_T0_DpT1_
; %bb.0:
	s_bfe_u32 s2, ttmp6, 0x4000c
	s_and_b32 s3, ttmp6, 15
	s_add_co_i32 s2, s2, 1
	s_getreg_b32 s4, hwreg(HW_REG_IB_STS2, 6, 4)
	s_mul_i32 s2, ttmp9, s2
	s_delay_alu instid0(SALU_CYCLE_1)
	s_add_co_i32 s3, s3, s2
	s_cmp_eq_u32 s4, 0
	s_cselect_b32 s2, ttmp9, s3
	s_mov_b32 s3, 0
	s_load_u8 s8, s[0:1], s2 offset:0x6e0
	s_add_nc_u64 s[4:5], s[0:1], s[2:3]
	s_mul_u64 s[6:7], s[2:3], 3
	s_delay_alu instid0(SALU_CYCLE_1)
	s_add_nc_u64 s[4:5], s[4:5], s[6:7]
	s_load_b32 s10, s[4:5], 0x820
	s_wait_kmcnt 0x0
	s_clause 0x1
	s_load_b64 s[6:7], s[0:1], s8 offset:0x0 scale_offset
	s_load_b64 s[12:13], s[0:1], s8 offset:0x370 scale_offset
	s_ashr_i32 s11, s10, 31
	s_wait_kmcnt 0x0
	s_and_b64 s[4:5], s[6:7], 7
	s_and_b32 s2, s12, 3
	s_lshl_b64 s[8:9], s[10:11], 17
	s_or_b64 s[2:3], s[4:5], s[2:3]
	s_lshl_b64 s[4:5], s[10:11], 16
	s_cmp_eq_u64 s[2:3], 0
	s_sub_nc_u64 s[10:11], s[12:13], s[4:5]
	s_cbranch_scc1 .LBB76_21
; %bb.1:
	v_cmp_lt_i64_e64 s2, s[10:11], 1
	s_and_b32 vcc_lo, exec_lo, s2
	s_cbranch_vccnz .LBB76_20
; %bb.2:
	s_load_b32 s2, s[0:1], 0xd3c
	v_min_i64 v[2:3], 0x10000, s[10:11]
	v_min_u64 v[4:5], 0x10000, s[10:11]
	v_dual_mov_b32 v1, 0 :: v_dual_lshlrev_b32 v8, 1, v0
	s_mov_b32 s3, 0
	s_add_nc_u64 s[4:5], s[6:7], s[8:9]
	s_mov_b32 s27, s3
	s_delay_alu instid0(VALU_DEP_1) | instskip(SKIP_3) | instid1(VALU_DEP_1)
	v_dual_mov_b32 v9, v1 :: v_dual_mov_b32 v15, v1
	s_mov_b32 s29, s3
	s_mov_b64 s[12:13], 0
	s_mov_b32 s14, 0x3b2d2a58
	v_add_nc_u64_e32 v[8:9], s[4:5], v[8:9]
	s_mov_b32 s16, 0x3fc90fdb
	s_mov_b32 s18, 0xbc7a590c
	s_mov_b32 s21, s3
	s_mov_b32 s23, s3
	s_mov_b32 s30, 0x3dd931b2
	s_mov_b32 s34, 0xbe1160e6
	s_wait_kmcnt 0x0
	s_and_b32 s2, s2, 0xffff
	s_mov_b32 s36, 0x3e4cb8bf
	v_add_nc_u64_e32 v[6:7], s[2:3], v[0:1]
	s_lshl_b32 s26, s2, 1
	s_mul_i32 s28, s2, 3
	v_add_nc_u64_e32 v[12:13], s[26:27], v[0:1]
	v_add_nc_u64_e32 v[10:11], s[28:29], v[0:1]
	s_lshl_b32 s20, s2, 2
	s_lshl_b32 s22, s2, 3
	v_lshlrev_b32_e32 v14, 1, v6
	s_mul_u64 s[24:25], s[2:3], 6
	s_mov_b32 s26, 0x3d29fb3f
	s_mov_b32 s28, 0xbd97d4d7
	s_mov_b32 s38, 0xbeaaaa62
	v_add_nc_u64_e32 v[14:15], s[4:5], v[14:15]
	s_branch .LBB76_4
.LBB76_3:                               ;   in Loop: Header=BB76_4 Depth=1
	s_wait_xcnt 0x0
	s_or_b32 exec_lo, exec_lo, s4
	s_add_nc_u64 s[12:13], s[12:13], s[20:21]
	v_add_nc_u64_e32 v[8:9], s[22:23], v[8:9]
	v_cmp_lt_i64_e32 vcc_lo, s[12:13], v[2:3]
	v_add_nc_u64_e32 v[14:15], s[22:23], v[14:15]
	s_cbranch_vccz .LBB76_20
.LBB76_4:                               ; =>This Inner Loop Header: Depth=1
	v_add_nc_u64_e32 v[16:17], s[12:13], v[0:1]
	v_mov_b32_e32 v23, 0
	s_delay_alu instid0(VALU_DEP_2)
	v_cmp_lt_u64_e64 s4, v[16:17], v[4:5]
	s_and_saveexec_b32 s2, s4
	s_cbranch_execz .LBB76_6
; %bb.5:                                ;   in Loop: Header=BB76_4 Depth=1
	global_load_u16 v16, v[8:9], off
	s_wait_loadcnt 0x0
	v_lshlrev_b32_e32 v23, 16, v16
.LBB76_6:                               ;   in Loop: Header=BB76_4 Depth=1
	s_wait_xcnt 0x0
	s_or_b32 exec_lo, exec_lo, s2
	v_add_nc_u64_e32 v[16:17], s[12:13], v[6:7]
	v_dual_mov_b32 v20, 0 :: v_dual_mov_b32 v21, 0
	s_delay_alu instid0(VALU_DEP_2)
	v_cmp_lt_u64_e64 s3, v[16:17], v[4:5]
	s_and_saveexec_b32 s2, s3
	s_cbranch_execz .LBB76_8
; %bb.7:                                ;   in Loop: Header=BB76_4 Depth=1
	global_load_u16 v16, v[14:15], off
	s_wait_loadcnt 0x0
	v_lshlrev_b32_e32 v21, 16, v16
.LBB76_8:                               ;   in Loop: Header=BB76_4 Depth=1
	s_wait_xcnt 0x0
	s_or_b32 exec_lo, exec_lo, s2
	v_add_nc_u64_e32 v[16:17], s[12:13], v[12:13]
	s_delay_alu instid0(VALU_DEP_1)
	v_cmp_lt_u64_e32 vcc_lo, v[16:17], v[4:5]
	v_add_nc_u64_e32 v[16:17], s[20:21], v[8:9]
	s_and_saveexec_b32 s2, vcc_lo
	s_cbranch_execz .LBB76_10
; %bb.9:                                ;   in Loop: Header=BB76_4 Depth=1
	global_load_u16 v18, v[16:17], off
	s_wait_loadcnt 0x0
	v_lshlrev_b32_e32 v20, 16, v18
.LBB76_10:                              ;   in Loop: Header=BB76_4 Depth=1
	s_wait_xcnt 0x0
	s_or_b32 exec_lo, exec_lo, s2
	v_add_nc_u64_e32 v[18:19], s[12:13], v[10:11]
	v_mov_b32_e32 v22, 0
	s_delay_alu instid0(VALU_DEP_2)
	v_cmp_lt_u64_e64 s2, v[18:19], v[4:5]
	v_add_nc_u64_e32 v[18:19], s[24:25], v[8:9]
	s_and_saveexec_b32 s5, s2
	s_cbranch_execnz .LBB76_18
; %bb.11:                               ;   in Loop: Header=BB76_4 Depth=1
	s_or_b32 exec_lo, exec_lo, s5
	s_and_saveexec_b32 s5, s4
	s_cbranch_execnz .LBB76_19
.LBB76_12:                              ;   in Loop: Header=BB76_4 Depth=1
	s_or_b32 exec_lo, exec_lo, s5
	s_and_saveexec_b32 s4, s3
	s_cbranch_execz .LBB76_14
.LBB76_13:                              ;   in Loop: Header=BB76_4 Depth=1
	v_rcp_f32_e64 v23, |v21|
	v_cmp_gt_f32_e64 s3, |v21|, 1.0
	s_delay_alu instid0(TRANS32_DEP_1) | instid1(VALU_DEP_1)
	v_cndmask_b32_e64 v23, |v21|, v23, s3
	s_delay_alu instid0(VALU_DEP_1) | instskip(NEXT) | instid1(VALU_DEP_1)
	v_mul_f32_e32 v24, v23, v23
	v_fmaak_f32 v25, s14, v24, 0xbc7a590c
	s_delay_alu instid0(VALU_DEP_1) | instskip(NEXT) | instid1(VALU_DEP_1)
	v_fmaak_f32 v25, v24, v25, 0x3d29fb3f
	v_fmaak_f32 v25, v24, v25, 0xbd97d4d7
	s_delay_alu instid0(VALU_DEP_1) | instskip(NEXT) | instid1(VALU_DEP_1)
	v_fmaak_f32 v25, v24, v25, 0x3dd931b2
	;; [unrolled: 3-line block ×3, first 2 shown]
	v_fmaak_f32 v25, v24, v25, 0xbeaaaa62
	s_delay_alu instid0(VALU_DEP_1) | instskip(NEXT) | instid1(VALU_DEP_1)
	v_mul_f32_e32 v24, v24, v25
	v_fmac_f32_e32 v23, v23, v24
	s_delay_alu instid0(VALU_DEP_1) | instskip(NEXT) | instid1(VALU_DEP_1)
	v_sub_f32_e32 v24, 0x3fc90fdb, v23
	v_cndmask_b32_e64 v23, v23, v24, s3
	s_delay_alu instid0(VALU_DEP_1) | instskip(NEXT) | instid1(VALU_DEP_1)
	v_bfi_b32 v21, 0x7fffffff, v23, v21
	v_bfe_u32 v23, v21, 16, 1
	v_cmp_o_f32_e64 s3, v21, v21
	s_delay_alu instid0(VALU_DEP_2) | instskip(NEXT) | instid1(VALU_DEP_1)
	v_add3_u32 v23, v21, v23, 0x7fff
	v_lshrrev_b32_e32 v23, 16, v23
	s_delay_alu instid0(VALU_DEP_1)
	v_cndmask_b32_e64 v21, 0x7fc0, v23, s3
	global_store_b16 v[14:15], v21, off
.LBB76_14:                              ;   in Loop: Header=BB76_4 Depth=1
	s_wait_xcnt 0x0
	s_or_b32 exec_lo, exec_lo, s4
	v_rcp_f32_e64 v21, |v20|
	v_rcp_f32_e64 v23, |v22|
	v_cmp_gt_f32_e64 s3, |v20|, 1.0
	v_cmp_gt_f32_e64 s4, |v22|, 1.0
	s_delay_alu instid0(TRANS32_DEP_2) | instid1(VALU_DEP_2)
	v_cndmask_b32_e64 v25, |v20|, v21, s3
	s_delay_alu instid0(TRANS32_DEP_1) | instid1(VALU_DEP_2)
	v_cndmask_b32_e64 v24, |v22|, v23, s4
	s_delay_alu instid0(VALU_DEP_1) | instskip(NEXT) | instid1(VALU_DEP_1)
	v_pk_mul_f32 v[26:27], v[24:25], v[24:25]
	v_pk_fma_f32 v[28:29], v[26:27], s[14:15], s[18:19] op_sel_hi:[1,0,0]
	s_delay_alu instid0(VALU_DEP_1) | instskip(NEXT) | instid1(VALU_DEP_1)
	v_pk_fma_f32 v[28:29], v[26:27], v[28:29], s[26:27] op_sel_hi:[1,1,0]
	v_pk_fma_f32 v[28:29], v[26:27], v[28:29], s[28:29] op_sel_hi:[1,1,0]
	s_delay_alu instid0(VALU_DEP_1) | instskip(NEXT) | instid1(VALU_DEP_1)
	v_pk_fma_f32 v[28:29], v[26:27], v[28:29], s[30:31] op_sel_hi:[1,1,0]
	;; [unrolled: 3-line block ×3, first 2 shown]
	v_pk_fma_f32 v[28:29], v[26:27], v[28:29], s[38:39] op_sel_hi:[1,1,0]
	s_delay_alu instid0(VALU_DEP_1) | instskip(NEXT) | instid1(VALU_DEP_1)
	v_pk_mul_f32 v[26:27], v[26:27], v[28:29]
	v_pk_fma_f32 v[24:25], v[24:25], v[26:27], v[24:25]
	s_delay_alu instid0(VALU_DEP_1) | instskip(NEXT) | instid1(VALU_DEP_1)
	v_pk_add_f32 v[26:27], v[24:25], s[16:17] op_sel_hi:[1,0] neg_lo:[1,0] neg_hi:[1,0]
	v_dual_cndmask_b32 v21, v25, v27, s3 :: v_dual_cndmask_b32 v23, v24, v26, s4
	s_delay_alu instid0(VALU_DEP_1) | instskip(NEXT) | instid1(VALU_DEP_2)
	v_bfi_b32 v21, 0x7fffffff, v21, v20
	v_bfi_b32 v20, 0x7fffffff, v23, v22
	s_delay_alu instid0(VALU_DEP_2) | instskip(NEXT) | instid1(VALU_DEP_2)
	v_cmp_u_f32_e64 s4, v21, v21
	v_cmp_u_f32_e64 s3, v20, v20
	s_and_saveexec_b32 s5, vcc_lo
	s_cbranch_execz .LBB76_16
; %bb.15:                               ;   in Loop: Header=BB76_4 Depth=1
	v_bfe_u32 v22, v21, 16, 1
	s_delay_alu instid0(VALU_DEP_1) | instskip(NEXT) | instid1(VALU_DEP_1)
	v_add3_u32 v21, v21, v22, 0x7fff
	v_lshrrev_b32_e32 v21, 16, v21
	s_delay_alu instid0(VALU_DEP_1)
	v_cndmask_b32_e64 v21, v21, 0x7fc0, s4
	global_store_b16 v[16:17], v21, off
.LBB76_16:                              ;   in Loop: Header=BB76_4 Depth=1
	s_wait_xcnt 0x0
	s_or_b32 exec_lo, exec_lo, s5
	s_and_saveexec_b32 s4, s2
	s_cbranch_execz .LBB76_3
; %bb.17:                               ;   in Loop: Header=BB76_4 Depth=1
	v_bfe_u32 v16, v20, 16, 1
	s_delay_alu instid0(VALU_DEP_1) | instskip(NEXT) | instid1(VALU_DEP_1)
	v_add3_u32 v16, v20, v16, 0x7fff
	v_lshrrev_b32_e32 v16, 16, v16
	s_delay_alu instid0(VALU_DEP_1)
	v_cndmask_b32_e64 v16, v16, 0x7fc0, s3
	global_store_b16 v[18:19], v16, off
	s_branch .LBB76_3
.LBB76_18:                              ;   in Loop: Header=BB76_4 Depth=1
	global_load_u16 v22, v[18:19], off
	s_wait_loadcnt 0x0
	v_lshlrev_b32_e32 v22, 16, v22
	s_wait_xcnt 0x0
	s_or_b32 exec_lo, exec_lo, s5
	s_and_saveexec_b32 s5, s4
	s_cbranch_execz .LBB76_12
.LBB76_19:                              ;   in Loop: Header=BB76_4 Depth=1
	v_rcp_f32_e64 v24, |v23|
	v_cmp_gt_f32_e64 s4, |v23|, 1.0
	s_delay_alu instid0(TRANS32_DEP_1) | instid1(VALU_DEP_1)
	v_cndmask_b32_e64 v24, |v23|, v24, s4
	s_delay_alu instid0(VALU_DEP_1) | instskip(NEXT) | instid1(VALU_DEP_1)
	v_mul_f32_e32 v25, v24, v24
	v_fmaak_f32 v26, s14, v25, 0xbc7a590c
	s_delay_alu instid0(VALU_DEP_1) | instskip(NEXT) | instid1(VALU_DEP_1)
	v_fmaak_f32 v26, v25, v26, 0x3d29fb3f
	v_fmaak_f32 v26, v25, v26, 0xbd97d4d7
	s_delay_alu instid0(VALU_DEP_1) | instskip(NEXT) | instid1(VALU_DEP_1)
	v_fmaak_f32 v26, v25, v26, 0x3dd931b2
	;; [unrolled: 3-line block ×3, first 2 shown]
	v_fmaak_f32 v26, v25, v26, 0xbeaaaa62
	s_delay_alu instid0(VALU_DEP_1) | instskip(NEXT) | instid1(VALU_DEP_1)
	v_mul_f32_e32 v25, v25, v26
	v_fmac_f32_e32 v24, v24, v25
	s_delay_alu instid0(VALU_DEP_1) | instskip(NEXT) | instid1(VALU_DEP_1)
	v_sub_f32_e32 v25, 0x3fc90fdb, v24
	v_cndmask_b32_e64 v24, v24, v25, s4
	s_delay_alu instid0(VALU_DEP_1) | instskip(NEXT) | instid1(VALU_DEP_1)
	v_bfi_b32 v23, 0x7fffffff, v24, v23
	v_bfe_u32 v24, v23, 16, 1
	v_cmp_o_f32_e64 s4, v23, v23
	s_delay_alu instid0(VALU_DEP_2) | instskip(NEXT) | instid1(VALU_DEP_1)
	v_add3_u32 v24, v23, v24, 0x7fff
	v_lshrrev_b32_e32 v24, 16, v24
	s_delay_alu instid0(VALU_DEP_1)
	v_cndmask_b32_e64 v23, 0x7fc0, v24, s4
	global_store_b16 v[8:9], v23, off
	s_wait_xcnt 0x0
	s_or_b32 exec_lo, exec_lo, s5
	s_and_saveexec_b32 s4, s3
	s_cbranch_execnz .LBB76_13
	s_branch .LBB76_14
.LBB76_20:
	s_cbranch_execz .LBB76_22
	s_branch .LBB76_25
.LBB76_21:
.LBB76_22:
	v_min_i64 v[2:3], 0x10000, s[10:11]
	v_dual_mov_b32 v5, 0 :: v_dual_lshlrev_b32 v4, 2, v0
	s_mov_b32 s2, exec_lo
	s_delay_alu instid0(VALU_DEP_1)
	v_cmpx_lt_i64_e64 v[4:5], v[2:3]
	s_cbranch_execz .LBB76_25
; %bb.23:
	s_load_b32 s2, s[0:1], 0xd3c
	v_dual_mov_b32 v1, v5 :: v_dual_lshlrev_b32 v4, 3, v0
	s_wait_xcnt 0x0
	s_add_nc_u64 s[0:1], s[6:7], s[8:9]
	s_mov_b32 s5, 0
	s_mov_b32 s6, 0xbc7a590c
	;; [unrolled: 1-line block ×3, first 2 shown]
	v_add_nc_u64_e32 v[4:5], s[0:1], v[4:5]
	s_mov_b32 s10, 0x3d29fb3f
	s_mov_b32 s12, 0xbd97d4d7
	;; [unrolled: 1-line block ×8, first 2 shown]
	s_wait_kmcnt 0x0
	s_and_b32 s4, s2, 0xffff
	s_delay_alu instid0(SALU_CYCLE_1)
	s_lshl_b32 s22, s4, 3
.LBB76_24:                              ; =>This Inner Loop Header: Depth=1
	global_load_b64 v[6:7], v[4:5], off
	v_add_nc_u64_e32 v[0:1], s[4:5], v[0:1]
	s_wait_loadcnt 0x0
	v_alignbit_b32 v8, v7, v6, 16
	v_and_b32_e32 v18, 0xffff0000, v6
	v_lshlrev_b32_e32 v19, 16, v6
	v_and_b32_e32 v20, 0xffff0000, v7
	s_delay_alu instid0(VALU_DEP_4) | instskip(NEXT) | instid1(VALU_DEP_4)
	v_and_b32_e32 v21, 0xffff0000, v8
	v_rcp_f32_e64 v6, |v18|
	s_delay_alu instid0(VALU_DEP_3)
	v_rcp_f32_e64 v8, |v19|
	v_cmp_gt_f32_e64 vcc_lo, |v18|, 1.0
	v_cmp_gt_f32_e64 s0, |v19|, 1.0
	v_rcp_f32_e64 v9, |v20|
	v_rcp_f32_e64 v10, |v21|
	v_cmp_gt_f32_e64 s1, |v20|, 1.0
	v_cndmask_b32_e64 v7, |v18|, v6, vcc_lo
	v_cndmask_b32_e64 v6, |v19|, v8, s0
	v_cmp_gt_f32_e64 s2, |v21|, 1.0
	s_delay_alu instid0(TRANS32_DEP_2) | instid1(VALU_DEP_4)
	v_cndmask_b32_e64 v9, |v20|, v9, s1
	s_delay_alu instid0(TRANS32_DEP_1) | instid1(VALU_DEP_2)
	v_cndmask_b32_e64 v8, |v21|, v10, s2
	s_delay_alu instid0(VALU_DEP_4) | instskip(NEXT) | instid1(VALU_DEP_2)
	v_pk_mul_f32 v[10:11], v[6:7], v[6:7]
	v_pk_mul_f32 v[12:13], v[8:9], v[8:9]
	s_delay_alu instid0(VALU_DEP_2) | instskip(NEXT) | instid1(VALU_DEP_2)
	v_pk_fma_f32 v[14:15], v[10:11], s[8:9], s[6:7] op_sel_hi:[1,0,0]
	v_pk_fma_f32 v[16:17], v[12:13], s[8:9], s[6:7] op_sel_hi:[1,0,0]
	s_delay_alu instid0(VALU_DEP_2) | instskip(NEXT) | instid1(VALU_DEP_2)
	v_pk_fma_f32 v[14:15], v[10:11], v[14:15], s[10:11] op_sel_hi:[1,1,0]
	v_pk_fma_f32 v[16:17], v[12:13], v[16:17], s[10:11] op_sel_hi:[1,1,0]
	;; [unrolled: 3-line block ×7, first 2 shown]
	s_delay_alu instid0(VALU_DEP_2) | instskip(NEXT) | instid1(VALU_DEP_2)
	v_pk_mul_f32 v[10:11], v[10:11], v[14:15]
	v_pk_mul_f32 v[12:13], v[12:13], v[16:17]
	s_delay_alu instid0(VALU_DEP_2) | instskip(NEXT) | instid1(VALU_DEP_2)
	v_pk_fma_f32 v[6:7], v[6:7], v[10:11], v[6:7]
	v_pk_fma_f32 v[8:9], v[8:9], v[12:13], v[8:9]
	s_delay_alu instid0(VALU_DEP_2) | instskip(NEXT) | instid1(VALU_DEP_2)
	v_sub_f32_e32 v10, 0x3fc90fdb, v6
	v_dual_sub_f32 v12, 0x3fc90fdb, v7 :: v_dual_sub_f32 v11, 0x3fc90fdb, v8
	s_delay_alu instid0(VALU_DEP_1) | instskip(NEXT) | instid1(VALU_DEP_1)
	v_dual_cndmask_b32 v6, v6, v10, s0 :: v_dual_cndmask_b32 v8, v8, v11, s2
	v_bfi_b32 v6, 0x7fffffff, v6, v19
	v_sub_f32_e32 v13, 0x3fc90fdb, v9
	s_delay_alu instid0(VALU_DEP_3) | instskip(NEXT) | instid1(VALU_DEP_3)
	v_bfi_b32 v8, 0x7fffffff, v8, v21
	v_dual_cndmask_b32 v7, v7, v12 :: v_dual_lshrrev_b32 v10, 16, v6
	s_delay_alu instid0(VALU_DEP_3) | instskip(SKIP_1) | instid1(VALU_DEP_3)
	v_cndmask_b32_e64 v9, v9, v13, s1
	v_cmp_o_f32_e32 vcc_lo, v6, v6
	v_and_b32_e32 v10, 1, v10
	s_delay_alu instid0(VALU_DEP_4) | instskip(NEXT) | instid1(VALU_DEP_4)
	v_bfi_b32 v7, 0x7fffffff, v7, v18
	v_bfi_b32 v9, 0x7fffffff, v9, v20
	v_lshrrev_b32_e32 v11, 16, v8
	s_delay_alu instid0(VALU_DEP_4) | instskip(NEXT) | instid1(VALU_DEP_3)
	v_add3_u32 v10, v6, v10, 0x7fff
	v_dual_lshrrev_b32 v12, 16, v7 :: v_dual_lshrrev_b32 v13, 16, v9
	s_delay_alu instid0(VALU_DEP_2) | instskip(NEXT) | instid1(VALU_DEP_2)
	v_dual_lshrrev_b32 v10, 16, v10 :: v_dual_bitop2_b32 v11, 1, v11 bitop3:0x40
	v_and_b32_e32 v13, 1, v13
	s_delay_alu instid0(VALU_DEP_2) | instskip(NEXT) | instid1(VALU_DEP_4)
	v_add3_u32 v11, v8, v11, 0x7fff
	v_and_b32_e32 v12, 1, v12
	s_delay_alu instid0(VALU_DEP_4) | instskip(SKIP_4) | instid1(VALU_DEP_3)
	v_cndmask_b32_e32 v10, 0x7fc0, v10, vcc_lo
	v_cmp_o_f32_e32 vcc_lo, v7, v7
	v_add3_u32 v13, v9, v13, 0x7fff
	v_lshrrev_b32_e32 v11, 16, v11
	v_add3_u32 v12, v7, v12, 0x7fff
	v_and_b32_e32 v13, 0xffff0000, v13
	s_delay_alu instid0(VALU_DEP_3) | instskip(NEXT) | instid1(VALU_DEP_3)
	v_and_b32_e32 v6, 0xffff, v11
	v_and_b32_e32 v12, 0xffff0000, v12
	s_delay_alu instid0(VALU_DEP_1) | instskip(SKIP_3) | instid1(VALU_DEP_4)
	v_cndmask_b32_e32 v11, 0x7fc00000, v12, vcc_lo
	v_cmp_o_f32_e32 vcc_lo, v9, v9
	v_cndmask_b32_e32 v9, 0x7fc00000, v13, vcc_lo
	v_cmp_o_f32_e32 vcc_lo, v8, v8
	v_or3_b32 v8, v10, 0, v11
	v_cndmask_b32_e32 v12, 0x7fc0, v6, vcc_lo
	v_lshlrev_b64_e32 v[6:7], 2, v[0:1]
	s_delay_alu instid0(VALU_DEP_2) | instskip(NEXT) | instid1(VALU_DEP_2)
	v_or3_b32 v9, 0, v12, v9
	v_cmp_ge_i64_e32 vcc_lo, v[6:7], v[2:3]
	global_store_b64 v[4:5], v[8:9], off
	s_wait_xcnt 0x0
	v_add_nc_u64_e32 v[4:5], s[22:23], v[4:5]
	s_or_b32 s3, vcc_lo, s3
	s_delay_alu instid0(SALU_CYCLE_1)
	s_and_not1_b32 exec_lo, exec_lo, s3
	s_cbranch_execnz .LBB76_24
.LBB76_25:
	s_endpgm
	.section	.rodata,"a",@progbits
	.p2align	6, 0x0
	.amdhsa_kernel _ZN2at6native12_GLOBAL__N_125multi_tensor_apply_kernelINS1_18TensorListMetadataILi1EEENS1_14UnaryOpFunctorIN3c108BFloat16ELi1ELi1ELi0EEEJNS0_4AtanIfEEEEEvT_T0_DpT1_
		.amdhsa_group_segment_fixed_size 0
		.amdhsa_private_segment_fixed_size 0
		.amdhsa_kernarg_size 3632
		.amdhsa_user_sgpr_count 2
		.amdhsa_user_sgpr_dispatch_ptr 0
		.amdhsa_user_sgpr_queue_ptr 0
		.amdhsa_user_sgpr_kernarg_segment_ptr 1
		.amdhsa_user_sgpr_dispatch_id 0
		.amdhsa_user_sgpr_kernarg_preload_length 0
		.amdhsa_user_sgpr_kernarg_preload_offset 0
		.amdhsa_user_sgpr_private_segment_size 0
		.amdhsa_wavefront_size32 1
		.amdhsa_uses_dynamic_stack 0
		.amdhsa_enable_private_segment 0
		.amdhsa_system_sgpr_workgroup_id_x 1
		.amdhsa_system_sgpr_workgroup_id_y 0
		.amdhsa_system_sgpr_workgroup_id_z 0
		.amdhsa_system_sgpr_workgroup_info 0
		.amdhsa_system_vgpr_workitem_id 0
		.amdhsa_next_free_vgpr 30
		.amdhsa_next_free_sgpr 40
		.amdhsa_named_barrier_count 0
		.amdhsa_reserve_vcc 1
		.amdhsa_float_round_mode_32 0
		.amdhsa_float_round_mode_16_64 0
		.amdhsa_float_denorm_mode_32 3
		.amdhsa_float_denorm_mode_16_64 3
		.amdhsa_fp16_overflow 0
		.amdhsa_memory_ordered 1
		.amdhsa_forward_progress 1
		.amdhsa_inst_pref_size 19
		.amdhsa_round_robin_scheduling 0
		.amdhsa_exception_fp_ieee_invalid_op 0
		.amdhsa_exception_fp_denorm_src 0
		.amdhsa_exception_fp_ieee_div_zero 0
		.amdhsa_exception_fp_ieee_overflow 0
		.amdhsa_exception_fp_ieee_underflow 0
		.amdhsa_exception_fp_ieee_inexact 0
		.amdhsa_exception_int_div_zero 0
	.end_amdhsa_kernel
	.section	.text._ZN2at6native12_GLOBAL__N_125multi_tensor_apply_kernelINS1_18TensorListMetadataILi1EEENS1_14UnaryOpFunctorIN3c108BFloat16ELi1ELi1ELi0EEEJNS0_4AtanIfEEEEEvT_T0_DpT1_,"axG",@progbits,_ZN2at6native12_GLOBAL__N_125multi_tensor_apply_kernelINS1_18TensorListMetadataILi1EEENS1_14UnaryOpFunctorIN3c108BFloat16ELi1ELi1ELi0EEEJNS0_4AtanIfEEEEEvT_T0_DpT1_,comdat
.Lfunc_end76:
	.size	_ZN2at6native12_GLOBAL__N_125multi_tensor_apply_kernelINS1_18TensorListMetadataILi1EEENS1_14UnaryOpFunctorIN3c108BFloat16ELi1ELi1ELi0EEEJNS0_4AtanIfEEEEEvT_T0_DpT1_, .Lfunc_end76-_ZN2at6native12_GLOBAL__N_125multi_tensor_apply_kernelINS1_18TensorListMetadataILi1EEENS1_14UnaryOpFunctorIN3c108BFloat16ELi1ELi1ELi0EEEJNS0_4AtanIfEEEEEvT_T0_DpT1_
                                        ; -- End function
	.set _ZN2at6native12_GLOBAL__N_125multi_tensor_apply_kernelINS1_18TensorListMetadataILi1EEENS1_14UnaryOpFunctorIN3c108BFloat16ELi1ELi1ELi0EEEJNS0_4AtanIfEEEEEvT_T0_DpT1_.num_vgpr, 30
	.set _ZN2at6native12_GLOBAL__N_125multi_tensor_apply_kernelINS1_18TensorListMetadataILi1EEENS1_14UnaryOpFunctorIN3c108BFloat16ELi1ELi1ELi0EEEJNS0_4AtanIfEEEEEvT_T0_DpT1_.num_agpr, 0
	.set _ZN2at6native12_GLOBAL__N_125multi_tensor_apply_kernelINS1_18TensorListMetadataILi1EEENS1_14UnaryOpFunctorIN3c108BFloat16ELi1ELi1ELi0EEEJNS0_4AtanIfEEEEEvT_T0_DpT1_.numbered_sgpr, 40
	.set _ZN2at6native12_GLOBAL__N_125multi_tensor_apply_kernelINS1_18TensorListMetadataILi1EEENS1_14UnaryOpFunctorIN3c108BFloat16ELi1ELi1ELi0EEEJNS0_4AtanIfEEEEEvT_T0_DpT1_.num_named_barrier, 0
	.set _ZN2at6native12_GLOBAL__N_125multi_tensor_apply_kernelINS1_18TensorListMetadataILi1EEENS1_14UnaryOpFunctorIN3c108BFloat16ELi1ELi1ELi0EEEJNS0_4AtanIfEEEEEvT_T0_DpT1_.private_seg_size, 0
	.set _ZN2at6native12_GLOBAL__N_125multi_tensor_apply_kernelINS1_18TensorListMetadataILi1EEENS1_14UnaryOpFunctorIN3c108BFloat16ELi1ELi1ELi0EEEJNS0_4AtanIfEEEEEvT_T0_DpT1_.uses_vcc, 1
	.set _ZN2at6native12_GLOBAL__N_125multi_tensor_apply_kernelINS1_18TensorListMetadataILi1EEENS1_14UnaryOpFunctorIN3c108BFloat16ELi1ELi1ELi0EEEJNS0_4AtanIfEEEEEvT_T0_DpT1_.uses_flat_scratch, 0
	.set _ZN2at6native12_GLOBAL__N_125multi_tensor_apply_kernelINS1_18TensorListMetadataILi1EEENS1_14UnaryOpFunctorIN3c108BFloat16ELi1ELi1ELi0EEEJNS0_4AtanIfEEEEEvT_T0_DpT1_.has_dyn_sized_stack, 0
	.set _ZN2at6native12_GLOBAL__N_125multi_tensor_apply_kernelINS1_18TensorListMetadataILi1EEENS1_14UnaryOpFunctorIN3c108BFloat16ELi1ELi1ELi0EEEJNS0_4AtanIfEEEEEvT_T0_DpT1_.has_recursion, 0
	.set _ZN2at6native12_GLOBAL__N_125multi_tensor_apply_kernelINS1_18TensorListMetadataILi1EEENS1_14UnaryOpFunctorIN3c108BFloat16ELi1ELi1ELi0EEEJNS0_4AtanIfEEEEEvT_T0_DpT1_.has_indirect_call, 0
	.section	.AMDGPU.csdata,"",@progbits
; Kernel info:
; codeLenInByte = 2408
; TotalNumSgprs: 42
; NumVgprs: 30
; ScratchSize: 0
; MemoryBound: 0
; FloatMode: 240
; IeeeMode: 1
; LDSByteSize: 0 bytes/workgroup (compile time only)
; SGPRBlocks: 0
; VGPRBlocks: 1
; NumSGPRsForWavesPerEU: 42
; NumVGPRsForWavesPerEU: 30
; NamedBarCnt: 0
; Occupancy: 16
; WaveLimiterHint : 0
; COMPUTE_PGM_RSRC2:SCRATCH_EN: 0
; COMPUTE_PGM_RSRC2:USER_SGPR: 2
; COMPUTE_PGM_RSRC2:TRAP_HANDLER: 0
; COMPUTE_PGM_RSRC2:TGID_X_EN: 1
; COMPUTE_PGM_RSRC2:TGID_Y_EN: 0
; COMPUTE_PGM_RSRC2:TGID_Z_EN: 0
; COMPUTE_PGM_RSRC2:TIDIG_COMP_CNT: 0
	.section	.text._ZN2at6native12_GLOBAL__N_125multi_tensor_apply_kernelINS1_18TensorListMetadataILi2EEENS1_14UnaryOpFunctorIdLi2ELi1ELi1EEEJNS0_4CoshIdEEEEEvT_T0_DpT1_,"axG",@progbits,_ZN2at6native12_GLOBAL__N_125multi_tensor_apply_kernelINS1_18TensorListMetadataILi2EEENS1_14UnaryOpFunctorIdLi2ELi1ELi1EEEJNS0_4CoshIdEEEEEvT_T0_DpT1_,comdat
	.globl	_ZN2at6native12_GLOBAL__N_125multi_tensor_apply_kernelINS1_18TensorListMetadataILi2EEENS1_14UnaryOpFunctorIdLi2ELi1ELi1EEEJNS0_4CoshIdEEEEEvT_T0_DpT1_ ; -- Begin function _ZN2at6native12_GLOBAL__N_125multi_tensor_apply_kernelINS1_18TensorListMetadataILi2EEENS1_14UnaryOpFunctorIdLi2ELi1ELi1EEEJNS0_4CoshIdEEEEEvT_T0_DpT1_
	.p2align	8
	.type	_ZN2at6native12_GLOBAL__N_125multi_tensor_apply_kernelINS1_18TensorListMetadataILi2EEENS1_14UnaryOpFunctorIdLi2ELi1ELi1EEEJNS0_4CoshIdEEEEEvT_T0_DpT1_,@function
_ZN2at6native12_GLOBAL__N_125multi_tensor_apply_kernelINS1_18TensorListMetadataILi2EEENS1_14UnaryOpFunctorIdLi2ELi1ELi1EEEJNS0_4CoshIdEEEEEvT_T0_DpT1_: ; @_ZN2at6native12_GLOBAL__N_125multi_tensor_apply_kernelINS1_18TensorListMetadataILi2EEENS1_14UnaryOpFunctorIdLi2ELi1ELi1EEEJNS0_4CoshIdEEEEEvT_T0_DpT1_
; %bb.0:
	s_bfe_u32 s2, ttmp6, 0x4000c
	s_and_b32 s3, ttmp6, 15
	s_add_co_i32 s2, s2, 1
	s_getreg_b32 s4, hwreg(HW_REG_IB_STS2, 6, 4)
	s_mul_i32 s2, ttmp9, s2
	s_mov_b32 s9, 0
	s_add_co_i32 s3, s3, s2
	s_cmp_eq_u32 s4, 0
	s_mov_b32 s15, s9
	s_cselect_b32 s8, ttmp9, s3
	s_load_u8 s11, s[0:1], s8 offset:0x600
	s_add_nc_u64 s[2:3], s[0:1], s[8:9]
	s_mul_u64 s[4:5], s[8:9], 3
	s_delay_alu instid0(SALU_CYCLE_1)
	s_add_nc_u64 s[4:5], s[2:3], s[4:5]
	s_load_b32 s10, s[4:5], 0x740
	s_wait_kmcnt 0x0
	s_clause 0x2
	s_load_b64 s[2:3], s[0:1], s11 offset:0x0 scale_offset
	s_load_b64 s[6:7], s[0:1], s11 offset:0x200 scale_offset
	;; [unrolled: 1-line block ×3, first 2 shown]
	s_wait_xcnt 0x0
	s_ashr_i32 s11, s10, 31
	s_delay_alu instid0(SALU_CYCLE_1)
	s_lshl_b64 s[4:5], s[10:11], 19
	s_wait_kmcnt 0x0
	s_and_b64 s[18:19], s[6:7], 31
	s_add_nc_u64 s[16:17], s[2:3], s[4:5]
	s_and_b32 s14, s12, 3
	s_and_b32 s8, s16, 31
	s_or_b64 s[14:15], s[18:19], s[14:15]
	s_lshl_b64 s[10:11], s[10:11], 16
	s_or_b64 s[14:15], s[14:15], s[8:9]
	s_sub_nc_u64 s[8:9], s[12:13], s[10:11]
	s_cmp_eq_u64 s[14:15], 0
	s_mov_b32 s10, -1
	s_cbranch_scc0 .LBB77_5
; %bb.1:
	v_min_i64 v[10:11], 0x10000, s[8:9]
	v_dual_mov_b32 v3, 0 :: v_dual_lshlrev_b32 v2, 2, v0
	s_mov_b32 s18, exec_lo
	s_delay_alu instid0(VALU_DEP_1)
	v_cmpx_lt_i64_e64 v[2:3], v[10:11]
	s_cbranch_execz .LBB77_4
; %bb.2:
	s_load_b32 s10, s[0:1], 0xc5c
	v_dual_mov_b32 v1, v3 :: v_dual_lshlrev_b32 v2, 5, v0
	v_mov_b64_e32 v[12:13], 0x3e928af3fca7ab0c
	s_mov_b32 s11, 0
	s_mov_b64 s[12:13], 0xbfe62e42fefa39ef
	s_delay_alu instid0(VALU_DEP_2)
	v_mov_b64_e32 v[16:17], v[0:1]
	v_add_nc_u64_e32 v[14:15], s[4:5], v[2:3]
	s_mov_b64 s[14:15], 0x408633ce8fb9f87e
	s_mov_b32 s17, s11
	s_mov_b32 s19, s11
                                        ; implicit-def: $vgpr2_vgpr3
                                        ; implicit-def: $vgpr2_vgpr3
	;; [unrolled: 1-line block ×8, first 2 shown]
	s_wait_kmcnt 0x0
	s_and_b32 s10, s10, 0xffff
	s_delay_alu instid0(SALU_CYCLE_1)
	s_lshl_b32 s16, s10, 5
.LBB77_3:                               ; =>This Inner Loop Header: Depth=1
	s_delay_alu instid0(VALU_DEP_2)
	v_add_nc_u64_e32 v[18:19], s[2:3], v[14:15]
	v_add_nc_u64_e32 v[16:17], s[10:11], v[16:17]
	s_clause 0x1
	global_load_b128 v[2:5], v[18:19], off offset:16
	global_load_b128 v[6:9], v[18:19], off
	s_wait_loadcnt 0x0
	s_wait_xcnt 0x0
	v_add_f64_e64 v[18:19], |v[6:7]|, s[12:13]
	v_cmp_nge_f64_e64 vcc_lo, |v[6:7]|, s[14:15]
	s_delay_alu instid0(VALU_DEP_2) | instskip(NEXT) | instid1(VALU_DEP_1)
	v_add_f64_e64 v[20:21], v[18:19], -|v[6:7]|
	v_add_f64_e64 v[22:23], v[20:21], -v[18:19]
	v_add_f64_e32 v[20:21], 0x3fe62e42fefa39ef, v[20:21]
	s_delay_alu instid0(VALU_DEP_2) | instskip(NEXT) | instid1(VALU_DEP_1)
	v_add_f64_e64 v[22:23], |v[6:7]|, v[22:23]
	v_add_f64_e64 v[20:21], v[22:23], -v[20:21]
	s_delay_alu instid0(VALU_DEP_1) | instskip(NEXT) | instid1(VALU_DEP_1)
	v_add_f64_e32 v[20:21], 0xbc7abc9e3b39803f, v[20:21]
	v_add_f64_e32 v[22:23], v[18:19], v[20:21]
	s_delay_alu instid0(VALU_DEP_1) | instskip(NEXT) | instid1(VALU_DEP_1)
	v_add_f64_e64 v[18:19], v[18:19], -v[22:23]
	v_add_f64_e32 v[18:19], v[20:21], v[18:19]
	v_mul_f64_e32 v[20:21], 0x3ff71547652b82fe, v[22:23]
	s_delay_alu instid0(VALU_DEP_1) | instskip(NEXT) | instid1(VALU_DEP_1)
	v_rndne_f64_e32 v[20:21], v[20:21]
	v_fmac_f64_e32 v[22:23], 0xbfe62e42fefa3000, v[20:21]
	v_cvt_i32_f64_e32 v1, v[20:21]
	s_delay_alu instid0(VALU_DEP_2) | instskip(NEXT) | instid1(VALU_DEP_1)
	v_add_f64_e32 v[24:25], v[18:19], v[22:23]
	v_add_f64_e64 v[22:23], v[22:23], -v[24:25]
	s_delay_alu instid0(VALU_DEP_1) | instskip(SKIP_1) | instid1(VALU_DEP_1)
	v_add_f64_e32 v[18:19], v[18:19], v[22:23]
	v_mul_f64_e32 v[22:23], 0x3d53de6af278e000, v[20:21]
	v_add_f64_e64 v[26:27], v[24:25], -v[22:23]
	s_delay_alu instid0(VALU_DEP_1) | instskip(NEXT) | instid1(VALU_DEP_1)
	v_add_f64_e64 v[24:25], v[24:25], -v[26:27]
	v_add_f64_e64 v[22:23], v[24:25], -v[22:23]
	s_delay_alu instid0(VALU_DEP_1) | instskip(NEXT) | instid1(VALU_DEP_1)
	v_add_f64_e32 v[18:19], v[18:19], v[22:23]
	v_add_f64_e32 v[22:23], v[26:27], v[18:19]
	s_delay_alu instid0(VALU_DEP_1) | instskip(NEXT) | instid1(VALU_DEP_1)
	v_add_f64_e64 v[24:25], v[26:27], -v[22:23]
	v_add_f64_e32 v[18:19], v[18:19], v[24:25]
	v_mul_f64_e32 v[24:25], 0x3ac9cc01f97b57a0, v[20:21]
	s_delay_alu instid0(VALU_DEP_1) | instskip(NEXT) | instid1(VALU_DEP_1)
	v_add_f64_e64 v[26:27], v[22:23], -v[24:25]
	v_add_f64_e64 v[22:23], v[22:23], -v[26:27]
	s_delay_alu instid0(VALU_DEP_1) | instskip(NEXT) | instid1(VALU_DEP_1)
	v_add_f64_e64 v[22:23], v[22:23], -v[24:25]
	v_add_f64_e32 v[18:19], v[18:19], v[22:23]
	s_delay_alu instid0(VALU_DEP_1) | instskip(NEXT) | instid1(VALU_DEP_1)
	v_add_f64_e32 v[22:23], v[26:27], v[18:19]
	v_add_f64_e64 v[24:25], v[26:27], -v[22:23]
	v_mul_f64_e32 v[26:27], v[22:23], v[22:23]
	s_delay_alu instid0(VALU_DEP_2) | instskip(NEXT) | instid1(VALU_DEP_2)
	v_add_f64_e32 v[18:19], v[18:19], v[24:25]
	v_fma_f64 v[28:29], v[22:23], v[22:23], -v[26:27]
	v_fmamk_f64 v[24:25], v[22:23], 0x3e5ade156a5dcb37, v[12:13]
	s_delay_alu instid0(VALU_DEP_1) | instskip(NEXT) | instid1(VALU_DEP_1)
	v_fmaak_f64 v[24:25], v[22:23], v[24:25], 0x3ec71dee623fde64
	v_fmaak_f64 v[24:25], v[22:23], v[24:25], 0x3efa01997c89e6b0
	s_delay_alu instid0(VALU_DEP_1) | instskip(NEXT) | instid1(VALU_DEP_1)
	v_fmaak_f64 v[24:25], v[22:23], v[24:25], 0x3f2a01a014761f6e
	v_fmaak_f64 v[24:25], v[22:23], v[24:25], 0x3f56c16c1852b7b0
	v_add_f64_e32 v[30:31], v[18:19], v[18:19]
	s_delay_alu instid0(VALU_DEP_2) | instskip(NEXT) | instid1(VALU_DEP_1)
	v_fmaak_f64 v[24:25], v[22:23], v[24:25], 0x3f81111111122322
	v_fmaak_f64 v[24:25], v[22:23], v[24:25], 0x3fa55555555502a1
	s_delay_alu instid0(VALU_DEP_1) | instskip(NEXT) | instid1(VALU_DEP_1)
	v_fmaak_f64 v[24:25], v[22:23], v[24:25], 0x3fc5555555555511
	v_fmaak_f64 v[24:25], v[22:23], v[24:25], 0x3fe000000000000b
	v_fmac_f64_e32 v[28:29], v[22:23], v[30:31]
	s_delay_alu instid0(VALU_DEP_1) | instskip(NEXT) | instid1(VALU_DEP_1)
	v_add_f64_e32 v[30:31], v[26:27], v[28:29]
	v_add_f64_e64 v[26:27], v[30:31], -v[26:27]
	s_delay_alu instid0(VALU_DEP_1) | instskip(SKIP_1) | instid1(VALU_DEP_1)
	v_add_f64_e64 v[26:27], v[28:29], -v[26:27]
	v_mul_f64_e32 v[28:29], v[30:31], v[24:25]
	v_fma_f64 v[30:31], v[30:31], v[24:25], -v[28:29]
	s_delay_alu instid0(VALU_DEP_1) | instskip(NEXT) | instid1(VALU_DEP_1)
	v_fmac_f64_e32 v[30:31], v[26:27], v[24:25]
	v_add_f64_e32 v[24:25], v[28:29], v[30:31]
	s_delay_alu instid0(VALU_DEP_1) | instskip(SKIP_1) | instid1(VALU_DEP_2)
	v_add_f64_e64 v[26:27], v[24:25], -v[28:29]
	v_add_f64_e32 v[28:29], v[22:23], v[24:25]
	v_add_f64_e64 v[26:27], v[30:31], -v[26:27]
	s_delay_alu instid0(VALU_DEP_2) | instskip(NEXT) | instid1(VALU_DEP_2)
	v_add_f64_e64 v[22:23], v[28:29], -v[22:23]
	v_add_f64_e32 v[18:19], v[18:19], v[26:27]
	s_delay_alu instid0(VALU_DEP_2) | instskip(NEXT) | instid1(VALU_DEP_1)
	v_add_f64_e64 v[22:23], v[24:25], -v[22:23]
	v_add_f64_e32 v[18:19], v[18:19], v[22:23]
	s_delay_alu instid0(VALU_DEP_1) | instskip(NEXT) | instid1(VALU_DEP_1)
	v_add_f64_e32 v[22:23], v[28:29], v[18:19]
	v_add_f64_e64 v[24:25], v[22:23], -v[28:29]
	s_delay_alu instid0(VALU_DEP_1) | instskip(SKIP_1) | instid1(VALU_DEP_1)
	v_add_f64_e64 v[18:19], v[18:19], -v[24:25]
	v_add_f64_e32 v[24:25], 1.0, v[22:23]
	v_add_f64_e32 v[26:27], -1.0, v[24:25]
	s_delay_alu instid0(VALU_DEP_1) | instskip(NEXT) | instid1(VALU_DEP_1)
	v_add_f64_e64 v[22:23], v[22:23], -v[26:27]
	v_add_f64_e32 v[18:19], v[18:19], v[22:23]
	s_delay_alu instid0(VALU_DEP_1) | instskip(NEXT) | instid1(VALU_DEP_1)
	v_add_f64_e32 v[22:23], v[24:25], v[18:19]
	v_ldexp_f64 v[20:21], v[22:23], v1
	v_add_f64_e64 v[24:25], v[22:23], -v[24:25]
	s_delay_alu instid0(VALU_DEP_2) | instskip(NEXT) | instid1(VALU_DEP_1)
	v_rcp_f64_e32 v[22:23], v[20:21]
	v_add_f64_e64 v[18:19], v[18:19], -v[24:25]
	s_delay_alu instid0(VALU_DEP_1) | instskip(NEXT) | instid1(TRANS32_DEP_1)
	v_ldexp_f64 v[18:19], v[18:19], v1
	v_fma_f64 v[24:25], -v[20:21], v[22:23], 1.0
	s_delay_alu instid0(VALU_DEP_1) | instskip(NEXT) | instid1(VALU_DEP_1)
	v_fmac_f64_e32 v[22:23], v[24:25], v[22:23]
	v_fma_f64 v[24:25], -v[20:21], v[22:23], 1.0
	s_delay_alu instid0(VALU_DEP_1) | instskip(NEXT) | instid1(VALU_DEP_1)
	v_fmac_f64_e32 v[22:23], v[24:25], v[22:23]
	v_mul_f64_e32 v[24:25], v[20:21], v[22:23]
	s_delay_alu instid0(VALU_DEP_1) | instskip(NEXT) | instid1(VALU_DEP_1)
	v_fma_f64 v[26:27], v[22:23], v[20:21], -v[24:25]
	v_fmac_f64_e32 v[26:27], v[22:23], v[18:19]
	s_delay_alu instid0(VALU_DEP_1) | instskip(NEXT) | instid1(VALU_DEP_1)
	v_add_f64_e32 v[28:29], v[24:25], v[26:27]
	v_add_f64_e64 v[30:31], -v[28:29], 1.0
	v_add_f64_e64 v[24:25], v[28:29], -v[24:25]
	s_delay_alu instid0(VALU_DEP_2) | instskip(NEXT) | instid1(VALU_DEP_2)
	v_add_f64_e64 v[32:33], -v[30:31], 1.0
	v_add_f64_e64 v[24:25], v[24:25], -v[26:27]
	s_delay_alu instid0(VALU_DEP_2) | instskip(NEXT) | instid1(VALU_DEP_1)
	v_add_f64_e64 v[28:29], v[32:33], -v[28:29]
	v_add_f64_e32 v[24:25], v[24:25], v[28:29]
	s_delay_alu instid0(VALU_DEP_1) | instskip(NEXT) | instid1(VALU_DEP_1)
	v_add_f64_e32 v[26:27], v[30:31], v[24:25]
	v_add_f64_e64 v[28:29], v[30:31], -v[26:27]
	s_delay_alu instid0(VALU_DEP_1) | instskip(SKIP_1) | instid1(VALU_DEP_1)
	v_add_f64_e32 v[24:25], v[24:25], v[28:29]
	v_mul_f64_e32 v[28:29], v[22:23], v[26:27]
	v_mul_f64_e32 v[30:31], v[20:21], v[28:29]
	s_delay_alu instid0(VALU_DEP_1) | instskip(NEXT) | instid1(VALU_DEP_1)
	v_fma_f64 v[32:33], v[28:29], v[20:21], -v[30:31]
	v_fmac_f64_e32 v[32:33], v[28:29], v[18:19]
	s_delay_alu instid0(VALU_DEP_1) | instskip(NEXT) | instid1(VALU_DEP_1)
	v_add_f64_e32 v[34:35], v[30:31], v[32:33]
	v_add_f64_e64 v[36:37], v[26:27], -v[34:35]
	v_add_f64_e64 v[30:31], v[34:35], -v[30:31]
	s_delay_alu instid0(VALU_DEP_2) | instskip(NEXT) | instid1(VALU_DEP_1)
	v_add_f64_e64 v[26:27], v[26:27], -v[36:37]
	v_add_f64_e64 v[26:27], v[26:27], -v[34:35]
	s_delay_alu instid0(VALU_DEP_1) | instskip(NEXT) | instid1(VALU_DEP_4)
	v_add_f64_e32 v[24:25], v[24:25], v[26:27]
	v_add_f64_e64 v[26:27], v[30:31], -v[32:33]
	s_delay_alu instid0(VALU_DEP_1) | instskip(SKIP_1) | instid1(VALU_DEP_2)
	v_add_f64_e32 v[24:25], v[26:27], v[24:25]
	v_add_f64_e32 v[26:27], v[22:23], v[28:29]
	;; [unrolled: 1-line block ×3, first 2 shown]
	s_delay_alu instid0(VALU_DEP_1) | instskip(NEXT) | instid1(VALU_DEP_3)
	v_mul_f64_e32 v[24:25], v[22:23], v[24:25]
	v_add_f64_e64 v[22:23], v[26:27], -v[22:23]
	s_delay_alu instid0(VALU_DEP_1) | instskip(NEXT) | instid1(VALU_DEP_1)
	v_add_f64_e64 v[22:23], v[28:29], -v[22:23]
	v_add_f64_e32 v[22:23], v[22:23], v[24:25]
	s_delay_alu instid0(VALU_DEP_1) | instskip(NEXT) | instid1(VALU_DEP_1)
	v_add_f64_e32 v[24:25], v[26:27], v[22:23]
	v_add_f64_e64 v[26:27], v[24:25], -v[26:27]
	v_ldexp_f64 v[24:25], v[24:25], -2
	s_delay_alu instid0(VALU_DEP_2) | instskip(NEXT) | instid1(VALU_DEP_2)
	v_add_f64_e64 v[22:23], v[22:23], -v[26:27]
	v_add_f64_e32 v[26:27], v[20:21], v[24:25]
	s_delay_alu instid0(VALU_DEP_2) | instskip(NEXT) | instid1(VALU_DEP_2)
	v_ldexp_f64 v[22:23], v[22:23], -2
	v_add_f64_e64 v[20:21], v[26:27], -v[20:21]
	s_delay_alu instid0(VALU_DEP_2) | instskip(NEXT) | instid1(VALU_DEP_2)
	v_add_f64_e32 v[18:19], v[18:19], v[22:23]
	v_add_f64_e64 v[20:21], v[24:25], -v[20:21]
	s_delay_alu instid0(VALU_DEP_1) | instskip(NEXT) | instid1(VALU_DEP_1)
	v_add_f64_e32 v[18:19], v[18:19], v[20:21]
	v_add_f64_e32 v[18:19], v[26:27], v[18:19]
	s_delay_alu instid0(VALU_DEP_1) | instskip(NEXT) | instid1(VALU_DEP_2)
	v_cndmask_b32_e32 v7, 0x7ff00000, v19, vcc_lo
	v_cndmask_b32_e32 v6, 0, v18, vcc_lo
	v_add_f64_e64 v[18:19], |v[8:9]|, s[12:13]
	v_cmp_nge_f64_e64 vcc_lo, |v[8:9]|, s[14:15]
	s_delay_alu instid0(VALU_DEP_2) | instskip(NEXT) | instid1(VALU_DEP_1)
	v_add_f64_e64 v[20:21], v[18:19], -|v[8:9]|
	v_add_f64_e64 v[22:23], v[20:21], -v[18:19]
	v_add_f64_e32 v[20:21], 0x3fe62e42fefa39ef, v[20:21]
	s_delay_alu instid0(VALU_DEP_2) | instskip(NEXT) | instid1(VALU_DEP_1)
	v_add_f64_e64 v[22:23], |v[8:9]|, v[22:23]
	v_add_f64_e64 v[20:21], v[22:23], -v[20:21]
	s_delay_alu instid0(VALU_DEP_1) | instskip(NEXT) | instid1(VALU_DEP_1)
	v_add_f64_e32 v[20:21], 0xbc7abc9e3b39803f, v[20:21]
	v_add_f64_e32 v[22:23], v[18:19], v[20:21]
	s_delay_alu instid0(VALU_DEP_1) | instskip(NEXT) | instid1(VALU_DEP_1)
	v_add_f64_e64 v[18:19], v[18:19], -v[22:23]
	v_add_f64_e32 v[18:19], v[20:21], v[18:19]
	v_mul_f64_e32 v[20:21], 0x3ff71547652b82fe, v[22:23]
	s_delay_alu instid0(VALU_DEP_1) | instskip(NEXT) | instid1(VALU_DEP_1)
	v_rndne_f64_e32 v[20:21], v[20:21]
	v_fmac_f64_e32 v[22:23], 0xbfe62e42fefa3000, v[20:21]
	v_cvt_i32_f64_e32 v1, v[20:21]
	s_delay_alu instid0(VALU_DEP_2) | instskip(NEXT) | instid1(VALU_DEP_1)
	v_add_f64_e32 v[24:25], v[18:19], v[22:23]
	v_add_f64_e64 v[22:23], v[22:23], -v[24:25]
	s_delay_alu instid0(VALU_DEP_1) | instskip(SKIP_1) | instid1(VALU_DEP_1)
	v_add_f64_e32 v[18:19], v[18:19], v[22:23]
	v_mul_f64_e32 v[22:23], 0x3d53de6af278e000, v[20:21]
	v_add_f64_e64 v[26:27], v[24:25], -v[22:23]
	s_delay_alu instid0(VALU_DEP_1) | instskip(NEXT) | instid1(VALU_DEP_1)
	v_add_f64_e64 v[24:25], v[24:25], -v[26:27]
	v_add_f64_e64 v[22:23], v[24:25], -v[22:23]
	s_delay_alu instid0(VALU_DEP_1) | instskip(NEXT) | instid1(VALU_DEP_1)
	v_add_f64_e32 v[18:19], v[18:19], v[22:23]
	v_add_f64_e32 v[22:23], v[26:27], v[18:19]
	s_delay_alu instid0(VALU_DEP_1) | instskip(NEXT) | instid1(VALU_DEP_1)
	v_add_f64_e64 v[24:25], v[26:27], -v[22:23]
	v_add_f64_e32 v[18:19], v[18:19], v[24:25]
	v_mul_f64_e32 v[24:25], 0x3ac9cc01f97b57a0, v[20:21]
	s_delay_alu instid0(VALU_DEP_1) | instskip(NEXT) | instid1(VALU_DEP_1)
	v_add_f64_e64 v[26:27], v[22:23], -v[24:25]
	v_add_f64_e64 v[22:23], v[22:23], -v[26:27]
	s_delay_alu instid0(VALU_DEP_1) | instskip(NEXT) | instid1(VALU_DEP_1)
	v_add_f64_e64 v[22:23], v[22:23], -v[24:25]
	v_add_f64_e32 v[18:19], v[18:19], v[22:23]
	s_delay_alu instid0(VALU_DEP_1) | instskip(NEXT) | instid1(VALU_DEP_1)
	v_add_f64_e32 v[22:23], v[26:27], v[18:19]
	v_add_f64_e64 v[24:25], v[26:27], -v[22:23]
	v_mul_f64_e32 v[26:27], v[22:23], v[22:23]
	s_delay_alu instid0(VALU_DEP_2) | instskip(NEXT) | instid1(VALU_DEP_2)
	v_add_f64_e32 v[18:19], v[18:19], v[24:25]
	v_fma_f64 v[28:29], v[22:23], v[22:23], -v[26:27]
	v_fmamk_f64 v[24:25], v[22:23], 0x3e5ade156a5dcb37, v[12:13]
	s_delay_alu instid0(VALU_DEP_1) | instskip(NEXT) | instid1(VALU_DEP_1)
	v_fmaak_f64 v[24:25], v[22:23], v[24:25], 0x3ec71dee623fde64
	v_fmaak_f64 v[24:25], v[22:23], v[24:25], 0x3efa01997c89e6b0
	s_delay_alu instid0(VALU_DEP_1) | instskip(NEXT) | instid1(VALU_DEP_1)
	v_fmaak_f64 v[24:25], v[22:23], v[24:25], 0x3f2a01a014761f6e
	v_fmaak_f64 v[24:25], v[22:23], v[24:25], 0x3f56c16c1852b7b0
	v_add_f64_e32 v[30:31], v[18:19], v[18:19]
	s_delay_alu instid0(VALU_DEP_2) | instskip(NEXT) | instid1(VALU_DEP_1)
	v_fmaak_f64 v[24:25], v[22:23], v[24:25], 0x3f81111111122322
	v_fmaak_f64 v[24:25], v[22:23], v[24:25], 0x3fa55555555502a1
	s_delay_alu instid0(VALU_DEP_1) | instskip(NEXT) | instid1(VALU_DEP_1)
	v_fmaak_f64 v[24:25], v[22:23], v[24:25], 0x3fc5555555555511
	v_fmaak_f64 v[24:25], v[22:23], v[24:25], 0x3fe000000000000b
	v_fmac_f64_e32 v[28:29], v[22:23], v[30:31]
	s_delay_alu instid0(VALU_DEP_1) | instskip(NEXT) | instid1(VALU_DEP_1)
	v_add_f64_e32 v[30:31], v[26:27], v[28:29]
	v_add_f64_e64 v[26:27], v[30:31], -v[26:27]
	s_delay_alu instid0(VALU_DEP_1) | instskip(SKIP_1) | instid1(VALU_DEP_1)
	v_add_f64_e64 v[26:27], v[28:29], -v[26:27]
	v_mul_f64_e32 v[28:29], v[30:31], v[24:25]
	v_fma_f64 v[30:31], v[30:31], v[24:25], -v[28:29]
	s_delay_alu instid0(VALU_DEP_1) | instskip(NEXT) | instid1(VALU_DEP_1)
	v_fmac_f64_e32 v[30:31], v[26:27], v[24:25]
	v_add_f64_e32 v[24:25], v[28:29], v[30:31]
	s_delay_alu instid0(VALU_DEP_1) | instskip(SKIP_1) | instid1(VALU_DEP_2)
	v_add_f64_e64 v[26:27], v[24:25], -v[28:29]
	v_add_f64_e32 v[28:29], v[22:23], v[24:25]
	v_add_f64_e64 v[26:27], v[30:31], -v[26:27]
	s_delay_alu instid0(VALU_DEP_2) | instskip(NEXT) | instid1(VALU_DEP_2)
	v_add_f64_e64 v[22:23], v[28:29], -v[22:23]
	v_add_f64_e32 v[18:19], v[18:19], v[26:27]
	s_delay_alu instid0(VALU_DEP_2) | instskip(NEXT) | instid1(VALU_DEP_1)
	v_add_f64_e64 v[22:23], v[24:25], -v[22:23]
	v_add_f64_e32 v[18:19], v[18:19], v[22:23]
	s_delay_alu instid0(VALU_DEP_1) | instskip(NEXT) | instid1(VALU_DEP_1)
	v_add_f64_e32 v[22:23], v[28:29], v[18:19]
	v_add_f64_e64 v[24:25], v[22:23], -v[28:29]
	s_delay_alu instid0(VALU_DEP_1) | instskip(SKIP_1) | instid1(VALU_DEP_1)
	v_add_f64_e64 v[18:19], v[18:19], -v[24:25]
	v_add_f64_e32 v[24:25], 1.0, v[22:23]
	v_add_f64_e32 v[26:27], -1.0, v[24:25]
	s_delay_alu instid0(VALU_DEP_1) | instskip(NEXT) | instid1(VALU_DEP_1)
	v_add_f64_e64 v[22:23], v[22:23], -v[26:27]
	v_add_f64_e32 v[18:19], v[18:19], v[22:23]
	s_delay_alu instid0(VALU_DEP_1) | instskip(NEXT) | instid1(VALU_DEP_1)
	v_add_f64_e32 v[22:23], v[24:25], v[18:19]
	v_ldexp_f64 v[20:21], v[22:23], v1
	v_add_f64_e64 v[24:25], v[22:23], -v[24:25]
	s_delay_alu instid0(VALU_DEP_2) | instskip(NEXT) | instid1(VALU_DEP_1)
	v_rcp_f64_e32 v[22:23], v[20:21]
	v_add_f64_e64 v[18:19], v[18:19], -v[24:25]
	s_delay_alu instid0(VALU_DEP_1) | instskip(NEXT) | instid1(TRANS32_DEP_1)
	v_ldexp_f64 v[18:19], v[18:19], v1
	v_fma_f64 v[24:25], -v[20:21], v[22:23], 1.0
	s_delay_alu instid0(VALU_DEP_1) | instskip(NEXT) | instid1(VALU_DEP_1)
	v_fmac_f64_e32 v[22:23], v[24:25], v[22:23]
	v_fma_f64 v[24:25], -v[20:21], v[22:23], 1.0
	s_delay_alu instid0(VALU_DEP_1) | instskip(NEXT) | instid1(VALU_DEP_1)
	v_fmac_f64_e32 v[22:23], v[24:25], v[22:23]
	v_mul_f64_e32 v[24:25], v[20:21], v[22:23]
	s_delay_alu instid0(VALU_DEP_1) | instskip(NEXT) | instid1(VALU_DEP_1)
	v_fma_f64 v[26:27], v[22:23], v[20:21], -v[24:25]
	v_fmac_f64_e32 v[26:27], v[22:23], v[18:19]
	s_delay_alu instid0(VALU_DEP_1) | instskip(NEXT) | instid1(VALU_DEP_1)
	v_add_f64_e32 v[28:29], v[24:25], v[26:27]
	v_add_f64_e64 v[30:31], -v[28:29], 1.0
	v_add_f64_e64 v[24:25], v[28:29], -v[24:25]
	s_delay_alu instid0(VALU_DEP_2) | instskip(NEXT) | instid1(VALU_DEP_2)
	v_add_f64_e64 v[32:33], -v[30:31], 1.0
	v_add_f64_e64 v[24:25], v[24:25], -v[26:27]
	s_delay_alu instid0(VALU_DEP_2) | instskip(NEXT) | instid1(VALU_DEP_1)
	v_add_f64_e64 v[28:29], v[32:33], -v[28:29]
	v_add_f64_e32 v[24:25], v[24:25], v[28:29]
	s_delay_alu instid0(VALU_DEP_1) | instskip(NEXT) | instid1(VALU_DEP_1)
	v_add_f64_e32 v[26:27], v[30:31], v[24:25]
	v_add_f64_e64 v[28:29], v[30:31], -v[26:27]
	s_delay_alu instid0(VALU_DEP_1) | instskip(SKIP_1) | instid1(VALU_DEP_1)
	v_add_f64_e32 v[24:25], v[24:25], v[28:29]
	v_mul_f64_e32 v[28:29], v[22:23], v[26:27]
	v_mul_f64_e32 v[30:31], v[20:21], v[28:29]
	s_delay_alu instid0(VALU_DEP_1) | instskip(NEXT) | instid1(VALU_DEP_1)
	v_fma_f64 v[32:33], v[28:29], v[20:21], -v[30:31]
	v_fmac_f64_e32 v[32:33], v[28:29], v[18:19]
	s_delay_alu instid0(VALU_DEP_1) | instskip(NEXT) | instid1(VALU_DEP_1)
	v_add_f64_e32 v[34:35], v[30:31], v[32:33]
	v_add_f64_e64 v[36:37], v[26:27], -v[34:35]
	v_add_f64_e64 v[30:31], v[34:35], -v[30:31]
	s_delay_alu instid0(VALU_DEP_2) | instskip(NEXT) | instid1(VALU_DEP_1)
	v_add_f64_e64 v[26:27], v[26:27], -v[36:37]
	v_add_f64_e64 v[26:27], v[26:27], -v[34:35]
	s_delay_alu instid0(VALU_DEP_1) | instskip(NEXT) | instid1(VALU_DEP_4)
	v_add_f64_e32 v[24:25], v[24:25], v[26:27]
	v_add_f64_e64 v[26:27], v[30:31], -v[32:33]
	s_delay_alu instid0(VALU_DEP_1) | instskip(SKIP_1) | instid1(VALU_DEP_2)
	v_add_f64_e32 v[24:25], v[26:27], v[24:25]
	v_add_f64_e32 v[26:27], v[22:23], v[28:29]
	;; [unrolled: 1-line block ×3, first 2 shown]
	s_delay_alu instid0(VALU_DEP_1) | instskip(NEXT) | instid1(VALU_DEP_3)
	v_mul_f64_e32 v[24:25], v[22:23], v[24:25]
	v_add_f64_e64 v[22:23], v[26:27], -v[22:23]
	s_delay_alu instid0(VALU_DEP_1) | instskip(NEXT) | instid1(VALU_DEP_1)
	v_add_f64_e64 v[22:23], v[28:29], -v[22:23]
	v_add_f64_e32 v[22:23], v[22:23], v[24:25]
	s_delay_alu instid0(VALU_DEP_1) | instskip(NEXT) | instid1(VALU_DEP_1)
	v_add_f64_e32 v[24:25], v[26:27], v[22:23]
	v_add_f64_e64 v[26:27], v[24:25], -v[26:27]
	v_ldexp_f64 v[24:25], v[24:25], -2
	s_delay_alu instid0(VALU_DEP_2) | instskip(NEXT) | instid1(VALU_DEP_2)
	v_add_f64_e64 v[22:23], v[22:23], -v[26:27]
	v_add_f64_e32 v[26:27], v[20:21], v[24:25]
	s_delay_alu instid0(VALU_DEP_2) | instskip(NEXT) | instid1(VALU_DEP_2)
	v_ldexp_f64 v[22:23], v[22:23], -2
	v_add_f64_e64 v[20:21], v[26:27], -v[20:21]
	s_delay_alu instid0(VALU_DEP_2) | instskip(NEXT) | instid1(VALU_DEP_2)
	v_add_f64_e32 v[18:19], v[18:19], v[22:23]
	v_add_f64_e64 v[20:21], v[24:25], -v[20:21]
	s_delay_alu instid0(VALU_DEP_1) | instskip(NEXT) | instid1(VALU_DEP_1)
	v_add_f64_e32 v[18:19], v[18:19], v[20:21]
	v_add_f64_e32 v[18:19], v[26:27], v[18:19]
	s_delay_alu instid0(VALU_DEP_1) | instskip(NEXT) | instid1(VALU_DEP_2)
	v_cndmask_b32_e32 v9, 0x7ff00000, v19, vcc_lo
	v_cndmask_b32_e32 v8, 0, v18, vcc_lo
	v_add_f64_e64 v[18:19], |v[2:3]|, s[12:13]
	v_cmp_nge_f64_e64 vcc_lo, |v[2:3]|, s[14:15]
	s_delay_alu instid0(VALU_DEP_2) | instskip(NEXT) | instid1(VALU_DEP_1)
	v_add_f64_e64 v[20:21], v[18:19], -|v[2:3]|
	v_add_f64_e64 v[22:23], v[20:21], -v[18:19]
	v_add_f64_e32 v[20:21], 0x3fe62e42fefa39ef, v[20:21]
	s_delay_alu instid0(VALU_DEP_2) | instskip(NEXT) | instid1(VALU_DEP_1)
	v_add_f64_e64 v[22:23], |v[2:3]|, v[22:23]
	v_add_f64_e64 v[20:21], v[22:23], -v[20:21]
	s_delay_alu instid0(VALU_DEP_1) | instskip(NEXT) | instid1(VALU_DEP_1)
	v_add_f64_e32 v[20:21], 0xbc7abc9e3b39803f, v[20:21]
	v_add_f64_e32 v[22:23], v[18:19], v[20:21]
	s_delay_alu instid0(VALU_DEP_1) | instskip(NEXT) | instid1(VALU_DEP_1)
	v_add_f64_e64 v[18:19], v[18:19], -v[22:23]
	v_add_f64_e32 v[18:19], v[20:21], v[18:19]
	v_mul_f64_e32 v[20:21], 0x3ff71547652b82fe, v[22:23]
	s_delay_alu instid0(VALU_DEP_1) | instskip(NEXT) | instid1(VALU_DEP_1)
	v_rndne_f64_e32 v[20:21], v[20:21]
	v_fmac_f64_e32 v[22:23], 0xbfe62e42fefa3000, v[20:21]
	v_cvt_i32_f64_e32 v1, v[20:21]
	s_delay_alu instid0(VALU_DEP_2) | instskip(NEXT) | instid1(VALU_DEP_1)
	v_add_f64_e32 v[24:25], v[18:19], v[22:23]
	v_add_f64_e64 v[22:23], v[22:23], -v[24:25]
	s_delay_alu instid0(VALU_DEP_1) | instskip(SKIP_1) | instid1(VALU_DEP_1)
	v_add_f64_e32 v[18:19], v[18:19], v[22:23]
	v_mul_f64_e32 v[22:23], 0x3d53de6af278e000, v[20:21]
	v_add_f64_e64 v[26:27], v[24:25], -v[22:23]
	s_delay_alu instid0(VALU_DEP_1) | instskip(NEXT) | instid1(VALU_DEP_1)
	v_add_f64_e64 v[24:25], v[24:25], -v[26:27]
	v_add_f64_e64 v[22:23], v[24:25], -v[22:23]
	s_delay_alu instid0(VALU_DEP_1) | instskip(NEXT) | instid1(VALU_DEP_1)
	v_add_f64_e32 v[18:19], v[18:19], v[22:23]
	v_add_f64_e32 v[22:23], v[26:27], v[18:19]
	s_delay_alu instid0(VALU_DEP_1) | instskip(NEXT) | instid1(VALU_DEP_1)
	v_add_f64_e64 v[24:25], v[26:27], -v[22:23]
	v_add_f64_e32 v[18:19], v[18:19], v[24:25]
	v_mul_f64_e32 v[24:25], 0x3ac9cc01f97b57a0, v[20:21]
	s_delay_alu instid0(VALU_DEP_1) | instskip(NEXT) | instid1(VALU_DEP_1)
	v_add_f64_e64 v[26:27], v[22:23], -v[24:25]
	v_add_f64_e64 v[22:23], v[22:23], -v[26:27]
	s_delay_alu instid0(VALU_DEP_1) | instskip(NEXT) | instid1(VALU_DEP_1)
	v_add_f64_e64 v[22:23], v[22:23], -v[24:25]
	v_add_f64_e32 v[18:19], v[18:19], v[22:23]
	s_delay_alu instid0(VALU_DEP_1) | instskip(NEXT) | instid1(VALU_DEP_1)
	v_add_f64_e32 v[22:23], v[26:27], v[18:19]
	v_add_f64_e64 v[24:25], v[26:27], -v[22:23]
	v_mul_f64_e32 v[26:27], v[22:23], v[22:23]
	s_delay_alu instid0(VALU_DEP_2) | instskip(NEXT) | instid1(VALU_DEP_2)
	v_add_f64_e32 v[18:19], v[18:19], v[24:25]
	v_fma_f64 v[28:29], v[22:23], v[22:23], -v[26:27]
	v_fmamk_f64 v[24:25], v[22:23], 0x3e5ade156a5dcb37, v[12:13]
	s_delay_alu instid0(VALU_DEP_1) | instskip(NEXT) | instid1(VALU_DEP_1)
	v_fmaak_f64 v[24:25], v[22:23], v[24:25], 0x3ec71dee623fde64
	v_fmaak_f64 v[24:25], v[22:23], v[24:25], 0x3efa01997c89e6b0
	s_delay_alu instid0(VALU_DEP_1) | instskip(NEXT) | instid1(VALU_DEP_1)
	v_fmaak_f64 v[24:25], v[22:23], v[24:25], 0x3f2a01a014761f6e
	v_fmaak_f64 v[24:25], v[22:23], v[24:25], 0x3f56c16c1852b7b0
	v_add_f64_e32 v[30:31], v[18:19], v[18:19]
	s_delay_alu instid0(VALU_DEP_2) | instskip(NEXT) | instid1(VALU_DEP_1)
	v_fmaak_f64 v[24:25], v[22:23], v[24:25], 0x3f81111111122322
	v_fmaak_f64 v[24:25], v[22:23], v[24:25], 0x3fa55555555502a1
	s_delay_alu instid0(VALU_DEP_1) | instskip(NEXT) | instid1(VALU_DEP_1)
	v_fmaak_f64 v[24:25], v[22:23], v[24:25], 0x3fc5555555555511
	v_fmaak_f64 v[24:25], v[22:23], v[24:25], 0x3fe000000000000b
	v_fmac_f64_e32 v[28:29], v[22:23], v[30:31]
	s_delay_alu instid0(VALU_DEP_1) | instskip(NEXT) | instid1(VALU_DEP_1)
	v_add_f64_e32 v[30:31], v[26:27], v[28:29]
	v_add_f64_e64 v[26:27], v[30:31], -v[26:27]
	s_delay_alu instid0(VALU_DEP_1) | instskip(SKIP_1) | instid1(VALU_DEP_1)
	v_add_f64_e64 v[26:27], v[28:29], -v[26:27]
	v_mul_f64_e32 v[28:29], v[30:31], v[24:25]
	v_fma_f64 v[30:31], v[30:31], v[24:25], -v[28:29]
	s_delay_alu instid0(VALU_DEP_1) | instskip(NEXT) | instid1(VALU_DEP_1)
	v_fmac_f64_e32 v[30:31], v[26:27], v[24:25]
	v_add_f64_e32 v[24:25], v[28:29], v[30:31]
	s_delay_alu instid0(VALU_DEP_1) | instskip(SKIP_1) | instid1(VALU_DEP_2)
	v_add_f64_e64 v[26:27], v[24:25], -v[28:29]
	v_add_f64_e32 v[28:29], v[22:23], v[24:25]
	v_add_f64_e64 v[26:27], v[30:31], -v[26:27]
	s_delay_alu instid0(VALU_DEP_2) | instskip(NEXT) | instid1(VALU_DEP_2)
	v_add_f64_e64 v[22:23], v[28:29], -v[22:23]
	v_add_f64_e32 v[18:19], v[18:19], v[26:27]
	s_delay_alu instid0(VALU_DEP_2) | instskip(NEXT) | instid1(VALU_DEP_1)
	v_add_f64_e64 v[22:23], v[24:25], -v[22:23]
	v_add_f64_e32 v[18:19], v[18:19], v[22:23]
	s_delay_alu instid0(VALU_DEP_1) | instskip(NEXT) | instid1(VALU_DEP_1)
	v_add_f64_e32 v[22:23], v[28:29], v[18:19]
	v_add_f64_e64 v[24:25], v[22:23], -v[28:29]
	s_delay_alu instid0(VALU_DEP_1) | instskip(SKIP_1) | instid1(VALU_DEP_1)
	v_add_f64_e64 v[18:19], v[18:19], -v[24:25]
	v_add_f64_e32 v[24:25], 1.0, v[22:23]
	v_add_f64_e32 v[26:27], -1.0, v[24:25]
	s_delay_alu instid0(VALU_DEP_1) | instskip(NEXT) | instid1(VALU_DEP_1)
	v_add_f64_e64 v[22:23], v[22:23], -v[26:27]
	v_add_f64_e32 v[18:19], v[18:19], v[22:23]
	s_delay_alu instid0(VALU_DEP_1) | instskip(NEXT) | instid1(VALU_DEP_1)
	v_add_f64_e32 v[22:23], v[24:25], v[18:19]
	v_ldexp_f64 v[20:21], v[22:23], v1
	v_add_f64_e64 v[24:25], v[22:23], -v[24:25]
	s_delay_alu instid0(VALU_DEP_2) | instskip(NEXT) | instid1(VALU_DEP_1)
	v_rcp_f64_e32 v[22:23], v[20:21]
	v_add_f64_e64 v[18:19], v[18:19], -v[24:25]
	s_delay_alu instid0(VALU_DEP_1) | instskip(NEXT) | instid1(TRANS32_DEP_1)
	v_ldexp_f64 v[18:19], v[18:19], v1
	v_fma_f64 v[24:25], -v[20:21], v[22:23], 1.0
	s_delay_alu instid0(VALU_DEP_1) | instskip(NEXT) | instid1(VALU_DEP_1)
	v_fmac_f64_e32 v[22:23], v[24:25], v[22:23]
	v_fma_f64 v[24:25], -v[20:21], v[22:23], 1.0
	s_delay_alu instid0(VALU_DEP_1) | instskip(NEXT) | instid1(VALU_DEP_1)
	v_fmac_f64_e32 v[22:23], v[24:25], v[22:23]
	v_mul_f64_e32 v[24:25], v[20:21], v[22:23]
	s_delay_alu instid0(VALU_DEP_1) | instskip(NEXT) | instid1(VALU_DEP_1)
	v_fma_f64 v[26:27], v[22:23], v[20:21], -v[24:25]
	v_fmac_f64_e32 v[26:27], v[22:23], v[18:19]
	s_delay_alu instid0(VALU_DEP_1) | instskip(NEXT) | instid1(VALU_DEP_1)
	v_add_f64_e32 v[28:29], v[24:25], v[26:27]
	v_add_f64_e64 v[30:31], -v[28:29], 1.0
	v_add_f64_e64 v[24:25], v[28:29], -v[24:25]
	s_delay_alu instid0(VALU_DEP_2) | instskip(NEXT) | instid1(VALU_DEP_2)
	v_add_f64_e64 v[32:33], -v[30:31], 1.0
	v_add_f64_e64 v[24:25], v[24:25], -v[26:27]
	s_delay_alu instid0(VALU_DEP_2) | instskip(NEXT) | instid1(VALU_DEP_1)
	v_add_f64_e64 v[28:29], v[32:33], -v[28:29]
	v_add_f64_e32 v[24:25], v[24:25], v[28:29]
	s_delay_alu instid0(VALU_DEP_1) | instskip(NEXT) | instid1(VALU_DEP_1)
	v_add_f64_e32 v[26:27], v[30:31], v[24:25]
	v_add_f64_e64 v[28:29], v[30:31], -v[26:27]
	s_delay_alu instid0(VALU_DEP_1) | instskip(SKIP_1) | instid1(VALU_DEP_1)
	v_add_f64_e32 v[24:25], v[24:25], v[28:29]
	v_mul_f64_e32 v[28:29], v[22:23], v[26:27]
	v_mul_f64_e32 v[30:31], v[20:21], v[28:29]
	s_delay_alu instid0(VALU_DEP_1) | instskip(NEXT) | instid1(VALU_DEP_1)
	v_fma_f64 v[32:33], v[28:29], v[20:21], -v[30:31]
	v_fmac_f64_e32 v[32:33], v[28:29], v[18:19]
	s_delay_alu instid0(VALU_DEP_1) | instskip(NEXT) | instid1(VALU_DEP_1)
	v_add_f64_e32 v[34:35], v[30:31], v[32:33]
	v_add_f64_e64 v[36:37], v[26:27], -v[34:35]
	v_add_f64_e64 v[30:31], v[34:35], -v[30:31]
	s_delay_alu instid0(VALU_DEP_2) | instskip(NEXT) | instid1(VALU_DEP_1)
	v_add_f64_e64 v[26:27], v[26:27], -v[36:37]
	v_add_f64_e64 v[26:27], v[26:27], -v[34:35]
	s_delay_alu instid0(VALU_DEP_1) | instskip(NEXT) | instid1(VALU_DEP_4)
	v_add_f64_e32 v[24:25], v[24:25], v[26:27]
	v_add_f64_e64 v[26:27], v[30:31], -v[32:33]
	s_delay_alu instid0(VALU_DEP_1) | instskip(SKIP_1) | instid1(VALU_DEP_2)
	v_add_f64_e32 v[24:25], v[26:27], v[24:25]
	v_add_f64_e32 v[26:27], v[22:23], v[28:29]
	;; [unrolled: 1-line block ×3, first 2 shown]
	s_delay_alu instid0(VALU_DEP_1) | instskip(NEXT) | instid1(VALU_DEP_3)
	v_mul_f64_e32 v[24:25], v[22:23], v[24:25]
	v_add_f64_e64 v[22:23], v[26:27], -v[22:23]
	s_delay_alu instid0(VALU_DEP_1) | instskip(NEXT) | instid1(VALU_DEP_1)
	v_add_f64_e64 v[22:23], v[28:29], -v[22:23]
	v_add_f64_e32 v[22:23], v[22:23], v[24:25]
	s_delay_alu instid0(VALU_DEP_1) | instskip(NEXT) | instid1(VALU_DEP_1)
	v_add_f64_e32 v[24:25], v[26:27], v[22:23]
	v_add_f64_e64 v[26:27], v[24:25], -v[26:27]
	v_ldexp_f64 v[24:25], v[24:25], -2
	s_delay_alu instid0(VALU_DEP_2) | instskip(NEXT) | instid1(VALU_DEP_2)
	v_add_f64_e64 v[22:23], v[22:23], -v[26:27]
	v_add_f64_e32 v[26:27], v[20:21], v[24:25]
	s_delay_alu instid0(VALU_DEP_2) | instskip(NEXT) | instid1(VALU_DEP_2)
	v_ldexp_f64 v[22:23], v[22:23], -2
	v_add_f64_e64 v[20:21], v[26:27], -v[20:21]
	s_delay_alu instid0(VALU_DEP_2) | instskip(NEXT) | instid1(VALU_DEP_2)
	v_add_f64_e32 v[18:19], v[18:19], v[22:23]
	v_add_f64_e64 v[20:21], v[24:25], -v[20:21]
	s_delay_alu instid0(VALU_DEP_1) | instskip(NEXT) | instid1(VALU_DEP_1)
	v_add_f64_e32 v[18:19], v[18:19], v[20:21]
	v_add_f64_e32 v[18:19], v[26:27], v[18:19]
	s_delay_alu instid0(VALU_DEP_1) | instskip(NEXT) | instid1(VALU_DEP_2)
	v_cndmask_b32_e32 v3, 0x7ff00000, v19, vcc_lo
	v_cndmask_b32_e32 v2, 0, v18, vcc_lo
	v_add_f64_e64 v[18:19], |v[4:5]|, s[12:13]
	v_cmp_nge_f64_e64 vcc_lo, |v[4:5]|, s[14:15]
	s_delay_alu instid0(VALU_DEP_2) | instskip(NEXT) | instid1(VALU_DEP_1)
	v_add_f64_e64 v[20:21], v[18:19], -|v[4:5]|
	v_add_f64_e64 v[22:23], v[20:21], -v[18:19]
	v_add_f64_e32 v[20:21], 0x3fe62e42fefa39ef, v[20:21]
	s_delay_alu instid0(VALU_DEP_2) | instskip(NEXT) | instid1(VALU_DEP_1)
	v_add_f64_e64 v[22:23], |v[4:5]|, v[22:23]
	v_add_f64_e64 v[20:21], v[22:23], -v[20:21]
	s_delay_alu instid0(VALU_DEP_1) | instskip(NEXT) | instid1(VALU_DEP_1)
	v_add_f64_e32 v[20:21], 0xbc7abc9e3b39803f, v[20:21]
	v_add_f64_e32 v[22:23], v[18:19], v[20:21]
	s_delay_alu instid0(VALU_DEP_1) | instskip(NEXT) | instid1(VALU_DEP_1)
	v_add_f64_e64 v[18:19], v[18:19], -v[22:23]
	v_add_f64_e32 v[18:19], v[20:21], v[18:19]
	v_mul_f64_e32 v[20:21], 0x3ff71547652b82fe, v[22:23]
	s_delay_alu instid0(VALU_DEP_1) | instskip(NEXT) | instid1(VALU_DEP_1)
	v_rndne_f64_e32 v[24:25], v[20:21]
	v_fmac_f64_e32 v[22:23], 0xbfe62e42fefa3000, v[24:25]
	v_cvt_i32_f64_e32 v1, v[24:25]
	s_delay_alu instid0(VALU_DEP_2) | instskip(NEXT) | instid1(VALU_DEP_1)
	v_add_f64_e32 v[20:21], v[18:19], v[22:23]
	v_add_f64_e64 v[22:23], v[22:23], -v[20:21]
	s_delay_alu instid0(VALU_DEP_1) | instskip(SKIP_1) | instid1(VALU_DEP_1)
	v_add_f64_e32 v[18:19], v[18:19], v[22:23]
	v_mul_f64_e32 v[22:23], 0x3d53de6af278e000, v[24:25]
	v_add_f64_e64 v[26:27], v[20:21], -v[22:23]
	s_delay_alu instid0(VALU_DEP_1) | instskip(NEXT) | instid1(VALU_DEP_1)
	v_add_f64_e64 v[20:21], v[20:21], -v[26:27]
	v_add_f64_e64 v[20:21], v[20:21], -v[22:23]
	s_delay_alu instid0(VALU_DEP_1) | instskip(NEXT) | instid1(VALU_DEP_1)
	v_add_f64_e32 v[18:19], v[18:19], v[20:21]
	v_add_f64_e32 v[20:21], v[26:27], v[18:19]
	s_delay_alu instid0(VALU_DEP_1) | instskip(NEXT) | instid1(VALU_DEP_1)
	v_add_f64_e64 v[22:23], v[26:27], -v[20:21]
	v_add_f64_e32 v[18:19], v[18:19], v[22:23]
	v_mul_f64_e32 v[22:23], 0x3ac9cc01f97b57a0, v[24:25]
	s_delay_alu instid0(VALU_DEP_1) | instskip(NEXT) | instid1(VALU_DEP_1)
	v_add_f64_e64 v[26:27], v[20:21], -v[22:23]
	v_add_f64_e64 v[20:21], v[20:21], -v[26:27]
	s_delay_alu instid0(VALU_DEP_1) | instskip(NEXT) | instid1(VALU_DEP_1)
	v_add_f64_e64 v[20:21], v[20:21], -v[22:23]
	v_add_f64_e32 v[18:19], v[18:19], v[20:21]
	s_delay_alu instid0(VALU_DEP_1) | instskip(NEXT) | instid1(VALU_DEP_1)
	v_add_f64_e32 v[20:21], v[26:27], v[18:19]
	v_add_f64_e64 v[22:23], v[26:27], -v[20:21]
	v_mul_f64_e32 v[26:27], v[20:21], v[20:21]
	s_delay_alu instid0(VALU_DEP_2) | instskip(NEXT) | instid1(VALU_DEP_2)
	v_add_f64_e32 v[18:19], v[18:19], v[22:23]
	v_fma_f64 v[28:29], v[20:21], v[20:21], -v[26:27]
	v_fmamk_f64 v[22:23], v[20:21], 0x3e5ade156a5dcb37, v[12:13]
	s_delay_alu instid0(VALU_DEP_1) | instskip(NEXT) | instid1(VALU_DEP_1)
	v_fmaak_f64 v[22:23], v[20:21], v[22:23], 0x3ec71dee623fde64
	v_fmaak_f64 v[22:23], v[20:21], v[22:23], 0x3efa01997c89e6b0
	s_delay_alu instid0(VALU_DEP_1) | instskip(NEXT) | instid1(VALU_DEP_1)
	v_fmaak_f64 v[22:23], v[20:21], v[22:23], 0x3f2a01a014761f6e
	v_fmaak_f64 v[22:23], v[20:21], v[22:23], 0x3f56c16c1852b7b0
	v_add_f64_e32 v[30:31], v[18:19], v[18:19]
	s_delay_alu instid0(VALU_DEP_2) | instskip(NEXT) | instid1(VALU_DEP_1)
	v_fmaak_f64 v[22:23], v[20:21], v[22:23], 0x3f81111111122322
	v_fmaak_f64 v[22:23], v[20:21], v[22:23], 0x3fa55555555502a1
	s_delay_alu instid0(VALU_DEP_1) | instskip(NEXT) | instid1(VALU_DEP_1)
	v_fmaak_f64 v[22:23], v[20:21], v[22:23], 0x3fc5555555555511
	v_fmaak_f64 v[22:23], v[20:21], v[22:23], 0x3fe000000000000b
	v_fmac_f64_e32 v[28:29], v[20:21], v[30:31]
	s_delay_alu instid0(VALU_DEP_1) | instskip(NEXT) | instid1(VALU_DEP_1)
	v_add_f64_e32 v[30:31], v[26:27], v[28:29]
	v_add_f64_e64 v[26:27], v[30:31], -v[26:27]
	s_delay_alu instid0(VALU_DEP_1) | instskip(SKIP_1) | instid1(VALU_DEP_1)
	v_add_f64_e64 v[26:27], v[28:29], -v[26:27]
	v_mul_f64_e32 v[28:29], v[30:31], v[22:23]
	v_fma_f64 v[30:31], v[30:31], v[22:23], -v[28:29]
	s_delay_alu instid0(VALU_DEP_1) | instskip(NEXT) | instid1(VALU_DEP_1)
	v_fmac_f64_e32 v[30:31], v[26:27], v[22:23]
	v_add_f64_e32 v[22:23], v[28:29], v[30:31]
	s_delay_alu instid0(VALU_DEP_1) | instskip(SKIP_1) | instid1(VALU_DEP_2)
	v_add_f64_e64 v[26:27], v[22:23], -v[28:29]
	v_add_f64_e32 v[28:29], v[20:21], v[22:23]
	v_add_f64_e64 v[26:27], v[30:31], -v[26:27]
	s_delay_alu instid0(VALU_DEP_2) | instskip(NEXT) | instid1(VALU_DEP_2)
	v_add_f64_e64 v[20:21], v[28:29], -v[20:21]
	v_add_f64_e32 v[18:19], v[18:19], v[26:27]
	s_delay_alu instid0(VALU_DEP_2) | instskip(NEXT) | instid1(VALU_DEP_1)
	v_add_f64_e64 v[20:21], v[22:23], -v[20:21]
	v_add_f64_e32 v[18:19], v[18:19], v[20:21]
	s_delay_alu instid0(VALU_DEP_1) | instskip(NEXT) | instid1(VALU_DEP_1)
	v_add_f64_e32 v[20:21], v[28:29], v[18:19]
	v_add_f64_e64 v[22:23], v[20:21], -v[28:29]
	s_delay_alu instid0(VALU_DEP_1) | instskip(SKIP_1) | instid1(VALU_DEP_1)
	v_add_f64_e64 v[18:19], v[18:19], -v[22:23]
	v_add_f64_e32 v[22:23], 1.0, v[20:21]
	v_add_f64_e32 v[26:27], -1.0, v[22:23]
	s_delay_alu instid0(VALU_DEP_1) | instskip(NEXT) | instid1(VALU_DEP_1)
	v_add_f64_e64 v[20:21], v[20:21], -v[26:27]
	v_add_f64_e32 v[20:21], v[18:19], v[20:21]
	s_delay_alu instid0(VALU_DEP_1) | instskip(NEXT) | instid1(VALU_DEP_1)
	v_add_f64_e32 v[18:19], v[22:23], v[20:21]
	v_add_f64_e64 v[22:23], v[18:19], -v[22:23]
	v_ldexp_f64 v[18:19], v[18:19], v1
	s_delay_alu instid0(VALU_DEP_2) | instskip(NEXT) | instid1(VALU_DEP_2)
	v_add_f64_e64 v[20:21], v[20:21], -v[22:23]
	v_rcp_f64_e32 v[22:23], v[18:19]
	s_delay_alu instid0(VALU_DEP_1) | instskip(NEXT) | instid1(TRANS32_DEP_1)
	v_ldexp_f64 v[20:21], v[20:21], v1
	v_fma_f64 v[24:25], -v[18:19], v[22:23], 1.0
	s_delay_alu instid0(VALU_DEP_1) | instskip(NEXT) | instid1(VALU_DEP_1)
	v_fmac_f64_e32 v[22:23], v[24:25], v[22:23]
	v_fma_f64 v[24:25], -v[18:19], v[22:23], 1.0
	s_delay_alu instid0(VALU_DEP_1) | instskip(NEXT) | instid1(VALU_DEP_1)
	v_fmac_f64_e32 v[22:23], v[24:25], v[22:23]
	v_mul_f64_e32 v[24:25], v[18:19], v[22:23]
	s_delay_alu instid0(VALU_DEP_1) | instskip(NEXT) | instid1(VALU_DEP_1)
	v_fma_f64 v[26:27], v[22:23], v[18:19], -v[24:25]
	v_fmac_f64_e32 v[26:27], v[22:23], v[20:21]
	s_delay_alu instid0(VALU_DEP_1) | instskip(NEXT) | instid1(VALU_DEP_1)
	v_add_f64_e32 v[28:29], v[24:25], v[26:27]
	v_add_f64_e64 v[30:31], -v[28:29], 1.0
	v_add_f64_e64 v[24:25], v[28:29], -v[24:25]
	s_delay_alu instid0(VALU_DEP_2) | instskip(NEXT) | instid1(VALU_DEP_2)
	v_add_f64_e64 v[32:33], -v[30:31], 1.0
	v_add_f64_e64 v[24:25], v[24:25], -v[26:27]
	s_delay_alu instid0(VALU_DEP_2) | instskip(NEXT) | instid1(VALU_DEP_1)
	v_add_f64_e64 v[28:29], v[32:33], -v[28:29]
	v_add_f64_e32 v[24:25], v[24:25], v[28:29]
	s_delay_alu instid0(VALU_DEP_1) | instskip(NEXT) | instid1(VALU_DEP_1)
	v_add_f64_e32 v[26:27], v[30:31], v[24:25]
	v_add_f64_e64 v[28:29], v[30:31], -v[26:27]
	s_delay_alu instid0(VALU_DEP_1) | instskip(SKIP_1) | instid1(VALU_DEP_1)
	v_add_f64_e32 v[24:25], v[24:25], v[28:29]
	v_mul_f64_e32 v[28:29], v[22:23], v[26:27]
	v_mul_f64_e32 v[30:31], v[18:19], v[28:29]
	s_delay_alu instid0(VALU_DEP_1) | instskip(NEXT) | instid1(VALU_DEP_1)
	v_fma_f64 v[32:33], v[28:29], v[18:19], -v[30:31]
	v_fmac_f64_e32 v[32:33], v[28:29], v[20:21]
	s_delay_alu instid0(VALU_DEP_1) | instskip(NEXT) | instid1(VALU_DEP_1)
	v_add_f64_e32 v[34:35], v[30:31], v[32:33]
	v_add_f64_e64 v[36:37], v[26:27], -v[34:35]
	v_add_f64_e64 v[30:31], v[34:35], -v[30:31]
	s_delay_alu instid0(VALU_DEP_2) | instskip(NEXT) | instid1(VALU_DEP_1)
	v_add_f64_e64 v[26:27], v[26:27], -v[36:37]
	v_add_f64_e64 v[26:27], v[26:27], -v[34:35]
	s_delay_alu instid0(VALU_DEP_1) | instskip(NEXT) | instid1(VALU_DEP_4)
	v_add_f64_e32 v[24:25], v[24:25], v[26:27]
	v_add_f64_e64 v[26:27], v[30:31], -v[32:33]
	s_delay_alu instid0(VALU_DEP_1) | instskip(SKIP_1) | instid1(VALU_DEP_2)
	v_add_f64_e32 v[24:25], v[26:27], v[24:25]
	v_add_f64_e32 v[26:27], v[22:23], v[28:29]
	;; [unrolled: 1-line block ×3, first 2 shown]
	s_delay_alu instid0(VALU_DEP_1) | instskip(NEXT) | instid1(VALU_DEP_3)
	v_mul_f64_e32 v[24:25], v[22:23], v[24:25]
	v_add_f64_e64 v[22:23], v[26:27], -v[22:23]
	s_delay_alu instid0(VALU_DEP_1) | instskip(NEXT) | instid1(VALU_DEP_1)
	v_add_f64_e64 v[22:23], v[28:29], -v[22:23]
	v_add_f64_e32 v[22:23], v[22:23], v[24:25]
	s_delay_alu instid0(VALU_DEP_1) | instskip(NEXT) | instid1(VALU_DEP_1)
	v_add_f64_e32 v[24:25], v[26:27], v[22:23]
	v_add_f64_e64 v[26:27], v[24:25], -v[26:27]
	v_ldexp_f64 v[24:25], v[24:25], -2
	s_delay_alu instid0(VALU_DEP_2) | instskip(NEXT) | instid1(VALU_DEP_2)
	v_add_f64_e64 v[22:23], v[22:23], -v[26:27]
	v_add_f64_e32 v[26:27], v[18:19], v[24:25]
	s_delay_alu instid0(VALU_DEP_2) | instskip(NEXT) | instid1(VALU_DEP_2)
	v_ldexp_f64 v[22:23], v[22:23], -2
	v_add_f64_e64 v[18:19], v[26:27], -v[18:19]
	s_delay_alu instid0(VALU_DEP_2) | instskip(NEXT) | instid1(VALU_DEP_2)
	v_add_f64_e32 v[20:21], v[20:21], v[22:23]
	v_add_f64_e64 v[18:19], v[24:25], -v[18:19]
	s_delay_alu instid0(VALU_DEP_1) | instskip(NEXT) | instid1(VALU_DEP_1)
	v_add_f64_e32 v[18:19], v[20:21], v[18:19]
	v_add_f64_e32 v[18:19], v[26:27], v[18:19]
	s_delay_alu instid0(VALU_DEP_1) | instskip(NEXT) | instid1(VALU_DEP_2)
	v_cndmask_b32_e32 v5, 0x7ff00000, v19, vcc_lo
	v_cndmask_b32_e32 v4, 0, v18, vcc_lo
	v_add_nc_u64_e32 v[18:19], s[6:7], v[14:15]
	s_clause 0x1
	global_store_b128 v[18:19], v[6:9], off
	global_store_b128 v[18:19], v[2:5], off offset:16
	s_wait_xcnt 0x0
	v_lshlrev_b64_e32 v[2:3], 2, v[16:17]
	v_add_nc_u64_e32 v[14:15], s[16:17], v[14:15]
	s_delay_alu instid0(VALU_DEP_2) | instskip(SKIP_1) | instid1(SALU_CYCLE_1)
	v_cmp_ge_i64_e32 vcc_lo, v[2:3], v[10:11]
	s_or_b32 s19, vcc_lo, s19
	s_and_not1_b32 exec_lo, exec_lo, s19
	s_cbranch_execnz .LBB77_3
.LBB77_4:
	s_or_b32 exec_lo, exec_lo, s18
	s_mov_b32 s10, 0
.LBB77_5:
	s_delay_alu instid0(SALU_CYCLE_1)
	s_and_not1_b32 vcc_lo, exec_lo, s10
	s_cbranch_vccnz .LBB77_25
; %bb.6:
	v_cmp_lt_i64_e64 s10, s[8:9], 1
	s_and_b32 vcc_lo, exec_lo, s10
	s_cbranch_vccnz .LBB77_25
; %bb.7:
	s_load_b32 s0, s[0:1], 0xc5c
	v_min_i64 v[2:3], 0x10000, s[8:9]
	v_min_u64 v[4:5], 0x10000, s[8:9]
	v_dual_mov_b32 v1, 0 :: v_dual_lshlrev_b32 v12, 3, v0
	s_mov_b32 s11, 0
	v_mov_b64_e32 v[6:7], 0x3e928af3fca7ab0c
	s_mov_b32 s13, s11
	s_delay_alu instid0(VALU_DEP_2) | instskip(SKIP_3) | instid1(VALU_DEP_1)
	v_dual_mov_b32 v13, v1 :: v_dual_mov_b32 v29, v1
	s_wait_xcnt 0x0
	s_mov_b32 s1, s11
	s_mov_b32 s9, s11
                                        ; implicit-def: $vgpr30_vgpr31
                                        ; implicit-def: $vgpr30_vgpr31
	;; [unrolled: 1-line block ×8, first 2 shown]
	v_add_nc_u64_e32 v[8:9], s[2:3], v[12:13]
	s_wait_kmcnt 0x0
	s_and_b32 s10, s0, 0xffff
	s_delay_alu instid0(SALU_CYCLE_1)
	v_add_nc_u64_e32 v[10:11], s[10:11], v[0:1]
	v_mad_nc_u64_u32 v[24:25], s10, 24, v[12:13]
	s_lshl_b32 s12, s10, 4
	s_mul_i32 s8, s10, 3
	v_add_nc_u64_e32 v[20:21], s[12:13], v[12:13]
	s_lshl_b32 s0, s10, 1
	v_add_nc_u64_e32 v[12:13], s[6:7], v[12:13]
	v_lshlrev_b32_e32 v28, 3, v10
	v_add_nc_u64_e32 v[14:15], s[8:9], v[0:1]
	v_add_nc_u64_e32 v[16:17], s[0:1], v[0:1]
	s_lshl_b32 s8, s10, 2
	v_add_nc_u64_e32 v[18:19], s[2:3], v[20:21]
	v_add_nc_u64_e32 v[20:21], s[6:7], v[20:21]
	;; [unrolled: 1-line block ×6, first 2 shown]
	s_mov_b64 s[6:7], 0x408633ce8fb9f87e
	s_lshl_b32 s10, s10, 5
	s_mov_b64 s[12:13], 0
	s_branch .LBB77_9
.LBB77_8:                               ;   in Loop: Header=BB77_9 Depth=1
	s_wait_xcnt 0x0
	s_or_b32 exec_lo, exec_lo, s0
	s_add_nc_u64 s[12:13], s[12:13], s[8:9]
	v_add_nc_u64_e32 v[8:9], s[10:11], v[8:9]
	v_cmp_ge_i64_e32 vcc_lo, s[12:13], v[2:3]
	v_add_nc_u64_e32 v[12:13], s[10:11], v[12:13]
	v_add_nc_u64_e32 v[22:23], s[10:11], v[22:23]
	;; [unrolled: 1-line block ×7, first 2 shown]
	s_cbranch_vccnz .LBB77_25
.LBB77_9:                               ; =>This Inner Loop Header: Depth=1
	v_add_nc_u64_e32 v[30:31], s[12:13], v[0:1]
	v_mov_b64_e32 v[34:35], 0
	v_mov_b64_e32 v[36:37], 0
	s_delay_alu instid0(VALU_DEP_3)
	v_cmp_lt_u64_e64 s2, v[30:31], v[4:5]
	s_and_saveexec_b32 s0, s2
	s_cbranch_execz .LBB77_11
; %bb.10:                               ;   in Loop: Header=BB77_9 Depth=1
	v_add_nc_u64_e32 v[30:31], s[4:5], v[8:9]
	global_load_b64 v[36:37], v[30:31], off
	s_wait_loadcnt 0x0
	v_and_b32_e32 v37, 0x7fffffff, v37
.LBB77_11:                              ;   in Loop: Header=BB77_9 Depth=1
	s_wait_xcnt 0x0
	s_or_b32 exec_lo, exec_lo, s0
	v_add_nc_u64_e32 v[30:31], s[12:13], v[10:11]
	s_delay_alu instid0(VALU_DEP_1)
	v_cmp_lt_u64_e64 s1, v[30:31], v[4:5]
	s_and_saveexec_b32 s0, s1
	s_cbranch_execz .LBB77_13
; %bb.12:                               ;   in Loop: Header=BB77_9 Depth=1
	v_add_nc_u64_e32 v[30:31], s[4:5], v[26:27]
	global_load_b64 v[34:35], v[30:31], off
	s_wait_loadcnt 0x0
	v_and_b32_e32 v35, 0x7fffffff, v35
.LBB77_13:                              ;   in Loop: Header=BB77_9 Depth=1
	s_wait_xcnt 0x0
	s_or_b32 exec_lo, exec_lo, s0
	v_add_nc_u64_e32 v[32:33], s[12:13], v[16:17]
	v_mov_b64_e32 v[30:31], 0
	s_delay_alu instid0(VALU_DEP_2)
	v_cmp_lt_u64_e64 s0, v[32:33], v[4:5]
	v_mov_b64_e32 v[32:33], 0
	s_and_saveexec_b32 s3, s0
	s_cbranch_execz .LBB77_15
; %bb.14:                               ;   in Loop: Header=BB77_9 Depth=1
	v_add_nc_u64_e32 v[32:33], s[4:5], v[18:19]
	global_load_b64 v[32:33], v[32:33], off
	s_wait_loadcnt 0x0
	v_and_b32_e32 v33, 0x7fffffff, v33
.LBB77_15:                              ;   in Loop: Header=BB77_9 Depth=1
	s_or_b32 exec_lo, exec_lo, s3
	v_add_nc_u64_e32 v[38:39], s[12:13], v[14:15]
	s_delay_alu instid0(VALU_DEP_1)
	v_cmp_lt_u64_e32 vcc_lo, v[38:39], v[4:5]
	s_and_saveexec_b32 s3, vcc_lo
	s_cbranch_execnz .LBB77_20
; %bb.16:                               ;   in Loop: Header=BB77_9 Depth=1
	s_or_b32 exec_lo, exec_lo, s3
	s_and_saveexec_b32 s3, s2
	s_cbranch_execnz .LBB77_21
.LBB77_17:                              ;   in Loop: Header=BB77_9 Depth=1
	s_or_b32 exec_lo, exec_lo, s3
	s_and_saveexec_b32 s2, s1
	s_cbranch_execnz .LBB77_22
.LBB77_18:                              ;   in Loop: Header=BB77_9 Depth=1
	s_or_b32 exec_lo, exec_lo, s2
	s_and_saveexec_b32 s1, s0
	s_cbranch_execnz .LBB77_23
.LBB77_19:                              ;   in Loop: Header=BB77_9 Depth=1
	s_or_b32 exec_lo, exec_lo, s1
	s_and_saveexec_b32 s0, vcc_lo
	s_cbranch_execz .LBB77_8
	s_branch .LBB77_24
.LBB77_20:                              ;   in Loop: Header=BB77_9 Depth=1
	v_add_nc_u64_e32 v[30:31], s[4:5], v[22:23]
	global_load_b64 v[30:31], v[30:31], off
	s_wait_loadcnt 0x0
	v_and_b32_e32 v31, 0x7fffffff, v31
	s_or_b32 exec_lo, exec_lo, s3
	s_and_saveexec_b32 s3, s2
	s_cbranch_execz .LBB77_17
.LBB77_21:                              ;   in Loop: Header=BB77_9 Depth=1
	v_add_f64_e32 v[38:39], 0xbfe62e42fefa39ef, v[36:37]
	v_cmp_nle_f64_e64 s2, s[6:7], v[36:37]
	s_delay_alu instid0(VALU_DEP_2) | instskip(NEXT) | instid1(VALU_DEP_1)
	v_add_f64_e64 v[40:41], v[38:39], -v[36:37]
	v_add_f64_e64 v[42:43], v[40:41], -v[38:39]
	v_add_f64_e32 v[40:41], 0x3fe62e42fefa39ef, v[40:41]
	s_delay_alu instid0(VALU_DEP_2) | instskip(SKIP_1) | instid1(VALU_DEP_2)
	v_add_f64_e32 v[42:43], v[36:37], v[42:43]
	v_add_nc_u64_e32 v[36:37], s[4:5], v[12:13]
	v_add_f64_e64 v[40:41], v[42:43], -v[40:41]
	s_delay_alu instid0(VALU_DEP_1) | instskip(NEXT) | instid1(VALU_DEP_1)
	v_add_f64_e32 v[40:41], 0xbc7abc9e3b39803f, v[40:41]
	v_add_f64_e32 v[42:43], v[38:39], v[40:41]
	s_delay_alu instid0(VALU_DEP_1) | instskip(SKIP_1) | instid1(VALU_DEP_2)
	v_mul_f64_e32 v[44:45], 0x3ff71547652b82fe, v[42:43]
	v_add_f64_e64 v[38:39], v[38:39], -v[42:43]
	v_rndne_f64_e32 v[44:45], v[44:45]
	s_delay_alu instid0(VALU_DEP_2) | instskip(NEXT) | instid1(VALU_DEP_2)
	v_add_f64_e32 v[38:39], v[40:41], v[38:39]
	v_fmac_f64_e32 v[42:43], 0xbfe62e42fefa3000, v[44:45]
	v_mul_f64_e32 v[40:41], 0xbd53de6af278e000, v[44:45]
	s_delay_alu instid0(VALU_DEP_2) | instskip(NEXT) | instid1(VALU_DEP_1)
	v_add_f64_e32 v[46:47], v[38:39], v[42:43]
	v_add_f64_e32 v[48:49], v[46:47], v[40:41]
	v_add_f64_e64 v[42:43], v[42:43], -v[46:47]
	s_delay_alu instid0(VALU_DEP_2) | instskip(NEXT) | instid1(VALU_DEP_2)
	v_add_f64_e64 v[46:47], v[46:47], -v[48:49]
	v_add_f64_e32 v[38:39], v[38:39], v[42:43]
	s_delay_alu instid0(VALU_DEP_2) | instskip(NEXT) | instid1(VALU_DEP_1)
	v_add_f64_e32 v[40:41], v[46:47], v[40:41]
	v_add_f64_e32 v[38:39], v[38:39], v[40:41]
	v_mul_f64_e32 v[40:41], 0xbac9cc01f97b57a0, v[44:45]
	s_delay_alu instid0(VALU_DEP_2) | instskip(NEXT) | instid1(VALU_DEP_1)
	v_add_f64_e32 v[42:43], v[48:49], v[38:39]
	v_add_f64_e32 v[46:47], v[42:43], v[40:41]
	v_add_f64_e64 v[48:49], v[48:49], -v[42:43]
	s_delay_alu instid0(VALU_DEP_2) | instskip(NEXT) | instid1(VALU_DEP_2)
	v_add_f64_e64 v[42:43], v[42:43], -v[46:47]
	v_add_f64_e32 v[38:39], v[38:39], v[48:49]
	s_delay_alu instid0(VALU_DEP_2) | instskip(NEXT) | instid1(VALU_DEP_1)
	v_add_f64_e32 v[40:41], v[42:43], v[40:41]
	v_add_f64_e32 v[38:39], v[38:39], v[40:41]
	s_delay_alu instid0(VALU_DEP_1) | instskip(NEXT) | instid1(VALU_DEP_1)
	v_add_f64_e32 v[40:41], v[46:47], v[38:39]
	v_add_f64_e64 v[42:43], v[46:47], -v[40:41]
	v_mul_f64_e32 v[46:47], v[40:41], v[40:41]
	s_delay_alu instid0(VALU_DEP_2) | instskip(NEXT) | instid1(VALU_DEP_2)
	v_add_f64_e32 v[38:39], v[38:39], v[42:43]
	v_fma_f64 v[42:43], v[40:41], v[40:41], -v[46:47]
	s_delay_alu instid0(VALU_DEP_2) | instskip(NEXT) | instid1(VALU_DEP_1)
	v_add_f64_e32 v[48:49], v[38:39], v[38:39]
	v_fmac_f64_e32 v[42:43], v[40:41], v[48:49]
	v_fmamk_f64 v[48:49], v[40:41], 0x3e5ade156a5dcb37, v[6:7]
	s_delay_alu instid0(VALU_DEP_1) | instskip(NEXT) | instid1(VALU_DEP_1)
	v_fmaak_f64 v[48:49], v[40:41], v[48:49], 0x3ec71dee623fde64
	v_fmaak_f64 v[48:49], v[40:41], v[48:49], 0x3efa01997c89e6b0
	s_delay_alu instid0(VALU_DEP_1) | instskip(NEXT) | instid1(VALU_DEP_1)
	v_fmaak_f64 v[48:49], v[40:41], v[48:49], 0x3f2a01a014761f6e
	v_fmaak_f64 v[48:49], v[40:41], v[48:49], 0x3f56c16c1852b7b0
	v_add_f64_e32 v[50:51], v[46:47], v[42:43]
	s_delay_alu instid0(VALU_DEP_2) | instskip(NEXT) | instid1(VALU_DEP_1)
	v_fmaak_f64 v[48:49], v[40:41], v[48:49], 0x3f81111111122322
	v_fmaak_f64 v[48:49], v[40:41], v[48:49], 0x3fa55555555502a1
	s_delay_alu instid0(VALU_DEP_1) | instskip(NEXT) | instid1(VALU_DEP_1)
	v_fmaak_f64 v[48:49], v[40:41], v[48:49], 0x3fc5555555555511
	v_fmaak_f64 v[48:49], v[40:41], v[48:49], 0x3fe000000000000b
	v_add_f64_e64 v[46:47], v[50:51], -v[46:47]
	s_delay_alu instid0(VALU_DEP_2) | instskip(NEXT) | instid1(VALU_DEP_2)
	v_mul_f64_e32 v[52:53], v[50:51], v[48:49]
	v_add_f64_e64 v[42:43], v[42:43], -v[46:47]
	s_delay_alu instid0(VALU_DEP_2) | instskip(NEXT) | instid1(VALU_DEP_1)
	v_fma_f64 v[46:47], v[50:51], v[48:49], -v[52:53]
	v_fmac_f64_e32 v[46:47], v[42:43], v[48:49]
	s_delay_alu instid0(VALU_DEP_1) | instskip(NEXT) | instid1(VALU_DEP_1)
	v_add_f64_e32 v[42:43], v[52:53], v[46:47]
	v_add_f64_e64 v[48:49], v[42:43], -v[52:53]
	v_add_f64_e32 v[50:51], v[40:41], v[42:43]
	s_delay_alu instid0(VALU_DEP_2) | instskip(NEXT) | instid1(VALU_DEP_2)
	v_add_f64_e64 v[46:47], v[46:47], -v[48:49]
	v_add_f64_e64 v[40:41], v[50:51], -v[40:41]
	s_delay_alu instid0(VALU_DEP_2) | instskip(NEXT) | instid1(VALU_DEP_2)
	v_add_f64_e32 v[38:39], v[38:39], v[46:47]
	v_add_f64_e64 v[40:41], v[42:43], -v[40:41]
	s_delay_alu instid0(VALU_DEP_1) | instskip(NEXT) | instid1(VALU_DEP_1)
	v_add_f64_e32 v[38:39], v[38:39], v[40:41]
	v_add_f64_e32 v[40:41], v[50:51], v[38:39]
	s_delay_alu instid0(VALU_DEP_1) | instskip(SKIP_2) | instid1(VALU_DEP_3)
	v_add_f64_e32 v[42:43], 1.0, v[40:41]
	v_add_f64_e64 v[46:47], v[40:41], -v[50:51]
	v_cvt_i32_f64_e32 v50, v[44:45]
	v_add_f64_e32 v[48:49], -1.0, v[42:43]
	s_delay_alu instid0(VALU_DEP_3) | instskip(NEXT) | instid1(VALU_DEP_2)
	v_add_f64_e64 v[38:39], v[38:39], -v[46:47]
	v_add_f64_e64 v[40:41], v[40:41], -v[48:49]
	s_delay_alu instid0(VALU_DEP_1) | instskip(NEXT) | instid1(VALU_DEP_1)
	v_add_f64_e32 v[38:39], v[38:39], v[40:41]
	v_add_f64_e32 v[40:41], v[42:43], v[38:39]
	s_delay_alu instid0(VALU_DEP_1) | instskip(SKIP_1) | instid1(VALU_DEP_2)
	v_ldexp_f64 v[44:45], v[40:41], v50
	v_add_f64_e64 v[40:41], v[40:41], -v[42:43]
	v_rcp_f64_e32 v[46:47], v[44:45]
	s_delay_alu instid0(VALU_DEP_1) | instskip(NEXT) | instid1(VALU_DEP_1)
	v_add_f64_e64 v[38:39], v[38:39], -v[40:41]
	v_ldexp_f64 v[38:39], v[38:39], v50
	s_delay_alu instid0(TRANS32_DEP_1) | instskip(NEXT) | instid1(VALU_DEP_1)
	v_fma_f64 v[48:49], -v[44:45], v[46:47], 1.0
	v_fmac_f64_e32 v[46:47], v[48:49], v[46:47]
	s_delay_alu instid0(VALU_DEP_1) | instskip(NEXT) | instid1(VALU_DEP_1)
	v_fma_f64 v[48:49], -v[44:45], v[46:47], 1.0
	v_fmac_f64_e32 v[46:47], v[48:49], v[46:47]
	s_delay_alu instid0(VALU_DEP_1) | instskip(NEXT) | instid1(VALU_DEP_1)
	v_mul_f64_e32 v[40:41], v[44:45], v[46:47]
	v_fma_f64 v[42:43], v[46:47], v[44:45], -v[40:41]
	s_delay_alu instid0(VALU_DEP_1) | instskip(NEXT) | instid1(VALU_DEP_1)
	v_fmac_f64_e32 v[42:43], v[46:47], v[38:39]
	v_add_f64_e32 v[48:49], v[40:41], v[42:43]
	s_delay_alu instid0(VALU_DEP_1) | instskip(SKIP_1) | instid1(VALU_DEP_2)
	v_add_f64_e64 v[50:51], -v[48:49], 1.0
	v_add_f64_e64 v[40:41], v[48:49], -v[40:41]
	v_add_f64_e64 v[52:53], -v[50:51], 1.0
	s_delay_alu instid0(VALU_DEP_2) | instskip(NEXT) | instid1(VALU_DEP_2)
	v_add_f64_e64 v[40:41], v[40:41], -v[42:43]
	v_add_f64_e64 v[42:43], v[52:53], -v[48:49]
	s_delay_alu instid0(VALU_DEP_1) | instskip(NEXT) | instid1(VALU_DEP_1)
	v_add_f64_e32 v[40:41], v[40:41], v[42:43]
	v_add_f64_e32 v[42:43], v[50:51], v[40:41]
	s_delay_alu instid0(VALU_DEP_1) | instskip(SKIP_1) | instid1(VALU_DEP_2)
	v_mul_f64_e32 v[48:49], v[46:47], v[42:43]
	v_add_f64_e64 v[50:51], v[50:51], -v[42:43]
	v_mul_f64_e32 v[52:53], v[44:45], v[48:49]
	s_delay_alu instid0(VALU_DEP_2) | instskip(NEXT) | instid1(VALU_DEP_2)
	v_add_f64_e32 v[40:41], v[40:41], v[50:51]
	v_fma_f64 v[54:55], v[48:49], v[44:45], -v[52:53]
	s_delay_alu instid0(VALU_DEP_1) | instskip(NEXT) | instid1(VALU_DEP_1)
	v_fmac_f64_e32 v[54:55], v[48:49], v[38:39]
	v_add_f64_e32 v[56:57], v[52:53], v[54:55]
	s_delay_alu instid0(VALU_DEP_1) | instskip(SKIP_1) | instid1(VALU_DEP_2)
	v_add_f64_e64 v[58:59], v[42:43], -v[56:57]
	v_add_f64_e64 v[50:51], v[56:57], -v[52:53]
	;; [unrolled: 1-line block ×3, first 2 shown]
	s_delay_alu instid0(VALU_DEP_2) | instskip(NEXT) | instid1(VALU_DEP_2)
	v_add_f64_e64 v[50:51], v[50:51], -v[54:55]
	v_add_f64_e64 v[42:43], v[42:43], -v[56:57]
	s_delay_alu instid0(VALU_DEP_1) | instskip(SKIP_1) | instid1(VALU_DEP_2)
	v_add_f64_e32 v[40:41], v[40:41], v[42:43]
	v_add_f64_e32 v[42:43], v[46:47], v[48:49]
	;; [unrolled: 1-line block ×3, first 2 shown]
	s_delay_alu instid0(VALU_DEP_2) | instskip(NEXT) | instid1(VALU_DEP_2)
	v_add_f64_e64 v[50:51], v[42:43], -v[46:47]
	v_add_f64_e32 v[40:41], v[58:59], v[40:41]
	s_delay_alu instid0(VALU_DEP_2) | instskip(NEXT) | instid1(VALU_DEP_2)
	v_add_f64_e64 v[48:49], v[48:49], -v[50:51]
	v_mul_f64_e32 v[40:41], v[46:47], v[40:41]
	s_delay_alu instid0(VALU_DEP_1) | instskip(NEXT) | instid1(VALU_DEP_1)
	v_add_f64_e32 v[40:41], v[48:49], v[40:41]
	v_add_f64_e32 v[46:47], v[42:43], v[40:41]
	s_delay_alu instid0(VALU_DEP_1) | instskip(SKIP_1) | instid1(VALU_DEP_2)
	v_add_f64_e64 v[42:43], v[46:47], -v[42:43]
	v_ldexp_f64 v[46:47], v[46:47], -2
	v_add_f64_e64 v[40:41], v[40:41], -v[42:43]
	s_delay_alu instid0(VALU_DEP_2) | instskip(NEXT) | instid1(VALU_DEP_2)
	v_add_f64_e32 v[42:43], v[44:45], v[46:47]
	v_ldexp_f64 v[40:41], v[40:41], -2
	s_delay_alu instid0(VALU_DEP_2) | instskip(NEXT) | instid1(VALU_DEP_2)
	v_add_f64_e64 v[44:45], v[42:43], -v[44:45]
	v_add_f64_e32 v[38:39], v[38:39], v[40:41]
	s_delay_alu instid0(VALU_DEP_2) | instskip(NEXT) | instid1(VALU_DEP_1)
	v_add_f64_e64 v[40:41], v[46:47], -v[44:45]
	v_add_f64_e32 v[38:39], v[38:39], v[40:41]
	s_delay_alu instid0(VALU_DEP_1) | instskip(NEXT) | instid1(VALU_DEP_1)
	v_add_f64_e32 v[38:39], v[42:43], v[38:39]
	v_cndmask_b32_e64 v39, 0x7ff00000, v39, s2
	s_delay_alu instid0(VALU_DEP_2)
	v_cndmask_b32_e64 v38, 0, v38, s2
	global_store_b64 v[36:37], v[38:39], off
	s_wait_xcnt 0x0
	s_or_b32 exec_lo, exec_lo, s3
	s_and_saveexec_b32 s2, s1
	s_cbranch_execz .LBB77_18
.LBB77_22:                              ;   in Loop: Header=BB77_9 Depth=1
	v_add_f64_e32 v[36:37], 0xbfe62e42fefa39ef, v[34:35]
	v_cmp_nle_f64_e64 s1, s[6:7], v[34:35]
	s_delay_alu instid0(VALU_DEP_2) | instskip(NEXT) | instid1(VALU_DEP_1)
	v_add_f64_e64 v[38:39], v[36:37], -v[34:35]
	v_add_f64_e64 v[40:41], v[38:39], -v[36:37]
	v_add_f64_e32 v[38:39], 0x3fe62e42fefa39ef, v[38:39]
	s_delay_alu instid0(VALU_DEP_2) | instskip(SKIP_1) | instid1(VALU_DEP_2)
	v_add_f64_e32 v[40:41], v[34:35], v[40:41]
	v_add_nc_u64_e32 v[34:35], s[4:5], v[28:29]
	v_add_f64_e64 v[38:39], v[40:41], -v[38:39]
	s_delay_alu instid0(VALU_DEP_1) | instskip(NEXT) | instid1(VALU_DEP_1)
	v_add_f64_e32 v[38:39], 0xbc7abc9e3b39803f, v[38:39]
	v_add_f64_e32 v[40:41], v[36:37], v[38:39]
	s_delay_alu instid0(VALU_DEP_1) | instskip(SKIP_1) | instid1(VALU_DEP_2)
	v_mul_f64_e32 v[42:43], 0x3ff71547652b82fe, v[40:41]
	v_add_f64_e64 v[36:37], v[36:37], -v[40:41]
	v_rndne_f64_e32 v[42:43], v[42:43]
	s_delay_alu instid0(VALU_DEP_2) | instskip(NEXT) | instid1(VALU_DEP_2)
	v_add_f64_e32 v[36:37], v[38:39], v[36:37]
	v_fmac_f64_e32 v[40:41], 0xbfe62e42fefa3000, v[42:43]
	v_mul_f64_e32 v[38:39], 0xbd53de6af278e000, v[42:43]
	s_delay_alu instid0(VALU_DEP_2) | instskip(NEXT) | instid1(VALU_DEP_1)
	v_add_f64_e32 v[44:45], v[36:37], v[40:41]
	v_add_f64_e32 v[46:47], v[44:45], v[38:39]
	v_add_f64_e64 v[40:41], v[40:41], -v[44:45]
	s_delay_alu instid0(VALU_DEP_2) | instskip(NEXT) | instid1(VALU_DEP_2)
	v_add_f64_e64 v[44:45], v[44:45], -v[46:47]
	v_add_f64_e32 v[36:37], v[36:37], v[40:41]
	s_delay_alu instid0(VALU_DEP_2) | instskip(NEXT) | instid1(VALU_DEP_1)
	v_add_f64_e32 v[38:39], v[44:45], v[38:39]
	v_add_f64_e32 v[36:37], v[36:37], v[38:39]
	v_mul_f64_e32 v[38:39], 0xbac9cc01f97b57a0, v[42:43]
	s_delay_alu instid0(VALU_DEP_2) | instskip(NEXT) | instid1(VALU_DEP_1)
	v_add_f64_e32 v[40:41], v[46:47], v[36:37]
	v_add_f64_e32 v[44:45], v[40:41], v[38:39]
	v_add_f64_e64 v[46:47], v[46:47], -v[40:41]
	s_delay_alu instid0(VALU_DEP_2) | instskip(NEXT) | instid1(VALU_DEP_2)
	v_add_f64_e64 v[40:41], v[40:41], -v[44:45]
	v_add_f64_e32 v[36:37], v[36:37], v[46:47]
	s_delay_alu instid0(VALU_DEP_2) | instskip(NEXT) | instid1(VALU_DEP_1)
	v_add_f64_e32 v[38:39], v[40:41], v[38:39]
	v_add_f64_e32 v[36:37], v[36:37], v[38:39]
	s_delay_alu instid0(VALU_DEP_1) | instskip(NEXT) | instid1(VALU_DEP_1)
	v_add_f64_e32 v[38:39], v[44:45], v[36:37]
	v_add_f64_e64 v[40:41], v[44:45], -v[38:39]
	v_mul_f64_e32 v[44:45], v[38:39], v[38:39]
	s_delay_alu instid0(VALU_DEP_2) | instskip(NEXT) | instid1(VALU_DEP_2)
	v_add_f64_e32 v[36:37], v[36:37], v[40:41]
	v_fma_f64 v[40:41], v[38:39], v[38:39], -v[44:45]
	s_delay_alu instid0(VALU_DEP_2) | instskip(NEXT) | instid1(VALU_DEP_1)
	v_add_f64_e32 v[46:47], v[36:37], v[36:37]
	v_fmac_f64_e32 v[40:41], v[38:39], v[46:47]
	v_fmamk_f64 v[46:47], v[38:39], 0x3e5ade156a5dcb37, v[6:7]
	s_delay_alu instid0(VALU_DEP_1) | instskip(NEXT) | instid1(VALU_DEP_1)
	v_fmaak_f64 v[46:47], v[38:39], v[46:47], 0x3ec71dee623fde64
	v_fmaak_f64 v[46:47], v[38:39], v[46:47], 0x3efa01997c89e6b0
	s_delay_alu instid0(VALU_DEP_1) | instskip(NEXT) | instid1(VALU_DEP_1)
	v_fmaak_f64 v[46:47], v[38:39], v[46:47], 0x3f2a01a014761f6e
	v_fmaak_f64 v[46:47], v[38:39], v[46:47], 0x3f56c16c1852b7b0
	v_add_f64_e32 v[48:49], v[44:45], v[40:41]
	s_delay_alu instid0(VALU_DEP_2) | instskip(NEXT) | instid1(VALU_DEP_1)
	v_fmaak_f64 v[46:47], v[38:39], v[46:47], 0x3f81111111122322
	v_fmaak_f64 v[46:47], v[38:39], v[46:47], 0x3fa55555555502a1
	s_delay_alu instid0(VALU_DEP_1) | instskip(NEXT) | instid1(VALU_DEP_1)
	v_fmaak_f64 v[46:47], v[38:39], v[46:47], 0x3fc5555555555511
	v_fmaak_f64 v[46:47], v[38:39], v[46:47], 0x3fe000000000000b
	v_add_f64_e64 v[44:45], v[48:49], -v[44:45]
	s_delay_alu instid0(VALU_DEP_2) | instskip(NEXT) | instid1(VALU_DEP_2)
	v_mul_f64_e32 v[50:51], v[48:49], v[46:47]
	v_add_f64_e64 v[40:41], v[40:41], -v[44:45]
	s_delay_alu instid0(VALU_DEP_2) | instskip(NEXT) | instid1(VALU_DEP_1)
	v_fma_f64 v[44:45], v[48:49], v[46:47], -v[50:51]
	v_fmac_f64_e32 v[44:45], v[40:41], v[46:47]
	s_delay_alu instid0(VALU_DEP_1) | instskip(NEXT) | instid1(VALU_DEP_1)
	v_add_f64_e32 v[40:41], v[50:51], v[44:45]
	v_add_f64_e32 v[46:47], v[38:39], v[40:41]
	v_add_f64_e64 v[48:49], v[40:41], -v[50:51]
	s_delay_alu instid0(VALU_DEP_2) | instskip(NEXT) | instid1(VALU_DEP_2)
	v_add_f64_e64 v[38:39], v[46:47], -v[38:39]
	v_add_f64_e64 v[44:45], v[44:45], -v[48:49]
	v_cvt_i32_f64_e32 v48, v[42:43]
	s_delay_alu instid0(VALU_DEP_3) | instskip(NEXT) | instid1(VALU_DEP_3)
	v_add_f64_e64 v[38:39], v[40:41], -v[38:39]
	v_add_f64_e32 v[36:37], v[36:37], v[44:45]
	s_delay_alu instid0(VALU_DEP_1) | instskip(NEXT) | instid1(VALU_DEP_1)
	v_add_f64_e32 v[36:37], v[36:37], v[38:39]
	v_add_f64_e32 v[38:39], v[46:47], v[36:37]
	s_delay_alu instid0(VALU_DEP_1) | instskip(SKIP_1) | instid1(VALU_DEP_2)
	v_add_f64_e32 v[40:41], 1.0, v[38:39]
	v_add_f64_e64 v[44:45], v[38:39], -v[46:47]
	v_add_f64_e32 v[46:47], -1.0, v[40:41]
	s_delay_alu instid0(VALU_DEP_2) | instskip(NEXT) | instid1(VALU_DEP_2)
	v_add_f64_e64 v[36:37], v[36:37], -v[44:45]
	v_add_f64_e64 v[38:39], v[38:39], -v[46:47]
	s_delay_alu instid0(VALU_DEP_1) | instskip(NEXT) | instid1(VALU_DEP_1)
	v_add_f64_e32 v[36:37], v[36:37], v[38:39]
	v_add_f64_e32 v[38:39], v[40:41], v[36:37]
	s_delay_alu instid0(VALU_DEP_1) | instskip(SKIP_1) | instid1(VALU_DEP_2)
	v_ldexp_f64 v[42:43], v[38:39], v48
	v_add_f64_e64 v[38:39], v[38:39], -v[40:41]
	v_rcp_f64_e32 v[44:45], v[42:43]
	s_delay_alu instid0(VALU_DEP_1) | instskip(NEXT) | instid1(VALU_DEP_1)
	v_add_f64_e64 v[36:37], v[36:37], -v[38:39]
	v_ldexp_f64 v[36:37], v[36:37], v48
	s_delay_alu instid0(TRANS32_DEP_1) | instskip(NEXT) | instid1(VALU_DEP_1)
	v_fma_f64 v[46:47], -v[42:43], v[44:45], 1.0
	v_fmac_f64_e32 v[44:45], v[46:47], v[44:45]
	s_delay_alu instid0(VALU_DEP_1) | instskip(NEXT) | instid1(VALU_DEP_1)
	v_fma_f64 v[46:47], -v[42:43], v[44:45], 1.0
	v_fmac_f64_e32 v[44:45], v[46:47], v[44:45]
	s_delay_alu instid0(VALU_DEP_1) | instskip(NEXT) | instid1(VALU_DEP_1)
	v_mul_f64_e32 v[38:39], v[42:43], v[44:45]
	v_fma_f64 v[40:41], v[44:45], v[42:43], -v[38:39]
	s_delay_alu instid0(VALU_DEP_1) | instskip(NEXT) | instid1(VALU_DEP_1)
	v_fmac_f64_e32 v[40:41], v[44:45], v[36:37]
	v_add_f64_e32 v[46:47], v[38:39], v[40:41]
	s_delay_alu instid0(VALU_DEP_1) | instskip(SKIP_1) | instid1(VALU_DEP_2)
	v_add_f64_e64 v[48:49], -v[46:47], 1.0
	v_add_f64_e64 v[38:39], v[46:47], -v[38:39]
	v_add_f64_e64 v[50:51], -v[48:49], 1.0
	s_delay_alu instid0(VALU_DEP_2) | instskip(NEXT) | instid1(VALU_DEP_2)
	v_add_f64_e64 v[38:39], v[38:39], -v[40:41]
	v_add_f64_e64 v[40:41], v[50:51], -v[46:47]
	s_delay_alu instid0(VALU_DEP_1) | instskip(NEXT) | instid1(VALU_DEP_1)
	v_add_f64_e32 v[38:39], v[38:39], v[40:41]
	v_add_f64_e32 v[40:41], v[48:49], v[38:39]
	s_delay_alu instid0(VALU_DEP_1) | instskip(SKIP_1) | instid1(VALU_DEP_2)
	v_mul_f64_e32 v[46:47], v[44:45], v[40:41]
	v_add_f64_e64 v[48:49], v[48:49], -v[40:41]
	v_mul_f64_e32 v[50:51], v[42:43], v[46:47]
	s_delay_alu instid0(VALU_DEP_2) | instskip(NEXT) | instid1(VALU_DEP_2)
	v_add_f64_e32 v[38:39], v[38:39], v[48:49]
	v_fma_f64 v[52:53], v[46:47], v[42:43], -v[50:51]
	s_delay_alu instid0(VALU_DEP_1) | instskip(NEXT) | instid1(VALU_DEP_1)
	v_fmac_f64_e32 v[52:53], v[46:47], v[36:37]
	v_add_f64_e32 v[54:55], v[50:51], v[52:53]
	s_delay_alu instid0(VALU_DEP_1) | instskip(SKIP_1) | instid1(VALU_DEP_2)
	v_add_f64_e64 v[56:57], v[40:41], -v[54:55]
	v_add_f64_e64 v[48:49], v[54:55], -v[50:51]
	;; [unrolled: 1-line block ×3, first 2 shown]
	s_delay_alu instid0(VALU_DEP_2) | instskip(NEXT) | instid1(VALU_DEP_2)
	v_add_f64_e64 v[48:49], v[48:49], -v[52:53]
	v_add_f64_e64 v[40:41], v[40:41], -v[54:55]
	s_delay_alu instid0(VALU_DEP_1) | instskip(SKIP_1) | instid1(VALU_DEP_2)
	v_add_f64_e32 v[38:39], v[38:39], v[40:41]
	v_add_f64_e32 v[40:41], v[44:45], v[46:47]
	;; [unrolled: 1-line block ×3, first 2 shown]
	s_delay_alu instid0(VALU_DEP_2) | instskip(NEXT) | instid1(VALU_DEP_2)
	v_add_f64_e64 v[48:49], v[40:41], -v[44:45]
	v_add_f64_e32 v[38:39], v[56:57], v[38:39]
	s_delay_alu instid0(VALU_DEP_2) | instskip(NEXT) | instid1(VALU_DEP_2)
	v_add_f64_e64 v[46:47], v[46:47], -v[48:49]
	v_mul_f64_e32 v[38:39], v[44:45], v[38:39]
	s_delay_alu instid0(VALU_DEP_1) | instskip(NEXT) | instid1(VALU_DEP_1)
	v_add_f64_e32 v[38:39], v[46:47], v[38:39]
	v_add_f64_e32 v[44:45], v[40:41], v[38:39]
	s_delay_alu instid0(VALU_DEP_1) | instskip(SKIP_1) | instid1(VALU_DEP_2)
	v_ldexp_f64 v[46:47], v[44:45], -2
	v_add_f64_e64 v[40:41], v[44:45], -v[40:41]
	v_add_f64_e32 v[44:45], v[42:43], v[46:47]
	s_delay_alu instid0(VALU_DEP_2) | instskip(NEXT) | instid1(VALU_DEP_2)
	v_add_f64_e64 v[38:39], v[38:39], -v[40:41]
	v_add_f64_e64 v[40:41], v[44:45], -v[42:43]
	s_delay_alu instid0(VALU_DEP_2) | instskip(NEXT) | instid1(VALU_DEP_2)
	v_ldexp_f64 v[38:39], v[38:39], -2
	v_add_f64_e64 v[40:41], v[46:47], -v[40:41]
	s_delay_alu instid0(VALU_DEP_2) | instskip(NEXT) | instid1(VALU_DEP_1)
	v_add_f64_e32 v[36:37], v[36:37], v[38:39]
	v_add_f64_e32 v[36:37], v[36:37], v[40:41]
	s_delay_alu instid0(VALU_DEP_1) | instskip(NEXT) | instid1(VALU_DEP_1)
	v_add_f64_e32 v[36:37], v[44:45], v[36:37]
	v_cndmask_b32_e64 v37, 0x7ff00000, v37, s1
	s_delay_alu instid0(VALU_DEP_2)
	v_cndmask_b32_e64 v36, 0, v36, s1
	global_store_b64 v[34:35], v[36:37], off
	s_wait_xcnt 0x0
	s_or_b32 exec_lo, exec_lo, s2
	s_and_saveexec_b32 s1, s0
	s_cbranch_execz .LBB77_19
.LBB77_23:                              ;   in Loop: Header=BB77_9 Depth=1
	v_add_f64_e32 v[34:35], 0xbfe62e42fefa39ef, v[32:33]
	v_cmp_nle_f64_e64 s0, s[6:7], v[32:33]
	s_delay_alu instid0(VALU_DEP_2) | instskip(NEXT) | instid1(VALU_DEP_1)
	v_add_f64_e64 v[36:37], v[34:35], -v[32:33]
	v_add_f64_e64 v[38:39], v[36:37], -v[34:35]
	v_add_f64_e32 v[36:37], 0x3fe62e42fefa39ef, v[36:37]
	s_delay_alu instid0(VALU_DEP_2) | instskip(SKIP_1) | instid1(VALU_DEP_2)
	v_add_f64_e32 v[38:39], v[32:33], v[38:39]
	v_add_nc_u64_e32 v[32:33], s[4:5], v[20:21]
	v_add_f64_e64 v[36:37], v[38:39], -v[36:37]
	s_delay_alu instid0(VALU_DEP_1) | instskip(NEXT) | instid1(VALU_DEP_1)
	v_add_f64_e32 v[36:37], 0xbc7abc9e3b39803f, v[36:37]
	v_add_f64_e32 v[38:39], v[34:35], v[36:37]
	s_delay_alu instid0(VALU_DEP_1) | instskip(SKIP_1) | instid1(VALU_DEP_2)
	v_mul_f64_e32 v[40:41], 0x3ff71547652b82fe, v[38:39]
	v_add_f64_e64 v[34:35], v[34:35], -v[38:39]
	v_rndne_f64_e32 v[40:41], v[40:41]
	s_delay_alu instid0(VALU_DEP_2) | instskip(NEXT) | instid1(VALU_DEP_2)
	v_add_f64_e32 v[34:35], v[36:37], v[34:35]
	v_fmac_f64_e32 v[38:39], 0xbfe62e42fefa3000, v[40:41]
	v_mul_f64_e32 v[36:37], 0xbd53de6af278e000, v[40:41]
	s_delay_alu instid0(VALU_DEP_2) | instskip(NEXT) | instid1(VALU_DEP_1)
	v_add_f64_e32 v[42:43], v[34:35], v[38:39]
	v_add_f64_e32 v[44:45], v[42:43], v[36:37]
	v_add_f64_e64 v[38:39], v[38:39], -v[42:43]
	s_delay_alu instid0(VALU_DEP_2) | instskip(NEXT) | instid1(VALU_DEP_2)
	v_add_f64_e64 v[42:43], v[42:43], -v[44:45]
	v_add_f64_e32 v[34:35], v[34:35], v[38:39]
	s_delay_alu instid0(VALU_DEP_2) | instskip(NEXT) | instid1(VALU_DEP_1)
	v_add_f64_e32 v[36:37], v[42:43], v[36:37]
	v_add_f64_e32 v[34:35], v[34:35], v[36:37]
	v_mul_f64_e32 v[36:37], 0xbac9cc01f97b57a0, v[40:41]
	s_delay_alu instid0(VALU_DEP_2) | instskip(NEXT) | instid1(VALU_DEP_1)
	v_add_f64_e32 v[38:39], v[44:45], v[34:35]
	v_add_f64_e32 v[42:43], v[38:39], v[36:37]
	v_add_f64_e64 v[44:45], v[44:45], -v[38:39]
	s_delay_alu instid0(VALU_DEP_2) | instskip(NEXT) | instid1(VALU_DEP_2)
	v_add_f64_e64 v[38:39], v[38:39], -v[42:43]
	v_add_f64_e32 v[34:35], v[34:35], v[44:45]
	s_delay_alu instid0(VALU_DEP_2) | instskip(NEXT) | instid1(VALU_DEP_1)
	v_add_f64_e32 v[36:37], v[38:39], v[36:37]
	v_add_f64_e32 v[34:35], v[34:35], v[36:37]
	s_delay_alu instid0(VALU_DEP_1) | instskip(NEXT) | instid1(VALU_DEP_1)
	v_add_f64_e32 v[36:37], v[42:43], v[34:35]
	v_add_f64_e64 v[38:39], v[42:43], -v[36:37]
	v_mul_f64_e32 v[42:43], v[36:37], v[36:37]
	s_delay_alu instid0(VALU_DEP_2) | instskip(NEXT) | instid1(VALU_DEP_2)
	v_add_f64_e32 v[34:35], v[34:35], v[38:39]
	v_fma_f64 v[38:39], v[36:37], v[36:37], -v[42:43]
	s_delay_alu instid0(VALU_DEP_2) | instskip(NEXT) | instid1(VALU_DEP_1)
	v_add_f64_e32 v[44:45], v[34:35], v[34:35]
	v_fmac_f64_e32 v[38:39], v[36:37], v[44:45]
	v_fmamk_f64 v[44:45], v[36:37], 0x3e5ade156a5dcb37, v[6:7]
	s_delay_alu instid0(VALU_DEP_1) | instskip(NEXT) | instid1(VALU_DEP_1)
	v_fmaak_f64 v[44:45], v[36:37], v[44:45], 0x3ec71dee623fde64
	v_fmaak_f64 v[44:45], v[36:37], v[44:45], 0x3efa01997c89e6b0
	s_delay_alu instid0(VALU_DEP_1) | instskip(NEXT) | instid1(VALU_DEP_1)
	v_fmaak_f64 v[44:45], v[36:37], v[44:45], 0x3f2a01a014761f6e
	v_fmaak_f64 v[44:45], v[36:37], v[44:45], 0x3f56c16c1852b7b0
	v_add_f64_e32 v[46:47], v[42:43], v[38:39]
	s_delay_alu instid0(VALU_DEP_2) | instskip(NEXT) | instid1(VALU_DEP_1)
	v_fmaak_f64 v[44:45], v[36:37], v[44:45], 0x3f81111111122322
	v_fmaak_f64 v[44:45], v[36:37], v[44:45], 0x3fa55555555502a1
	s_delay_alu instid0(VALU_DEP_1) | instskip(NEXT) | instid1(VALU_DEP_1)
	v_fmaak_f64 v[44:45], v[36:37], v[44:45], 0x3fc5555555555511
	v_fmaak_f64 v[44:45], v[36:37], v[44:45], 0x3fe000000000000b
	v_add_f64_e64 v[42:43], v[46:47], -v[42:43]
	s_delay_alu instid0(VALU_DEP_2) | instskip(NEXT) | instid1(VALU_DEP_2)
	v_mul_f64_e32 v[48:49], v[46:47], v[44:45]
	v_add_f64_e64 v[38:39], v[38:39], -v[42:43]
	s_delay_alu instid0(VALU_DEP_2) | instskip(NEXT) | instid1(VALU_DEP_1)
	v_fma_f64 v[42:43], v[46:47], v[44:45], -v[48:49]
	v_fmac_f64_e32 v[42:43], v[38:39], v[44:45]
	s_delay_alu instid0(VALU_DEP_1) | instskip(NEXT) | instid1(VALU_DEP_1)
	v_add_f64_e32 v[38:39], v[48:49], v[42:43]
	v_add_f64_e32 v[44:45], v[36:37], v[38:39]
	v_add_f64_e64 v[46:47], v[38:39], -v[48:49]
	s_delay_alu instid0(VALU_DEP_2) | instskip(NEXT) | instid1(VALU_DEP_2)
	v_add_f64_e64 v[36:37], v[44:45], -v[36:37]
	v_add_f64_e64 v[42:43], v[42:43], -v[46:47]
	v_cvt_i32_f64_e32 v46, v[40:41]
	s_delay_alu instid0(VALU_DEP_3) | instskip(NEXT) | instid1(VALU_DEP_3)
	v_add_f64_e64 v[36:37], v[38:39], -v[36:37]
	v_add_f64_e32 v[34:35], v[34:35], v[42:43]
	s_delay_alu instid0(VALU_DEP_1) | instskip(NEXT) | instid1(VALU_DEP_1)
	v_add_f64_e32 v[34:35], v[34:35], v[36:37]
	v_add_f64_e32 v[36:37], v[44:45], v[34:35]
	s_delay_alu instid0(VALU_DEP_1) | instskip(SKIP_1) | instid1(VALU_DEP_2)
	v_add_f64_e32 v[38:39], 1.0, v[36:37]
	v_add_f64_e64 v[42:43], v[36:37], -v[44:45]
	v_add_f64_e32 v[44:45], -1.0, v[38:39]
	s_delay_alu instid0(VALU_DEP_2) | instskip(NEXT) | instid1(VALU_DEP_2)
	v_add_f64_e64 v[34:35], v[34:35], -v[42:43]
	v_add_f64_e64 v[36:37], v[36:37], -v[44:45]
	s_delay_alu instid0(VALU_DEP_1) | instskip(NEXT) | instid1(VALU_DEP_1)
	v_add_f64_e32 v[34:35], v[34:35], v[36:37]
	v_add_f64_e32 v[36:37], v[38:39], v[34:35]
	s_delay_alu instid0(VALU_DEP_1) | instskip(SKIP_1) | instid1(VALU_DEP_2)
	v_ldexp_f64 v[40:41], v[36:37], v46
	v_add_f64_e64 v[36:37], v[36:37], -v[38:39]
	v_rcp_f64_e32 v[42:43], v[40:41]
	s_delay_alu instid0(VALU_DEP_1) | instskip(NEXT) | instid1(VALU_DEP_1)
	v_add_f64_e64 v[34:35], v[34:35], -v[36:37]
	v_ldexp_f64 v[34:35], v[34:35], v46
	s_delay_alu instid0(TRANS32_DEP_1) | instskip(NEXT) | instid1(VALU_DEP_1)
	v_fma_f64 v[44:45], -v[40:41], v[42:43], 1.0
	v_fmac_f64_e32 v[42:43], v[44:45], v[42:43]
	s_delay_alu instid0(VALU_DEP_1) | instskip(NEXT) | instid1(VALU_DEP_1)
	v_fma_f64 v[44:45], -v[40:41], v[42:43], 1.0
	v_fmac_f64_e32 v[42:43], v[44:45], v[42:43]
	s_delay_alu instid0(VALU_DEP_1) | instskip(NEXT) | instid1(VALU_DEP_1)
	v_mul_f64_e32 v[36:37], v[40:41], v[42:43]
	v_fma_f64 v[38:39], v[42:43], v[40:41], -v[36:37]
	s_delay_alu instid0(VALU_DEP_1) | instskip(NEXT) | instid1(VALU_DEP_1)
	v_fmac_f64_e32 v[38:39], v[42:43], v[34:35]
	v_add_f64_e32 v[44:45], v[36:37], v[38:39]
	s_delay_alu instid0(VALU_DEP_1) | instskip(SKIP_1) | instid1(VALU_DEP_2)
	v_add_f64_e64 v[46:47], -v[44:45], 1.0
	v_add_f64_e64 v[36:37], v[44:45], -v[36:37]
	v_add_f64_e64 v[48:49], -v[46:47], 1.0
	s_delay_alu instid0(VALU_DEP_2) | instskip(NEXT) | instid1(VALU_DEP_2)
	v_add_f64_e64 v[36:37], v[36:37], -v[38:39]
	v_add_f64_e64 v[38:39], v[48:49], -v[44:45]
	s_delay_alu instid0(VALU_DEP_1) | instskip(NEXT) | instid1(VALU_DEP_1)
	v_add_f64_e32 v[36:37], v[36:37], v[38:39]
	v_add_f64_e32 v[38:39], v[46:47], v[36:37]
	s_delay_alu instid0(VALU_DEP_1) | instskip(SKIP_1) | instid1(VALU_DEP_2)
	v_mul_f64_e32 v[44:45], v[42:43], v[38:39]
	v_add_f64_e64 v[46:47], v[46:47], -v[38:39]
	v_mul_f64_e32 v[48:49], v[40:41], v[44:45]
	s_delay_alu instid0(VALU_DEP_2) | instskip(NEXT) | instid1(VALU_DEP_2)
	v_add_f64_e32 v[36:37], v[36:37], v[46:47]
	v_fma_f64 v[50:51], v[44:45], v[40:41], -v[48:49]
	s_delay_alu instid0(VALU_DEP_1) | instskip(NEXT) | instid1(VALU_DEP_1)
	v_fmac_f64_e32 v[50:51], v[44:45], v[34:35]
	v_add_f64_e32 v[52:53], v[48:49], v[50:51]
	s_delay_alu instid0(VALU_DEP_1) | instskip(SKIP_1) | instid1(VALU_DEP_2)
	v_add_f64_e64 v[54:55], v[38:39], -v[52:53]
	v_add_f64_e64 v[46:47], v[52:53], -v[48:49]
	;; [unrolled: 1-line block ×3, first 2 shown]
	s_delay_alu instid0(VALU_DEP_2) | instskip(NEXT) | instid1(VALU_DEP_2)
	v_add_f64_e64 v[46:47], v[46:47], -v[50:51]
	v_add_f64_e64 v[38:39], v[38:39], -v[52:53]
	s_delay_alu instid0(VALU_DEP_1) | instskip(SKIP_1) | instid1(VALU_DEP_2)
	v_add_f64_e32 v[36:37], v[36:37], v[38:39]
	v_add_f64_e32 v[38:39], v[42:43], v[44:45]
	;; [unrolled: 1-line block ×3, first 2 shown]
	s_delay_alu instid0(VALU_DEP_2) | instskip(NEXT) | instid1(VALU_DEP_2)
	v_add_f64_e64 v[46:47], v[38:39], -v[42:43]
	v_add_f64_e32 v[36:37], v[54:55], v[36:37]
	s_delay_alu instid0(VALU_DEP_2) | instskip(NEXT) | instid1(VALU_DEP_2)
	v_add_f64_e64 v[44:45], v[44:45], -v[46:47]
	v_mul_f64_e32 v[36:37], v[42:43], v[36:37]
	s_delay_alu instid0(VALU_DEP_1) | instskip(NEXT) | instid1(VALU_DEP_1)
	v_add_f64_e32 v[36:37], v[44:45], v[36:37]
	v_add_f64_e32 v[42:43], v[38:39], v[36:37]
	s_delay_alu instid0(VALU_DEP_1) | instskip(SKIP_1) | instid1(VALU_DEP_2)
	v_ldexp_f64 v[44:45], v[42:43], -2
	v_add_f64_e64 v[38:39], v[42:43], -v[38:39]
	v_add_f64_e32 v[42:43], v[40:41], v[44:45]
	s_delay_alu instid0(VALU_DEP_2) | instskip(NEXT) | instid1(VALU_DEP_2)
	v_add_f64_e64 v[36:37], v[36:37], -v[38:39]
	v_add_f64_e64 v[38:39], v[42:43], -v[40:41]
	s_delay_alu instid0(VALU_DEP_2) | instskip(NEXT) | instid1(VALU_DEP_2)
	v_ldexp_f64 v[36:37], v[36:37], -2
	v_add_f64_e64 v[38:39], v[44:45], -v[38:39]
	s_delay_alu instid0(VALU_DEP_2) | instskip(NEXT) | instid1(VALU_DEP_1)
	v_add_f64_e32 v[34:35], v[34:35], v[36:37]
	v_add_f64_e32 v[34:35], v[34:35], v[38:39]
	s_delay_alu instid0(VALU_DEP_1) | instskip(NEXT) | instid1(VALU_DEP_1)
	v_add_f64_e32 v[34:35], v[42:43], v[34:35]
	v_cndmask_b32_e64 v35, 0x7ff00000, v35, s0
	s_delay_alu instid0(VALU_DEP_2)
	v_cndmask_b32_e64 v34, 0, v34, s0
	global_store_b64 v[32:33], v[34:35], off
	s_wait_xcnt 0x0
	s_or_b32 exec_lo, exec_lo, s1
	s_and_saveexec_b32 s0, vcc_lo
	s_cbranch_execz .LBB77_8
.LBB77_24:                              ;   in Loop: Header=BB77_9 Depth=1
	v_add_f64_e32 v[32:33], 0xbfe62e42fefa39ef, v[30:31]
	v_cmp_nle_f64_e32 vcc_lo, s[6:7], v[30:31]
	s_delay_alu instid0(VALU_DEP_2) | instskip(NEXT) | instid1(VALU_DEP_1)
	v_add_f64_e64 v[34:35], v[32:33], -v[30:31]
	v_add_f64_e64 v[36:37], v[34:35], -v[32:33]
	v_add_f64_e32 v[34:35], 0x3fe62e42fefa39ef, v[34:35]
	s_delay_alu instid0(VALU_DEP_2) | instskip(SKIP_1) | instid1(VALU_DEP_2)
	v_add_f64_e32 v[36:37], v[30:31], v[36:37]
	v_add_nc_u64_e32 v[30:31], s[4:5], v[24:25]
	v_add_f64_e64 v[34:35], v[36:37], -v[34:35]
	s_delay_alu instid0(VALU_DEP_1) | instskip(NEXT) | instid1(VALU_DEP_1)
	v_add_f64_e32 v[34:35], 0xbc7abc9e3b39803f, v[34:35]
	v_add_f64_e32 v[36:37], v[32:33], v[34:35]
	s_delay_alu instid0(VALU_DEP_1) | instskip(SKIP_1) | instid1(VALU_DEP_2)
	v_mul_f64_e32 v[38:39], 0x3ff71547652b82fe, v[36:37]
	v_add_f64_e64 v[32:33], v[32:33], -v[36:37]
	v_rndne_f64_e32 v[38:39], v[38:39]
	s_delay_alu instid0(VALU_DEP_2) | instskip(NEXT) | instid1(VALU_DEP_2)
	v_add_f64_e32 v[32:33], v[34:35], v[32:33]
	v_fmac_f64_e32 v[36:37], 0xbfe62e42fefa3000, v[38:39]
	v_mul_f64_e32 v[34:35], 0xbd53de6af278e000, v[38:39]
	s_delay_alu instid0(VALU_DEP_2) | instskip(NEXT) | instid1(VALU_DEP_1)
	v_add_f64_e32 v[40:41], v[32:33], v[36:37]
	v_add_f64_e32 v[42:43], v[40:41], v[34:35]
	v_add_f64_e64 v[36:37], v[36:37], -v[40:41]
	s_delay_alu instid0(VALU_DEP_2) | instskip(NEXT) | instid1(VALU_DEP_2)
	v_add_f64_e64 v[40:41], v[40:41], -v[42:43]
	v_add_f64_e32 v[32:33], v[32:33], v[36:37]
	s_delay_alu instid0(VALU_DEP_2) | instskip(NEXT) | instid1(VALU_DEP_1)
	v_add_f64_e32 v[34:35], v[40:41], v[34:35]
	v_add_f64_e32 v[32:33], v[32:33], v[34:35]
	v_mul_f64_e32 v[34:35], 0xbac9cc01f97b57a0, v[38:39]
	s_delay_alu instid0(VALU_DEP_2) | instskip(NEXT) | instid1(VALU_DEP_1)
	v_add_f64_e32 v[36:37], v[42:43], v[32:33]
	v_add_f64_e32 v[40:41], v[36:37], v[34:35]
	v_add_f64_e64 v[42:43], v[42:43], -v[36:37]
	s_delay_alu instid0(VALU_DEP_2) | instskip(NEXT) | instid1(VALU_DEP_2)
	v_add_f64_e64 v[36:37], v[36:37], -v[40:41]
	v_add_f64_e32 v[32:33], v[32:33], v[42:43]
	s_delay_alu instid0(VALU_DEP_2) | instskip(NEXT) | instid1(VALU_DEP_1)
	v_add_f64_e32 v[34:35], v[36:37], v[34:35]
	v_add_f64_e32 v[32:33], v[32:33], v[34:35]
	s_delay_alu instid0(VALU_DEP_1) | instskip(NEXT) | instid1(VALU_DEP_1)
	v_add_f64_e32 v[34:35], v[40:41], v[32:33]
	v_add_f64_e64 v[36:37], v[40:41], -v[34:35]
	v_mul_f64_e32 v[40:41], v[34:35], v[34:35]
	s_delay_alu instid0(VALU_DEP_2) | instskip(NEXT) | instid1(VALU_DEP_2)
	v_add_f64_e32 v[32:33], v[32:33], v[36:37]
	v_fma_f64 v[36:37], v[34:35], v[34:35], -v[40:41]
	s_delay_alu instid0(VALU_DEP_2) | instskip(NEXT) | instid1(VALU_DEP_1)
	v_add_f64_e32 v[42:43], v[32:33], v[32:33]
	v_fmac_f64_e32 v[36:37], v[34:35], v[42:43]
	v_fmamk_f64 v[42:43], v[34:35], 0x3e5ade156a5dcb37, v[6:7]
	s_delay_alu instid0(VALU_DEP_1) | instskip(NEXT) | instid1(VALU_DEP_1)
	v_fmaak_f64 v[42:43], v[34:35], v[42:43], 0x3ec71dee623fde64
	v_fmaak_f64 v[42:43], v[34:35], v[42:43], 0x3efa01997c89e6b0
	s_delay_alu instid0(VALU_DEP_1) | instskip(NEXT) | instid1(VALU_DEP_1)
	v_fmaak_f64 v[42:43], v[34:35], v[42:43], 0x3f2a01a014761f6e
	v_fmaak_f64 v[42:43], v[34:35], v[42:43], 0x3f56c16c1852b7b0
	v_add_f64_e32 v[44:45], v[40:41], v[36:37]
	s_delay_alu instid0(VALU_DEP_2) | instskip(NEXT) | instid1(VALU_DEP_1)
	v_fmaak_f64 v[42:43], v[34:35], v[42:43], 0x3f81111111122322
	v_fmaak_f64 v[42:43], v[34:35], v[42:43], 0x3fa55555555502a1
	s_delay_alu instid0(VALU_DEP_1) | instskip(NEXT) | instid1(VALU_DEP_1)
	v_fmaak_f64 v[42:43], v[34:35], v[42:43], 0x3fc5555555555511
	v_fmaak_f64 v[42:43], v[34:35], v[42:43], 0x3fe000000000000b
	v_add_f64_e64 v[40:41], v[44:45], -v[40:41]
	s_delay_alu instid0(VALU_DEP_2) | instskip(NEXT) | instid1(VALU_DEP_2)
	v_mul_f64_e32 v[46:47], v[44:45], v[42:43]
	v_add_f64_e64 v[36:37], v[36:37], -v[40:41]
	s_delay_alu instid0(VALU_DEP_2) | instskip(NEXT) | instid1(VALU_DEP_1)
	v_fma_f64 v[40:41], v[44:45], v[42:43], -v[46:47]
	v_fmac_f64_e32 v[40:41], v[36:37], v[42:43]
	s_delay_alu instid0(VALU_DEP_1) | instskip(NEXT) | instid1(VALU_DEP_1)
	v_add_f64_e32 v[36:37], v[46:47], v[40:41]
	v_add_f64_e32 v[42:43], v[34:35], v[36:37]
	v_add_f64_e64 v[44:45], v[36:37], -v[46:47]
	s_delay_alu instid0(VALU_DEP_2) | instskip(NEXT) | instid1(VALU_DEP_2)
	v_add_f64_e64 v[34:35], v[42:43], -v[34:35]
	v_add_f64_e64 v[40:41], v[40:41], -v[44:45]
	v_cvt_i32_f64_e32 v44, v[38:39]
	s_delay_alu instid0(VALU_DEP_3) | instskip(NEXT) | instid1(VALU_DEP_3)
	v_add_f64_e64 v[34:35], v[36:37], -v[34:35]
	v_add_f64_e32 v[32:33], v[32:33], v[40:41]
	s_delay_alu instid0(VALU_DEP_1) | instskip(NEXT) | instid1(VALU_DEP_1)
	v_add_f64_e32 v[32:33], v[32:33], v[34:35]
	v_add_f64_e32 v[34:35], v[42:43], v[32:33]
	s_delay_alu instid0(VALU_DEP_1) | instskip(SKIP_1) | instid1(VALU_DEP_2)
	v_add_f64_e32 v[36:37], 1.0, v[34:35]
	v_add_f64_e64 v[40:41], v[34:35], -v[42:43]
	v_add_f64_e32 v[42:43], -1.0, v[36:37]
	s_delay_alu instid0(VALU_DEP_2) | instskip(NEXT) | instid1(VALU_DEP_2)
	v_add_f64_e64 v[32:33], v[32:33], -v[40:41]
	v_add_f64_e64 v[34:35], v[34:35], -v[42:43]
	s_delay_alu instid0(VALU_DEP_1) | instskip(NEXT) | instid1(VALU_DEP_1)
	v_add_f64_e32 v[32:33], v[32:33], v[34:35]
	v_add_f64_e32 v[34:35], v[36:37], v[32:33]
	s_delay_alu instid0(VALU_DEP_1) | instskip(SKIP_1) | instid1(VALU_DEP_2)
	v_ldexp_f64 v[38:39], v[34:35], v44
	v_add_f64_e64 v[34:35], v[34:35], -v[36:37]
	v_rcp_f64_e32 v[40:41], v[38:39]
	s_delay_alu instid0(VALU_DEP_1) | instskip(NEXT) | instid1(VALU_DEP_1)
	v_add_f64_e64 v[32:33], v[32:33], -v[34:35]
	v_ldexp_f64 v[32:33], v[32:33], v44
	s_delay_alu instid0(TRANS32_DEP_1) | instskip(NEXT) | instid1(VALU_DEP_1)
	v_fma_f64 v[42:43], -v[38:39], v[40:41], 1.0
	v_fmac_f64_e32 v[40:41], v[42:43], v[40:41]
	s_delay_alu instid0(VALU_DEP_1) | instskip(NEXT) | instid1(VALU_DEP_1)
	v_fma_f64 v[42:43], -v[38:39], v[40:41], 1.0
	v_fmac_f64_e32 v[40:41], v[42:43], v[40:41]
	s_delay_alu instid0(VALU_DEP_1) | instskip(NEXT) | instid1(VALU_DEP_1)
	v_mul_f64_e32 v[34:35], v[38:39], v[40:41]
	v_fma_f64 v[36:37], v[40:41], v[38:39], -v[34:35]
	s_delay_alu instid0(VALU_DEP_1) | instskip(NEXT) | instid1(VALU_DEP_1)
	v_fmac_f64_e32 v[36:37], v[40:41], v[32:33]
	v_add_f64_e32 v[42:43], v[34:35], v[36:37]
	s_delay_alu instid0(VALU_DEP_1) | instskip(SKIP_1) | instid1(VALU_DEP_2)
	v_add_f64_e64 v[44:45], -v[42:43], 1.0
	v_add_f64_e64 v[34:35], v[42:43], -v[34:35]
	v_add_f64_e64 v[46:47], -v[44:45], 1.0
	s_delay_alu instid0(VALU_DEP_2) | instskip(NEXT) | instid1(VALU_DEP_2)
	v_add_f64_e64 v[34:35], v[34:35], -v[36:37]
	v_add_f64_e64 v[36:37], v[46:47], -v[42:43]
	s_delay_alu instid0(VALU_DEP_1) | instskip(NEXT) | instid1(VALU_DEP_1)
	v_add_f64_e32 v[34:35], v[34:35], v[36:37]
	v_add_f64_e32 v[36:37], v[44:45], v[34:35]
	s_delay_alu instid0(VALU_DEP_1) | instskip(SKIP_1) | instid1(VALU_DEP_2)
	v_mul_f64_e32 v[42:43], v[40:41], v[36:37]
	v_add_f64_e64 v[44:45], v[44:45], -v[36:37]
	v_mul_f64_e32 v[46:47], v[38:39], v[42:43]
	s_delay_alu instid0(VALU_DEP_2) | instskip(NEXT) | instid1(VALU_DEP_2)
	v_add_f64_e32 v[34:35], v[34:35], v[44:45]
	v_fma_f64 v[48:49], v[42:43], v[38:39], -v[46:47]
	s_delay_alu instid0(VALU_DEP_1) | instskip(NEXT) | instid1(VALU_DEP_1)
	v_fmac_f64_e32 v[48:49], v[42:43], v[32:33]
	v_add_f64_e32 v[50:51], v[46:47], v[48:49]
	s_delay_alu instid0(VALU_DEP_1) | instskip(SKIP_1) | instid1(VALU_DEP_2)
	v_add_f64_e64 v[52:53], v[36:37], -v[50:51]
	v_add_f64_e64 v[44:45], v[50:51], -v[46:47]
	v_add_f64_e64 v[36:37], v[36:37], -v[52:53]
	s_delay_alu instid0(VALU_DEP_2) | instskip(NEXT) | instid1(VALU_DEP_2)
	v_add_f64_e64 v[44:45], v[44:45], -v[48:49]
	v_add_f64_e64 v[36:37], v[36:37], -v[50:51]
	s_delay_alu instid0(VALU_DEP_1) | instskip(SKIP_1) | instid1(VALU_DEP_2)
	v_add_f64_e32 v[34:35], v[34:35], v[36:37]
	v_add_f64_e32 v[36:37], v[40:41], v[42:43]
	v_add_f64_e32 v[34:35], v[44:45], v[34:35]
	s_delay_alu instid0(VALU_DEP_2) | instskip(NEXT) | instid1(VALU_DEP_2)
	v_add_f64_e64 v[44:45], v[36:37], -v[40:41]
	v_add_f64_e32 v[34:35], v[52:53], v[34:35]
	s_delay_alu instid0(VALU_DEP_2) | instskip(NEXT) | instid1(VALU_DEP_2)
	v_add_f64_e64 v[42:43], v[42:43], -v[44:45]
	v_mul_f64_e32 v[34:35], v[40:41], v[34:35]
	s_delay_alu instid0(VALU_DEP_1) | instskip(NEXT) | instid1(VALU_DEP_1)
	v_add_f64_e32 v[34:35], v[42:43], v[34:35]
	v_add_f64_e32 v[40:41], v[36:37], v[34:35]
	s_delay_alu instid0(VALU_DEP_1) | instskip(SKIP_1) | instid1(VALU_DEP_2)
	v_ldexp_f64 v[42:43], v[40:41], -2
	v_add_f64_e64 v[36:37], v[40:41], -v[36:37]
	v_add_f64_e32 v[40:41], v[38:39], v[42:43]
	s_delay_alu instid0(VALU_DEP_2) | instskip(NEXT) | instid1(VALU_DEP_2)
	v_add_f64_e64 v[34:35], v[34:35], -v[36:37]
	v_add_f64_e64 v[36:37], v[40:41], -v[38:39]
	s_delay_alu instid0(VALU_DEP_2) | instskip(NEXT) | instid1(VALU_DEP_2)
	v_ldexp_f64 v[34:35], v[34:35], -2
	v_add_f64_e64 v[36:37], v[42:43], -v[36:37]
	s_delay_alu instid0(VALU_DEP_2) | instskip(NEXT) | instid1(VALU_DEP_1)
	v_add_f64_e32 v[32:33], v[32:33], v[34:35]
	v_add_f64_e32 v[32:33], v[32:33], v[36:37]
	s_delay_alu instid0(VALU_DEP_1) | instskip(NEXT) | instid1(VALU_DEP_1)
	v_add_f64_e32 v[32:33], v[40:41], v[32:33]
	v_cndmask_b32_e32 v33, 0x7ff00000, v33, vcc_lo
	s_delay_alu instid0(VALU_DEP_2)
	v_cndmask_b32_e32 v32, 0, v32, vcc_lo
	global_store_b64 v[30:31], v[32:33], off
	s_branch .LBB77_8
.LBB77_25:
	s_endpgm
	.section	.rodata,"a",@progbits
	.p2align	6, 0x0
	.amdhsa_kernel _ZN2at6native12_GLOBAL__N_125multi_tensor_apply_kernelINS1_18TensorListMetadataILi2EEENS1_14UnaryOpFunctorIdLi2ELi1ELi1EEEJNS0_4CoshIdEEEEEvT_T0_DpT1_
		.amdhsa_group_segment_fixed_size 0
		.amdhsa_private_segment_fixed_size 0
		.amdhsa_kernarg_size 3408
		.amdhsa_user_sgpr_count 2
		.amdhsa_user_sgpr_dispatch_ptr 0
		.amdhsa_user_sgpr_queue_ptr 0
		.amdhsa_user_sgpr_kernarg_segment_ptr 1
		.amdhsa_user_sgpr_dispatch_id 0
		.amdhsa_user_sgpr_kernarg_preload_length 0
		.amdhsa_user_sgpr_kernarg_preload_offset 0
		.amdhsa_user_sgpr_private_segment_size 0
		.amdhsa_wavefront_size32 1
		.amdhsa_uses_dynamic_stack 0
		.amdhsa_enable_private_segment 0
		.amdhsa_system_sgpr_workgroup_id_x 1
		.amdhsa_system_sgpr_workgroup_id_y 0
		.amdhsa_system_sgpr_workgroup_id_z 0
		.amdhsa_system_sgpr_workgroup_info 0
		.amdhsa_system_vgpr_workitem_id 0
		.amdhsa_next_free_vgpr 60
		.amdhsa_next_free_sgpr 20
		.amdhsa_named_barrier_count 0
		.amdhsa_reserve_vcc 1
		.amdhsa_float_round_mode_32 0
		.amdhsa_float_round_mode_16_64 0
		.amdhsa_float_denorm_mode_32 3
		.amdhsa_float_denorm_mode_16_64 3
		.amdhsa_fp16_overflow 0
		.amdhsa_memory_ordered 1
		.amdhsa_forward_progress 1
		.amdhsa_inst_pref_size 74
		.amdhsa_round_robin_scheduling 0
		.amdhsa_exception_fp_ieee_invalid_op 0
		.amdhsa_exception_fp_denorm_src 0
		.amdhsa_exception_fp_ieee_div_zero 0
		.amdhsa_exception_fp_ieee_overflow 0
		.amdhsa_exception_fp_ieee_underflow 0
		.amdhsa_exception_fp_ieee_inexact 0
		.amdhsa_exception_int_div_zero 0
	.end_amdhsa_kernel
	.section	.text._ZN2at6native12_GLOBAL__N_125multi_tensor_apply_kernelINS1_18TensorListMetadataILi2EEENS1_14UnaryOpFunctorIdLi2ELi1ELi1EEEJNS0_4CoshIdEEEEEvT_T0_DpT1_,"axG",@progbits,_ZN2at6native12_GLOBAL__N_125multi_tensor_apply_kernelINS1_18TensorListMetadataILi2EEENS1_14UnaryOpFunctorIdLi2ELi1ELi1EEEJNS0_4CoshIdEEEEEvT_T0_DpT1_,comdat
.Lfunc_end77:
	.size	_ZN2at6native12_GLOBAL__N_125multi_tensor_apply_kernelINS1_18TensorListMetadataILi2EEENS1_14UnaryOpFunctorIdLi2ELi1ELi1EEEJNS0_4CoshIdEEEEEvT_T0_DpT1_, .Lfunc_end77-_ZN2at6native12_GLOBAL__N_125multi_tensor_apply_kernelINS1_18TensorListMetadataILi2EEENS1_14UnaryOpFunctorIdLi2ELi1ELi1EEEJNS0_4CoshIdEEEEEvT_T0_DpT1_
                                        ; -- End function
	.set _ZN2at6native12_GLOBAL__N_125multi_tensor_apply_kernelINS1_18TensorListMetadataILi2EEENS1_14UnaryOpFunctorIdLi2ELi1ELi1EEEJNS0_4CoshIdEEEEEvT_T0_DpT1_.num_vgpr, 60
	.set _ZN2at6native12_GLOBAL__N_125multi_tensor_apply_kernelINS1_18TensorListMetadataILi2EEENS1_14UnaryOpFunctorIdLi2ELi1ELi1EEEJNS0_4CoshIdEEEEEvT_T0_DpT1_.num_agpr, 0
	.set _ZN2at6native12_GLOBAL__N_125multi_tensor_apply_kernelINS1_18TensorListMetadataILi2EEENS1_14UnaryOpFunctorIdLi2ELi1ELi1EEEJNS0_4CoshIdEEEEEvT_T0_DpT1_.numbered_sgpr, 20
	.set _ZN2at6native12_GLOBAL__N_125multi_tensor_apply_kernelINS1_18TensorListMetadataILi2EEENS1_14UnaryOpFunctorIdLi2ELi1ELi1EEEJNS0_4CoshIdEEEEEvT_T0_DpT1_.num_named_barrier, 0
	.set _ZN2at6native12_GLOBAL__N_125multi_tensor_apply_kernelINS1_18TensorListMetadataILi2EEENS1_14UnaryOpFunctorIdLi2ELi1ELi1EEEJNS0_4CoshIdEEEEEvT_T0_DpT1_.private_seg_size, 0
	.set _ZN2at6native12_GLOBAL__N_125multi_tensor_apply_kernelINS1_18TensorListMetadataILi2EEENS1_14UnaryOpFunctorIdLi2ELi1ELi1EEEJNS0_4CoshIdEEEEEvT_T0_DpT1_.uses_vcc, 1
	.set _ZN2at6native12_GLOBAL__N_125multi_tensor_apply_kernelINS1_18TensorListMetadataILi2EEENS1_14UnaryOpFunctorIdLi2ELi1ELi1EEEJNS0_4CoshIdEEEEEvT_T0_DpT1_.uses_flat_scratch, 0
	.set _ZN2at6native12_GLOBAL__N_125multi_tensor_apply_kernelINS1_18TensorListMetadataILi2EEENS1_14UnaryOpFunctorIdLi2ELi1ELi1EEEJNS0_4CoshIdEEEEEvT_T0_DpT1_.has_dyn_sized_stack, 0
	.set _ZN2at6native12_GLOBAL__N_125multi_tensor_apply_kernelINS1_18TensorListMetadataILi2EEENS1_14UnaryOpFunctorIdLi2ELi1ELi1EEEJNS0_4CoshIdEEEEEvT_T0_DpT1_.has_recursion, 0
	.set _ZN2at6native12_GLOBAL__N_125multi_tensor_apply_kernelINS1_18TensorListMetadataILi2EEENS1_14UnaryOpFunctorIdLi2ELi1ELi1EEEJNS0_4CoshIdEEEEEvT_T0_DpT1_.has_indirect_call, 0
	.section	.AMDGPU.csdata,"",@progbits
; Kernel info:
; codeLenInByte = 9348
; TotalNumSgprs: 22
; NumVgprs: 60
; ScratchSize: 0
; MemoryBound: 0
; FloatMode: 240
; IeeeMode: 1
; LDSByteSize: 0 bytes/workgroup (compile time only)
; SGPRBlocks: 0
; VGPRBlocks: 3
; NumSGPRsForWavesPerEU: 22
; NumVGPRsForWavesPerEU: 60
; NamedBarCnt: 0
; Occupancy: 16
; WaveLimiterHint : 0
; COMPUTE_PGM_RSRC2:SCRATCH_EN: 0
; COMPUTE_PGM_RSRC2:USER_SGPR: 2
; COMPUTE_PGM_RSRC2:TRAP_HANDLER: 0
; COMPUTE_PGM_RSRC2:TGID_X_EN: 1
; COMPUTE_PGM_RSRC2:TGID_Y_EN: 0
; COMPUTE_PGM_RSRC2:TGID_Z_EN: 0
; COMPUTE_PGM_RSRC2:TIDIG_COMP_CNT: 0
	.section	.text._ZN2at6native12_GLOBAL__N_125multi_tensor_apply_kernelINS1_18TensorListMetadataILi2EEENS1_14UnaryOpFunctorIfLi2ELi1ELi1EEEJNS0_4CoshIfEEEEEvT_T0_DpT1_,"axG",@progbits,_ZN2at6native12_GLOBAL__N_125multi_tensor_apply_kernelINS1_18TensorListMetadataILi2EEENS1_14UnaryOpFunctorIfLi2ELi1ELi1EEEJNS0_4CoshIfEEEEEvT_T0_DpT1_,comdat
	.globl	_ZN2at6native12_GLOBAL__N_125multi_tensor_apply_kernelINS1_18TensorListMetadataILi2EEENS1_14UnaryOpFunctorIfLi2ELi1ELi1EEEJNS0_4CoshIfEEEEEvT_T0_DpT1_ ; -- Begin function _ZN2at6native12_GLOBAL__N_125multi_tensor_apply_kernelINS1_18TensorListMetadataILi2EEENS1_14UnaryOpFunctorIfLi2ELi1ELi1EEEJNS0_4CoshIfEEEEEvT_T0_DpT1_
	.p2align	8
	.type	_ZN2at6native12_GLOBAL__N_125multi_tensor_apply_kernelINS1_18TensorListMetadataILi2EEENS1_14UnaryOpFunctorIfLi2ELi1ELi1EEEJNS0_4CoshIfEEEEEvT_T0_DpT1_,@function
_ZN2at6native12_GLOBAL__N_125multi_tensor_apply_kernelINS1_18TensorListMetadataILi2EEENS1_14UnaryOpFunctorIfLi2ELi1ELi1EEEJNS0_4CoshIfEEEEEvT_T0_DpT1_: ; @_ZN2at6native12_GLOBAL__N_125multi_tensor_apply_kernelINS1_18TensorListMetadataILi2EEENS1_14UnaryOpFunctorIfLi2ELi1ELi1EEEJNS0_4CoshIfEEEEEvT_T0_DpT1_
; %bb.0:
	s_bfe_u32 s2, ttmp6, 0x4000c
	s_and_b32 s3, ttmp6, 15
	s_add_co_i32 s2, s2, 1
	s_getreg_b32 s4, hwreg(HW_REG_IB_STS2, 6, 4)
	s_mul_i32 s2, ttmp9, s2
	s_delay_alu instid0(SALU_CYCLE_1)
	s_add_co_i32 s3, s3, s2
	s_cmp_eq_u32 s4, 0
	s_cselect_b32 s2, ttmp9, s3
	s_mov_b32 s3, 0
	s_load_u8 s11, s[0:1], s2 offset:0x600
	s_add_nc_u64 s[4:5], s[0:1], s[2:3]
	s_mul_u64 s[6:7], s[2:3], 3
	s_mov_b32 s15, s3
	s_add_nc_u64 s[4:5], s[4:5], s[6:7]
	s_load_b32 s10, s[4:5], 0x740
	s_wait_kmcnt 0x0
	s_clause 0x2
	s_load_b64 s[6:7], s[0:1], s11 offset:0x0 scale_offset
	s_load_b64 s[8:9], s[0:1], s11 offset:0x200 scale_offset
	s_load_b64 s[12:13], s[0:1], s11 offset:0x400 scale_offset
	s_wait_xcnt 0x0
	s_ashr_i32 s11, s10, 31
	s_delay_alu instid0(SALU_CYCLE_1)
	s_lshl_b64 s[4:5], s[10:11], 18
	s_wait_kmcnt 0x0
	s_and_b64 s[18:19], s[8:9], 15
	s_add_nc_u64 s[16:17], s[6:7], s[4:5]
	s_and_b32 s14, s12, 3
	s_and_b32 s2, s16, 15
	s_or_b64 s[14:15], s[18:19], s[14:15]
	s_lshl_b64 s[10:11], s[10:11], 16
	s_or_b64 s[2:3], s[14:15], s[2:3]
	s_sub_nc_u64 s[10:11], s[12:13], s[10:11]
	s_cmp_eq_u64 s[2:3], 0
	s_mov_b32 s2, -1
	s_cbranch_scc0 .LBB78_5
; %bb.1:
	v_min_i64 v[6:7], 0x10000, s[10:11]
	v_dual_mov_b32 v3, 0 :: v_dual_lshlrev_b32 v2, 2, v0
	s_mov_b32 s18, exec_lo
	s_delay_alu instid0(VALU_DEP_1)
	v_cmpx_lt_i64_e64 v[2:3], v[6:7]
	s_cbranch_execz .LBB78_4
; %bb.2:
	s_load_b32 s2, s[0:1], 0xc5c
	v_dual_mov_b32 v1, v3 :: v_dual_lshlrev_b32 v2, 4, v0
	s_mov_b32 s3, -1.0
	v_mov_b32_e32 v9, 0x3f317218
	v_dual_mov_b32 v11, -1.0 :: v_dual_mov_b32 v13, 1.0
	s_delay_alu instid0(VALU_DEP_3)
	v_add_nc_u64_e32 v[16:17], s[4:5], v[2:3]
	v_mov_b64_e32 v[18:19], v[0:1]
	s_mov_b32 s13, 0
	s_add_nc_u64 s[14:15], s[6:7], 8
	s_mov_b32 s19, 0x3ab42872
	s_mov_b32 s17, s13
	;; [unrolled: 1-line block ×3, first 2 shown]
	s_wait_kmcnt 0x0
	v_mov_b64_e32 v[14:15], s[2:3]
	s_and_b32 s12, s2, 0xffff
	s_delay_alu instid0(SALU_CYCLE_1)
	s_lshl_b32 s16, s12, 4
.LBB78_3:                               ; =>This Inner Loop Header: Depth=1
	v_add_nc_u64_e32 v[2:3], s[14:15], v[16:17]
	v_add_nc_u64_e32 v[18:19], s[12:13], v[18:19]
	;; [unrolled: 1-line block ×4, first 2 shown]
	global_load_b128 v[2:5], v[2:3], off offset:-8
	v_lshlrev_b64_e32 v[22:23], 2, v[18:19]
	s_delay_alu instid0(VALU_DEP_1)
	v_cmp_ge_i64_e32 vcc_lo, v[22:23], v[6:7]
	s_or_b32 s20, vcc_lo, s20
	s_wait_loadcnt 0x0
	v_add_f32_e64 v1, 0xbf317218, |v2|
	v_add_f32_e64 v10, 0xbf317218, |v3|
	v_and_b32_e32 v8, 0x7fffffff, v2
	v_add_f32_e64 v12, 0xbf317218, |v4|
	v_add_f32_e64 v30, 0xbf317218, |v5|
	v_sub_f32_e64 v23, v1, |v2|
	v_sub_f32_e64 v25, v10, |v3|
	v_cmp_nlt_f32_e64 s2, 0x42b2d4fc, |v2|
	v_sub_f32_e64 v27, v12, |v4|
	v_sub_f32_e64 v29, v30, |v5|
	s_delay_alu instid0(VALU_DEP_4) | instskip(SKIP_1) | instid1(VALU_DEP_3)
	v_dual_sub_f32 v22, v23, v1 :: v_dual_sub_f32 v24, v25, v10
	v_cmp_nlt_f32_e64 s3, 0x42b2d4fc, |v3|
	v_dual_sub_f32 v26, v27, v12 :: v_dual_sub_f32 v28, v29, v30
	s_delay_alu instid0(VALU_DEP_3) | instskip(SKIP_1) | instid1(VALU_DEP_2)
	v_pk_add_f32 v[22:23], v[8:9], v[22:23]
	v_and_b32_e32 v8, 0x7fffffff, v3
	v_sub_f32_e32 v31, v22, v23
	s_delay_alu instid0(VALU_DEP_2) | instskip(SKIP_1) | instid1(VALU_DEP_2)
	v_pk_add_f32 v[22:23], v[8:9], v[24:25]
	v_and_b32_e32 v8, 0x7fffffff, v4
	v_sub_f32_e32 v25, v22, v23
	s_delay_alu instid0(VALU_DEP_4) | instskip(NEXT) | instid1(VALU_DEP_3)
	v_add_f32_e32 v24, 0x3102e308, v31
	v_pk_add_f32 v[22:23], v[8:9], v[26:27]
	v_and_b32_e32 v8, 0x7fffffff, v5
	s_delay_alu instid0(VALU_DEP_3) | instskip(NEXT) | instid1(VALU_DEP_3)
	v_dual_add_f32 v25, 0x3102e308, v25 :: v_dual_add_f32 v26, v1, v24
	v_sub_f32_e32 v27, v22, v23
	s_delay_alu instid0(VALU_DEP_3) | instskip(NEXT) | instid1(VALU_DEP_3)
	v_pk_add_f32 v[22:23], v[8:9], v[28:29]
	v_dual_add_f32 v28, v10, v25 :: v_dual_sub_f32 v1, v1, v26
	v_mul_f32_e32 v8, 0x3fb8aa3b, v26
	s_delay_alu instid0(VALU_DEP_4) | instskip(NEXT) | instid1(VALU_DEP_4)
	v_add_f32_e32 v27, 0x3102e308, v27
	v_sub_f32_e32 v22, v22, v23
	s_delay_alu instid0(VALU_DEP_4) | instskip(NEXT) | instid1(VALU_DEP_4)
	v_dual_sub_f32 v10, v10, v28 :: v_dual_add_f32 v1, v24, v1
	v_rndne_f32_e32 v8, v8
	s_delay_alu instid0(VALU_DEP_4) | instskip(NEXT) | instid1(VALU_DEP_4)
	v_dual_add_f32 v31, v12, v27 :: v_dual_mul_f32 v24, 0x3fb8aa3b, v28
	v_add_f32_e32 v22, 0x3102e308, v22
	s_delay_alu instid0(VALU_DEP_3) | instskip(SKIP_1) | instid1(VALU_DEP_4)
	v_dual_add_f32 v10, v25, v10 :: v_dual_mul_f32 v23, 0x2ea39ef3, v8
	v_fmac_f32_e32 v26, 0xbf317200, v8
	v_mul_f32_e32 v29, 0x3fb8aa3b, v31
	v_rndne_f32_e32 v24, v24
	v_dual_sub_f32 v12, v12, v31 :: v_dual_add_f32 v35, v30, v22
	s_delay_alu instid0(VALU_DEP_4) | instskip(NEXT) | instid1(VALU_DEP_3)
	v_dual_mul_f32 v32, 0x35bfbc00, v8 :: v_dual_add_f32 v33, v1, v26
	v_fmac_f32_e32 v28, 0xbf317200, v24
	v_mul_f32_e32 v25, 0x2ea39ef3, v24
	v_cvt_i32_f32_e32 v40, v24
	s_delay_alu instid0(VALU_DEP_4) | instskip(SKIP_3) | instid1(VALU_DEP_4)
	v_dual_add_f32 v12, v27, v12 :: v_dual_sub_f32 v34, v26, v33
	v_mul_f32_e32 v36, 0x35bfbc00, v24
	v_rndne_f32_e32 v24, v29
	v_dual_sub_f32 v27, v30, v35 :: v_dual_sub_f32 v26, v33, v32
	v_add_f32_e32 v1, v1, v34
	v_cvt_i32_f32_e32 v8, v8
	s_delay_alu instid0(VALU_DEP_4)
	v_fmac_f32_e32 v31, 0xbf317200, v24
	v_dual_mul_f32 v30, 0x3fb8aa3b, v35 :: v_dual_add_f32 v37, v10, v28
	v_mul_f32_e32 v38, 0x35bfbc00, v24
	v_mul_f32_e32 v29, 0x2ea39ef3, v24
	v_cvt_i32_f32_e32 v48, v24
	v_add_f32_e32 v22, v22, v27
	v_rndne_f32_e32 v24, v30
	v_sub_f32_e32 v27, v33, v26
	v_dual_sub_f32 v30, v37, v36 :: v_dual_add_f32 v39, v12, v31
	s_delay_alu instid0(VALU_DEP_3) | instskip(SKIP_2) | instid1(VALU_DEP_4)
	v_dual_sub_f32 v28, v28, v37 :: v_dual_fmac_f32 v35, 0xbf317200, v24
	v_mul_f32_e32 v41, 0x35bfbc00, v24
	v_cvt_i32_f32_e32 v49, v24
	v_dual_sub_f32 v34, v39, v38 :: v_dual_mul_f32 v33, 0x2ea39ef3, v24
	v_dual_sub_f32 v24, v27, v32 :: v_dual_sub_f32 v27, v37, v30
	v_dual_add_f32 v10, v10, v28 :: v_dual_sub_f32 v28, v31, v39
	s_delay_alu instid0(VALU_DEP_2) | instskip(NEXT) | instid1(VALU_DEP_3)
	v_dual_add_f32 v31, v22, v35 :: v_dual_add_f32 v1, v1, v24
	v_sub_f32_e32 v24, v27, v36
	s_delay_alu instid0(VALU_DEP_3) | instskip(NEXT) | instid1(VALU_DEP_3)
	v_dual_add_f32 v12, v12, v28 :: v_dual_sub_f32 v28, v39, v34
	v_dual_sub_f32 v32, v35, v31 :: v_dual_add_f32 v27, v26, v1
	s_delay_alu instid0(VALU_DEP_3) | instskip(NEXT) | instid1(VALU_DEP_2)
	v_dual_sub_f32 v36, v31, v41 :: v_dual_add_f32 v10, v10, v24
	v_dual_sub_f32 v24, v28, v38 :: v_dual_add_f32 v32, v22, v32
	s_delay_alu instid0(VALU_DEP_3) | instskip(NEXT) | instid1(VALU_DEP_3)
	v_mov_b32_e32 v22, v27
	v_dual_sub_f32 v28, v31, v36 :: v_dual_add_f32 v31, v30, v10
	s_delay_alu instid0(VALU_DEP_3) | instskip(NEXT) | instid1(VALU_DEP_3)
	v_add_f32_e32 v12, v12, v24
	v_pk_add_f32 v[38:39], v[26:27], v[22:23] neg_lo:[0,1] neg_hi:[0,1]
	s_delay_alu instid0(VALU_DEP_3) | instskip(NEXT) | instid1(VALU_DEP_2)
	v_dual_mov_b32 v24, v31 :: v_dual_sub_f32 v28, v28, v41
	v_dual_add_f32 v35, v34, v12 :: v_dual_sub_f32 v22, v27, v39
	s_delay_alu instid0(VALU_DEP_3) | instskip(NEXT) | instid1(VALU_DEP_3)
	v_add_f32_e32 v1, v1, v38
	v_pk_add_f32 v[26:27], v[30:31], v[24:25] neg_lo:[0,1] neg_hi:[0,1]
	s_delay_alu instid0(VALU_DEP_3) | instskip(NEXT) | instid1(VALU_DEP_4)
	v_dual_add_f32 v41, v32, v28 :: v_dual_mov_b32 v28, v35
	v_sub_f32_e32 v24, v22, v23
	s_delay_alu instid0(VALU_DEP_2) | instskip(NEXT) | instid1(VALU_DEP_4)
	v_dual_add_f32 v10, v10, v26 :: v_dual_add_f32 v37, v36, v41
	v_sub_f32_e32 v30, v31, v27
	s_delay_alu instid0(VALU_DEP_4) | instskip(NEXT) | instid1(VALU_DEP_4)
	v_pk_add_f32 v[22:23], v[34:35], v[28:29] neg_lo:[0,1] neg_hi:[0,1]
	v_add_f32_e32 v1, v1, v24
	s_delay_alu instid0(VALU_DEP_3) | instskip(NEXT) | instid1(VALU_DEP_3)
	v_dual_mov_b32 v32, v37 :: v_dual_sub_f32 v26, v30, v25
	v_dual_sub_f32 v28, v35, v23 :: v_dual_add_f32 v12, v12, v22
	s_delay_alu instid0(VALU_DEP_3) | instskip(NEXT) | instid1(VALU_DEP_3)
	v_add_f32_e32 v22, v39, v1
	v_pk_add_f32 v[24:25], v[36:37], v[32:33] neg_lo:[0,1] neg_hi:[0,1]
	s_delay_alu instid0(VALU_DEP_3) | instskip(NEXT) | instid1(VALU_DEP_2)
	v_dual_add_f32 v10, v10, v26 :: v_dual_sub_f32 v26, v28, v29
	v_dual_fmaak_f32 v29, s19, v22, 0x3c091de6 :: v_dual_sub_f32 v28, v37, v25
	s_delay_alu instid0(VALU_DEP_3) | instskip(SKIP_1) | instid1(VALU_DEP_2)
	v_dual_add_f32 v24, v41, v24 :: v_dual_sub_f32 v30, v39, v22
	v_mul_f32_e32 v31, v22, v22
	v_add_f32_e32 v1, v1, v30
	v_add_f32_e32 v32, v27, v10
	;; [unrolled: 1-line block ×3, first 2 shown]
	v_sub_f32_e32 v26, v28, v33
	v_fmaak_f32 v28, v22, v29, 0x3d2aadcc
	s_delay_alu instid0(VALU_DEP_2) | instskip(NEXT) | instid1(VALU_DEP_2)
	v_add_f32_e32 v24, v24, v26
	v_fmaak_f32 v26, v22, v28, 0x3e2aaa47
	v_add_f32_e32 v28, v1, v1
	v_dual_fmaak_f32 v30, s19, v32, 0x3c091de6 :: v_dual_sub_f32 v27, v27, v32
	v_dual_fma_f32 v29, v22, v22, -v31 :: v_dual_add_f32 v34, v23, v12
	s_delay_alu instid0(VALU_DEP_2) | instskip(NEXT) | instid1(VALU_DEP_3)
	v_dual_mul_f32 v33, v32, v32 :: v_dual_fmaak_f32 v30, v32, v30, 0x3d2aadcc
	v_add_f32_e32 v27, v10, v27
	s_delay_alu instid0(VALU_DEP_3) | instskip(NEXT) | instid1(VALU_DEP_4)
	v_fmac_f32_e32 v29, v22, v28
	v_dual_fmaak_f32 v35, s19, v34, 0x3c091de6 :: v_dual_add_f32 v42, v25, v24
	s_delay_alu instid0(VALU_DEP_4) | instskip(SKIP_1) | instid1(VALU_DEP_4)
	v_dual_fma_f32 v10, v32, v32, -v33 :: v_dual_mul_f32 v36, v34, v34
	v_sub_f32_e32 v23, v23, v34
	v_dual_fmaak_f32 v26, v22, v26, 0x3efffffc :: v_dual_add_f32 v39, v31, v29
	v_fmaak_f32 v28, v32, v30, 0x3e2aaa47
	v_add_f32_e32 v30, v27, v27
	s_delay_alu instid0(VALU_DEP_4) | instskip(SKIP_1) | instid1(VALU_DEP_3)
	v_dual_add_f32 v12, v12, v23 :: v_dual_fmaak_f32 v37, s19, v42, 0x3c091de6
	v_fma_f32 v23, v34, v34, -v36
	v_dual_fmaak_f32 v35, v34, v35, 0x3d2aadcc :: v_dual_fmac_f32 v10, v32, v30
	v_dual_sub_f32 v25, v25, v42 :: v_dual_mul_f32 v38, v42, v42
	s_delay_alu instid0(VALU_DEP_2) | instskip(NEXT) | instid1(VALU_DEP_2)
	v_dual_fmaak_f32 v30, v34, v35, 0x3e2aaa47 :: v_dual_add_f32 v35, v12, v12
	v_dual_add_f32 v41, v24, v25 :: v_dual_fma_f32 v24, v42, v42, -v38
	v_dual_sub_f32 v25, v39, v31 :: v_dual_fmaak_f32 v28, v32, v28, 0x3efffffc
	v_dual_mul_f32 v31, v26, v39 :: v_dual_add_f32 v43, v33, v10
	s_delay_alu instid0(VALU_DEP_4) | instskip(SKIP_1) | instid1(VALU_DEP_4)
	v_fmac_f32_e32 v23, v34, v35
	v_fmaak_f32 v37, v42, v37, 0x3d2aadcc
	v_dual_fmaak_f32 v30, v34, v30, 0x3efffffc :: v_dual_sub_f32 v25, v29, v25
	s_delay_alu instid0(VALU_DEP_3) | instskip(NEXT) | instid1(VALU_DEP_3)
	v_dual_fma_f32 v29, v39, v26, -v31 :: v_dual_add_f32 v44, v36, v23
	v_fmaak_f32 v35, v42, v37, 0x3e2aaa47
	v_add_f32_e32 v37, v41, v41
	v_dual_sub_f32 v33, v43, v33 :: v_dual_mul_f32 v39, v28, v43
	s_delay_alu instid0(VALU_DEP_4) | instskip(NEXT) | instid1(VALU_DEP_3)
	v_dual_fmac_f32 v29, v25, v26 :: v_dual_sub_f32 v26, v44, v36
	v_dual_fmac_f32 v24, v42, v37 :: v_dual_fmaak_f32 v35, v42, v35, 0x3efffffc
	s_delay_alu instid0(VALU_DEP_3) | instskip(NEXT) | instid1(VALU_DEP_3)
	v_sub_f32_e32 v10, v10, v33
	v_dual_mul_f32 v33, v30, v44 :: v_dual_add_f32 v37, v31, v29
	v_fma_f32 v25, v43, v28, -v39
	s_delay_alu instid0(VALU_DEP_4) | instskip(NEXT) | instid1(VALU_DEP_3)
	v_dual_add_f32 v36, v38, v24 :: v_dual_sub_f32 v23, v23, v26
	v_dual_fma_f32 v26, v44, v30, -v33 :: v_dual_sub_f32 v31, v37, v31
	s_delay_alu instid0(VALU_DEP_2) | instskip(SKIP_1) | instid1(VALU_DEP_3)
	v_dual_fmac_f32 v25, v10, v28 :: v_dual_sub_f32 v28, v36, v38
	v_dual_mul_f32 v38, v35, v36 :: v_dual_add_f32 v10, v22, v37
	v_fmac_f32_e32 v26, v23, v30
	s_delay_alu instid0(VALU_DEP_3) | instskip(NEXT) | instid1(VALU_DEP_3)
	v_dual_add_f32 v43, v39, v25 :: v_dual_sub_f32 v23, v24, v28
	v_dual_fma_f32 v28, v36, v35, -v38 :: v_dual_sub_f32 v22, v10, v22
	s_delay_alu instid0(VALU_DEP_1) | instskip(NEXT) | instid1(VALU_DEP_2)
	v_dual_add_f32 v36, v33, v26 :: v_dual_fmac_f32 v28, v23, v35
	v_sub_f32_e32 v22, v37, v22
	v_sub_f32_e32 v24, v29, v31
	s_delay_alu instid0(VALU_DEP_3) | instskip(NEXT) | instid1(VALU_DEP_2)
	v_dual_sub_f32 v29, v43, v39 :: v_dual_add_f32 v44, v38, v28
	v_dual_add_f32 v1, v1, v24 :: v_dual_sub_f32 v24, v36, v33
	s_delay_alu instid0(VALU_DEP_2) | instskip(NEXT) | instid1(VALU_DEP_1)
	v_dual_sub_f32 v23, v25, v29 :: v_dual_sub_f32 v25, v44, v38
	v_dual_add_f32 v22, v1, v22 :: v_dual_add_f32 v1, v27, v23
	s_delay_alu instid0(VALU_DEP_2) | instskip(NEXT) | instid1(VALU_DEP_1)
	v_dual_sub_f32 v23, v26, v24 :: v_dual_sub_f32 v26, v28, v25
	v_dual_add_f32 v24, v10, v22 :: v_dual_add_f32 v12, v12, v23
	s_delay_alu instid0(VALU_DEP_1) | instskip(SKIP_1) | instid1(VALU_DEP_2)
	v_dual_add_f32 v45, v41, v26 :: v_dual_add_f32 v25, 1.0, v24
	v_mov_b32_e32 v23, v24
	v_pk_add_f32 v[26:27], v[24:25], v[10:11] neg_lo:[0,1] neg_hi:[0,1]
	v_pk_add_f32 v[28:29], v[24:25], v[14:15]
	s_delay_alu instid0(VALU_DEP_1) | instskip(NEXT) | instid1(VALU_DEP_1)
	v_dual_add_f32 v10, v32, v43 :: v_dual_mov_b32 v27, v29
	v_sub_f32_e32 v24, v10, v32
	s_delay_alu instid0(VALU_DEP_2) | instskip(NEXT) | instid1(VALU_DEP_1)
	v_pk_add_f32 v[22:23], v[22:23], v[26:27] neg_lo:[0,1] neg_hi:[0,1]
	v_dual_sub_f32 v24, v43, v24 :: v_dual_add_f32 v32, v22, v23
	s_delay_alu instid0(VALU_DEP_1) | instskip(NEXT) | instid1(VALU_DEP_1)
	v_add_f32_e32 v22, v1, v24
	v_dual_add_f32 v1, v25, v32 :: v_dual_add_f32 v26, v10, v22
	s_delay_alu instid0(VALU_DEP_1) | instskip(NEXT) | instid1(VALU_DEP_2)
	v_ldexp_f32 v24, v1, v8
	v_dual_add_f32 v27, 1.0, v26 :: v_dual_sub_f32 v1, v1, v25
	v_mov_b32_e32 v23, v26
	s_delay_alu instid0(VALU_DEP_3) | instskip(NEXT) | instid1(VALU_DEP_2)
	v_rcp_f32_e32 v50, v24
	v_pk_add_f32 v[28:29], v[26:27], v[14:15]
	v_pk_add_f32 v[30:31], v[26:27], v[10:11] neg_lo:[0,1] neg_hi:[0,1]
	v_dual_add_f32 v10, v34, v36 :: v_dual_sub_f32 v1, v32, v1
	s_delay_alu instid0(VALU_DEP_1) | instskip(NEXT) | instid1(VALU_DEP_2)
	v_dual_mov_b32 v31, v29 :: v_dual_sub_f32 v25, v10, v34
	v_ldexp_f32 v26, v1, v8
	s_delay_alu instid0(VALU_DEP_2) | instskip(NEXT) | instid1(VALU_DEP_1)
	v_pk_add_f32 v[22:23], v[22:23], v[30:31] neg_lo:[0,1] neg_hi:[0,1]
	v_dual_mul_f32 v28, v24, v50 :: v_dual_add_f32 v8, v22, v23
	s_delay_alu instid0(VALU_DEP_1) | instskip(NEXT) | instid1(VALU_DEP_1)
	v_dual_sub_f32 v1, v36, v25 :: v_dual_fma_f32 v30, v50, v24, -v28
	v_dual_add_f32 v22, v12, v1 :: v_dual_fmac_f32 v30, v50, v26
	s_delay_alu instid0(VALU_DEP_1) | instskip(NEXT) | instid1(VALU_DEP_1)
	v_dual_add_f32 v1, v27, v8 :: v_dual_add_f32 v32, v10, v22
	v_dual_add_f32 v12, v28, v30 :: v_dual_sub_f32 v27, v1, v27
	v_ldexp_f32 v25, v1, v40
	s_delay_alu instid0(VALU_DEP_3) | instskip(NEXT) | instid1(VALU_DEP_3)
	v_dual_add_f32 v33, 1.0, v32 :: v_dual_mov_b32 v23, v32
	v_dual_sub_f32 v29, 1.0, v12 :: v_dual_mov_b32 v31, v12
	s_delay_alu instid0(VALU_DEP_4) | instskip(NEXT) | instid1(VALU_DEP_3)
	v_sub_f32_e32 v1, v8, v27
	v_pk_add_f32 v[34:35], v[32:33], v[10:11] neg_lo:[0,1] neg_hi:[0,1]
	v_pk_add_f32 v[36:37], v[32:33], v[14:15]
	v_add_f32_e32 v10, v42, v44
	v_rcp_f32_e32 v8, v25
	v_pk_add_f32 v[38:39], v[12:13], v[28:29] neg_lo:[0,1] neg_hi:[0,1]
	v_ldexp_f32 v41, v1, v40
	s_delay_alu instid0(VALU_DEP_3) | instskip(NEXT) | instid1(VALU_DEP_3)
	v_dual_mov_b32 v35, v37 :: v_dual_sub_f32 v1, v10, v42
	v_pk_add_f32 v[30:31], v[38:39], v[30:31] neg_lo:[0,1] neg_hi:[0,1]
	s_delay_alu instid0(TRANS32_DEP_1) | instskip(NEXT) | instid1(VALU_DEP_3)
	v_mul_f32_e32 v28, v25, v8
	v_pk_add_f32 v[22:23], v[22:23], v[34:35] neg_lo:[0,1] neg_hi:[0,1]
	s_delay_alu instid0(VALU_DEP_3) | instskip(NEXT) | instid1(VALU_DEP_2)
	v_dual_sub_f32 v1, v44, v1 :: v_dual_add_f32 v27, v30, v31
	v_dual_fma_f32 v30, v8, v25, -v28 :: v_dual_add_f32 v34, v22, v23
	s_delay_alu instid0(VALU_DEP_2) | instskip(NEXT) | instid1(VALU_DEP_2)
	v_add_f32_e32 v22, v45, v1
	v_dual_add_f32 v35, v29, v27 :: v_dual_fmac_f32 v30, v8, v41
	s_delay_alu instid0(VALU_DEP_3) | instskip(NEXT) | instid1(VALU_DEP_2)
	v_add_f32_e32 v1, v33, v34
	v_dual_add_f32 v32, v10, v22 :: v_dual_sub_f32 v29, v29, v35
	s_delay_alu instid0(VALU_DEP_3) | instskip(NEXT) | instid1(VALU_DEP_2)
	v_dual_mul_f32 v37, v50, v35 :: v_dual_add_f32 v12, v28, v30
	v_dual_sub_f32 v39, v1, v33 :: v_dual_add_f32 v33, 1.0, v32
	v_mov_b32_e32 v23, v32
	v_ldexp_f32 v36, v1, v48
	s_delay_alu instid0(VALU_DEP_4) | instskip(SKIP_2) | instid1(VALU_DEP_4)
	v_mul_f32_e32 v38, v24, v37
	v_dual_add_f32 v1, v27, v29 :: v_dual_sub_f32 v29, 1.0, v12
	v_pk_add_f32 v[44:45], v[32:33], v[14:15]
	v_rcp_f32_e32 v51, v36
	v_pk_add_f32 v[42:43], v[32:33], v[10:11] neg_lo:[0,1] neg_hi:[0,1]
	v_dual_add_f32 v27, v50, v37 :: v_dual_mov_b32 v31, v12
	v_dual_sub_f32 v34, v34, v39 :: v_dual_fma_f32 v44, v37, v24, -v38
	v_pk_add_f32 v[46:47], v[12:13], v[28:29] neg_lo:[0,1] neg_hi:[0,1]
	s_delay_alu instid0(TRANS32_DEP_1) | instskip(NEXT) | instid1(VALU_DEP_4)
	v_dual_mov_b32 v43, v45 :: v_dual_mul_f32 v32, v36, v51
	v_sub_f32_e32 v10, v27, v50
	s_delay_alu instid0(VALU_DEP_4) | instskip(NEXT) | instid1(VALU_DEP_4)
	v_ldexp_f32 v28, v34, v48
	v_pk_add_f32 v[30:31], v[46:47], v[30:31] neg_lo:[0,1] neg_hi:[0,1]
	v_fmac_f32_e32 v44, v37, v26
	v_pk_add_f32 v[22:23], v[22:23], v[42:43] neg_lo:[0,1] neg_hi:[0,1]
	s_delay_alu instid0(VALU_DEP_3) | instskip(NEXT) | instid1(VALU_DEP_3)
	v_dual_add_f32 v31, v30, v31 :: v_dual_sub_f32 v10, v37, v10
	v_add_f32_e32 v34, v38, v44
	s_delay_alu instid0(VALU_DEP_3) | instskip(NEXT) | instid1(VALU_DEP_2)
	v_dual_fma_f32 v30, v51, v36, -v32 :: v_dual_add_f32 v22, v22, v23
	v_dual_add_f32 v23, v29, v31 :: v_dual_sub_f32 v39, v35, v34
	s_delay_alu instid0(VALU_DEP_2) | instskip(NEXT) | instid1(VALU_DEP_2)
	v_dual_mov_b32 v45, v34 :: v_dual_fmac_f32 v30, v51, v28
	v_dual_add_f32 v37, v33, v22 :: v_dual_mul_f32 v40, v8, v23
	s_delay_alu instid0(VALU_DEP_3) | instskip(NEXT) | instid1(VALU_DEP_3)
	v_pk_add_f32 v[34:35], v[34:35], v[38:39] neg_lo:[0,1] neg_hi:[0,1]
	v_dual_sub_f32 v29, v29, v23 :: v_dual_add_f32 v12, v32, v30
	s_delay_alu instid0(VALU_DEP_3) | instskip(SKIP_1) | instid1(VALU_DEP_4)
	v_dual_sub_f32 v42, v37, v33 :: v_dual_add_f32 v48, v8, v40
	v_ldexp_f32 v37, v37, v49
	v_pk_add_f32 v[34:35], v[34:35], v[44:45] neg_lo:[0,1] neg_hi:[0,1]
	s_delay_alu instid0(VALU_DEP_4) | instskip(SKIP_1) | instid1(VALU_DEP_4)
	v_dual_mul_f32 v38, v25, v40 :: v_dual_add_f32 v29, v31, v29
	v_dual_sub_f32 v33, 1.0, v12 :: v_dual_mov_b32 v31, v12
	v_rcp_f32_e32 v52, v37
	s_delay_alu instid0(VALU_DEP_3) | instskip(NEXT) | instid1(VALU_DEP_3)
	v_dual_sub_f32 v22, v22, v42 :: v_dual_add_f32 v1, v1, v35
	v_fma_f32 v42, v40, v25, -v38
	s_delay_alu instid0(VALU_DEP_3) | instskip(SKIP_1) | instid1(VALU_DEP_4)
	v_pk_add_f32 v[44:45], v[12:13], v[32:33] neg_lo:[0,1] neg_hi:[0,1]
	v_sub_f32_e32 v43, v48, v8
	v_ldexp_f32 v35, v22, v49
	s_delay_alu instid0(TRANS32_DEP_1) | instskip(NEXT) | instid1(VALU_DEP_3)
	v_dual_mul_f32 v32, v37, v52 :: v_dual_add_f32 v1, v34, v1
	v_dual_fmac_f32 v42, v40, v41 :: v_dual_sub_f32 v34, v40, v43
	v_pk_add_f32 v[30:31], v[44:45], v[30:31] neg_lo:[0,1] neg_hi:[0,1]
	s_delay_alu instid0(VALU_DEP_3) | instskip(NEXT) | instid1(VALU_DEP_3)
	v_fma_f32 v44, v52, v37, -v32
	v_dual_add_f32 v1, v39, v1 :: v_dual_add_f32 v22, v38, v42
	s_delay_alu instid0(VALU_DEP_3) | instskip(NEXT) | instid1(VALU_DEP_2)
	v_add_f32_e32 v30, v30, v31
	v_dual_fmac_f32 v44, v52, v35 :: v_dual_mul_f32 v1, v50, v1
	s_delay_alu instid0(VALU_DEP_3) | instskip(NEXT) | instid1(VALU_DEP_3)
	v_sub_f32_e32 v39, v23, v22
	v_dual_add_f32 v31, v33, v30 :: v_dual_mov_b32 v43, v22
	s_delay_alu instid0(VALU_DEP_3) | instskip(NEXT) | instid1(VALU_DEP_3)
	v_dual_add_f32 v12, v32, v44 :: v_dual_add_f32 v1, v10, v1
	v_pk_add_f32 v[22:23], v[22:23], v[38:39] neg_lo:[0,1] neg_hi:[0,1]
	s_delay_alu instid0(VALU_DEP_3) | instskip(NEXT) | instid1(VALU_DEP_3)
	v_dual_mul_f32 v10, v51, v31 :: v_dual_sub_f32 v40, v33, v31
	v_dual_sub_f32 v33, 1.0, v12 :: v_dual_add_f32 v47, v27, v1
	s_delay_alu instid0(VALU_DEP_3) | instskip(NEXT) | instid1(VALU_DEP_3)
	v_pk_add_f32 v[22:23], v[22:23], v[42:43] neg_lo:[0,1] neg_hi:[0,1]
	v_mul_f32_e32 v38, v36, v10
	v_mov_b32_e32 v45, v12
	s_delay_alu instid0(VALU_DEP_4) | instskip(SKIP_3) | instid1(VALU_DEP_4)
	v_pk_add_f32 v[42:43], v[12:13], v[32:33] neg_lo:[0,1] neg_hi:[0,1]
	v_dual_add_f32 v49, v30, v40 :: v_dual_add_f32 v50, v51, v10
	v_sub_f32_e32 v12, v47, v27
	v_dual_add_f32 v23, v29, v23 :: v_dual_fma_f32 v46, v10, v36, -v38
	v_pk_add_f32 v[42:43], v[42:43], v[44:45] neg_lo:[0,1] neg_hi:[0,1]
	s_delay_alu instid0(VALU_DEP_3) | instskip(SKIP_1) | instid1(VALU_DEP_4)
	v_dual_sub_f32 v27, v50, v51 :: v_dual_sub_f32 v1, v1, v12
	v_ldexp_f32 v32, v47, -2
	v_fmac_f32_e32 v46, v10, v28
	s_delay_alu instid0(VALU_DEP_4) | instskip(SKIP_3) | instid1(VALU_DEP_3)
	v_add_f32_e32 v12, v42, v43
	v_add_f32_e32 v22, v22, v23
	v_sub_f32_e32 v10, v10, v27
	v_ldexp_f32 v40, v1, -2
	v_dual_add_f32 v23, v33, v12 :: v_dual_add_f32 v22, v39, v22
	v_add_f32_e32 v30, v38, v46
	s_delay_alu instid0(VALU_DEP_2) | instskip(NEXT) | instid1(VALU_DEP_2)
	v_mul_f32_e32 v1, v8, v22
	v_dual_mul_f32 v8, v52, v23 :: v_dual_mov_b32 v47, v30
	s_delay_alu instid0(VALU_DEP_2) | instskip(SKIP_1) | instid1(VALU_DEP_2)
	v_dual_sub_f32 v39, v31, v30 :: v_dual_add_f32 v1, v34, v1
	v_sub_f32_e32 v22, v33, v23
	v_pk_add_f32 v[30:31], v[30:31], v[38:39] neg_lo:[0,1] neg_hi:[0,1]
	s_delay_alu instid0(VALU_DEP_3) | instskip(NEXT) | instid1(VALU_DEP_3)
	v_dual_add_f32 v27, v48, v1 :: v_dual_mul_f32 v38, v37, v8
	v_add_f32_e32 v12, v12, v22
	s_delay_alu instid0(VALU_DEP_3) | instskip(SKIP_1) | instid1(VALU_DEP_4)
	v_pk_add_f32 v[30:31], v[30:31], v[46:47] neg_lo:[0,1] neg_hi:[0,1]
	v_add_f32_e32 v29, v52, v8
	v_ldexp_f32 v33, v27, -2
	v_dual_fma_f32 v42, v8, v37, -v38 :: v_dual_sub_f32 v22, v27, v48
	s_delay_alu instid0(VALU_DEP_4) | instskip(NEXT) | instid1(VALU_DEP_4)
	v_add_f32_e32 v27, v49, v31
	v_sub_f32_e32 v31, v29, v52
	s_delay_alu instid0(VALU_DEP_4) | instskip(NEXT) | instid1(VALU_DEP_4)
	v_pk_add_f32 v[44:45], v[24:25], v[32:33]
	v_dual_fmac_f32 v42, v8, v35 :: v_dual_sub_f32 v1, v1, v22
	s_delay_alu instid0(VALU_DEP_4) | instskip(NEXT) | instid1(VALU_DEP_4)
	v_add_f32_e32 v30, v30, v27
	v_sub_f32_e32 v8, v8, v31
	s_delay_alu instid0(VALU_DEP_4) | instskip(NEXT) | instid1(VALU_DEP_4)
	v_pk_add_f32 v[24:25], v[44:45], v[24:25] neg_lo:[0,1] neg_hi:[0,1]
	v_add_f32_e32 v22, v38, v42
	v_ldexp_f32 v27, v1, -2
	v_add_f32_e32 v1, v39, v30
	s_delay_alu instid0(VALU_DEP_4) | instskip(NEXT) | instid1(VALU_DEP_4)
	v_pk_add_f32 v[24:25], v[32:33], v[24:25] neg_lo:[0,1] neg_hi:[0,1]
	v_mov_b32_e32 v43, v22
	s_delay_alu instid0(VALU_DEP_4) | instskip(NEXT) | instid1(VALU_DEP_4)
	v_pk_add_f32 v[26:27], v[40:41], v[26:27]
	v_mul_f32_e32 v1, v51, v1
	v_sub_f32_e32 v39, v23, v22
	s_delay_alu instid0(VALU_DEP_3) | instskip(NEXT) | instid1(VALU_DEP_3)
	v_pk_add_f32 v[24:25], v[26:27], v[24:25]
	v_add_f32_e32 v1, v10, v1
	s_delay_alu instid0(VALU_DEP_3) | instskip(NEXT) | instid1(VALU_DEP_3)
	v_pk_add_f32 v[22:23], v[22:23], v[38:39] neg_lo:[0,1] neg_hi:[0,1]
	v_pk_add_f32 v[24:25], v[44:45], v[24:25]
	s_delay_alu instid0(VALU_DEP_3) | instskip(NEXT) | instid1(VALU_DEP_3)
	v_add_f32_e32 v10, v50, v1
	v_pk_add_f32 v[22:23], v[22:23], v[42:43] neg_lo:[0,1] neg_hi:[0,1]
	s_wait_xcnt 0x0
	s_delay_alu instid0(VALU_DEP_3) | instskip(SKIP_1) | instid1(VALU_DEP_3)
	v_cndmask_b32_e64 v3, 0x7f800000, v25, s3
	v_cndmask_b32_e64 v2, 0x7f800000, v24, s2
	v_dual_add_f32 v12, v12, v23 :: v_dual_sub_f32 v23, v10, v50
	v_cmp_nlt_f32_e64 s2, 0x42b2d4fc, |v4|
	v_cmp_nlt_f32_e64 s3, 0x42b2d4fc, |v5|
	s_delay_alu instid0(VALU_DEP_3) | instskip(SKIP_2) | instid1(VALU_DEP_3)
	v_sub_f32_e32 v1, v1, v23
	v_ldexp_f32 v30, v10, -2
	v_add_f32_e32 v10, v22, v12
	v_ldexp_f32 v34, v1, -2
	s_delay_alu instid0(VALU_DEP_2) | instskip(NEXT) | instid1(VALU_DEP_1)
	v_add_f32_e32 v10, v39, v10
	v_mul_f32_e32 v1, v52, v10
	s_delay_alu instid0(VALU_DEP_1) | instskip(NEXT) | instid1(VALU_DEP_1)
	v_add_f32_e32 v1, v8, v1
	v_add_f32_e32 v8, v29, v1
	s_delay_alu instid0(VALU_DEP_1) | instskip(SKIP_1) | instid1(VALU_DEP_2)
	v_ldexp_f32 v31, v8, -2
	v_sub_f32_e32 v8, v8, v29
	v_pk_add_f32 v[22:23], v[36:37], v[30:31]
	s_delay_alu instid0(VALU_DEP_2) | instskip(NEXT) | instid1(VALU_DEP_2)
	v_sub_f32_e32 v1, v1, v8
	v_pk_add_f32 v[32:33], v[22:23], v[36:37] neg_lo:[0,1] neg_hi:[0,1]
	s_delay_alu instid0(VALU_DEP_2) | instskip(NEXT) | instid1(VALU_DEP_2)
	v_ldexp_f32 v29, v1, -2
	v_pk_add_f32 v[30:31], v[30:31], v[32:33] neg_lo:[0,1] neg_hi:[0,1]
	s_delay_alu instid0(VALU_DEP_2) | instskip(NEXT) | instid1(VALU_DEP_1)
	v_pk_add_f32 v[28:29], v[34:35], v[28:29]
	v_pk_add_f32 v[26:27], v[28:29], v[30:31]
	s_delay_alu instid0(VALU_DEP_1) | instskip(NEXT) | instid1(VALU_DEP_1)
	v_pk_add_f32 v[22:23], v[22:23], v[26:27]
	v_cndmask_b32_e64 v5, 0x7f800000, v23, s3
	s_delay_alu instid0(VALU_DEP_2)
	v_cndmask_b32_e64 v4, 0x7f800000, v22, s2
	global_store_b128 v[20:21], v[2:5], off
	s_wait_xcnt 0x0
	s_and_not1_b32 exec_lo, exec_lo, s20
	s_cbranch_execnz .LBB78_3
.LBB78_4:
	s_or_b32 exec_lo, exec_lo, s18
	s_mov_b32 s2, 0
.LBB78_5:
	s_delay_alu instid0(SALU_CYCLE_1)
	s_and_not1_b32 vcc_lo, exec_lo, s2
	s_cbranch_vccnz .LBB78_25
; %bb.6:
	v_cmp_lt_i64_e64 s2, s[10:11], 1
	s_and_b32 vcc_lo, exec_lo, s2
	s_cbranch_vccnz .LBB78_25
; %bb.7:
	s_load_b32 s0, s[0:1], 0xc5c
	v_min_i64 v[2:3], 0x10000, s[10:11]
	v_min_u64 v[4:5], 0x10000, s[10:11]
	v_dual_mov_b32 v1, 0 :: v_dual_lshlrev_b32 v12, 2, v0
	s_wait_xcnt 0x0
	s_mov_b32 s1, 0
	v_dual_mov_b32 v31, 1.0 :: v_dual_mov_b32 v33, -1.0
	s_delay_alu instid0(VALU_DEP_2) | instskip(SKIP_3) | instid1(VALU_DEP_1)
	v_dual_mov_b32 v13, v1 :: v_dual_mov_b32 v27, v1
	s_mov_b32 s17, s1
	s_mov_b32 s3, s1
	;; [unrolled: 1-line block ×3, first 2 shown]
	v_add_nc_u64_e32 v[6:7], s[6:7], v[12:13]
	v_add_nc_u64_e32 v[8:9], s[8:9], v[12:13]
	s_mov_b32 s11, s1
	s_mov_b32 s13, s1
	v_mov_b32_e32 v29, 0x3f317218
	s_wait_kmcnt 0x0
	s_and_b32 s0, s0, 0xffff
	s_delay_alu instid0(SALU_CYCLE_1)
	v_add_nc_u64_e32 v[10:11], s[0:1], v[0:1]
	v_mad_nc_u64_u32 v[22:23], s0, 12, v[12:13]
	s_lshl_b32 s16, s0, 3
	s_lshl_b32 s2, s0, 1
	v_add_nc_u64_e32 v[18:19], s[16:17], v[12:13]
	s_mul_i32 s14, s0, 3
	v_add_nc_u64_e32 v[14:15], s[2:3], v[0:1]
	v_lshlrev_b32_e32 v26, 2, v10
	v_add_nc_u64_e32 v[12:13], s[14:15], v[0:1]
	s_lshl_b32 s10, s0, 2
	s_lshl_b32 s12, s0, 4
	v_add_nc_u64_e32 v[16:17], s[6:7], v[18:19]
	v_add_nc_u64_e32 v[18:19], s[8:9], v[18:19]
	;; [unrolled: 1-line block ×6, first 2 shown]
	s_mov_b64 s[6:7], 0
	s_mov_b32 s8, 0x3ab42872
	s_mov_b32 s3, -1.0
	s_branch .LBB78_9
.LBB78_8:                               ;   in Loop: Header=BB78_9 Depth=1
	s_wait_xcnt 0x0
	s_or_b32 exec_lo, exec_lo, s0
	s_add_nc_u64 s[6:7], s[6:7], s[10:11]
	v_add_nc_u64_e32 v[6:7], s[12:13], v[6:7]
	v_cmp_ge_i64_e32 vcc_lo, s[6:7], v[2:3]
	v_add_nc_u64_e32 v[8:9], s[12:13], v[8:9]
	v_add_nc_u64_e32 v[20:21], s[12:13], v[20:21]
	;; [unrolled: 1-line block ×7, first 2 shown]
	s_cbranch_vccnz .LBB78_25
.LBB78_9:                               ; =>This Inner Loop Header: Depth=1
	v_add_nc_u64_e32 v[34:35], s[6:7], v[0:1]
	v_mov_b32_e32 v28, 0
	s_delay_alu instid0(VALU_DEP_2)
	v_cmp_lt_u64_e64 s2, v[34:35], v[4:5]
	s_and_saveexec_b32 s0, s2
	s_cbranch_execz .LBB78_11
; %bb.10:                               ;   in Loop: Header=BB78_9 Depth=1
	v_add_nc_u64_e32 v[34:35], s[4:5], v[6:7]
	global_load_b32 v28, v[34:35], off
	s_wait_loadcnt 0x0
	v_and_b32_e32 v28, 0x7fffffff, v28
.LBB78_11:                              ;   in Loop: Header=BB78_9 Depth=1
	s_wait_xcnt 0x0
	s_or_b32 exec_lo, exec_lo, s0
	v_add_nc_u64_e32 v[34:35], s[6:7], v[10:11]
	v_mov_b32_e32 v36, 0
	s_delay_alu instid0(VALU_DEP_2)
	v_cmp_lt_u64_e64 s1, v[34:35], v[4:5]
	v_mov_b32_e32 v35, 0
	s_and_saveexec_b32 s0, s1
	s_cbranch_execz .LBB78_13
; %bb.12:                               ;   in Loop: Header=BB78_9 Depth=1
	v_add_nc_u64_e32 v[36:37], s[4:5], v[24:25]
	global_load_b32 v30, v[36:37], off
	s_wait_loadcnt 0x0
	v_and_b32_e32 v36, 0x7fffffff, v30
.LBB78_13:                              ;   in Loop: Header=BB78_9 Depth=1
	s_or_b32 exec_lo, exec_lo, s0
	v_add_nc_u64_e32 v[38:39], s[6:7], v[14:15]
	s_delay_alu instid0(VALU_DEP_1)
	v_cmp_lt_u64_e64 s0, v[38:39], v[4:5]
	s_and_saveexec_b32 s9, s0
	s_cbranch_execz .LBB78_15
; %bb.14:                               ;   in Loop: Header=BB78_9 Depth=1
	v_add_nc_u64_e32 v[34:35], s[4:5], v[16:17]
	global_load_b32 v30, v[34:35], off
	s_wait_loadcnt 0x0
	v_and_b32_e32 v35, 0x7fffffff, v30
.LBB78_15:                              ;   in Loop: Header=BB78_9 Depth=1
	s_or_b32 exec_lo, exec_lo, s9
	v_add_nc_u64_e32 v[38:39], s[6:7], v[12:13]
	v_mov_b32_e32 v34, 0
	s_delay_alu instid0(VALU_DEP_2)
	v_cmp_lt_u64_e32 vcc_lo, v[38:39], v[4:5]
	s_and_saveexec_b32 s9, vcc_lo
	s_cbranch_execnz .LBB78_20
; %bb.16:                               ;   in Loop: Header=BB78_9 Depth=1
	s_or_b32 exec_lo, exec_lo, s9
	s_and_saveexec_b32 s9, s2
	s_cbranch_execnz .LBB78_21
.LBB78_17:                              ;   in Loop: Header=BB78_9 Depth=1
	s_or_b32 exec_lo, exec_lo, s9
	s_and_saveexec_b32 s2, s1
	s_cbranch_execnz .LBB78_22
.LBB78_18:                              ;   in Loop: Header=BB78_9 Depth=1
	s_or_b32 exec_lo, exec_lo, s2
	s_and_saveexec_b32 s1, s0
	s_cbranch_execnz .LBB78_23
.LBB78_19:                              ;   in Loop: Header=BB78_9 Depth=1
	s_or_b32 exec_lo, exec_lo, s1
	s_and_saveexec_b32 s0, vcc_lo
	s_cbranch_execz .LBB78_8
	s_branch .LBB78_24
.LBB78_20:                              ;   in Loop: Header=BB78_9 Depth=1
	v_add_nc_u64_e32 v[38:39], s[4:5], v[20:21]
	global_load_b32 v30, v[38:39], off
	s_wait_loadcnt 0x0
	v_and_b32_e32 v34, 0x7fffffff, v30
	s_wait_xcnt 0x0
	s_or_b32 exec_lo, exec_lo, s9
	s_and_saveexec_b32 s9, s2
	s_cbranch_execz .LBB78_17
.LBB78_21:                              ;   in Loop: Header=BB78_9 Depth=1
	v_add_f32_e32 v30, 0xbf317218, v28
	s_delay_alu instid0(VALU_DEP_1) | instskip(NEXT) | instid1(VALU_DEP_1)
	v_sub_f32_e32 v39, v30, v28
	v_sub_f32_e32 v38, v39, v30
	s_delay_alu instid0(VALU_DEP_1) | instskip(NEXT) | instid1(VALU_DEP_1)
	v_pk_add_f32 v[38:39], v[28:29], v[38:39]
	v_sub_f32_e32 v32, v38, v39
	s_delay_alu instid0(VALU_DEP_1) | instskip(NEXT) | instid1(VALU_DEP_1)
	v_add_f32_e32 v32, 0x3102e308, v32
	v_add_f32_e32 v37, v30, v32
	s_delay_alu instid0(VALU_DEP_1) | instskip(SKIP_1) | instid1(VALU_DEP_2)
	v_mul_f32_e32 v38, 0x3fb8aa3b, v37
	v_sub_f32_e32 v30, v30, v37
	v_rndne_f32_e32 v46, v38
	s_delay_alu instid0(VALU_DEP_2) | instskip(NEXT) | instid1(VALU_DEP_2)
	v_add_f32_e32 v30, v32, v30
	v_fmac_f32_e32 v37, 0xbf317200, v46
	v_mul_f32_e32 v32, 0x35bfbc00, v46
	v_mul_f32_e32 v41, 0x2ea39ef3, v46
	s_delay_alu instid0(VALU_DEP_3) | instskip(NEXT) | instid1(VALU_DEP_1)
	v_add_f32_e32 v39, v30, v37
	v_dual_sub_f32 v38, v39, v32 :: v_dual_sub_f32 v37, v37, v39
	s_delay_alu instid0(VALU_DEP_1) | instskip(NEXT) | instid1(VALU_DEP_1)
	v_sub_f32_e32 v39, v39, v38
	v_dual_sub_f32 v32, v39, v32 :: v_dual_add_f32 v30, v30, v37
	s_delay_alu instid0(VALU_DEP_1) | instskip(NEXT) | instid1(VALU_DEP_1)
	v_add_f32_e32 v30, v30, v32
	v_add_f32_e32 v39, v38, v30
	s_delay_alu instid0(VALU_DEP_1) | instskip(NEXT) | instid1(VALU_DEP_1)
	v_mov_b32_e32 v40, v39
	v_pk_add_f32 v[42:43], v[38:39], v[40:41] neg_lo:[0,1] neg_hi:[0,1]
	s_delay_alu instid0(VALU_DEP_1) | instskip(NEXT) | instid1(VALU_DEP_1)
	v_dual_sub_f32 v32, v39, v43 :: v_dual_add_f32 v30, v30, v42
	v_sub_f32_e32 v32, v32, v41
	s_delay_alu instid0(VALU_DEP_1) | instskip(NEXT) | instid1(VALU_DEP_1)
	v_add_f32_e32 v30, v30, v32
	v_add_f32_e32 v37, v43, v30
	s_delay_alu instid0(VALU_DEP_1) | instskip(SKIP_2) | instid1(VALU_DEP_3)
	v_dual_sub_f32 v32, v43, v37 :: v_dual_mul_f32 v38, v37, v37
	v_mov_b64_e32 v[42:43], s[2:3]
	v_cmp_nlt_f32_e64 s2, 0x42b2d4fc, v28
	v_add_f32_e32 v30, v30, v32
	v_fmaak_f32 v32, s8, v37, 0x3c091de6
	s_delay_alu instid0(VALU_DEP_2) | instskip(NEXT) | instid1(VALU_DEP_2)
	v_dual_fma_f32 v39, v37, v37, -v38 :: v_dual_add_f32 v40, v30, v30
	v_fmaak_f32 v32, v37, v32, 0x3d2aadcc
	s_delay_alu instid0(VALU_DEP_2) | instskip(NEXT) | instid1(VALU_DEP_2)
	v_fmac_f32_e32 v39, v37, v40
	v_fmaak_f32 v32, v37, v32, 0x3e2aaa47
	s_delay_alu instid0(VALU_DEP_2) | instskip(NEXT) | instid1(VALU_DEP_2)
	v_add_f32_e32 v40, v38, v39
	v_fmaak_f32 v32, v37, v32, 0x3efffffc
	s_delay_alu instid0(VALU_DEP_2) | instskip(NEXT) | instid1(VALU_DEP_1)
	v_sub_f32_e32 v38, v40, v38
	v_dual_sub_f32 v38, v39, v38 :: v_dual_mul_f32 v41, v32, v40
	s_delay_alu instid0(VALU_DEP_1) | instskip(NEXT) | instid1(VALU_DEP_1)
	v_fma_f32 v39, v40, v32, -v41
	v_fmac_f32_e32 v39, v38, v32
	s_delay_alu instid0(VALU_DEP_1) | instskip(NEXT) | instid1(VALU_DEP_1)
	v_add_f32_e32 v38, v41, v39
	v_add_f32_e32 v32, v37, v38
	s_delay_alu instid0(VALU_DEP_1) | instskip(SKIP_1) | instid1(VALU_DEP_1)
	v_sub_f32_e32 v37, v32, v37
	v_sub_f32_e32 v40, v38, v41
	v_dual_sub_f32 v37, v38, v37 :: v_dual_sub_f32 v39, v39, v40
	s_delay_alu instid0(VALU_DEP_1) | instskip(NEXT) | instid1(VALU_DEP_1)
	v_add_f32_e32 v30, v30, v39
	v_add_f32_e32 v38, v30, v37
	s_delay_alu instid0(VALU_DEP_1) | instskip(NEXT) | instid1(VALU_DEP_1)
	v_add_f32_e32 v40, v32, v38
	v_dual_add_f32 v41, 1.0, v40 :: v_dual_mov_b32 v39, v40
	s_delay_alu instid0(VALU_DEP_1) | instskip(SKIP_2) | instid1(VALU_DEP_3)
	v_pk_add_f32 v[42:43], v[40:41], v[42:43]
	v_pk_add_f32 v[44:45], v[40:41], v[32:33] neg_lo:[0,1] neg_hi:[0,1]
	v_cvt_i32_f32_e32 v32, v46
	v_mov_b32_e32 v45, v43
	s_delay_alu instid0(VALU_DEP_1) | instskip(NEXT) | instid1(VALU_DEP_1)
	v_pk_add_f32 v[38:39], v[38:39], v[44:45] neg_lo:[0,1] neg_hi:[0,1]
	v_add_f32_e32 v30, v38, v39
	s_delay_alu instid0(VALU_DEP_1) | instskip(NEXT) | instid1(VALU_DEP_1)
	v_add_f32_e32 v37, v41, v30
	v_ldexp_f32 v38, v37, v32
	s_delay_alu instid0(VALU_DEP_1) | instskip(SKIP_1) | instid1(TRANS32_DEP_1)
	v_rcp_f32_e32 v48, v38
	v_nop
	v_dual_mul_f32 v40, v38, v48 :: v_dual_sub_f32 v37, v37, v41
	s_delay_alu instid0(VALU_DEP_1) | instskip(NEXT) | instid1(VALU_DEP_1)
	v_dual_fma_f32 v42, v48, v38, -v40 :: v_dual_sub_f32 v30, v30, v37
	v_ldexp_f32 v39, v30, v32
	s_delay_alu instid0(VALU_DEP_1) | instskip(NEXT) | instid1(VALU_DEP_1)
	v_fmac_f32_e32 v42, v48, v39
	v_add_f32_e32 v30, v40, v42
	s_delay_alu instid0(VALU_DEP_1) | instskip(NEXT) | instid1(VALU_DEP_1)
	v_dual_sub_f32 v41, 1.0, v30 :: v_dual_mov_b32 v43, v30
	v_pk_add_f32 v[44:45], v[30:31], v[40:41] neg_lo:[0,1] neg_hi:[0,1]
	s_delay_alu instid0(VALU_DEP_1) | instskip(NEXT) | instid1(VALU_DEP_1)
	v_pk_add_f32 v[42:43], v[44:45], v[42:43] neg_lo:[0,1] neg_hi:[0,1]
	v_add_f32_e32 v30, v42, v43
	s_delay_alu instid0(VALU_DEP_1) | instskip(NEXT) | instid1(VALU_DEP_1)
	v_add_f32_e32 v43, v41, v30
	v_mul_f32_e32 v32, v48, v43
	s_delay_alu instid0(VALU_DEP_1) | instskip(NEXT) | instid1(VALU_DEP_1)
	v_mul_f32_e32 v44, v38, v32
	v_fma_f32 v40, v32, v38, -v44
	s_delay_alu instid0(VALU_DEP_1) | instskip(NEXT) | instid1(VALU_DEP_1)
	v_fmac_f32_e32 v40, v32, v39
	v_dual_sub_f32 v37, v41, v43 :: v_dual_add_f32 v42, v44, v40
	s_delay_alu instid0(VALU_DEP_1) | instskip(NEXT) | instid1(VALU_DEP_2)
	v_dual_add_f32 v30, v30, v37 :: v_dual_add_f32 v37, v48, v32
	v_dual_sub_f32 v45, v43, v42 :: v_dual_mov_b32 v41, v42
	s_delay_alu instid0(VALU_DEP_1) | instskip(NEXT) | instid1(VALU_DEP_1)
	v_pk_add_f32 v[46:47], v[42:43], v[44:45] neg_lo:[0,1] neg_hi:[0,1]
	v_pk_add_f32 v[40:41], v[46:47], v[40:41] neg_lo:[0,1] neg_hi:[0,1]
	s_delay_alu instid0(VALU_DEP_1) | instskip(NEXT) | instid1(VALU_DEP_1)
	v_add_f32_e32 v30, v30, v41
	v_dual_add_f32 v30, v40, v30 :: v_dual_sub_f32 v40, v37, v48
	s_delay_alu instid0(VALU_DEP_1) | instskip(NEXT) | instid1(VALU_DEP_1)
	v_dual_add_f32 v30, v45, v30 :: v_dual_sub_f32 v32, v32, v40
	v_mul_f32_e32 v30, v48, v30
	s_delay_alu instid0(VALU_DEP_1) | instskip(NEXT) | instid1(VALU_DEP_1)
	v_add_f32_e32 v30, v32, v30
	v_add_f32_e32 v32, v37, v30
	s_delay_alu instid0(VALU_DEP_1) | instskip(NEXT) | instid1(VALU_DEP_1)
	v_sub_f32_e32 v37, v32, v37
	v_sub_f32_e32 v30, v30, v37
	v_ldexp_f32 v40, v32, -2
	s_delay_alu instid0(VALU_DEP_2) | instskip(NEXT) | instid1(VALU_DEP_1)
	v_ldexp_f32 v41, v30, -2
	v_pk_add_f32 v[42:43], v[38:39], v[40:41]
	s_delay_alu instid0(VALU_DEP_1) | instskip(SKIP_1) | instid1(VALU_DEP_2)
	v_sub_f32_e32 v30, v42, v38
	v_add_nc_u64_e32 v[38:39], s[4:5], v[8:9]
	v_sub_f32_e32 v30, v40, v30
	s_delay_alu instid0(VALU_DEP_1) | instskip(NEXT) | instid1(VALU_DEP_1)
	v_add_f32_e32 v30, v43, v30
	v_add_f32_e32 v30, v42, v30
	s_delay_alu instid0(VALU_DEP_1)
	v_cndmask_b32_e64 v28, 0x7f800000, v30, s2
	global_store_b32 v[38:39], v28, off
	s_wait_xcnt 0x0
	s_or_b32 exec_lo, exec_lo, s9
	s_and_saveexec_b32 s2, s1
	s_cbranch_execz .LBB78_18
.LBB78_22:                              ;   in Loop: Header=BB78_9 Depth=1
	v_add_f32_e32 v28, 0xbf317218, v36
	v_cmp_nlt_f32_e64 s1, 0x42b2d4fc, v36
	s_delay_alu instid0(VALU_DEP_2) | instskip(NEXT) | instid1(VALU_DEP_1)
	v_sub_f32_e32 v30, v28, v36
	v_sub_f32_e32 v32, v30, v28
	v_add_f32_e32 v30, 0x3f317218, v30
	s_delay_alu instid0(VALU_DEP_2) | instskip(NEXT) | instid1(VALU_DEP_1)
	v_add_f32_e32 v32, v36, v32
	v_sub_f32_e32 v30, v32, v30
	s_delay_alu instid0(VALU_DEP_1) | instskip(NEXT) | instid1(VALU_DEP_1)
	v_add_f32_e32 v30, 0x3102e308, v30
	v_add_f32_e32 v32, v28, v30
	s_delay_alu instid0(VALU_DEP_1) | instskip(NEXT) | instid1(VALU_DEP_1)
	v_dual_mul_f32 v37, 0x3fb8aa3b, v32 :: v_dual_sub_f32 v28, v28, v32
	v_rndne_f32_e32 v37, v37
	s_delay_alu instid0(VALU_DEP_2) | instskip(NEXT) | instid1(VALU_DEP_2)
	v_add_f32_e32 v28, v30, v28
	v_fmac_f32_e32 v32, 0xbf317200, v37
	v_mul_f32_e32 v30, 0x35bfbc00, v37
	s_delay_alu instid0(VALU_DEP_2) | instskip(NEXT) | instid1(VALU_DEP_1)
	v_add_f32_e32 v38, v28, v32
	v_sub_f32_e32 v32, v32, v38
	s_delay_alu instid0(VALU_DEP_1) | instskip(NEXT) | instid1(VALU_DEP_1)
	v_dual_add_f32 v28, v28, v32 :: v_dual_sub_f32 v39, v38, v30
	v_sub_f32_e32 v38, v38, v39
	s_delay_alu instid0(VALU_DEP_1) | instskip(NEXT) | instid1(VALU_DEP_1)
	v_sub_f32_e32 v30, v38, v30
	v_add_f32_e32 v28, v28, v30
	v_mul_f32_e32 v30, 0x2ea39ef3, v37
	s_delay_alu instid0(VALU_DEP_2) | instskip(NEXT) | instid1(VALU_DEP_1)
	v_add_f32_e32 v32, v39, v28
	v_sub_f32_e32 v39, v39, v32
	s_delay_alu instid0(VALU_DEP_1) | instskip(NEXT) | instid1(VALU_DEP_4)
	v_add_f32_e32 v28, v28, v39
	v_sub_f32_e32 v38, v32, v30
	s_delay_alu instid0(VALU_DEP_1) | instskip(NEXT) | instid1(VALU_DEP_1)
	v_sub_f32_e32 v32, v32, v38
	v_sub_f32_e32 v30, v32, v30
	s_delay_alu instid0(VALU_DEP_1) | instskip(NEXT) | instid1(VALU_DEP_1)
	v_add_f32_e32 v28, v28, v30
	v_add_f32_e32 v30, v38, v28
	s_delay_alu instid0(VALU_DEP_1) | instskip(NEXT) | instid1(VALU_DEP_1)
	v_sub_f32_e32 v32, v38, v30
	v_dual_mul_f32 v38, v30, v30 :: v_dual_add_f32 v28, v28, v32
	s_delay_alu instid0(VALU_DEP_1) | instskip(SKIP_1) | instid1(VALU_DEP_3)
	v_fma_f32 v39, v30, v30, -v38
	v_fmaak_f32 v32, s8, v30, 0x3c091de6
	v_add_f32_e32 v40, v28, v28
	s_delay_alu instid0(VALU_DEP_2) | instskip(NEXT) | instid1(VALU_DEP_2)
	v_fmaak_f32 v32, v30, v32, 0x3d2aadcc
	v_fmac_f32_e32 v39, v30, v40
	s_delay_alu instid0(VALU_DEP_2) | instskip(NEXT) | instid1(VALU_DEP_2)
	v_fmaak_f32 v32, v30, v32, 0x3e2aaa47
	v_add_f32_e32 v40, v38, v39
	s_delay_alu instid0(VALU_DEP_2) | instskip(NEXT) | instid1(VALU_DEP_1)
	v_fmaak_f32 v32, v30, v32, 0x3efffffc
	v_mul_f32_e32 v41, v32, v40
	v_sub_f32_e32 v38, v40, v38
	s_delay_alu instid0(VALU_DEP_1) | instskip(NEXT) | instid1(VALU_DEP_1)
	v_dual_sub_f32 v38, v39, v38 :: v_dual_fma_f32 v39, v40, v32, -v41
	v_fmac_f32_e32 v39, v38, v32
	s_delay_alu instid0(VALU_DEP_1) | instskip(NEXT) | instid1(VALU_DEP_1)
	v_add_f32_e32 v32, v41, v39
	v_add_f32_e32 v38, v30, v32
	s_delay_alu instid0(VALU_DEP_1) | instskip(NEXT) | instid1(VALU_DEP_1)
	v_dual_sub_f32 v30, v38, v30 :: v_dual_sub_f32 v40, v32, v41
	v_dual_sub_f32 v30, v32, v30 :: v_dual_sub_f32 v39, v39, v40
	s_delay_alu instid0(VALU_DEP_1) | instskip(NEXT) | instid1(VALU_DEP_1)
	v_add_f32_e32 v28, v28, v39
	v_add_f32_e32 v28, v28, v30
	s_delay_alu instid0(VALU_DEP_1) | instskip(NEXT) | instid1(VALU_DEP_1)
	v_add_f32_e32 v30, v38, v28
	v_add_f32_e32 v32, 1.0, v30
	s_delay_alu instid0(VALU_DEP_1) | instskip(NEXT) | instid1(VALU_DEP_1)
	v_dual_sub_f32 v38, v30, v38 :: v_dual_add_f32 v39, -1.0, v32
	v_dual_sub_f32 v30, v30, v39 :: v_dual_sub_f32 v28, v28, v38
	s_delay_alu instid0(VALU_DEP_1) | instskip(SKIP_1) | instid1(VALU_DEP_2)
	v_add_f32_e32 v28, v28, v30
	v_cvt_i32_f32_e32 v30, v37
	v_add_f32_e32 v37, v32, v28
	s_delay_alu instid0(VALU_DEP_1) | instskip(SKIP_1) | instid1(VALU_DEP_2)
	v_ldexp_f32 v38, v37, v30
	v_sub_f32_e32 v32, v37, v32
	v_rcp_f32_e32 v39, v38
	v_nop
	s_delay_alu instid0(TRANS32_DEP_1) | instskip(NEXT) | instid1(VALU_DEP_1)
	v_dual_sub_f32 v28, v28, v32 :: v_dual_mul_f32 v32, v38, v39
	v_ldexp_f32 v28, v28, v30
	s_delay_alu instid0(VALU_DEP_2) | instskip(NEXT) | instid1(VALU_DEP_1)
	v_fma_f32 v30, v39, v38, -v32
	v_fmac_f32_e32 v30, v39, v28
	s_delay_alu instid0(VALU_DEP_1) | instskip(NEXT) | instid1(VALU_DEP_1)
	v_add_f32_e32 v37, v32, v30
	v_sub_f32_e32 v32, v37, v32
	s_delay_alu instid0(VALU_DEP_1) | instskip(NEXT) | instid1(VALU_DEP_1)
	v_dual_sub_f32 v30, v32, v30 :: v_dual_sub_f32 v40, 1.0, v37
	v_sub_f32_e32 v41, 1.0, v40
	s_delay_alu instid0(VALU_DEP_1) | instskip(NEXT) | instid1(VALU_DEP_1)
	v_sub_f32_e32 v32, v41, v37
	v_add_f32_e32 v30, v30, v32
	s_delay_alu instid0(VALU_DEP_1) | instskip(NEXT) | instid1(VALU_DEP_1)
	v_add_f32_e32 v32, v40, v30
	v_mul_f32_e32 v37, v39, v32
	s_delay_alu instid0(VALU_DEP_1) | instskip(NEXT) | instid1(VALU_DEP_1)
	v_mul_f32_e32 v41, v38, v37
	v_fma_f32 v42, v37, v38, -v41
	s_delay_alu instid0(VALU_DEP_1) | instskip(NEXT) | instid1(VALU_DEP_1)
	v_fmac_f32_e32 v42, v37, v28
	v_dual_sub_f32 v40, v40, v32 :: v_dual_add_f32 v43, v41, v42
	s_delay_alu instid0(VALU_DEP_1) | instskip(NEXT) | instid1(VALU_DEP_1)
	v_sub_f32_e32 v44, v32, v43
	v_sub_f32_e32 v32, v32, v44
	s_delay_alu instid0(VALU_DEP_3) | instskip(NEXT) | instid1(VALU_DEP_2)
	v_dual_add_f32 v30, v30, v40 :: v_dual_sub_f32 v40, v43, v41
	v_sub_f32_e32 v32, v32, v43
	s_delay_alu instid0(VALU_DEP_1) | instskip(NEXT) | instid1(VALU_DEP_1)
	v_dual_sub_f32 v40, v40, v42 :: v_dual_add_f32 v30, v30, v32
	v_dual_add_f32 v32, v39, v37 :: v_dual_add_f32 v30, v40, v30
	s_delay_alu instid0(VALU_DEP_1) | instskip(NEXT) | instid1(VALU_DEP_1)
	v_sub_f32_e32 v40, v32, v39
	v_dual_sub_f32 v37, v37, v40 :: v_dual_add_f32 v30, v44, v30
	s_delay_alu instid0(VALU_DEP_1) | instskip(NEXT) | instid1(VALU_DEP_1)
	v_mul_f32_e32 v30, v39, v30
	v_add_f32_e32 v30, v37, v30
	s_delay_alu instid0(VALU_DEP_1) | instskip(NEXT) | instid1(VALU_DEP_1)
	v_add_f32_e32 v37, v32, v30
	v_ldexp_f32 v39, v37, -2
	s_delay_alu instid0(VALU_DEP_1) | instskip(NEXT) | instid1(VALU_DEP_1)
	v_dual_sub_f32 v32, v37, v32 :: v_dual_add_f32 v37, v38, v39
	v_dual_sub_f32 v30, v30, v32 :: v_dual_sub_f32 v32, v37, v38
	s_delay_alu instid0(VALU_DEP_1) | instskip(NEXT) | instid1(VALU_DEP_1)
	v_ldexp_f32 v30, v30, -2
	v_dual_sub_f32 v32, v39, v32 :: v_dual_add_f32 v28, v28, v30
	v_add_nc_u64_e32 v[38:39], s[4:5], v[26:27]
	s_delay_alu instid0(VALU_DEP_2) | instskip(NEXT) | instid1(VALU_DEP_1)
	v_add_f32_e32 v28, v28, v32
	v_add_f32_e32 v28, v37, v28
	s_delay_alu instid0(VALU_DEP_1)
	v_cndmask_b32_e64 v28, 0x7f800000, v28, s1
	global_store_b32 v[38:39], v28, off
	s_wait_xcnt 0x0
	s_or_b32 exec_lo, exec_lo, s2
	s_and_saveexec_b32 s1, s0
	s_cbranch_execz .LBB78_19
.LBB78_23:                              ;   in Loop: Header=BB78_9 Depth=1
	v_add_f32_e32 v28, 0xbf317218, v35
	v_cmp_nlt_f32_e64 s0, 0x42b2d4fc, v35
	s_delay_alu instid0(VALU_DEP_2) | instskip(NEXT) | instid1(VALU_DEP_1)
	v_sub_f32_e32 v30, v28, v35
	v_sub_f32_e32 v32, v30, v28
	s_delay_alu instid0(VALU_DEP_1) | instskip(SKIP_1) | instid1(VALU_DEP_1)
	v_add_f32_e32 v32, v35, v32
	v_add_f32_e32 v30, 0x3f317218, v30
	v_sub_f32_e32 v30, v32, v30
	s_delay_alu instid0(VALU_DEP_1) | instskip(NEXT) | instid1(VALU_DEP_1)
	v_add_f32_e32 v30, 0x3102e308, v30
	v_add_f32_e32 v32, v28, v30
	s_delay_alu instid0(VALU_DEP_1) | instskip(SKIP_1) | instid1(VALU_DEP_2)
	v_mul_f32_e32 v36, 0x3fb8aa3b, v32
	v_sub_f32_e32 v28, v28, v32
	v_rndne_f32_e32 v36, v36
	s_delay_alu instid0(VALU_DEP_2) | instskip(NEXT) | instid1(VALU_DEP_2)
	v_add_f32_e32 v28, v30, v28
	v_fmac_f32_e32 v32, 0xbf317200, v36
	v_mul_f32_e32 v30, 0x35bfbc00, v36
	s_delay_alu instid0(VALU_DEP_2) | instskip(NEXT) | instid1(VALU_DEP_1)
	v_add_f32_e32 v37, v28, v32
	v_dual_sub_f32 v38, v37, v30 :: v_dual_sub_f32 v32, v32, v37
	s_delay_alu instid0(VALU_DEP_1) | instskip(NEXT) | instid1(VALU_DEP_1)
	v_dual_sub_f32 v37, v37, v38 :: v_dual_add_f32 v28, v28, v32
	v_sub_f32_e32 v30, v37, v30
	s_delay_alu instid0(VALU_DEP_1) | instskip(SKIP_1) | instid1(VALU_DEP_2)
	v_add_f32_e32 v28, v28, v30
	v_mul_f32_e32 v30, 0x2ea39ef3, v36
	v_add_f32_e32 v32, v38, v28
	s_delay_alu instid0(VALU_DEP_1) | instskip(NEXT) | instid1(VALU_DEP_1)
	v_sub_f32_e32 v38, v38, v32
	v_add_f32_e32 v28, v28, v38
	s_delay_alu instid0(VALU_DEP_4) | instskip(NEXT) | instid1(VALU_DEP_1)
	v_sub_f32_e32 v37, v32, v30
	v_sub_f32_e32 v32, v32, v37
	s_delay_alu instid0(VALU_DEP_1) | instskip(NEXT) | instid1(VALU_DEP_1)
	v_sub_f32_e32 v30, v32, v30
	v_add_f32_e32 v28, v28, v30
	s_delay_alu instid0(VALU_DEP_1) | instskip(NEXT) | instid1(VALU_DEP_1)
	v_add_f32_e32 v30, v37, v28
	v_dual_sub_f32 v32, v37, v30 :: v_dual_mul_f32 v37, v30, v30
	s_delay_alu instid0(VALU_DEP_1) | instskip(NEXT) | instid1(VALU_DEP_1)
	v_dual_fma_f32 v38, v30, v30, -v37 :: v_dual_add_f32 v28, v28, v32
	v_add_f32_e32 v39, v28, v28
	s_delay_alu instid0(VALU_DEP_1) | instskip(NEXT) | instid1(VALU_DEP_1)
	v_fmac_f32_e32 v38, v30, v39
	v_add_f32_e32 v39, v37, v38
	s_delay_alu instid0(VALU_DEP_1) | instskip(NEXT) | instid1(VALU_DEP_1)
	v_dual_sub_f32 v37, v39, v37 :: v_dual_fmaak_f32 v32, s8, v30, 0x3c091de6
	v_sub_f32_e32 v37, v38, v37
	s_delay_alu instid0(VALU_DEP_2) | instskip(NEXT) | instid1(VALU_DEP_1)
	v_fmaak_f32 v32, v30, v32, 0x3d2aadcc
	v_fmaak_f32 v32, v30, v32, 0x3e2aaa47
	s_delay_alu instid0(VALU_DEP_1) | instskip(NEXT) | instid1(VALU_DEP_1)
	v_fmaak_f32 v32, v30, v32, 0x3efffffc
	v_mul_f32_e32 v40, v32, v39
	s_delay_alu instid0(VALU_DEP_1) | instskip(NEXT) | instid1(VALU_DEP_1)
	v_fma_f32 v38, v39, v32, -v40
	v_fmac_f32_e32 v38, v37, v32
	s_delay_alu instid0(VALU_DEP_1) | instskip(NEXT) | instid1(VALU_DEP_1)
	v_add_f32_e32 v32, v40, v38
	v_add_f32_e32 v37, v30, v32
	s_delay_alu instid0(VALU_DEP_1) | instskip(NEXT) | instid1(VALU_DEP_1)
	v_dual_sub_f32 v30, v37, v30 :: v_dual_sub_f32 v39, v32, v40
	v_dual_sub_f32 v38, v38, v39 :: v_dual_sub_f32 v30, v32, v30
	s_delay_alu instid0(VALU_DEP_1) | instskip(NEXT) | instid1(VALU_DEP_1)
	v_add_f32_e32 v28, v28, v38
	v_add_f32_e32 v28, v28, v30
	s_delay_alu instid0(VALU_DEP_1) | instskip(NEXT) | instid1(VALU_DEP_1)
	v_add_f32_e32 v30, v37, v28
	v_dual_add_f32 v32, 1.0, v30 :: v_dual_sub_f32 v37, v30, v37
	s_delay_alu instid0(VALU_DEP_1) | instskip(NEXT) | instid1(VALU_DEP_1)
	v_dual_add_f32 v38, -1.0, v32 :: v_dual_sub_f32 v28, v28, v37
	v_sub_f32_e32 v30, v30, v38
	s_delay_alu instid0(VALU_DEP_1) | instskip(SKIP_1) | instid1(VALU_DEP_2)
	v_add_f32_e32 v28, v28, v30
	v_cvt_i32_f32_e32 v30, v36
	v_add_f32_e32 v36, v32, v28
	s_delay_alu instid0(VALU_DEP_1) | instskip(SKIP_1) | instid1(VALU_DEP_2)
	v_ldexp_f32 v37, v36, v30
	v_sub_f32_e32 v32, v36, v32
	v_rcp_f32_e32 v38, v37
	v_nop
	s_delay_alu instid0(TRANS32_DEP_1) | instskip(NEXT) | instid1(VALU_DEP_1)
	v_dual_sub_f32 v28, v28, v32 :: v_dual_mul_f32 v32, v37, v38
	v_ldexp_f32 v28, v28, v30
	s_delay_alu instid0(VALU_DEP_2) | instskip(NEXT) | instid1(VALU_DEP_1)
	v_fma_f32 v30, v38, v37, -v32
	v_fmac_f32_e32 v30, v38, v28
	s_delay_alu instid0(VALU_DEP_1) | instskip(NEXT) | instid1(VALU_DEP_1)
	v_add_f32_e32 v36, v32, v30
	v_sub_f32_e32 v32, v36, v32
	s_delay_alu instid0(VALU_DEP_1) | instskip(NEXT) | instid1(VALU_DEP_1)
	v_dual_sub_f32 v30, v32, v30 :: v_dual_sub_f32 v39, 1.0, v36
	v_sub_f32_e32 v40, 1.0, v39
	s_delay_alu instid0(VALU_DEP_1) | instskip(NEXT) | instid1(VALU_DEP_1)
	v_sub_f32_e32 v32, v40, v36
	v_add_f32_e32 v30, v30, v32
	s_delay_alu instid0(VALU_DEP_1) | instskip(NEXT) | instid1(VALU_DEP_1)
	v_add_f32_e32 v32, v39, v30
	v_mul_f32_e32 v36, v38, v32
	s_delay_alu instid0(VALU_DEP_1) | instskip(NEXT) | instid1(VALU_DEP_1)
	v_mul_f32_e32 v40, v37, v36
	v_fma_f32 v41, v36, v37, -v40
	s_delay_alu instid0(VALU_DEP_1) | instskip(NEXT) | instid1(VALU_DEP_1)
	v_fmac_f32_e32 v41, v36, v28
	v_add_f32_e32 v42, v40, v41
	s_delay_alu instid0(VALU_DEP_1) | instskip(NEXT) | instid1(VALU_DEP_1)
	v_dual_sub_f32 v43, v32, v42 :: v_dual_sub_f32 v39, v39, v32
	v_sub_f32_e32 v32, v32, v43
	s_delay_alu instid0(VALU_DEP_2) | instskip(NEXT) | instid1(VALU_DEP_2)
	v_add_f32_e32 v30, v30, v39
	v_dual_sub_f32 v39, v42, v40 :: v_dual_sub_f32 v32, v32, v42
	s_delay_alu instid0(VALU_DEP_1) | instskip(NEXT) | instid1(VALU_DEP_1)
	v_dual_sub_f32 v39, v39, v41 :: v_dual_add_f32 v30, v30, v32
	v_dual_add_f32 v30, v39, v30 :: v_dual_add_f32 v32, v38, v36
	s_delay_alu instid0(VALU_DEP_1) | instskip(NEXT) | instid1(VALU_DEP_2)
	v_add_f32_e32 v30, v43, v30
	v_sub_f32_e32 v39, v32, v38
	s_delay_alu instid0(VALU_DEP_1) | instskip(NEXT) | instid1(VALU_DEP_1)
	v_dual_mul_f32 v30, v38, v30 :: v_dual_sub_f32 v36, v36, v39
	v_add_f32_e32 v30, v36, v30
	s_delay_alu instid0(VALU_DEP_1) | instskip(NEXT) | instid1(VALU_DEP_1)
	v_add_f32_e32 v36, v32, v30
	v_sub_f32_e32 v32, v36, v32
	s_delay_alu instid0(VALU_DEP_1) | instskip(SKIP_1) | instid1(VALU_DEP_2)
	v_sub_f32_e32 v30, v30, v32
	v_ldexp_f32 v38, v36, -2
	v_ldexp_f32 v30, v30, -2
	s_delay_alu instid0(VALU_DEP_2) | instskip(NEXT) | instid1(VALU_DEP_2)
	v_add_f32_e32 v36, v37, v38
	v_add_f32_e32 v28, v28, v30
	s_delay_alu instid0(VALU_DEP_2) | instskip(NEXT) | instid1(VALU_DEP_1)
	v_sub_f32_e32 v32, v36, v37
	v_sub_f32_e32 v32, v38, v32
	s_delay_alu instid0(VALU_DEP_1) | instskip(NEXT) | instid1(VALU_DEP_1)
	v_add_f32_e32 v28, v28, v32
	v_add_f32_e32 v28, v36, v28
	v_add_nc_u64_e32 v[36:37], s[4:5], v[18:19]
	s_delay_alu instid0(VALU_DEP_2)
	v_cndmask_b32_e64 v28, 0x7f800000, v28, s0
	global_store_b32 v[36:37], v28, off
	s_wait_xcnt 0x0
	s_or_b32 exec_lo, exec_lo, s1
	s_and_saveexec_b32 s0, vcc_lo
	s_cbranch_execz .LBB78_8
.LBB78_24:                              ;   in Loop: Header=BB78_9 Depth=1
	v_add_f32_e32 v28, 0xbf317218, v34
	v_cmp_nlt_f32_e32 vcc_lo, 0x42b2d4fc, v34
	s_delay_alu instid0(VALU_DEP_2) | instskip(NEXT) | instid1(VALU_DEP_1)
	v_sub_f32_e32 v30, v28, v34
	v_sub_f32_e32 v32, v30, v28
	s_delay_alu instid0(VALU_DEP_1) | instskip(SKIP_1) | instid1(VALU_DEP_1)
	v_add_f32_e32 v32, v34, v32
	v_add_f32_e32 v30, 0x3f317218, v30
	v_sub_f32_e32 v30, v32, v30
	s_delay_alu instid0(VALU_DEP_1) | instskip(NEXT) | instid1(VALU_DEP_1)
	v_add_f32_e32 v30, 0x3102e308, v30
	v_add_f32_e32 v32, v28, v30
	s_delay_alu instid0(VALU_DEP_1) | instskip(NEXT) | instid1(VALU_DEP_1)
	v_dual_mul_f32 v35, 0x3fb8aa3b, v32 :: v_dual_sub_f32 v28, v28, v32
	v_rndne_f32_e32 v35, v35
	s_delay_alu instid0(VALU_DEP_2) | instskip(NEXT) | instid1(VALU_DEP_2)
	v_add_f32_e32 v28, v30, v28
	v_mul_f32_e32 v30, 0x35bfbc00, v35
	v_fmac_f32_e32 v32, 0xbf317200, v35
	s_delay_alu instid0(VALU_DEP_1) | instskip(NEXT) | instid1(VALU_DEP_1)
	v_add_f32_e32 v36, v28, v32
	v_sub_f32_e32 v37, v36, v30
	v_sub_f32_e32 v32, v32, v36
	s_delay_alu instid0(VALU_DEP_1) | instskip(NEXT) | instid1(VALU_DEP_3)
	v_add_f32_e32 v28, v28, v32
	v_sub_f32_e32 v36, v36, v37
	s_delay_alu instid0(VALU_DEP_1) | instskip(NEXT) | instid1(VALU_DEP_1)
	v_sub_f32_e32 v30, v36, v30
	v_add_f32_e32 v28, v28, v30
	v_mul_f32_e32 v30, 0x2ea39ef3, v35
	s_delay_alu instid0(VALU_DEP_2) | instskip(NEXT) | instid1(VALU_DEP_1)
	v_add_f32_e32 v32, v37, v28
	v_dual_sub_f32 v36, v32, v30 :: v_dual_sub_f32 v37, v37, v32
	s_delay_alu instid0(VALU_DEP_1) | instskip(NEXT) | instid1(VALU_DEP_2)
	v_sub_f32_e32 v32, v32, v36
	v_add_f32_e32 v28, v28, v37
	s_delay_alu instid0(VALU_DEP_2) | instskip(NEXT) | instid1(VALU_DEP_1)
	v_sub_f32_e32 v30, v32, v30
	v_add_f32_e32 v28, v28, v30
	s_delay_alu instid0(VALU_DEP_1) | instskip(NEXT) | instid1(VALU_DEP_1)
	v_add_f32_e32 v30, v36, v28
	v_dual_sub_f32 v32, v36, v30 :: v_dual_mul_f32 v36, v30, v30
	s_delay_alu instid0(VALU_DEP_1) | instskip(SKIP_1) | instid1(VALU_DEP_2)
	v_add_f32_e32 v28, v28, v32
	v_fmaak_f32 v32, s8, v30, 0x3c091de6
	v_dual_fma_f32 v37, v30, v30, -v36 :: v_dual_add_f32 v38, v28, v28
	s_delay_alu instid0(VALU_DEP_1) | instskip(NEXT) | instid1(VALU_DEP_1)
	v_dual_fmaak_f32 v32, v30, v32, 0x3d2aadcc :: v_dual_fmac_f32 v37, v30, v38
	v_fmaak_f32 v32, v30, v32, 0x3e2aaa47
	s_delay_alu instid0(VALU_DEP_2) | instskip(NEXT) | instid1(VALU_DEP_2)
	v_add_f32_e32 v38, v36, v37
	v_fmaak_f32 v32, v30, v32, 0x3efffffc
	s_delay_alu instid0(VALU_DEP_1) | instskip(NEXT) | instid1(VALU_DEP_1)
	v_dual_sub_f32 v36, v38, v36 :: v_dual_mul_f32 v39, v32, v38
	v_sub_f32_e32 v36, v37, v36
	s_delay_alu instid0(VALU_DEP_2) | instskip(NEXT) | instid1(VALU_DEP_1)
	v_fma_f32 v37, v38, v32, -v39
	v_fmac_f32_e32 v37, v36, v32
	s_delay_alu instid0(VALU_DEP_1) | instskip(NEXT) | instid1(VALU_DEP_1)
	v_add_f32_e32 v32, v39, v37
	v_dual_add_f32 v36, v30, v32 :: v_dual_sub_f32 v38, v32, v39
	s_delay_alu instid0(VALU_DEP_1) | instskip(NEXT) | instid1(VALU_DEP_2)
	v_sub_f32_e32 v30, v36, v30
	v_sub_f32_e32 v37, v37, v38
	s_delay_alu instid0(VALU_DEP_2) | instskip(NEXT) | instid1(VALU_DEP_2)
	v_sub_f32_e32 v30, v32, v30
	v_add_f32_e32 v28, v28, v37
	s_delay_alu instid0(VALU_DEP_1) | instskip(NEXT) | instid1(VALU_DEP_1)
	v_add_f32_e32 v28, v28, v30
	v_add_f32_e32 v30, v36, v28
	s_delay_alu instid0(VALU_DEP_1) | instskip(NEXT) | instid1(VALU_DEP_1)
	v_add_f32_e32 v32, 1.0, v30
	v_add_f32_e32 v37, -1.0, v32
	s_delay_alu instid0(VALU_DEP_1) | instskip(NEXT) | instid1(VALU_DEP_1)
	v_dual_sub_f32 v36, v30, v36 :: v_dual_sub_f32 v30, v30, v37
	v_sub_f32_e32 v28, v28, v36
	s_delay_alu instid0(VALU_DEP_1) | instskip(SKIP_1) | instid1(VALU_DEP_2)
	v_add_f32_e32 v28, v28, v30
	v_cvt_i32_f32_e32 v30, v35
	v_add_f32_e32 v35, v32, v28
	s_delay_alu instid0(VALU_DEP_1) | instskip(SKIP_1) | instid1(VALU_DEP_2)
	v_ldexp_f32 v36, v35, v30
	v_sub_f32_e32 v32, v35, v32
	v_rcp_f32_e32 v37, v36
	s_delay_alu instid0(VALU_DEP_1) | instskip(NEXT) | instid1(VALU_DEP_1)
	v_sub_f32_e32 v28, v28, v32
	v_ldexp_f32 v28, v28, v30
	s_delay_alu instid0(TRANS32_DEP_1) | instskip(NEXT) | instid1(VALU_DEP_1)
	v_mul_f32_e32 v32, v36, v37
	v_fma_f32 v30, v37, v36, -v32
	s_delay_alu instid0(VALU_DEP_1) | instskip(NEXT) | instid1(VALU_DEP_1)
	v_fmac_f32_e32 v30, v37, v28
	v_add_f32_e32 v35, v32, v30
	s_delay_alu instid0(VALU_DEP_1) | instskip(NEXT) | instid1(VALU_DEP_1)
	v_sub_f32_e32 v32, v35, v32
	v_dual_sub_f32 v30, v32, v30 :: v_dual_sub_f32 v38, 1.0, v35
	s_delay_alu instid0(VALU_DEP_1) | instskip(NEXT) | instid1(VALU_DEP_1)
	v_sub_f32_e32 v39, 1.0, v38
	v_sub_f32_e32 v32, v39, v35
	s_delay_alu instid0(VALU_DEP_1) | instskip(NEXT) | instid1(VALU_DEP_1)
	v_add_f32_e32 v30, v30, v32
	v_add_f32_e32 v32, v38, v30
	s_delay_alu instid0(VALU_DEP_1) | instskip(NEXT) | instid1(VALU_DEP_1)
	v_mul_f32_e32 v35, v37, v32
	v_mul_f32_e32 v39, v36, v35
	s_delay_alu instid0(VALU_DEP_1) | instskip(NEXT) | instid1(VALU_DEP_1)
	v_fma_f32 v40, v35, v36, -v39
	v_fmac_f32_e32 v40, v35, v28
	s_delay_alu instid0(VALU_DEP_1) | instskip(NEXT) | instid1(VALU_DEP_1)
	v_add_f32_e32 v41, v39, v40
	v_dual_sub_f32 v38, v38, v32 :: v_dual_sub_f32 v42, v32, v41
	s_delay_alu instid0(VALU_DEP_1) | instskip(NEXT) | instid1(VALU_DEP_1)
	v_sub_f32_e32 v32, v32, v42
	v_dual_sub_f32 v32, v32, v41 :: v_dual_add_f32 v30, v30, v38
	s_delay_alu instid0(VALU_DEP_1) | instskip(NEXT) | instid1(VALU_DEP_1)
	v_dual_sub_f32 v38, v41, v39 :: v_dual_add_f32 v30, v30, v32
	v_dual_sub_f32 v38, v38, v40 :: v_dual_add_f32 v32, v37, v35
	s_delay_alu instid0(VALU_DEP_1) | instskip(NEXT) | instid1(VALU_DEP_1)
	v_dual_add_f32 v30, v38, v30 :: v_dual_sub_f32 v38, v32, v37
	v_add_f32_e32 v30, v42, v30
	s_delay_alu instid0(VALU_DEP_2) | instskip(NEXT) | instid1(VALU_DEP_2)
	v_sub_f32_e32 v35, v35, v38
	v_mul_f32_e32 v30, v37, v30
	s_delay_alu instid0(VALU_DEP_1) | instskip(NEXT) | instid1(VALU_DEP_1)
	v_add_f32_e32 v30, v35, v30
	v_add_f32_e32 v35, v32, v30
	s_delay_alu instid0(VALU_DEP_1) | instskip(NEXT) | instid1(VALU_DEP_1)
	v_sub_f32_e32 v32, v35, v32
	v_sub_f32_e32 v30, v30, v32
	v_ldexp_f32 v37, v35, -2
	s_delay_alu instid0(VALU_DEP_2) | instskip(NEXT) | instid1(VALU_DEP_2)
	v_ldexp_f32 v30, v30, -2
	v_add_f32_e32 v35, v36, v37
	s_delay_alu instid0(VALU_DEP_1) | instskip(NEXT) | instid1(VALU_DEP_1)
	v_dual_add_f32 v28, v28, v30 :: v_dual_sub_f32 v32, v35, v36
	v_sub_f32_e32 v32, v37, v32
	v_add_nc_u64_e32 v[36:37], s[4:5], v[22:23]
	s_delay_alu instid0(VALU_DEP_2) | instskip(NEXT) | instid1(VALU_DEP_1)
	v_add_f32_e32 v28, v28, v32
	v_add_f32_e32 v28, v35, v28
	s_delay_alu instid0(VALU_DEP_1)
	v_cndmask_b32_e32 v28, 0x7f800000, v28, vcc_lo
	global_store_b32 v[36:37], v28, off
	s_branch .LBB78_8
.LBB78_25:
	s_endpgm
	.section	.rodata,"a",@progbits
	.p2align	6, 0x0
	.amdhsa_kernel _ZN2at6native12_GLOBAL__N_125multi_tensor_apply_kernelINS1_18TensorListMetadataILi2EEENS1_14UnaryOpFunctorIfLi2ELi1ELi1EEEJNS0_4CoshIfEEEEEvT_T0_DpT1_
		.amdhsa_group_segment_fixed_size 0
		.amdhsa_private_segment_fixed_size 0
		.amdhsa_kernarg_size 3408
		.amdhsa_user_sgpr_count 2
		.amdhsa_user_sgpr_dispatch_ptr 0
		.amdhsa_user_sgpr_queue_ptr 0
		.amdhsa_user_sgpr_kernarg_segment_ptr 1
		.amdhsa_user_sgpr_dispatch_id 0
		.amdhsa_user_sgpr_kernarg_preload_length 0
		.amdhsa_user_sgpr_kernarg_preload_offset 0
		.amdhsa_user_sgpr_private_segment_size 0
		.amdhsa_wavefront_size32 1
		.amdhsa_uses_dynamic_stack 0
		.amdhsa_enable_private_segment 0
		.amdhsa_system_sgpr_workgroup_id_x 1
		.amdhsa_system_sgpr_workgroup_id_y 0
		.amdhsa_system_sgpr_workgroup_id_z 0
		.amdhsa_system_sgpr_workgroup_info 0
		.amdhsa_system_vgpr_workitem_id 0
		.amdhsa_next_free_vgpr 53
		.amdhsa_next_free_sgpr 21
		.amdhsa_named_barrier_count 0
		.amdhsa_reserve_vcc 1
		.amdhsa_float_round_mode_32 0
		.amdhsa_float_round_mode_16_64 0
		.amdhsa_float_denorm_mode_32 3
		.amdhsa_float_denorm_mode_16_64 3
		.amdhsa_fp16_overflow 0
		.amdhsa_memory_ordered 1
		.amdhsa_forward_progress 1
		.amdhsa_inst_pref_size 56
		.amdhsa_round_robin_scheduling 0
		.amdhsa_exception_fp_ieee_invalid_op 0
		.amdhsa_exception_fp_denorm_src 0
		.amdhsa_exception_fp_ieee_div_zero 0
		.amdhsa_exception_fp_ieee_overflow 0
		.amdhsa_exception_fp_ieee_underflow 0
		.amdhsa_exception_fp_ieee_inexact 0
		.amdhsa_exception_int_div_zero 0
	.end_amdhsa_kernel
	.section	.text._ZN2at6native12_GLOBAL__N_125multi_tensor_apply_kernelINS1_18TensorListMetadataILi2EEENS1_14UnaryOpFunctorIfLi2ELi1ELi1EEEJNS0_4CoshIfEEEEEvT_T0_DpT1_,"axG",@progbits,_ZN2at6native12_GLOBAL__N_125multi_tensor_apply_kernelINS1_18TensorListMetadataILi2EEENS1_14UnaryOpFunctorIfLi2ELi1ELi1EEEJNS0_4CoshIfEEEEEvT_T0_DpT1_,comdat
.Lfunc_end78:
	.size	_ZN2at6native12_GLOBAL__N_125multi_tensor_apply_kernelINS1_18TensorListMetadataILi2EEENS1_14UnaryOpFunctorIfLi2ELi1ELi1EEEJNS0_4CoshIfEEEEEvT_T0_DpT1_, .Lfunc_end78-_ZN2at6native12_GLOBAL__N_125multi_tensor_apply_kernelINS1_18TensorListMetadataILi2EEENS1_14UnaryOpFunctorIfLi2ELi1ELi1EEEJNS0_4CoshIfEEEEEvT_T0_DpT1_
                                        ; -- End function
	.set _ZN2at6native12_GLOBAL__N_125multi_tensor_apply_kernelINS1_18TensorListMetadataILi2EEENS1_14UnaryOpFunctorIfLi2ELi1ELi1EEEJNS0_4CoshIfEEEEEvT_T0_DpT1_.num_vgpr, 53
	.set _ZN2at6native12_GLOBAL__N_125multi_tensor_apply_kernelINS1_18TensorListMetadataILi2EEENS1_14UnaryOpFunctorIfLi2ELi1ELi1EEEJNS0_4CoshIfEEEEEvT_T0_DpT1_.num_agpr, 0
	.set _ZN2at6native12_GLOBAL__N_125multi_tensor_apply_kernelINS1_18TensorListMetadataILi2EEENS1_14UnaryOpFunctorIfLi2ELi1ELi1EEEJNS0_4CoshIfEEEEEvT_T0_DpT1_.numbered_sgpr, 21
	.set _ZN2at6native12_GLOBAL__N_125multi_tensor_apply_kernelINS1_18TensorListMetadataILi2EEENS1_14UnaryOpFunctorIfLi2ELi1ELi1EEEJNS0_4CoshIfEEEEEvT_T0_DpT1_.num_named_barrier, 0
	.set _ZN2at6native12_GLOBAL__N_125multi_tensor_apply_kernelINS1_18TensorListMetadataILi2EEENS1_14UnaryOpFunctorIfLi2ELi1ELi1EEEJNS0_4CoshIfEEEEEvT_T0_DpT1_.private_seg_size, 0
	.set _ZN2at6native12_GLOBAL__N_125multi_tensor_apply_kernelINS1_18TensorListMetadataILi2EEENS1_14UnaryOpFunctorIfLi2ELi1ELi1EEEJNS0_4CoshIfEEEEEvT_T0_DpT1_.uses_vcc, 1
	.set _ZN2at6native12_GLOBAL__N_125multi_tensor_apply_kernelINS1_18TensorListMetadataILi2EEENS1_14UnaryOpFunctorIfLi2ELi1ELi1EEEJNS0_4CoshIfEEEEEvT_T0_DpT1_.uses_flat_scratch, 0
	.set _ZN2at6native12_GLOBAL__N_125multi_tensor_apply_kernelINS1_18TensorListMetadataILi2EEENS1_14UnaryOpFunctorIfLi2ELi1ELi1EEEJNS0_4CoshIfEEEEEvT_T0_DpT1_.has_dyn_sized_stack, 0
	.set _ZN2at6native12_GLOBAL__N_125multi_tensor_apply_kernelINS1_18TensorListMetadataILi2EEENS1_14UnaryOpFunctorIfLi2ELi1ELi1EEEJNS0_4CoshIfEEEEEvT_T0_DpT1_.has_recursion, 0
	.set _ZN2at6native12_GLOBAL__N_125multi_tensor_apply_kernelINS1_18TensorListMetadataILi2EEENS1_14UnaryOpFunctorIfLi2ELi1ELi1EEEJNS0_4CoshIfEEEEEvT_T0_DpT1_.has_indirect_call, 0
	.section	.AMDGPU.csdata,"",@progbits
; Kernel info:
; codeLenInByte = 7068
; TotalNumSgprs: 23
; NumVgprs: 53
; ScratchSize: 0
; MemoryBound: 0
; FloatMode: 240
; IeeeMode: 1
; LDSByteSize: 0 bytes/workgroup (compile time only)
; SGPRBlocks: 0
; VGPRBlocks: 3
; NumSGPRsForWavesPerEU: 23
; NumVGPRsForWavesPerEU: 53
; NamedBarCnt: 0
; Occupancy: 16
; WaveLimiterHint : 0
; COMPUTE_PGM_RSRC2:SCRATCH_EN: 0
; COMPUTE_PGM_RSRC2:USER_SGPR: 2
; COMPUTE_PGM_RSRC2:TRAP_HANDLER: 0
; COMPUTE_PGM_RSRC2:TGID_X_EN: 1
; COMPUTE_PGM_RSRC2:TGID_Y_EN: 0
; COMPUTE_PGM_RSRC2:TGID_Z_EN: 0
; COMPUTE_PGM_RSRC2:TIDIG_COMP_CNT: 0
	.text
	.p2align	2                               ; -- Begin function _ZN6thrust23THRUST_200600_302600_NS6detail7complex5ccoshERKNS0_7complexIdEE
	.type	_ZN6thrust23THRUST_200600_302600_NS6detail7complex5ccoshERKNS0_7complexIdEE,@function
_ZN6thrust23THRUST_200600_302600_NS6detail7complex5ccoshERKNS0_7complexIdEE: ; @_ZN6thrust23THRUST_200600_302600_NS6detail7complex5ccoshERKNS0_7complexIdEE
; %bb.0:
	s_wait_loadcnt_dscnt 0x0
	s_wait_kmcnt 0x0
	v_and_b32_e32 v8, 0x7fffffff, v1
	v_and_b32_e32 v9, 0x7fffffff, v3
                                        ; implicit-def: $vgpr6_vgpr7
	s_delay_alu instid0(VALU_DEP_2) | instskip(NEXT) | instid1(VALU_DEP_2)
	v_cmp_gt_u32_e64 s0, 0x7ff00000, v8
	v_max_u32_e32 v4, v8, v9
	s_delay_alu instid0(VALU_DEP_1) | instskip(SKIP_1) | instid1(SALU_CYCLE_1)
	v_cmp_lt_u32_e32 vcc_lo, 0x7fefffff, v4
                                        ; implicit-def: $vgpr4_vgpr5
	s_and_saveexec_b32 s1, vcc_lo
	s_xor_b32 s4, exec_lo, s1
	s_cbranch_execz .LBB79_36
; %bb.1:
	v_or_b32_e32 v4, v8, v0
	v_cmp_gt_u32_e32 vcc_lo, 0x7ff00000, v9
	v_cmp_lt_u32_e64 s1, 0x7fefffff, v9
                                        ; implicit-def: $vgpr6_vgpr7
	s_delay_alu instid0(VALU_DEP_3) | instskip(SKIP_1) | instid1(SALU_CYCLE_1)
	v_cmp_ne_u32_e64 s2, 0, v4
                                        ; implicit-def: $vgpr4_vgpr5
	s_or_b32 s2, s2, vcc_lo
	s_and_saveexec_b32 s3, s2
	s_delay_alu instid0(SALU_CYCLE_1)
	s_xor_b32 s5, exec_lo, s3
	s_cbranch_execz .LBB79_33
; %bb.2:
	v_or_b32_e32 v4, v9, v2
	v_cmp_gt_u32_e64 s7, 0x7ff00000, v8
	v_cmp_lt_u32_e64 s2, 0x7fefffff, v8
                                        ; implicit-def: $vgpr6_vgpr7
	s_delay_alu instid0(VALU_DEP_3) | instskip(SKIP_1) | instid1(SALU_CYCLE_1)
	v_cmp_ne_u32_e64 s3, 0, v4
                                        ; implicit-def: $vgpr4_vgpr5
	s_or_b32 s3, s3, s7
	s_and_saveexec_b32 s6, s3
	s_delay_alu instid0(SALU_CYCLE_1)
	s_xor_b32 s3, exec_lo, s6
	s_cbranch_execz .LBB79_26
; %bb.3:
	s_and_b32 s0, s0, s1
                                        ; implicit-def: $vgpr6_vgpr7
                                        ; implicit-def: $vgpr4_vgpr5
	s_delay_alu instid0(SALU_CYCLE_1) | instskip(NEXT) | instid1(SALU_CYCLE_1)
	s_xor_b32 s0, s0, -1
	s_and_saveexec_b32 s1, s0
	s_delay_alu instid0(SALU_CYCLE_1)
	s_xor_b32 s6, exec_lo, s1
	s_cbranch_execz .LBB79_23
; %bb.4:
	s_mov_b32 s1, 0
	s_and_saveexec_b32 s8, s2
; %bb.5:
	v_and_or_b32 v4, 0xfffff, v1, v0
	s_and_not1_b32 s2, s7, exec_lo
	s_mov_b32 s1, exec_lo
	s_delay_alu instid0(VALU_DEP_1) | instskip(SKIP_1) | instid1(SALU_CYCLE_1)
	v_cmp_ne_u32_e64 s0, 0, v4
	s_and_b32 s0, s0, exec_lo
	s_or_b32 s7, s2, s0
; %bb.6:
	s_or_b32 exec_lo, exec_lo, s8
                                        ; implicit-def: $vgpr6_vgpr7
                                        ; implicit-def: $vgpr4_vgpr5
	s_and_saveexec_b32 s0, s7
	s_delay_alu instid0(SALU_CYCLE_1)
	s_xor_b32 s0, exec_lo, s0
	s_cbranch_execz .LBB79_8
; %bb.7:
	v_mul_f64_e32 v[4:5], v[0:1], v[0:1]
	v_add_f64_e64 v[6:7], v[2:3], -v[2:3]
	v_add_f64_e32 v[8:9], v[0:1], v[0:1]
	s_and_not1_b32 s1, s1, exec_lo
	s_delay_alu instid0(VALU_DEP_2) | instskip(NEXT) | instid1(VALU_DEP_2)
	v_mul_f64_e32 v[4:5], v[4:5], v[6:7]
	v_mul_f64_e32 v[6:7], v[8:9], v[6:7]
	s_or_b32 exec_lo, exec_lo, s0
	s_and_saveexec_b32 s2, s1
	s_cbranch_execz .LBB79_22
	s_branch .LBB79_9
.LBB79_8:
	s_or_b32 exec_lo, exec_lo, s0
	s_and_saveexec_b32 s2, s1
	s_cbranch_execz .LBB79_22
.LBB79_9:
	v_mul_f64_e32 v[4:5], v[0:1], v[0:1]
                                        ; implicit-def: $vgpr6_vgpr7
	s_and_saveexec_b32 s0, vcc_lo
	s_delay_alu instid0(SALU_CYCLE_1)
	s_xor_b32 s7, exec_lo, s0
	s_cbranch_execz .LBB79_19
; %bb.10:
	v_cmp_ngt_f64_e64 s0, 0x41d00000, |v[2:3]|
                                        ; implicit-def: $vgpr14
                                        ; implicit-def: $vgpr6_vgpr7
                                        ; implicit-def: $vgpr8_vgpr9
	s_and_saveexec_b32 s1, s0
	s_delay_alu instid0(SALU_CYCLE_1)
	s_xor_b32 s1, exec_lo, s1
	s_cbranch_execz .LBB79_12
; %bb.11:
	v_ldexp_f64 v[6:7], |v[2:3]|, 0xffffff80
	v_cmp_le_f64_e64 vcc_lo, 0x7b000000, |v[2:3]|
	v_trig_preop_f64 v[8:9], |v[2:3]|, 0
	v_and_b32_e32 v10, 0x7fffffff, v3
	v_trig_preop_f64 v[20:21], |v[2:3]|, 2
	s_mov_b64 s[8:9], 0x3ff921fb54442d18
	s_delay_alu instid0(VALU_DEP_2) | instskip(SKIP_2) | instid1(VALU_DEP_2)
	v_dual_mov_b32 v28, 0 :: v_dual_cndmask_b32 v7, v10, v7
	v_cndmask_b32_e32 v6, v2, v6, vcc_lo
	v_trig_preop_f64 v[10:11], |v[2:3]|, 1
	v_mul_f64_e32 v[12:13], v[8:9], v[6:7]
	s_delay_alu instid0(VALU_DEP_2) | instskip(NEXT) | instid1(VALU_DEP_2)
	v_mul_f64_e32 v[14:15], v[10:11], v[6:7]
	v_fma_f64 v[8:9], v[8:9], v[6:7], -v[12:13]
	s_delay_alu instid0(VALU_DEP_1) | instskip(NEXT) | instid1(VALU_DEP_1)
	v_add_f64_e32 v[16:17], v[14:15], v[8:9]
	v_add_f64_e64 v[18:19], v[16:17], -v[14:15]
	v_add_f64_e32 v[24:25], v[12:13], v[16:17]
	s_delay_alu instid0(VALU_DEP_2) | instskip(SKIP_1) | instid1(VALU_DEP_3)
	v_add_f64_e64 v[22:23], v[16:17], -v[18:19]
	v_add_f64_e64 v[8:9], v[8:9], -v[18:19]
	v_ldexp_f64 v[18:19], v[24:25], -2
	v_add_f64_e64 v[12:13], v[24:25], -v[12:13]
	v_fma_f64 v[10:11], v[10:11], v[6:7], -v[14:15]
	v_mul_f64_e32 v[26:27], v[20:21], v[6:7]
	v_add_f64_e64 v[14:15], v[14:15], -v[22:23]
	v_cmp_neq_f64_e64 vcc_lo, 0x7ff00000, |v[18:19]|
	s_delay_alu instid0(VALU_DEP_3) | instskip(SKIP_1) | instid1(VALU_DEP_4)
	v_add_f64_e32 v[22:23], v[26:27], v[10:11]
	v_fma_f64 v[6:7], v[20:21], v[6:7], -v[26:27]
	v_add_f64_e32 v[8:9], v[8:9], v[14:15]
	v_fract_f64_e32 v[14:15], v[18:19]
	s_delay_alu instid0(VALU_DEP_1) | instskip(NEXT) | instid1(VALU_DEP_1)
	v_ldexp_f64 v[14:15], v[14:15], 2
	v_dual_add_f64 v[12:13], v[16:17], -v[12:13] :: v_dual_cndmask_b32 v15, 0, v15, vcc_lo
	s_delay_alu instid0(VALU_DEP_2) | instskip(NEXT) | instid1(VALU_DEP_1)
	v_dual_add_f64 v[16:17], v[22:23], v[8:9] :: v_dual_cndmask_b32 v14, 0, v14, vcc_lo
	v_add_f64_e32 v[18:19], v[12:13], v[16:17]
	v_add_f64_e64 v[30:31], v[16:17], -v[22:23]
	s_delay_alu instid0(VALU_DEP_2) | instskip(NEXT) | instid1(VALU_DEP_2)
	v_add_f64_e32 v[24:25], v[18:19], v[14:15]
	v_add_f64_e64 v[36:37], v[16:17], -v[30:31]
	v_add_f64_e64 v[8:9], v[8:9], -v[30:31]
	;; [unrolled: 1-line block ×3, first 2 shown]
	s_delay_alu instid0(VALU_DEP_4) | instskip(SKIP_1) | instid1(VALU_DEP_3)
	v_cmp_gt_f64_e32 vcc_lo, 0, v[24:25]
	v_add_f64_e64 v[24:25], v[22:23], -v[26:27]
	v_add_f64_e64 v[12:13], v[16:17], -v[12:13]
	v_cndmask_b32_e64 v29, 0, 0x40100000, vcc_lo
	s_delay_alu instid0(VALU_DEP_3) | instskip(SKIP_2) | instid1(VALU_DEP_4)
	v_add_f64_e64 v[34:35], v[22:23], -v[24:25]
	v_add_f64_e64 v[10:11], v[10:11], -v[24:25]
	;; [unrolled: 1-line block ×3, first 2 shown]
	v_add_f64_e32 v[14:15], v[14:15], v[28:29]
	s_delay_alu instid0(VALU_DEP_4) | instskip(NEXT) | instid1(VALU_DEP_3)
	v_add_f64_e64 v[24:25], v[26:27], -v[34:35]
	v_add_f64_e32 v[8:9], v[8:9], v[22:23]
	s_delay_alu instid0(VALU_DEP_3) | instskip(NEXT) | instid1(VALU_DEP_3)
	v_add_f64_e32 v[32:33], v[18:19], v[14:15]
	v_add_f64_e32 v[10:11], v[10:11], v[24:25]
	s_delay_alu instid0(VALU_DEP_2) | instskip(NEXT) | instid1(VALU_DEP_2)
	v_cvt_i32_f64_e32 v29, v[32:33]
	v_add_f64_e32 v[8:9], v[10:11], v[8:9]
	s_delay_alu instid0(VALU_DEP_2) | instskip(NEXT) | instid1(VALU_DEP_2)
	v_cvt_f64_i32_e32 v[30:31], v29
	v_add_f64_e32 v[6:7], v[6:7], v[8:9]
	s_delay_alu instid0(VALU_DEP_2) | instskip(NEXT) | instid1(VALU_DEP_2)
	v_add_f64_e64 v[14:15], v[14:15], -v[30:31]
	v_add_f64_e32 v[6:7], v[12:13], v[6:7]
	s_delay_alu instid0(VALU_DEP_2) | instskip(NEXT) | instid1(VALU_DEP_1)
	v_add_f64_e32 v[10:11], v[18:19], v[14:15]
	v_add_f64_e64 v[8:9], v[10:11], -v[14:15]
	v_cmp_le_f64_e32 vcc_lo, 0.5, v[10:11]
	s_delay_alu instid0(VALU_DEP_2) | instskip(SKIP_2) | instid1(VALU_DEP_3)
	v_add_f64_e64 v[8:9], v[18:19], -v[8:9]
	v_add_co_ci_u32_e64 v14, null, 0, v29, vcc_lo
	v_cndmask_b32_e64 v29, 0, 0x3ff00000, vcc_lo
	v_add_f64_e32 v[6:7], v[6:7], v[8:9]
	s_delay_alu instid0(VALU_DEP_2) | instskip(NEXT) | instid1(VALU_DEP_1)
	v_add_f64_e64 v[8:9], v[10:11], -v[28:29]
	v_add_f64_e32 v[10:11], v[8:9], v[6:7]
	s_delay_alu instid0(VALU_DEP_1) | instskip(SKIP_1) | instid1(VALU_DEP_2)
	v_mul_f64_e32 v[12:13], 0x3ff921fb54442d18, v[10:11]
	v_add_f64_e64 v[8:9], v[10:11], -v[8:9]
	v_fma_f64 v[16:17], v[10:11], s[8:9], -v[12:13]
	s_delay_alu instid0(VALU_DEP_2) | instskip(NEXT) | instid1(VALU_DEP_2)
	v_add_f64_e64 v[6:7], v[6:7], -v[8:9]
	v_fmamk_f64 v[8:9], v[10:11], 0x3c91a62633145c07, v[16:17]
	s_delay_alu instid0(VALU_DEP_1) | instskip(NEXT) | instid1(VALU_DEP_1)
	v_fmac_f64_e32 v[8:9], 0x3ff921fb54442d18, v[6:7]
	v_add_f64_e32 v[6:7], v[12:13], v[8:9]
	s_delay_alu instid0(VALU_DEP_1) | instskip(NEXT) | instid1(VALU_DEP_1)
	v_add_f64_e64 v[10:11], v[6:7], -v[12:13]
	v_add_f64_e64 v[8:9], v[8:9], -v[10:11]
	s_and_not1_saveexec_b32 s1, s1
	s_cbranch_execz .LBB79_14
	s_branch .LBB79_13
.LBB79_12:
	s_and_not1_saveexec_b32 s1, s1
	s_cbranch_execz .LBB79_14
.LBB79_13:
	s_mov_b64 s[8:9], 0x3fe45f306dc9c883
	s_delay_alu instid0(SALU_CYCLE_1) | instskip(SKIP_1) | instid1(VALU_DEP_1)
	v_mul_f64_e64 v[6:7], |v[2:3]|, s[8:9]
	s_mov_b64 s[8:9], 0xbff921fb54442d18
	v_rndne_f64_e32 v[10:11], v[6:7]
	s_delay_alu instid0(VALU_DEP_1) | instskip(SKIP_1) | instid1(VALU_DEP_2)
	v_fma_f64 v[6:7], v[10:11], s[8:9], |v[2:3]|
	v_mul_f64_e32 v[8:9], 0xbc91a62633145c00, v[10:11]
	v_fmamk_f64 v[16:17], v[10:11], 0xbc91a62633145c00, v[6:7]
	s_delay_alu instid0(VALU_DEP_2) | instskip(NEXT) | instid1(VALU_DEP_1)
	v_add_f64_e32 v[12:13], v[6:7], v[8:9]
	v_add_f64_e64 v[14:15], v[6:7], -v[12:13]
	s_delay_alu instid0(VALU_DEP_3) | instskip(NEXT) | instid1(VALU_DEP_2)
	v_add_f64_e64 v[6:7], v[12:13], -v[16:17]
	v_add_f64_e32 v[12:13], v[14:15], v[8:9]
	v_fmamk_f64 v[8:9], v[10:11], 0x3c91a62633145c00, v[8:9]
	v_cvt_i32_f64_e32 v14, v[10:11]
	s_delay_alu instid0(VALU_DEP_3) | instskip(NEXT) | instid1(VALU_DEP_1)
	v_add_f64_e32 v[6:7], v[6:7], v[12:13]
	v_add_f64_e64 v[6:7], v[6:7], -v[8:9]
	s_delay_alu instid0(VALU_DEP_1) | instskip(NEXT) | instid1(VALU_DEP_1)
	v_fmamk_f64 v[8:9], v[10:11], 0xb97b839a252049c0, v[6:7]
	v_add_f64_e32 v[6:7], v[16:17], v[8:9]
	s_delay_alu instid0(VALU_DEP_1) | instskip(NEXT) | instid1(VALU_DEP_1)
	v_add_f64_e64 v[12:13], v[6:7], -v[16:17]
	v_add_f64_e64 v[8:9], v[8:9], -v[12:13]
.LBB79_14:
	s_or_b32 exec_lo, exec_lo, s1
                                        ; implicit-def: $vgpr15
                                        ; implicit-def: $vgpr10_vgpr11
                                        ; implicit-def: $vgpr12_vgpr13
	s_and_saveexec_b32 s1, s0
	s_delay_alu instid0(SALU_CYCLE_1)
	s_xor_b32 s0, exec_lo, s1
	s_cbranch_execz .LBB79_16
; %bb.15:
	v_ldexp_f64 v[10:11], |v[2:3]|, 0xffffff80
	v_cmp_le_f64_e64 vcc_lo, 0x7b000000, |v[2:3]|
	v_trig_preop_f64 v[12:13], |v[2:3]|, 0
	v_and_b32_e32 v15, 0x7fffffff, v3
	v_trig_preop_f64 v[16:17], |v[2:3]|, 1
	v_trig_preop_f64 v[26:27], |v[2:3]|, 2
	s_mov_b64 s[8:9], 0x3ff921fb54442d18
	s_delay_alu instid0(VALU_DEP_3) | instskip(SKIP_1) | instid1(VALU_DEP_1)
	v_dual_mov_b32 v34, 0 :: v_dual_cndmask_b32 v11, v15, v11
	v_cndmask_b32_e32 v10, v2, v10, vcc_lo
	v_mul_f64_e32 v[18:19], v[12:13], v[10:11]
	v_mul_f64_e32 v[20:21], v[16:17], v[10:11]
	;; [unrolled: 1-line block ×3, first 2 shown]
	s_delay_alu instid0(VALU_DEP_3) | instskip(NEXT) | instid1(VALU_DEP_3)
	v_fma_f64 v[12:13], v[12:13], v[10:11], -v[18:19]
	v_fma_f64 v[16:17], v[16:17], v[10:11], -v[20:21]
	s_delay_alu instid0(VALU_DEP_3) | instskip(NEXT) | instid1(VALU_DEP_3)
	v_fma_f64 v[10:11], v[26:27], v[10:11], -v[32:33]
	v_add_f64_e32 v[22:23], v[20:21], v[12:13]
	s_delay_alu instid0(VALU_DEP_1) | instskip(SKIP_1) | instid1(VALU_DEP_2)
	v_add_f64_e64 v[24:25], v[22:23], -v[20:21]
	v_add_f64_e32 v[30:31], v[18:19], v[22:23]
	v_add_f64_e64 v[28:29], v[22:23], -v[24:25]
	v_add_f64_e64 v[12:13], v[12:13], -v[24:25]
	s_delay_alu instid0(VALU_DEP_3) | instskip(NEXT) | instid1(VALU_DEP_3)
	v_ldexp_f64 v[24:25], v[30:31], -2
	v_add_f64_e64 v[20:21], v[20:21], -v[28:29]
	v_add_f64_e32 v[28:29], v[32:33], v[16:17]
	s_delay_alu instid0(VALU_DEP_3) | instskip(NEXT) | instid1(VALU_DEP_3)
	v_cmp_neq_f64_e64 vcc_lo, 0x7ff00000, |v[24:25]|
	v_add_f64_e32 v[12:13], v[12:13], v[20:21]
	v_fract_f64_e32 v[20:21], v[24:25]
	s_delay_alu instid0(VALU_DEP_1) | instskip(NEXT) | instid1(VALU_DEP_1)
	v_ldexp_f64 v[20:21], v[20:21], 2
	v_dual_add_f64 v[18:19], v[30:31], -v[18:19] :: v_dual_cndmask_b32 v21, 0, v21, vcc_lo
	s_delay_alu instid0(VALU_DEP_1) | instskip(SKIP_1) | instid1(VALU_DEP_1)
	v_dual_add_f64 v[18:19], v[22:23], -v[18:19] :: v_dual_cndmask_b32 v20, 0, v20, vcc_lo
	v_add_f64_e32 v[22:23], v[28:29], v[12:13]
	v_add_f64_e32 v[24:25], v[18:19], v[22:23]
	v_add_f64_e64 v[36:37], v[22:23], -v[28:29]
	s_delay_alu instid0(VALU_DEP_2) | instskip(NEXT) | instid1(VALU_DEP_2)
	v_add_f64_e32 v[30:31], v[24:25], v[20:21]
	v_add_f64_e64 v[50:51], v[22:23], -v[36:37]
	v_add_f64_e64 v[12:13], v[12:13], -v[36:37]
	;; [unrolled: 1-line block ×3, first 2 shown]
	s_delay_alu instid0(VALU_DEP_4) | instskip(SKIP_1) | instid1(VALU_DEP_3)
	v_cmp_gt_f64_e32 vcc_lo, 0, v[30:31]
	v_add_f64_e64 v[30:31], v[28:29], -v[32:33]
	v_add_f64_e64 v[18:19], v[22:23], -v[18:19]
	v_cndmask_b32_e64 v35, 0, 0x40100000, vcc_lo
	s_delay_alu instid0(VALU_DEP_3) | instskip(SKIP_2) | instid1(VALU_DEP_4)
	v_add_f64_e64 v[48:49], v[28:29], -v[30:31]
	v_add_f64_e64 v[16:17], v[16:17], -v[30:31]
	;; [unrolled: 1-line block ×3, first 2 shown]
	v_add_f64_e32 v[20:21], v[20:21], v[34:35]
	s_delay_alu instid0(VALU_DEP_4) | instskip(NEXT) | instid1(VALU_DEP_3)
	v_add_f64_e64 v[30:31], v[32:33], -v[48:49]
	v_add_f64_e32 v[12:13], v[12:13], v[28:29]
	s_delay_alu instid0(VALU_DEP_3) | instskip(NEXT) | instid1(VALU_DEP_3)
	v_add_f64_e32 v[38:39], v[24:25], v[20:21]
	v_add_f64_e32 v[16:17], v[16:17], v[30:31]
	s_delay_alu instid0(VALU_DEP_2) | instskip(NEXT) | instid1(VALU_DEP_2)
	v_cvt_i32_f64_e32 v15, v[38:39]
	v_add_f64_e32 v[12:13], v[16:17], v[12:13]
	s_delay_alu instid0(VALU_DEP_2) | instskip(NEXT) | instid1(VALU_DEP_2)
	v_cvt_f64_i32_e32 v[36:37], v15
	v_add_f64_e32 v[10:11], v[10:11], v[12:13]
	s_delay_alu instid0(VALU_DEP_2) | instskip(NEXT) | instid1(VALU_DEP_2)
	v_add_f64_e64 v[20:21], v[20:21], -v[36:37]
	v_add_f64_e32 v[10:11], v[18:19], v[10:11]
	s_delay_alu instid0(VALU_DEP_2) | instskip(NEXT) | instid1(VALU_DEP_1)
	v_add_f64_e32 v[16:17], v[24:25], v[20:21]
	v_add_f64_e64 v[12:13], v[16:17], -v[20:21]
	v_cmp_le_f64_e32 vcc_lo, 0.5, v[16:17]
	s_delay_alu instid0(VALU_DEP_2) | instskip(SKIP_2) | instid1(VALU_DEP_3)
	v_add_f64_e64 v[12:13], v[24:25], -v[12:13]
	v_cndmask_b32_e64 v35, 0, 0x3ff00000, vcc_lo
	v_add_co_ci_u32_e64 v15, null, 0, v15, vcc_lo
	v_add_f64_e32 v[10:11], v[10:11], v[12:13]
	s_delay_alu instid0(VALU_DEP_3) | instskip(NEXT) | instid1(VALU_DEP_1)
	v_add_f64_e64 v[12:13], v[16:17], -v[34:35]
	v_add_f64_e32 v[16:17], v[12:13], v[10:11]
	s_delay_alu instid0(VALU_DEP_1) | instskip(SKIP_1) | instid1(VALU_DEP_2)
	v_mul_f64_e32 v[18:19], 0x3ff921fb54442d18, v[16:17]
	v_add_f64_e64 v[12:13], v[16:17], -v[12:13]
	v_fma_f64 v[20:21], v[16:17], s[8:9], -v[18:19]
	s_delay_alu instid0(VALU_DEP_2) | instskip(NEXT) | instid1(VALU_DEP_2)
	v_add_f64_e64 v[10:11], v[10:11], -v[12:13]
	v_fmamk_f64 v[12:13], v[16:17], 0x3c91a62633145c07, v[20:21]
	s_delay_alu instid0(VALU_DEP_1) | instskip(NEXT) | instid1(VALU_DEP_1)
	v_fmac_f64_e32 v[12:13], 0x3ff921fb54442d18, v[10:11]
	v_add_f64_e32 v[10:11], v[18:19], v[12:13]
	s_delay_alu instid0(VALU_DEP_1) | instskip(NEXT) | instid1(VALU_DEP_1)
	v_add_f64_e64 v[16:17], v[10:11], -v[18:19]
	v_add_f64_e64 v[12:13], v[12:13], -v[16:17]
	s_and_not1_saveexec_b32 s0, s0
	s_cbranch_execnz .LBB79_17
	s_branch .LBB79_18
.LBB79_16:
	s_and_not1_saveexec_b32 s0, s0
	s_cbranch_execz .LBB79_18
.LBB79_17:
	s_mov_b64 s[8:9], 0x3fe45f306dc9c883
	s_delay_alu instid0(SALU_CYCLE_1) | instskip(SKIP_1) | instid1(VALU_DEP_1)
	v_mul_f64_e64 v[10:11], |v[2:3]|, s[8:9]
	s_mov_b64 s[8:9], 0xbff921fb54442d18
	v_rndne_f64_e32 v[16:17], v[10:11]
	s_delay_alu instid0(VALU_DEP_1) | instskip(SKIP_2) | instid1(VALU_DEP_3)
	v_fma_f64 v[10:11], v[16:17], s[8:9], |v[2:3]|
	v_mul_f64_e32 v[12:13], 0xbc91a62633145c00, v[16:17]
	v_cvt_i32_f64_e32 v15, v[16:17]
	v_fmamk_f64 v[22:23], v[16:17], 0xbc91a62633145c00, v[10:11]
	s_delay_alu instid0(VALU_DEP_3) | instskip(NEXT) | instid1(VALU_DEP_1)
	v_add_f64_e32 v[18:19], v[10:11], v[12:13]
	v_add_f64_e64 v[20:21], v[10:11], -v[18:19]
	s_delay_alu instid0(VALU_DEP_3) | instskip(NEXT) | instid1(VALU_DEP_2)
	v_add_f64_e64 v[10:11], v[18:19], -v[22:23]
	v_add_f64_e32 v[18:19], v[20:21], v[12:13]
	v_fmamk_f64 v[12:13], v[16:17], 0x3c91a62633145c00, v[12:13]
	s_delay_alu instid0(VALU_DEP_2) | instskip(NEXT) | instid1(VALU_DEP_1)
	v_add_f64_e32 v[10:11], v[10:11], v[18:19]
	v_add_f64_e64 v[10:11], v[10:11], -v[12:13]
	s_delay_alu instid0(VALU_DEP_1) | instskip(NEXT) | instid1(VALU_DEP_1)
	v_fmamk_f64 v[12:13], v[16:17], 0xb97b839a252049c0, v[10:11]
	v_add_f64_e32 v[10:11], v[22:23], v[12:13]
	s_delay_alu instid0(VALU_DEP_1) | instskip(NEXT) | instid1(VALU_DEP_1)
	v_add_f64_e64 v[18:19], v[10:11], -v[22:23]
	v_add_f64_e64 v[12:13], v[12:13], -v[18:19]
.LBB79_18:
	s_or_b32 exec_lo, exec_lo, s0
	v_mul_f64_e32 v[18:19], v[10:11], v[10:11]
	v_cmp_class_f64_e64 s0, v[2:3], 0x1f8
	v_mul_f64_e32 v[16:17], v[6:7], v[6:7]
	v_mov_b64_e32 v[20:21], 0xbe5ae600b42fdfa7
	v_mov_b64_e32 v[28:29], 0x3ec71de3796cde01
	;; [unrolled: 1-line block ×7, first 2 shown]
	v_dual_mul_f64 v[54:55], 0.5, v[12:13] :: v_dual_bitop2_b32 v2, 1, v15 bitop3:0x40
	s_delay_alu instid0(VALU_DEP_1) | instskip(SKIP_1) | instid1(VALU_DEP_1)
	v_cmp_eq_u32_e64 s1, 0, v2
	v_lshlrev_b32_e32 v2, 30, v15
	v_xor_b32_e32 v2, v2, v3
	v_mul_f64_e64 v[64:65], v[10:11], -v[18:19]
	v_fmamk_f64 v[22:23], v[16:17], 0x3de5e0b2f9a43bb8, v[20:21]
	v_fmac_f64_e32 v[20:21], 0x3de5e0b2f9a43bb8, v[18:19]
	v_mul_f64_e32 v[24:25], 0.5, v[16:17]
	v_mul_f64_e64 v[38:39], v[6:7], -v[16:17]
	v_fmamk_f64 v[30:31], v[16:17], 0xbda907db46cc5e42, v[26:27]
	v_fmac_f64_e32 v[26:27], 0xbda907db46cc5e42, v[18:19]
	v_fmaak_f64 v[22:23], v[16:17], v[22:23], 0x3ec71de3796cde01
	s_delay_alu instid0(VALU_DEP_1) | instskip(NEXT) | instid1(VALU_DEP_1)
	v_fmaak_f64 v[22:23], v[16:17], v[22:23], 0xbf2a01a019e83e5c
	v_fmaak_f64 v[22:23], v[16:17], v[22:23], 0x3f81111111110bb3
	v_fmac_f64_e32 v[28:29], v[18:19], v[20:21]
	v_add_f64_e64 v[20:21], -v[24:25], 1.0
	v_fmac_f64_e32 v[34:35], v[18:19], v[26:27]
	s_delay_alu instid0(VALU_DEP_3) | instskip(SKIP_1) | instid1(VALU_DEP_4)
	v_fmac_f64_e32 v[36:37], v[18:19], v[28:29]
	v_mul_f64_e32 v[28:29], 0.5, v[8:9]
	v_add_f64_e64 v[48:49], -v[20:21], 1.0
	s_delay_alu instid0(VALU_DEP_4) | instskip(NEXT) | instid1(VALU_DEP_4)
	v_fmac_f64_e32 v[50:51], v[18:19], v[34:35]
	v_fmac_f64_e32 v[52:53], v[18:19], v[36:37]
	s_delay_alu instid0(VALU_DEP_4) | instskip(NEXT) | instid1(VALU_DEP_4)
	v_fmac_f64_e32 v[28:29], v[38:39], v[22:23]
	v_add_f64_e64 v[22:23], v[48:49], -v[24:25]
	v_mov_b64_e32 v[24:25], 0xbf56c16c16c16967
	v_mul_f64_e32 v[36:37], v[18:19], v[18:19]
	s_delay_alu instid0(VALU_DEP_2)
	v_fmac_f64_e32 v[24:25], v[18:19], v[50:51]
	v_fmac_f64_e32 v[54:55], v[64:65], v[52:53]
	v_fma_f64 v[28:29], v[16:17], v[28:29], -v[8:9]
	v_fma_f64 v[8:9], v[6:7], -v[8:9], v[22:23]
	v_fmaak_f64 v[22:23], v[16:17], v[30:31], 0xbe927e4fa17f65f6
	v_mov_b64_e32 v[30:31], 0x3fa5555555555555
	s_delay_alu instid0(VALU_DEP_2) | instskip(NEXT) | instid1(VALU_DEP_2)
	v_fmaak_f64 v[22:23], v[16:17], v[22:23], 0x3efa01a019f4ec90
	v_fmac_f64_e32 v[30:31], v[18:19], v[24:25]
	s_delay_alu instid0(VALU_DEP_2) | instskip(SKIP_1) | instid1(VALU_DEP_1)
	v_fmaak_f64 v[22:23], v[16:17], v[22:23], 0xbf56c16c16c16967
	v_fmac_f64_e32 v[28:29], 0xbfc5555555555555, v[38:39]
	v_add_f64_e64 v[6:7], v[6:7], -v[28:29]
	v_mul_f64_e32 v[32:33], 0.5, v[18:19]
	s_delay_alu instid0(VALU_DEP_2) | instskip(NEXT) | instid1(VALU_DEP_2)
	v_xor_b32_e32 v7, 0x80000000, v7
	v_add_f64_e64 v[26:27], -v[32:33], 1.0
	s_delay_alu instid0(VALU_DEP_1) | instskip(NEXT) | instid1(VALU_DEP_1)
	v_add_f64_e64 v[34:35], -v[26:27], 1.0
	v_add_f64_e64 v[32:33], v[34:35], -v[32:33]
	v_mul_f64_e32 v[34:35], v[16:17], v[16:17]
	v_fmaak_f64 v[16:17], v[16:17], v[22:23], 0x3fa5555555555555
	s_delay_alu instid0(VALU_DEP_3) | instskip(SKIP_1) | instid1(VALU_DEP_3)
	v_fma_f64 v[24:25], v[10:11], -v[12:13], v[32:33]
	v_fma_f64 v[12:13], v[18:19], v[54:55], -v[12:13]
	v_fmac_f64_e32 v[8:9], v[34:35], v[16:17]
	s_delay_alu instid0(VALU_DEP_3) | instskip(NEXT) | instid1(VALU_DEP_3)
	v_fmac_f64_e32 v[24:25], v[36:37], v[30:31]
	v_fmac_f64_e32 v[12:13], 0xbfc5555555555555, v[64:65]
	s_delay_alu instid0(VALU_DEP_3) | instskip(NEXT) | instid1(VALU_DEP_3)
	v_add_f64_e32 v[8:9], v[20:21], v[8:9]
	v_add_f64_e32 v[16:17], v[26:27], v[24:25]
	s_delay_alu instid0(VALU_DEP_3) | instskip(NEXT) | instid1(VALU_DEP_1)
	v_dual_add_f64 v[10:11], v[10:11], -v[12:13] :: v_dual_bitop2_b32 v12, 1, v14 bitop3:0x40
	v_cmp_eq_u32_e32 vcc_lo, 0, v12
	s_delay_alu instid0(VALU_DEP_4) | instskip(SKIP_1) | instid1(VALU_DEP_1)
	v_dual_cndmask_b32 v6, v6, v8, vcc_lo :: v_dual_lshlrev_b32 v8, 30, v14
	v_cndmask_b32_e32 v7, v7, v9, vcc_lo
	v_bitop3_b32 v3, v7, v8, 0x80000000 bitop3:0x78
	s_delay_alu instid0(VALU_DEP_1) | instskip(SKIP_1) | instid1(VALU_DEP_1)
	v_cndmask_b32_e64 v3, 0x7ff80000, v3, s0
	v_dual_cndmask_b32 v9, v16, v10, s1 :: v_dual_cndmask_b32 v10, v17, v11, s1
	v_bitop3_b32 v7, v10, v2, 0x80000000 bitop3:0x78
	s_delay_alu instid0(VALU_DEP_2) | instskip(NEXT) | instid1(VALU_DEP_2)
	v_dual_cndmask_b32 v2, 0, v6, s0 :: v_dual_cndmask_b32 v6, 0, v9, s0
	v_cndmask_b32_e64 v7, 0x7ff80000, v7, s0
	s_delay_alu instid0(VALU_DEP_2) | instskip(NEXT) | instid1(VALU_DEP_2)
	v_mul_f64_e32 v[4:5], v[4:5], v[2:3]
                                        ; implicit-def: $vgpr2_vgpr3
	v_mul_f64_e32 v[6:7], v[0:1], v[6:7]
                                        ; implicit-def: $vgpr0_vgpr1
.LBB79_19:
	s_and_not1_saveexec_b32 s0, s7
	s_cbranch_execz .LBB79_21
; %bb.20:
	v_add_f64_e64 v[2:3], v[2:3], -v[2:3]
	s_delay_alu instid0(VALU_DEP_1)
	v_mul_f64_e32 v[6:7], v[0:1], v[2:3]
.LBB79_21:
	s_or_b32 exec_lo, exec_lo, s0
.LBB79_22:
	s_delay_alu instid0(SALU_CYCLE_1)
	s_or_b32 exec_lo, exec_lo, s2
                                        ; implicit-def: $vgpr2_vgpr3
                                        ; implicit-def: $vgpr0_vgpr1
.LBB79_23:
	s_and_not1_saveexec_b32 s0, s6
	s_cbranch_execz .LBB79_25
; %bb.24:
	v_add_f64_e64 v[4:5], v[2:3], -v[2:3]
	s_delay_alu instid0(VALU_DEP_1)
	v_mul_f64_e32 v[6:7], v[0:1], v[4:5]
.LBB79_25:
	s_or_b32 exec_lo, exec_lo, s0
                                        ; implicit-def: $vgpr0_vgpr1
                                        ; implicit-def: $vgpr2_vgpr3
.LBB79_26:
	s_and_not1_saveexec_b32 s0, s3
	s_cbranch_execz .LBB79_32
; %bb.27:
	v_and_or_b32 v4, 0xfffff, v1, v0
	s_mov_b32 s1, exec_lo
                                        ; implicit-def: $vgpr6_vgpr7
	s_delay_alu instid0(VALU_DEP_1)
	v_cmpx_ne_u32_e32 0, v4
	s_xor_b32 s1, exec_lo, s1
	s_cbranch_execz .LBB79_29
; %bb.28:
	v_dual_add_f64 v[4:5], v[0:1], v[0:1] :: v_dual_mov_b32 v6, 0
	s_delay_alu instid0(VALU_DEP_1) | instskip(NEXT) | instid1(VALU_DEP_1)
	v_mul_f64_e32 v[2:3], v[4:5], v[2:3]
	v_bfi_b32 v7, 0x7fffffff, 0, v3
                                        ; implicit-def: $vgpr2_vgpr3
.LBB79_29:
	s_and_not1_saveexec_b32 s1, s1
	s_cbranch_execz .LBB79_31
; %bb.30:
	v_bfi_b32 v5, 0x7fffffff, 0, v1
	v_mov_b32_e32 v4, 0
	s_delay_alu instid0(VALU_DEP_1)
	v_mul_f64_e32 v[6:7], v[4:5], v[2:3]
.LBB79_31:
	s_or_b32 exec_lo, exec_lo, s1
	v_mul_f64_e32 v[4:5], v[0:1], v[0:1]
.LBB79_32:
	s_or_b32 exec_lo, exec_lo, s0
                                        ; implicit-def: $vgpr2_vgpr3
                                        ; implicit-def: $vgpr0_vgpr1
.LBB79_33:
	s_and_not1_saveexec_b32 s0, s5
	s_cbranch_execz .LBB79_35
; %bb.34:
	s_delay_alu instid0(VALU_DEP_3) | instskip(NEXT) | instid1(VALU_DEP_1)
	v_dual_add_f64 v[4:5], v[2:3], -v[2:3] :: v_dual_mov_b32 v6, 0
	v_mul_f64_e32 v[0:1], v[0:1], v[4:5]
	s_delay_alu instid0(VALU_DEP_1)
	v_bfi_b32 v7, 0x7fffffff, 0, v1
.LBB79_35:
	s_or_b32 exec_lo, exec_lo, s0
                                        ; implicit-def: $vgpr0_vgpr1
                                        ; implicit-def: $vgpr2_vgpr3
                                        ; implicit-def: $vgpr9
                                        ; implicit-def: $vgpr8
.LBB79_36:
	s_and_not1_saveexec_b32 s4, s4
	s_cbranch_execz .LBB79_86
; %bb.37:
	s_delay_alu instid0(VALU_DEP_3) | instskip(NEXT) | instid1(VALU_DEP_1)
	v_or_b32_e32 v4, v9, v2
                                        ; implicit-def: $vgpr6_vgpr7
	v_cmp_ne_u32_e32 vcc_lo, 0, v4
                                        ; implicit-def: $vgpr4_vgpr5
	s_and_saveexec_b32 s0, vcc_lo
	s_delay_alu instid0(SALU_CYCLE_1)
	s_xor_b32 s5, exec_lo, s0
	s_cbranch_execz .LBB79_83
; %bb.38:
                                        ; implicit-def: $vgpr6_vgpr7
                                        ; implicit-def: $vgpr4_vgpr5
	s_mov_b32 s0, exec_lo
	v_cmpx_lt_u32_e32 0x4035ffff, v8
	s_xor_b32 s6, exec_lo, s0
	s_cbranch_execz .LBB79_72
; %bb.39:
                                        ; implicit-def: $vgpr6_vgpr7
                                        ; implicit-def: $vgpr4_vgpr5
	s_mov_b32 s0, exec_lo
	v_cmpx_lt_u32_e32 0x40862e41, v8
	;; [unrolled: 7-line block ×3, first 2 shown]
	s_xor_b32 s2, exec_lo, s0
	s_cbranch_execz .LBB79_50
; %bb.41:
	v_cmp_ngt_f64_e64 s0, 0x41d00000, |v[2:3]|
                                        ; implicit-def: $vgpr12
                                        ; implicit-def: $vgpr4_vgpr5
                                        ; implicit-def: $vgpr6_vgpr7
	s_and_saveexec_b32 s1, s0
	s_delay_alu instid0(SALU_CYCLE_1)
	s_xor_b32 s1, exec_lo, s1
	s_cbranch_execz .LBB79_43
; %bb.42:
	v_ldexp_f64 v[4:5], |v[2:3]|, 0xffffff80
	v_cmp_le_f64_e64 vcc_lo, 0x7b000000, |v[2:3]|
	v_trig_preop_f64 v[6:7], |v[2:3]|, 0
	v_and_b32_e32 v8, 0x7fffffff, v3
	v_trig_preop_f64 v[18:19], |v[2:3]|, 2
	s_mov_b64 s[8:9], 0x3ff921fb54442d18
	s_delay_alu instid0(VALU_DEP_2) | instskip(SKIP_2) | instid1(VALU_DEP_2)
	v_dual_mov_b32 v26, 0 :: v_dual_cndmask_b32 v5, v8, v5
	v_cndmask_b32_e32 v4, v2, v4, vcc_lo
	v_trig_preop_f64 v[8:9], |v[2:3]|, 1
	v_mul_f64_e32 v[10:11], v[6:7], v[4:5]
	v_mul_f64_e32 v[24:25], v[18:19], v[4:5]
	s_delay_alu instid0(VALU_DEP_3) | instskip(NEXT) | instid1(VALU_DEP_3)
	v_mul_f64_e32 v[12:13], v[8:9], v[4:5]
	v_fma_f64 v[6:7], v[6:7], v[4:5], -v[10:11]
	s_delay_alu instid0(VALU_DEP_2) | instskip(NEXT) | instid1(VALU_DEP_4)
	v_fma_f64 v[8:9], v[8:9], v[4:5], -v[12:13]
	v_fma_f64 v[4:5], v[18:19], v[4:5], -v[24:25]
	s_delay_alu instid0(VALU_DEP_3) | instskip(NEXT) | instid1(VALU_DEP_1)
	v_add_f64_e32 v[14:15], v[12:13], v[6:7]
	v_add_f64_e64 v[16:17], v[14:15], -v[12:13]
	v_add_f64_e32 v[22:23], v[10:11], v[14:15]
	s_delay_alu instid0(VALU_DEP_2) | instskip(SKIP_1) | instid1(VALU_DEP_3)
	v_add_f64_e64 v[20:21], v[14:15], -v[16:17]
	v_add_f64_e64 v[6:7], v[6:7], -v[16:17]
	v_ldexp_f64 v[16:17], v[22:23], -2
	s_delay_alu instid0(VALU_DEP_3) | instskip(SKIP_1) | instid1(VALU_DEP_3)
	v_add_f64_e64 v[12:13], v[12:13], -v[20:21]
	v_add_f64_e32 v[20:21], v[24:25], v[8:9]
	v_cmp_neq_f64_e64 vcc_lo, 0x7ff00000, |v[16:17]|
	s_delay_alu instid0(VALU_DEP_3) | instskip(SKIP_1) | instid1(VALU_DEP_1)
	v_add_f64_e32 v[6:7], v[6:7], v[12:13]
	v_fract_f64_e32 v[12:13], v[16:17]
	v_ldexp_f64 v[12:13], v[12:13], 2
	s_delay_alu instid0(VALU_DEP_1) | instskip(NEXT) | instid1(VALU_DEP_1)
	v_dual_add_f64 v[10:11], v[22:23], -v[10:11] :: v_dual_cndmask_b32 v12, 0, v12, vcc_lo
	v_dual_add_f64 v[10:11], v[14:15], -v[10:11] :: v_dual_cndmask_b32 v13, 0, v13, vcc_lo
	v_add_f64_e32 v[14:15], v[20:21], v[6:7]
	s_delay_alu instid0(VALU_DEP_1) | instskip(SKIP_1) | instid1(VALU_DEP_2)
	v_add_f64_e32 v[16:17], v[10:11], v[14:15]
	v_add_f64_e64 v[28:29], v[14:15], -v[20:21]
	v_add_f64_e32 v[22:23], v[16:17], v[12:13]
	s_delay_alu instid0(VALU_DEP_2) | instskip(SKIP_2) | instid1(VALU_DEP_4)
	v_add_f64_e64 v[34:35], v[14:15], -v[28:29]
	v_add_f64_e64 v[6:7], v[6:7], -v[28:29]
	;; [unrolled: 1-line block ×3, first 2 shown]
	v_cmp_gt_f64_e32 vcc_lo, 0, v[22:23]
	v_add_f64_e64 v[22:23], v[20:21], -v[24:25]
	s_delay_alu instid0(VALU_DEP_3) | instskip(SKIP_1) | instid1(VALU_DEP_3)
	v_add_f64_e64 v[10:11], v[14:15], -v[10:11]
	v_cndmask_b32_e64 v27, 0, 0x40100000, vcc_lo
	v_add_f64_e64 v[32:33], v[20:21], -v[22:23]
	v_add_f64_e64 v[8:9], v[8:9], -v[22:23]
	;; [unrolled: 1-line block ×3, first 2 shown]
	s_delay_alu instid0(VALU_DEP_4) | instskip(NEXT) | instid1(VALU_DEP_4)
	v_add_f64_e32 v[12:13], v[12:13], v[26:27]
	v_add_f64_e64 v[22:23], v[24:25], -v[32:33]
	s_delay_alu instid0(VALU_DEP_3) | instskip(NEXT) | instid1(VALU_DEP_3)
	v_add_f64_e32 v[6:7], v[6:7], v[20:21]
	v_add_f64_e32 v[30:31], v[16:17], v[12:13]
	s_delay_alu instid0(VALU_DEP_3) | instskip(NEXT) | instid1(VALU_DEP_2)
	v_add_f64_e32 v[8:9], v[8:9], v[22:23]
	v_cvt_i32_f64_e32 v27, v[30:31]
	s_delay_alu instid0(VALU_DEP_2) | instskip(NEXT) | instid1(VALU_DEP_2)
	v_add_f64_e32 v[6:7], v[8:9], v[6:7]
	v_cvt_f64_i32_e32 v[28:29], v27
	s_delay_alu instid0(VALU_DEP_2) | instskip(NEXT) | instid1(VALU_DEP_2)
	v_add_f64_e32 v[4:5], v[4:5], v[6:7]
	v_add_f64_e64 v[12:13], v[12:13], -v[28:29]
	s_delay_alu instid0(VALU_DEP_2) | instskip(NEXT) | instid1(VALU_DEP_2)
	v_add_f64_e32 v[4:5], v[10:11], v[4:5]
	v_add_f64_e32 v[8:9], v[16:17], v[12:13]
	s_delay_alu instid0(VALU_DEP_1) | instskip(SKIP_1) | instid1(VALU_DEP_2)
	v_add_f64_e64 v[6:7], v[8:9], -v[12:13]
	v_cmp_le_f64_e32 vcc_lo, 0.5, v[8:9]
	v_add_f64_e64 v[6:7], v[16:17], -v[6:7]
	v_add_co_ci_u32_e64 v12, null, 0, v27, vcc_lo
	v_cndmask_b32_e64 v27, 0, 0x3ff00000, vcc_lo
	s_delay_alu instid0(VALU_DEP_3) | instskip(NEXT) | instid1(VALU_DEP_2)
	v_add_f64_e32 v[4:5], v[4:5], v[6:7]
	v_add_f64_e64 v[6:7], v[8:9], -v[26:27]
	s_delay_alu instid0(VALU_DEP_1) | instskip(NEXT) | instid1(VALU_DEP_1)
	v_add_f64_e32 v[8:9], v[6:7], v[4:5]
	v_mul_f64_e32 v[10:11], 0x3ff921fb54442d18, v[8:9]
	v_add_f64_e64 v[6:7], v[8:9], -v[6:7]
	s_delay_alu instid0(VALU_DEP_2) | instskip(NEXT) | instid1(VALU_DEP_2)
	v_fma_f64 v[14:15], v[8:9], s[8:9], -v[10:11]
	v_add_f64_e64 v[4:5], v[4:5], -v[6:7]
	s_delay_alu instid0(VALU_DEP_2) | instskip(NEXT) | instid1(VALU_DEP_1)
	v_fmamk_f64 v[6:7], v[8:9], 0x3c91a62633145c07, v[14:15]
	v_fmac_f64_e32 v[6:7], 0x3ff921fb54442d18, v[4:5]
	s_delay_alu instid0(VALU_DEP_1) | instskip(NEXT) | instid1(VALU_DEP_1)
	v_add_f64_e32 v[4:5], v[10:11], v[6:7]
	v_add_f64_e64 v[8:9], v[4:5], -v[10:11]
	s_delay_alu instid0(VALU_DEP_1)
	v_add_f64_e64 v[6:7], v[6:7], -v[8:9]
	s_and_not1_saveexec_b32 s1, s1
	s_cbranch_execz .LBB79_45
	s_branch .LBB79_44
.LBB79_43:
	s_and_not1_saveexec_b32 s1, s1
	s_cbranch_execz .LBB79_45
.LBB79_44:
	s_mov_b64 s[8:9], 0x3fe45f306dc9c883
	s_delay_alu instid0(SALU_CYCLE_1) | instskip(SKIP_1) | instid1(VALU_DEP_1)
	v_mul_f64_e64 v[4:5], |v[2:3]|, s[8:9]
	s_mov_b64 s[8:9], 0xbff921fb54442d18
	v_rndne_f64_e32 v[8:9], v[4:5]
	s_delay_alu instid0(VALU_DEP_1) | instskip(SKIP_1) | instid1(VALU_DEP_2)
	v_fma_f64 v[4:5], v[8:9], s[8:9], |v[2:3]|
	v_mul_f64_e32 v[6:7], 0xbc91a62633145c00, v[8:9]
	v_fmamk_f64 v[14:15], v[8:9], 0xbc91a62633145c00, v[4:5]
	s_delay_alu instid0(VALU_DEP_2) | instskip(NEXT) | instid1(VALU_DEP_1)
	v_add_f64_e32 v[10:11], v[4:5], v[6:7]
	v_add_f64_e64 v[12:13], v[4:5], -v[10:11]
	s_delay_alu instid0(VALU_DEP_3) | instskip(NEXT) | instid1(VALU_DEP_2)
	v_add_f64_e64 v[4:5], v[10:11], -v[14:15]
	v_add_f64_e32 v[10:11], v[12:13], v[6:7]
	v_fmamk_f64 v[6:7], v[8:9], 0x3c91a62633145c00, v[6:7]
	v_cvt_i32_f64_e32 v12, v[8:9]
	s_delay_alu instid0(VALU_DEP_3) | instskip(NEXT) | instid1(VALU_DEP_1)
	v_add_f64_e32 v[4:5], v[4:5], v[10:11]
	v_add_f64_e64 v[4:5], v[4:5], -v[6:7]
	s_delay_alu instid0(VALU_DEP_1) | instskip(NEXT) | instid1(VALU_DEP_1)
	v_fmamk_f64 v[6:7], v[8:9], 0xb97b839a252049c0, v[4:5]
	v_add_f64_e32 v[4:5], v[14:15], v[6:7]
	s_delay_alu instid0(VALU_DEP_1) | instskip(NEXT) | instid1(VALU_DEP_1)
	v_add_f64_e64 v[10:11], v[4:5], -v[14:15]
	v_add_f64_e64 v[6:7], v[6:7], -v[10:11]
.LBB79_45:
	s_or_b32 exec_lo, exec_lo, s1
                                        ; implicit-def: $vgpr13
                                        ; implicit-def: $vgpr8_vgpr9
                                        ; implicit-def: $vgpr10_vgpr11
	s_and_saveexec_b32 s1, s0
	s_delay_alu instid0(SALU_CYCLE_1)
	s_xor_b32 s0, exec_lo, s1
	s_cbranch_execz .LBB79_47
; %bb.46:
	v_ldexp_f64 v[8:9], |v[2:3]|, 0xffffff80
	v_cmp_le_f64_e64 vcc_lo, 0x7b000000, |v[2:3]|
	v_trig_preop_f64 v[10:11], |v[2:3]|, 0
	v_and_b32_e32 v13, 0x7fffffff, v3
	v_trig_preop_f64 v[14:15], |v[2:3]|, 1
	v_trig_preop_f64 v[24:25], |v[2:3]|, 2
	s_mov_b64 s[8:9], 0x3ff921fb54442d18
	s_delay_alu instid0(VALU_DEP_3) | instskip(SKIP_1) | instid1(VALU_DEP_1)
	v_dual_mov_b32 v32, 0 :: v_dual_cndmask_b32 v9, v13, v9
	v_cndmask_b32_e32 v8, v2, v8, vcc_lo
	v_mul_f64_e32 v[16:17], v[10:11], v[8:9]
	v_mul_f64_e32 v[18:19], v[14:15], v[8:9]
	;; [unrolled: 1-line block ×3, first 2 shown]
	s_delay_alu instid0(VALU_DEP_3) | instskip(NEXT) | instid1(VALU_DEP_3)
	v_fma_f64 v[10:11], v[10:11], v[8:9], -v[16:17]
	v_fma_f64 v[14:15], v[14:15], v[8:9], -v[18:19]
	s_delay_alu instid0(VALU_DEP_3) | instskip(NEXT) | instid1(VALU_DEP_3)
	v_fma_f64 v[8:9], v[24:25], v[8:9], -v[30:31]
	v_add_f64_e32 v[20:21], v[18:19], v[10:11]
	s_delay_alu instid0(VALU_DEP_1) | instskip(SKIP_1) | instid1(VALU_DEP_2)
	v_add_f64_e64 v[22:23], v[20:21], -v[18:19]
	v_add_f64_e32 v[28:29], v[16:17], v[20:21]
	v_add_f64_e64 v[26:27], v[20:21], -v[22:23]
	v_add_f64_e64 v[10:11], v[10:11], -v[22:23]
	s_delay_alu instid0(VALU_DEP_3) | instskip(NEXT) | instid1(VALU_DEP_3)
	v_ldexp_f64 v[22:23], v[28:29], -2
	v_add_f64_e64 v[18:19], v[18:19], -v[26:27]
	v_add_f64_e32 v[26:27], v[30:31], v[14:15]
	s_delay_alu instid0(VALU_DEP_3) | instskip(NEXT) | instid1(VALU_DEP_3)
	v_cmp_neq_f64_e64 vcc_lo, 0x7ff00000, |v[22:23]|
	v_add_f64_e32 v[10:11], v[10:11], v[18:19]
	v_fract_f64_e32 v[18:19], v[22:23]
	s_delay_alu instid0(VALU_DEP_1) | instskip(NEXT) | instid1(VALU_DEP_1)
	v_ldexp_f64 v[18:19], v[18:19], 2
	v_dual_add_f64 v[16:17], v[28:29], -v[16:17] :: v_dual_cndmask_b32 v19, 0, v19, vcc_lo
	s_delay_alu instid0(VALU_DEP_1) | instskip(SKIP_1) | instid1(VALU_DEP_1)
	v_dual_add_f64 v[16:17], v[20:21], -v[16:17] :: v_dual_cndmask_b32 v18, 0, v18, vcc_lo
	v_add_f64_e32 v[20:21], v[26:27], v[10:11]
	v_add_f64_e32 v[22:23], v[16:17], v[20:21]
	v_add_f64_e64 v[34:35], v[20:21], -v[26:27]
	s_delay_alu instid0(VALU_DEP_2) | instskip(NEXT) | instid1(VALU_DEP_2)
	v_add_f64_e32 v[28:29], v[22:23], v[18:19]
	v_add_f64_e64 v[48:49], v[20:21], -v[34:35]
	v_add_f64_e64 v[10:11], v[10:11], -v[34:35]
	;; [unrolled: 1-line block ×3, first 2 shown]
	s_delay_alu instid0(VALU_DEP_4) | instskip(SKIP_1) | instid1(VALU_DEP_3)
	v_cmp_gt_f64_e32 vcc_lo, 0, v[28:29]
	v_add_f64_e64 v[28:29], v[26:27], -v[30:31]
	v_add_f64_e64 v[16:17], v[20:21], -v[16:17]
	v_cndmask_b32_e64 v33, 0, 0x40100000, vcc_lo
	s_delay_alu instid0(VALU_DEP_3) | instskip(SKIP_2) | instid1(VALU_DEP_4)
	v_add_f64_e64 v[38:39], v[26:27], -v[28:29]
	v_add_f64_e64 v[14:15], v[14:15], -v[28:29]
	;; [unrolled: 1-line block ×3, first 2 shown]
	v_add_f64_e32 v[18:19], v[18:19], v[32:33]
	s_delay_alu instid0(VALU_DEP_4) | instskip(NEXT) | instid1(VALU_DEP_3)
	v_add_f64_e64 v[28:29], v[30:31], -v[38:39]
	v_add_f64_e32 v[10:11], v[10:11], v[26:27]
	s_delay_alu instid0(VALU_DEP_3) | instskip(NEXT) | instid1(VALU_DEP_3)
	v_add_f64_e32 v[36:37], v[22:23], v[18:19]
	v_add_f64_e32 v[14:15], v[14:15], v[28:29]
	s_delay_alu instid0(VALU_DEP_2) | instskip(NEXT) | instid1(VALU_DEP_2)
	v_cvt_i32_f64_e32 v13, v[36:37]
	v_add_f64_e32 v[10:11], v[14:15], v[10:11]
	s_delay_alu instid0(VALU_DEP_2) | instskip(NEXT) | instid1(VALU_DEP_2)
	v_cvt_f64_i32_e32 v[34:35], v13
	v_add_f64_e32 v[8:9], v[8:9], v[10:11]
	s_delay_alu instid0(VALU_DEP_2) | instskip(NEXT) | instid1(VALU_DEP_2)
	v_add_f64_e64 v[18:19], v[18:19], -v[34:35]
	v_add_f64_e32 v[8:9], v[16:17], v[8:9]
	s_delay_alu instid0(VALU_DEP_2) | instskip(NEXT) | instid1(VALU_DEP_1)
	v_add_f64_e32 v[14:15], v[22:23], v[18:19]
	v_add_f64_e64 v[10:11], v[14:15], -v[18:19]
	v_cmp_le_f64_e32 vcc_lo, 0.5, v[14:15]
	s_delay_alu instid0(VALU_DEP_2) | instskip(SKIP_2) | instid1(VALU_DEP_3)
	v_add_f64_e64 v[10:11], v[22:23], -v[10:11]
	v_cndmask_b32_e64 v33, 0, 0x3ff00000, vcc_lo
	v_add_co_ci_u32_e64 v13, null, 0, v13, vcc_lo
	v_add_f64_e32 v[8:9], v[8:9], v[10:11]
	s_delay_alu instid0(VALU_DEP_3) | instskip(NEXT) | instid1(VALU_DEP_1)
	v_add_f64_e64 v[10:11], v[14:15], -v[32:33]
	v_add_f64_e32 v[14:15], v[10:11], v[8:9]
	s_delay_alu instid0(VALU_DEP_1) | instskip(SKIP_1) | instid1(VALU_DEP_2)
	v_mul_f64_e32 v[16:17], 0x3ff921fb54442d18, v[14:15]
	v_add_f64_e64 v[10:11], v[14:15], -v[10:11]
	v_fma_f64 v[18:19], v[14:15], s[8:9], -v[16:17]
	s_delay_alu instid0(VALU_DEP_2) | instskip(NEXT) | instid1(VALU_DEP_2)
	v_add_f64_e64 v[8:9], v[8:9], -v[10:11]
	v_fmamk_f64 v[10:11], v[14:15], 0x3c91a62633145c07, v[18:19]
	s_delay_alu instid0(VALU_DEP_1) | instskip(NEXT) | instid1(VALU_DEP_1)
	v_fmac_f64_e32 v[10:11], 0x3ff921fb54442d18, v[8:9]
	v_add_f64_e32 v[8:9], v[16:17], v[10:11]
	s_delay_alu instid0(VALU_DEP_1) | instskip(NEXT) | instid1(VALU_DEP_1)
	v_add_f64_e64 v[14:15], v[8:9], -v[16:17]
	v_add_f64_e64 v[10:11], v[10:11], -v[14:15]
	s_and_not1_saveexec_b32 s0, s0
	s_cbranch_execnz .LBB79_48
	s_branch .LBB79_49
.LBB79_47:
	s_and_not1_saveexec_b32 s0, s0
	s_cbranch_execz .LBB79_49
.LBB79_48:
	s_mov_b64 s[8:9], 0x3fe45f306dc9c883
	s_delay_alu instid0(SALU_CYCLE_1) | instskip(SKIP_1) | instid1(VALU_DEP_1)
	v_mul_f64_e64 v[8:9], |v[2:3]|, s[8:9]
	s_mov_b64 s[8:9], 0xbff921fb54442d18
	v_rndne_f64_e32 v[14:15], v[8:9]
	s_delay_alu instid0(VALU_DEP_1) | instskip(SKIP_2) | instid1(VALU_DEP_3)
	v_fma_f64 v[8:9], v[14:15], s[8:9], |v[2:3]|
	v_mul_f64_e32 v[10:11], 0xbc91a62633145c00, v[14:15]
	v_cvt_i32_f64_e32 v13, v[14:15]
	v_fmamk_f64 v[20:21], v[14:15], 0xbc91a62633145c00, v[8:9]
	s_delay_alu instid0(VALU_DEP_3) | instskip(NEXT) | instid1(VALU_DEP_1)
	v_add_f64_e32 v[16:17], v[8:9], v[10:11]
	v_add_f64_e64 v[18:19], v[8:9], -v[16:17]
	s_delay_alu instid0(VALU_DEP_3) | instskip(NEXT) | instid1(VALU_DEP_2)
	v_add_f64_e64 v[8:9], v[16:17], -v[20:21]
	v_add_f64_e32 v[16:17], v[18:19], v[10:11]
	v_fmamk_f64 v[10:11], v[14:15], 0x3c91a62633145c00, v[10:11]
	s_delay_alu instid0(VALU_DEP_2) | instskip(NEXT) | instid1(VALU_DEP_1)
	v_add_f64_e32 v[8:9], v[8:9], v[16:17]
	v_add_f64_e64 v[8:9], v[8:9], -v[10:11]
	s_delay_alu instid0(VALU_DEP_1) | instskip(NEXT) | instid1(VALU_DEP_1)
	v_fmamk_f64 v[10:11], v[14:15], 0xb97b839a252049c0, v[8:9]
	v_add_f64_e32 v[8:9], v[20:21], v[10:11]
	s_delay_alu instid0(VALU_DEP_1) | instskip(NEXT) | instid1(VALU_DEP_1)
	v_add_f64_e64 v[16:17], v[8:9], -v[20:21]
	v_add_f64_e64 v[10:11], v[10:11], -v[16:17]
.LBB79_49:
	s_or_b32 exec_lo, exec_lo, s0
	s_delay_alu instid0(VALU_DEP_1)
	v_mul_f64_e32 v[52:53], 0.5, v[10:11]
	v_cmp_class_f64_e64 s0, v[2:3], 0x1f8
	v_and_b32_e32 v2, 1, v13
	v_mul_f64_e32 v[16:17], v[8:9], v[8:9]
	v_mov_b64_e32 v[18:19], 0xbe5ae600b42fdfa7
	v_mov_b64_e32 v[26:27], 0x3ec71de3796cde01
	;; [unrolled: 1-line block ×3, first 2 shown]
	v_cmp_eq_u32_e64 s1, 0, v2
	v_lshlrev_b32_e32 v2, 30, v13
	v_mul_f64_e32 v[14:15], v[4:5], v[4:5]
	v_mov_b64_e32 v[24:25], 0x3e21eeb69037ab78
	v_mov_b64_e32 v[32:33], 0xbe927e4fa17f65f6
	;; [unrolled: 1-line block ×3, first 2 shown]
	v_xor_b32_e32 v2, v2, v3
	v_mov_b64_e32 v[50:51], 0x3f81111111110bb3
	v_ldexp_f64 v[0:1], v[0:1], 0x3ff
	v_mul_f64_e64 v[54:55], v[8:9], -v[16:17]
	v_fmamk_f64 v[20:21], v[14:15], 0x3de5e0b2f9a43bb8, v[18:19]
	v_fmac_f64_e32 v[18:19], 0x3de5e0b2f9a43bb8, v[16:17]
	v_mul_f64_e32 v[22:23], 0.5, v[14:15]
	v_mul_f64_e64 v[36:37], v[4:5], -v[14:15]
	v_fmamk_f64 v[28:29], v[14:15], 0xbda907db46cc5e42, v[24:25]
	v_fmac_f64_e32 v[24:25], 0xbda907db46cc5e42, v[16:17]
	v_fmaak_f64 v[20:21], v[14:15], v[20:21], 0x3ec71de3796cde01
	s_delay_alu instid0(VALU_DEP_1) | instskip(NEXT) | instid1(VALU_DEP_1)
	v_fmaak_f64 v[20:21], v[14:15], v[20:21], 0xbf2a01a019e83e5c
	v_fmaak_f64 v[20:21], v[14:15], v[20:21], 0x3f81111111110bb3
	v_fmac_f64_e32 v[26:27], v[16:17], v[18:19]
	v_add_f64_e64 v[18:19], -v[22:23], 1.0
	v_fmac_f64_e32 v[32:33], v[16:17], v[24:25]
	s_delay_alu instid0(VALU_DEP_3) | instskip(SKIP_1) | instid1(VALU_DEP_4)
	v_fmac_f64_e32 v[34:35], v[16:17], v[26:27]
	v_mul_f64_e32 v[26:27], 0.5, v[6:7]
	v_add_f64_e64 v[38:39], -v[18:19], 1.0
	s_delay_alu instid0(VALU_DEP_4) | instskip(NEXT) | instid1(VALU_DEP_4)
	v_fmac_f64_e32 v[48:49], v[16:17], v[32:33]
	v_fmac_f64_e32 v[50:51], v[16:17], v[34:35]
	s_delay_alu instid0(VALU_DEP_4) | instskip(NEXT) | instid1(VALU_DEP_4)
	v_fmac_f64_e32 v[26:27], v[36:37], v[20:21]
	v_add_f64_e64 v[20:21], v[38:39], -v[22:23]
	v_mov_b64_e32 v[22:23], 0xbf56c16c16c16967
	v_mul_f64_e32 v[34:35], v[16:17], v[16:17]
	s_delay_alu instid0(VALU_DEP_2)
	v_fmac_f64_e32 v[22:23], v[16:17], v[48:49]
	v_fmac_f64_e32 v[52:53], v[54:55], v[50:51]
	v_fma_f64 v[26:27], v[14:15], v[26:27], -v[6:7]
	v_fma_f64 v[6:7], v[4:5], -v[6:7], v[20:21]
	v_fmaak_f64 v[20:21], v[14:15], v[28:29], 0xbe927e4fa17f65f6
	v_mov_b64_e32 v[28:29], 0x3fa5555555555555
	s_delay_alu instid0(VALU_DEP_2) | instskip(NEXT) | instid1(VALU_DEP_2)
	v_fmaak_f64 v[20:21], v[14:15], v[20:21], 0x3efa01a019f4ec90
	v_fmac_f64_e32 v[28:29], v[16:17], v[22:23]
	s_delay_alu instid0(VALU_DEP_2) | instskip(SKIP_1) | instid1(VALU_DEP_1)
	v_fmaak_f64 v[20:21], v[14:15], v[20:21], 0xbf56c16c16c16967
	v_fmac_f64_e32 v[26:27], 0xbfc5555555555555, v[36:37]
	v_add_f64_e64 v[4:5], v[4:5], -v[26:27]
	v_mul_f64_e32 v[30:31], 0.5, v[16:17]
	s_delay_alu instid0(VALU_DEP_2) | instskip(NEXT) | instid1(VALU_DEP_2)
	v_xor_b32_e32 v5, 0x80000000, v5
	v_add_f64_e64 v[24:25], -v[30:31], 1.0
	s_delay_alu instid0(VALU_DEP_1) | instskip(NEXT) | instid1(VALU_DEP_1)
	v_add_f64_e64 v[32:33], -v[24:25], 1.0
	v_add_f64_e64 v[30:31], v[32:33], -v[30:31]
	v_mul_f64_e32 v[32:33], v[14:15], v[14:15]
	v_fmaak_f64 v[14:15], v[14:15], v[20:21], 0x3fa5555555555555
	s_delay_alu instid0(VALU_DEP_3) | instskip(SKIP_1) | instid1(VALU_DEP_3)
	v_fma_f64 v[22:23], v[8:9], -v[10:11], v[30:31]
	v_fma_f64 v[10:11], v[16:17], v[52:53], -v[10:11]
	v_fmac_f64_e32 v[6:7], v[32:33], v[14:15]
	s_delay_alu instid0(VALU_DEP_3) | instskip(NEXT) | instid1(VALU_DEP_3)
	v_fmac_f64_e32 v[22:23], v[34:35], v[28:29]
	v_fmac_f64_e32 v[10:11], 0xbfc5555555555555, v[54:55]
	s_delay_alu instid0(VALU_DEP_3) | instskip(NEXT) | instid1(VALU_DEP_3)
	v_add_f64_e32 v[6:7], v[18:19], v[6:7]
	v_add_f64_e32 v[14:15], v[24:25], v[22:23]
	s_delay_alu instid0(VALU_DEP_3) | instskip(NEXT) | instid1(VALU_DEP_1)
	v_dual_add_f64 v[8:9], v[8:9], -v[10:11] :: v_dual_bitop2_b32 v10, 1, v12 bitop3:0x40
	v_cmp_eq_u32_e32 vcc_lo, 0, v10
	v_mul_f64_e32 v[10:11], v[0:1], v[0:1]
	v_dual_cndmask_b32 v4, v4, v6, vcc_lo :: v_dual_lshlrev_b32 v6, 30, v12
	v_cndmask_b32_e32 v5, v5, v7, vcc_lo
	s_delay_alu instid0(VALU_DEP_1) | instskip(NEXT) | instid1(VALU_DEP_1)
	v_bitop3_b32 v3, v5, v6, 0x80000000 bitop3:0x78
	v_cndmask_b32_e64 v3, 0x7ff80000, v3, s0
	v_dual_cndmask_b32 v7, v14, v8, s1 :: v_dual_cndmask_b32 v8, v15, v9, s1
	s_delay_alu instid0(VALU_DEP_1) | instskip(NEXT) | instid1(VALU_DEP_2)
	v_cndmask_b32_e64 v6, 0, v7, s0
	v_bitop3_b32 v5, v8, v2, 0x80000000 bitop3:0x78
	v_cndmask_b32_e64 v2, 0, v4, s0
	s_delay_alu instid0(VALU_DEP_2) | instskip(NEXT) | instid1(VALU_DEP_2)
	v_cndmask_b32_e64 v7, 0x7ff80000, v5, s0
	v_mul_f64_e32 v[4:5], v[10:11], v[2:3]
                                        ; implicit-def: $vgpr2_vgpr3
	s_delay_alu instid0(VALU_DEP_2)
	v_mul_f64_e32 v[6:7], v[0:1], v[6:7]
                                        ; implicit-def: $vgpr0_vgpr1
.LBB79_50:
	s_and_not1_saveexec_b32 s8, s2
	s_cbranch_execz .LBB79_60
; %bb.51:
	v_cmp_ngt_f64_e64 s0, 0x41d00000, |v[2:3]|
                                        ; implicit-def: $vgpr12
                                        ; implicit-def: $vgpr4_vgpr5
                                        ; implicit-def: $vgpr6_vgpr7
	s_and_saveexec_b32 s1, s0
	s_delay_alu instid0(SALU_CYCLE_1)
	s_xor_b32 s1, exec_lo, s1
	s_cbranch_execz .LBB79_53
; %bb.52:
	v_ldexp_f64 v[4:5], |v[2:3]|, 0xffffff80
	v_cmp_le_f64_e64 vcc_lo, 0x7b000000, |v[2:3]|
	v_trig_preop_f64 v[6:7], |v[2:3]|, 0
	v_and_b32_e32 v8, 0x7fffffff, v3
	v_trig_preop_f64 v[18:19], |v[2:3]|, 2
	s_mov_b64 s[2:3], 0x3ff921fb54442d18
	s_delay_alu instid0(VALU_DEP_2) | instskip(SKIP_2) | instid1(VALU_DEP_2)
	v_dual_mov_b32 v26, 0 :: v_dual_cndmask_b32 v5, v8, v5
	v_cndmask_b32_e32 v4, v2, v4, vcc_lo
	v_trig_preop_f64 v[8:9], |v[2:3]|, 1
	v_mul_f64_e32 v[10:11], v[6:7], v[4:5]
	v_mul_f64_e32 v[24:25], v[18:19], v[4:5]
	s_delay_alu instid0(VALU_DEP_3) | instskip(NEXT) | instid1(VALU_DEP_3)
	v_mul_f64_e32 v[12:13], v[8:9], v[4:5]
	v_fma_f64 v[6:7], v[6:7], v[4:5], -v[10:11]
	s_delay_alu instid0(VALU_DEP_2) | instskip(NEXT) | instid1(VALU_DEP_4)
	v_fma_f64 v[8:9], v[8:9], v[4:5], -v[12:13]
	v_fma_f64 v[4:5], v[18:19], v[4:5], -v[24:25]
	s_delay_alu instid0(VALU_DEP_3) | instskip(NEXT) | instid1(VALU_DEP_1)
	v_add_f64_e32 v[14:15], v[12:13], v[6:7]
	v_add_f64_e64 v[16:17], v[14:15], -v[12:13]
	v_add_f64_e32 v[22:23], v[10:11], v[14:15]
	s_delay_alu instid0(VALU_DEP_2) | instskip(SKIP_1) | instid1(VALU_DEP_3)
	v_add_f64_e64 v[20:21], v[14:15], -v[16:17]
	v_add_f64_e64 v[6:7], v[6:7], -v[16:17]
	v_ldexp_f64 v[16:17], v[22:23], -2
	s_delay_alu instid0(VALU_DEP_3) | instskip(SKIP_1) | instid1(VALU_DEP_3)
	v_add_f64_e64 v[12:13], v[12:13], -v[20:21]
	v_add_f64_e32 v[20:21], v[24:25], v[8:9]
	v_cmp_neq_f64_e64 vcc_lo, 0x7ff00000, |v[16:17]|
	s_delay_alu instid0(VALU_DEP_3) | instskip(SKIP_1) | instid1(VALU_DEP_1)
	v_add_f64_e32 v[6:7], v[6:7], v[12:13]
	v_fract_f64_e32 v[12:13], v[16:17]
	v_ldexp_f64 v[12:13], v[12:13], 2
	s_delay_alu instid0(VALU_DEP_1) | instskip(NEXT) | instid1(VALU_DEP_1)
	v_dual_add_f64 v[10:11], v[22:23], -v[10:11] :: v_dual_cndmask_b32 v12, 0, v12, vcc_lo
	v_dual_add_f64 v[10:11], v[14:15], -v[10:11] :: v_dual_cndmask_b32 v13, 0, v13, vcc_lo
	v_add_f64_e32 v[14:15], v[20:21], v[6:7]
	s_delay_alu instid0(VALU_DEP_1) | instskip(SKIP_1) | instid1(VALU_DEP_2)
	v_add_f64_e32 v[16:17], v[10:11], v[14:15]
	v_add_f64_e64 v[28:29], v[14:15], -v[20:21]
	v_add_f64_e32 v[22:23], v[16:17], v[12:13]
	s_delay_alu instid0(VALU_DEP_2) | instskip(SKIP_2) | instid1(VALU_DEP_4)
	v_add_f64_e64 v[34:35], v[14:15], -v[28:29]
	v_add_f64_e64 v[6:7], v[6:7], -v[28:29]
	;; [unrolled: 1-line block ×3, first 2 shown]
	v_cmp_gt_f64_e32 vcc_lo, 0, v[22:23]
	v_add_f64_e64 v[22:23], v[20:21], -v[24:25]
	s_delay_alu instid0(VALU_DEP_3) | instskip(SKIP_1) | instid1(VALU_DEP_3)
	v_add_f64_e64 v[10:11], v[14:15], -v[10:11]
	v_cndmask_b32_e64 v27, 0, 0x40100000, vcc_lo
	v_add_f64_e64 v[32:33], v[20:21], -v[22:23]
	v_add_f64_e64 v[8:9], v[8:9], -v[22:23]
	;; [unrolled: 1-line block ×3, first 2 shown]
	s_delay_alu instid0(VALU_DEP_4) | instskip(NEXT) | instid1(VALU_DEP_4)
	v_add_f64_e32 v[12:13], v[12:13], v[26:27]
	v_add_f64_e64 v[22:23], v[24:25], -v[32:33]
	s_delay_alu instid0(VALU_DEP_3) | instskip(NEXT) | instid1(VALU_DEP_3)
	v_add_f64_e32 v[6:7], v[6:7], v[20:21]
	v_add_f64_e32 v[30:31], v[16:17], v[12:13]
	s_delay_alu instid0(VALU_DEP_3) | instskip(NEXT) | instid1(VALU_DEP_2)
	v_add_f64_e32 v[8:9], v[8:9], v[22:23]
	v_cvt_i32_f64_e32 v27, v[30:31]
	s_delay_alu instid0(VALU_DEP_2) | instskip(NEXT) | instid1(VALU_DEP_2)
	v_add_f64_e32 v[6:7], v[8:9], v[6:7]
	v_cvt_f64_i32_e32 v[28:29], v27
	s_delay_alu instid0(VALU_DEP_2) | instskip(NEXT) | instid1(VALU_DEP_2)
	v_add_f64_e32 v[4:5], v[4:5], v[6:7]
	v_add_f64_e64 v[12:13], v[12:13], -v[28:29]
	s_delay_alu instid0(VALU_DEP_2) | instskip(NEXT) | instid1(VALU_DEP_2)
	v_add_f64_e32 v[4:5], v[10:11], v[4:5]
	v_add_f64_e32 v[8:9], v[16:17], v[12:13]
	s_delay_alu instid0(VALU_DEP_1) | instskip(SKIP_1) | instid1(VALU_DEP_2)
	v_add_f64_e64 v[6:7], v[8:9], -v[12:13]
	v_cmp_le_f64_e32 vcc_lo, 0.5, v[8:9]
	v_add_f64_e64 v[6:7], v[16:17], -v[6:7]
	v_add_co_ci_u32_e64 v12, null, 0, v27, vcc_lo
	v_cndmask_b32_e64 v27, 0, 0x3ff00000, vcc_lo
	s_delay_alu instid0(VALU_DEP_3) | instskip(NEXT) | instid1(VALU_DEP_2)
	v_add_f64_e32 v[4:5], v[4:5], v[6:7]
	v_add_f64_e64 v[6:7], v[8:9], -v[26:27]
	s_delay_alu instid0(VALU_DEP_1) | instskip(NEXT) | instid1(VALU_DEP_1)
	v_add_f64_e32 v[8:9], v[6:7], v[4:5]
	v_mul_f64_e32 v[10:11], 0x3ff921fb54442d18, v[8:9]
	v_add_f64_e64 v[6:7], v[8:9], -v[6:7]
	s_delay_alu instid0(VALU_DEP_2) | instskip(NEXT) | instid1(VALU_DEP_2)
	v_fma_f64 v[14:15], v[8:9], s[2:3], -v[10:11]
	v_add_f64_e64 v[4:5], v[4:5], -v[6:7]
	s_delay_alu instid0(VALU_DEP_2) | instskip(NEXT) | instid1(VALU_DEP_1)
	v_fmamk_f64 v[6:7], v[8:9], 0x3c91a62633145c07, v[14:15]
	v_fmac_f64_e32 v[6:7], 0x3ff921fb54442d18, v[4:5]
	s_delay_alu instid0(VALU_DEP_1) | instskip(NEXT) | instid1(VALU_DEP_1)
	v_add_f64_e32 v[4:5], v[10:11], v[6:7]
	v_add_f64_e64 v[8:9], v[4:5], -v[10:11]
	s_delay_alu instid0(VALU_DEP_1)
	v_add_f64_e64 v[6:7], v[6:7], -v[8:9]
	s_and_not1_saveexec_b32 s1, s1
	s_cbranch_execz .LBB79_55
	s_branch .LBB79_54
.LBB79_53:
	s_and_not1_saveexec_b32 s1, s1
	s_cbranch_execz .LBB79_55
.LBB79_54:
	s_mov_b64 s[2:3], 0x3fe45f306dc9c883
	s_delay_alu instid0(SALU_CYCLE_1) | instskip(SKIP_1) | instid1(VALU_DEP_1)
	v_mul_f64_e64 v[4:5], |v[2:3]|, s[2:3]
	s_mov_b64 s[2:3], 0xbff921fb54442d18
	v_rndne_f64_e32 v[8:9], v[4:5]
	s_delay_alu instid0(VALU_DEP_1) | instskip(SKIP_1) | instid1(VALU_DEP_2)
	v_fma_f64 v[4:5], v[8:9], s[2:3], |v[2:3]|
	v_mul_f64_e32 v[6:7], 0xbc91a62633145c00, v[8:9]
	v_fmamk_f64 v[14:15], v[8:9], 0xbc91a62633145c00, v[4:5]
	s_delay_alu instid0(VALU_DEP_2) | instskip(NEXT) | instid1(VALU_DEP_1)
	v_add_f64_e32 v[10:11], v[4:5], v[6:7]
	v_add_f64_e64 v[12:13], v[4:5], -v[10:11]
	s_delay_alu instid0(VALU_DEP_3) | instskip(NEXT) | instid1(VALU_DEP_2)
	v_add_f64_e64 v[4:5], v[10:11], -v[14:15]
	v_add_f64_e32 v[10:11], v[12:13], v[6:7]
	v_fmamk_f64 v[6:7], v[8:9], 0x3c91a62633145c00, v[6:7]
	v_cvt_i32_f64_e32 v12, v[8:9]
	s_delay_alu instid0(VALU_DEP_3) | instskip(NEXT) | instid1(VALU_DEP_1)
	v_add_f64_e32 v[4:5], v[4:5], v[10:11]
	v_add_f64_e64 v[4:5], v[4:5], -v[6:7]
	s_delay_alu instid0(VALU_DEP_1) | instskip(NEXT) | instid1(VALU_DEP_1)
	v_fmamk_f64 v[6:7], v[8:9], 0xb97b839a252049c0, v[4:5]
	v_add_f64_e32 v[4:5], v[14:15], v[6:7]
	s_delay_alu instid0(VALU_DEP_1) | instskip(NEXT) | instid1(VALU_DEP_1)
	v_add_f64_e64 v[10:11], v[4:5], -v[14:15]
	v_add_f64_e64 v[6:7], v[6:7], -v[10:11]
.LBB79_55:
	s_or_b32 exec_lo, exec_lo, s1
                                        ; implicit-def: $vgpr13
                                        ; implicit-def: $vgpr8_vgpr9
                                        ; implicit-def: $vgpr10_vgpr11
	s_and_saveexec_b32 s1, s0
	s_delay_alu instid0(SALU_CYCLE_1)
	s_xor_b32 s0, exec_lo, s1
	s_cbranch_execz .LBB79_57
; %bb.56:
	v_ldexp_f64 v[8:9], |v[2:3]|, 0xffffff80
	v_cmp_le_f64_e64 vcc_lo, 0x7b000000, |v[2:3]|
	v_trig_preop_f64 v[10:11], |v[2:3]|, 0
	v_and_b32_e32 v13, 0x7fffffff, v3
	v_trig_preop_f64 v[14:15], |v[2:3]|, 1
	v_trig_preop_f64 v[24:25], |v[2:3]|, 2
	s_mov_b64 s[2:3], 0x3ff921fb54442d18
	s_delay_alu instid0(VALU_DEP_3) | instskip(SKIP_1) | instid1(VALU_DEP_1)
	v_dual_mov_b32 v32, 0 :: v_dual_cndmask_b32 v9, v13, v9
	v_cndmask_b32_e32 v8, v2, v8, vcc_lo
	v_mul_f64_e32 v[16:17], v[10:11], v[8:9]
	v_mul_f64_e32 v[18:19], v[14:15], v[8:9]
	v_mul_f64_e32 v[30:31], v[24:25], v[8:9]
	s_delay_alu instid0(VALU_DEP_3) | instskip(NEXT) | instid1(VALU_DEP_3)
	v_fma_f64 v[10:11], v[10:11], v[8:9], -v[16:17]
	v_fma_f64 v[14:15], v[14:15], v[8:9], -v[18:19]
	s_delay_alu instid0(VALU_DEP_3) | instskip(NEXT) | instid1(VALU_DEP_3)
	v_fma_f64 v[8:9], v[24:25], v[8:9], -v[30:31]
	v_add_f64_e32 v[20:21], v[18:19], v[10:11]
	s_delay_alu instid0(VALU_DEP_1) | instskip(SKIP_1) | instid1(VALU_DEP_2)
	v_add_f64_e64 v[22:23], v[20:21], -v[18:19]
	v_add_f64_e32 v[28:29], v[16:17], v[20:21]
	v_add_f64_e64 v[26:27], v[20:21], -v[22:23]
	v_add_f64_e64 v[10:11], v[10:11], -v[22:23]
	s_delay_alu instid0(VALU_DEP_3) | instskip(NEXT) | instid1(VALU_DEP_3)
	v_ldexp_f64 v[22:23], v[28:29], -2
	v_add_f64_e64 v[18:19], v[18:19], -v[26:27]
	v_add_f64_e32 v[26:27], v[30:31], v[14:15]
	s_delay_alu instid0(VALU_DEP_3) | instskip(NEXT) | instid1(VALU_DEP_3)
	v_cmp_neq_f64_e64 vcc_lo, 0x7ff00000, |v[22:23]|
	v_add_f64_e32 v[10:11], v[10:11], v[18:19]
	v_fract_f64_e32 v[18:19], v[22:23]
	s_delay_alu instid0(VALU_DEP_1) | instskip(NEXT) | instid1(VALU_DEP_1)
	v_ldexp_f64 v[18:19], v[18:19], 2
	v_dual_add_f64 v[16:17], v[28:29], -v[16:17] :: v_dual_cndmask_b32 v19, 0, v19, vcc_lo
	s_delay_alu instid0(VALU_DEP_1) | instskip(SKIP_1) | instid1(VALU_DEP_1)
	v_dual_add_f64 v[16:17], v[20:21], -v[16:17] :: v_dual_cndmask_b32 v18, 0, v18, vcc_lo
	v_add_f64_e32 v[20:21], v[26:27], v[10:11]
	v_add_f64_e32 v[22:23], v[16:17], v[20:21]
	v_add_f64_e64 v[34:35], v[20:21], -v[26:27]
	s_delay_alu instid0(VALU_DEP_2) | instskip(NEXT) | instid1(VALU_DEP_2)
	v_add_f64_e32 v[28:29], v[22:23], v[18:19]
	v_add_f64_e64 v[48:49], v[20:21], -v[34:35]
	v_add_f64_e64 v[10:11], v[10:11], -v[34:35]
	;; [unrolled: 1-line block ×3, first 2 shown]
	s_delay_alu instid0(VALU_DEP_4) | instskip(SKIP_1) | instid1(VALU_DEP_3)
	v_cmp_gt_f64_e32 vcc_lo, 0, v[28:29]
	v_add_f64_e64 v[28:29], v[26:27], -v[30:31]
	v_add_f64_e64 v[16:17], v[20:21], -v[16:17]
	v_cndmask_b32_e64 v33, 0, 0x40100000, vcc_lo
	s_delay_alu instid0(VALU_DEP_3) | instskip(SKIP_2) | instid1(VALU_DEP_4)
	v_add_f64_e64 v[38:39], v[26:27], -v[28:29]
	v_add_f64_e64 v[14:15], v[14:15], -v[28:29]
	;; [unrolled: 1-line block ×3, first 2 shown]
	v_add_f64_e32 v[18:19], v[18:19], v[32:33]
	s_delay_alu instid0(VALU_DEP_4) | instskip(NEXT) | instid1(VALU_DEP_3)
	v_add_f64_e64 v[28:29], v[30:31], -v[38:39]
	v_add_f64_e32 v[10:11], v[10:11], v[26:27]
	s_delay_alu instid0(VALU_DEP_3) | instskip(NEXT) | instid1(VALU_DEP_3)
	v_add_f64_e32 v[36:37], v[22:23], v[18:19]
	v_add_f64_e32 v[14:15], v[14:15], v[28:29]
	s_delay_alu instid0(VALU_DEP_2) | instskip(NEXT) | instid1(VALU_DEP_2)
	v_cvt_i32_f64_e32 v13, v[36:37]
	v_add_f64_e32 v[10:11], v[14:15], v[10:11]
	s_delay_alu instid0(VALU_DEP_2) | instskip(NEXT) | instid1(VALU_DEP_2)
	v_cvt_f64_i32_e32 v[34:35], v13
	v_add_f64_e32 v[8:9], v[8:9], v[10:11]
	s_delay_alu instid0(VALU_DEP_2) | instskip(NEXT) | instid1(VALU_DEP_2)
	v_add_f64_e64 v[18:19], v[18:19], -v[34:35]
	v_add_f64_e32 v[8:9], v[16:17], v[8:9]
	s_delay_alu instid0(VALU_DEP_2) | instskip(NEXT) | instid1(VALU_DEP_1)
	v_add_f64_e32 v[14:15], v[22:23], v[18:19]
	v_add_f64_e64 v[10:11], v[14:15], -v[18:19]
	v_cmp_le_f64_e32 vcc_lo, 0.5, v[14:15]
	s_delay_alu instid0(VALU_DEP_2) | instskip(SKIP_2) | instid1(VALU_DEP_3)
	v_add_f64_e64 v[10:11], v[22:23], -v[10:11]
	v_cndmask_b32_e64 v33, 0, 0x3ff00000, vcc_lo
	v_add_co_ci_u32_e64 v13, null, 0, v13, vcc_lo
	v_add_f64_e32 v[8:9], v[8:9], v[10:11]
	s_delay_alu instid0(VALU_DEP_3) | instskip(NEXT) | instid1(VALU_DEP_1)
	v_add_f64_e64 v[10:11], v[14:15], -v[32:33]
	v_add_f64_e32 v[14:15], v[10:11], v[8:9]
	s_delay_alu instid0(VALU_DEP_1) | instskip(SKIP_1) | instid1(VALU_DEP_2)
	v_mul_f64_e32 v[16:17], 0x3ff921fb54442d18, v[14:15]
	v_add_f64_e64 v[10:11], v[14:15], -v[10:11]
	v_fma_f64 v[18:19], v[14:15], s[2:3], -v[16:17]
	s_delay_alu instid0(VALU_DEP_2) | instskip(NEXT) | instid1(VALU_DEP_2)
	v_add_f64_e64 v[8:9], v[8:9], -v[10:11]
	v_fmamk_f64 v[10:11], v[14:15], 0x3c91a62633145c07, v[18:19]
	s_delay_alu instid0(VALU_DEP_1) | instskip(NEXT) | instid1(VALU_DEP_1)
	v_fmac_f64_e32 v[10:11], 0x3ff921fb54442d18, v[8:9]
	v_add_f64_e32 v[8:9], v[16:17], v[10:11]
	s_delay_alu instid0(VALU_DEP_1) | instskip(NEXT) | instid1(VALU_DEP_1)
	v_add_f64_e64 v[14:15], v[8:9], -v[16:17]
	v_add_f64_e64 v[10:11], v[10:11], -v[14:15]
	s_and_not1_saveexec_b32 s0, s0
	s_cbranch_execnz .LBB79_58
	s_branch .LBB79_59
.LBB79_57:
	s_and_not1_saveexec_b32 s0, s0
	s_cbranch_execz .LBB79_59
.LBB79_58:
	s_mov_b64 s[2:3], 0x3fe45f306dc9c883
	s_delay_alu instid0(SALU_CYCLE_1) | instskip(SKIP_1) | instid1(VALU_DEP_1)
	v_mul_f64_e64 v[8:9], |v[2:3]|, s[2:3]
	s_mov_b64 s[2:3], 0xbff921fb54442d18
	v_rndne_f64_e32 v[14:15], v[8:9]
	s_delay_alu instid0(VALU_DEP_1) | instskip(SKIP_2) | instid1(VALU_DEP_3)
	v_fma_f64 v[8:9], v[14:15], s[2:3], |v[2:3]|
	v_mul_f64_e32 v[10:11], 0xbc91a62633145c00, v[14:15]
	v_cvt_i32_f64_e32 v13, v[14:15]
	v_fmamk_f64 v[20:21], v[14:15], 0xbc91a62633145c00, v[8:9]
	s_delay_alu instid0(VALU_DEP_3) | instskip(NEXT) | instid1(VALU_DEP_1)
	v_add_f64_e32 v[16:17], v[8:9], v[10:11]
	v_add_f64_e64 v[18:19], v[8:9], -v[16:17]
	s_delay_alu instid0(VALU_DEP_3) | instskip(NEXT) | instid1(VALU_DEP_2)
	v_add_f64_e64 v[8:9], v[16:17], -v[20:21]
	v_add_f64_e32 v[16:17], v[18:19], v[10:11]
	v_fmamk_f64 v[10:11], v[14:15], 0x3c91a62633145c00, v[10:11]
	s_delay_alu instid0(VALU_DEP_2) | instskip(NEXT) | instid1(VALU_DEP_1)
	v_add_f64_e32 v[8:9], v[8:9], v[16:17]
	v_add_f64_e64 v[8:9], v[8:9], -v[10:11]
	s_delay_alu instid0(VALU_DEP_1) | instskip(NEXT) | instid1(VALU_DEP_1)
	v_fmamk_f64 v[10:11], v[14:15], 0xb97b839a252049c0, v[8:9]
	v_add_f64_e32 v[8:9], v[20:21], v[10:11]
	s_delay_alu instid0(VALU_DEP_1) | instskip(NEXT) | instid1(VALU_DEP_1)
	v_add_f64_e64 v[16:17], v[8:9], -v[20:21]
	v_add_f64_e64 v[10:11], v[10:11], -v[16:17]
.LBB79_59:
	s_or_b32 exec_lo, exec_lo, s0
	s_mov_b64 s[0:1], 0xc0937be319ba0da4
	v_mul_f64_e32 v[16:17], v[4:5], v[4:5]
	v_add_f64_e64 v[14:15], |v[0:1]|, s[0:1]
	v_mov_b64_e32 v[20:21], 0xbe5ae600b42fdfa7
	v_mov_b64_e32 v[28:29], 0x3e21eeb69037ab78
	;; [unrolled: 1-line block ×5, first 2 shown]
	s_mov_b64 s[0:1], 0x3e5ade156a5dcb37
	v_mov_b64_e32 v[66:67], 0x3f81111111110bb3
	v_mul_f64_e32 v[68:69], 0.5, v[10:11]
	v_mov_b64_e32 v[64:65], 0x3efa01a019f4ec90
	v_fmamk_f64 v[24:25], v[16:17], 0x3de5e0b2f9a43bb8, v[20:21]
	v_cmp_ngt_f64_e64 s2, 0xc090cc00, v[14:15]
	v_mul_f64_e32 v[18:19], v[8:9], v[8:9]
	v_mul_f64_e32 v[22:23], 0x3ff71547652b82fe, v[14:15]
	v_mul_f64_e32 v[26:27], 0.5, v[16:17]
	v_fmamk_f64 v[34:35], v[16:17], 0xbda907db46cc5e42, v[28:29]
	v_fmaak_f64 v[24:25], v[16:17], v[24:25], 0x3ec71de3796cde01
	s_delay_alu instid0(VALU_DEP_1) | instskip(NEXT) | instid1(VALU_DEP_1)
	v_fmaak_f64 v[24:25], v[16:17], v[24:25], 0xbf2a01a019e83e5c
	v_fmaak_f64 v[24:25], v[16:17], v[24:25], 0x3f81111111110bb3
	v_fmac_f64_e32 v[20:21], 0x3de5e0b2f9a43bb8, v[18:19]
	v_rndne_f64_e32 v[22:23], v[22:23]
	v_fmac_f64_e32 v[28:29], 0xbda907db46cc5e42, v[18:19]
	s_delay_alu instid0(VALU_DEP_3) | instskip(SKIP_1) | instid1(VALU_DEP_4)
	v_fmac_f64_e32 v[30:31], v[18:19], v[20:21]
	v_add_f64_e64 v[20:21], -v[26:27], 1.0
	v_fmamk_f64 v[48:49], v[22:23], 0xbfe62e42fefa39ef, v[14:15]
	s_delay_alu instid0(VALU_DEP_4) | instskip(SKIP_1) | instid1(VALU_DEP_3)
	v_fmac_f64_e32 v[36:37], v[18:19], v[28:29]
	v_cvt_i32_f64_e32 v0, v[22:23]
	v_fmamk_f64 v[28:29], v[22:23], 0xbc7abc9e3b39803f, v[48:49]
	v_mul_f64_e64 v[48:49], v[4:5], -v[16:17]
	s_delay_alu instid0(VALU_DEP_2) | instskip(SKIP_2) | instid1(VALU_DEP_3)
	v_fmaak_f64 v[54:55], s[0:1], v[28:29], 0x3e928af3fca7ab0c
	v_cmp_class_f64_e64 s0, v[2:3], 0x1f8
	v_cmp_nlt_f64_e64 s1, 0x40900000, v[14:15]
	v_fmaak_f64 v[54:55], v[28:29], v[54:55], 0x3ec71dee623fde64
	s_delay_alu instid0(VALU_DEP_1) | instskip(SKIP_3) | instid1(VALU_DEP_4)
	v_fmaak_f64 v[54:55], v[28:29], v[54:55], 0x3efa01997c89e6b0
	v_fmac_f64_e32 v[38:39], v[18:19], v[30:31]
	v_mul_f64_e32 v[30:31], 0.5, v[6:7]
	v_add_f64_e64 v[52:53], -v[20:21], 1.0
	v_fmaak_f64 v[54:55], v[28:29], v[54:55], 0x3f2a01a014761f6e
	s_delay_alu instid0(VALU_DEP_4) | instskip(NEXT) | instid1(VALU_DEP_4)
	v_fmac_f64_e32 v[66:67], v[18:19], v[38:39]
	v_fmac_f64_e32 v[30:31], v[48:49], v[24:25]
	s_delay_alu instid0(VALU_DEP_3) | instskip(SKIP_2) | instid1(VALU_DEP_3)
	v_fmaak_f64 v[24:25], v[28:29], v[54:55], 0x3f56c16c1852b7b0
	v_add_f64_e64 v[26:27], v[52:53], -v[26:27]
	v_mul_f64_e32 v[38:39], v[16:17], v[16:17]
	v_fmaak_f64 v[24:25], v[28:29], v[24:25], 0x3f81111111122322
	s_delay_alu instid0(VALU_DEP_1) | instskip(NEXT) | instid1(VALU_DEP_1)
	v_fmaak_f64 v[24:25], v[28:29], v[24:25], 0x3fa55555555502a1
	v_fmaak_f64 v[24:25], v[28:29], v[24:25], 0x3fc5555555555511
	s_delay_alu instid0(VALU_DEP_1) | instskip(SKIP_3) | instid1(VALU_DEP_4)
	v_fmaak_f64 v[24:25], v[28:29], v[24:25], 0x3fe000000000000b
	v_fma_f64 v[30:31], v[16:17], v[30:31], -v[6:7]
	v_fma_f64 v[6:7], v[4:5], -v[6:7], v[26:27]
	v_fmaak_f64 v[26:27], v[16:17], v[34:35], 0xbe927e4fa17f65f6
	v_fma_f64 v[24:25], v[28:29], v[24:25], 1.0
	v_mov_b64_e32 v[34:35], 0x3fa5555555555555
	s_delay_alu instid0(VALU_DEP_3) | instskip(NEXT) | instid1(VALU_DEP_1)
	v_fmaak_f64 v[26:27], v[16:17], v[26:27], 0x3efa01a019f4ec90
	v_fmaak_f64 v[26:27], v[16:17], v[26:27], 0xbf56c16c16c16967
	s_delay_alu instid0(VALU_DEP_1) | instskip(SKIP_1) | instid1(VALU_DEP_2)
	v_fmaak_f64 v[16:17], v[16:17], v[26:27], 0x3fa5555555555555
	v_fmac_f64_e32 v[30:31], 0xbfc5555555555555, v[48:49]
	v_fmac_f64_e32 v[6:7], v[38:39], v[16:17]
	v_fma_f64 v[16:17], v[28:29], v[24:25], 1.0
	s_delay_alu instid0(VALU_DEP_3) | instskip(NEXT) | instid1(VALU_DEP_3)
	v_add_f64_e64 v[4:5], v[4:5], -v[30:31]
	v_add_f64_e32 v[6:7], v[20:21], v[6:7]
	s_delay_alu instid0(VALU_DEP_3) | instskip(SKIP_1) | instid1(VALU_DEP_1)
	v_ldexp_f64 v[16:17], v[16:17], v0
	v_and_b32_e32 v0, 1, v12
	v_cmp_eq_u32_e32 vcc_lo, 0, v0
	s_delay_alu instid0(VALU_DEP_4) | instskip(NEXT) | instid1(VALU_DEP_4)
	v_dual_cndmask_b32 v0, v4, v6, vcc_lo :: v_dual_bitop2_b32 v4, 1, v13 bitop3:0x40
	v_cndmask_b32_e64 v2, 0x7ff00000, v17, s1
	v_lshlrev_b32_e32 v6, 30, v13
	s_and_b32 s1, s2, s1
	s_delay_alu instid0(VALU_DEP_3) | instskip(NEXT) | instid1(VALU_DEP_3)
	v_cmp_eq_u32_e64 s3, 0, v4
	v_cndmask_b32_e64 v13, 0, v2, s2
	v_mul_f64_e32 v[32:33], 0.5, v[18:19]
	v_mul_f64_e64 v[70:71], v[8:9], -v[18:19]
	v_fmac_f64_e32 v[64:65], v[18:19], v[36:37]
	v_mov_b64_e32 v[36:37], 0xbf56c16c16c16967
	v_mul_f64_e32 v[52:53], v[18:19], v[18:19]
	v_dual_cndmask_b32 v2, 0, v0, s0 :: v_dual_bitop2_b32 v3, v6, v3 bitop3:0x14
	v_add_f64_e64 v[50:51], -v[32:33], 1.0
	v_fmac_f64_e32 v[68:69], v[70:71], v[66:67]
	v_fmac_f64_e32 v[36:37], v[18:19], v[64:65]
	s_delay_alu instid0(VALU_DEP_3) | instskip(NEXT) | instid1(VALU_DEP_2)
	v_add_f64_e64 v[80:81], -v[50:51], 1.0
	v_fmac_f64_e32 v[34:35], v[18:19], v[36:37]
	s_delay_alu instid0(VALU_DEP_2) | instskip(NEXT) | instid1(VALU_DEP_1)
	v_add_f64_e64 v[32:33], v[80:81], -v[32:33]
	v_fma_f64 v[26:27], v[8:9], -v[10:11], v[32:33]
	v_fma_f64 v[10:11], v[18:19], v[68:69], -v[10:11]
	s_delay_alu instid0(VALU_DEP_2) | instskip(NEXT) | instid1(VALU_DEP_2)
	v_fmac_f64_e32 v[26:27], v[52:53], v[34:35]
	v_fmac_f64_e32 v[10:11], 0xbfc5555555555555, v[70:71]
	s_delay_alu instid0(VALU_DEP_2) | instskip(NEXT) | instid1(VALU_DEP_2)
	v_add_f64_e32 v[18:19], v[50:51], v[26:27]
	v_add_f64_e64 v[8:9], v[8:9], -v[10:11]
	s_delay_alu instid0(VALU_DEP_1) | instskip(SKIP_3) | instid1(VALU_DEP_3)
	v_dual_cndmask_b32 v6, v19, v9, s3 :: v_dual_cndmask_b32 v4, v18, v8, s3
	s_mov_b32 s3, 0xfffff
	v_cndmask_b32_e64 v8, 0, v16, s1
	v_and_or_b32 v9, v13, s3, 0x7fe00000
	v_bitop3_b32 v0, v6, v3, 0x80000000 bitop3:0x78
	v_cndmask_b32_e64 v10, 0, v4, s0
	v_xor_b32_e32 v4, 0x80000000, v5
	v_dual_mov_b32 v6, 0 :: v_dual_lshlrev_b32 v5, 30, v12
	s_delay_alu instid0(VALU_DEP_4) | instskip(NEXT) | instid1(VALU_DEP_3)
	v_cndmask_b32_e64 v11, 0x7ff80000, v0, s0
	v_dual_lshrrev_b32 v0, 20, v13 :: v_dual_cndmask_b32 v4, v4, v7, vcc_lo
	s_delay_alu instid0(VALU_DEP_2) | instskip(NEXT) | instid1(VALU_DEP_2)
	v_mul_f64_e32 v[10:11], v[8:9], v[10:11]
	v_add_nc_u32_e32 v0, 0xffffff08, v0
	s_delay_alu instid0(VALU_DEP_3) | instskip(NEXT) | instid1(VALU_DEP_2)
	v_bitop3_b32 v4, v4, v5, 0x80000000 bitop3:0x78
	v_lshrrev_b16 v3, 15, v0
	s_delay_alu instid0(VALU_DEP_1) | instskip(NEXT) | instid1(VALU_DEP_1)
	v_add_nc_u16 v3, v0, v3
	v_ashrrev_i16 v3, 1, v3
	s_delay_alu instid0(VALU_DEP_1) | instskip(SKIP_2) | instid1(VALU_DEP_2)
	v_bfe_i32 v12, v3, 0, 16
	v_cndmask_b32_e64 v3, 0x7ff80000, v4, s0
	s_brev_b32 s0, -2
	v_lshl_add_u32 v7, v12, 20, 0x3ff00000
	s_delay_alu instid0(VALU_DEP_2) | instskip(SKIP_1) | instid1(VALU_DEP_3)
	v_mul_f64_e32 v[2:3], v[8:9], v[2:3]
	v_dual_sub_nc_u32 v0, v0, v12 :: v_dual_mov_b32 v8, v6
	v_mul_f64_e32 v[4:5], v[10:11], v[6:7]
	s_delay_alu instid0(VALU_DEP_2) | instskip(NEXT) | instid1(VALU_DEP_4)
	v_lshl_add_u32 v9, v0, 20, 0x3ff00000
	v_mul_f64_e32 v[2:3], v[2:3], v[6:7]
	v_bfi_b32 v7, s0, 0x3ff00000, v1
	s_delay_alu instid0(VALU_DEP_3) | instskip(NEXT) | instid1(VALU_DEP_3)
	v_mul_f64_e32 v[10:11], v[4:5], v[8:9]
	v_mul_f64_e32 v[4:5], v[2:3], v[8:9]
	s_delay_alu instid0(VALU_DEP_2)
	v_mul_f64_e32 v[6:7], v[6:7], v[10:11]
.LBB79_60:
	s_or_b32 exec_lo, exec_lo, s8
                                        ; implicit-def: $vgpr0_vgpr1
                                        ; implicit-def: $vgpr2_vgpr3
.LBB79_61:
	s_and_not1_saveexec_b32 s2, s7
	s_cbranch_execz .LBB79_71
; %bb.62:
	v_cmp_ngt_f64_e64 s0, 0x41d00000, |v[2:3]|
                                        ; implicit-def: $vgpr12
                                        ; implicit-def: $vgpr4_vgpr5
                                        ; implicit-def: $vgpr6_vgpr7
	s_and_saveexec_b32 s1, s0
	s_delay_alu instid0(SALU_CYCLE_1)
	s_xor_b32 s1, exec_lo, s1
	s_cbranch_execz .LBB79_64
; %bb.63:
	v_ldexp_f64 v[4:5], |v[2:3]|, 0xffffff80
	v_cmp_le_f64_e64 vcc_lo, 0x7b000000, |v[2:3]|
	v_trig_preop_f64 v[6:7], |v[2:3]|, 0
	v_and_b32_e32 v8, 0x7fffffff, v3
	v_trig_preop_f64 v[18:19], |v[2:3]|, 2
	s_mov_b64 s[8:9], 0x3ff921fb54442d18
	s_delay_alu instid0(VALU_DEP_2) | instskip(SKIP_2) | instid1(VALU_DEP_2)
	v_dual_mov_b32 v26, 0 :: v_dual_cndmask_b32 v5, v8, v5
	v_cndmask_b32_e32 v4, v2, v4, vcc_lo
	v_trig_preop_f64 v[8:9], |v[2:3]|, 1
	v_mul_f64_e32 v[10:11], v[6:7], v[4:5]
	v_mul_f64_e32 v[24:25], v[18:19], v[4:5]
	s_delay_alu instid0(VALU_DEP_3) | instskip(NEXT) | instid1(VALU_DEP_3)
	v_mul_f64_e32 v[12:13], v[8:9], v[4:5]
	v_fma_f64 v[6:7], v[6:7], v[4:5], -v[10:11]
	s_delay_alu instid0(VALU_DEP_2) | instskip(NEXT) | instid1(VALU_DEP_4)
	v_fma_f64 v[8:9], v[8:9], v[4:5], -v[12:13]
	v_fma_f64 v[4:5], v[18:19], v[4:5], -v[24:25]
	s_delay_alu instid0(VALU_DEP_3) | instskip(NEXT) | instid1(VALU_DEP_1)
	v_add_f64_e32 v[14:15], v[12:13], v[6:7]
	v_add_f64_e64 v[16:17], v[14:15], -v[12:13]
	v_add_f64_e32 v[22:23], v[10:11], v[14:15]
	s_delay_alu instid0(VALU_DEP_2) | instskip(SKIP_1) | instid1(VALU_DEP_3)
	v_add_f64_e64 v[20:21], v[14:15], -v[16:17]
	v_add_f64_e64 v[6:7], v[6:7], -v[16:17]
	v_ldexp_f64 v[16:17], v[22:23], -2
	s_delay_alu instid0(VALU_DEP_3) | instskip(SKIP_1) | instid1(VALU_DEP_3)
	v_add_f64_e64 v[12:13], v[12:13], -v[20:21]
	v_add_f64_e32 v[20:21], v[24:25], v[8:9]
	v_cmp_neq_f64_e64 vcc_lo, 0x7ff00000, |v[16:17]|
	s_delay_alu instid0(VALU_DEP_3) | instskip(SKIP_1) | instid1(VALU_DEP_1)
	v_add_f64_e32 v[6:7], v[6:7], v[12:13]
	v_fract_f64_e32 v[12:13], v[16:17]
	v_ldexp_f64 v[12:13], v[12:13], 2
	s_delay_alu instid0(VALU_DEP_1) | instskip(NEXT) | instid1(VALU_DEP_1)
	v_dual_add_f64 v[10:11], v[22:23], -v[10:11] :: v_dual_cndmask_b32 v12, 0, v12, vcc_lo
	v_dual_add_f64 v[10:11], v[14:15], -v[10:11] :: v_dual_cndmask_b32 v13, 0, v13, vcc_lo
	v_add_f64_e32 v[14:15], v[20:21], v[6:7]
	s_delay_alu instid0(VALU_DEP_1) | instskip(SKIP_1) | instid1(VALU_DEP_2)
	v_add_f64_e32 v[16:17], v[10:11], v[14:15]
	v_add_f64_e64 v[28:29], v[14:15], -v[20:21]
	v_add_f64_e32 v[22:23], v[16:17], v[12:13]
	s_delay_alu instid0(VALU_DEP_2) | instskip(SKIP_2) | instid1(VALU_DEP_4)
	v_add_f64_e64 v[34:35], v[14:15], -v[28:29]
	v_add_f64_e64 v[6:7], v[6:7], -v[28:29]
	;; [unrolled: 1-line block ×3, first 2 shown]
	v_cmp_gt_f64_e32 vcc_lo, 0, v[22:23]
	v_add_f64_e64 v[22:23], v[20:21], -v[24:25]
	s_delay_alu instid0(VALU_DEP_3) | instskip(SKIP_1) | instid1(VALU_DEP_3)
	v_add_f64_e64 v[10:11], v[14:15], -v[10:11]
	v_cndmask_b32_e64 v27, 0, 0x40100000, vcc_lo
	v_add_f64_e64 v[32:33], v[20:21], -v[22:23]
	v_add_f64_e64 v[8:9], v[8:9], -v[22:23]
	;; [unrolled: 1-line block ×3, first 2 shown]
	s_delay_alu instid0(VALU_DEP_4) | instskip(NEXT) | instid1(VALU_DEP_4)
	v_add_f64_e32 v[12:13], v[12:13], v[26:27]
	v_add_f64_e64 v[22:23], v[24:25], -v[32:33]
	s_delay_alu instid0(VALU_DEP_3) | instskip(NEXT) | instid1(VALU_DEP_3)
	v_add_f64_e32 v[6:7], v[6:7], v[20:21]
	v_add_f64_e32 v[30:31], v[16:17], v[12:13]
	s_delay_alu instid0(VALU_DEP_3) | instskip(NEXT) | instid1(VALU_DEP_2)
	v_add_f64_e32 v[8:9], v[8:9], v[22:23]
	v_cvt_i32_f64_e32 v27, v[30:31]
	s_delay_alu instid0(VALU_DEP_2) | instskip(NEXT) | instid1(VALU_DEP_2)
	v_add_f64_e32 v[6:7], v[8:9], v[6:7]
	v_cvt_f64_i32_e32 v[28:29], v27
	s_delay_alu instid0(VALU_DEP_2) | instskip(NEXT) | instid1(VALU_DEP_2)
	v_add_f64_e32 v[4:5], v[4:5], v[6:7]
	v_add_f64_e64 v[12:13], v[12:13], -v[28:29]
	s_delay_alu instid0(VALU_DEP_2) | instskip(NEXT) | instid1(VALU_DEP_2)
	v_add_f64_e32 v[4:5], v[10:11], v[4:5]
	v_add_f64_e32 v[8:9], v[16:17], v[12:13]
	s_delay_alu instid0(VALU_DEP_1) | instskip(SKIP_1) | instid1(VALU_DEP_2)
	v_add_f64_e64 v[6:7], v[8:9], -v[12:13]
	v_cmp_le_f64_e32 vcc_lo, 0.5, v[8:9]
	v_add_f64_e64 v[6:7], v[16:17], -v[6:7]
	v_add_co_ci_u32_e64 v12, null, 0, v27, vcc_lo
	v_cndmask_b32_e64 v27, 0, 0x3ff00000, vcc_lo
	s_delay_alu instid0(VALU_DEP_3) | instskip(NEXT) | instid1(VALU_DEP_2)
	v_add_f64_e32 v[4:5], v[4:5], v[6:7]
	v_add_f64_e64 v[6:7], v[8:9], -v[26:27]
	s_delay_alu instid0(VALU_DEP_1) | instskip(NEXT) | instid1(VALU_DEP_1)
	v_add_f64_e32 v[8:9], v[6:7], v[4:5]
	v_mul_f64_e32 v[10:11], 0x3ff921fb54442d18, v[8:9]
	v_add_f64_e64 v[6:7], v[8:9], -v[6:7]
	s_delay_alu instid0(VALU_DEP_2) | instskip(NEXT) | instid1(VALU_DEP_2)
	v_fma_f64 v[14:15], v[8:9], s[8:9], -v[10:11]
	v_add_f64_e64 v[4:5], v[4:5], -v[6:7]
	s_delay_alu instid0(VALU_DEP_2) | instskip(NEXT) | instid1(VALU_DEP_1)
	v_fmamk_f64 v[6:7], v[8:9], 0x3c91a62633145c07, v[14:15]
	v_fmac_f64_e32 v[6:7], 0x3ff921fb54442d18, v[4:5]
	s_delay_alu instid0(VALU_DEP_1) | instskip(NEXT) | instid1(VALU_DEP_1)
	v_add_f64_e32 v[4:5], v[10:11], v[6:7]
	v_add_f64_e64 v[8:9], v[4:5], -v[10:11]
	s_delay_alu instid0(VALU_DEP_1)
	v_add_f64_e64 v[6:7], v[6:7], -v[8:9]
	s_and_not1_saveexec_b32 s1, s1
	s_cbranch_execz .LBB79_66
	s_branch .LBB79_65
.LBB79_64:
	s_and_not1_saveexec_b32 s1, s1
	s_cbranch_execz .LBB79_66
.LBB79_65:
	s_mov_b64 s[8:9], 0x3fe45f306dc9c883
	s_delay_alu instid0(SALU_CYCLE_1) | instskip(SKIP_1) | instid1(VALU_DEP_1)
	v_mul_f64_e64 v[4:5], |v[2:3]|, s[8:9]
	s_mov_b64 s[8:9], 0xbff921fb54442d18
	v_rndne_f64_e32 v[8:9], v[4:5]
	s_delay_alu instid0(VALU_DEP_1) | instskip(SKIP_1) | instid1(VALU_DEP_2)
	v_fma_f64 v[4:5], v[8:9], s[8:9], |v[2:3]|
	v_mul_f64_e32 v[6:7], 0xbc91a62633145c00, v[8:9]
	v_fmamk_f64 v[14:15], v[8:9], 0xbc91a62633145c00, v[4:5]
	s_delay_alu instid0(VALU_DEP_2) | instskip(NEXT) | instid1(VALU_DEP_1)
	v_add_f64_e32 v[10:11], v[4:5], v[6:7]
	v_add_f64_e64 v[12:13], v[4:5], -v[10:11]
	s_delay_alu instid0(VALU_DEP_3) | instskip(NEXT) | instid1(VALU_DEP_2)
	v_add_f64_e64 v[4:5], v[10:11], -v[14:15]
	v_add_f64_e32 v[10:11], v[12:13], v[6:7]
	v_fmamk_f64 v[6:7], v[8:9], 0x3c91a62633145c00, v[6:7]
	v_cvt_i32_f64_e32 v12, v[8:9]
	s_delay_alu instid0(VALU_DEP_3) | instskip(NEXT) | instid1(VALU_DEP_1)
	v_add_f64_e32 v[4:5], v[4:5], v[10:11]
	v_add_f64_e64 v[4:5], v[4:5], -v[6:7]
	s_delay_alu instid0(VALU_DEP_1) | instskip(NEXT) | instid1(VALU_DEP_1)
	v_fmamk_f64 v[6:7], v[8:9], 0xb97b839a252049c0, v[4:5]
	v_add_f64_e32 v[4:5], v[14:15], v[6:7]
	s_delay_alu instid0(VALU_DEP_1) | instskip(NEXT) | instid1(VALU_DEP_1)
	v_add_f64_e64 v[10:11], v[4:5], -v[14:15]
	v_add_f64_e64 v[6:7], v[6:7], -v[10:11]
.LBB79_66:
	s_or_b32 exec_lo, exec_lo, s1
                                        ; implicit-def: $vgpr13
                                        ; implicit-def: $vgpr8_vgpr9
                                        ; implicit-def: $vgpr10_vgpr11
	s_and_saveexec_b32 s1, s0
	s_delay_alu instid0(SALU_CYCLE_1)
	s_xor_b32 s0, exec_lo, s1
	s_cbranch_execz .LBB79_68
; %bb.67:
	v_ldexp_f64 v[8:9], |v[2:3]|, 0xffffff80
	v_cmp_le_f64_e64 vcc_lo, 0x7b000000, |v[2:3]|
	v_trig_preop_f64 v[10:11], |v[2:3]|, 0
	v_and_b32_e32 v13, 0x7fffffff, v3
	v_trig_preop_f64 v[14:15], |v[2:3]|, 1
	v_trig_preop_f64 v[24:25], |v[2:3]|, 2
	s_mov_b64 s[8:9], 0x3ff921fb54442d18
	s_delay_alu instid0(VALU_DEP_3) | instskip(SKIP_1) | instid1(VALU_DEP_1)
	v_dual_mov_b32 v32, 0 :: v_dual_cndmask_b32 v9, v13, v9
	v_cndmask_b32_e32 v8, v2, v8, vcc_lo
	v_mul_f64_e32 v[16:17], v[10:11], v[8:9]
	v_mul_f64_e32 v[18:19], v[14:15], v[8:9]
	;; [unrolled: 1-line block ×3, first 2 shown]
	s_delay_alu instid0(VALU_DEP_3) | instskip(NEXT) | instid1(VALU_DEP_3)
	v_fma_f64 v[10:11], v[10:11], v[8:9], -v[16:17]
	v_fma_f64 v[14:15], v[14:15], v[8:9], -v[18:19]
	s_delay_alu instid0(VALU_DEP_3) | instskip(NEXT) | instid1(VALU_DEP_3)
	v_fma_f64 v[8:9], v[24:25], v[8:9], -v[30:31]
	v_add_f64_e32 v[20:21], v[18:19], v[10:11]
	s_delay_alu instid0(VALU_DEP_1) | instskip(SKIP_1) | instid1(VALU_DEP_2)
	v_add_f64_e64 v[22:23], v[20:21], -v[18:19]
	v_add_f64_e32 v[28:29], v[16:17], v[20:21]
	v_add_f64_e64 v[26:27], v[20:21], -v[22:23]
	v_add_f64_e64 v[10:11], v[10:11], -v[22:23]
	s_delay_alu instid0(VALU_DEP_3) | instskip(NEXT) | instid1(VALU_DEP_3)
	v_ldexp_f64 v[22:23], v[28:29], -2
	v_add_f64_e64 v[18:19], v[18:19], -v[26:27]
	v_add_f64_e32 v[26:27], v[30:31], v[14:15]
	s_delay_alu instid0(VALU_DEP_3) | instskip(NEXT) | instid1(VALU_DEP_3)
	v_cmp_neq_f64_e64 vcc_lo, 0x7ff00000, |v[22:23]|
	v_add_f64_e32 v[10:11], v[10:11], v[18:19]
	v_fract_f64_e32 v[18:19], v[22:23]
	s_delay_alu instid0(VALU_DEP_1) | instskip(NEXT) | instid1(VALU_DEP_1)
	v_ldexp_f64 v[18:19], v[18:19], 2
	v_dual_add_f64 v[16:17], v[28:29], -v[16:17] :: v_dual_cndmask_b32 v19, 0, v19, vcc_lo
	s_delay_alu instid0(VALU_DEP_1) | instskip(SKIP_1) | instid1(VALU_DEP_1)
	v_dual_add_f64 v[16:17], v[20:21], -v[16:17] :: v_dual_cndmask_b32 v18, 0, v18, vcc_lo
	v_add_f64_e32 v[20:21], v[26:27], v[10:11]
	v_add_f64_e32 v[22:23], v[16:17], v[20:21]
	v_add_f64_e64 v[34:35], v[20:21], -v[26:27]
	s_delay_alu instid0(VALU_DEP_2) | instskip(NEXT) | instid1(VALU_DEP_2)
	v_add_f64_e32 v[28:29], v[22:23], v[18:19]
	v_add_f64_e64 v[48:49], v[20:21], -v[34:35]
	v_add_f64_e64 v[10:11], v[10:11], -v[34:35]
	;; [unrolled: 1-line block ×3, first 2 shown]
	s_delay_alu instid0(VALU_DEP_4) | instskip(SKIP_1) | instid1(VALU_DEP_3)
	v_cmp_gt_f64_e32 vcc_lo, 0, v[28:29]
	v_add_f64_e64 v[28:29], v[26:27], -v[30:31]
	v_add_f64_e64 v[16:17], v[20:21], -v[16:17]
	v_cndmask_b32_e64 v33, 0, 0x40100000, vcc_lo
	s_delay_alu instid0(VALU_DEP_3) | instskip(SKIP_2) | instid1(VALU_DEP_4)
	v_add_f64_e64 v[38:39], v[26:27], -v[28:29]
	v_add_f64_e64 v[14:15], v[14:15], -v[28:29]
	;; [unrolled: 1-line block ×3, first 2 shown]
	v_add_f64_e32 v[18:19], v[18:19], v[32:33]
	s_delay_alu instid0(VALU_DEP_4) | instskip(NEXT) | instid1(VALU_DEP_3)
	v_add_f64_e64 v[28:29], v[30:31], -v[38:39]
	v_add_f64_e32 v[10:11], v[10:11], v[26:27]
	s_delay_alu instid0(VALU_DEP_3) | instskip(NEXT) | instid1(VALU_DEP_3)
	v_add_f64_e32 v[36:37], v[22:23], v[18:19]
	v_add_f64_e32 v[14:15], v[14:15], v[28:29]
	s_delay_alu instid0(VALU_DEP_2) | instskip(NEXT) | instid1(VALU_DEP_2)
	v_cvt_i32_f64_e32 v13, v[36:37]
	v_add_f64_e32 v[10:11], v[14:15], v[10:11]
	s_delay_alu instid0(VALU_DEP_2) | instskip(NEXT) | instid1(VALU_DEP_2)
	v_cvt_f64_i32_e32 v[34:35], v13
	v_add_f64_e32 v[8:9], v[8:9], v[10:11]
	s_delay_alu instid0(VALU_DEP_2) | instskip(NEXT) | instid1(VALU_DEP_2)
	v_add_f64_e64 v[18:19], v[18:19], -v[34:35]
	v_add_f64_e32 v[8:9], v[16:17], v[8:9]
	s_delay_alu instid0(VALU_DEP_2) | instskip(NEXT) | instid1(VALU_DEP_1)
	v_add_f64_e32 v[14:15], v[22:23], v[18:19]
	v_add_f64_e64 v[10:11], v[14:15], -v[18:19]
	v_cmp_le_f64_e32 vcc_lo, 0.5, v[14:15]
	s_delay_alu instid0(VALU_DEP_2) | instskip(SKIP_2) | instid1(VALU_DEP_3)
	v_add_f64_e64 v[10:11], v[22:23], -v[10:11]
	v_cndmask_b32_e64 v33, 0, 0x3ff00000, vcc_lo
	v_add_co_ci_u32_e64 v13, null, 0, v13, vcc_lo
	v_add_f64_e32 v[8:9], v[8:9], v[10:11]
	s_delay_alu instid0(VALU_DEP_3) | instskip(NEXT) | instid1(VALU_DEP_1)
	v_add_f64_e64 v[10:11], v[14:15], -v[32:33]
	v_add_f64_e32 v[14:15], v[10:11], v[8:9]
	s_delay_alu instid0(VALU_DEP_1) | instskip(SKIP_1) | instid1(VALU_DEP_2)
	v_mul_f64_e32 v[16:17], 0x3ff921fb54442d18, v[14:15]
	v_add_f64_e64 v[10:11], v[14:15], -v[10:11]
	v_fma_f64 v[18:19], v[14:15], s[8:9], -v[16:17]
	s_delay_alu instid0(VALU_DEP_2) | instskip(NEXT) | instid1(VALU_DEP_2)
	v_add_f64_e64 v[8:9], v[8:9], -v[10:11]
	v_fmamk_f64 v[10:11], v[14:15], 0x3c91a62633145c07, v[18:19]
	s_delay_alu instid0(VALU_DEP_1) | instskip(NEXT) | instid1(VALU_DEP_1)
	v_fmac_f64_e32 v[10:11], 0x3ff921fb54442d18, v[8:9]
	v_add_f64_e32 v[8:9], v[16:17], v[10:11]
	s_delay_alu instid0(VALU_DEP_1) | instskip(NEXT) | instid1(VALU_DEP_1)
	v_add_f64_e64 v[14:15], v[8:9], -v[16:17]
	v_add_f64_e64 v[10:11], v[10:11], -v[14:15]
	s_and_not1_saveexec_b32 s0, s0
	s_cbranch_execnz .LBB79_69
	s_branch .LBB79_70
.LBB79_68:
	s_and_not1_saveexec_b32 s0, s0
	s_cbranch_execz .LBB79_70
.LBB79_69:
	s_mov_b64 s[8:9], 0x3fe45f306dc9c883
	s_delay_alu instid0(SALU_CYCLE_1) | instskip(SKIP_1) | instid1(VALU_DEP_1)
	v_mul_f64_e64 v[8:9], |v[2:3]|, s[8:9]
	s_mov_b64 s[8:9], 0xbff921fb54442d18
	v_rndne_f64_e32 v[14:15], v[8:9]
	s_delay_alu instid0(VALU_DEP_1) | instskip(SKIP_2) | instid1(VALU_DEP_3)
	v_fma_f64 v[8:9], v[14:15], s[8:9], |v[2:3]|
	v_mul_f64_e32 v[10:11], 0xbc91a62633145c00, v[14:15]
	v_cvt_i32_f64_e32 v13, v[14:15]
	v_fmamk_f64 v[20:21], v[14:15], 0xbc91a62633145c00, v[8:9]
	s_delay_alu instid0(VALU_DEP_3) | instskip(NEXT) | instid1(VALU_DEP_1)
	v_add_f64_e32 v[16:17], v[8:9], v[10:11]
	v_add_f64_e64 v[18:19], v[8:9], -v[16:17]
	s_delay_alu instid0(VALU_DEP_3) | instskip(NEXT) | instid1(VALU_DEP_2)
	v_add_f64_e64 v[8:9], v[16:17], -v[20:21]
	v_add_f64_e32 v[16:17], v[18:19], v[10:11]
	v_fmamk_f64 v[10:11], v[14:15], 0x3c91a62633145c00, v[10:11]
	s_delay_alu instid0(VALU_DEP_2) | instskip(NEXT) | instid1(VALU_DEP_1)
	v_add_f64_e32 v[8:9], v[8:9], v[16:17]
	v_add_f64_e64 v[8:9], v[8:9], -v[10:11]
	s_delay_alu instid0(VALU_DEP_1) | instskip(NEXT) | instid1(VALU_DEP_1)
	v_fmamk_f64 v[10:11], v[14:15], 0xb97b839a252049c0, v[8:9]
	v_add_f64_e32 v[8:9], v[20:21], v[10:11]
	s_delay_alu instid0(VALU_DEP_1) | instskip(NEXT) | instid1(VALU_DEP_1)
	v_add_f64_e64 v[16:17], v[8:9], -v[20:21]
	v_add_f64_e64 v[10:11], v[10:11], -v[16:17]
.LBB79_70:
	s_or_b32 exec_lo, exec_lo, s0
	s_mov_b64 s[0:1], 0x3ff71547652b82fe
	v_mul_f64_e32 v[16:17], v[4:5], v[4:5]
	v_mul_f64_e64 v[14:15], |v[0:1]|, s[0:1]
	v_mul_f64_e32 v[18:19], v[8:9], v[8:9]
	v_mov_b64_e32 v[26:27], 0x3e21eeb69037ab78
	s_mov_b64 s[0:1], 0xbfe62e42fefa39ef
	v_mov_b64_e32 v[20:21], 0xbe5ae600b42fdfa7
	v_mov_b64_e32 v[36:37], 0xbe927e4fa17f65f6
	v_mul_f64_e32 v[48:49], 0.5, v[6:7]
	v_mov_b64_e32 v[28:29], 0x3ec71de3796cde01
	v_mov_b64_e32 v[38:39], 0xbf2a01a019e83e5c
	;; [unrolled: 1-line block ×4, first 2 shown]
	v_mul_f64_e32 v[66:67], 0.5, v[10:11]
	v_fmamk_f64 v[30:31], v[16:17], 0xbda907db46cc5e42, v[26:27]
	v_rndne_f64_e32 v[14:15], v[14:15]
	v_fmac_f64_e32 v[26:27], 0xbda907db46cc5e42, v[18:19]
	v_mul_f64_e32 v[34:35], 0.5, v[18:19]
	v_fmamk_f64 v[22:23], v[16:17], 0x3de5e0b2f9a43bb8, v[20:21]
	v_fmac_f64_e32 v[20:21], 0x3de5e0b2f9a43bb8, v[18:19]
	v_mul_f64_e32 v[24:25], 0.5, v[16:17]
	v_mul_f64_e64 v[50:51], v[4:5], -v[16:17]
	v_mul_f64_e64 v[68:69], v[8:9], -v[18:19]
	v_fmaak_f64 v[22:23], v[16:17], v[22:23], 0x3ec71de3796cde01
	s_delay_alu instid0(VALU_DEP_1) | instskip(NEXT) | instid1(VALU_DEP_1)
	v_fmaak_f64 v[22:23], v[16:17], v[22:23], 0xbf2a01a019e83e5c
	v_fmaak_f64 v[22:23], v[16:17], v[22:23], 0x3f81111111110bb3
	v_fma_f64 v[32:33], v[14:15], s[0:1], |v[0:1]|
	v_fmac_f64_e32 v[36:37], v[18:19], v[26:27]
	s_mov_b64 s[0:1], 0x3e5ade156a5dcb37
	v_fmac_f64_e32 v[28:29], v[18:19], v[20:21]
	v_add_f64_e64 v[20:21], -v[24:25], 1.0
	s_delay_alu instid0(VALU_DEP_4)
	v_fmamk_f64 v[26:27], v[14:15], 0xbc7abc9e3b39803f, v[32:33]
	v_add_f64_e64 v[32:33], -v[34:35], 1.0
	v_fmac_f64_e32 v[54:55], v[18:19], v[36:37]
	v_fmac_f64_e32 v[38:39], v[18:19], v[28:29]
	v_add_f64_e64 v[28:29], -v[20:21], 1.0
	v_fmaak_f64 v[52:53], s[0:1], v[26:27], 0x3e928af3fca7ab0c
	v_cmp_class_f64_e64 s0, v[2:3], 0x1f8
	v_lshlrev_b32_e32 v2, 30, v12
	v_fmac_f64_e32 v[48:49], v[50:51], v[22:23]
	v_cmp_nlt_f64_e64 s1, 0x40900000, |v[0:1]|
	v_fmaak_f64 v[52:53], v[26:27], v[52:53], 0x3ec71dee623fde64
	s_delay_alu instid0(VALU_DEP_1) | instskip(NEXT) | instid1(VALU_DEP_1)
	v_fmaak_f64 v[52:53], v[26:27], v[52:53], 0x3efa01997c89e6b0
	v_fmaak_f64 v[52:53], v[26:27], v[52:53], 0x3f2a01a014761f6e
	v_add_f64_e64 v[22:23], -v[32:33], 1.0
	s_delay_alu instid0(VALU_DEP_2) | instskip(SKIP_3) | instid1(VALU_DEP_4)
	v_fmaak_f64 v[36:37], v[26:27], v[52:53], 0x3f56c16c1852b7b0
	v_fmac_f64_e32 v[64:65], v[18:19], v[38:39]
	v_add_f64_e64 v[24:25], v[28:29], -v[24:25]
	v_mul_f64_e32 v[38:39], v[16:17], v[16:17]
	v_fmaak_f64 v[28:29], v[26:27], v[36:37], 0x3f81111111122322
	v_mov_b64_e32 v[36:37], 0xbf56c16c16c16967
	s_delay_alu instid0(VALU_DEP_2) | instskip(NEXT) | instid1(VALU_DEP_2)
	v_fmaak_f64 v[28:29], v[26:27], v[28:29], 0x3fa55555555502a1
	v_fmac_f64_e32 v[36:37], v[18:19], v[54:55]
	s_delay_alu instid0(VALU_DEP_2) | instskip(NEXT) | instid1(VALU_DEP_1)
	v_fmaak_f64 v[28:29], v[26:27], v[28:29], 0x3fc5555555555511
	v_fmaak_f64 v[28:29], v[26:27], v[28:29], 0x3fe000000000000b
	v_add_f64_e64 v[22:23], v[22:23], -v[34:35]
	v_fma_f64 v[34:35], v[16:17], v[48:49], -v[6:7]
	v_fma_f64 v[6:7], v[4:5], -v[6:7], v[24:25]
	s_delay_alu instid0(VALU_DEP_4) | instskip(SKIP_2) | instid1(VALU_DEP_2)
	v_fma_f64 v[24:25], v[26:27], v[28:29], 1.0
	v_fmaak_f64 v[28:29], v[16:17], v[30:31], 0xbe927e4fa17f65f6
	v_mov_b64_e32 v[30:31], 0x3fa5555555555555
	v_fmaak_f64 v[28:29], v[16:17], v[28:29], 0x3efa01a019f4ec90
	s_delay_alu instid0(VALU_DEP_2) | instskip(NEXT) | instid1(VALU_DEP_2)
	v_fmac_f64_e32 v[30:31], v[18:19], v[36:37]
	v_fmaak_f64 v[28:29], v[16:17], v[28:29], 0xbf56c16c16c16967
	s_delay_alu instid0(VALU_DEP_1) | instskip(SKIP_3) | instid1(VALU_DEP_4)
	v_fmaak_f64 v[16:17], v[16:17], v[28:29], 0x3fa5555555555555
	v_mul_f64_e32 v[28:29], v[18:19], v[18:19]
	v_fma_f64 v[22:23], v[8:9], -v[10:11], v[22:23]
	v_fmac_f64_e32 v[34:35], 0xbfc5555555555555, v[50:51]
	v_fmac_f64_e32 v[6:7], v[38:39], v[16:17]
	v_cvt_i32_f64_e32 v16, v[14:15]
	v_fma_f64 v[14:15], v[26:27], v[24:25], 1.0
	v_fmac_f64_e32 v[22:23], v[28:29], v[30:31]
	v_add_f64_e64 v[4:5], v[4:5], -v[34:35]
	v_add_f64_e32 v[6:7], v[20:21], v[6:7]
	s_delay_alu instid0(VALU_DEP_4) | instskip(NEXT) | instid1(VALU_DEP_4)
	v_ldexp_f64 v[14:15], v[14:15], v16
	v_add_f64_e32 v[16:17], v[32:33], v[22:23]
	s_delay_alu instid0(VALU_DEP_4) | instskip(SKIP_2) | instid1(VALU_DEP_1)
	v_xor_b32_e32 v0, 0x80000000, v5
	v_and_b32_e32 v5, 1, v13
	v_fmac_f64_e32 v[66:67], v[68:69], v[64:65]
	v_dual_fma_f64 v[10:11], v[18:19], v[66:67], -v[10:11] :: v_dual_bitop2_b32 v18, 1, v12 bitop3:0x40
	s_delay_alu instid0(VALU_DEP_1) | instskip(SKIP_3) | instid1(VALU_DEP_3)
	v_cmp_eq_u32_e32 vcc_lo, 0, v18
	v_dual_cndmask_b32 v4, v4, v6, vcc_lo :: v_dual_lshlrev_b32 v6, 30, v13
	v_cndmask_b32_e32 v0, v0, v7, vcc_lo
	v_cmp_eq_u32_e32 vcc_lo, 0, v5
	v_xor_b32_e32 v5, v6, v3
	s_delay_alu instid0(VALU_DEP_3) | instskip(SKIP_1) | instid1(VALU_DEP_2)
	v_bitop3_b32 v0, v0, v2, 0x80000000 bitop3:0x78
	v_cndmask_b32_e64 v2, 0, v4, s0
	v_cndmask_b32_e64 v3, 0x7ff80000, v0, s0
	v_fmac_f64_e32 v[10:11], 0xbfc5555555555555, v[68:69]
	s_delay_alu instid0(VALU_DEP_1) | instskip(NEXT) | instid1(VALU_DEP_1)
	v_add_f64_e64 v[8:9], v[8:9], -v[10:11]
	v_dual_mul_f64 v[10:11], 0.5, v[14:15] :: v_dual_cndmask_b32 v4, v16, v8, vcc_lo
	s_delay_alu instid0(VALU_DEP_2) | instskip(NEXT) | instid1(VALU_DEP_2)
	v_cndmask_b32_e32 v8, v17, v9, vcc_lo
	v_cndmask_b32_e64 v7, 0x7ff00000, v11, s1
	s_delay_alu instid0(VALU_DEP_3) | instskip(NEXT) | instid1(VALU_DEP_3)
	v_dual_cndmask_b32 v6, 0, v10, s1 :: v_dual_cndmask_b32 v0, 0, v4, s0
	v_bitop3_b32 v8, v8, v5, 0x80000000 bitop3:0x78
	s_delay_alu instid0(VALU_DEP_2) | instskip(SKIP_1) | instid1(VALU_DEP_3)
	v_mul_f64_e32 v[4:5], v[6:7], v[2:3]
	v_bfi_b32 v7, 0x7fffffff, v7, v1
	v_cndmask_b32_e64 v1, 0x7ff80000, v8, s0
	s_delay_alu instid0(VALU_DEP_1)
	v_mul_f64_e32 v[6:7], v[6:7], v[0:1]
.LBB79_71:
	s_or_b32 exec_lo, exec_lo, s2
                                        ; implicit-def: $vgpr0_vgpr1
                                        ; implicit-def: $vgpr2_vgpr3
.LBB79_72:
	s_and_not1_saveexec_b32 s3, s6
	s_cbranch_execz .LBB79_82
; %bb.73:
	v_cmp_ngt_f64_e64 s0, 0x41d00000, |v[2:3]|
	v_trig_preop_f64 v[16:17], |v[2:3]|, 0
	v_trig_preop_f64 v[14:15], |v[2:3]|, 1
	v_ldexp_f64 v[18:19], |v[2:3]|, 0xffffff80
	v_trig_preop_f64 v[12:13], |v[2:3]|, 2
	v_and_b32_e32 v22, 0x7fffffff, v3
                                        ; implicit-def: $vgpr20
                                        ; implicit-def: $vgpr4_vgpr5
                                        ; implicit-def: $vgpr6_vgpr7
	s_and_saveexec_b32 s1, s0
	s_delay_alu instid0(SALU_CYCLE_1)
	s_xor_b32 s1, exec_lo, s1
	s_cbranch_execz .LBB79_75
; %bb.74:
	v_cmp_le_f64_e64 vcc_lo, 0x7b000000, |v[2:3]|
	s_mov_b64 s[6:7], 0x3ff921fb54442d18
	v_dual_mov_b32 v34, 0 :: v_dual_cndmask_b32 v5, v22, v19
	v_cndmask_b32_e32 v4, v2, v18, vcc_lo
	s_delay_alu instid0(VALU_DEP_1) | instskip(SKIP_1) | instid1(VALU_DEP_2)
	v_mul_f64_e32 v[6:7], v[16:17], v[4:5]
	v_mul_f64_e32 v[8:9], v[14:15], v[4:5]
	v_fma_f64 v[10:11], v[16:17], v[4:5], -v[6:7]
	s_delay_alu instid0(VALU_DEP_1) | instskip(NEXT) | instid1(VALU_DEP_1)
	v_add_f64_e32 v[20:21], v[8:9], v[10:11]
	v_add_f64_e64 v[24:25], v[20:21], -v[8:9]
	v_add_f64_e32 v[28:29], v[6:7], v[20:21]
	s_delay_alu instid0(VALU_DEP_2) | instskip(SKIP_2) | instid1(VALU_DEP_4)
	v_add_f64_e64 v[26:27], v[20:21], -v[24:25]
	v_fma_f64 v[32:33], v[14:15], v[4:5], -v[8:9]
	v_add_f64_e64 v[10:11], v[10:11], -v[24:25]
	v_ldexp_f64 v[24:25], v[28:29], -2
	v_mul_f64_e32 v[30:31], v[12:13], v[4:5]
	v_add_f64_e64 v[8:9], v[8:9], -v[26:27]
	s_delay_alu instid0(VALU_DEP_3) | instskip(NEXT) | instid1(VALU_DEP_3)
	v_cmp_neq_f64_e64 vcc_lo, 0x7ff00000, |v[24:25]|
	v_add_f64_e32 v[26:27], v[30:31], v[32:33]
	v_fma_f64 v[4:5], v[12:13], v[4:5], -v[30:31]
	s_delay_alu instid0(VALU_DEP_4) | instskip(SKIP_1) | instid1(VALU_DEP_1)
	v_add_f64_e32 v[8:9], v[10:11], v[8:9]
	v_fract_f64_e32 v[10:11], v[24:25]
	v_ldexp_f64 v[10:11], v[10:11], 2
	s_delay_alu instid0(VALU_DEP_1) | instskip(SKIP_1) | instid1(VALU_DEP_3)
	v_cndmask_b32_e32 v11, 0, v11, vcc_lo
	v_add_f64_e64 v[6:7], v[28:29], -v[6:7]
	v_cndmask_b32_e32 v10, 0, v10, vcc_lo
	s_delay_alu instid0(VALU_DEP_2) | instskip(SKIP_1) | instid1(VALU_DEP_1)
	v_add_f64_e64 v[6:7], v[20:21], -v[6:7]
	v_add_f64_e32 v[20:21], v[26:27], v[8:9]
	v_add_f64_e32 v[24:25], v[6:7], v[20:21]
	v_add_f64_e64 v[36:37], v[20:21], -v[26:27]
	s_delay_alu instid0(VALU_DEP_2) | instskip(NEXT) | instid1(VALU_DEP_2)
	v_add_f64_e32 v[28:29], v[24:25], v[10:11]
	v_add_f64_e64 v[50:51], v[20:21], -v[36:37]
	v_add_f64_e64 v[8:9], v[8:9], -v[36:37]
	v_add_f64_e64 v[6:7], v[24:25], -v[6:7]
	s_delay_alu instid0(VALU_DEP_4) | instskip(SKIP_1) | instid1(VALU_DEP_3)
	v_cmp_gt_f64_e32 vcc_lo, 0, v[28:29]
	v_add_f64_e64 v[28:29], v[26:27], -v[30:31]
	v_add_f64_e64 v[6:7], v[20:21], -v[6:7]
	v_cndmask_b32_e64 v35, 0, 0x40100000, vcc_lo
	s_delay_alu instid0(VALU_DEP_3) | instskip(SKIP_2) | instid1(VALU_DEP_4)
	v_add_f64_e64 v[48:49], v[26:27], -v[28:29]
	v_add_f64_e64 v[28:29], v[32:33], -v[28:29]
	;; [unrolled: 1-line block ×3, first 2 shown]
	v_add_f64_e32 v[10:11], v[10:11], v[34:35]
	s_delay_alu instid0(VALU_DEP_4) | instskip(NEXT) | instid1(VALU_DEP_3)
	v_add_f64_e64 v[32:33], v[30:31], -v[48:49]
	v_add_f64_e32 v[8:9], v[8:9], v[26:27]
	s_delay_alu instid0(VALU_DEP_3) | instskip(NEXT) | instid1(VALU_DEP_3)
	v_add_f64_e32 v[38:39], v[24:25], v[10:11]
	v_add_f64_e32 v[28:29], v[28:29], v[32:33]
	s_delay_alu instid0(VALU_DEP_2) | instskip(NEXT) | instid1(VALU_DEP_2)
	v_cvt_i32_f64_e32 v23, v[38:39]
	v_add_f64_e32 v[8:9], v[28:29], v[8:9]
	s_delay_alu instid0(VALU_DEP_2) | instskip(NEXT) | instid1(VALU_DEP_2)
	v_cvt_f64_i32_e32 v[36:37], v23
	v_add_f64_e32 v[4:5], v[4:5], v[8:9]
	s_delay_alu instid0(VALU_DEP_2) | instskip(NEXT) | instid1(VALU_DEP_2)
	v_add_f64_e64 v[10:11], v[10:11], -v[36:37]
	v_add_f64_e32 v[4:5], v[6:7], v[4:5]
	s_delay_alu instid0(VALU_DEP_2) | instskip(NEXT) | instid1(VALU_DEP_1)
	v_add_f64_e32 v[26:27], v[24:25], v[10:11]
	v_add_f64_e64 v[8:9], v[26:27], -v[10:11]
	v_cmp_le_f64_e32 vcc_lo, 0.5, v[26:27]
	s_delay_alu instid0(VALU_DEP_2) | instskip(SKIP_2) | instid1(VALU_DEP_3)
	v_add_f64_e64 v[6:7], v[24:25], -v[8:9]
	v_cndmask_b32_e64 v35, 0, 0x3ff00000, vcc_lo
	v_add_co_ci_u32_e64 v20, null, 0, v23, vcc_lo
	v_add_f64_e32 v[4:5], v[4:5], v[6:7]
	s_delay_alu instid0(VALU_DEP_3) | instskip(NEXT) | instid1(VALU_DEP_1)
	v_add_f64_e64 v[6:7], v[26:27], -v[34:35]
	v_add_f64_e32 v[8:9], v[6:7], v[4:5]
	s_delay_alu instid0(VALU_DEP_1) | instskip(SKIP_1) | instid1(VALU_DEP_2)
	v_mul_f64_e32 v[10:11], 0x3ff921fb54442d18, v[8:9]
	v_add_f64_e64 v[6:7], v[8:9], -v[6:7]
	v_fma_f64 v[24:25], v[8:9], s[6:7], -v[10:11]
	s_delay_alu instid0(VALU_DEP_2) | instskip(NEXT) | instid1(VALU_DEP_2)
	v_add_f64_e64 v[4:5], v[4:5], -v[6:7]
	v_fmamk_f64 v[6:7], v[8:9], 0x3c91a62633145c07, v[24:25]
	s_delay_alu instid0(VALU_DEP_1) | instskip(NEXT) | instid1(VALU_DEP_1)
	v_fmac_f64_e32 v[6:7], 0x3ff921fb54442d18, v[4:5]
	v_add_f64_e32 v[4:5], v[10:11], v[6:7]
	s_delay_alu instid0(VALU_DEP_1) | instskip(NEXT) | instid1(VALU_DEP_1)
	v_add_f64_e64 v[8:9], v[4:5], -v[10:11]
	v_add_f64_e64 v[6:7], v[6:7], -v[8:9]
	s_and_not1_saveexec_b32 s1, s1
	s_cbranch_execz .LBB79_77
	s_branch .LBB79_76
.LBB79_75:
	s_and_not1_saveexec_b32 s1, s1
	s_cbranch_execz .LBB79_77
.LBB79_76:
	s_mov_b64 s[6:7], 0x3fe45f306dc9c883
	s_delay_alu instid0(SALU_CYCLE_1) | instskip(SKIP_1) | instid1(VALU_DEP_1)
	v_mul_f64_e64 v[4:5], |v[2:3]|, s[6:7]
	s_mov_b64 s[6:7], 0xbff921fb54442d18
	v_rndne_f64_e32 v[8:9], v[4:5]
	s_delay_alu instid0(VALU_DEP_1) | instskip(SKIP_1) | instid1(VALU_DEP_2)
	v_fma_f64 v[4:5], v[8:9], s[6:7], |v[2:3]|
	v_mul_f64_e32 v[6:7], 0xbc91a62633145c00, v[8:9]
	v_fmamk_f64 v[24:25], v[8:9], 0xbc91a62633145c00, v[4:5]
	s_delay_alu instid0(VALU_DEP_2) | instskip(NEXT) | instid1(VALU_DEP_1)
	v_add_f64_e32 v[10:11], v[4:5], v[6:7]
	v_add_f64_e64 v[20:21], v[4:5], -v[10:11]
	s_delay_alu instid0(VALU_DEP_3) | instskip(NEXT) | instid1(VALU_DEP_2)
	v_add_f64_e64 v[4:5], v[10:11], -v[24:25]
	v_add_f64_e32 v[10:11], v[20:21], v[6:7]
	v_fmamk_f64 v[6:7], v[8:9], 0x3c91a62633145c00, v[6:7]
	v_cvt_i32_f64_e32 v20, v[8:9]
	s_delay_alu instid0(VALU_DEP_3) | instskip(NEXT) | instid1(VALU_DEP_1)
	v_add_f64_e32 v[4:5], v[4:5], v[10:11]
	v_add_f64_e64 v[4:5], v[4:5], -v[6:7]
	s_delay_alu instid0(VALU_DEP_1) | instskip(NEXT) | instid1(VALU_DEP_1)
	v_fmamk_f64 v[6:7], v[8:9], 0xb97b839a252049c0, v[4:5]
	v_add_f64_e32 v[4:5], v[24:25], v[6:7]
	s_delay_alu instid0(VALU_DEP_1) | instskip(NEXT) | instid1(VALU_DEP_1)
	v_add_f64_e64 v[10:11], v[4:5], -v[24:25]
	v_add_f64_e64 v[6:7], v[6:7], -v[10:11]
.LBB79_77:
	s_or_b32 exec_lo, exec_lo, s1
                                        ; implicit-def: $vgpr21
                                        ; implicit-def: $vgpr8_vgpr9
                                        ; implicit-def: $vgpr10_vgpr11
	s_and_saveexec_b32 s1, s0
	s_delay_alu instid0(SALU_CYCLE_1)
	s_xor_b32 s0, exec_lo, s1
	s_cbranch_execz .LBB79_79
; %bb.78:
	v_cmp_le_f64_e64 vcc_lo, 0x7b000000, |v[2:3]|
	s_mov_b64 s[6:7], 0x3ff921fb54442d18
	v_dual_mov_b32 v32, 0 :: v_dual_cndmask_b32 v9, v22, v19
	v_cndmask_b32_e32 v8, v2, v18, vcc_lo
	s_delay_alu instid0(VALU_DEP_1) | instskip(SKIP_1) | instid1(VALU_DEP_2)
	v_mul_f64_e32 v[10:11], v[16:17], v[8:9]
	v_mul_f64_e32 v[18:19], v[14:15], v[8:9]
	v_fma_f64 v[16:17], v[16:17], v[8:9], -v[10:11]
	s_delay_alu instid0(VALU_DEP_1) | instskip(NEXT) | instid1(VALU_DEP_1)
	v_add_f64_e32 v[22:23], v[18:19], v[16:17]
	v_add_f64_e64 v[24:25], v[22:23], -v[18:19]
	v_add_f64_e32 v[28:29], v[10:11], v[22:23]
	s_delay_alu instid0(VALU_DEP_2) | instskip(SKIP_2) | instid1(VALU_DEP_4)
	v_add_f64_e64 v[26:27], v[22:23], -v[24:25]
	v_add_f64_e64 v[16:17], v[16:17], -v[24:25]
	v_fma_f64 v[14:15], v[14:15], v[8:9], -v[18:19]
	v_ldexp_f64 v[24:25], v[28:29], -2
	s_delay_alu instid0(VALU_DEP_4) | instskip(NEXT) | instid1(VALU_DEP_2)
	v_add_f64_e64 v[18:19], v[18:19], -v[26:27]
	v_cmp_neq_f64_e64 vcc_lo, 0x7ff00000, |v[24:25]|
	s_delay_alu instid0(VALU_DEP_2) | instskip(SKIP_1) | instid1(VALU_DEP_1)
	v_add_f64_e32 v[16:17], v[16:17], v[18:19]
	v_fract_f64_e32 v[18:19], v[24:25]
	v_ldexp_f64 v[18:19], v[18:19], 2
	s_delay_alu instid0(VALU_DEP_1) | instskip(NEXT) | instid1(VALU_DEP_2)
	v_dual_mul_f64 v[30:31], v[12:13], v[8:9] :: v_dual_cndmask_b32 v19, 0, v19, vcc_lo
	v_cndmask_b32_e32 v18, 0, v18, vcc_lo
	v_add_f64_e64 v[10:11], v[28:29], -v[10:11]
	s_delay_alu instid0(VALU_DEP_3) | instskip(SKIP_1) | instid1(VALU_DEP_3)
	v_add_f64_e32 v[26:27], v[30:31], v[14:15]
	v_fma_f64 v[8:9], v[12:13], v[8:9], -v[30:31]
	v_add_f64_e64 v[10:11], v[22:23], -v[10:11]
	s_delay_alu instid0(VALU_DEP_3) | instskip(NEXT) | instid1(VALU_DEP_1)
	v_add_f64_e32 v[22:23], v[26:27], v[16:17]
	v_add_f64_e32 v[24:25], v[10:11], v[22:23]
	v_add_f64_e64 v[34:35], v[22:23], -v[26:27]
	s_delay_alu instid0(VALU_DEP_2) | instskip(NEXT) | instid1(VALU_DEP_2)
	v_add_f64_e32 v[28:29], v[24:25], v[18:19]
	v_add_f64_e64 v[48:49], v[22:23], -v[34:35]
	v_add_f64_e64 v[16:17], v[16:17], -v[34:35]
	;; [unrolled: 1-line block ×3, first 2 shown]
	s_delay_alu instid0(VALU_DEP_4) | instskip(SKIP_1) | instid1(VALU_DEP_3)
	v_cmp_gt_f64_e32 vcc_lo, 0, v[28:29]
	v_add_f64_e64 v[28:29], v[26:27], -v[30:31]
	v_add_f64_e64 v[10:11], v[22:23], -v[10:11]
	v_cndmask_b32_e64 v33, 0, 0x40100000, vcc_lo
	s_delay_alu instid0(VALU_DEP_3) | instskip(SKIP_2) | instid1(VALU_DEP_4)
	v_add_f64_e64 v[38:39], v[26:27], -v[28:29]
	v_add_f64_e64 v[14:15], v[14:15], -v[28:29]
	;; [unrolled: 1-line block ×3, first 2 shown]
	v_add_f64_e32 v[18:19], v[18:19], v[32:33]
	s_delay_alu instid0(VALU_DEP_4) | instskip(NEXT) | instid1(VALU_DEP_3)
	v_add_f64_e64 v[28:29], v[30:31], -v[38:39]
	v_add_f64_e32 v[16:17], v[16:17], v[26:27]
	s_delay_alu instid0(VALU_DEP_3) | instskip(NEXT) | instid1(VALU_DEP_3)
	v_add_f64_e32 v[36:37], v[24:25], v[18:19]
	v_add_f64_e32 v[14:15], v[14:15], v[28:29]
	s_delay_alu instid0(VALU_DEP_2) | instskip(NEXT) | instid1(VALU_DEP_2)
	v_cvt_i32_f64_e32 v21, v[36:37]
	v_add_f64_e32 v[12:13], v[14:15], v[16:17]
	s_delay_alu instid0(VALU_DEP_2) | instskip(NEXT) | instid1(VALU_DEP_2)
	v_cvt_f64_i32_e32 v[34:35], v21
	v_add_f64_e32 v[8:9], v[8:9], v[12:13]
	s_delay_alu instid0(VALU_DEP_2) | instskip(NEXT) | instid1(VALU_DEP_2)
	v_add_f64_e64 v[18:19], v[18:19], -v[34:35]
	v_add_f64_e32 v[8:9], v[10:11], v[8:9]
	s_delay_alu instid0(VALU_DEP_2) | instskip(NEXT) | instid1(VALU_DEP_1)
	v_add_f64_e32 v[14:15], v[24:25], v[18:19]
	v_add_f64_e64 v[12:13], v[14:15], -v[18:19]
	v_cmp_le_f64_e32 vcc_lo, 0.5, v[14:15]
	s_delay_alu instid0(VALU_DEP_2) | instskip(SKIP_2) | instid1(VALU_DEP_3)
	v_add_f64_e64 v[10:11], v[24:25], -v[12:13]
	v_cndmask_b32_e64 v33, 0, 0x3ff00000, vcc_lo
	v_add_co_ci_u32_e64 v21, null, 0, v21, vcc_lo
	v_add_f64_e32 v[8:9], v[8:9], v[10:11]
	s_delay_alu instid0(VALU_DEP_3) | instskip(NEXT) | instid1(VALU_DEP_1)
	v_add_f64_e64 v[10:11], v[14:15], -v[32:33]
	v_add_f64_e32 v[12:13], v[10:11], v[8:9]
	s_delay_alu instid0(VALU_DEP_1) | instskip(SKIP_1) | instid1(VALU_DEP_2)
	v_mul_f64_e32 v[14:15], 0x3ff921fb54442d18, v[12:13]
	v_add_f64_e64 v[10:11], v[12:13], -v[10:11]
	v_fma_f64 v[16:17], v[12:13], s[6:7], -v[14:15]
	s_delay_alu instid0(VALU_DEP_2) | instskip(NEXT) | instid1(VALU_DEP_2)
	v_add_f64_e64 v[8:9], v[8:9], -v[10:11]
	v_fmamk_f64 v[10:11], v[12:13], 0x3c91a62633145c07, v[16:17]
	s_delay_alu instid0(VALU_DEP_1) | instskip(NEXT) | instid1(VALU_DEP_1)
	v_fmac_f64_e32 v[10:11], 0x3ff921fb54442d18, v[8:9]
	v_add_f64_e32 v[8:9], v[14:15], v[10:11]
	s_delay_alu instid0(VALU_DEP_1) | instskip(NEXT) | instid1(VALU_DEP_1)
	v_add_f64_e64 v[12:13], v[8:9], -v[14:15]
	v_add_f64_e64 v[10:11], v[10:11], -v[12:13]
	s_and_not1_saveexec_b32 s0, s0
	s_cbranch_execnz .LBB79_80
	s_branch .LBB79_81
.LBB79_79:
	s_and_not1_saveexec_b32 s0, s0
	s_cbranch_execz .LBB79_81
.LBB79_80:
	s_mov_b64 s[6:7], 0x3fe45f306dc9c883
	s_delay_alu instid0(SALU_CYCLE_1) | instskip(SKIP_1) | instid1(VALU_DEP_1)
	v_mul_f64_e64 v[8:9], |v[2:3]|, s[6:7]
	s_mov_b64 s[6:7], 0xbff921fb54442d18
	v_rndne_f64_e32 v[12:13], v[8:9]
	s_delay_alu instid0(VALU_DEP_1) | instskip(SKIP_2) | instid1(VALU_DEP_3)
	v_fma_f64 v[8:9], v[12:13], s[6:7], |v[2:3]|
	v_mul_f64_e32 v[10:11], 0xbc91a62633145c00, v[12:13]
	v_cvt_i32_f64_e32 v21, v[12:13]
	v_fmamk_f64 v[18:19], v[12:13], 0xbc91a62633145c00, v[8:9]
	s_delay_alu instid0(VALU_DEP_3) | instskip(NEXT) | instid1(VALU_DEP_1)
	v_add_f64_e32 v[14:15], v[8:9], v[10:11]
	v_add_f64_e64 v[16:17], v[8:9], -v[14:15]
	s_delay_alu instid0(VALU_DEP_3) | instskip(NEXT) | instid1(VALU_DEP_2)
	v_add_f64_e64 v[8:9], v[14:15], -v[18:19]
	v_add_f64_e32 v[14:15], v[16:17], v[10:11]
	v_fmamk_f64 v[10:11], v[12:13], 0x3c91a62633145c00, v[10:11]
	s_delay_alu instid0(VALU_DEP_2) | instskip(NEXT) | instid1(VALU_DEP_1)
	v_add_f64_e32 v[8:9], v[8:9], v[14:15]
	v_add_f64_e64 v[8:9], v[8:9], -v[10:11]
	s_delay_alu instid0(VALU_DEP_1) | instskip(NEXT) | instid1(VALU_DEP_1)
	v_fmamk_f64 v[10:11], v[12:13], 0xb97b839a252049c0, v[8:9]
	v_add_f64_e32 v[8:9], v[18:19], v[10:11]
	s_delay_alu instid0(VALU_DEP_1) | instskip(NEXT) | instid1(VALU_DEP_1)
	v_add_f64_e64 v[14:15], v[8:9], -v[18:19]
	v_add_f64_e64 v[10:11], v[10:11], -v[14:15]
.LBB79_81:
	s_or_b32 exec_lo, exec_lo, s0
	s_mov_b64 s[0:1], 0xbfe62e42fefa39ef
	v_cmp_gt_f64_e64 vcc_lo, 0x3e400000, |v[0:1]|
	v_add_f64_e64 v[12:13], |v[0:1]|, s[0:1]
	s_mov_b64 s[0:1], 0x3e5ade156a5dcb37
	v_mov_b64_e32 v[36:37], 0x3e21eeb69037ab78
	v_mov_b64_e32 v[38:39], 0x3ec71de3796cde01
	;; [unrolled: 1-line block ×4, first 2 shown]
	v_mul_f64_e32 v[64:65], 0.5, v[6:7]
	v_mov_b64_e32 v[70:71], 0x3efa01a019f4ec90
	v_mov_b64_e32 v[80:81], 0x3f81111111110bb3
	v_mul_f64_e32 v[82:83], 0.5, v[10:11]
	v_add_f64_e64 v[14:15], v[12:13], -|v[0:1]|
	s_delay_alu instid0(VALU_DEP_1) | instskip(SKIP_1) | instid1(VALU_DEP_2)
	v_add_f64_e64 v[16:17], v[14:15], -v[12:13]
	v_add_f64_e32 v[14:15], 0x3fe62e42fefa39ef, v[14:15]
	v_add_f64_e64 v[16:17], |v[0:1]|, v[16:17]
	s_delay_alu instid0(VALU_DEP_1) | instskip(NEXT) | instid1(VALU_DEP_1)
	v_add_f64_e64 v[14:15], v[16:17], -v[14:15]
	v_add_f64_e32 v[14:15], 0xbc7abc9e3b39803f, v[14:15]
	s_delay_alu instid0(VALU_DEP_1) | instskip(NEXT) | instid1(VALU_DEP_1)
	v_add_f64_e32 v[16:17], v[12:13], v[14:15]
	v_mul_f64_e32 v[18:19], 0x3ff71547652b82fe, v[16:17]
	v_add_f64_e64 v[12:13], v[12:13], -v[16:17]
	s_delay_alu instid0(VALU_DEP_2) | instskip(NEXT) | instid1(VALU_DEP_2)
	v_rndne_f64_e32 v[18:19], v[18:19]
	v_add_f64_e32 v[12:13], v[14:15], v[12:13]
	s_delay_alu instid0(VALU_DEP_2) | instskip(SKIP_1) | instid1(VALU_DEP_2)
	v_fmamk_f64 v[14:15], v[18:19], 0xbfe62e42fefa3000, v[16:17]
	v_mul_f64_e32 v[16:17], 0xbd53de6af278e000, v[18:19]
	v_add_f64_e32 v[22:23], v[12:13], v[14:15]
	s_delay_alu instid0(VALU_DEP_1) | instskip(SKIP_1) | instid1(VALU_DEP_2)
	v_add_f64_e32 v[24:25], v[22:23], v[16:17]
	v_add_f64_e64 v[14:15], v[14:15], -v[22:23]
	v_add_f64_e64 v[22:23], v[22:23], -v[24:25]
	s_delay_alu instid0(VALU_DEP_2) | instskip(NEXT) | instid1(VALU_DEP_2)
	v_add_f64_e32 v[12:13], v[12:13], v[14:15]
	v_add_f64_e32 v[14:15], v[22:23], v[16:17]
	s_delay_alu instid0(VALU_DEP_1) | instskip(SKIP_1) | instid1(VALU_DEP_2)
	v_add_f64_e32 v[12:13], v[12:13], v[14:15]
	v_mul_f64_e32 v[14:15], 0xbac9cc01f97b57a0, v[18:19]
	v_add_f64_e32 v[16:17], v[24:25], v[12:13]
	s_delay_alu instid0(VALU_DEP_1) | instskip(SKIP_1) | instid1(VALU_DEP_2)
	v_add_f64_e32 v[22:23], v[16:17], v[14:15]
	v_add_f64_e64 v[24:25], v[24:25], -v[16:17]
	v_add_f64_e64 v[16:17], v[16:17], -v[22:23]
	s_delay_alu instid0(VALU_DEP_2) | instskip(NEXT) | instid1(VALU_DEP_2)
	v_add_f64_e32 v[12:13], v[12:13], v[24:25]
	v_add_f64_e32 v[14:15], v[16:17], v[14:15]
	s_delay_alu instid0(VALU_DEP_1) | instskip(NEXT) | instid1(VALU_DEP_1)
	v_add_f64_e32 v[12:13], v[12:13], v[14:15]
	v_add_f64_e32 v[14:15], v[22:23], v[12:13]
	s_delay_alu instid0(VALU_DEP_1) | instskip(SKIP_1) | instid1(VALU_DEP_2)
	v_add_f64_e64 v[16:17], v[22:23], -v[14:15]
	v_mul_f64_e32 v[22:23], v[14:15], v[14:15]
	v_add_f64_e32 v[12:13], v[12:13], v[16:17]
	s_delay_alu instid0(VALU_DEP_2) | instskip(NEXT) | instid1(VALU_DEP_2)
	v_fma_f64 v[16:17], v[14:15], v[14:15], -v[22:23]
	v_add_f64_e32 v[24:25], v[12:13], v[12:13]
	s_delay_alu instid0(VALU_DEP_1) | instskip(SKIP_2) | instid1(SALU_CYCLE_1)
	v_fmac_f64_e32 v[16:17], v[14:15], v[24:25]
	v_fmaak_f64 v[24:25], s[0:1], v[14:15], 0x3e928af3fca7ab0c
	s_mov_b64 s[0:1], 0x408633ce8fb9f87e
	v_cmp_ge_f64_e64 s6, |v[0:1]|, s[0:1]
	v_cmp_class_f64_e64 s1, v[2:3], 0x1f8
	v_and_b32_e32 v2, 1, v21
	s_delay_alu instid0(VALU_DEP_4) | instskip(NEXT) | instid1(VALU_DEP_2)
	v_fmaak_f64 v[24:25], v[14:15], v[24:25], 0x3ec71dee623fde64
	v_cmp_eq_u32_e64 s2, 0, v2
	s_delay_alu instid0(VALU_DEP_2) | instskip(NEXT) | instid1(VALU_DEP_1)
	v_fmaak_f64 v[24:25], v[14:15], v[24:25], 0x3efa01997c89e6b0
	v_fmaak_f64 v[24:25], v[14:15], v[24:25], 0x3f2a01a014761f6e
	s_delay_alu instid0(VALU_DEP_1) | instskip(SKIP_1) | instid1(VALU_DEP_2)
	v_fmaak_f64 v[24:25], v[14:15], v[24:25], 0x3f56c16c1852b7b0
	v_add_f64_e32 v[26:27], v[22:23], v[16:17]
	v_fmaak_f64 v[24:25], v[14:15], v[24:25], 0x3f81111111122322
	s_delay_alu instid0(VALU_DEP_1) | instskip(NEXT) | instid1(VALU_DEP_1)
	v_fmaak_f64 v[24:25], v[14:15], v[24:25], 0x3fa55555555502a1
	v_fmaak_f64 v[24:25], v[14:15], v[24:25], 0x3fc5555555555511
	s_delay_alu instid0(VALU_DEP_1) | instskip(SKIP_1) | instid1(VALU_DEP_2)
	v_fmaak_f64 v[24:25], v[14:15], v[24:25], 0x3fe000000000000b
	v_add_f64_e64 v[22:23], v[26:27], -v[22:23]
	v_mul_f64_e32 v[28:29], v[26:27], v[24:25]
	s_delay_alu instid0(VALU_DEP_2) | instskip(NEXT) | instid1(VALU_DEP_2)
	v_add_f64_e64 v[16:17], v[16:17], -v[22:23]
	v_fma_f64 v[22:23], v[26:27], v[24:25], -v[28:29]
	s_delay_alu instid0(VALU_DEP_1) | instskip(NEXT) | instid1(VALU_DEP_1)
	v_fmac_f64_e32 v[22:23], v[16:17], v[24:25]
	v_add_f64_e32 v[16:17], v[28:29], v[22:23]
	s_delay_alu instid0(VALU_DEP_1) | instskip(SKIP_1) | instid1(VALU_DEP_2)
	v_add_f64_e32 v[24:25], v[14:15], v[16:17]
	v_add_f64_e64 v[26:27], v[16:17], -v[28:29]
	v_add_f64_e64 v[14:15], v[24:25], -v[14:15]
	s_delay_alu instid0(VALU_DEP_2) | instskip(SKIP_1) | instid1(VALU_DEP_3)
	v_add_f64_e64 v[22:23], v[22:23], -v[26:27]
	v_cvt_i32_f64_e32 v26, v[18:19]
	v_add_f64_e64 v[14:15], v[16:17], -v[14:15]
	s_delay_alu instid0(VALU_DEP_3) | instskip(NEXT) | instid1(VALU_DEP_1)
	v_add_f64_e32 v[12:13], v[12:13], v[22:23]
	v_add_f64_e32 v[12:13], v[12:13], v[14:15]
	s_delay_alu instid0(VALU_DEP_1) | instskip(NEXT) | instid1(VALU_DEP_1)
	v_add_f64_e32 v[14:15], v[24:25], v[12:13]
	v_add_f64_e32 v[16:17], 1.0, v[14:15]
	v_add_f64_e64 v[22:23], v[14:15], -v[24:25]
	s_delay_alu instid0(VALU_DEP_2) | instskip(NEXT) | instid1(VALU_DEP_2)
	v_add_f64_e32 v[24:25], -1.0, v[16:17]
	v_add_f64_e64 v[12:13], v[12:13], -v[22:23]
	s_delay_alu instid0(VALU_DEP_2) | instskip(NEXT) | instid1(VALU_DEP_1)
	v_add_f64_e64 v[14:15], v[14:15], -v[24:25]
	v_add_f64_e32 v[12:13], v[12:13], v[14:15]
	s_delay_alu instid0(VALU_DEP_1) | instskip(NEXT) | instid1(VALU_DEP_1)
	v_add_f64_e32 v[14:15], v[16:17], v[12:13]
	v_ldexp_f64 v[18:19], v[14:15], v26
	v_add_f64_e64 v[14:15], v[14:15], -v[16:17]
	s_delay_alu instid0(VALU_DEP_2) | instskip(NEXT) | instid1(VALU_DEP_1)
	v_rcp_f64_e32 v[22:23], v[18:19]
	v_add_f64_e64 v[12:13], v[12:13], -v[14:15]
	s_delay_alu instid0(VALU_DEP_1) | instskip(NEXT) | instid1(TRANS32_DEP_1)
	v_ldexp_f64 v[12:13], v[12:13], v26
	v_fma_f64 v[24:25], -v[18:19], v[22:23], 1.0
	s_delay_alu instid0(VALU_DEP_1) | instskip(NEXT) | instid1(VALU_DEP_1)
	v_fmac_f64_e32 v[22:23], v[24:25], v[22:23]
	v_fma_f64 v[24:25], -v[18:19], v[22:23], 1.0
	s_delay_alu instid0(VALU_DEP_1) | instskip(NEXT) | instid1(VALU_DEP_1)
	v_fmac_f64_e32 v[22:23], v[24:25], v[22:23]
	v_mul_f64_e32 v[14:15], v[18:19], v[22:23]
	s_delay_alu instid0(VALU_DEP_1) | instskip(NEXT) | instid1(VALU_DEP_1)
	v_fma_f64 v[16:17], v[22:23], v[18:19], -v[14:15]
	v_fmac_f64_e32 v[16:17], v[22:23], v[12:13]
	s_delay_alu instid0(VALU_DEP_1) | instskip(NEXT) | instid1(VALU_DEP_1)
	v_add_f64_e32 v[24:25], v[14:15], v[16:17]
	v_add_f64_e64 v[26:27], -v[24:25], 1.0
	v_add_f64_e64 v[14:15], v[24:25], -v[14:15]
	s_delay_alu instid0(VALU_DEP_2) | instskip(NEXT) | instid1(VALU_DEP_2)
	v_add_f64_e64 v[28:29], -v[26:27], 1.0
	v_add_f64_e64 v[14:15], v[14:15], -v[16:17]
	s_delay_alu instid0(VALU_DEP_2) | instskip(NEXT) | instid1(VALU_DEP_1)
	v_add_f64_e64 v[16:17], v[28:29], -v[24:25]
	v_add_f64_e32 v[14:15], v[14:15], v[16:17]
	s_delay_alu instid0(VALU_DEP_1) | instskip(NEXT) | instid1(VALU_DEP_1)
	v_add_f64_e32 v[16:17], v[26:27], v[14:15]
	v_mul_f64_e32 v[24:25], v[22:23], v[16:17]
	v_add_f64_e64 v[26:27], v[26:27], -v[16:17]
	s_delay_alu instid0(VALU_DEP_2) | instskip(NEXT) | instid1(VALU_DEP_2)
	v_mul_f64_e32 v[28:29], v[18:19], v[24:25]
	v_add_f64_e32 v[14:15], v[14:15], v[26:27]
	s_delay_alu instid0(VALU_DEP_2) | instskip(NEXT) | instid1(VALU_DEP_1)
	v_fma_f64 v[30:31], v[24:25], v[18:19], -v[28:29]
	v_fmac_f64_e32 v[30:31], v[24:25], v[12:13]
	s_delay_alu instid0(VALU_DEP_1) | instskip(NEXT) | instid1(VALU_DEP_1)
	v_add_f64_e32 v[32:33], v[28:29], v[30:31]
	v_add_f64_e64 v[34:35], v[16:17], -v[32:33]
	v_add_f64_e64 v[26:27], v[32:33], -v[28:29]
	v_mov_b64_e32 v[28:29], 0xbe5ae600b42fdfa7
	s_delay_alu instid0(VALU_DEP_3) | instskip(NEXT) | instid1(VALU_DEP_3)
	v_add_f64_e64 v[16:17], v[16:17], -v[34:35]
	v_add_f64_e64 v[26:27], v[26:27], -v[30:31]
	s_delay_alu instid0(VALU_DEP_2) | instskip(NEXT) | instid1(VALU_DEP_1)
	v_add_f64_e64 v[16:17], v[16:17], -v[32:33]
	v_add_f64_e32 v[14:15], v[14:15], v[16:17]
	v_add_f64_e32 v[16:17], v[22:23], v[24:25]
	s_delay_alu instid0(VALU_DEP_2) | instskip(NEXT) | instid1(VALU_DEP_2)
	v_add_f64_e32 v[14:15], v[26:27], v[14:15]
	v_add_f64_e64 v[26:27], v[16:17], -v[22:23]
	s_delay_alu instid0(VALU_DEP_2) | instskip(NEXT) | instid1(VALU_DEP_2)
	v_add_f64_e32 v[14:15], v[34:35], v[14:15]
	v_add_f64_e64 v[24:25], v[24:25], -v[26:27]
	s_delay_alu instid0(VALU_DEP_2) | instskip(SKIP_1) | instid1(VALU_DEP_2)
	v_mul_f64_e32 v[14:15], v[22:23], v[14:15]
	v_mul_f64_e32 v[22:23], v[4:5], v[4:5]
	v_add_f64_e32 v[14:15], v[24:25], v[14:15]
	v_mul_f64_e32 v[24:25], v[8:9], v[8:9]
	s_delay_alu instid0(VALU_DEP_3) | instskip(SKIP_3) | instid1(VALU_DEP_4)
	v_fmamk_f64 v[30:31], v[22:23], 0x3de5e0b2f9a43bb8, v[28:29]
	v_mul_f64_e32 v[34:35], 0.5, v[22:23]
	v_fmamk_f64 v[48:49], v[22:23], 0xbda907db46cc5e42, v[36:37]
	v_mul_f64_e64 v[66:67], v[4:5], -v[22:23]
	v_fmaak_f64 v[30:31], v[22:23], v[30:31], 0x3ec71de3796cde01
	s_delay_alu instid0(VALU_DEP_1) | instskip(NEXT) | instid1(VALU_DEP_1)
	v_fmaak_f64 v[30:31], v[22:23], v[30:31], 0xbf2a01a019e83e5c
	v_fmaak_f64 v[30:31], v[22:23], v[30:31], 0x3f81111111110bb3
	v_add_f64_e32 v[26:27], v[16:17], v[14:15]
	v_fmac_f64_e32 v[28:29], 0x3de5e0b2f9a43bb8, v[24:25]
	v_fmac_f64_e32 v[36:37], 0xbda907db46cc5e42, v[24:25]
	v_add_f64_e64 v[50:51], -v[34:35], 1.0
	v_fmac_f64_e32 v[64:65], v[66:67], v[30:31]
	v_ldexp_f64 v[32:33], v[26:27], -2
	v_fmac_f64_e32 v[38:39], v[24:25], v[28:29]
	v_mul_f64_e32 v[28:29], 0.5, v[24:25]
	v_add_f64_e64 v[16:17], v[26:27], -v[16:17]
	v_fmac_f64_e32 v[52:53], v[24:25], v[36:37]
	v_add_f64_e64 v[68:69], -v[50:51], 1.0
	v_add_f64_e64 v[26:27], v[18:19], -v[32:33]
	v_fmac_f64_e32 v[54:55], v[24:25], v[38:39]
	v_add_f64_e64 v[36:37], -v[28:29], 1.0
	v_add_f64_e32 v[38:39], v[18:19], v[32:33]
	v_add_f64_e64 v[14:15], v[14:15], -v[16:17]
	v_fmac_f64_e32 v[70:71], v[24:25], v[52:53]
	v_mul_f64_e64 v[52:53], v[8:9], -v[24:25]
	v_add_f64_e64 v[30:31], v[68:69], -v[34:35]
	v_mov_b64_e32 v[34:35], 0xbf56c16c16c16967
	v_add_f64_e64 v[16:17], v[18:19], -v[26:27]
	v_fmac_f64_e32 v[80:81], v[24:25], v[54:55]
	v_add_f64_e64 v[54:55], -v[36:37], 1.0
	v_add_f64_e64 v[18:19], v[38:39], -v[18:19]
	v_ldexp_f64 v[14:15], v[14:15], -2
	v_fmac_f64_e32 v[34:35], v[24:25], v[70:71]
	v_add_f64_e64 v[16:17], v[16:17], -v[32:33]
	v_fmac_f64_e32 v[82:83], v[52:53], v[80:81]
	v_add_f64_e64 v[28:29], v[54:55], -v[28:29]
	v_fma_f64 v[54:55], v[22:23], v[64:65], -v[6:7]
	v_fma_f64 v[6:7], v[4:5], -v[6:7], v[30:31]
	v_fmaak_f64 v[30:31], v[22:23], v[48:49], 0xbe927e4fa17f65f6
	v_mov_b64_e32 v[48:49], 0x3fa5555555555555
	v_add_f64_e64 v[18:19], v[32:33], -v[18:19]
	v_add_f64_e32 v[32:33], v[12:13], v[14:15]
	v_mul_f64_e32 v[64:65], v[24:25], v[24:25]
	v_fmaak_f64 v[30:31], v[22:23], v[30:31], 0x3efa01a019f4ec90
	v_fmac_f64_e32 v[48:49], v[24:25], v[34:35]
	s_delay_alu instid0(VALU_DEP_2)
	v_fmaak_f64 v[30:31], v[22:23], v[30:31], 0xbf56c16c16c16967
	v_add_f64_e32 v[12:13], v[12:13], v[16:17]
	v_mul_f64_e32 v[16:17], v[22:23], v[22:23]
	v_fma_f64 v[28:29], v[8:9], -v[10:11], v[28:29]
	v_fma_f64 v[10:11], v[24:25], v[82:83], -v[10:11]
	v_fmaak_f64 v[22:23], v[22:23], v[30:31], 0x3fa5555555555555
	v_fmac_f64_e32 v[54:55], 0xbfc5555555555555, v[66:67]
	v_add_f64_e32 v[18:19], v[32:33], v[18:19]
	v_add_f64_e64 v[12:13], v[12:13], -v[14:15]
	s_delay_alu instid0(VALU_DEP_4)
	v_fmac_f64_e32 v[6:7], v[16:17], v[22:23]
	v_fmac_f64_e32 v[28:29], v[64:65], v[48:49]
	;; [unrolled: 1-line block ×3, first 2 shown]
	v_add_f64_e64 v[4:5], v[4:5], -v[54:55]
	v_add_f64_e32 v[14:15], v[38:39], v[18:19]
	v_add_f64_e32 v[12:13], v[26:27], v[12:13]
	;; [unrolled: 1-line block ×4, first 2 shown]
	v_dual_add_f64 v[8:9], v[8:9], -v[10:11] :: v_dual_bitop2_b32 v10, 1, v20 bitop3:0x40
	v_xor_b32_e32 v5, 0x80000000, v5
	v_cndmask_b32_e64 v11, v15, 0x7ff00000, s6
	s_delay_alu instid0(VALU_DEP_3) | instskip(SKIP_3) | instid1(VALU_DEP_4)
	v_cmp_eq_u32_e64 s0, 0, v10
	v_and_b32_e32 v10, 0x7fffffff, v1
	v_lshlrev_b32_e32 v15, 30, v20
	v_cndmask_b32_e64 v12, v12, 0, s6
	v_dual_cndmask_b32 v4, v4, v6, s0 :: v_dual_lshlrev_b32 v6, 30, v21
	v_cndmask_b32_e64 v2, v5, v7, s0
	v_dual_cndmask_b32 v7, v17, v9, s2 :: v_dual_cndmask_b32 v5, v16, v8, s2
	s_delay_alu instid0(VALU_DEP_3) | instskip(SKIP_1) | instid1(VALU_DEP_4)
	v_dual_cndmask_b32 v0, v12, v0, vcc_lo :: v_dual_bitop2_b32 v3, v6, v3 bitop3:0x14
	v_cndmask_b32_e64 v6, v13, 0x7ff00000, s6
	v_bitop3_b32 v8, v2, v15, 0x80000000 bitop3:0x78
	v_cndmask_b32_e64 v2, 0, v4, s1
	s_delay_alu instid0(VALU_DEP_4) | instskip(NEXT) | instid1(VALU_DEP_4)
	v_bitop3_b32 v7, v7, v3, 0x80000000 bitop3:0x78
	v_cndmask_b32_e32 v4, v6, v10, vcc_lo
	s_delay_alu instid0(VALU_DEP_4) | instskip(SKIP_4) | instid1(VALU_DEP_3)
	v_cndmask_b32_e64 v3, 0x7ff80000, v8, s1
	v_cndmask_b32_e64 v6, 0, v5, s1
	;; [unrolled: 1-line block ×4, first 2 shown]
	v_bfi_b32 v1, 0x7fffffff, v4, v1
	v_mul_f64_e32 v[4:5], v[10:11], v[2:3]
	s_delay_alu instid0(VALU_DEP_2)
	v_mul_f64_e32 v[6:7], v[0:1], v[6:7]
.LBB79_82:
	s_or_b32 exec_lo, exec_lo, s3
                                        ; implicit-def: $vgpr0_vgpr1
                                        ; implicit-def: $vgpr2_vgpr3
.LBB79_83:
	s_and_not1_saveexec_b32 s0, s5
	s_cbranch_execz .LBB79_85
; %bb.84:
	s_mov_b64 s[2:3], 0xbfe62e42fefa39ef
	s_delay_alu instid0(VALU_DEP_4) | instid1(SALU_CYCLE_1)
	v_add_f64_e64 v[4:5], |v[0:1]|, s[2:3]
	s_mov_b64 s[2:3], 0x3e5ade156a5dcb37
	s_delay_alu instid0(VALU_DEP_1) | instskip(NEXT) | instid1(VALU_DEP_1)
	v_add_f64_e64 v[6:7], v[4:5], -|v[0:1]|
	v_add_f64_e64 v[8:9], v[6:7], -v[4:5]
	v_add_f64_e32 v[6:7], 0x3fe62e42fefa39ef, v[6:7]
	s_delay_alu instid0(VALU_DEP_2) | instskip(NEXT) | instid1(VALU_DEP_1)
	v_add_f64_e64 v[8:9], |v[0:1]|, v[8:9]
	v_add_f64_e64 v[6:7], v[8:9], -v[6:7]
	s_delay_alu instid0(VALU_DEP_1) | instskip(NEXT) | instid1(VALU_DEP_1)
	v_add_f64_e32 v[6:7], 0xbc7abc9e3b39803f, v[6:7]
	v_add_f64_e32 v[8:9], v[4:5], v[6:7]
	s_delay_alu instid0(VALU_DEP_1) | instskip(SKIP_1) | instid1(VALU_DEP_2)
	v_mul_f64_e32 v[10:11], 0x3ff71547652b82fe, v[8:9]
	v_add_f64_e64 v[4:5], v[4:5], -v[8:9]
	v_rndne_f64_e32 v[10:11], v[10:11]
	s_delay_alu instid0(VALU_DEP_2) | instskip(NEXT) | instid1(VALU_DEP_2)
	v_add_f64_e32 v[4:5], v[6:7], v[4:5]
	v_fmamk_f64 v[6:7], v[10:11], 0xbfe62e42fefa3000, v[8:9]
	v_mul_f64_e32 v[8:9], 0xbd53de6af278e000, v[10:11]
	s_delay_alu instid0(VALU_DEP_2) | instskip(NEXT) | instid1(VALU_DEP_1)
	v_add_f64_e32 v[12:13], v[4:5], v[6:7]
	v_add_f64_e32 v[14:15], v[12:13], v[8:9]
	v_add_f64_e64 v[6:7], v[6:7], -v[12:13]
	s_delay_alu instid0(VALU_DEP_2) | instskip(NEXT) | instid1(VALU_DEP_2)
	v_add_f64_e64 v[12:13], v[12:13], -v[14:15]
	v_add_f64_e32 v[4:5], v[4:5], v[6:7]
	s_delay_alu instid0(VALU_DEP_2) | instskip(NEXT) | instid1(VALU_DEP_1)
	v_add_f64_e32 v[6:7], v[12:13], v[8:9]
	v_add_f64_e32 v[4:5], v[4:5], v[6:7]
	v_mul_f64_e32 v[6:7], 0xbac9cc01f97b57a0, v[10:11]
	s_delay_alu instid0(VALU_DEP_2) | instskip(NEXT) | instid1(VALU_DEP_1)
	v_add_f64_e32 v[8:9], v[14:15], v[4:5]
	v_add_f64_e32 v[12:13], v[8:9], v[6:7]
	v_add_f64_e64 v[14:15], v[14:15], -v[8:9]
	s_delay_alu instid0(VALU_DEP_2) | instskip(NEXT) | instid1(VALU_DEP_2)
	v_add_f64_e64 v[8:9], v[8:9], -v[12:13]
	v_add_f64_e32 v[4:5], v[4:5], v[14:15]
	s_delay_alu instid0(VALU_DEP_2) | instskip(NEXT) | instid1(VALU_DEP_1)
	v_add_f64_e32 v[6:7], v[8:9], v[6:7]
	v_add_f64_e32 v[4:5], v[4:5], v[6:7]
	s_delay_alu instid0(VALU_DEP_1) | instskip(NEXT) | instid1(VALU_DEP_1)
	v_add_f64_e32 v[6:7], v[12:13], v[4:5]
	v_add_f64_e64 v[8:9], v[12:13], -v[6:7]
	v_mul_f64_e32 v[12:13], v[6:7], v[6:7]
	s_delay_alu instid0(VALU_DEP_2) | instskip(NEXT) | instid1(VALU_DEP_2)
	v_add_f64_e32 v[4:5], v[4:5], v[8:9]
	v_fma_f64 v[8:9], v[6:7], v[6:7], -v[12:13]
	s_delay_alu instid0(VALU_DEP_2) | instskip(NEXT) | instid1(VALU_DEP_1)
	v_add_f64_e32 v[14:15], v[4:5], v[4:5]
	v_fmac_f64_e32 v[8:9], v[6:7], v[14:15]
	v_fmaak_f64 v[14:15], s[2:3], v[6:7], 0x3e928af3fca7ab0c
	s_mov_b64 s[2:3], 0x408633ce8fb9f87e
	s_delay_alu instid0(SALU_CYCLE_1) | instskip(NEXT) | instid1(VALU_DEP_2)
	v_cmp_nge_f64_e64 vcc_lo, |v[0:1]|, s[2:3]
	v_fmaak_f64 v[14:15], v[6:7], v[14:15], 0x3ec71dee623fde64
	s_delay_alu instid0(VALU_DEP_1) | instskip(NEXT) | instid1(VALU_DEP_1)
	v_fmaak_f64 v[14:15], v[6:7], v[14:15], 0x3efa01997c89e6b0
	v_fmaak_f64 v[14:15], v[6:7], v[14:15], 0x3f2a01a014761f6e
	s_delay_alu instid0(VALU_DEP_1) | instskip(SKIP_1) | instid1(VALU_DEP_2)
	v_fmaak_f64 v[14:15], v[6:7], v[14:15], 0x3f56c16c1852b7b0
	v_add_f64_e32 v[16:17], v[12:13], v[8:9]
	v_fmaak_f64 v[14:15], v[6:7], v[14:15], 0x3f81111111122322
	s_delay_alu instid0(VALU_DEP_1) | instskip(NEXT) | instid1(VALU_DEP_1)
	v_fmaak_f64 v[14:15], v[6:7], v[14:15], 0x3fa55555555502a1
	v_fmaak_f64 v[14:15], v[6:7], v[14:15], 0x3fc5555555555511
	s_delay_alu instid0(VALU_DEP_1) | instskip(SKIP_1) | instid1(VALU_DEP_2)
	v_fmaak_f64 v[14:15], v[6:7], v[14:15], 0x3fe000000000000b
	v_add_f64_e64 v[12:13], v[16:17], -v[12:13]
	v_mul_f64_e32 v[18:19], v[16:17], v[14:15]
	s_delay_alu instid0(VALU_DEP_2) | instskip(NEXT) | instid1(VALU_DEP_2)
	v_add_f64_e64 v[8:9], v[8:9], -v[12:13]
	v_fma_f64 v[12:13], v[16:17], v[14:15], -v[18:19]
	s_delay_alu instid0(VALU_DEP_1) | instskip(NEXT) | instid1(VALU_DEP_1)
	v_fmac_f64_e32 v[12:13], v[8:9], v[14:15]
	v_add_f64_e32 v[8:9], v[18:19], v[12:13]
	s_delay_alu instid0(VALU_DEP_1) | instskip(SKIP_1) | instid1(VALU_DEP_2)
	v_add_f64_e32 v[14:15], v[6:7], v[8:9]
	v_add_f64_e64 v[16:17], v[8:9], -v[18:19]
	v_add_f64_e64 v[6:7], v[14:15], -v[6:7]
	s_delay_alu instid0(VALU_DEP_2) | instskip(SKIP_1) | instid1(VALU_DEP_3)
	v_add_f64_e64 v[12:13], v[12:13], -v[16:17]
	v_cvt_i32_f64_e32 v16, v[10:11]
	v_add_f64_e64 v[6:7], v[8:9], -v[6:7]
	s_delay_alu instid0(VALU_DEP_3) | instskip(NEXT) | instid1(VALU_DEP_1)
	v_add_f64_e32 v[4:5], v[4:5], v[12:13]
	v_add_f64_e32 v[4:5], v[4:5], v[6:7]
	s_delay_alu instid0(VALU_DEP_1) | instskip(NEXT) | instid1(VALU_DEP_1)
	v_add_f64_e32 v[6:7], v[14:15], v[4:5]
	v_add_f64_e32 v[8:9], 1.0, v[6:7]
	v_add_f64_e64 v[12:13], v[6:7], -v[14:15]
	s_delay_alu instid0(VALU_DEP_2) | instskip(NEXT) | instid1(VALU_DEP_2)
	v_add_f64_e32 v[14:15], -1.0, v[8:9]
	v_add_f64_e64 v[4:5], v[4:5], -v[12:13]
	s_delay_alu instid0(VALU_DEP_2) | instskip(NEXT) | instid1(VALU_DEP_1)
	v_add_f64_e64 v[6:7], v[6:7], -v[14:15]
	v_add_f64_e32 v[4:5], v[4:5], v[6:7]
	s_delay_alu instid0(VALU_DEP_1) | instskip(NEXT) | instid1(VALU_DEP_1)
	v_add_f64_e32 v[6:7], v[8:9], v[4:5]
	v_ldexp_f64 v[10:11], v[6:7], v16
	v_add_f64_e64 v[6:7], v[6:7], -v[8:9]
	s_delay_alu instid0(VALU_DEP_2) | instskip(NEXT) | instid1(VALU_DEP_1)
	v_rcp_f64_e32 v[12:13], v[10:11]
	v_add_f64_e64 v[4:5], v[4:5], -v[6:7]
	s_delay_alu instid0(VALU_DEP_1) | instskip(NEXT) | instid1(TRANS32_DEP_1)
	v_ldexp_f64 v[4:5], v[4:5], v16
	v_fma_f64 v[14:15], -v[10:11], v[12:13], 1.0
	s_delay_alu instid0(VALU_DEP_1) | instskip(NEXT) | instid1(VALU_DEP_1)
	v_fmac_f64_e32 v[12:13], v[14:15], v[12:13]
	v_fma_f64 v[14:15], -v[10:11], v[12:13], 1.0
	s_delay_alu instid0(VALU_DEP_1) | instskip(NEXT) | instid1(VALU_DEP_1)
	v_fmac_f64_e32 v[12:13], v[14:15], v[12:13]
	v_mul_f64_e32 v[6:7], v[10:11], v[12:13]
	s_delay_alu instid0(VALU_DEP_1) | instskip(NEXT) | instid1(VALU_DEP_1)
	v_fma_f64 v[8:9], v[12:13], v[10:11], -v[6:7]
	v_fmac_f64_e32 v[8:9], v[12:13], v[4:5]
	s_delay_alu instid0(VALU_DEP_1) | instskip(NEXT) | instid1(VALU_DEP_1)
	v_add_f64_e32 v[14:15], v[6:7], v[8:9]
	v_add_f64_e64 v[16:17], -v[14:15], 1.0
	v_add_f64_e64 v[6:7], v[14:15], -v[6:7]
	s_delay_alu instid0(VALU_DEP_2) | instskip(NEXT) | instid1(VALU_DEP_2)
	v_add_f64_e64 v[18:19], -v[16:17], 1.0
	v_add_f64_e64 v[6:7], v[6:7], -v[8:9]
	s_delay_alu instid0(VALU_DEP_2) | instskip(NEXT) | instid1(VALU_DEP_1)
	v_add_f64_e64 v[8:9], v[18:19], -v[14:15]
	v_add_f64_e32 v[6:7], v[6:7], v[8:9]
	s_delay_alu instid0(VALU_DEP_1) | instskip(NEXT) | instid1(VALU_DEP_1)
	v_add_f64_e32 v[8:9], v[16:17], v[6:7]
	v_mul_f64_e32 v[14:15], v[12:13], v[8:9]
	v_add_f64_e64 v[16:17], v[16:17], -v[8:9]
	s_delay_alu instid0(VALU_DEP_2) | instskip(NEXT) | instid1(VALU_DEP_2)
	v_mul_f64_e32 v[18:19], v[10:11], v[14:15]
	v_add_f64_e32 v[6:7], v[6:7], v[16:17]
	s_delay_alu instid0(VALU_DEP_2) | instskip(NEXT) | instid1(VALU_DEP_1)
	v_fma_f64 v[20:21], v[14:15], v[10:11], -v[18:19]
	v_fmac_f64_e32 v[20:21], v[14:15], v[4:5]
	s_delay_alu instid0(VALU_DEP_1) | instskip(NEXT) | instid1(VALU_DEP_1)
	v_add_f64_e32 v[22:23], v[18:19], v[20:21]
	v_add_f64_e64 v[24:25], v[8:9], -v[22:23]
	v_add_f64_e64 v[16:17], v[22:23], -v[18:19]
	s_delay_alu instid0(VALU_DEP_2) | instskip(NEXT) | instid1(VALU_DEP_2)
	v_add_f64_e64 v[8:9], v[8:9], -v[24:25]
	v_add_f64_e64 v[16:17], v[16:17], -v[20:21]
	s_delay_alu instid0(VALU_DEP_2) | instskip(NEXT) | instid1(VALU_DEP_1)
	v_add_f64_e64 v[8:9], v[8:9], -v[22:23]
	v_add_f64_e32 v[6:7], v[6:7], v[8:9]
	v_add_f64_e32 v[8:9], v[12:13], v[14:15]
	s_delay_alu instid0(VALU_DEP_2) | instskip(NEXT) | instid1(VALU_DEP_2)
	v_add_f64_e32 v[6:7], v[16:17], v[6:7]
	v_add_f64_e64 v[16:17], v[8:9], -v[12:13]
	s_delay_alu instid0(VALU_DEP_2) | instskip(NEXT) | instid1(VALU_DEP_2)
	v_add_f64_e32 v[6:7], v[24:25], v[6:7]
	v_add_f64_e64 v[14:15], v[14:15], -v[16:17]
	s_delay_alu instid0(VALU_DEP_2) | instskip(NEXT) | instid1(VALU_DEP_1)
	v_mul_f64_e32 v[6:7], v[12:13], v[6:7]
	v_add_f64_e32 v[6:7], v[14:15], v[6:7]
	s_delay_alu instid0(VALU_DEP_1) | instskip(NEXT) | instid1(VALU_DEP_1)
	v_add_f64_e32 v[12:13], v[8:9], v[6:7]
	v_ldexp_f64 v[14:15], v[12:13], -2
	v_add_f64_e64 v[8:9], v[12:13], -v[8:9]
	s_delay_alu instid0(VALU_DEP_2) | instskip(NEXT) | instid1(VALU_DEP_2)
	v_add_f64_e32 v[12:13], v[10:11], v[14:15]
	v_add_f64_e64 v[6:7], v[6:7], -v[8:9]
	s_delay_alu instid0(VALU_DEP_2) | instskip(NEXT) | instid1(VALU_DEP_2)
	v_add_f64_e64 v[8:9], v[12:13], -v[10:11]
	v_ldexp_f64 v[6:7], v[6:7], -2
	s_delay_alu instid0(VALU_DEP_2) | instskip(NEXT) | instid1(VALU_DEP_2)
	v_add_f64_e64 v[8:9], v[14:15], -v[8:9]
	v_add_f64_e32 v[4:5], v[4:5], v[6:7]
	v_mul_f64_e32 v[6:7], v[0:1], v[2:3]
	s_delay_alu instid0(VALU_DEP_2) | instskip(NEXT) | instid1(VALU_DEP_1)
	v_add_f64_e32 v[4:5], v[4:5], v[8:9]
	v_add_f64_e32 v[4:5], v[12:13], v[4:5]
	s_delay_alu instid0(VALU_DEP_1) | instskip(NEXT) | instid1(VALU_DEP_2)
	v_cndmask_b32_e32 v5, 0x7ff00000, v5, vcc_lo
	v_cndmask_b32_e32 v4, 0, v4, vcc_lo
.LBB79_85:
	s_or_b32 exec_lo, exec_lo, s0
.LBB79_86:
	s_delay_alu instid0(SALU_CYCLE_1) | instskip(NEXT) | instid1(VALU_DEP_1)
	s_or_b32 exec_lo, exec_lo, s4
	v_dual_mov_b32 v0, v4 :: v_dual_mov_b32 v1, v5
	s_delay_alu instid0(VALU_DEP_2)
	v_dual_mov_b32 v2, v6 :: v_dual_mov_b32 v3, v7
	s_set_pc_i64 s[30:31]
.Lfunc_end79:
	.size	_ZN6thrust23THRUST_200600_302600_NS6detail7complex5ccoshERKNS0_7complexIdEE, .Lfunc_end79-_ZN6thrust23THRUST_200600_302600_NS6detail7complex5ccoshERKNS0_7complexIdEE
                                        ; -- End function
	.set .L_ZN6thrust23THRUST_200600_302600_NS6detail7complex5ccoshERKNS0_7complexIdEE.num_vgpr, 84
	.set .L_ZN6thrust23THRUST_200600_302600_NS6detail7complex5ccoshERKNS0_7complexIdEE.num_agpr, 0
	.set .L_ZN6thrust23THRUST_200600_302600_NS6detail7complex5ccoshERKNS0_7complexIdEE.numbered_sgpr, 32
	.set .L_ZN6thrust23THRUST_200600_302600_NS6detail7complex5ccoshERKNS0_7complexIdEE.num_named_barrier, 0
	.set .L_ZN6thrust23THRUST_200600_302600_NS6detail7complex5ccoshERKNS0_7complexIdEE.private_seg_size, 0
	.set .L_ZN6thrust23THRUST_200600_302600_NS6detail7complex5ccoshERKNS0_7complexIdEE.uses_vcc, 1
	.set .L_ZN6thrust23THRUST_200600_302600_NS6detail7complex5ccoshERKNS0_7complexIdEE.uses_flat_scratch, 0
	.set .L_ZN6thrust23THRUST_200600_302600_NS6detail7complex5ccoshERKNS0_7complexIdEE.has_dyn_sized_stack, 0
	.set .L_ZN6thrust23THRUST_200600_302600_NS6detail7complex5ccoshERKNS0_7complexIdEE.has_recursion, 0
	.set .L_ZN6thrust23THRUST_200600_302600_NS6detail7complex5ccoshERKNS0_7complexIdEE.has_indirect_call, 0
	.section	.AMDGPU.csdata,"",@progbits
; Function info:
; codeLenInByte = 15316
; TotalNumSgprs: 34
; NumVgprs: 84
; ScratchSize: 0
; MemoryBound: 0
	.section	.text._ZN2at6native12_GLOBAL__N_125multi_tensor_apply_kernelINS1_18TensorListMetadataILi2EEENS1_14UnaryOpFunctorIN3c107complexIdEELi2ELi1ELi1EEEJNS0_4CoshIS8_EEEEEvT_T0_DpT1_,"axG",@progbits,_ZN2at6native12_GLOBAL__N_125multi_tensor_apply_kernelINS1_18TensorListMetadataILi2EEENS1_14UnaryOpFunctorIN3c107complexIdEELi2ELi1ELi1EEEJNS0_4CoshIS8_EEEEEvT_T0_DpT1_,comdat
	.globl	_ZN2at6native12_GLOBAL__N_125multi_tensor_apply_kernelINS1_18TensorListMetadataILi2EEENS1_14UnaryOpFunctorIN3c107complexIdEELi2ELi1ELi1EEEJNS0_4CoshIS8_EEEEEvT_T0_DpT1_ ; -- Begin function _ZN2at6native12_GLOBAL__N_125multi_tensor_apply_kernelINS1_18TensorListMetadataILi2EEENS1_14UnaryOpFunctorIN3c107complexIdEELi2ELi1ELi1EEEJNS0_4CoshIS8_EEEEEvT_T0_DpT1_
	.p2align	8
	.type	_ZN2at6native12_GLOBAL__N_125multi_tensor_apply_kernelINS1_18TensorListMetadataILi2EEENS1_14UnaryOpFunctorIN3c107complexIdEELi2ELi1ELi1EEEJNS0_4CoshIS8_EEEEEvT_T0_DpT1_,@function
_ZN2at6native12_GLOBAL__N_125multi_tensor_apply_kernelINS1_18TensorListMetadataILi2EEENS1_14UnaryOpFunctorIN3c107complexIdEELi2ELi1ELi1EEEJNS0_4CoshIS8_EEEEEvT_T0_DpT1_: ; @_ZN2at6native12_GLOBAL__N_125multi_tensor_apply_kernelINS1_18TensorListMetadataILi2EEENS1_14UnaryOpFunctorIN3c107complexIdEELi2ELi1ELi1EEEJNS0_4CoshIS8_EEEEEvT_T0_DpT1_
; %bb.0:
	s_mov_b64 s[10:11], s[0:1]
	s_bfe_u32 s0, ttmp6, 0x4000c
	s_and_b32 s1, ttmp6, 15
	s_add_co_i32 s0, s0, 1
	s_getreg_b32 s2, hwreg(HW_REG_IB_STS2, 6, 4)
	s_mul_i32 s0, ttmp9, s0
	v_mov_b32_e32 v60, v0
	s_add_co_i32 s1, s1, s0
	s_cmp_eq_u32 s2, 0
	s_mov_b32 s32, 0
	s_cselect_b32 s0, ttmp9, s1
	s_mov_b32 s1, 0
	s_load_u8 s14, s[10:11], s0 offset:0x600
	s_add_nc_u64 s[2:3], s[10:11], s[0:1]
	s_mul_u64 s[4:5], s[0:1], 3
	s_delay_alu instid0(SALU_CYCLE_1)
	s_add_nc_u64 s[2:3], s[2:3], s[4:5]
	s_load_b32 s4, s[2:3], 0x740
	s_wait_kmcnt 0x0
	s_clause 0x2
	s_load_b64 s[6:7], s[10:11], s14 offset:0x0 scale_offset
	s_load_b64 s[8:9], s[10:11], s14 offset:0x200 scale_offset
	;; [unrolled: 1-line block ×3, first 2 shown]
	s_ashr_i32 s5, s4, 31
	s_delay_alu instid0(SALU_CYCLE_1)
	s_lshl_b64 s[2:3], s[4:5], 20
	s_lshl_b64 s[4:5], s[4:5], 16
	s_wait_kmcnt 0x0
	s_add_nc_u64 s[16:17], s[8:9], s[2:3]
	s_add_nc_u64 s[14:15], s[6:7], s[2:3]
	s_and_b32 s2, s12, 3
	s_and_b64 s[6:7], s[16:17], 63
	s_mov_b32 s3, s1
	s_and_b32 s0, s14, 63
	s_or_b64 s[2:3], s[6:7], s[2:3]
	s_sub_nc_u64 s[12:13], s[12:13], s[4:5]
	s_or_b64 s[0:1], s[2:3], s[0:1]
	s_delay_alu instid0(SALU_CYCLE_1)
	s_cmp_eq_u64 s[0:1], 0
	s_mov_b32 s0, -1
	s_cbranch_scc0 .LBB80_5
; %bb.1:
	v_min_i64 v[62:63], 0x10000, s[12:13]
	v_dual_mov_b32 v77, 0 :: v_dual_lshlrev_b32 v76, 2, v60
	s_mov_b32 s28, exec_lo
	s_delay_alu instid0(VALU_DEP_1)
	v_cmpx_lt_i64_e64 v[76:77], v[62:63]
	s_cbranch_execz .LBB80_4
; %bb.2:
	s_load_b32 s0, s[10:11], 0xc5c
	v_dual_mov_b32 v61, v77 :: v_dual_lshlrev_b32 v76, 6, v60
	s_mov_b32 s19, 0
	s_mov_b64 s[22:23], s[14:15]
	s_mov_b32 s25, s19
	s_delay_alu instid0(VALU_DEP_1)
	v_mov_b64_e32 v[78:79], v[60:61]
	s_mov_b32 s29, s19
	s_mov_b64 s[26:27], s[16:17]
	s_get_pc_i64 s[20:21]
	s_add_nc_u64 s[20:21], s[20:21], _ZN6thrust23THRUST_200600_302600_NS6detail7complex5ccoshERKNS0_7complexIdEE@rel64+4
	s_wait_kmcnt 0x0
	s_and_b32 s18, s0, 0xffff
	s_delay_alu instid0(SALU_CYCLE_1)
	s_lshl_b32 s24, s18, 6
.LBB80_3:                               ; =>This Inner Loop Header: Depth=1
	v_add_nc_u64_e32 v[4:5], s[22:23], v[76:77]
	s_clause 0x3
	global_load_b128 v[0:3], v[4:5], off
	global_load_b128 v[40:43], v[4:5], off offset:16
	global_load_b128 v[44:47], v[4:5], off offset:48
	;; [unrolled: 1-line block ×3, first 2 shown]
	s_swap_pc_i64 s[30:31], s[20:21]
	v_dual_mov_b32 v72, v0 :: v_dual_mov_b32 v73, v1
	v_dual_mov_b32 v74, v2 :: v_dual_mov_b32 v75, v3
	;; [unrolled: 1-line block ×4, first 2 shown]
	s_swap_pc_i64 s[30:31], s[20:21]
	s_delay_alu instid0(VALU_DEP_2) | instskip(NEXT) | instid1(VALU_DEP_2)
	v_dual_mov_b32 v40, v0 :: v_dual_mov_b32 v41, v1
	v_dual_mov_b32 v42, v2 :: v_dual_mov_b32 v43, v3
	;; [unrolled: 1-line block ×4, first 2 shown]
	s_swap_pc_i64 s[30:31], s[20:21]
	s_delay_alu instid0(VALU_DEP_2) | instskip(NEXT) | instid1(VALU_DEP_2)
	v_dual_mov_b32 v56, v0 :: v_dual_mov_b32 v57, v1
	v_dual_mov_b32 v58, v2 :: v_dual_mov_b32 v59, v3
	;; [unrolled: 1-line block ×4, first 2 shown]
	s_swap_pc_i64 s[30:31], s[20:21]
	v_add_nc_u64_e32 v[78:79], s[18:19], v[78:79]
	s_add_nc_u64 s[22:23], s[22:23], s[24:25]
	s_wait_xcnt 0x0
	s_delay_alu instid0(VALU_DEP_1) | instskip(NEXT) | instid1(VALU_DEP_1)
	v_lshlrev_b64_e32 v[4:5], 2, v[78:79]
	v_cmp_ge_i64_e32 vcc_lo, v[4:5], v[62:63]
	v_add_nc_u64_e32 v[4:5], s[26:27], v[76:77]
	s_add_nc_u64 s[26:27], s[26:27], s[24:25]
	s_clause 0x1
	global_store_b128 v[4:5], v[72:75], off
	global_store_b128 v[4:5], v[40:43], off offset:16
	s_or_b32 s29, vcc_lo, s29
	s_clause 0x1
	global_store_b128 v[4:5], v[56:59], off offset:32
	global_store_b128 v[4:5], v[0:3], off offset:48
	s_wait_xcnt 0x0
	s_and_not1_b32 exec_lo, exec_lo, s29
	s_cbranch_execnz .LBB80_3
.LBB80_4:
	s_or_b32 exec_lo, exec_lo, s28
	s_mov_b32 s0, 0
.LBB80_5:
	s_delay_alu instid0(SALU_CYCLE_1)
	s_and_not1_b32 vcc_lo, exec_lo, s0
	s_cbranch_vccnz .LBB80_25
; %bb.6:
	v_cmp_lt_i64_e64 s0, s[12:13], 1
	s_and_b32 vcc_lo, exec_lo, s0
	s_cbranch_vccnz .LBB80_25
; %bb.7:
	v_min_i64 v[62:63], 0x10000, s[12:13]
	v_min_u64 v[72:73], 0x10000, s[12:13]
	s_load_b32 s0, s[10:11], 0xc5c
	v_mov_b32_e32 v61, 0
	s_mov_b32 s19, 0
	s_mov_b64 s[28:29], 0
	s_mov_b32 s21, s19
	s_mov_b32 s23, s19
	;; [unrolled: 1-line block ×3, first 2 shown]
	s_get_pc_i64 s[24:25]
	s_add_nc_u64 s[24:25], s[24:25], _ZN6thrust23THRUST_200600_302600_NS6detail7complex5ccoshERKNS0_7complexIdEE@rel64+4
	s_wait_kmcnt 0x0
	s_and_b32 s18, s0, 0xffff
	s_delay_alu instid0(SALU_CYCLE_1)
	s_lshl_b32 s20, s18, 1
	s_mul_i32 s22, s18, 3
	s_lshl_b32 s26, s18, 2
	s_branch .LBB80_9
.LBB80_8:                               ;   in Loop: Header=BB80_9 Depth=1
	s_wait_xcnt 0x0
	s_or_b32 exec_lo, exec_lo, s11
	s_add_nc_u64 s[28:29], s[28:29], s[26:27]
	s_delay_alu instid0(SALU_CYCLE_1)
	v_cmp_ge_i64_e32 vcc_lo, s[28:29], v[62:63]
	s_cbranch_vccnz .LBB80_25
.LBB80_9:                               ; =>This Inner Loop Header: Depth=1
	v_add_nc_u64_e32 v[84:85], s[28:29], v[60:61]
	s_wait_loadcnt 0x0
	v_mov_b64_e32 v[46:47], 0
	v_mov_b64_e32 v[2:3], 0
	;; [unrolled: 1-line block ×3, first 2 shown]
	s_delay_alu instid0(VALU_DEP_4)
	v_cmp_lt_u64_e32 vcc_lo, v[84:85], v[72:73]
	s_and_saveexec_b32 s0, vcc_lo
	s_cbranch_execz .LBB80_11
; %bb.10:                               ;   in Loop: Header=BB80_9 Depth=1
	v_lshl_add_u64 v[0:1], v[84:85], 4, s[14:15]
	global_load_b128 v[0:3], v[0:1], off
.LBB80_11:                              ;   in Loop: Header=BB80_9 Depth=1
	s_wait_xcnt 0x0
	s_or_b32 exec_lo, exec_lo, s0
	v_add_nc_u64_e32 v[78:79], s[18:19], v[84:85]
	v_mov_b64_e32 v[44:45], 0
	s_delay_alu instid0(VALU_DEP_2)
	v_cmp_lt_u64_e64 s12, v[78:79], v[72:73]
	s_and_saveexec_b32 s0, s12
	s_cbranch_execz .LBB80_13
; %bb.12:                               ;   in Loop: Header=BB80_9 Depth=1
	v_lshl_add_u64 v[4:5], v[78:79], 4, s[14:15]
	global_load_b128 v[44:47], v[4:5], off
.LBB80_13:                              ;   in Loop: Header=BB80_9 Depth=1
	s_wait_xcnt 0x0
	s_or_b32 exec_lo, exec_lo, s0
	v_add_nc_u64_e32 v[76:77], s[20:21], v[84:85]
	v_mov_b64_e32 v[42:43], 0
	v_mov_b64_e32 v[58:59], 0
	;; [unrolled: 1-line block ×3, first 2 shown]
	s_delay_alu instid0(VALU_DEP_4)
	v_cmp_lt_u64_e64 s11, v[76:77], v[72:73]
	s_and_saveexec_b32 s0, s11
	s_cbranch_execz .LBB80_15
; %bb.14:                               ;   in Loop: Header=BB80_9 Depth=1
	v_lshl_add_u64 v[4:5], v[76:77], 4, s[14:15]
	global_load_b128 v[56:59], v[4:5], off
.LBB80_15:                              ;   in Loop: Header=BB80_9 Depth=1
	s_wait_xcnt 0x0
	s_or_b32 exec_lo, exec_lo, s0
	v_add_nc_u64_e32 v[74:75], s[22:23], v[84:85]
	v_mov_b64_e32 v[40:41], 0
	s_delay_alu instid0(VALU_DEP_2)
	v_cmp_lt_u64_e64 s10, v[74:75], v[72:73]
	s_and_saveexec_b32 s0, s10
	s_cbranch_execnz .LBB80_20
; %bb.16:                               ;   in Loop: Header=BB80_9 Depth=1
	s_or_b32 exec_lo, exec_lo, s0
	s_and_saveexec_b32 s13, vcc_lo
	s_cbranch_execnz .LBB80_21
.LBB80_17:                              ;   in Loop: Header=BB80_9 Depth=1
	s_or_b32 exec_lo, exec_lo, s13
	s_and_saveexec_b32 s13, s12
	s_cbranch_execnz .LBB80_22
.LBB80_18:                              ;   in Loop: Header=BB80_9 Depth=1
	s_or_b32 exec_lo, exec_lo, s13
	s_and_saveexec_b32 s12, s11
	s_cbranch_execnz .LBB80_23
.LBB80_19:                              ;   in Loop: Header=BB80_9 Depth=1
	s_or_b32 exec_lo, exec_lo, s12
	s_and_saveexec_b32 s11, s10
	s_cbranch_execz .LBB80_8
	s_branch .LBB80_24
.LBB80_20:                              ;   in Loop: Header=BB80_9 Depth=1
	v_lshl_add_u64 v[4:5], v[74:75], 4, s[14:15]
	global_load_b128 v[40:43], v[4:5], off
	s_wait_xcnt 0x0
	s_or_b32 exec_lo, exec_lo, s0
	s_and_saveexec_b32 s13, vcc_lo
	s_cbranch_execz .LBB80_17
.LBB80_21:                              ;   in Loop: Header=BB80_9 Depth=1
	s_swap_pc_i64 s[30:31], s[24:25]
	v_lshl_add_u64 v[4:5], v[84:85], 4, s[16:17]
	global_store_b128 v[4:5], v[0:3], off
	s_wait_xcnt 0x0
	s_or_b32 exec_lo, exec_lo, s13
	s_and_saveexec_b32 s13, s12
	s_cbranch_execz .LBB80_18
.LBB80_22:                              ;   in Loop: Header=BB80_9 Depth=1
	s_wait_loadcnt 0x0
	v_dual_mov_b32 v0, v44 :: v_dual_mov_b32 v1, v45
	v_dual_mov_b32 v2, v46 :: v_dual_mov_b32 v3, v47
	s_swap_pc_i64 s[30:31], s[24:25]
	v_lshl_add_u64 v[4:5], v[78:79], 4, s[16:17]
	global_store_b128 v[4:5], v[0:3], off
	s_wait_xcnt 0x0
	s_or_b32 exec_lo, exec_lo, s13
	s_and_saveexec_b32 s12, s11
	s_cbranch_execz .LBB80_19
.LBB80_23:                              ;   in Loop: Header=BB80_9 Depth=1
	s_wait_loadcnt 0x0
	v_dual_mov_b32 v0, v56 :: v_dual_mov_b32 v1, v57
	v_dual_mov_b32 v2, v58 :: v_dual_mov_b32 v3, v59
	s_swap_pc_i64 s[30:31], s[24:25]
	v_lshl_add_u64 v[4:5], v[76:77], 4, s[16:17]
	global_store_b128 v[4:5], v[0:3], off
	s_wait_xcnt 0x0
	s_or_b32 exec_lo, exec_lo, s12
	s_and_saveexec_b32 s11, s10
	s_cbranch_execz .LBB80_8
.LBB80_24:                              ;   in Loop: Header=BB80_9 Depth=1
	s_wait_loadcnt 0x0
	v_dual_mov_b32 v0, v40 :: v_dual_mov_b32 v1, v41
	v_dual_mov_b32 v2, v42 :: v_dual_mov_b32 v3, v43
	s_swap_pc_i64 s[30:31], s[24:25]
	v_lshl_add_u64 v[4:5], v[74:75], 4, s[16:17]
	global_store_b128 v[4:5], v[0:3], off
	s_branch .LBB80_8
.LBB80_25:
	s_endpgm
	.section	.rodata,"a",@progbits
	.p2align	6, 0x0
	.amdhsa_kernel _ZN2at6native12_GLOBAL__N_125multi_tensor_apply_kernelINS1_18TensorListMetadataILi2EEENS1_14UnaryOpFunctorIN3c107complexIdEELi2ELi1ELi1EEEJNS0_4CoshIS8_EEEEEvT_T0_DpT1_
		.amdhsa_group_segment_fixed_size 0
		.amdhsa_private_segment_fixed_size 0
		.amdhsa_kernarg_size 3408
		.amdhsa_user_sgpr_count 2
		.amdhsa_user_sgpr_dispatch_ptr 0
		.amdhsa_user_sgpr_queue_ptr 0
		.amdhsa_user_sgpr_kernarg_segment_ptr 1
		.amdhsa_user_sgpr_dispatch_id 0
		.amdhsa_user_sgpr_kernarg_preload_length 0
		.amdhsa_user_sgpr_kernarg_preload_offset 0
		.amdhsa_user_sgpr_private_segment_size 0
		.amdhsa_wavefront_size32 1
		.amdhsa_uses_dynamic_stack 0
		.amdhsa_enable_private_segment 0
		.amdhsa_system_sgpr_workgroup_id_x 1
		.amdhsa_system_sgpr_workgroup_id_y 0
		.amdhsa_system_sgpr_workgroup_id_z 0
		.amdhsa_system_sgpr_workgroup_info 0
		.amdhsa_system_vgpr_workitem_id 0
		.amdhsa_next_free_vgpr 86
		.amdhsa_next_free_sgpr 33
		.amdhsa_named_barrier_count 0
		.amdhsa_reserve_vcc 1
		.amdhsa_float_round_mode_32 0
		.amdhsa_float_round_mode_16_64 0
		.amdhsa_float_denorm_mode_32 3
		.amdhsa_float_denorm_mode_16_64 3
		.amdhsa_fp16_overflow 0
		.amdhsa_memory_ordered 1
		.amdhsa_forward_progress 1
		.amdhsa_inst_pref_size 10
		.amdhsa_round_robin_scheduling 0
		.amdhsa_exception_fp_ieee_invalid_op 0
		.amdhsa_exception_fp_denorm_src 0
		.amdhsa_exception_fp_ieee_div_zero 0
		.amdhsa_exception_fp_ieee_overflow 0
		.amdhsa_exception_fp_ieee_underflow 0
		.amdhsa_exception_fp_ieee_inexact 0
		.amdhsa_exception_int_div_zero 0
	.end_amdhsa_kernel
	.section	.text._ZN2at6native12_GLOBAL__N_125multi_tensor_apply_kernelINS1_18TensorListMetadataILi2EEENS1_14UnaryOpFunctorIN3c107complexIdEELi2ELi1ELi1EEEJNS0_4CoshIS8_EEEEEvT_T0_DpT1_,"axG",@progbits,_ZN2at6native12_GLOBAL__N_125multi_tensor_apply_kernelINS1_18TensorListMetadataILi2EEENS1_14UnaryOpFunctorIN3c107complexIdEELi2ELi1ELi1EEEJNS0_4CoshIS8_EEEEEvT_T0_DpT1_,comdat
.Lfunc_end80:
	.size	_ZN2at6native12_GLOBAL__N_125multi_tensor_apply_kernelINS1_18TensorListMetadataILi2EEENS1_14UnaryOpFunctorIN3c107complexIdEELi2ELi1ELi1EEEJNS0_4CoshIS8_EEEEEvT_T0_DpT1_, .Lfunc_end80-_ZN2at6native12_GLOBAL__N_125multi_tensor_apply_kernelINS1_18TensorListMetadataILi2EEENS1_14UnaryOpFunctorIN3c107complexIdEELi2ELi1ELi1EEEJNS0_4CoshIS8_EEEEEvT_T0_DpT1_
                                        ; -- End function
	.set _ZN2at6native12_GLOBAL__N_125multi_tensor_apply_kernelINS1_18TensorListMetadataILi2EEENS1_14UnaryOpFunctorIN3c107complexIdEELi2ELi1ELi1EEEJNS0_4CoshIS8_EEEEEvT_T0_DpT1_.num_vgpr, max(86, .L_ZN6thrust23THRUST_200600_302600_NS6detail7complex5ccoshERKNS0_7complexIdEE.num_vgpr)
	.set _ZN2at6native12_GLOBAL__N_125multi_tensor_apply_kernelINS1_18TensorListMetadataILi2EEENS1_14UnaryOpFunctorIN3c107complexIdEELi2ELi1ELi1EEEJNS0_4CoshIS8_EEEEEvT_T0_DpT1_.num_agpr, max(0, .L_ZN6thrust23THRUST_200600_302600_NS6detail7complex5ccoshERKNS0_7complexIdEE.num_agpr)
	.set _ZN2at6native12_GLOBAL__N_125multi_tensor_apply_kernelINS1_18TensorListMetadataILi2EEENS1_14UnaryOpFunctorIN3c107complexIdEELi2ELi1ELi1EEEJNS0_4CoshIS8_EEEEEvT_T0_DpT1_.numbered_sgpr, max(33, .L_ZN6thrust23THRUST_200600_302600_NS6detail7complex5ccoshERKNS0_7complexIdEE.numbered_sgpr)
	.set _ZN2at6native12_GLOBAL__N_125multi_tensor_apply_kernelINS1_18TensorListMetadataILi2EEENS1_14UnaryOpFunctorIN3c107complexIdEELi2ELi1ELi1EEEJNS0_4CoshIS8_EEEEEvT_T0_DpT1_.num_named_barrier, max(0, .L_ZN6thrust23THRUST_200600_302600_NS6detail7complex5ccoshERKNS0_7complexIdEE.num_named_barrier)
	.set _ZN2at6native12_GLOBAL__N_125multi_tensor_apply_kernelINS1_18TensorListMetadataILi2EEENS1_14UnaryOpFunctorIN3c107complexIdEELi2ELi1ELi1EEEJNS0_4CoshIS8_EEEEEvT_T0_DpT1_.private_seg_size, 0+max(.L_ZN6thrust23THRUST_200600_302600_NS6detail7complex5ccoshERKNS0_7complexIdEE.private_seg_size)
	.set _ZN2at6native12_GLOBAL__N_125multi_tensor_apply_kernelINS1_18TensorListMetadataILi2EEENS1_14UnaryOpFunctorIN3c107complexIdEELi2ELi1ELi1EEEJNS0_4CoshIS8_EEEEEvT_T0_DpT1_.uses_vcc, or(1, .L_ZN6thrust23THRUST_200600_302600_NS6detail7complex5ccoshERKNS0_7complexIdEE.uses_vcc)
	.set _ZN2at6native12_GLOBAL__N_125multi_tensor_apply_kernelINS1_18TensorListMetadataILi2EEENS1_14UnaryOpFunctorIN3c107complexIdEELi2ELi1ELi1EEEJNS0_4CoshIS8_EEEEEvT_T0_DpT1_.uses_flat_scratch, or(0, .L_ZN6thrust23THRUST_200600_302600_NS6detail7complex5ccoshERKNS0_7complexIdEE.uses_flat_scratch)
	.set _ZN2at6native12_GLOBAL__N_125multi_tensor_apply_kernelINS1_18TensorListMetadataILi2EEENS1_14UnaryOpFunctorIN3c107complexIdEELi2ELi1ELi1EEEJNS0_4CoshIS8_EEEEEvT_T0_DpT1_.has_dyn_sized_stack, or(0, .L_ZN6thrust23THRUST_200600_302600_NS6detail7complex5ccoshERKNS0_7complexIdEE.has_dyn_sized_stack)
	.set _ZN2at6native12_GLOBAL__N_125multi_tensor_apply_kernelINS1_18TensorListMetadataILi2EEENS1_14UnaryOpFunctorIN3c107complexIdEELi2ELi1ELi1EEEJNS0_4CoshIS8_EEEEEvT_T0_DpT1_.has_recursion, or(0, .L_ZN6thrust23THRUST_200600_302600_NS6detail7complex5ccoshERKNS0_7complexIdEE.has_recursion)
	.set _ZN2at6native12_GLOBAL__N_125multi_tensor_apply_kernelINS1_18TensorListMetadataILi2EEENS1_14UnaryOpFunctorIN3c107complexIdEELi2ELi1ELi1EEEJNS0_4CoshIS8_EEEEEvT_T0_DpT1_.has_indirect_call, or(0, .L_ZN6thrust23THRUST_200600_302600_NS6detail7complex5ccoshERKNS0_7complexIdEE.has_indirect_call)
	.section	.AMDGPU.csdata,"",@progbits
; Kernel info:
; codeLenInByte = 1264
; TotalNumSgprs: 35
; NumVgprs: 86
; ScratchSize: 0
; MemoryBound: 1
; FloatMode: 240
; IeeeMode: 1
; LDSByteSize: 0 bytes/workgroup (compile time only)
; SGPRBlocks: 0
; VGPRBlocks: 5
; NumSGPRsForWavesPerEU: 35
; NumVGPRsForWavesPerEU: 86
; NamedBarCnt: 0
; Occupancy: 10
; WaveLimiterHint : 0
; COMPUTE_PGM_RSRC2:SCRATCH_EN: 0
; COMPUTE_PGM_RSRC2:USER_SGPR: 2
; COMPUTE_PGM_RSRC2:TRAP_HANDLER: 0
; COMPUTE_PGM_RSRC2:TGID_X_EN: 1
; COMPUTE_PGM_RSRC2:TGID_Y_EN: 0
; COMPUTE_PGM_RSRC2:TGID_Z_EN: 0
; COMPUTE_PGM_RSRC2:TIDIG_COMP_CNT: 0
	.text
	.p2align	2                               ; -- Begin function _ZN6thrust23THRUST_200600_302600_NS6detail7complex6ccoshfERKNS0_7complexIfEE
	.type	_ZN6thrust23THRUST_200600_302600_NS6detail7complex6ccoshfERKNS0_7complexIfEE,@function
_ZN6thrust23THRUST_200600_302600_NS6detail7complex6ccoshfERKNS0_7complexIfEE: ; @_ZN6thrust23THRUST_200600_302600_NS6detail7complex6ccoshfERKNS0_7complexIfEE
; %bb.0:
	s_wait_loadcnt_dscnt 0x0
	s_wait_kmcnt 0x0
	v_and_b32_e32 v4, 0x7fffffff, v0
	v_and_b32_e32 v5, 0x7fffffff, v1
	s_delay_alu instid0(VALU_DEP_2) | instskip(NEXT) | instid1(VALU_DEP_2)
	v_cmp_gt_u32_e64 s0, 0x7f800000, v4
	v_max_u32_e32 v2, v4, v5
	s_delay_alu instid0(VALU_DEP_1) | instskip(SKIP_1) | instid1(SALU_CYCLE_1)
	v_cmp_lt_u32_e32 vcc_lo, 0x7f7fffff, v2
                                        ; implicit-def: $vgpr3
	s_and_saveexec_b32 s1, vcc_lo
	s_xor_b32 s5, exec_lo, s1
	s_cbranch_execz .LBB81_10
; %bb.1:
	v_cmp_ne_u32_e64 s1, 0, v4
	v_cmp_gt_u32_e32 vcc_lo, 0x7f800000, v5
	v_cmp_lt_u32_e64 s2, 0x7f7fffff, v5
                                        ; implicit-def: $vgpr3
	s_or_b32 s1, s1, vcc_lo
	s_delay_alu instid0(SALU_CYCLE_1) | instskip(NEXT) | instid1(SALU_CYCLE_1)
	s_and_saveexec_b32 s3, s1
	s_xor_b32 s6, exec_lo, s3
	s_cbranch_execz .LBB81_81
; %bb.2:
	v_cmp_ne_u32_e64 s3, 0, v5
	v_cmp_gt_u32_e64 s4, 0x7f800000, v4
	v_cmp_lt_u32_e64 s1, 0x7f7fffff, v4
                                        ; implicit-def: $vgpr3
	s_or_b32 s3, s3, s4
	s_delay_alu instid0(SALU_CYCLE_1) | instskip(NEXT) | instid1(SALU_CYCLE_1)
	s_and_saveexec_b32 s4, s3
	s_xor_b32 s3, exec_lo, s4
	s_cbranch_execz .LBB81_74
; %bb.3:
	s_and_b32 s0, s0, s2
                                        ; implicit-def: $vgpr3
	s_delay_alu instid0(SALU_CYCLE_1) | instskip(NEXT) | instid1(SALU_CYCLE_1)
	s_xor_b32 s0, s0, -1
	s_and_saveexec_b32 s2, s0
	s_delay_alu instid0(SALU_CYCLE_1)
	s_xor_b32 s2, exec_lo, s2
	s_cbranch_execz .LBB81_71
; %bb.4:
	v_and_b32_e32 v2, 0x7fffff, v0
	s_xor_b32 s1, s1, -1
	s_delay_alu instid0(VALU_DEP_1) | instskip(SKIP_2) | instid1(SALU_CYCLE_1)
	v_cmp_ne_u32_e64 s0, 0, v2
	v_mul_f32_e32 v3, v0, v0
	s_or_b32 s0, s1, s0
	s_and_saveexec_b32 s1, s0
	s_delay_alu instid0(SALU_CYCLE_1)
	s_xor_b32 s0, exec_lo, s1
; %bb.5:
	v_dual_sub_f32 v4, v1, v1 :: v_dual_add_f32 v2, v0, v0
                                        ; implicit-def: $vgpr1
                                        ; implicit-def: $vgpr0
	s_delay_alu instid0(VALU_DEP_1)
	v_pk_mul_f32 v[2:3], v[2:3], v[4:5] op_sel_hi:[1,0]
                                        ; implicit-def: $vgpr5
; %bb.6:
	s_and_not1_saveexec_b32 s4, s0
	s_cbranch_execz .LBB81_70
; %bb.7:
	s_and_saveexec_b32 s0, vcc_lo
	s_delay_alu instid0(SALU_CYCLE_1)
	s_xor_b32 s7, exec_lo, s0
	s_cbranch_execz .LBB81_67
; %bb.8:
	v_cmp_ngt_f32_e64 s8, 0x48000000, |v1|
                                        ; implicit-def: $vgpr4
                                        ; implicit-def: $vgpr2
	s_and_saveexec_b32 s0, s8
	s_delay_alu instid0(SALU_CYCLE_1)
	s_xor_b32 s9, exec_lo, s0
	s_cbranch_execz .LBB81_60
; %bb.9:
	s_mov_b32 s0, 0x7fffff
	v_mov_b32_e32 v7, 0
	v_and_or_b32 v6, v5, s0, 0x800000
	s_mov_b64 s[0:1], 0xfe5163ab
	v_lshrrev_b32_e32 v2, 23, v5
	s_delay_alu instid0(VALU_DEP_2) | instskip(NEXT) | instid1(VALU_DEP_1)
	v_mul_u64_e32 v[8:9], s[0:1], v[6:7]
	v_dual_mov_b32 v10, v9 :: v_dual_mov_b32 v11, v7
	v_dual_mov_b32 v13, v7 :: v_dual_mov_b32 v15, v7
	s_delay_alu instid0(VALU_DEP_4) | instskip(SKIP_1) | instid1(VALU_DEP_4)
	v_dual_mov_b32 v17, v7 :: v_dual_add_nc_u32 v2, 0xffffff88, v2
	v_mov_b32_e32 v21, v7
	v_mad_nc_u64_u32 v[10:11], 0x3c439041, v6, v[10:11]
	s_delay_alu instid0(VALU_DEP_3) | instskip(SKIP_1) | instid1(VALU_DEP_3)
	v_cmp_lt_u32_e32 vcc_lo, 63, v2
	v_cndmask_b32_e64 v4, 0, 0xffffffc0, vcc_lo
	v_mov_b32_e32 v12, v11
	s_delay_alu instid0(VALU_DEP_1) | instskip(NEXT) | instid1(VALU_DEP_1)
	v_mad_nc_u64_u32 v[12:13], 0xdb629599, v6, v[12:13]
	v_dual_mov_b32 v14, v13 :: v_dual_cndmask_b32 v8, v12, v8, vcc_lo
	s_delay_alu instid0(VALU_DEP_1) | instskip(NEXT) | instid1(VALU_DEP_1)
	v_mad_nc_u64_u32 v[14:15], 0xf534ddc0, v6, v[14:15]
	v_mov_b32_e32 v16, v15
	s_delay_alu instid0(VALU_DEP_1) | instskip(NEXT) | instid1(VALU_DEP_1)
	v_mad_nc_u64_u32 v[16:17], 0xfc2757d1, v6, v[16:17]
	v_dual_mov_b32 v19, v7 :: v_dual_mov_b32 v18, v17
	s_delay_alu instid0(VALU_DEP_2) | instskip(NEXT) | instid1(VALU_DEP_2)
	v_cndmask_b32_e32 v11, v16, v12, vcc_lo
	v_mad_nc_u64_u32 v[18:19], 0x4e441529, v6, v[18:19]
	s_delay_alu instid0(VALU_DEP_1) | instskip(NEXT) | instid1(VALU_DEP_1)
	v_dual_add_nc_u32 v2, v4, v2 :: v_dual_mov_b32 v20, v19
	v_cmp_lt_u32_e64 s0, 31, v2
	s_delay_alu instid0(VALU_DEP_3) | instskip(NEXT) | instid1(VALU_DEP_3)
	v_cndmask_b32_e32 v9, v18, v14, vcc_lo
	v_mad_nc_u64_u32 v[6:7], 0xa2f9836e, v6, v[20:21]
	s_delay_alu instid0(VALU_DEP_3) | instskip(NEXT) | instid1(VALU_DEP_1)
	v_cndmask_b32_e64 v4, 0, 0xffffffe0, s0
	v_dual_add_nc_u32 v2, v4, v2 :: v_dual_cndmask_b32 v6, v6, v16, vcc_lo
	s_delay_alu instid0(VALU_DEP_1) | instskip(NEXT) | instid1(VALU_DEP_4)
	v_cmp_lt_u32_e64 s1, 31, v2
	v_cndmask_b32_e32 v7, v7, v18, vcc_lo
	s_delay_alu instid0(VALU_DEP_2) | instskip(NEXT) | instid1(VALU_DEP_1)
	v_cndmask_b32_e64 v4, 0, 0xffffffe0, s1
	v_add_nc_u32_e32 v2, v4, v2
	v_cndmask_b32_e32 v4, v14, v10, vcc_lo
	s_delay_alu instid0(VALU_DEP_4) | instskip(NEXT) | instid1(VALU_DEP_3)
	v_dual_cndmask_b32 v10, v6, v9, s0 :: v_dual_cndmask_b32 v6, v7, v6, s0
	v_dual_cndmask_b32 v7, v9, v11, s0 :: v_dual_sub_nc_u32 v9, 32, v2
	s_delay_alu instid0(VALU_DEP_3) | instskip(SKIP_1) | instid1(VALU_DEP_4)
	v_cndmask_b32_e64 v11, v11, v4, s0
	v_cmp_eq_u32_e32 vcc_lo, 0, v2
	v_cndmask_b32_e64 v6, v6, v10, s1
	s_delay_alu instid0(VALU_DEP_4) | instskip(NEXT) | instid1(VALU_DEP_4)
	v_cndmask_b32_e64 v10, v10, v7, s1
	v_dual_cndmask_b32 v7, v7, v11, s1 :: v_dual_cndmask_b32 v4, v4, v8, s0
	s_delay_alu instid0(VALU_DEP_2) | instskip(NEXT) | instid1(VALU_DEP_2)
	v_alignbit_b32 v13, v6, v10, v9
	v_alignbit_b32 v12, v10, v7, v9
	s_delay_alu instid0(VALU_DEP_2) | instskip(NEXT) | instid1(VALU_DEP_2)
	v_dual_cndmask_b32 v4, v11, v4, s1 :: v_dual_cndmask_b32 v2, v13, v6, vcc_lo
	v_cndmask_b32_e32 v6, v12, v10, vcc_lo
	s_delay_alu instid0(VALU_DEP_2) | instskip(NEXT) | instid1(VALU_DEP_3)
	v_alignbit_b32 v9, v7, v4, v9
	v_bfe_u32 v8, v2, 29, 1
	s_delay_alu instid0(VALU_DEP_3) | instskip(NEXT) | instid1(VALU_DEP_2)
	v_alignbit_b32 v10, v2, v6, 30
	v_dual_cndmask_b32 v7, v9, v7, vcc_lo :: v_dual_sub_nc_u32 v11, 0, v8
	s_delay_alu instid0(VALU_DEP_1) | instskip(SKIP_1) | instid1(VALU_DEP_3)
	v_alignbit_b32 v6, v6, v7, 30
	v_alignbit_b32 v4, v7, v4, 30
	v_xor_b32_e32 v10, v10, v11
	s_delay_alu instid0(VALU_DEP_3) | instskip(NEXT) | instid1(VALU_DEP_3)
	v_xor_b32_e32 v6, v6, v11
	v_xor_b32_e32 v4, v4, v11
	s_delay_alu instid0(VALU_DEP_3) | instskip(SKIP_1) | instid1(VALU_DEP_2)
	v_clz_i32_u32_e32 v9, v10
	v_lshrrev_b32_e32 v11, 29, v2
	v_min_u32_e32 v9, 32, v9
	s_delay_alu instid0(VALU_DEP_1) | instskip(NEXT) | instid1(VALU_DEP_1)
	v_dual_sub_nc_u32 v7, 31, v9 :: v_dual_lshlrev_b32 v12, 23, v9
	v_alignbit_b32 v10, v10, v6, v7
	v_alignbit_b32 v4, v6, v4, v7
	v_lshlrev_b32_e32 v6, 31, v11
	s_delay_alu instid0(VALU_DEP_2) | instskip(NEXT) | instid1(VALU_DEP_2)
	v_alignbit_b32 v7, v10, v4, 9
	v_or_b32_e32 v11, 0.5, v6
	v_lshrrev_b32_e32 v10, 9, v10
	v_or_b32_e32 v6, 0x33000000, v6
	s_delay_alu instid0(VALU_DEP_4) | instskip(NEXT) | instid1(VALU_DEP_4)
	v_clz_i32_u32_e32 v13, v7
	v_sub_nc_u32_e32 v11, v11, v12
	s_delay_alu instid0(VALU_DEP_2) | instskip(NEXT) | instid1(VALU_DEP_2)
	v_min_u32_e32 v12, 32, v13
	v_or_b32_e32 v10, v10, v11
	s_delay_alu instid0(VALU_DEP_2) | instskip(SKIP_1) | instid1(VALU_DEP_2)
	v_not_b32_e32 v11, v12
	v_add_lshl_u32 v9, v12, v9, 23
	v_alignbit_b32 v4, v7, v4, v11
	s_delay_alu instid0(VALU_DEP_1) | instskip(SKIP_1) | instid1(VALU_DEP_2)
	v_dual_sub_nc_u32 v6, v6, v9 :: v_dual_lshrrev_b32 v4, 9, v4
	v_mul_f32_e32 v13, 0x3fc90fda, v10
	v_or_b32_e32 v4, v6, v4
	s_delay_alu instid0(VALU_DEP_2) | instskip(NEXT) | instid1(VALU_DEP_1)
	v_fma_f32 v7, 0x3fc90fda, v10, -v13
	v_fmamk_f32 v7, v10, 0x33a22168, v7
	s_delay_alu instid0(VALU_DEP_1) | instskip(NEXT) | instid1(VALU_DEP_1)
	v_dual_fmac_f32 v7, 0x3fc90fda, v4 :: v_dual_lshrrev_b32 v4, 30, v2
	v_dual_add_nc_u32 v4, v8, v4 :: v_dual_add_f32 v2, v13, v7
	s_and_not1_saveexec_b32 s0, s9
	s_branch .LBB81_61
.LBB81_10:
	s_and_not1_saveexec_b32 s2, s5
	s_cbranch_execz .LBB81_84
.LBB81_11:
                                        ; implicit-def: $vgpr3
	s_mov_b32 s0, exec_lo
	v_cmpx_ne_u32_e32 0, v5
	s_xor_b32 s3, exec_lo, s0
	s_cbranch_execz .LBB81_57
; %bb.12:
                                        ; implicit-def: $vgpr3
	s_mov_b32 s0, exec_lo
	v_cmpx_lt_u32_e32 0x410fffff, v4
	s_xor_b32 s4, exec_lo, s0
	s_cbranch_execz .LBB81_46
; %bb.13:
                                        ; implicit-def: $vgpr3
	s_mov_b32 s0, exec_lo
	v_cmpx_lt_u32_e32 0x42b17217, v4
	;; [unrolled: 6-line block ×3, first 2 shown]
	s_xor_b32 s6, exec_lo, s0
	s_cbranch_execz .LBB81_24
; %bb.15:
	v_cmp_ngt_f32_e64 s7, 0x48000000, |v1|
                                        ; implicit-def: $vgpr3
                                        ; implicit-def: $vgpr2
	s_and_saveexec_b32 s0, s7
	s_delay_alu instid0(SALU_CYCLE_1)
	s_xor_b32 s8, exec_lo, s0
	s_cbranch_execz .LBB81_17
; %bb.16:
	s_mov_b32 s0, 0x7fffff
	v_mov_b32_e32 v3, 0
	v_and_or_b32 v2, v5, s0, 0x800000
	s_mov_b64 s[0:1], 0xfe5163ab
	v_lshrrev_b32_e32 v4, 23, v5
	s_delay_alu instid0(VALU_DEP_2) | instskip(NEXT) | instid1(VALU_DEP_1)
	v_mul_u64_e32 v[6:7], s[0:1], v[2:3]
	v_dual_mov_b32 v8, v7 :: v_dual_mov_b32 v9, v3
	v_dual_mov_b32 v11, v3 :: v_dual_mov_b32 v13, v3
	s_delay_alu instid0(VALU_DEP_4) | instskip(SKIP_1) | instid1(VALU_DEP_4)
	v_dual_mov_b32 v15, v3 :: v_dual_add_nc_u32 v4, 0xffffff88, v4
	v_mov_b32_e32 v19, v3
	v_mad_nc_u64_u32 v[8:9], 0x3c439041, v2, v[8:9]
	s_delay_alu instid0(VALU_DEP_3) | instskip(SKIP_1) | instid1(VALU_DEP_3)
	v_cmp_lt_u32_e32 vcc_lo, 63, v4
	v_cndmask_b32_e64 v7, 0, 0xffffffc0, vcc_lo
	v_mov_b32_e32 v10, v9
	s_delay_alu instid0(VALU_DEP_1) | instskip(NEXT) | instid1(VALU_DEP_1)
	v_mad_nc_u64_u32 v[10:11], 0xdb629599, v2, v[10:11]
	v_dual_mov_b32 v12, v11 :: v_dual_cndmask_b32 v6, v10, v6, vcc_lo
	s_delay_alu instid0(VALU_DEP_1) | instskip(NEXT) | instid1(VALU_DEP_1)
	v_mad_nc_u64_u32 v[12:13], 0xf534ddc0, v2, v[12:13]
	v_mov_b32_e32 v14, v13
	s_delay_alu instid0(VALU_DEP_1) | instskip(NEXT) | instid1(VALU_DEP_1)
	v_mad_nc_u64_u32 v[14:15], 0xfc2757d1, v2, v[14:15]
	v_dual_mov_b32 v17, v3 :: v_dual_mov_b32 v16, v15
	s_delay_alu instid0(VALU_DEP_2) | instskip(NEXT) | instid1(VALU_DEP_2)
	v_cndmask_b32_e32 v11, v14, v10, vcc_lo
	v_mad_nc_u64_u32 v[16:17], 0x4e441529, v2, v[16:17]
	s_delay_alu instid0(VALU_DEP_1) | instskip(NEXT) | instid1(VALU_DEP_1)
	v_dual_add_nc_u32 v4, v7, v4 :: v_dual_mov_b32 v18, v17
	v_cmp_lt_u32_e64 s0, 31, v4
	s_delay_alu instid0(VALU_DEP_3) | instskip(NEXT) | instid1(VALU_DEP_3)
	v_cndmask_b32_e32 v9, v16, v12, vcc_lo
	v_mad_nc_u64_u32 v[2:3], 0xa2f9836e, v2, v[18:19]
	s_delay_alu instid0(VALU_DEP_3) | instskip(NEXT) | instid1(VALU_DEP_1)
	v_cndmask_b32_e64 v7, 0, 0xffffffe0, s0
	v_dual_add_nc_u32 v4, v7, v4 :: v_dual_cndmask_b32 v2, v2, v14, vcc_lo
	s_delay_alu instid0(VALU_DEP_1) | instskip(NEXT) | instid1(VALU_DEP_4)
	v_cmp_lt_u32_e64 s1, 31, v4
	v_cndmask_b32_e32 v3, v3, v16, vcc_lo
	s_delay_alu instid0(VALU_DEP_2) | instskip(NEXT) | instid1(VALU_DEP_1)
	v_cndmask_b32_e64 v7, 0, 0xffffffe0, s1
	v_add_nc_u32_e32 v4, v7, v4
	v_dual_cndmask_b32 v7, v12, v8, vcc_lo :: v_dual_cndmask_b32 v8, v2, v9, s0
	s_delay_alu instid0(VALU_DEP_4) | instskip(NEXT) | instid1(VALU_DEP_2)
	v_dual_cndmask_b32 v2, v3, v2, s0 :: v_dual_cndmask_b32 v3, v9, v11, s0
	v_dual_sub_nc_u32 v9, 32, v4 :: v_dual_cndmask_b32 v11, v11, v7, s0
	v_cmp_eq_u32_e32 vcc_lo, 0, v4
	s_delay_alu instid0(VALU_DEP_3) | instskip(SKIP_1) | instid1(VALU_DEP_4)
	v_dual_cndmask_b32 v2, v2, v8, s1 :: v_dual_cndmask_b32 v8, v8, v3, s1
	v_cndmask_b32_e64 v4, v7, v6, s0
	v_cndmask_b32_e64 v3, v3, v11, s1
	s_delay_alu instid0(VALU_DEP_3) | instskip(NEXT) | instid1(VALU_DEP_2)
	v_alignbit_b32 v12, v2, v8, v9
	v_alignbit_b32 v10, v8, v3, v9
	s_delay_alu instid0(VALU_DEP_1) | instskip(NEXT) | instid1(VALU_DEP_1)
	v_dual_cndmask_b32 v2, v12, v2, vcc_lo :: v_dual_cndmask_b32 v6, v10, v8, vcc_lo
	v_bfe_u32 v7, v2, 29, 1
	s_delay_alu instid0(VALU_DEP_2) | instskip(NEXT) | instid1(VALU_DEP_2)
	v_alignbit_b32 v8, v2, v6, 30
	v_dual_sub_nc_u32 v10, 0, v7 :: v_dual_cndmask_b32 v4, v11, v4, s1
	s_delay_alu instid0(VALU_DEP_1) | instskip(NEXT) | instid1(VALU_DEP_2)
	v_xor_b32_e32 v8, v8, v10
	v_alignbit_b32 v9, v3, v4, v9
	s_delay_alu instid0(VALU_DEP_1) | instskip(NEXT) | instid1(VALU_DEP_3)
	v_cndmask_b32_e32 v3, v9, v3, vcc_lo
	v_clz_i32_u32_e32 v9, v8
	s_delay_alu instid0(VALU_DEP_2) | instskip(NEXT) | instid1(VALU_DEP_2)
	v_alignbit_b32 v6, v6, v3, 30
	v_min_u32_e32 v9, 32, v9
	v_alignbit_b32 v3, v3, v4, 30
	s_delay_alu instid0(VALU_DEP_2) | instskip(NEXT) | instid1(VALU_DEP_2)
	v_dual_sub_nc_u32 v6, 31, v9 :: v_dual_bitop2_b32 v4, v6, v10 bitop3:0x14
	v_xor_b32_e32 v3, v3, v10
	v_dual_lshrrev_b32 v10, 29, v2 :: v_dual_lshlrev_b32 v11, 23, v9
	s_delay_alu instid0(VALU_DEP_3) | instskip(NEXT) | instid1(VALU_DEP_3)
	v_alignbit_b32 v8, v8, v4, v6
	v_alignbit_b32 v3, v4, v3, v6
	s_delay_alu instid0(VALU_DEP_3) | instskip(NEXT) | instid1(VALU_DEP_2)
	v_lshlrev_b32_e32 v4, 31, v10
	v_alignbit_b32 v6, v8, v3, 9
	s_delay_alu instid0(VALU_DEP_2) | instskip(SKIP_1) | instid1(VALU_DEP_3)
	v_or_b32_e32 v10, 0.5, v4
	v_lshrrev_b32_e32 v8, 9, v8
	v_clz_i32_u32_e32 v12, v6
	s_delay_alu instid0(VALU_DEP_3) | instskip(SKIP_1) | instid1(VALU_DEP_3)
	v_sub_nc_u32_e32 v10, v10, v11
	v_or_b32_e32 v4, 0x33000000, v4
	v_min_u32_e32 v11, 32, v12
	s_delay_alu instid0(VALU_DEP_3) | instskip(NEXT) | instid1(VALU_DEP_2)
	v_or_b32_e32 v8, v8, v10
	v_not_b32_e32 v10, v11
	s_delay_alu instid0(VALU_DEP_2) | instskip(SKIP_1) | instid1(VALU_DEP_3)
	v_mul_f32_e32 v12, 0x3fc90fda, v8
	v_add_lshl_u32 v9, v11, v9, 23
	v_alignbit_b32 v3, v6, v3, v10
	s_delay_alu instid0(VALU_DEP_3) | instskip(NEXT) | instid1(VALU_DEP_2)
	v_fma_f32 v6, 0x3fc90fda, v8, -v12
	v_dual_sub_nc_u32 v4, v4, v9 :: v_dual_lshrrev_b32 v3, 9, v3
	s_delay_alu instid0(VALU_DEP_2) | instskip(NEXT) | instid1(VALU_DEP_2)
	v_fmamk_f32 v6, v8, 0x33a22168, v6
	v_or_b32_e32 v3, v4, v3
	s_delay_alu instid0(VALU_DEP_1) | instskip(NEXT) | instid1(VALU_DEP_1)
	v_dual_fmac_f32 v6, 0x3fc90fda, v3 :: v_dual_lshrrev_b32 v3, 30, v2
	v_dual_add_f32 v2, v12, v6 :: v_dual_add_nc_u32 v3, v7, v3
	s_and_not1_saveexec_b32 s0, s8
	s_branch .LBB81_18
.LBB81_17:
	s_and_not1_saveexec_b32 s0, s8
.LBB81_18:
	v_mul_f32_e64 v2, 0x3f22f983, |v1|
	s_delay_alu instid0(VALU_DEP_1) | instskip(NEXT) | instid1(VALU_DEP_1)
	v_rndne_f32_e32 v3, v2
	v_fma_f32 v2, 0xbfc90fda, v3, |v1|
	s_delay_alu instid0(VALU_DEP_1) | instskip(NEXT) | instid1(VALU_DEP_1)
	v_fmamk_f32 v2, v3, 0xb3a22168, v2
	v_fmamk_f32 v2, v3, 0xa7c234c4, v2
	v_cvt_i32_f32_e32 v3, v3
; %bb.19:
	s_or_b32 exec_lo, exec_lo, s0
                                        ; implicit-def: $vgpr6
                                        ; implicit-def: $vgpr4
	s_and_saveexec_b32 s0, s7
	s_delay_alu instid0(SALU_CYCLE_1)
	s_xor_b32 s7, exec_lo, s0
	s_cbranch_execz .LBB81_21
; %bb.20:
	s_mov_b32 s0, 0x7fffff
	v_mov_b32_e32 v7, 0
	v_and_or_b32 v6, v5, s0, 0x800000
	s_mov_b64 s[0:1], 0xfe5163ab
	v_lshrrev_b32_e32 v4, 23, v5
	s_delay_alu instid0(VALU_DEP_2) | instskip(NEXT) | instid1(VALU_DEP_1)
	v_mul_u64_e32 v[8:9], s[0:1], v[6:7]
	v_dual_mov_b32 v10, v9 :: v_dual_mov_b32 v11, v7
	v_dual_mov_b32 v13, v7 :: v_dual_mov_b32 v15, v7
	s_delay_alu instid0(VALU_DEP_4) | instskip(SKIP_1) | instid1(VALU_DEP_4)
	v_dual_mov_b32 v17, v7 :: v_dual_add_nc_u32 v4, 0xffffff88, v4
	v_mov_b32_e32 v21, v7
	v_mad_nc_u64_u32 v[10:11], 0x3c439041, v6, v[10:11]
	s_delay_alu instid0(VALU_DEP_3) | instskip(SKIP_1) | instid1(VALU_DEP_3)
	v_cmp_lt_u32_e32 vcc_lo, 63, v4
	v_cndmask_b32_e64 v9, 0, 0xffffffc0, vcc_lo
	v_mov_b32_e32 v12, v11
	s_delay_alu instid0(VALU_DEP_1) | instskip(NEXT) | instid1(VALU_DEP_1)
	v_mad_nc_u64_u32 v[12:13], 0xdb629599, v6, v[12:13]
	v_dual_mov_b32 v14, v13 :: v_dual_cndmask_b32 v8, v12, v8, vcc_lo
	s_delay_alu instid0(VALU_DEP_1) | instskip(NEXT) | instid1(VALU_DEP_1)
	v_mad_nc_u64_u32 v[14:15], 0xf534ddc0, v6, v[14:15]
	v_mov_b32_e32 v16, v15
	s_delay_alu instid0(VALU_DEP_1) | instskip(NEXT) | instid1(VALU_DEP_1)
	v_mad_nc_u64_u32 v[16:17], 0xfc2757d1, v6, v[16:17]
	v_dual_mov_b32 v19, v7 :: v_dual_mov_b32 v18, v17
	s_delay_alu instid0(VALU_DEP_2) | instskip(NEXT) | instid1(VALU_DEP_2)
	v_cndmask_b32_e32 v13, v16, v12, vcc_lo
	v_mad_nc_u64_u32 v[18:19], 0x4e441529, v6, v[18:19]
	s_delay_alu instid0(VALU_DEP_1) | instskip(NEXT) | instid1(VALU_DEP_1)
	v_dual_add_nc_u32 v4, v9, v4 :: v_dual_mov_b32 v20, v19
	v_cmp_lt_u32_e64 s0, 31, v4
	s_delay_alu instid0(VALU_DEP_3) | instskip(NEXT) | instid1(VALU_DEP_3)
	v_cndmask_b32_e32 v11, v18, v14, vcc_lo
	v_mad_nc_u64_u32 v[6:7], 0xa2f9836e, v6, v[20:21]
	s_delay_alu instid0(VALU_DEP_3) | instskip(NEXT) | instid1(VALU_DEP_1)
	v_cndmask_b32_e64 v9, 0, 0xffffffe0, s0
	v_add_nc_u32_e32 v4, v9, v4
	s_delay_alu instid0(VALU_DEP_1) | instskip(NEXT) | instid1(VALU_DEP_4)
	v_cmp_lt_u32_e64 s1, 31, v4
	v_dual_cndmask_b32 v6, v6, v16 :: v_dual_cndmask_b32 v7, v7, v18
	s_delay_alu instid0(VALU_DEP_2) | instskip(NEXT) | instid1(VALU_DEP_1)
	v_cndmask_b32_e64 v9, 0, 0xffffffe0, s1
	v_dual_cndmask_b32 v9, v14, v10 :: v_dual_add_nc_u32 v4, v9, v4
	s_delay_alu instid0(VALU_DEP_3) | instskip(NEXT) | instid1(VALU_DEP_2)
	v_dual_cndmask_b32 v10, v6, v11, s0 :: v_dual_cndmask_b32 v6, v7, v6, s0
	v_dual_cndmask_b32 v7, v11, v13, s0 :: v_dual_sub_nc_u32 v11, 32, v4
	s_delay_alu instid0(VALU_DEP_3) | instskip(SKIP_1) | instid1(VALU_DEP_4)
	v_cndmask_b32_e64 v13, v13, v9, s0
	v_cmp_eq_u32_e32 vcc_lo, 0, v4
	v_cndmask_b32_e64 v6, v6, v10, s1
	s_delay_alu instid0(VALU_DEP_3) | instskip(NEXT) | instid1(VALU_DEP_1)
	v_dual_cndmask_b32 v10, v10, v7, s1 :: v_dual_cndmask_b32 v7, v7, v13, s1
	v_alignbit_b32 v14, v6, v10, v11
	s_delay_alu instid0(VALU_DEP_2) | instskip(NEXT) | instid1(VALU_DEP_2)
	v_alignbit_b32 v12, v10, v7, v11
	v_dual_cndmask_b32 v4, v14, v6, vcc_lo :: v_dual_cndmask_b32 v6, v9, v8, s0
	s_delay_alu instid0(VALU_DEP_1) | instskip(NEXT) | instid1(VALU_DEP_1)
	v_bfe_u32 v9, v4, 29, 1
	v_dual_cndmask_b32 v8, v12, v10, vcc_lo :: v_dual_sub_nc_u32 v12, 0, v9
	s_delay_alu instid0(VALU_DEP_1) | instskip(NEXT) | instid1(VALU_DEP_1)
	v_alignbit_b32 v10, v4, v8, 30
	v_dual_cndmask_b32 v6, v13, v6, s1 :: v_dual_bitop2_b32 v10, v10, v12 bitop3:0x14
	s_delay_alu instid0(VALU_DEP_1) | instskip(NEXT) | instid1(VALU_DEP_1)
	v_alignbit_b32 v11, v7, v6, v11
	v_cndmask_b32_e32 v7, v11, v7, vcc_lo
	s_delay_alu instid0(VALU_DEP_3) | instskip(NEXT) | instid1(VALU_DEP_2)
	v_clz_i32_u32_e32 v11, v10
	v_alignbit_b32 v6, v7, v6, 30
	s_delay_alu instid0(VALU_DEP_2) | instskip(NEXT) | instid1(VALU_DEP_2)
	v_min_u32_e32 v11, 32, v11
	v_xor_b32_e32 v6, v6, v12
	v_alignbit_b32 v8, v8, v7, 30
	s_delay_alu instid0(VALU_DEP_1) | instskip(SKIP_1) | instid1(VALU_DEP_1)
	v_dual_lshlrev_b32 v13, 23, v11 :: v_dual_bitop2_b32 v7, v8, v12 bitop3:0x14
	v_dual_sub_nc_u32 v8, 31, v11 :: v_dual_lshrrev_b32 v12, 29, v4
	v_alignbit_b32 v10, v10, v7, v8
	v_alignbit_b32 v6, v7, v6, v8
	s_delay_alu instid0(VALU_DEP_3) | instskip(NEXT) | instid1(VALU_DEP_2)
	v_lshlrev_b32_e32 v7, 31, v12
	v_alignbit_b32 v8, v10, v6, 9
	s_delay_alu instid0(VALU_DEP_2) | instskip(NEXT) | instid1(VALU_DEP_2)
	v_dual_lshrrev_b32 v10, 9, v10 :: v_dual_bitop2_b32 v12, 0.5, v7 bitop3:0x54
	v_clz_i32_u32_e32 v14, v8
	s_delay_alu instid0(VALU_DEP_2) | instskip(SKIP_1) | instid1(VALU_DEP_3)
	v_sub_nc_u32_e32 v12, v12, v13
	v_or_b32_e32 v7, 0x33000000, v7
	v_min_u32_e32 v13, 32, v14
	s_delay_alu instid0(VALU_DEP_1) | instskip(NEXT) | instid1(VALU_DEP_4)
	v_add_lshl_u32 v11, v13, v11, 23
	v_or_b32_e32 v10, v10, v12
	v_not_b32_e32 v12, v13
	s_delay_alu instid0(VALU_DEP_2) | instskip(NEXT) | instid1(VALU_DEP_2)
	v_dual_mul_f32 v14, 0x3fc90fda, v10 :: v_dual_sub_nc_u32 v7, v7, v11
	v_alignbit_b32 v6, v8, v6, v12
	s_delay_alu instid0(VALU_DEP_2) | instskip(NEXT) | instid1(VALU_DEP_2)
	v_fma_f32 v8, 0x3fc90fda, v10, -v14
	v_lshrrev_b32_e32 v6, 9, v6
	s_delay_alu instid0(VALU_DEP_2) | instskip(NEXT) | instid1(VALU_DEP_2)
	v_fmamk_f32 v8, v10, 0x33a22168, v8
	v_or_b32_e32 v6, v7, v6
	s_delay_alu instid0(VALU_DEP_1) | instskip(SKIP_1) | instid1(VALU_DEP_1)
	v_fmac_f32_e32 v8, 0x3fc90fda, v6
	v_lshrrev_b32_e32 v6, 30, v4
	v_dual_add_f32 v4, v14, v8 :: v_dual_add_nc_u32 v6, v9, v6
	s_and_not1_saveexec_b32 s0, s7
	s_cbranch_execnz .LBB81_22
	s_branch .LBB81_23
.LBB81_21:
	s_and_not1_saveexec_b32 s0, s7
.LBB81_22:
	v_mul_f32_e64 v4, 0x3f22f983, |v1|
	s_delay_alu instid0(VALU_DEP_1) | instskip(NEXT) | instid1(VALU_DEP_1)
	v_rndne_f32_e32 v6, v4
	v_fma_f32 v4, 0xbfc90fda, v6, |v1|
	s_delay_alu instid0(VALU_DEP_1) | instskip(NEXT) | instid1(VALU_DEP_1)
	v_fmamk_f32 v4, v6, 0xb3a22168, v4
	v_fmamk_f32 v4, v6, 0xa7c234c4, v4
	v_cvt_i32_f32_e32 v6, v6
.LBB81_23:
	s_or_b32 exec_lo, exec_lo, s0
	s_delay_alu instid0(VALU_DEP_1) | instskip(SKIP_3) | instid1(VALU_DEP_2)
	v_dual_mul_f32 v7, v2, v2 :: v_dual_mul_f32 v8, v4, v4
	s_mov_b32 s0, 0xb94c1982
	s_mov_b32 s1, 0x37d75334
	v_dual_lshlrev_b32 v3, 30, v3 :: v_dual_bitop2_b32 v11, 1, v3 bitop3:0x40
	v_dual_fmaak_f32 v9, s0, v7, 0x3c0881c4 :: v_dual_fmaak_f32 v12, s0, v8, 0x3c0881c4
	v_dual_fmaak_f32 v10, s1, v7, 0xbab64f3b :: v_dual_fmaak_f32 v13, s1, v8, 0xbab64f3b
	s_delay_alu instid0(VALU_DEP_3) | instskip(NEXT) | instid1(VALU_DEP_3)
	v_cmp_eq_u32_e32 vcc_lo, 0, v11
	v_dual_fmaak_f32 v9, v7, v9, 0xbe2aaa9d :: v_dual_fmaak_f32 v12, v8, v12, 0xbe2aaa9d
	s_delay_alu instid0(VALU_DEP_3) | instskip(NEXT) | instid1(VALU_DEP_2)
	v_dual_fmaak_f32 v10, v7, v10, 0x3d2aabf7 :: v_dual_fmaak_f32 v13, v8, v13, 0x3d2aabf7
	v_dual_mul_f32 v9, v7, v9 :: v_dual_bitop2_b32 v14, 1, v6 bitop3:0x40
	s_delay_alu instid0(VALU_DEP_3) | instskip(NEXT) | instid1(VALU_DEP_3)
	v_mul_f32_e32 v12, v8, v12
	v_dual_fmaak_f32 v10, v7, v10, 0xbf000004 :: v_dual_fmaak_f32 v13, v8, v13, 0xbf000004
	s_delay_alu instid0(VALU_DEP_3) | instskip(NEXT) | instid1(VALU_DEP_3)
	v_dual_lshlrev_b32 v6, 30, v6 :: v_dual_fmac_f32 v2, v2, v9
	v_fmac_f32_e32 v4, v4, v12
	s_delay_alu instid0(VALU_DEP_3) | instskip(NEXT) | instid1(VALU_DEP_4)
	v_fma_f32 v7, v7, v10, 1.0
	v_fma_f32 v8, v8, v13, 1.0
	s_delay_alu instid0(VALU_DEP_4) | instskip(NEXT) | instid1(VALU_DEP_3)
	v_and_or_b32 v5, 0x80000000, v6, v5
	v_cndmask_b32_e64 v2, -v2, v7, vcc_lo
	v_cmp_eq_u32_e32 vcc_lo, 0, v14
	s_delay_alu instid0(VALU_DEP_4) | instskip(NEXT) | instid1(VALU_DEP_3)
	v_cndmask_b32_e32 v4, v8, v4, vcc_lo
	v_bitop3_b32 v2, v3, v2, 0x80000000 bitop3:0x6c
	v_cmp_class_f32_e64 vcc_lo, v1, 0x1f8
	s_delay_alu instid0(VALU_DEP_3) | instskip(NEXT) | instid1(VALU_DEP_3)
	v_xor3_b32 v1, v5, v4, v1
                                        ; implicit-def: $vgpr5
	v_cndmask_b32_e32 v2, 0x7fc00000, v2, vcc_lo
	v_mul_f32_e32 v0, 0x7f000000, v0
	s_delay_alu instid0(VALU_DEP_3) | instskip(NEXT) | instid1(VALU_DEP_2)
	v_cndmask_b32_e32 v1, 0x7fc00000, v1, vcc_lo
	v_mul_f32_e32 v3, v0, v0
	s_delay_alu instid0(VALU_DEP_1)
	v_dual_mul_f32 v3, v3, v2 :: v_dual_mul_f32 v2, v0, v1
                                        ; implicit-def: $vgpr1
                                        ; implicit-def: $vgpr0
.LBB81_24:
	s_and_not1_saveexec_b32 s6, s6
	s_cbranch_execz .LBB81_34
; %bb.25:
	v_cmp_ngt_f32_e64 s7, 0x48000000, |v1|
                                        ; implicit-def: $vgpr3
                                        ; implicit-def: $vgpr2
	s_and_saveexec_b32 s0, s7
	s_delay_alu instid0(SALU_CYCLE_1)
	s_xor_b32 s8, exec_lo, s0
	s_cbranch_execz .LBB81_27
; %bb.26:
	s_mov_b32 s0, 0x7fffff
	v_mov_b32_e32 v3, 0
	v_and_or_b32 v2, v5, s0, 0x800000
	s_mov_b64 s[0:1], 0xfe5163ab
	v_lshrrev_b32_e32 v4, 23, v5
	s_delay_alu instid0(VALU_DEP_2) | instskip(NEXT) | instid1(VALU_DEP_1)
	v_mul_u64_e32 v[6:7], s[0:1], v[2:3]
	v_dual_mov_b32 v8, v7 :: v_dual_mov_b32 v9, v3
	v_dual_mov_b32 v11, v3 :: v_dual_mov_b32 v13, v3
	s_delay_alu instid0(VALU_DEP_4) | instskip(SKIP_1) | instid1(VALU_DEP_4)
	v_dual_mov_b32 v15, v3 :: v_dual_add_nc_u32 v4, 0xffffff88, v4
	v_mov_b32_e32 v19, v3
	v_mad_nc_u64_u32 v[8:9], 0x3c439041, v2, v[8:9]
	s_delay_alu instid0(VALU_DEP_3) | instskip(SKIP_1) | instid1(VALU_DEP_3)
	v_cmp_lt_u32_e32 vcc_lo, 63, v4
	v_cndmask_b32_e64 v7, 0, 0xffffffc0, vcc_lo
	v_mov_b32_e32 v10, v9
	s_delay_alu instid0(VALU_DEP_1) | instskip(NEXT) | instid1(VALU_DEP_1)
	v_mad_nc_u64_u32 v[10:11], 0xdb629599, v2, v[10:11]
	v_dual_mov_b32 v12, v11 :: v_dual_cndmask_b32 v6, v10, v6, vcc_lo
	s_delay_alu instid0(VALU_DEP_1) | instskip(NEXT) | instid1(VALU_DEP_1)
	v_mad_nc_u64_u32 v[12:13], 0xf534ddc0, v2, v[12:13]
	v_mov_b32_e32 v14, v13
	s_delay_alu instid0(VALU_DEP_1) | instskip(NEXT) | instid1(VALU_DEP_1)
	v_mad_nc_u64_u32 v[14:15], 0xfc2757d1, v2, v[14:15]
	v_dual_mov_b32 v17, v3 :: v_dual_mov_b32 v16, v15
	s_delay_alu instid0(VALU_DEP_2) | instskip(NEXT) | instid1(VALU_DEP_2)
	v_cndmask_b32_e32 v11, v14, v10, vcc_lo
	v_mad_nc_u64_u32 v[16:17], 0x4e441529, v2, v[16:17]
	s_delay_alu instid0(VALU_DEP_1) | instskip(NEXT) | instid1(VALU_DEP_1)
	v_dual_add_nc_u32 v4, v7, v4 :: v_dual_mov_b32 v18, v17
	v_cmp_lt_u32_e64 s0, 31, v4
	s_delay_alu instid0(VALU_DEP_3) | instskip(NEXT) | instid1(VALU_DEP_3)
	v_cndmask_b32_e32 v9, v16, v12, vcc_lo
	v_mad_nc_u64_u32 v[2:3], 0xa2f9836e, v2, v[18:19]
	s_delay_alu instid0(VALU_DEP_3) | instskip(NEXT) | instid1(VALU_DEP_1)
	v_cndmask_b32_e64 v7, 0, 0xffffffe0, s0
	v_dual_add_nc_u32 v4, v7, v4 :: v_dual_cndmask_b32 v2, v2, v14, vcc_lo
	s_delay_alu instid0(VALU_DEP_1) | instskip(NEXT) | instid1(VALU_DEP_4)
	v_cmp_lt_u32_e64 s1, 31, v4
	v_cndmask_b32_e32 v3, v3, v16, vcc_lo
	s_delay_alu instid0(VALU_DEP_2) | instskip(NEXT) | instid1(VALU_DEP_1)
	v_cndmask_b32_e64 v7, 0, 0xffffffe0, s1
	v_add_nc_u32_e32 v4, v7, v4
	v_dual_cndmask_b32 v7, v12, v8, vcc_lo :: v_dual_cndmask_b32 v8, v2, v9, s0
	s_delay_alu instid0(VALU_DEP_4) | instskip(NEXT) | instid1(VALU_DEP_2)
	v_dual_cndmask_b32 v2, v3, v2, s0 :: v_dual_cndmask_b32 v3, v9, v11, s0
	v_dual_sub_nc_u32 v9, 32, v4 :: v_dual_cndmask_b32 v11, v11, v7, s0
	v_cmp_eq_u32_e32 vcc_lo, 0, v4
	s_delay_alu instid0(VALU_DEP_3) | instskip(SKIP_1) | instid1(VALU_DEP_4)
	v_dual_cndmask_b32 v2, v2, v8, s1 :: v_dual_cndmask_b32 v8, v8, v3, s1
	v_cndmask_b32_e64 v4, v7, v6, s0
	v_cndmask_b32_e64 v3, v3, v11, s1
	s_delay_alu instid0(VALU_DEP_3) | instskip(NEXT) | instid1(VALU_DEP_2)
	v_alignbit_b32 v12, v2, v8, v9
	v_alignbit_b32 v10, v8, v3, v9
	s_delay_alu instid0(VALU_DEP_1) | instskip(NEXT) | instid1(VALU_DEP_1)
	v_dual_cndmask_b32 v2, v12, v2, vcc_lo :: v_dual_cndmask_b32 v6, v10, v8, vcc_lo
	v_bfe_u32 v7, v2, 29, 1
	s_delay_alu instid0(VALU_DEP_2) | instskip(NEXT) | instid1(VALU_DEP_2)
	v_alignbit_b32 v8, v2, v6, 30
	v_dual_sub_nc_u32 v10, 0, v7 :: v_dual_cndmask_b32 v4, v11, v4, s1
	s_delay_alu instid0(VALU_DEP_1) | instskip(NEXT) | instid1(VALU_DEP_2)
	v_xor_b32_e32 v8, v8, v10
	v_alignbit_b32 v9, v3, v4, v9
	s_delay_alu instid0(VALU_DEP_1) | instskip(NEXT) | instid1(VALU_DEP_3)
	v_cndmask_b32_e32 v3, v9, v3, vcc_lo
	v_clz_i32_u32_e32 v9, v8
	s_delay_alu instid0(VALU_DEP_2) | instskip(NEXT) | instid1(VALU_DEP_2)
	v_alignbit_b32 v6, v6, v3, 30
	v_min_u32_e32 v9, 32, v9
	v_alignbit_b32 v3, v3, v4, 30
	s_delay_alu instid0(VALU_DEP_2) | instskip(NEXT) | instid1(VALU_DEP_2)
	v_dual_sub_nc_u32 v6, 31, v9 :: v_dual_bitop2_b32 v4, v6, v10 bitop3:0x14
	v_xor_b32_e32 v3, v3, v10
	v_dual_lshrrev_b32 v10, 29, v2 :: v_dual_lshlrev_b32 v11, 23, v9
	s_delay_alu instid0(VALU_DEP_3) | instskip(NEXT) | instid1(VALU_DEP_3)
	v_alignbit_b32 v8, v8, v4, v6
	v_alignbit_b32 v3, v4, v3, v6
	s_delay_alu instid0(VALU_DEP_3) | instskip(NEXT) | instid1(VALU_DEP_2)
	v_lshlrev_b32_e32 v4, 31, v10
	v_alignbit_b32 v6, v8, v3, 9
	s_delay_alu instid0(VALU_DEP_2) | instskip(SKIP_1) | instid1(VALU_DEP_3)
	v_or_b32_e32 v10, 0.5, v4
	v_lshrrev_b32_e32 v8, 9, v8
	v_clz_i32_u32_e32 v12, v6
	s_delay_alu instid0(VALU_DEP_3) | instskip(SKIP_1) | instid1(VALU_DEP_3)
	v_sub_nc_u32_e32 v10, v10, v11
	v_or_b32_e32 v4, 0x33000000, v4
	v_min_u32_e32 v11, 32, v12
	s_delay_alu instid0(VALU_DEP_3) | instskip(NEXT) | instid1(VALU_DEP_2)
	v_or_b32_e32 v8, v8, v10
	v_not_b32_e32 v10, v11
	s_delay_alu instid0(VALU_DEP_2) | instskip(SKIP_1) | instid1(VALU_DEP_3)
	v_mul_f32_e32 v12, 0x3fc90fda, v8
	v_add_lshl_u32 v9, v11, v9, 23
	v_alignbit_b32 v3, v6, v3, v10
	s_delay_alu instid0(VALU_DEP_3) | instskip(NEXT) | instid1(VALU_DEP_2)
	v_fma_f32 v6, 0x3fc90fda, v8, -v12
	v_dual_sub_nc_u32 v4, v4, v9 :: v_dual_lshrrev_b32 v3, 9, v3
	s_delay_alu instid0(VALU_DEP_2) | instskip(NEXT) | instid1(VALU_DEP_2)
	v_fmamk_f32 v6, v8, 0x33a22168, v6
	v_or_b32_e32 v3, v4, v3
	s_delay_alu instid0(VALU_DEP_1) | instskip(NEXT) | instid1(VALU_DEP_1)
	v_dual_fmac_f32 v6, 0x3fc90fda, v3 :: v_dual_lshrrev_b32 v3, 30, v2
	v_dual_add_f32 v2, v12, v6 :: v_dual_add_nc_u32 v3, v7, v3
	s_and_not1_saveexec_b32 s0, s8
	s_branch .LBB81_28
.LBB81_27:
	s_and_not1_saveexec_b32 s0, s8
.LBB81_28:
	v_mul_f32_e64 v2, 0x3f22f983, |v1|
	s_delay_alu instid0(VALU_DEP_1) | instskip(NEXT) | instid1(VALU_DEP_1)
	v_rndne_f32_e32 v3, v2
	v_fma_f32 v2, 0xbfc90fda, v3, |v1|
	s_delay_alu instid0(VALU_DEP_1) | instskip(NEXT) | instid1(VALU_DEP_1)
	v_fmamk_f32 v2, v3, 0xb3a22168, v2
	v_fmamk_f32 v2, v3, 0xa7c234c4, v2
	v_cvt_i32_f32_e32 v3, v3
; %bb.29:
	s_or_b32 exec_lo, exec_lo, s0
                                        ; implicit-def: $vgpr6
                                        ; implicit-def: $vgpr4
	s_and_saveexec_b32 s0, s7
	s_delay_alu instid0(SALU_CYCLE_1)
	s_xor_b32 s7, exec_lo, s0
	s_cbranch_execz .LBB81_31
; %bb.30:
	s_mov_b32 s0, 0x7fffff
	v_mov_b32_e32 v7, 0
	v_and_or_b32 v6, v5, s0, 0x800000
	s_mov_b64 s[0:1], 0xfe5163ab
	v_lshrrev_b32_e32 v4, 23, v5
	s_delay_alu instid0(VALU_DEP_2) | instskip(NEXT) | instid1(VALU_DEP_1)
	v_mul_u64_e32 v[8:9], s[0:1], v[6:7]
	v_dual_mov_b32 v10, v9 :: v_dual_mov_b32 v11, v7
	v_dual_mov_b32 v13, v7 :: v_dual_mov_b32 v15, v7
	s_delay_alu instid0(VALU_DEP_4) | instskip(SKIP_1) | instid1(VALU_DEP_4)
	v_dual_mov_b32 v17, v7 :: v_dual_add_nc_u32 v4, 0xffffff88, v4
	v_mov_b32_e32 v21, v7
	v_mad_nc_u64_u32 v[10:11], 0x3c439041, v6, v[10:11]
	s_delay_alu instid0(VALU_DEP_3) | instskip(SKIP_1) | instid1(VALU_DEP_3)
	v_cmp_lt_u32_e32 vcc_lo, 63, v4
	v_cndmask_b32_e64 v9, 0, 0xffffffc0, vcc_lo
	v_mov_b32_e32 v12, v11
	s_delay_alu instid0(VALU_DEP_1) | instskip(NEXT) | instid1(VALU_DEP_1)
	v_mad_nc_u64_u32 v[12:13], 0xdb629599, v6, v[12:13]
	v_dual_mov_b32 v14, v13 :: v_dual_cndmask_b32 v8, v12, v8, vcc_lo
	s_delay_alu instid0(VALU_DEP_1) | instskip(NEXT) | instid1(VALU_DEP_1)
	v_mad_nc_u64_u32 v[14:15], 0xf534ddc0, v6, v[14:15]
	v_mov_b32_e32 v16, v15
	s_delay_alu instid0(VALU_DEP_1) | instskip(NEXT) | instid1(VALU_DEP_1)
	v_mad_nc_u64_u32 v[16:17], 0xfc2757d1, v6, v[16:17]
	v_dual_mov_b32 v19, v7 :: v_dual_mov_b32 v18, v17
	s_delay_alu instid0(VALU_DEP_2) | instskip(NEXT) | instid1(VALU_DEP_2)
	v_cndmask_b32_e32 v13, v16, v12, vcc_lo
	v_mad_nc_u64_u32 v[18:19], 0x4e441529, v6, v[18:19]
	s_delay_alu instid0(VALU_DEP_1) | instskip(NEXT) | instid1(VALU_DEP_1)
	v_dual_add_nc_u32 v4, v9, v4 :: v_dual_mov_b32 v20, v19
	v_cmp_lt_u32_e64 s0, 31, v4
	s_delay_alu instid0(VALU_DEP_3) | instskip(NEXT) | instid1(VALU_DEP_3)
	v_cndmask_b32_e32 v11, v18, v14, vcc_lo
	v_mad_nc_u64_u32 v[6:7], 0xa2f9836e, v6, v[20:21]
	s_delay_alu instid0(VALU_DEP_3) | instskip(NEXT) | instid1(VALU_DEP_1)
	v_cndmask_b32_e64 v9, 0, 0xffffffe0, s0
	v_add_nc_u32_e32 v4, v9, v4
	s_delay_alu instid0(VALU_DEP_1) | instskip(NEXT) | instid1(VALU_DEP_4)
	v_cmp_lt_u32_e64 s1, 31, v4
	v_dual_cndmask_b32 v6, v6, v16 :: v_dual_cndmask_b32 v7, v7, v18
	s_delay_alu instid0(VALU_DEP_2) | instskip(NEXT) | instid1(VALU_DEP_1)
	v_cndmask_b32_e64 v9, 0, 0xffffffe0, s1
	v_dual_cndmask_b32 v9, v14, v10 :: v_dual_add_nc_u32 v4, v9, v4
	s_delay_alu instid0(VALU_DEP_3) | instskip(NEXT) | instid1(VALU_DEP_2)
	v_dual_cndmask_b32 v10, v6, v11, s0 :: v_dual_cndmask_b32 v6, v7, v6, s0
	v_dual_cndmask_b32 v7, v11, v13, s0 :: v_dual_sub_nc_u32 v11, 32, v4
	s_delay_alu instid0(VALU_DEP_3) | instskip(SKIP_1) | instid1(VALU_DEP_4)
	v_cndmask_b32_e64 v13, v13, v9, s0
	v_cmp_eq_u32_e32 vcc_lo, 0, v4
	v_cndmask_b32_e64 v6, v6, v10, s1
	s_delay_alu instid0(VALU_DEP_3) | instskip(NEXT) | instid1(VALU_DEP_1)
	v_dual_cndmask_b32 v10, v10, v7, s1 :: v_dual_cndmask_b32 v7, v7, v13, s1
	v_alignbit_b32 v14, v6, v10, v11
	s_delay_alu instid0(VALU_DEP_2) | instskip(NEXT) | instid1(VALU_DEP_2)
	v_alignbit_b32 v12, v10, v7, v11
	v_dual_cndmask_b32 v4, v14, v6, vcc_lo :: v_dual_cndmask_b32 v6, v9, v8, s0
	s_delay_alu instid0(VALU_DEP_1) | instskip(NEXT) | instid1(VALU_DEP_1)
	v_bfe_u32 v9, v4, 29, 1
	v_dual_cndmask_b32 v8, v12, v10, vcc_lo :: v_dual_sub_nc_u32 v12, 0, v9
	s_delay_alu instid0(VALU_DEP_1) | instskip(NEXT) | instid1(VALU_DEP_1)
	v_alignbit_b32 v10, v4, v8, 30
	v_dual_cndmask_b32 v6, v13, v6, s1 :: v_dual_bitop2_b32 v10, v10, v12 bitop3:0x14
	s_delay_alu instid0(VALU_DEP_1) | instskip(NEXT) | instid1(VALU_DEP_1)
	v_alignbit_b32 v11, v7, v6, v11
	v_cndmask_b32_e32 v7, v11, v7, vcc_lo
	s_delay_alu instid0(VALU_DEP_3) | instskip(NEXT) | instid1(VALU_DEP_2)
	v_clz_i32_u32_e32 v11, v10
	v_alignbit_b32 v6, v7, v6, 30
	s_delay_alu instid0(VALU_DEP_2) | instskip(NEXT) | instid1(VALU_DEP_2)
	v_min_u32_e32 v11, 32, v11
	v_xor_b32_e32 v6, v6, v12
	v_alignbit_b32 v8, v8, v7, 30
	s_delay_alu instid0(VALU_DEP_1) | instskip(SKIP_1) | instid1(VALU_DEP_1)
	v_dual_lshlrev_b32 v13, 23, v11 :: v_dual_bitop2_b32 v7, v8, v12 bitop3:0x14
	v_dual_sub_nc_u32 v8, 31, v11 :: v_dual_lshrrev_b32 v12, 29, v4
	v_alignbit_b32 v10, v10, v7, v8
	v_alignbit_b32 v6, v7, v6, v8
	s_delay_alu instid0(VALU_DEP_3) | instskip(NEXT) | instid1(VALU_DEP_2)
	v_lshlrev_b32_e32 v7, 31, v12
	v_alignbit_b32 v8, v10, v6, 9
	s_delay_alu instid0(VALU_DEP_2) | instskip(NEXT) | instid1(VALU_DEP_2)
	v_dual_lshrrev_b32 v10, 9, v10 :: v_dual_bitop2_b32 v12, 0.5, v7 bitop3:0x54
	v_clz_i32_u32_e32 v14, v8
	s_delay_alu instid0(VALU_DEP_2) | instskip(SKIP_1) | instid1(VALU_DEP_3)
	v_sub_nc_u32_e32 v12, v12, v13
	v_or_b32_e32 v7, 0x33000000, v7
	v_min_u32_e32 v13, 32, v14
	s_delay_alu instid0(VALU_DEP_1) | instskip(NEXT) | instid1(VALU_DEP_4)
	v_add_lshl_u32 v11, v13, v11, 23
	v_or_b32_e32 v10, v10, v12
	v_not_b32_e32 v12, v13
	s_delay_alu instid0(VALU_DEP_2) | instskip(NEXT) | instid1(VALU_DEP_2)
	v_dual_mul_f32 v14, 0x3fc90fda, v10 :: v_dual_sub_nc_u32 v7, v7, v11
	v_alignbit_b32 v6, v8, v6, v12
	s_delay_alu instid0(VALU_DEP_2) | instskip(NEXT) | instid1(VALU_DEP_2)
	v_fma_f32 v8, 0x3fc90fda, v10, -v14
	v_lshrrev_b32_e32 v6, 9, v6
	s_delay_alu instid0(VALU_DEP_2) | instskip(NEXT) | instid1(VALU_DEP_2)
	v_fmamk_f32 v8, v10, 0x33a22168, v8
	v_or_b32_e32 v6, v7, v6
	s_delay_alu instid0(VALU_DEP_1) | instskip(SKIP_1) | instid1(VALU_DEP_1)
	v_fmac_f32_e32 v8, 0x3fc90fda, v6
	v_lshrrev_b32_e32 v6, 30, v4
	v_dual_add_f32 v4, v14, v8 :: v_dual_add_nc_u32 v6, v9, v6
	s_and_not1_saveexec_b32 s0, s7
	s_cbranch_execnz .LBB81_32
	s_branch .LBB81_33
.LBB81_31:
	s_and_not1_saveexec_b32 s0, s7
.LBB81_32:
	v_mul_f32_e64 v4, 0x3f22f983, |v1|
	s_delay_alu instid0(VALU_DEP_1) | instskip(NEXT) | instid1(VALU_DEP_1)
	v_rndne_f32_e32 v6, v4
	v_fma_f32 v4, 0xbfc90fda, v6, |v1|
	s_delay_alu instid0(VALU_DEP_1) | instskip(NEXT) | instid1(VALU_DEP_1)
	v_fmamk_f32 v4, v6, 0xb3a22168, v4
	v_fmamk_f32 v4, v6, 0xa7c234c4, v4
	v_cvt_i32_f32_e32 v6, v6
.LBB81_33:
	s_or_b32 exec_lo, exec_lo, s0
	v_add_f32_e64 v7, 0xc322e3bc, |v0|
	s_mov_b32 s0, 0x37d75334
	s_mov_b32 s1, 0xb94c1982
	v_dual_lshlrev_b32 v6, 30, v6 :: v_dual_bitop2_b32 v12, 1, v6 bitop3:0x40
	s_delay_alu instid0(VALU_DEP_2) | instskip(SKIP_2) | instid1(VALU_DEP_4)
	v_dual_mul_f32 v8, 0x3fb8aa3b, v7 :: v_dual_mul_f32 v11, v2, v2
	v_cmp_ngt_f32_e32 vcc_lo, 0xc2ce8ed0, v7
	v_bfi_b32 v0, 0x7fffffff, 1.0, v0
	v_and_or_b32 v5, 0x80000000, v6, v5
	s_delay_alu instid0(VALU_DEP_4) | instskip(SKIP_1) | instid1(VALU_DEP_1)
	v_fma_f32 v9, 0x3fb8aa3b, v7, -v8
	v_rndne_f32_e32 v10, v8
	v_dual_fmamk_f32 v9, v7, 0x32a5705f, v9 :: v_dual_sub_f32 v8, v8, v10
	v_cvt_i32_f32_e32 v10, v10
	s_delay_alu instid0(VALU_DEP_2) | instskip(SKIP_1) | instid1(VALU_DEP_2)
	v_dual_add_f32 v8, v8, v9 :: v_dual_lshlrev_b32 v9, 30, v3
	v_and_b32_e32 v3, 1, v3
	v_exp_f32_e32 v8, v8
	v_nop
	s_delay_alu instid0(TRANS32_DEP_1) | instskip(SKIP_1) | instid1(VALU_DEP_1)
	v_ldexp_f32 v8, v8, v10
	v_dual_mul_f32 v10, v4, v4 :: v_dual_fmaak_f32 v13, s0, v11, 0xbab64f3b
	v_dual_fmaak_f32 v14, s1, v11, 0x3c0881c4 :: v_dual_fmaak_f32 v15, s1, v10, 0x3c0881c4
	s_delay_alu instid0(VALU_DEP_3) | instskip(SKIP_1) | instid1(VALU_DEP_4)
	v_cndmask_b32_e32 v8, 0, v8, vcc_lo
	v_cmp_nlt_f32_e32 vcc_lo, 0x42b17218, v7
	v_fmaak_f32 v6, v11, v13, 0x3d2aabf7
	s_delay_alu instid0(VALU_DEP_4) | instskip(NEXT) | instid1(VALU_DEP_1)
	v_fmaak_f32 v13, v11, v14, 0xbe2aaa9d
	v_mul_f32_e32 v13, v11, v13
	v_cndmask_b32_e32 v7, 0x7f800000, v8, vcc_lo
	v_fmaak_f32 v8, s0, v10, 0xbab64f3b
	v_fmaak_f32 v6, v11, v6, 0xbf000004
	v_cmp_eq_u32_e32 vcc_lo, 0, v3
	v_fmac_f32_e32 v2, v2, v13
	s_mov_b32 s0, 0x7fffff
	v_fmaak_f32 v8, v10, v8, 0x3d2aabf7
	v_fma_f32 v6, v11, v6, 1.0
	v_lshrrev_b32_e32 v14, 23, v7
	s_delay_alu instid0(VALU_DEP_3) | instskip(NEXT) | instid1(VALU_DEP_3)
	v_fmaak_f32 v8, v10, v8, 0xbf000004
	v_cndmask_b32_e64 v2, -v2, v6, vcc_lo
	s_delay_alu instid0(VALU_DEP_3) | instskip(SKIP_1) | instid1(VALU_DEP_4)
	v_subrev_nc_u32_e32 v14, 20, v14
	v_cmp_eq_u32_e32 vcc_lo, 0, v12
	v_fma_f32 v8, v10, v8, 1.0
	v_fmaak_f32 v15, v10, v15, 0xbe2aaa9d
	s_delay_alu instid0(VALU_DEP_4) | instskip(SKIP_1) | instid1(VALU_DEP_3)
	v_lshrrev_b16 v11, 15, v14
	v_bitop3_b32 v2, v9, v2, 0x80000000 bitop3:0x6c
	v_mul_f32_e32 v15, v10, v15
	s_delay_alu instid0(VALU_DEP_3) | instskip(NEXT) | instid1(VALU_DEP_2)
	v_add_nc_u16 v3, v14, v11
	v_fmac_f32_e32 v4, v4, v15
	s_delay_alu instid0(VALU_DEP_2) | instskip(NEXT) | instid1(VALU_DEP_2)
	v_ashrrev_i16 v6, 1, v3
	v_cndmask_b32_e32 v4, v8, v4, vcc_lo
	v_cmp_class_f32_e64 vcc_lo, v1, 0x1f8
	s_delay_alu instid0(VALU_DEP_2) | instskip(SKIP_3) | instid1(VALU_DEP_2)
	v_xor3_b32 v1, v5, v4, v1
	v_cndmask_b32_e32 v3, 0x7fc00000, v2, vcc_lo
	v_bfe_i32 v2, v6, 0, 16
	v_and_or_b32 v5, v7, s0, 0x7f000000
	v_dual_cndmask_b32 v1, 0x7fc00000, v1 :: v_dual_sub_nc_u32 v6, v14, v2
	v_lshl_add_u32 v4, v2, 23, 1.0
	s_delay_alu instid0(VALU_DEP_2) | instskip(NEXT) | instid1(VALU_DEP_2)
	v_lshl_add_u32 v6, v6, 23, 1.0
	v_dual_mul_f32 v2, v1, v5 :: v_dual_mov_b32 v7, v4
	s_delay_alu instid0(VALU_DEP_2) | instskip(NEXT) | instid1(VALU_DEP_2)
	v_mov_b32_e32 v1, v6
	v_pk_mul_f32 v[2:3], v[2:3], v[4:5]
	s_delay_alu instid0(VALU_DEP_1) | instskip(NEXT) | instid1(VALU_DEP_1)
	v_pk_mul_f32 v[2:3], v[2:3], v[6:7]
	v_pk_mul_f32 v[2:3], v[0:1], v[2:3]
.LBB81_34:
	s_or_b32 exec_lo, exec_lo, s6
                                        ; implicit-def: $vgpr0
                                        ; implicit-def: $vgpr1
                                        ; implicit-def: $vgpr5
.LBB81_35:
	s_and_not1_saveexec_b32 s5, s5
	s_cbranch_execz .LBB81_45
; %bb.36:
	v_cmp_ngt_f32_e64 s6, 0x48000000, |v1|
                                        ; implicit-def: $vgpr2
                                        ; implicit-def: $vgpr3
	s_and_saveexec_b32 s0, s6
	s_delay_alu instid0(SALU_CYCLE_1)
	s_xor_b32 s7, exec_lo, s0
	s_cbranch_execz .LBB81_38
; %bb.37:
	s_mov_b32 s0, 0x7fffff
	v_mov_b32_e32 v3, 0
	v_and_or_b32 v2, v5, s0, 0x800000
	s_mov_b64 s[0:1], 0xfe5163ab
	v_lshrrev_b32_e32 v4, 23, v5
	s_delay_alu instid0(VALU_DEP_2) | instskip(NEXT) | instid1(VALU_DEP_1)
	v_mul_u64_e32 v[6:7], s[0:1], v[2:3]
	v_dual_mov_b32 v8, v7 :: v_dual_mov_b32 v9, v3
	v_dual_mov_b32 v11, v3 :: v_dual_mov_b32 v13, v3
	s_delay_alu instid0(VALU_DEP_4) | instskip(SKIP_1) | instid1(VALU_DEP_4)
	v_dual_mov_b32 v15, v3 :: v_dual_add_nc_u32 v4, 0xffffff88, v4
	v_mov_b32_e32 v19, v3
	v_mad_nc_u64_u32 v[8:9], 0x3c439041, v2, v[8:9]
	s_delay_alu instid0(VALU_DEP_3) | instskip(SKIP_1) | instid1(VALU_DEP_3)
	v_cmp_lt_u32_e32 vcc_lo, 63, v4
	v_cndmask_b32_e64 v7, 0, 0xffffffc0, vcc_lo
	v_mov_b32_e32 v10, v9
	s_delay_alu instid0(VALU_DEP_1) | instskip(NEXT) | instid1(VALU_DEP_1)
	v_mad_nc_u64_u32 v[10:11], 0xdb629599, v2, v[10:11]
	v_dual_mov_b32 v12, v11 :: v_dual_cndmask_b32 v6, v10, v6, vcc_lo
	s_delay_alu instid0(VALU_DEP_1) | instskip(NEXT) | instid1(VALU_DEP_1)
	v_mad_nc_u64_u32 v[12:13], 0xf534ddc0, v2, v[12:13]
	v_mov_b32_e32 v14, v13
	s_delay_alu instid0(VALU_DEP_1) | instskip(NEXT) | instid1(VALU_DEP_1)
	v_mad_nc_u64_u32 v[14:15], 0xfc2757d1, v2, v[14:15]
	v_dual_mov_b32 v17, v3 :: v_dual_mov_b32 v16, v15
	s_delay_alu instid0(VALU_DEP_2) | instskip(NEXT) | instid1(VALU_DEP_2)
	v_cndmask_b32_e32 v11, v14, v10, vcc_lo
	v_mad_nc_u64_u32 v[16:17], 0x4e441529, v2, v[16:17]
	s_delay_alu instid0(VALU_DEP_1) | instskip(NEXT) | instid1(VALU_DEP_1)
	v_dual_add_nc_u32 v4, v7, v4 :: v_dual_mov_b32 v18, v17
	v_cmp_lt_u32_e64 s0, 31, v4
	s_delay_alu instid0(VALU_DEP_3) | instskip(NEXT) | instid1(VALU_DEP_3)
	v_cndmask_b32_e32 v9, v16, v12, vcc_lo
	v_mad_nc_u64_u32 v[2:3], 0xa2f9836e, v2, v[18:19]
	s_delay_alu instid0(VALU_DEP_3) | instskip(NEXT) | instid1(VALU_DEP_1)
	v_cndmask_b32_e64 v7, 0, 0xffffffe0, s0
	v_dual_add_nc_u32 v4, v7, v4 :: v_dual_cndmask_b32 v2, v2, v14, vcc_lo
	s_delay_alu instid0(VALU_DEP_1) | instskip(NEXT) | instid1(VALU_DEP_4)
	v_cmp_lt_u32_e64 s1, 31, v4
	v_cndmask_b32_e32 v3, v3, v16, vcc_lo
	s_delay_alu instid0(VALU_DEP_2) | instskip(NEXT) | instid1(VALU_DEP_1)
	v_cndmask_b32_e64 v7, 0, 0xffffffe0, s1
	v_add_nc_u32_e32 v4, v7, v4
	v_dual_cndmask_b32 v7, v12, v8, vcc_lo :: v_dual_cndmask_b32 v8, v2, v9, s0
	s_delay_alu instid0(VALU_DEP_4) | instskip(NEXT) | instid1(VALU_DEP_2)
	v_dual_cndmask_b32 v2, v3, v2, s0 :: v_dual_cndmask_b32 v3, v9, v11, s0
	v_dual_sub_nc_u32 v9, 32, v4 :: v_dual_cndmask_b32 v11, v11, v7, s0
	v_cmp_eq_u32_e32 vcc_lo, 0, v4
	s_delay_alu instid0(VALU_DEP_3) | instskip(SKIP_1) | instid1(VALU_DEP_4)
	v_dual_cndmask_b32 v2, v2, v8, s1 :: v_dual_cndmask_b32 v8, v8, v3, s1
	v_cndmask_b32_e64 v4, v7, v6, s0
	v_cndmask_b32_e64 v3, v3, v11, s1
	s_delay_alu instid0(VALU_DEP_3) | instskip(NEXT) | instid1(VALU_DEP_2)
	v_alignbit_b32 v12, v2, v8, v9
	v_alignbit_b32 v10, v8, v3, v9
	s_delay_alu instid0(VALU_DEP_1) | instskip(NEXT) | instid1(VALU_DEP_1)
	v_dual_cndmask_b32 v2, v12, v2, vcc_lo :: v_dual_cndmask_b32 v6, v10, v8, vcc_lo
	v_bfe_u32 v7, v2, 29, 1
	s_delay_alu instid0(VALU_DEP_2) | instskip(NEXT) | instid1(VALU_DEP_2)
	v_alignbit_b32 v8, v2, v6, 30
	v_dual_sub_nc_u32 v10, 0, v7 :: v_dual_cndmask_b32 v4, v11, v4, s1
	s_delay_alu instid0(VALU_DEP_1) | instskip(NEXT) | instid1(VALU_DEP_2)
	v_xor_b32_e32 v8, v8, v10
	v_alignbit_b32 v9, v3, v4, v9
	s_delay_alu instid0(VALU_DEP_1) | instskip(NEXT) | instid1(VALU_DEP_3)
	v_cndmask_b32_e32 v3, v9, v3, vcc_lo
	v_clz_i32_u32_e32 v9, v8
	s_delay_alu instid0(VALU_DEP_2) | instskip(NEXT) | instid1(VALU_DEP_2)
	v_alignbit_b32 v6, v6, v3, 30
	v_min_u32_e32 v9, 32, v9
	v_alignbit_b32 v3, v3, v4, 30
	s_delay_alu instid0(VALU_DEP_2) | instskip(NEXT) | instid1(VALU_DEP_2)
	v_dual_sub_nc_u32 v6, 31, v9 :: v_dual_bitop2_b32 v4, v6, v10 bitop3:0x14
	v_xor_b32_e32 v3, v3, v10
	v_dual_lshrrev_b32 v10, 29, v2 :: v_dual_lshlrev_b32 v11, 23, v9
	v_lshrrev_b32_e32 v2, 30, v2
	s_delay_alu instid0(VALU_DEP_4) | instskip(NEXT) | instid1(VALU_DEP_4)
	v_alignbit_b32 v8, v8, v4, v6
	v_alignbit_b32 v3, v4, v3, v6
	s_delay_alu instid0(VALU_DEP_4) | instskip(NEXT) | instid1(VALU_DEP_4)
	v_lshlrev_b32_e32 v4, 31, v10
	v_add_nc_u32_e32 v2, v7, v2
	s_delay_alu instid0(VALU_DEP_3) | instskip(NEXT) | instid1(VALU_DEP_3)
	v_alignbit_b32 v6, v8, v3, 9
	v_or_b32_e32 v10, 0.5, v4
	v_lshrrev_b32_e32 v8, 9, v8
	s_delay_alu instid0(VALU_DEP_3) | instskip(NEXT) | instid1(VALU_DEP_3)
	v_clz_i32_u32_e32 v12, v6
	v_sub_nc_u32_e32 v10, v10, v11
	v_or_b32_e32 v4, 0x33000000, v4
	s_delay_alu instid0(VALU_DEP_3) | instskip(NEXT) | instid1(VALU_DEP_3)
	v_min_u32_e32 v11, 32, v12
	v_or_b32_e32 v8, v8, v10
	s_delay_alu instid0(VALU_DEP_2) | instskip(NEXT) | instid1(VALU_DEP_2)
	v_not_b32_e32 v10, v11
	v_mul_f32_e32 v12, 0x3fc90fda, v8
	v_add_lshl_u32 v9, v11, v9, 23
	s_delay_alu instid0(VALU_DEP_3) | instskip(NEXT) | instid1(VALU_DEP_3)
	v_alignbit_b32 v3, v6, v3, v10
	v_fma_f32 v6, 0x3fc90fda, v8, -v12
	s_delay_alu instid0(VALU_DEP_2) | instskip(NEXT) | instid1(VALU_DEP_2)
	v_dual_sub_nc_u32 v4, v4, v9 :: v_dual_lshrrev_b32 v3, 9, v3
	v_fmamk_f32 v6, v8, 0x33a22168, v6
	s_delay_alu instid0(VALU_DEP_2) | instskip(NEXT) | instid1(VALU_DEP_1)
	v_or_b32_e32 v3, v4, v3
	v_fmac_f32_e32 v6, 0x3fc90fda, v3
	s_delay_alu instid0(VALU_DEP_1)
	v_add_f32_e32 v3, v12, v6
	s_and_not1_saveexec_b32 s0, s7
	s_branch .LBB81_39
.LBB81_38:
	s_and_not1_saveexec_b32 s0, s7
.LBB81_39:
	v_mul_f32_e64 v2, 0x3f22f983, |v1|
	s_delay_alu instid0(VALU_DEP_1) | instskip(NEXT) | instid1(VALU_DEP_1)
	v_rndne_f32_e32 v2, v2
	v_fma_f32 v3, 0xbfc90fda, v2, |v1|
	s_delay_alu instid0(VALU_DEP_1) | instskip(NEXT) | instid1(VALU_DEP_1)
	v_fmamk_f32 v3, v2, 0xb3a22168, v3
	v_fmamk_f32 v3, v2, 0xa7c234c4, v3
	v_cvt_i32_f32_e32 v2, v2
; %bb.40:
	s_or_b32 exec_lo, exec_lo, s0
                                        ; implicit-def: $vgpr6
                                        ; implicit-def: $vgpr4
	s_and_saveexec_b32 s0, s6
	s_delay_alu instid0(SALU_CYCLE_1)
	s_xor_b32 s6, exec_lo, s0
	s_cbranch_execz .LBB81_42
; %bb.41:
	s_mov_b32 s0, 0x7fffff
	v_mov_b32_e32 v7, 0
	v_and_or_b32 v6, v5, s0, 0x800000
	s_mov_b64 s[0:1], 0xfe5163ab
	v_lshrrev_b32_e32 v4, 23, v5
	s_delay_alu instid0(VALU_DEP_2) | instskip(NEXT) | instid1(VALU_DEP_1)
	v_mul_u64_e32 v[8:9], s[0:1], v[6:7]
	v_dual_mov_b32 v10, v9 :: v_dual_mov_b32 v11, v7
	v_dual_mov_b32 v13, v7 :: v_dual_mov_b32 v15, v7
	s_delay_alu instid0(VALU_DEP_4) | instskip(SKIP_1) | instid1(VALU_DEP_4)
	v_dual_mov_b32 v17, v7 :: v_dual_add_nc_u32 v4, 0xffffff88, v4
	v_mov_b32_e32 v21, v7
	v_mad_nc_u64_u32 v[10:11], 0x3c439041, v6, v[10:11]
	s_delay_alu instid0(VALU_DEP_3) | instskip(SKIP_1) | instid1(VALU_DEP_3)
	v_cmp_lt_u32_e32 vcc_lo, 63, v4
	v_cndmask_b32_e64 v9, 0, 0xffffffc0, vcc_lo
	v_mov_b32_e32 v12, v11
	s_delay_alu instid0(VALU_DEP_1) | instskip(NEXT) | instid1(VALU_DEP_1)
	v_mad_nc_u64_u32 v[12:13], 0xdb629599, v6, v[12:13]
	v_dual_mov_b32 v14, v13 :: v_dual_cndmask_b32 v8, v12, v8, vcc_lo
	s_delay_alu instid0(VALU_DEP_1) | instskip(NEXT) | instid1(VALU_DEP_1)
	v_mad_nc_u64_u32 v[14:15], 0xf534ddc0, v6, v[14:15]
	v_mov_b32_e32 v16, v15
	s_delay_alu instid0(VALU_DEP_1) | instskip(NEXT) | instid1(VALU_DEP_1)
	v_mad_nc_u64_u32 v[16:17], 0xfc2757d1, v6, v[16:17]
	v_dual_mov_b32 v19, v7 :: v_dual_mov_b32 v18, v17
	s_delay_alu instid0(VALU_DEP_2) | instskip(NEXT) | instid1(VALU_DEP_2)
	v_cndmask_b32_e32 v13, v16, v12, vcc_lo
	v_mad_nc_u64_u32 v[18:19], 0x4e441529, v6, v[18:19]
	s_delay_alu instid0(VALU_DEP_1) | instskip(NEXT) | instid1(VALU_DEP_1)
	v_dual_add_nc_u32 v4, v9, v4 :: v_dual_mov_b32 v20, v19
	v_cmp_lt_u32_e64 s0, 31, v4
	s_delay_alu instid0(VALU_DEP_3) | instskip(NEXT) | instid1(VALU_DEP_3)
	v_cndmask_b32_e32 v11, v18, v14, vcc_lo
	v_mad_nc_u64_u32 v[6:7], 0xa2f9836e, v6, v[20:21]
	s_delay_alu instid0(VALU_DEP_3) | instskip(NEXT) | instid1(VALU_DEP_1)
	v_cndmask_b32_e64 v9, 0, 0xffffffe0, s0
	v_add_nc_u32_e32 v4, v9, v4
	s_delay_alu instid0(VALU_DEP_1) | instskip(NEXT) | instid1(VALU_DEP_4)
	v_cmp_lt_u32_e64 s1, 31, v4
	v_dual_cndmask_b32 v6, v6, v16 :: v_dual_cndmask_b32 v7, v7, v18
	s_delay_alu instid0(VALU_DEP_2) | instskip(NEXT) | instid1(VALU_DEP_1)
	v_cndmask_b32_e64 v9, 0, 0xffffffe0, s1
	v_dual_cndmask_b32 v9, v14, v10 :: v_dual_add_nc_u32 v4, v9, v4
	s_delay_alu instid0(VALU_DEP_3) | instskip(NEXT) | instid1(VALU_DEP_2)
	v_dual_cndmask_b32 v10, v6, v11, s0 :: v_dual_cndmask_b32 v6, v7, v6, s0
	v_dual_cndmask_b32 v7, v11, v13, s0 :: v_dual_sub_nc_u32 v11, 32, v4
	s_delay_alu instid0(VALU_DEP_3) | instskip(SKIP_1) | instid1(VALU_DEP_4)
	v_cndmask_b32_e64 v13, v13, v9, s0
	v_cmp_eq_u32_e32 vcc_lo, 0, v4
	v_cndmask_b32_e64 v6, v6, v10, s1
	s_delay_alu instid0(VALU_DEP_3) | instskip(NEXT) | instid1(VALU_DEP_1)
	v_dual_cndmask_b32 v10, v10, v7, s1 :: v_dual_cndmask_b32 v7, v7, v13, s1
	v_alignbit_b32 v14, v6, v10, v11
	s_delay_alu instid0(VALU_DEP_2) | instskip(NEXT) | instid1(VALU_DEP_2)
	v_alignbit_b32 v12, v10, v7, v11
	v_dual_cndmask_b32 v4, v14, v6, vcc_lo :: v_dual_cndmask_b32 v6, v9, v8, s0
	s_delay_alu instid0(VALU_DEP_1) | instskip(NEXT) | instid1(VALU_DEP_1)
	v_bfe_u32 v9, v4, 29, 1
	v_dual_cndmask_b32 v8, v12, v10, vcc_lo :: v_dual_sub_nc_u32 v12, 0, v9
	s_delay_alu instid0(VALU_DEP_1) | instskip(NEXT) | instid1(VALU_DEP_1)
	v_alignbit_b32 v10, v4, v8, 30
	v_dual_cndmask_b32 v6, v13, v6, s1 :: v_dual_bitop2_b32 v10, v10, v12 bitop3:0x14
	s_delay_alu instid0(VALU_DEP_1) | instskip(NEXT) | instid1(VALU_DEP_1)
	v_alignbit_b32 v11, v7, v6, v11
	v_cndmask_b32_e32 v7, v11, v7, vcc_lo
	s_delay_alu instid0(VALU_DEP_3) | instskip(NEXT) | instid1(VALU_DEP_2)
	v_clz_i32_u32_e32 v11, v10
	v_alignbit_b32 v6, v7, v6, 30
	s_delay_alu instid0(VALU_DEP_2) | instskip(NEXT) | instid1(VALU_DEP_2)
	v_min_u32_e32 v11, 32, v11
	v_xor_b32_e32 v6, v6, v12
	v_alignbit_b32 v8, v8, v7, 30
	s_delay_alu instid0(VALU_DEP_1) | instskip(SKIP_1) | instid1(VALU_DEP_1)
	v_dual_lshlrev_b32 v13, 23, v11 :: v_dual_bitop2_b32 v7, v8, v12 bitop3:0x14
	v_dual_sub_nc_u32 v8, 31, v11 :: v_dual_lshrrev_b32 v12, 29, v4
	v_alignbit_b32 v10, v10, v7, v8
	v_alignbit_b32 v6, v7, v6, v8
	s_delay_alu instid0(VALU_DEP_3) | instskip(NEXT) | instid1(VALU_DEP_2)
	v_lshlrev_b32_e32 v7, 31, v12
	v_alignbit_b32 v8, v10, v6, 9
	s_delay_alu instid0(VALU_DEP_2) | instskip(NEXT) | instid1(VALU_DEP_2)
	v_dual_lshrrev_b32 v10, 9, v10 :: v_dual_bitop2_b32 v12, 0.5, v7 bitop3:0x54
	v_clz_i32_u32_e32 v14, v8
	s_delay_alu instid0(VALU_DEP_2) | instskip(SKIP_1) | instid1(VALU_DEP_3)
	v_sub_nc_u32_e32 v12, v12, v13
	v_or_b32_e32 v7, 0x33000000, v7
	v_min_u32_e32 v13, 32, v14
	s_delay_alu instid0(VALU_DEP_1) | instskip(NEXT) | instid1(VALU_DEP_4)
	v_add_lshl_u32 v11, v13, v11, 23
	v_or_b32_e32 v10, v10, v12
	v_not_b32_e32 v12, v13
	s_delay_alu instid0(VALU_DEP_2) | instskip(NEXT) | instid1(VALU_DEP_2)
	v_dual_mul_f32 v14, 0x3fc90fda, v10 :: v_dual_sub_nc_u32 v7, v7, v11
	v_alignbit_b32 v6, v8, v6, v12
	s_delay_alu instid0(VALU_DEP_2) | instskip(NEXT) | instid1(VALU_DEP_2)
	v_fma_f32 v8, 0x3fc90fda, v10, -v14
	v_lshrrev_b32_e32 v6, 9, v6
	s_delay_alu instid0(VALU_DEP_2) | instskip(NEXT) | instid1(VALU_DEP_2)
	v_fmamk_f32 v8, v10, 0x33a22168, v8
	v_or_b32_e32 v6, v7, v6
	s_delay_alu instid0(VALU_DEP_1) | instskip(SKIP_1) | instid1(VALU_DEP_1)
	v_fmac_f32_e32 v8, 0x3fc90fda, v6
	v_lshrrev_b32_e32 v6, 30, v4
	v_dual_add_f32 v4, v14, v8 :: v_dual_add_nc_u32 v6, v9, v6
	s_and_not1_saveexec_b32 s0, s6
	s_cbranch_execnz .LBB81_43
	s_branch .LBB81_44
.LBB81_42:
	s_and_not1_saveexec_b32 s0, s6
.LBB81_43:
	v_mul_f32_e64 v4, 0x3f22f983, |v1|
	s_delay_alu instid0(VALU_DEP_1) | instskip(NEXT) | instid1(VALU_DEP_1)
	v_rndne_f32_e32 v6, v4
	v_fma_f32 v4, 0xbfc90fda, v6, |v1|
	s_delay_alu instid0(VALU_DEP_1) | instskip(NEXT) | instid1(VALU_DEP_1)
	v_fmamk_f32 v4, v6, 0xb3a22168, v4
	v_fmamk_f32 v4, v6, 0xa7c234c4, v4
	v_cvt_i32_f32_e32 v6, v6
.LBB81_44:
	s_or_b32 exec_lo, exec_lo, s0
	v_mul_f32_e64 v7, 0x3fb8aa3b, |v0|
	v_dual_mul_f32 v8, v3, v3 :: v_dual_bitop2_b32 v11, 1, v2 bitop3:0x40
	s_mov_b32 s0, 0xb94c1982
	v_dual_mul_f32 v12, v4, v4 :: v_dual_bitop2_b32 v13, 1, v6 bitop3:0x40
	s_delay_alu instid0(VALU_DEP_3)
	v_rndne_f32_e32 v9, v7
	v_fma_f32 v10, 0x3fb8aa3b, |v0|, -v7
	v_cmp_ngt_f32_e64 vcc_lo, 0xc2ce8ed0, |v0|
	s_mov_b32 s1, 0x37d75334
	v_dual_sub_f32 v7, v7, v9 :: v_dual_lshlrev_b32 v6, 30, v6
	v_fma_f32 v10, 0x32a5705f, |v0|, v10
	v_fmaak_f32 v14, s0, v8, 0x3c0881c4
	v_cvt_i32_f32_e32 v9, v9
	s_delay_alu instid0(VALU_DEP_4) | instskip(SKIP_2) | instid1(VALU_DEP_1)
	v_and_or_b32 v5, 0x80000000, v6, v5
	v_lshlrev_b32_e32 v2, 30, v2
	v_add_f32_e32 v7, v7, v10
	v_exp_f32_e32 v7, v7
	v_nop
	s_delay_alu instid0(TRANS32_DEP_1) | instskip(NEXT) | instid1(VALU_DEP_1)
	v_ldexp_f32 v7, v7, v9
	v_dual_fmaak_f32 v14, v8, v14, 0xbe2aaa9d :: v_dual_cndmask_b32 v7, 0, v7
	s_delay_alu instid0(VALU_DEP_1) | instskip(SKIP_2) | instid1(VALU_DEP_3)
	v_dual_fmaak_f32 v15, s1, v8, 0xbab64f3b :: v_dual_mul_f32 v14, v8, v14
	v_fmaak_f32 v16, s0, v12, 0x3c0881c4
	v_cmp_eq_u32_e32 vcc_lo, 0, v11
	v_fmaak_f32 v15, v8, v15, 0x3d2aabf7
	s_delay_alu instid0(VALU_DEP_3) | instskip(NEXT) | instid1(VALU_DEP_1)
	v_dual_fmac_f32 v3, v3, v14 :: v_dual_fmaak_f32 v16, v12, v16, 0xbe2aaa9d
	v_mul_f32_e32 v16, v12, v16
	s_delay_alu instid0(VALU_DEP_1) | instskip(NEXT) | instid1(VALU_DEP_4)
	v_fmac_f32_e32 v4, v4, v16
	v_fmaak_f32 v15, v8, v15, 0xbf000004
	s_delay_alu instid0(VALU_DEP_1) | instskip(NEXT) | instid1(VALU_DEP_1)
	v_fma_f32 v8, v8, v15, 1.0
	v_cndmask_b32_e64 v3, -v3, v8, vcc_lo
	v_cmp_nlt_f32_e64 vcc_lo, 0x42b17218, |v0|
	s_delay_alu instid0(VALU_DEP_2) | instskip(SKIP_2) | instid1(VALU_DEP_2)
	v_bitop3_b32 v2, v2, v3, 0x80000000 bitop3:0x6c
	v_cndmask_b32_e32 v7, 0x7f800000, v7, vcc_lo
	v_cmp_eq_u32_e32 vcc_lo, 0, v13
	v_mul_f32_e32 v6, 0.5, v7
	v_fmaak_f32 v10, s1, v12, 0xbab64f3b
	s_delay_alu instid0(VALU_DEP_2) | instskip(NEXT) | instid1(VALU_DEP_2)
	v_bfi_b32 v0, 0x7fffffff, v6, v0
	v_fmaak_f32 v10, v12, v10, 0x3d2aabf7
	s_delay_alu instid0(VALU_DEP_1) | instskip(NEXT) | instid1(VALU_DEP_1)
	v_fmaak_f32 v10, v12, v10, 0xbf000004
	v_fma_f32 v9, v12, v10, 1.0
	s_delay_alu instid0(VALU_DEP_1) | instskip(SKIP_1) | instid1(VALU_DEP_2)
	v_cndmask_b32_e32 v4, v9, v4, vcc_lo
	v_cmp_class_f32_e64 vcc_lo, v1, 0x1f8
	v_xor3_b32 v3, v5, v4, v1
	v_cndmask_b32_e32 v1, 0x7fc00000, v2, vcc_lo
	s_delay_alu instid0(VALU_DEP_1) | instskip(NEXT) | instid1(VALU_DEP_1)
	v_dual_cndmask_b32 v2, 0x7fc00000, v3 :: v_dual_mul_f32 v3, v6, v1
	v_mul_f32_e32 v2, v0, v2
.LBB81_45:
	s_or_b32 exec_lo, exec_lo, s5
                                        ; implicit-def: $vgpr0
                                        ; implicit-def: $vgpr1
                                        ; implicit-def: $vgpr5
.LBB81_46:
	s_and_not1_saveexec_b32 s4, s4
	s_cbranch_execz .LBB81_56
; %bb.47:
	v_cmp_ngt_f32_e64 s5, 0x48000000, |v1|
	v_lshrrev_b32_e32 v6, 23, v5
                                        ; implicit-def: $vgpr3
                                        ; implicit-def: $vgpr2
	s_and_saveexec_b32 s0, s5
	s_delay_alu instid0(SALU_CYCLE_1)
	s_xor_b32 s6, exec_lo, s0
	s_cbranch_execz .LBB81_49
; %bb.48:
	s_mov_b32 s0, 0x7fffff
	v_mov_b32_e32 v3, 0
	v_and_or_b32 v2, v5, s0, 0x800000
	s_mov_b64 s[0:1], 0xfe5163ab
	s_delay_alu instid0(VALU_DEP_1) | instid1(SALU_CYCLE_1)
	v_mul_u64_e32 v[8:9], s[0:1], v[2:3]
	s_delay_alu instid0(VALU_DEP_1) | instskip(SKIP_2) | instid1(VALU_DEP_3)
	v_dual_mov_b32 v10, v9 :: v_dual_mov_b32 v11, v3
	v_dual_mov_b32 v13, v3 :: v_dual_add_nc_u32 v4, 0xffffff88, v6
	v_dual_mov_b32 v21, v3 :: v_dual_mov_b32 v15, v3
	v_mad_nc_u64_u32 v[10:11], 0x3c439041, v2, v[10:11]
	v_mov_b32_e32 v17, v3
	s_delay_alu instid0(VALU_DEP_4) | instskip(SKIP_3) | instid1(VALU_DEP_2)
	v_cmp_lt_u32_e32 vcc_lo, 63, v4
	v_mov_b32_e32 v19, v3
	v_cndmask_b32_e64 v7, 0, 0xffffffc0, vcc_lo
	v_mov_b32_e32 v12, v11
	v_add_nc_u32_e32 v4, v7, v4
	s_delay_alu instid0(VALU_DEP_2) | instskip(NEXT) | instid1(VALU_DEP_2)
	v_mad_nc_u64_u32 v[12:13], 0xdb629599, v2, v[12:13]
	v_cmp_lt_u32_e64 s0, 31, v4
	s_delay_alu instid0(VALU_DEP_1) | instskip(NEXT) | instid1(VALU_DEP_3)
	v_cndmask_b32_e64 v7, 0, 0xffffffe0, s0
	v_dual_mov_b32 v14, v13 :: v_dual_cndmask_b32 v8, v12, v8, vcc_lo
	s_delay_alu instid0(VALU_DEP_1) | instskip(NEXT) | instid1(VALU_DEP_3)
	v_mad_nc_u64_u32 v[14:15], 0xf534ddc0, v2, v[14:15]
	v_add_nc_u32_e32 v4, v7, v4
	s_delay_alu instid0(VALU_DEP_1) | instskip(NEXT) | instid1(VALU_DEP_3)
	v_cmp_lt_u32_e64 s1, 31, v4
	v_mov_b32_e32 v16, v15
	s_delay_alu instid0(VALU_DEP_2) | instskip(NEXT) | instid1(VALU_DEP_2)
	v_cndmask_b32_e64 v7, 0, 0xffffffe0, s1
	v_mad_nc_u64_u32 v[16:17], 0xfc2757d1, v2, v[16:17]
	s_delay_alu instid0(VALU_DEP_1) | instskip(NEXT) | instid1(VALU_DEP_1)
	v_mov_b32_e32 v18, v17
	v_mad_nc_u64_u32 v[18:19], 0x4e441529, v2, v[18:19]
	s_delay_alu instid0(VALU_DEP_1) | instskip(NEXT) | instid1(VALU_DEP_1)
	v_dual_mov_b32 v20, v19 :: v_dual_cndmask_b32 v9, v18, v14
	v_mad_nc_u64_u32 v[2:3], 0xa2f9836e, v2, v[20:21]
	s_delay_alu instid0(VALU_DEP_1) | instskip(SKIP_2) | instid1(VALU_DEP_3)
	v_dual_cndmask_b32 v2, v2, v16 :: v_dual_cndmask_b32 v3, v3, v18
	v_cndmask_b32_e32 v11, v16, v12, vcc_lo
	v_dual_cndmask_b32 v7, v14, v10 :: v_dual_add_nc_u32 v4, v7, v4
	v_dual_cndmask_b32 v10, v2, v9, s0 :: v_dual_cndmask_b32 v2, v3, v2, s0
	s_delay_alu instid0(VALU_DEP_2) | instskip(NEXT) | instid1(VALU_DEP_3)
	v_dual_cndmask_b32 v3, v9, v11, s0 :: v_dual_sub_nc_u32 v9, 32, v4
	v_cndmask_b32_e64 v11, v11, v7, s0
	v_cmp_eq_u32_e32 vcc_lo, 0, v4
	s_delay_alu instid0(VALU_DEP_4) | instskip(NEXT) | instid1(VALU_DEP_4)
	v_cndmask_b32_e64 v2, v2, v10, s1
	v_cndmask_b32_e64 v10, v10, v3, s1
	s_delay_alu instid0(VALU_DEP_1) | instskip(NEXT) | instid1(VALU_DEP_1)
	v_alignbit_b32 v13, v2, v10, v9
	v_dual_cndmask_b32 v3, v3, v11, s1 :: v_dual_cndmask_b32 v2, v13, v2, vcc_lo
	s_delay_alu instid0(VALU_DEP_1) | instskip(SKIP_1) | instid1(VALU_DEP_3)
	v_alignbit_b32 v12, v10, v3, v9
	v_cndmask_b32_e64 v4, v7, v8, s0
	v_bfe_u32 v8, v2, 29, 1
	s_delay_alu instid0(VALU_DEP_3) | instskip(NEXT) | instid1(VALU_DEP_1)
	v_cndmask_b32_e32 v7, v12, v10, vcc_lo
	v_alignbit_b32 v10, v2, v7, 30
	s_delay_alu instid0(VALU_DEP_4) | instskip(NEXT) | instid1(VALU_DEP_4)
	v_cndmask_b32_e64 v4, v11, v4, s1
	v_sub_nc_u32_e32 v11, 0, v8
	s_delay_alu instid0(VALU_DEP_1) | instskip(NEXT) | instid1(VALU_DEP_3)
	v_xor_b32_e32 v10, v10, v11
	v_alignbit_b32 v9, v3, v4, v9
	s_delay_alu instid0(VALU_DEP_1) | instskip(NEXT) | instid1(VALU_DEP_3)
	v_cndmask_b32_e32 v3, v9, v3, vcc_lo
	v_clz_i32_u32_e32 v9, v10
	s_delay_alu instid0(VALU_DEP_2) | instskip(NEXT) | instid1(VALU_DEP_2)
	v_alignbit_b32 v7, v7, v3, 30
	v_min_u32_e32 v9, 32, v9
	v_alignbit_b32 v3, v3, v4, 30
	s_delay_alu instid0(VALU_DEP_2) | instskip(NEXT) | instid1(VALU_DEP_2)
	v_dual_sub_nc_u32 v7, 31, v9 :: v_dual_bitop2_b32 v4, v7, v11 bitop3:0x14
	v_dual_lshrrev_b32 v11, 29, v2 :: v_dual_bitop2_b32 v3, v3, v11 bitop3:0x14
	v_lshlrev_b32_e32 v12, 23, v9
	s_delay_alu instid0(VALU_DEP_3) | instskip(NEXT) | instid1(VALU_DEP_3)
	v_alignbit_b32 v10, v10, v4, v7
	v_alignbit_b32 v3, v4, v3, v7
	s_delay_alu instid0(VALU_DEP_4) | instskip(NEXT) | instid1(VALU_DEP_2)
	v_lshlrev_b32_e32 v4, 31, v11
	v_alignbit_b32 v7, v10, v3, 9
	s_delay_alu instid0(VALU_DEP_2) | instskip(SKIP_1) | instid1(VALU_DEP_3)
	v_dual_lshrrev_b32 v10, 9, v10 :: v_dual_bitop2_b32 v11, 0.5, v4 bitop3:0x54
	v_or_b32_e32 v4, 0x33000000, v4
	v_clz_i32_u32_e32 v13, v7
	s_delay_alu instid0(VALU_DEP_3) | instskip(NEXT) | instid1(VALU_DEP_2)
	v_sub_nc_u32_e32 v11, v11, v12
	v_min_u32_e32 v12, 32, v13
	s_delay_alu instid0(VALU_DEP_1) | instskip(NEXT) | instid1(VALU_DEP_1)
	v_add_lshl_u32 v9, v12, v9, 23
	v_dual_sub_nc_u32 v4, v4, v9 :: v_dual_bitop2_b32 v10, v10, v11 bitop3:0x54
	v_not_b32_e32 v11, v12
	s_delay_alu instid0(VALU_DEP_2) | instskip(NEXT) | instid1(VALU_DEP_2)
	v_mul_f32_e32 v13, 0x3fc90fda, v10
	v_alignbit_b32 v3, v7, v3, v11
	s_delay_alu instid0(VALU_DEP_2) | instskip(NEXT) | instid1(VALU_DEP_2)
	v_fma_f32 v7, 0x3fc90fda, v10, -v13
	v_lshrrev_b32_e32 v3, 9, v3
	s_delay_alu instid0(VALU_DEP_2) | instskip(NEXT) | instid1(VALU_DEP_2)
	v_fmamk_f32 v7, v10, 0x33a22168, v7
	v_or_b32_e32 v3, v4, v3
	s_delay_alu instid0(VALU_DEP_1) | instskip(NEXT) | instid1(VALU_DEP_1)
	v_fmac_f32_e32 v7, 0x3fc90fda, v3
	v_dual_add_f32 v2, v13, v7 :: v_dual_lshrrev_b32 v3, 30, v2
	s_delay_alu instid0(VALU_DEP_1)
	v_add_nc_u32_e32 v3, v8, v3
	s_or_saveexec_b32 s0, s6
	v_mul_f32_e64 v8, 0x3f22f983, |v1|
	s_xor_b32 exec_lo, exec_lo, s0
	s_branch .LBB81_50
.LBB81_49:
	s_or_saveexec_b32 s0, s6
	v_mul_f32_e64 v8, 0x3f22f983, |v1|
	s_xor_b32 exec_lo, exec_lo, s0
.LBB81_50:
	s_delay_alu instid0(VALU_DEP_1) | instskip(NEXT) | instid1(VALU_DEP_1)
	v_rndne_f32_e32 v3, v8
	v_fma_f32 v2, 0xbfc90fda, v3, |v1|
	s_delay_alu instid0(VALU_DEP_1) | instskip(NEXT) | instid1(VALU_DEP_1)
	v_fmamk_f32 v2, v3, 0xb3a22168, v2
	v_fmamk_f32 v2, v3, 0xa7c234c4, v2
	v_cvt_i32_f32_e32 v3, v3
; %bb.51:
	s_or_b32 exec_lo, exec_lo, s0
                                        ; implicit-def: $vgpr7
                                        ; implicit-def: $vgpr4
	s_and_saveexec_b32 s0, s5
	s_delay_alu instid0(SALU_CYCLE_1)
	s_xor_b32 s5, exec_lo, s0
	s_cbranch_execz .LBB81_53
; %bb.52:
	s_mov_b32 s0, 0x7fffff
	v_mov_b32_e32 v9, 0
	v_and_or_b32 v8, v5, s0, 0x800000
	s_mov_b64 s[0:1], 0xfe5163ab
	s_delay_alu instid0(VALU_DEP_1) | instid1(SALU_CYCLE_1)
	v_mul_u64_e32 v[10:11], s[0:1], v[8:9]
	s_delay_alu instid0(VALU_DEP_1) | instskip(SKIP_2) | instid1(VALU_DEP_3)
	v_dual_mov_b32 v12, v11 :: v_dual_mov_b32 v13, v9
	v_dual_mov_b32 v15, v9 :: v_dual_mov_b32 v17, v9
	;; [unrolled: 1-line block ×3, first 2 shown]
	v_mad_nc_u64_u32 v[12:13], 0x3c439041, v8, v[12:13]
	s_delay_alu instid0(VALU_DEP_1) | instskip(NEXT) | instid1(VALU_DEP_1)
	v_mov_b32_e32 v14, v13
	v_mad_nc_u64_u32 v[14:15], 0xdb629599, v8, v[14:15]
	s_delay_alu instid0(VALU_DEP_1) | instskip(NEXT) | instid1(VALU_DEP_1)
	v_mov_b32_e32 v16, v15
	v_mad_nc_u64_u32 v[16:17], 0xf534ddc0, v8, v[16:17]
	v_add_nc_u32_e32 v4, 0xffffff88, v6
	s_delay_alu instid0(VALU_DEP_1) | instskip(NEXT) | instid1(VALU_DEP_3)
	v_cmp_lt_u32_e32 vcc_lo, 63, v4
	v_mov_b32_e32 v18, v17
	v_cndmask_b32_e64 v11, 0, 0xffffffc0, vcc_lo
	v_cndmask_b32_e32 v10, v14, v10, vcc_lo
	s_delay_alu instid0(VALU_DEP_3) | instskip(NEXT) | instid1(VALU_DEP_1)
	v_mad_nc_u64_u32 v[18:19], 0xfc2757d1, v8, v[18:19]
	v_mov_b32_e32 v20, v19
	s_delay_alu instid0(VALU_DEP_1) | instskip(NEXT) | instid1(VALU_DEP_1)
	v_mad_nc_u64_u32 v[6:7], 0x4e441529, v8, v[20:21]
	v_mov_b32_e32 v20, v7
	s_delay_alu instid0(VALU_DEP_1) | instskip(SKIP_1) | instid1(VALU_DEP_2)
	v_mad_nc_u64_u32 v[8:9], 0xa2f9836e, v8, v[20:21]
	v_add_nc_u32_e32 v4, v11, v4
	v_dual_cndmask_b32 v11, v6, v16 :: v_dual_cndmask_b32 v8, v8, v18
	s_delay_alu instid0(VALU_DEP_2) | instskip(NEXT) | instid1(VALU_DEP_1)
	v_cmp_lt_u32_e64 s0, 31, v4
	v_cndmask_b32_e64 v7, 0, 0xffffffe0, s0
	s_delay_alu instid0(VALU_DEP_1) | instskip(NEXT) | instid1(VALU_DEP_1)
	v_add_nc_u32_e32 v4, v7, v4
	v_cmp_lt_u32_e64 s1, 31, v4
	s_delay_alu instid0(VALU_DEP_1) | instskip(SKIP_1) | instid1(VALU_DEP_2)
	v_cndmask_b32_e64 v7, 0, 0xffffffe0, s1
	v_cndmask_b32_e32 v6, v9, v6, vcc_lo
	v_dual_cndmask_b32 v9, v18, v14 :: v_dual_add_nc_u32 v4, v7, v4
	v_cndmask_b32_e32 v7, v16, v12, vcc_lo
	s_delay_alu instid0(VALU_DEP_3) | instskip(NEXT) | instid1(VALU_DEP_3)
	v_dual_cndmask_b32 v12, v8, v11, s0 :: v_dual_cndmask_b32 v6, v6, v8, s0
	v_dual_cndmask_b32 v8, v11, v9, s0 :: v_dual_sub_nc_u32 v11, 32, v4
	s_delay_alu instid0(VALU_DEP_3) | instskip(SKIP_1) | instid1(VALU_DEP_4)
	v_cndmask_b32_e64 v9, v9, v7, s0
	v_cmp_eq_u32_e32 vcc_lo, 0, v4
	v_cndmask_b32_e64 v6, v6, v12, s1
	s_delay_alu instid0(VALU_DEP_4) | instskip(NEXT) | instid1(VALU_DEP_4)
	v_cndmask_b32_e64 v12, v12, v8, s1
	v_cndmask_b32_e64 v8, v8, v9, s1
	s_delay_alu instid0(VALU_DEP_2) | instskip(NEXT) | instid1(VALU_DEP_2)
	v_alignbit_b32 v13, v6, v12, v11
	v_alignbit_b32 v14, v12, v8, v11
	s_delay_alu instid0(VALU_DEP_2) | instskip(NEXT) | instid1(VALU_DEP_2)
	v_cndmask_b32_e32 v4, v13, v6, vcc_lo
	v_dual_cndmask_b32 v6, v7, v10, s0 :: v_dual_cndmask_b32 v7, v14, v12, vcc_lo
	s_delay_alu instid0(VALU_DEP_2) | instskip(NEXT) | instid1(VALU_DEP_1)
	v_bfe_u32 v10, v4, 29, 1
	v_sub_nc_u32_e32 v12, 0, v10
	s_delay_alu instid0(VALU_DEP_3) | instskip(NEXT) | instid1(VALU_DEP_4)
	v_cndmask_b32_e64 v6, v9, v6, s1
	v_alignbit_b32 v9, v4, v7, 30
	s_delay_alu instid0(VALU_DEP_1) | instskip(NEXT) | instid1(VALU_DEP_3)
	v_xor_b32_e32 v9, v9, v12
	v_alignbit_b32 v11, v8, v6, v11
	s_delay_alu instid0(VALU_DEP_1) | instskip(NEXT) | instid1(VALU_DEP_3)
	v_cndmask_b32_e32 v8, v11, v8, vcc_lo
	v_clz_i32_u32_e32 v11, v9
	s_delay_alu instid0(VALU_DEP_2) | instskip(NEXT) | instid1(VALU_DEP_2)
	v_alignbit_b32 v7, v7, v8, 30
	v_min_u32_e32 v11, 32, v11
	v_alignbit_b32 v6, v8, v6, 30
	s_delay_alu instid0(VALU_DEP_2) | instskip(NEXT) | instid1(VALU_DEP_2)
	v_dual_sub_nc_u32 v8, 31, v11 :: v_dual_bitop2_b32 v7, v7, v12 bitop3:0x14
	v_xor_b32_e32 v6, v6, v12
	v_dual_lshrrev_b32 v12, 29, v4 :: v_dual_lshlrev_b32 v13, 23, v11
	s_delay_alu instid0(VALU_DEP_3) | instskip(NEXT) | instid1(VALU_DEP_3)
	v_alignbit_b32 v9, v9, v7, v8
	v_alignbit_b32 v6, v7, v6, v8
	s_delay_alu instid0(VALU_DEP_3) | instskip(NEXT) | instid1(VALU_DEP_2)
	v_lshlrev_b32_e32 v7, 31, v12
	v_alignbit_b32 v8, v9, v6, 9
	s_delay_alu instid0(VALU_DEP_2) | instskip(SKIP_2) | instid1(VALU_DEP_4)
	v_or_b32_e32 v12, 0.5, v7
	v_or_b32_e32 v7, 0x33000000, v7
	v_lshrrev_b32_e32 v9, 9, v9
	v_clz_i32_u32_e32 v14, v8
	s_delay_alu instid0(VALU_DEP_4) | instskip(NEXT) | instid1(VALU_DEP_2)
	v_sub_nc_u32_e32 v12, v12, v13
	v_min_u32_e32 v13, 32, v14
	s_delay_alu instid0(VALU_DEP_1) | instskip(NEXT) | instid1(VALU_DEP_1)
	v_add_lshl_u32 v11, v13, v11, 23
	v_dual_sub_nc_u32 v7, v7, v11 :: v_dual_bitop2_b32 v9, v9, v12 bitop3:0x54
	v_not_b32_e32 v12, v13
	s_delay_alu instid0(VALU_DEP_2) | instskip(NEXT) | instid1(VALU_DEP_2)
	v_mul_f32_e32 v14, 0x3fc90fda, v9
	v_alignbit_b32 v6, v8, v6, v12
	s_delay_alu instid0(VALU_DEP_2) | instskip(NEXT) | instid1(VALU_DEP_2)
	v_fma_f32 v8, 0x3fc90fda, v9, -v14
	v_lshrrev_b32_e32 v6, 9, v6
	s_delay_alu instid0(VALU_DEP_2) | instskip(NEXT) | instid1(VALU_DEP_2)
	v_fmamk_f32 v8, v9, 0x33a22168, v8
	v_or_b32_e32 v6, v7, v6
	s_delay_alu instid0(VALU_DEP_1) | instskip(SKIP_1) | instid1(VALU_DEP_2)
	v_fmac_f32_e32 v8, 0x3fc90fda, v6
	v_lshrrev_b32_e32 v6, 30, v4
	v_add_f32_e32 v4, v14, v8
	s_delay_alu instid0(VALU_DEP_2)
	v_add_nc_u32_e32 v7, v10, v6
                                        ; implicit-def: $vgpr8
	s_and_not1_saveexec_b32 s0, s5
	s_cbranch_execnz .LBB81_54
	s_branch .LBB81_55
.LBB81_53:
	s_and_not1_saveexec_b32 s0, s5
.LBB81_54:
	v_rndne_f32_e32 v6, v8
	s_delay_alu instid0(VALU_DEP_1) | instskip(SKIP_1) | instid1(VALU_DEP_2)
	v_fma_f32 v4, 0xbfc90fda, v6, |v1|
	v_cvt_i32_f32_e32 v7, v6
	v_fmamk_f32 v4, v6, 0xb3a22168, v4
	s_delay_alu instid0(VALU_DEP_1)
	v_fmamk_f32 v4, v6, 0xa7c234c4, v4
.LBB81_55:
	s_or_b32 exec_lo, exec_lo, s0
	v_add_f32_e64 v6, 0xbf317218, |v0|
	s_mov_b32 s0, 0x3ab42872
	s_mov_b32 s1, 0x37d75334
	s_delay_alu instid0(VALU_DEP_1) | instskip(NEXT) | instid1(VALU_DEP_1)
	v_sub_f32_e64 v8, v6, |v0|
	v_dual_sub_f32 v9, v8, v6 :: v_dual_add_f32 v8, 0x3f317218, v8
	s_delay_alu instid0(VALU_DEP_1) | instskip(NEXT) | instid1(VALU_DEP_1)
	v_add_f32_e64 v9, |v0|, v9
	v_sub_f32_e32 v8, v9, v8
	s_delay_alu instid0(VALU_DEP_1) | instskip(NEXT) | instid1(VALU_DEP_1)
	v_add_f32_e32 v8, 0x3102e308, v8
	v_add_f32_e32 v9, v6, v8
	s_delay_alu instid0(VALU_DEP_1) | instskip(NEXT) | instid1(VALU_DEP_1)
	v_sub_f32_e32 v6, v6, v9
	v_add_f32_e32 v6, v8, v6
	v_mul_f32_e32 v10, 0x3fb8aa3b, v9
	s_delay_alu instid0(VALU_DEP_1) | instskip(NEXT) | instid1(VALU_DEP_1)
	v_rndne_f32_e32 v10, v10
	v_fmamk_f32 v8, v10, 0xbf317200, v9
	s_delay_alu instid0(VALU_DEP_1) | instskip(NEXT) | instid1(VALU_DEP_1)
	v_add_f32_e32 v11, v6, v8
	v_dual_mul_f32 v9, 0x35bfbc00, v10 :: v_dual_sub_f32 v8, v8, v11
	s_delay_alu instid0(VALU_DEP_1) | instskip(NEXT) | instid1(VALU_DEP_1)
	v_dual_sub_f32 v12, v11, v9 :: v_dual_add_f32 v6, v6, v8
	v_sub_f32_e32 v11, v11, v12
	s_delay_alu instid0(VALU_DEP_1) | instskip(NEXT) | instid1(VALU_DEP_1)
	v_sub_f32_e32 v8, v11, v9
	v_add_f32_e32 v6, v6, v8
	s_delay_alu instid0(VALU_DEP_1) | instskip(SKIP_1) | instid1(VALU_DEP_1)
	v_add_f32_e32 v9, v12, v6
	v_mul_f32_e32 v8, 0x2ea39ef3, v10
	v_dual_sub_f32 v12, v12, v9 :: v_dual_sub_f32 v11, v9, v8
	s_delay_alu instid0(VALU_DEP_1) | instskip(NEXT) | instid1(VALU_DEP_1)
	v_dual_add_f32 v6, v6, v12 :: v_dual_sub_f32 v9, v9, v11
	v_sub_f32_e32 v8, v9, v8
	s_delay_alu instid0(VALU_DEP_1) | instskip(NEXT) | instid1(VALU_DEP_1)
	v_add_f32_e32 v6, v6, v8
	v_add_f32_e32 v8, v11, v6
	s_delay_alu instid0(VALU_DEP_1) | instskip(NEXT) | instid1(VALU_DEP_1)
	v_sub_f32_e32 v9, v11, v8
	v_add_f32_e32 v6, v6, v9
	s_delay_alu instid0(VALU_DEP_1) | instskip(SKIP_2) | instid1(VALU_DEP_2)
	v_dual_add_f32 v13, v6, v6 :: v_dual_mul_f32 v11, v8, v8
	v_fmaak_f32 v9, s0, v8, 0x3c091de6
	s_mov_b32 s0, 0xb94c1982
	v_fma_f32 v12, v8, v8, -v11
	s_delay_alu instid0(VALU_DEP_2) | instskip(NEXT) | instid1(VALU_DEP_2)
	v_fmaak_f32 v9, v8, v9, 0x3d2aadcc
	v_fmac_f32_e32 v12, v8, v13
	s_delay_alu instid0(VALU_DEP_2) | instskip(NEXT) | instid1(VALU_DEP_2)
	v_fmaak_f32 v9, v8, v9, 0x3e2aaa47
	v_add_f32_e32 v13, v11, v12
	s_delay_alu instid0(VALU_DEP_2) | instskip(NEXT) | instid1(VALU_DEP_2)
	v_fmaak_f32 v9, v8, v9, 0x3efffffc
	v_sub_f32_e32 v11, v13, v11
	s_delay_alu instid0(VALU_DEP_1) | instskip(NEXT) | instid1(VALU_DEP_1)
	v_dual_sub_f32 v11, v12, v11 :: v_dual_mul_f32 v14, v9, v13
	v_fma_f32 v12, v13, v9, -v14
	s_delay_alu instid0(VALU_DEP_1) | instskip(NEXT) | instid1(VALU_DEP_1)
	v_fmac_f32_e32 v12, v11, v9
	v_add_f32_e32 v9, v14, v12
	s_delay_alu instid0(VALU_DEP_1) | instskip(NEXT) | instid1(VALU_DEP_1)
	v_dual_add_f32 v11, v8, v9 :: v_dual_sub_f32 v13, v9, v14
	v_dual_sub_f32 v8, v11, v8 :: v_dual_sub_f32 v12, v12, v13
	s_delay_alu instid0(VALU_DEP_1) | instskip(NEXT) | instid1(VALU_DEP_2)
	v_sub_f32_e32 v8, v9, v8
	v_add_f32_e32 v6, v6, v12
	s_delay_alu instid0(VALU_DEP_1) | instskip(NEXT) | instid1(VALU_DEP_1)
	v_add_f32_e32 v6, v6, v8
	v_add_f32_e32 v8, v11, v6
	s_delay_alu instid0(VALU_DEP_1) | instskip(NEXT) | instid1(VALU_DEP_1)
	v_dual_add_f32 v9, 1.0, v8 :: v_dual_sub_f32 v11, v8, v11
	v_dual_add_f32 v12, -1.0, v9 :: v_dual_sub_f32 v6, v6, v11
	s_delay_alu instid0(VALU_DEP_1) | instskip(NEXT) | instid1(VALU_DEP_1)
	v_sub_f32_e32 v8, v8, v12
	v_add_f32_e32 v6, v6, v8
	v_cvt_i32_f32_e32 v8, v10
	s_delay_alu instid0(VALU_DEP_2) | instskip(NEXT) | instid1(VALU_DEP_1)
	v_add_f32_e32 v10, v9, v6
	v_sub_f32_e32 v9, v10, v9
	s_delay_alu instid0(VALU_DEP_1) | instskip(NEXT) | instid1(VALU_DEP_4)
	v_sub_f32_e32 v6, v6, v9
	v_ldexp_f32 v11, v10, v8
	s_delay_alu instid0(VALU_DEP_2) | instskip(NEXT) | instid1(VALU_DEP_2)
	v_ldexp_f32 v6, v6, v8
	v_rcp_f32_e32 v12, v11
	v_nop
	s_delay_alu instid0(TRANS32_DEP_1) | instskip(NEXT) | instid1(VALU_DEP_1)
	v_mul_f32_e32 v9, v11, v12
	v_fma_f32 v8, v12, v11, -v9
	s_delay_alu instid0(VALU_DEP_1) | instskip(NEXT) | instid1(VALU_DEP_1)
	v_fmac_f32_e32 v8, v12, v6
	v_add_f32_e32 v10, v9, v8
	s_delay_alu instid0(VALU_DEP_1) | instskip(NEXT) | instid1(VALU_DEP_1)
	v_sub_f32_e32 v13, 1.0, v10
	v_sub_f32_e32 v14, 1.0, v13
	v_sub_f32_e32 v9, v10, v9
	s_delay_alu instid0(VALU_DEP_1) | instskip(NEXT) | instid1(VALU_DEP_1)
	v_dual_sub_f32 v8, v9, v8 :: v_dual_sub_f32 v9, v14, v10
	v_add_f32_e32 v8, v8, v9
	s_delay_alu instid0(VALU_DEP_1) | instskip(NEXT) | instid1(VALU_DEP_1)
	v_add_f32_e32 v9, v13, v8
	v_mul_f32_e32 v10, v12, v9
	s_delay_alu instid0(VALU_DEP_1) | instskip(NEXT) | instid1(VALU_DEP_1)
	v_mul_f32_e32 v14, v11, v10
	v_fma_f32 v15, v10, v11, -v14
	s_delay_alu instid0(VALU_DEP_1) | instskip(NEXT) | instid1(VALU_DEP_1)
	v_dual_fmac_f32 v15, v10, v6 :: v_dual_sub_f32 v13, v13, v9
	v_dual_add_f32 v16, v14, v15 :: v_dual_add_f32 v8, v8, v13
	s_delay_alu instid0(VALU_DEP_1) | instskip(SKIP_1) | instid1(VALU_DEP_2)
	v_dual_sub_f32 v17, v9, v16 :: v_dual_sub_f32 v13, v16, v14
	v_dual_lshlrev_b32 v7, 30, v7 :: v_dual_bitop2_b32 v14, 1, v7 bitop3:0x40
	v_sub_f32_e32 v9, v9, v17
	s_delay_alu instid0(VALU_DEP_3) | instskip(NEXT) | instid1(VALU_DEP_3)
	v_sub_f32_e32 v13, v13, v15
	v_and_or_b32 v5, 0x80000000, v7, v5
	s_delay_alu instid0(VALU_DEP_3) | instskip(NEXT) | instid1(VALU_DEP_1)
	v_sub_f32_e32 v9, v9, v16
	v_add_f32_e32 v8, v8, v9
	s_delay_alu instid0(VALU_DEP_1) | instskip(NEXT) | instid1(VALU_DEP_1)
	v_dual_add_f32 v9, v12, v10 :: v_dual_add_f32 v8, v13, v8
	v_sub_f32_e32 v13, v9, v12
	s_delay_alu instid0(VALU_DEP_1) | instskip(NEXT) | instid1(VALU_DEP_1)
	v_dual_add_f32 v8, v17, v8 :: v_dual_sub_f32 v10, v10, v13
	v_dual_mul_f32 v8, v12, v8 :: v_dual_mul_f32 v12, v2, v2
	s_delay_alu instid0(VALU_DEP_1) | instskip(NEXT) | instid1(VALU_DEP_1)
	v_dual_add_f32 v8, v10, v8 :: v_dual_bitop2_b32 v10, 1, v3 bitop3:0x40
	v_dual_lshlrev_b32 v3, 30, v3 :: v_dual_add_f32 v15, v9, v8
	v_mul_f32_e32 v13, v4, v4
	s_delay_alu instid0(VALU_DEP_3) | instskip(NEXT) | instid1(VALU_DEP_3)
	v_cmp_eq_u32_e32 vcc_lo, 0, v10
	v_sub_f32_e32 v7, v15, v9
	s_delay_alu instid0(VALU_DEP_3) | instskip(SKIP_4) | instid1(VALU_DEP_4)
	v_fmaak_f32 v18, s0, v13, 0x3c0881c4
	v_ldexp_f32 v19, v15, -2
	v_fmaak_f32 v16, s0, v12, 0x3c0881c4
	v_dual_fmaak_f32 v17, s1, v12, 0xbab64f3b :: v_dual_fmaak_f32 v20, s1, v13, 0xbab64f3b
	v_sub_f32_e32 v7, v8, v7
	v_sub_f32_e32 v15, v11, v19
	s_delay_alu instid0(VALU_DEP_4) | instskip(NEXT) | instid1(VALU_DEP_4)
	v_dual_fmaak_f32 v9, v12, v16, 0xbe2aaa9d :: v_dual_fmaak_f32 v8, v13, v18, 0xbe2aaa9d
	v_dual_fmaak_f32 v16, v12, v17, 0x3d2aabf7 :: v_dual_add_f32 v17, v11, v19
	s_delay_alu instid0(VALU_DEP_2) | instskip(SKIP_2) | instid1(VALU_DEP_4)
	v_dual_sub_f32 v18, v11, v15 :: v_dual_mul_f32 v9, v12, v9
	v_fmaak_f32 v20, v13, v20, 0x3d2aabf7
	v_ldexp_f32 v7, v7, -2
	v_dual_sub_f32 v11, v17, v11 :: v_dual_fmaak_f32 v16, v12, v16, 0xbf000004
	s_delay_alu instid0(VALU_DEP_4) | instskip(SKIP_1) | instid1(VALU_DEP_3)
	v_dual_sub_f32 v18, v18, v19 :: v_dual_mul_f32 v8, v13, v8
	v_cmp_lt_f32_e64 s0, 0x42b2d4fc, |v0|
	v_sub_f32_e32 v11, v19, v11
	s_delay_alu instid0(VALU_DEP_3) | instskip(SKIP_2) | instid1(VALU_DEP_3)
	v_dual_add_f32 v19, v6, v7 :: v_dual_add_f32 v6, v6, v18
	v_fmaak_f32 v18, v13, v20, 0xbf000004
	v_dual_fmac_f32 v2, v2, v9 :: v_dual_fmac_f32 v4, v4, v8
	v_add_f32_e32 v9, v19, v11
	v_fma_f32 v11, v12, v16, 1.0
	v_sub_f32_e32 v6, v6, v7
	v_fma_f32 v7, v13, v18, 1.0
	s_delay_alu instid0(VALU_DEP_3) | instskip(NEXT) | instid1(VALU_DEP_3)
	v_dual_add_f32 v8, v17, v9 :: v_dual_cndmask_b32 v2, -v2, v11, vcc_lo
	v_add_f32_e32 v6, v15, v6
	v_cmp_eq_u32_e32 vcc_lo, 0, v14
	s_delay_alu instid0(VALU_DEP_2)
	v_cndmask_b32_e64 v6, v6, 0x7f800000, s0
	v_cndmask_b32_e32 v4, v7, v4, vcc_lo
	v_cndmask_b32_e64 v7, v8, 0x7f800000, s0
	v_cmp_gt_f32_e64 s0, 0x39800000, |v0|
	v_bitop3_b32 v2, v3, v2, 0x80000000 bitop3:0x6c
	v_cmp_class_f32_e64 vcc_lo, v1, 0x1f8
	v_xor3_b32 v3, v5, v4, v1
	s_delay_alu instid0(VALU_DEP_4) | instskip(NEXT) | instid1(VALU_DEP_1)
	v_cndmask_b32_e64 v4, v6, |v0|, s0
	v_bfi_b32 v0, 0x7fffffff, v4, v0
	v_cndmask_b32_e32 v1, 0x7fc00000, v2, vcc_lo
	s_delay_alu instid0(VALU_DEP_4) | instskip(NEXT) | instid1(VALU_DEP_1)
	v_cndmask_b32_e32 v2, 0x7fc00000, v3, vcc_lo
	v_dual_mul_f32 v2, v0, v2 :: v_dual_mul_f32 v3, v7, v1
.LBB81_56:
	s_or_b32 exec_lo, exec_lo, s4
                                        ; implicit-def: $vgpr0
                                        ; implicit-def: $vgpr4
                                        ; implicit-def: $vgpr1
.LBB81_57:
	s_and_not1_saveexec_b32 s0, s3
	s_cbranch_execz .LBB81_59
; %bb.58:
	v_add_f32_e64 v6, 0xbf317218, |v0|
	s_mov_b32 s1, 0x3ab42872
	v_cmp_nlt_f32_e64 vcc_lo, 0x42b2d4fc, |v0|
	s_delay_alu instid0(VALU_DEP_2) | instskip(NEXT) | instid1(VALU_DEP_1)
	v_sub_f32_e64 v3, v6, |v0|
	v_dual_mov_b32 v5, 0x3f317218 :: v_dual_sub_f32 v2, v3, v6
	s_delay_alu instid0(VALU_DEP_1) | instskip(NEXT) | instid1(VALU_DEP_1)
	v_pk_add_f32 v[2:3], v[4:5], v[2:3]
	v_sub_f32_e32 v2, v2, v3
	s_delay_alu instid0(VALU_DEP_1) | instskip(NEXT) | instid1(VALU_DEP_1)
	v_add_f32_e32 v2, 0x3102e308, v2
	v_add_f32_e32 v3, v6, v2
	s_delay_alu instid0(VALU_DEP_1) | instskip(NEXT) | instid1(VALU_DEP_1)
	v_dual_mul_f32 v4, 0x3fb8aa3b, v3 :: v_dual_sub_f32 v5, v6, v3
	v_rndne_f32_e32 v10, v4
	s_delay_alu instid0(VALU_DEP_2) | instskip(NEXT) | instid1(VALU_DEP_2)
	v_add_f32_e32 v4, v2, v5
	v_fmamk_f32 v3, v10, 0xbf317200, v3
	s_delay_alu instid0(VALU_DEP_1) | instskip(NEXT) | instid1(VALU_DEP_1)
	v_dual_mul_f32 v5, 0x35bfbc00, v10 :: v_dual_add_f32 v6, v4, v3
	v_sub_f32_e32 v3, v3, v6
	s_delay_alu instid0(VALU_DEP_1) | instskip(NEXT) | instid1(VALU_DEP_1)
	v_dual_add_f32 v3, v4, v3 :: v_dual_sub_f32 v2, v6, v5
	v_sub_f32_e32 v6, v6, v2
	s_delay_alu instid0(VALU_DEP_1) | instskip(NEXT) | instid1(VALU_DEP_1)
	v_dual_sub_f32 v4, v6, v5 :: v_dual_mul_f32 v5, 0x2ea39ef3, v10
	v_add_f32_e32 v8, v3, v4
	s_delay_alu instid0(VALU_DEP_1) | instskip(NEXT) | instid1(VALU_DEP_1)
	v_add_f32_e32 v3, v2, v8
	v_mov_b32_e32 v4, v3
	s_delay_alu instid0(VALU_DEP_1) | instskip(NEXT) | instid1(VALU_DEP_1)
	v_pk_add_f32 v[6:7], v[2:3], v[4:5] neg_lo:[0,1] neg_hi:[0,1]
	v_dual_sub_f32 v2, v3, v7 :: v_dual_add_f32 v3, v8, v6
	s_delay_alu instid0(VALU_DEP_1) | instskip(NEXT) | instid1(VALU_DEP_1)
	v_sub_f32_e32 v2, v2, v5
	v_add_f32_e32 v2, v3, v2
	s_delay_alu instid0(VALU_DEP_1) | instskip(NEXT) | instid1(VALU_DEP_1)
	v_add_f32_e32 v3, v7, v2
	v_mul_f32_e32 v5, v3, v3
	v_sub_f32_e32 v4, v7, v3
	s_delay_alu instid0(VALU_DEP_1) | instskip(SKIP_1) | instid1(VALU_DEP_4)
	v_add_f32_e32 v4, v2, v4
	v_fmaak_f32 v2, s1, v3, 0x3c091de6
	v_fma_f32 v6, v3, v3, -v5
	s_mov_b32 s1, -1.0
	s_delay_alu instid0(VALU_DEP_3) | instskip(NEXT) | instid1(VALU_DEP_1)
	v_add_f32_e32 v7, v4, v4
	v_fmac_f32_e32 v6, v3, v7
	s_delay_alu instid0(VALU_DEP_1) | instskip(NEXT) | instid1(VALU_DEP_1)
	v_add_f32_e32 v7, v5, v6
	v_sub_f32_e32 v5, v7, v5
	s_delay_alu instid0(VALU_DEP_1) | instskip(NEXT) | instid1(VALU_DEP_1)
	v_dual_fmaak_f32 v2, v3, v2, 0x3d2aadcc :: v_dual_sub_f32 v5, v6, v5
	v_fmaak_f32 v2, v3, v2, 0x3e2aaa47
	s_delay_alu instid0(VALU_DEP_1) | instskip(NEXT) | instid1(VALU_DEP_1)
	v_fmaak_f32 v2, v3, v2, 0x3efffffc
	v_mul_f32_e32 v8, v2, v7
	s_delay_alu instid0(VALU_DEP_1) | instskip(NEXT) | instid1(VALU_DEP_1)
	v_fma_f32 v6, v7, v2, -v8
	v_fmac_f32_e32 v6, v5, v2
	s_delay_alu instid0(VALU_DEP_1) | instskip(NEXT) | instid1(VALU_DEP_1)
	v_add_f32_e32 v5, v8, v6
	v_add_f32_e32 v2, v3, v5
	s_delay_alu instid0(VALU_DEP_1) | instskip(SKIP_1) | instid1(VALU_DEP_2)
	v_dual_sub_f32 v3, v2, v3 :: v_dual_sub_f32 v7, v5, v8
	v_mov_b64_e32 v[8:9], s[0:1]
	v_sub_f32_e32 v3, v5, v3
	s_delay_alu instid0(VALU_DEP_3) | instskip(NEXT) | instid1(VALU_DEP_1)
	v_sub_f32_e32 v6, v6, v7
	v_add_f32_e32 v4, v4, v6
	s_delay_alu instid0(VALU_DEP_1) | instskip(NEXT) | instid1(VALU_DEP_1)
	v_dual_add_f32 v4, v4, v3 :: v_dual_mov_b32 v3, -1.0
	v_add_f32_e32 v6, v2, v4
	s_delay_alu instid0(VALU_DEP_1) | instskip(NEXT) | instid1(VALU_DEP_1)
	v_add_f32_e32 v7, 1.0, v6
	v_pk_add_f32 v[8:9], v[6:7], v[8:9]
	s_delay_alu instid0(VALU_DEP_4) | instskip(NEXT) | instid1(VALU_DEP_2)
	v_pk_add_f32 v[2:3], v[6:7], v[2:3] neg_lo:[0,1] neg_hi:[0,1]
	v_dual_mov_b32 v3, v9 :: v_dual_mov_b32 v5, v6
	v_mov_b32_e32 v9, 1.0
	s_delay_alu instid0(VALU_DEP_2) | instskip(SKIP_1) | instid1(VALU_DEP_2)
	v_pk_add_f32 v[2:3], v[4:5], v[2:3] neg_lo:[0,1] neg_hi:[0,1]
	v_cvt_i32_f32_e32 v5, v10
	v_add_f32_e32 v3, v2, v3
	s_delay_alu instid0(VALU_DEP_1) | instskip(NEXT) | instid1(VALU_DEP_1)
	v_add_f32_e32 v4, v7, v3
	v_ldexp_f32 v2, v4, v5
	v_sub_f32_e32 v4, v4, v7
	s_delay_alu instid0(VALU_DEP_2) | instskip(SKIP_1) | instid1(TRANS32_DEP_1)
	v_rcp_f32_e32 v10, v2
	v_nop
	v_dual_sub_f32 v3, v3, v4 :: v_dual_mul_f32 v4, v2, v10
	s_delay_alu instid0(VALU_DEP_1) | instskip(NEXT) | instid1(VALU_DEP_2)
	v_fma_f32 v6, v10, v2, -v4
	v_ldexp_f32 v3, v3, v5
	s_delay_alu instid0(VALU_DEP_1) | instskip(NEXT) | instid1(VALU_DEP_1)
	v_fmac_f32_e32 v6, v10, v3
	v_add_f32_e32 v8, v4, v6
	s_delay_alu instid0(VALU_DEP_1) | instskip(NEXT) | instid1(VALU_DEP_1)
	v_dual_sub_f32 v5, 1.0, v8 :: v_dual_mov_b32 v7, v8
	v_pk_add_f32 v[8:9], v[8:9], v[4:5] neg_lo:[0,1] neg_hi:[0,1]
	s_delay_alu instid0(VALU_DEP_1) | instskip(NEXT) | instid1(VALU_DEP_1)
	v_pk_add_f32 v[6:7], v[8:9], v[6:7] neg_lo:[0,1] neg_hi:[0,1]
	v_add_f32_e32 v11, v6, v7
	s_delay_alu instid0(VALU_DEP_1) | instskip(NEXT) | instid1(VALU_DEP_1)
	v_add_f32_e32 v7, v5, v11
	v_mul_f32_e32 v12, v10, v7
	s_delay_alu instid0(VALU_DEP_1) | instskip(NEXT) | instid1(VALU_DEP_1)
	v_dual_mul_f32 v8, v2, v12 :: v_dual_sub_f32 v13, v5, v7
	v_fma_f32 v4, v12, v2, -v8
	s_delay_alu instid0(VALU_DEP_1) | instskip(NEXT) | instid1(VALU_DEP_1)
	v_fmac_f32_e32 v4, v12, v3
	v_add_f32_e32 v6, v8, v4
	s_delay_alu instid0(VALU_DEP_1) | instskip(NEXT) | instid1(VALU_DEP_1)
	v_dual_sub_f32 v9, v7, v6 :: v_dual_mov_b32 v5, v6
	v_pk_add_f32 v[6:7], v[6:7], v[8:9] neg_lo:[0,1] neg_hi:[0,1]
	v_add_f32_e32 v8, v11, v13
	s_delay_alu instid0(VALU_DEP_2) | instskip(NEXT) | instid1(VALU_DEP_1)
	v_pk_add_f32 v[4:5], v[6:7], v[4:5] neg_lo:[0,1] neg_hi:[0,1]
	v_dual_add_f32 v6, v10, v12 :: v_dual_add_f32 v5, v8, v5
	s_delay_alu instid0(VALU_DEP_1) | instskip(NEXT) | instid1(VALU_DEP_1)
	v_dual_add_f32 v4, v4, v5 :: v_dual_sub_f32 v5, v6, v10
	v_dual_add_f32 v4, v9, v4 :: v_dual_sub_f32 v5, v12, v5
	s_delay_alu instid0(VALU_DEP_1) | instskip(NEXT) | instid1(VALU_DEP_1)
	v_mul_f32_e32 v4, v10, v4
	v_add_f32_e32 v4, v5, v4
	s_delay_alu instid0(VALU_DEP_1) | instskip(NEXT) | instid1(VALU_DEP_1)
	v_add_f32_e32 v5, v6, v4
	v_sub_f32_e32 v6, v5, v6
	s_delay_alu instid0(VALU_DEP_1) | instskip(SKIP_1) | instid1(VALU_DEP_2)
	v_sub_f32_e32 v6, v4, v6
	v_ldexp_f32 v4, v5, -2
	v_ldexp_f32 v5, v6, -2
	s_delay_alu instid0(VALU_DEP_1) | instskip(NEXT) | instid1(VALU_DEP_1)
	v_pk_add_f32 v[6:7], v[2:3], v[4:5]
	v_sub_f32_e32 v2, v6, v2
	s_delay_alu instid0(VALU_DEP_1) | instskip(NEXT) | instid1(VALU_DEP_1)
	v_sub_f32_e32 v2, v4, v2
	v_add_f32_e32 v2, v7, v2
	s_delay_alu instid0(VALU_DEP_1) | instskip(NEXT) | instid1(VALU_DEP_1)
	v_add_f32_e32 v2, v6, v2
	v_dual_cndmask_b32 v3, 0x7f800000, v2 :: v_dual_mul_f32 v2, v0, v1
.LBB81_59:
	s_or_b32 exec_lo, exec_lo, s0
	s_delay_alu instid0(SALU_CYCLE_1) | instskip(NEXT) | instid1(VALU_DEP_1)
	s_or_b32 exec_lo, exec_lo, s2
	v_dual_mov_b32 v0, v3 :: v_dual_mov_b32 v1, v2
	s_set_pc_i64 s[30:31]
.LBB81_60:
	s_and_not1_saveexec_b32 s0, s9
.LBB81_61:
	v_mul_f32_e64 v2, 0x3f22f983, |v1|
	s_delay_alu instid0(VALU_DEP_1) | instskip(NEXT) | instid1(VALU_DEP_1)
	v_rndne_f32_e32 v4, v2
	v_fma_f32 v2, 0xbfc90fda, v4, |v1|
	s_delay_alu instid0(VALU_DEP_1) | instskip(NEXT) | instid1(VALU_DEP_1)
	v_fmamk_f32 v2, v4, 0xb3a22168, v2
	v_fmamk_f32 v2, v4, 0xa7c234c4, v2
	v_cvt_i32_f32_e32 v4, v4
; %bb.62:
	s_or_b32 exec_lo, exec_lo, s0
                                        ; implicit-def: $vgpr7
                                        ; implicit-def: $vgpr6
	s_and_saveexec_b32 s0, s8
	s_delay_alu instid0(SALU_CYCLE_1)
	s_xor_b32 s8, exec_lo, s0
	s_cbranch_execz .LBB81_64
; %bb.63:
	s_mov_b32 s0, 0x7fffff
	v_mov_b32_e32 v7, 0
	v_and_or_b32 v6, v5, s0, 0x800000
	s_mov_b64 s[0:1], 0xfe5163ab
	s_delay_alu instid0(VALU_DEP_1) | instid1(SALU_CYCLE_1)
	v_mul_u64_e32 v[8:9], s[0:1], v[6:7]
	s_delay_alu instid0(VALU_DEP_1) | instskip(SKIP_2) | instid1(VALU_DEP_3)
	v_dual_mov_b32 v10, v9 :: v_dual_mov_b32 v11, v7
	v_dual_mov_b32 v13, v7 :: v_dual_mov_b32 v15, v7
	v_dual_mov_b32 v17, v7 :: v_dual_lshrrev_b32 v9, 23, v5
	v_mad_nc_u64_u32 v[10:11], 0x3c439041, v6, v[10:11]
	s_delay_alu instid0(VALU_DEP_1) | instskip(NEXT) | instid1(VALU_DEP_1)
	v_mov_b32_e32 v12, v11
	v_mad_nc_u64_u32 v[12:13], 0xdb629599, v6, v[12:13]
	s_delay_alu instid0(VALU_DEP_1) | instskip(NEXT) | instid1(VALU_DEP_1)
	v_mov_b32_e32 v14, v13
	;; [unrolled: 3-line block ×3, first 2 shown]
	v_mad_nc_u64_u32 v[16:17], 0xfc2757d1, v6, v[16:17]
	s_delay_alu instid0(VALU_DEP_1) | instskip(NEXT) | instid1(VALU_DEP_1)
	v_dual_mov_b32 v19, v7 :: v_dual_mov_b32 v18, v17
	v_mad_nc_u64_u32 v[18:19], 0x4e441529, v6, v[18:19]
	s_delay_alu instid0(VALU_DEP_1) | instskip(NEXT) | instid1(VALU_DEP_1)
	v_dual_mov_b32 v20, v19 :: v_dual_add_nc_u32 v9, 0xffffff88, v9
	v_cmp_lt_u32_e32 vcc_lo, 63, v9
	v_mov_b32_e32 v21, v7
	v_cndmask_b32_e64 v11, 0, 0xffffffc0, vcc_lo
	s_delay_alu instid0(VALU_DEP_2) | instskip(SKIP_1) | instid1(VALU_DEP_3)
	v_mad_nc_u64_u32 v[6:7], 0xa2f9836e, v6, v[20:21]
	v_dual_cndmask_b32 v13, v18, v14, vcc_lo :: v_dual_cndmask_b32 v15, v16, v12, vcc_lo
	v_dual_cndmask_b32 v10, v14, v10 :: v_dual_add_nc_u32 v9, v11, v9
	v_cndmask_b32_e32 v8, v12, v8, vcc_lo
	s_delay_alu instid0(VALU_DEP_2) | instskip(SKIP_1) | instid1(VALU_DEP_2)
	v_cmp_lt_u32_e64 s0, 31, v9
	v_dual_cndmask_b32 v6, v6, v16 :: v_dual_cndmask_b32 v7, v7, v18
	v_cndmask_b32_e64 v11, 0, 0xffffffe0, s0
	s_delay_alu instid0(VALU_DEP_4) | instskip(NEXT) | instid1(VALU_DEP_2)
	v_dual_cndmask_b32 v14, v15, v10, s0 :: v_dual_cndmask_b32 v8, v10, v8, s0
	v_add_nc_u32_e32 v9, v11, v9
	s_delay_alu instid0(VALU_DEP_1) | instskip(NEXT) | instid1(VALU_DEP_1)
	v_cmp_lt_u32_e64 s1, 31, v9
	v_cndmask_b32_e64 v11, 0, 0xffffffe0, s1
	s_delay_alu instid0(VALU_DEP_1) | instskip(SKIP_1) | instid1(VALU_DEP_2)
	v_dual_cndmask_b32 v8, v14, v8, s1 :: v_dual_add_nc_u32 v9, v11, v9
	v_dual_cndmask_b32 v11, v6, v13, s0 :: v_dual_cndmask_b32 v6, v7, v6, s0
	v_dual_cndmask_b32 v7, v13, v15, s0 :: v_dual_sub_nc_u32 v13, 32, v9
	v_cmp_eq_u32_e32 vcc_lo, 0, v9
	s_delay_alu instid0(VALU_DEP_3) | instskip(NEXT) | instid1(VALU_DEP_3)
	v_cndmask_b32_e64 v6, v6, v11, s1
	v_cndmask_b32_e64 v11, v11, v7, s1
	;; [unrolled: 1-line block ×3, first 2 shown]
	s_delay_alu instid0(VALU_DEP_2) | instskip(NEXT) | instid1(VALU_DEP_2)
	v_alignbit_b32 v15, v6, v11, v13
	v_alignbit_b32 v12, v11, v7, v13
	;; [unrolled: 1-line block ×3, first 2 shown]
	s_delay_alu instid0(VALU_DEP_2) | instskip(NEXT) | instid1(VALU_DEP_2)
	v_dual_cndmask_b32 v6, v15, v6 :: v_dual_cndmask_b32 v9, v12, v11
	v_cndmask_b32_e32 v7, v13, v7, vcc_lo
	s_delay_alu instid0(VALU_DEP_2) | instskip(NEXT) | instid1(VALU_DEP_3)
	v_bfe_u32 v10, v6, 29, 1
	v_alignbit_b32 v11, v6, v9, 30
	s_delay_alu instid0(VALU_DEP_3) | instskip(SKIP_1) | instid1(VALU_DEP_4)
	v_alignbit_b32 v9, v9, v7, 30
	v_alignbit_b32 v7, v7, v8, 30
	v_sub_nc_u32_e32 v12, 0, v10
	s_delay_alu instid0(VALU_DEP_1) | instskip(NEXT) | instid1(VALU_DEP_4)
	v_xor_b32_e32 v11, v11, v12
	v_xor_b32_e32 v8, v9, v12
	s_delay_alu instid0(VALU_DEP_4) | instskip(NEXT) | instid1(VALU_DEP_3)
	v_dual_lshrrev_b32 v12, 29, v6 :: v_dual_bitop2_b32 v7, v7, v12 bitop3:0x14
	v_clz_i32_u32_e32 v13, v11
	s_delay_alu instid0(VALU_DEP_1) | instskip(NEXT) | instid1(VALU_DEP_1)
	v_min_u32_e32 v13, 32, v13
	v_dual_sub_nc_u32 v9, 31, v13 :: v_dual_lshlrev_b32 v14, 23, v13
	s_delay_alu instid0(VALU_DEP_1) | instskip(SKIP_2) | instid1(VALU_DEP_2)
	v_alignbit_b32 v11, v11, v8, v9
	v_alignbit_b32 v7, v8, v7, v9
	v_lshlrev_b32_e32 v8, 31, v12
	v_alignbit_b32 v9, v11, v7, 9
	s_delay_alu instid0(VALU_DEP_2) | instskip(SKIP_1) | instid1(VALU_DEP_3)
	v_dual_lshrrev_b32 v11, 9, v11 :: v_dual_bitop2_b32 v12, 0.5, v8 bitop3:0x54
	v_or_b32_e32 v8, 0x33000000, v8
	v_clz_i32_u32_e32 v15, v9
	s_delay_alu instid0(VALU_DEP_3) | instskip(NEXT) | instid1(VALU_DEP_2)
	v_sub_nc_u32_e32 v12, v12, v14
	v_min_u32_e32 v14, 32, v15
	s_delay_alu instid0(VALU_DEP_1) | instskip(NEXT) | instid1(VALU_DEP_3)
	v_add_lshl_u32 v13, v14, v13, 23
	v_or_b32_e32 v11, v11, v12
	v_not_b32_e32 v12, v14
	s_delay_alu instid0(VALU_DEP_2) | instskip(NEXT) | instid1(VALU_DEP_2)
	v_dual_mul_f32 v15, 0x3fc90fda, v11 :: v_dual_sub_nc_u32 v8, v8, v13
	v_alignbit_b32 v7, v9, v7, v12
	s_delay_alu instid0(VALU_DEP_2) | instskip(NEXT) | instid1(VALU_DEP_2)
	v_fma_f32 v9, 0x3fc90fda, v11, -v15
	v_lshrrev_b32_e32 v7, 9, v7
	s_delay_alu instid0(VALU_DEP_2) | instskip(NEXT) | instid1(VALU_DEP_2)
	v_fmamk_f32 v9, v11, 0x33a22168, v9
	v_or_b32_e32 v7, v8, v7
	s_delay_alu instid0(VALU_DEP_1) | instskip(NEXT) | instid1(VALU_DEP_1)
	v_fmac_f32_e32 v9, 0x3fc90fda, v7
	v_dual_add_f32 v6, v15, v9 :: v_dual_lshrrev_b32 v7, 30, v6
	s_delay_alu instid0(VALU_DEP_1)
	v_add_nc_u32_e32 v7, v10, v7
	s_and_not1_saveexec_b32 s0, s8
	s_cbranch_execnz .LBB81_65
	s_branch .LBB81_66
.LBB81_64:
	s_and_not1_saveexec_b32 s0, s8
.LBB81_65:
	v_mul_f32_e64 v6, 0x3f22f983, |v1|
	s_delay_alu instid0(VALU_DEP_1) | instskip(NEXT) | instid1(VALU_DEP_1)
	v_rndne_f32_e32 v7, v6
	v_fma_f32 v6, 0xbfc90fda, v7, |v1|
	s_delay_alu instid0(VALU_DEP_1) | instskip(NEXT) | instid1(VALU_DEP_1)
	v_fmamk_f32 v6, v7, 0xb3a22168, v6
	v_fmamk_f32 v6, v7, 0xa7c234c4, v6
	v_cvt_i32_f32_e32 v7, v7
.LBB81_66:
	s_or_b32 exec_lo, exec_lo, s0
	v_dual_mul_f32 v8, v2, v2 :: v_dual_bitop2_b32 v12, 1, v4 bitop3:0x40
	s_mov_b32 s0, 0xb94c1982
	s_mov_b32 s1, 0x37d75334
	s_delay_alu instid0(VALU_DEP_1) | instskip(SKIP_3) | instid1(VALU_DEP_4)
	v_dual_mul_f32 v9, v6, v6 :: v_dual_fmaak_f32 v10, s0, v8, 0x3c0881c4
	v_fmaak_f32 v11, s1, v8, 0xbab64f3b
	v_lshlrev_b32_e32 v4, 30, v4
	v_cmp_eq_u32_e32 vcc_lo, 0, v12
	v_fmaak_f32 v13, s0, v9, 0x3c0881c4
	v_fmaak_f32 v14, s1, v9, 0xbab64f3b
	;; [unrolled: 1-line block ×4, first 2 shown]
	s_delay_alu instid0(VALU_DEP_4) | instskip(NEXT) | instid1(VALU_DEP_4)
	v_fmaak_f32 v13, v9, v13, 0xbe2aaa9d
	v_fmaak_f32 v14, v9, v14, 0x3d2aabf7
	s_delay_alu instid0(VALU_DEP_3) | instskip(NEXT) | instid1(VALU_DEP_3)
	v_dual_mul_f32 v10, v8, v10 :: v_dual_fmaak_f32 v11, v8, v11, 0xbf000004
	v_dual_mul_f32 v13, v9, v13 :: v_dual_bitop2_b32 v15, 1, v7 bitop3:0x40
	s_delay_alu instid0(VALU_DEP_3) | instskip(NEXT) | instid1(VALU_DEP_3)
	v_dual_fmaak_f32 v14, v9, v14, 0xbf000004 :: v_dual_lshlrev_b32 v7, 30, v7
	v_fmac_f32_e32 v2, v2, v10
	s_delay_alu instid0(VALU_DEP_4) | instskip(NEXT) | instid1(VALU_DEP_3)
	v_fma_f32 v8, v8, v11, 1.0
	v_fma_f32 v9, v9, v14, 1.0
	s_delay_alu instid0(VALU_DEP_4) | instskip(NEXT) | instid1(VALU_DEP_3)
	v_and_or_b32 v5, 0x80000000, v7, v5
	v_cndmask_b32_e64 v2, -v2, v8, vcc_lo
	v_cmp_eq_u32_e32 vcc_lo, 0, v15
	s_delay_alu instid0(VALU_DEP_2) | instskip(SKIP_1) | instid1(VALU_DEP_1)
	v_bitop3_b32 v2, v4, v2, 0x80000000 bitop3:0x6c
	v_fmac_f32_e32 v6, v6, v13
	v_cndmask_b32_e32 v6, v9, v6, vcc_lo
	v_cmp_class_f32_e64 vcc_lo, v1, 0x1f8
	s_delay_alu instid0(VALU_DEP_2) | instskip(SKIP_1) | instid1(VALU_DEP_1)
	v_xor3_b32 v4, v5, v6, v1
	v_cndmask_b32_e32 v1, 0x7fc00000, v2, vcc_lo
	v_dual_cndmask_b32 v2, 0x7fc00000, v4 :: v_dual_mul_f32 v3, v3, v1
                                        ; implicit-def: $vgpr1
	s_delay_alu instid0(VALU_DEP_1)
	v_mul_f32_e32 v2, v0, v2
                                        ; implicit-def: $vgpr0
.LBB81_67:
	s_and_not1_saveexec_b32 s0, s7
; %bb.68:
	v_sub_f32_e32 v1, v1, v1
	s_delay_alu instid0(VALU_DEP_1)
	v_mul_f32_e32 v2, v0, v1
; %bb.69:
	s_or_b32 exec_lo, exec_lo, s0
.LBB81_70:
	s_delay_alu instid0(SALU_CYCLE_1)
	s_or_b32 exec_lo, exec_lo, s4
                                        ; implicit-def: $vgpr1
                                        ; implicit-def: $vgpr0
.LBB81_71:
	s_and_not1_saveexec_b32 s0, s2
; %bb.72:
	v_sub_f32_e32 v3, v1, v1
	s_delay_alu instid0(VALU_DEP_1)
	v_mul_f32_e32 v2, v0, v3
; %bb.73:
	s_or_b32 exec_lo, exec_lo, s0
                                        ; implicit-def: $vgpr0
                                        ; implicit-def: $vgpr1
.LBB81_74:
	s_and_not1_saveexec_b32 s0, s3
	s_cbranch_execz .LBB81_80
; %bb.75:
	v_and_b32_e32 v2, 0x7fffff, v0
	s_delay_alu instid0(VALU_DEP_1) | instskip(SKIP_1) | instid1(SALU_CYCLE_1)
	v_cmp_ne_u32_e32 vcc_lo, 0, v2
                                        ; implicit-def: $vgpr2
	s_and_saveexec_b32 s1, vcc_lo
	s_xor_b32 s1, exec_lo, s1
; %bb.76:
	v_add_f32_e32 v2, v0, v0
	s_delay_alu instid0(VALU_DEP_1) | instskip(NEXT) | instid1(VALU_DEP_1)
	v_mul_f32_e32 v1, v2, v1
	v_bfi_b32 v2, 0x7fffffff, 0, v1
                                        ; implicit-def: $vgpr1
; %bb.77:
	s_and_not1_saveexec_b32 s1, s1
; %bb.78:
	v_bfi_b32 v2, 0x7fffffff, 0, v0
	s_delay_alu instid0(VALU_DEP_1)
	v_mul_f32_e32 v2, v2, v1
; %bb.79:
	s_or_b32 exec_lo, exec_lo, s1
	v_mul_f32_e32 v3, v0, v0
.LBB81_80:
	s_or_b32 exec_lo, exec_lo, s0
                                        ; implicit-def: $vgpr1
                                        ; implicit-def: $vgpr0
.LBB81_81:
	s_and_not1_saveexec_b32 s0, s6
; %bb.82:
	v_sub_f32_e32 v3, v1, v1
	s_delay_alu instid0(VALU_DEP_1) | instskip(NEXT) | instid1(VALU_DEP_1)
	v_mul_f32_e32 v0, v0, v3
	v_bfi_b32 v2, 0x7fffffff, 0, v0
; %bb.83:
	s_or_b32 exec_lo, exec_lo, s0
                                        ; implicit-def: $vgpr0
                                        ; implicit-def: $vgpr4
                                        ; implicit-def: $vgpr1
                                        ; implicit-def: $vgpr5
	s_and_not1_saveexec_b32 s2, s5
	s_cbranch_execnz .LBB81_11
.LBB81_84:
	s_or_b32 exec_lo, exec_lo, s2
	v_dual_mov_b32 v0, v3 :: v_dual_mov_b32 v1, v2
	s_set_pc_i64 s[30:31]
.Lfunc_end81:
	.size	_ZN6thrust23THRUST_200600_302600_NS6detail7complex6ccoshfERKNS0_7complexIfEE, .Lfunc_end81-_ZN6thrust23THRUST_200600_302600_NS6detail7complex6ccoshfERKNS0_7complexIfEE
                                        ; -- End function
	.set .L_ZN6thrust23THRUST_200600_302600_NS6detail7complex6ccoshfERKNS0_7complexIfEE.num_vgpr, 22
	.set .L_ZN6thrust23THRUST_200600_302600_NS6detail7complex6ccoshfERKNS0_7complexIfEE.num_agpr, 0
	.set .L_ZN6thrust23THRUST_200600_302600_NS6detail7complex6ccoshfERKNS0_7complexIfEE.numbered_sgpr, 32
	.set .L_ZN6thrust23THRUST_200600_302600_NS6detail7complex6ccoshfERKNS0_7complexIfEE.num_named_barrier, 0
	.set .L_ZN6thrust23THRUST_200600_302600_NS6detail7complex6ccoshfERKNS0_7complexIfEE.private_seg_size, 0
	.set .L_ZN6thrust23THRUST_200600_302600_NS6detail7complex6ccoshfERKNS0_7complexIfEE.uses_vcc, 1
	.set .L_ZN6thrust23THRUST_200600_302600_NS6detail7complex6ccoshfERKNS0_7complexIfEE.uses_flat_scratch, 0
	.set .L_ZN6thrust23THRUST_200600_302600_NS6detail7complex6ccoshfERKNS0_7complexIfEE.has_dyn_sized_stack, 0
	.set .L_ZN6thrust23THRUST_200600_302600_NS6detail7complex6ccoshfERKNS0_7complexIfEE.has_recursion, 0
	.set .L_ZN6thrust23THRUST_200600_302600_NS6detail7complex6ccoshfERKNS0_7complexIfEE.has_indirect_call, 0
	.section	.AMDGPU.csdata,"",@progbits
; Function info:
; codeLenInByte = 12296
; TotalNumSgprs: 34
; NumVgprs: 22
; ScratchSize: 0
; MemoryBound: 0
	.section	.text._ZN2at6native12_GLOBAL__N_125multi_tensor_apply_kernelINS1_18TensorListMetadataILi2EEENS1_14UnaryOpFunctorIN3c107complexIfEELi2ELi1ELi1EEEJNS0_4CoshIS8_EEEEEvT_T0_DpT1_,"axG",@progbits,_ZN2at6native12_GLOBAL__N_125multi_tensor_apply_kernelINS1_18TensorListMetadataILi2EEENS1_14UnaryOpFunctorIN3c107complexIfEELi2ELi1ELi1EEEJNS0_4CoshIS8_EEEEEvT_T0_DpT1_,comdat
	.globl	_ZN2at6native12_GLOBAL__N_125multi_tensor_apply_kernelINS1_18TensorListMetadataILi2EEENS1_14UnaryOpFunctorIN3c107complexIfEELi2ELi1ELi1EEEJNS0_4CoshIS8_EEEEEvT_T0_DpT1_ ; -- Begin function _ZN2at6native12_GLOBAL__N_125multi_tensor_apply_kernelINS1_18TensorListMetadataILi2EEENS1_14UnaryOpFunctorIN3c107complexIfEELi2ELi1ELi1EEEJNS0_4CoshIS8_EEEEEvT_T0_DpT1_
	.p2align	8
	.type	_ZN2at6native12_GLOBAL__N_125multi_tensor_apply_kernelINS1_18TensorListMetadataILi2EEENS1_14UnaryOpFunctorIN3c107complexIfEELi2ELi1ELi1EEEJNS0_4CoshIS8_EEEEEvT_T0_DpT1_,@function
_ZN2at6native12_GLOBAL__N_125multi_tensor_apply_kernelINS1_18TensorListMetadataILi2EEENS1_14UnaryOpFunctorIN3c107complexIfEELi2ELi1ELi1EEEJNS0_4CoshIS8_EEEEEvT_T0_DpT1_: ; @_ZN2at6native12_GLOBAL__N_125multi_tensor_apply_kernelINS1_18TensorListMetadataILi2EEENS1_14UnaryOpFunctorIN3c107complexIfEELi2ELi1ELi1EEEJNS0_4CoshIS8_EEEEEvT_T0_DpT1_
; %bb.0:
	s_mov_b64 s[10:11], s[0:1]
	s_bfe_u32 s0, ttmp6, 0x4000c
	s_and_b32 s1, ttmp6, 15
	s_add_co_i32 s0, s0, 1
	s_getreg_b32 s2, hwreg(HW_REG_IB_STS2, 6, 4)
	s_mul_i32 s0, ttmp9, s0
	v_mov_b32_e32 v22, v0
	s_add_co_i32 s1, s1, s0
	s_cmp_eq_u32 s2, 0
	s_mov_b32 s32, 0
	s_cselect_b32 s0, ttmp9, s1
	s_mov_b32 s1, 0
	s_load_u8 s14, s[10:11], s0 offset:0x600
	s_add_nc_u64 s[2:3], s[10:11], s[0:1]
	s_mul_u64 s[4:5], s[0:1], 3
	s_delay_alu instid0(SALU_CYCLE_1)
	s_add_nc_u64 s[2:3], s[2:3], s[4:5]
	s_load_b32 s4, s[2:3], 0x740
	s_wait_kmcnt 0x0
	s_clause 0x2
	s_load_b64 s[6:7], s[10:11], s14 offset:0x0 scale_offset
	s_load_b64 s[8:9], s[10:11], s14 offset:0x200 scale_offset
	;; [unrolled: 1-line block ×3, first 2 shown]
	s_ashr_i32 s5, s4, 31
	s_delay_alu instid0(SALU_CYCLE_1)
	s_lshl_b64 s[2:3], s[4:5], 19
	s_lshl_b64 s[4:5], s[4:5], 16
	s_wait_kmcnt 0x0
	s_add_nc_u64 s[16:17], s[8:9], s[2:3]
	s_add_nc_u64 s[14:15], s[6:7], s[2:3]
	s_and_b32 s2, s12, 3
	s_and_b64 s[6:7], s[16:17], 31
	s_mov_b32 s3, s1
	s_and_b32 s0, s14, 31
	s_or_b64 s[2:3], s[6:7], s[2:3]
	s_sub_nc_u64 s[12:13], s[12:13], s[4:5]
	s_or_b64 s[0:1], s[2:3], s[0:1]
	s_delay_alu instid0(SALU_CYCLE_1)
	s_cmp_eq_u64 s[0:1], 0
	s_mov_b32 s0, -1
	s_cbranch_scc0 .LBB82_5
; %bb.1:
	v_min_i64 v[32:33], 0x10000, s[12:13]
	v_dual_mov_b32 v35, 0 :: v_dual_lshlrev_b32 v34, 2, v22
	s_mov_b32 s28, exec_lo
	s_delay_alu instid0(VALU_DEP_1)
	v_cmpx_lt_i64_e64 v[34:35], v[32:33]
	s_cbranch_execz .LBB82_4
; %bb.2:
	s_load_b32 s0, s[10:11], 0xc5c
	v_dual_mov_b32 v23, v35 :: v_dual_lshlrev_b32 v34, 5, v22
	s_mov_b32 s19, 0
	s_mov_b64 s[22:23], s[14:15]
	s_mov_b32 s25, s19
	s_delay_alu instid0(VALU_DEP_1)
	v_mov_b64_e32 v[36:37], v[22:23]
	s_mov_b32 s29, s19
	s_mov_b64 s[26:27], s[16:17]
	s_get_pc_i64 s[20:21]
	s_add_nc_u64 s[20:21], s[20:21], _ZN6thrust23THRUST_200600_302600_NS6detail7complex6ccoshfERKNS0_7complexIfEE@rel64+4
	s_wait_kmcnt 0x0
	s_and_b32 s18, s0, 0xffff
	s_delay_alu instid0(SALU_CYCLE_1)
	s_lshl_b32 s24, s18, 5
.LBB82_3:                               ; =>This Inner Loop Header: Depth=1
	v_add_nc_u64_e32 v[0:1], s[22:23], v[34:35]
	s_clause 0x1
	global_load_b128 v[24:27], v[0:1], off
	global_load_b128 v[28:31], v[0:1], off offset:16
	s_wait_loadcnt 0x1
	s_wait_xcnt 0x0
	v_dual_mov_b32 v0, v24 :: v_dual_mov_b32 v1, v25
	s_swap_pc_i64 s[30:31], s[20:21]
	s_delay_alu instid0(VALU_DEP_1) | instskip(SKIP_2) | instid1(VALU_DEP_1)
	v_dual_mov_b32 v24, v0 :: v_dual_mov_b32 v25, v1
	v_dual_mov_b32 v0, v26 :: v_dual_mov_b32 v1, v27
	s_swap_pc_i64 s[30:31], s[20:21]
	v_dual_mov_b32 v26, v0 :: v_dual_mov_b32 v27, v1
	v_dual_mov_b32 v0, v28 :: v_dual_mov_b32 v1, v29
	s_swap_pc_i64 s[30:31], s[20:21]
	s_delay_alu instid0(VALU_DEP_1) | instskip(SKIP_3) | instid1(VALU_DEP_2)
	v_dual_mov_b32 v28, v0 :: v_dual_mov_b32 v29, v1
	v_dual_mov_b32 v0, v30 :: v_dual_mov_b32 v1, v31
	s_swap_pc_i64 s[30:31], s[20:21]
	v_add_nc_u64_e32 v[36:37], s[18:19], v[36:37]
	v_dual_mov_b32 v30, v0 :: v_dual_mov_b32 v31, v1
	s_add_nc_u64 s[22:23], s[22:23], s[24:25]
	s_delay_alu instid0(VALU_DEP_2) | instskip(NEXT) | instid1(VALU_DEP_1)
	v_lshlrev_b64_e32 v[0:1], 2, v[36:37]
	v_cmp_ge_i64_e32 vcc_lo, v[0:1], v[32:33]
	v_add_nc_u64_e32 v[0:1], s[26:27], v[34:35]
	s_add_nc_u64 s[26:27], s[26:27], s[24:25]
	s_clause 0x1
	global_store_b128 v[0:1], v[24:27], off
	global_store_b128 v[0:1], v[28:31], off offset:16
	s_or_b32 s29, vcc_lo, s29
	s_wait_xcnt 0x0
	s_and_not1_b32 exec_lo, exec_lo, s29
	s_cbranch_execnz .LBB82_3
.LBB82_4:
	s_or_b32 exec_lo, exec_lo, s28
	s_mov_b32 s0, 0
.LBB82_5:
	s_delay_alu instid0(SALU_CYCLE_1)
	s_and_not1_b32 vcc_lo, exec_lo, s0
	s_cbranch_vccnz .LBB82_25
; %bb.6:
	v_cmp_lt_i64_e64 s0, s[12:13], 1
	s_and_b32 vcc_lo, exec_lo, s0
	s_cbranch_vccnz .LBB82_25
; %bb.7:
	v_min_i64 v[30:31], 0x10000, s[12:13]
	v_min_u64 v[32:33], 0x10000, s[12:13]
	s_load_b32 s0, s[10:11], 0xc5c
	v_mov_b32_e32 v23, 0
	s_mov_b32 s19, 0
	s_mov_b64 s[28:29], 0
	s_mov_b32 s21, s19
	s_mov_b32 s23, s19
	;; [unrolled: 1-line block ×3, first 2 shown]
	s_get_pc_i64 s[24:25]
	s_add_nc_u64 s[24:25], s[24:25], _ZN6thrust23THRUST_200600_302600_NS6detail7complex6ccoshfERKNS0_7complexIfEE@rel64+4
	s_wait_kmcnt 0x0
	s_and_b32 s18, s0, 0xffff
	s_delay_alu instid0(SALU_CYCLE_1)
	s_lshl_b32 s20, s18, 1
	s_mul_i32 s22, s18, 3
	s_lshl_b32 s26, s18, 2
	s_branch .LBB82_9
.LBB82_8:                               ;   in Loop: Header=BB82_9 Depth=1
	s_wait_xcnt 0x0
	s_or_b32 exec_lo, exec_lo, s11
	s_add_nc_u64 s[28:29], s[28:29], s[26:27]
	s_delay_alu instid0(SALU_CYCLE_1)
	v_cmp_ge_i64_e32 vcc_lo, s[28:29], v[30:31]
	s_cbranch_vccnz .LBB82_25
.LBB82_9:                               ; =>This Inner Loop Header: Depth=1
	v_add_nc_u64_e32 v[40:41], s[28:29], v[22:23]
	s_wait_loadcnt 0x0
	v_dual_mov_b32 v0, 0 :: v_dual_mov_b32 v1, 0
	s_delay_alu instid0(VALU_DEP_2)
	v_cmp_lt_u64_e32 vcc_lo, v[40:41], v[32:33]
	s_and_saveexec_b32 s0, vcc_lo
	s_cbranch_execz .LBB82_11
; %bb.10:                               ;   in Loop: Header=BB82_9 Depth=1
	v_lshl_add_u64 v[0:1], v[40:41], 3, s[14:15]
	global_load_b64 v[0:1], v[0:1], off
.LBB82_11:                              ;   in Loop: Header=BB82_9 Depth=1
	s_wait_xcnt 0x0
	s_or_b32 exec_lo, exec_lo, s0
	v_add_nc_u64_e32 v[38:39], s[18:19], v[40:41]
	v_dual_mov_b32 v24, 0 :: v_dual_mov_b32 v28, 0
	v_mov_b32_e32 v29, 0
	s_delay_alu instid0(VALU_DEP_3)
	v_cmp_lt_u64_e64 s12, v[38:39], v[32:33]
	s_and_saveexec_b32 s0, s12
	s_cbranch_execz .LBB82_13
; %bb.12:                               ;   in Loop: Header=BB82_9 Depth=1
	v_lshl_add_u64 v[2:3], v[38:39], 3, s[14:15]
	global_load_b64 v[28:29], v[2:3], off
.LBB82_13:                              ;   in Loop: Header=BB82_9 Depth=1
	s_wait_xcnt 0x0
	s_or_b32 exec_lo, exec_lo, s0
	v_add_nc_u64_e32 v[36:37], s[20:21], v[40:41]
	v_mov_b32_e32 v25, 0
	s_delay_alu instid0(VALU_DEP_2)
	v_cmp_lt_u64_e64 s11, v[36:37], v[32:33]
	s_and_saveexec_b32 s0, s11
	s_cbranch_execz .LBB82_15
; %bb.14:                               ;   in Loop: Header=BB82_9 Depth=1
	v_lshl_add_u64 v[2:3], v[36:37], 3, s[14:15]
	global_load_b64 v[24:25], v[2:3], off
.LBB82_15:                              ;   in Loop: Header=BB82_9 Depth=1
	s_wait_xcnt 0x0
	s_or_b32 exec_lo, exec_lo, s0
	v_add_nc_u64_e32 v[34:35], s[22:23], v[40:41]
	v_dual_mov_b32 v26, 0 :: v_dual_mov_b32 v27, 0
	s_delay_alu instid0(VALU_DEP_2)
	v_cmp_lt_u64_e64 s10, v[34:35], v[32:33]
	s_and_saveexec_b32 s0, s10
	s_cbranch_execnz .LBB82_20
; %bb.16:                               ;   in Loop: Header=BB82_9 Depth=1
	s_or_b32 exec_lo, exec_lo, s0
	s_and_saveexec_b32 s13, vcc_lo
	s_cbranch_execnz .LBB82_21
.LBB82_17:                              ;   in Loop: Header=BB82_9 Depth=1
	s_or_b32 exec_lo, exec_lo, s13
	s_and_saveexec_b32 s13, s12
	s_cbranch_execnz .LBB82_22
.LBB82_18:                              ;   in Loop: Header=BB82_9 Depth=1
	s_or_b32 exec_lo, exec_lo, s13
	s_and_saveexec_b32 s12, s11
	s_cbranch_execnz .LBB82_23
.LBB82_19:                              ;   in Loop: Header=BB82_9 Depth=1
	s_or_b32 exec_lo, exec_lo, s12
	s_and_saveexec_b32 s11, s10
	s_cbranch_execz .LBB82_8
	s_branch .LBB82_24
.LBB82_20:                              ;   in Loop: Header=BB82_9 Depth=1
	v_lshl_add_u64 v[2:3], v[34:35], 3, s[14:15]
	global_load_b64 v[26:27], v[2:3], off
	s_wait_xcnt 0x0
	s_or_b32 exec_lo, exec_lo, s0
	s_and_saveexec_b32 s13, vcc_lo
	s_cbranch_execz .LBB82_17
.LBB82_21:                              ;   in Loop: Header=BB82_9 Depth=1
	s_swap_pc_i64 s[30:31], s[24:25]
	v_lshl_add_u64 v[2:3], v[40:41], 3, s[16:17]
	global_store_b64 v[2:3], v[0:1], off
	s_wait_xcnt 0x0
	s_or_b32 exec_lo, exec_lo, s13
	s_and_saveexec_b32 s13, s12
	s_cbranch_execz .LBB82_18
.LBB82_22:                              ;   in Loop: Header=BB82_9 Depth=1
	s_wait_loadcnt 0x0
	v_dual_mov_b32 v0, v28 :: v_dual_mov_b32 v1, v29
	s_swap_pc_i64 s[30:31], s[24:25]
	v_lshl_add_u64 v[2:3], v[38:39], 3, s[16:17]
	global_store_b64 v[2:3], v[0:1], off
	s_wait_xcnt 0x0
	s_or_b32 exec_lo, exec_lo, s13
	s_and_saveexec_b32 s12, s11
	s_cbranch_execz .LBB82_19
.LBB82_23:                              ;   in Loop: Header=BB82_9 Depth=1
	s_wait_loadcnt 0x0
	v_dual_mov_b32 v0, v24 :: v_dual_mov_b32 v1, v25
	s_swap_pc_i64 s[30:31], s[24:25]
	v_lshl_add_u64 v[2:3], v[36:37], 3, s[16:17]
	global_store_b64 v[2:3], v[0:1], off
	s_wait_xcnt 0x0
	s_or_b32 exec_lo, exec_lo, s12
	s_and_saveexec_b32 s11, s10
	s_cbranch_execz .LBB82_8
.LBB82_24:                              ;   in Loop: Header=BB82_9 Depth=1
	s_wait_loadcnt 0x0
	v_dual_mov_b32 v0, v26 :: v_dual_mov_b32 v1, v27
	s_swap_pc_i64 s[30:31], s[24:25]
	v_lshl_add_u64 v[2:3], v[34:35], 3, s[16:17]
	global_store_b64 v[2:3], v[0:1], off
	s_branch .LBB82_8
.LBB82_25:
	s_endpgm
	.section	.rodata,"a",@progbits
	.p2align	6, 0x0
	.amdhsa_kernel _ZN2at6native12_GLOBAL__N_125multi_tensor_apply_kernelINS1_18TensorListMetadataILi2EEENS1_14UnaryOpFunctorIN3c107complexIfEELi2ELi1ELi1EEEJNS0_4CoshIS8_EEEEEvT_T0_DpT1_
		.amdhsa_group_segment_fixed_size 0
		.amdhsa_private_segment_fixed_size 0
		.amdhsa_kernarg_size 3408
		.amdhsa_user_sgpr_count 2
		.amdhsa_user_sgpr_dispatch_ptr 0
		.amdhsa_user_sgpr_queue_ptr 0
		.amdhsa_user_sgpr_kernarg_segment_ptr 1
		.amdhsa_user_sgpr_dispatch_id 0
		.amdhsa_user_sgpr_kernarg_preload_length 0
		.amdhsa_user_sgpr_kernarg_preload_offset 0
		.amdhsa_user_sgpr_private_segment_size 0
		.amdhsa_wavefront_size32 1
		.amdhsa_uses_dynamic_stack 0
		.amdhsa_enable_private_segment 0
		.amdhsa_system_sgpr_workgroup_id_x 1
		.amdhsa_system_sgpr_workgroup_id_y 0
		.amdhsa_system_sgpr_workgroup_id_z 0
		.amdhsa_system_sgpr_workgroup_info 0
		.amdhsa_system_vgpr_workitem_id 0
		.amdhsa_next_free_vgpr 42
		.amdhsa_next_free_sgpr 33
		.amdhsa_named_barrier_count 0
		.amdhsa_reserve_vcc 1
		.amdhsa_float_round_mode_32 0
		.amdhsa_float_round_mode_16_64 0
		.amdhsa_float_denorm_mode_32 3
		.amdhsa_float_denorm_mode_16_64 3
		.amdhsa_fp16_overflow 0
		.amdhsa_memory_ordered 1
		.amdhsa_forward_progress 1
		.amdhsa_inst_pref_size 10
		.amdhsa_round_robin_scheduling 0
		.amdhsa_exception_fp_ieee_invalid_op 0
		.amdhsa_exception_fp_denorm_src 0
		.amdhsa_exception_fp_ieee_div_zero 0
		.amdhsa_exception_fp_ieee_overflow 0
		.amdhsa_exception_fp_ieee_underflow 0
		.amdhsa_exception_fp_ieee_inexact 0
		.amdhsa_exception_int_div_zero 0
	.end_amdhsa_kernel
	.section	.text._ZN2at6native12_GLOBAL__N_125multi_tensor_apply_kernelINS1_18TensorListMetadataILi2EEENS1_14UnaryOpFunctorIN3c107complexIfEELi2ELi1ELi1EEEJNS0_4CoshIS8_EEEEEvT_T0_DpT1_,"axG",@progbits,_ZN2at6native12_GLOBAL__N_125multi_tensor_apply_kernelINS1_18TensorListMetadataILi2EEENS1_14UnaryOpFunctorIN3c107complexIfEELi2ELi1ELi1EEEJNS0_4CoshIS8_EEEEEvT_T0_DpT1_,comdat
.Lfunc_end82:
	.size	_ZN2at6native12_GLOBAL__N_125multi_tensor_apply_kernelINS1_18TensorListMetadataILi2EEENS1_14UnaryOpFunctorIN3c107complexIfEELi2ELi1ELi1EEEJNS0_4CoshIS8_EEEEEvT_T0_DpT1_, .Lfunc_end82-_ZN2at6native12_GLOBAL__N_125multi_tensor_apply_kernelINS1_18TensorListMetadataILi2EEENS1_14UnaryOpFunctorIN3c107complexIfEELi2ELi1ELi1EEEJNS0_4CoshIS8_EEEEEvT_T0_DpT1_
                                        ; -- End function
	.set _ZN2at6native12_GLOBAL__N_125multi_tensor_apply_kernelINS1_18TensorListMetadataILi2EEENS1_14UnaryOpFunctorIN3c107complexIfEELi2ELi1ELi1EEEJNS0_4CoshIS8_EEEEEvT_T0_DpT1_.num_vgpr, max(42, .L_ZN6thrust23THRUST_200600_302600_NS6detail7complex6ccoshfERKNS0_7complexIfEE.num_vgpr)
	.set _ZN2at6native12_GLOBAL__N_125multi_tensor_apply_kernelINS1_18TensorListMetadataILi2EEENS1_14UnaryOpFunctorIN3c107complexIfEELi2ELi1ELi1EEEJNS0_4CoshIS8_EEEEEvT_T0_DpT1_.num_agpr, max(0, .L_ZN6thrust23THRUST_200600_302600_NS6detail7complex6ccoshfERKNS0_7complexIfEE.num_agpr)
	.set _ZN2at6native12_GLOBAL__N_125multi_tensor_apply_kernelINS1_18TensorListMetadataILi2EEENS1_14UnaryOpFunctorIN3c107complexIfEELi2ELi1ELi1EEEJNS0_4CoshIS8_EEEEEvT_T0_DpT1_.numbered_sgpr, max(33, .L_ZN6thrust23THRUST_200600_302600_NS6detail7complex6ccoshfERKNS0_7complexIfEE.numbered_sgpr)
	.set _ZN2at6native12_GLOBAL__N_125multi_tensor_apply_kernelINS1_18TensorListMetadataILi2EEENS1_14UnaryOpFunctorIN3c107complexIfEELi2ELi1ELi1EEEJNS0_4CoshIS8_EEEEEvT_T0_DpT1_.num_named_barrier, max(0, .L_ZN6thrust23THRUST_200600_302600_NS6detail7complex6ccoshfERKNS0_7complexIfEE.num_named_barrier)
	.set _ZN2at6native12_GLOBAL__N_125multi_tensor_apply_kernelINS1_18TensorListMetadataILi2EEENS1_14UnaryOpFunctorIN3c107complexIfEELi2ELi1ELi1EEEJNS0_4CoshIS8_EEEEEvT_T0_DpT1_.private_seg_size, 0+max(.L_ZN6thrust23THRUST_200600_302600_NS6detail7complex6ccoshfERKNS0_7complexIfEE.private_seg_size)
	.set _ZN2at6native12_GLOBAL__N_125multi_tensor_apply_kernelINS1_18TensorListMetadataILi2EEENS1_14UnaryOpFunctorIN3c107complexIfEELi2ELi1ELi1EEEJNS0_4CoshIS8_EEEEEvT_T0_DpT1_.uses_vcc, or(1, .L_ZN6thrust23THRUST_200600_302600_NS6detail7complex6ccoshfERKNS0_7complexIfEE.uses_vcc)
	.set _ZN2at6native12_GLOBAL__N_125multi_tensor_apply_kernelINS1_18TensorListMetadataILi2EEENS1_14UnaryOpFunctorIN3c107complexIfEELi2ELi1ELi1EEEJNS0_4CoshIS8_EEEEEvT_T0_DpT1_.uses_flat_scratch, or(0, .L_ZN6thrust23THRUST_200600_302600_NS6detail7complex6ccoshfERKNS0_7complexIfEE.uses_flat_scratch)
	.set _ZN2at6native12_GLOBAL__N_125multi_tensor_apply_kernelINS1_18TensorListMetadataILi2EEENS1_14UnaryOpFunctorIN3c107complexIfEELi2ELi1ELi1EEEJNS0_4CoshIS8_EEEEEvT_T0_DpT1_.has_dyn_sized_stack, or(0, .L_ZN6thrust23THRUST_200600_302600_NS6detail7complex6ccoshfERKNS0_7complexIfEE.has_dyn_sized_stack)
	.set _ZN2at6native12_GLOBAL__N_125multi_tensor_apply_kernelINS1_18TensorListMetadataILi2EEENS1_14UnaryOpFunctorIN3c107complexIfEELi2ELi1ELi1EEEJNS0_4CoshIS8_EEEEEvT_T0_DpT1_.has_recursion, or(0, .L_ZN6thrust23THRUST_200600_302600_NS6detail7complex6ccoshfERKNS0_7complexIfEE.has_recursion)
	.set _ZN2at6native12_GLOBAL__N_125multi_tensor_apply_kernelINS1_18TensorListMetadataILi2EEENS1_14UnaryOpFunctorIN3c107complexIfEELi2ELi1ELi1EEEJNS0_4CoshIS8_EEEEEvT_T0_DpT1_.has_indirect_call, or(0, .L_ZN6thrust23THRUST_200600_302600_NS6detail7complex6ccoshfERKNS0_7complexIfEE.has_indirect_call)
	.section	.AMDGPU.csdata,"",@progbits
; Kernel info:
; codeLenInByte = 1164
; TotalNumSgprs: 35
; NumVgprs: 42
; ScratchSize: 0
; MemoryBound: 0
; FloatMode: 240
; IeeeMode: 1
; LDSByteSize: 0 bytes/workgroup (compile time only)
; SGPRBlocks: 0
; VGPRBlocks: 2
; NumSGPRsForWavesPerEU: 35
; NumVGPRsForWavesPerEU: 42
; NamedBarCnt: 0
; Occupancy: 16
; WaveLimiterHint : 0
; COMPUTE_PGM_RSRC2:SCRATCH_EN: 0
; COMPUTE_PGM_RSRC2:USER_SGPR: 2
; COMPUTE_PGM_RSRC2:TRAP_HANDLER: 0
; COMPUTE_PGM_RSRC2:TGID_X_EN: 1
; COMPUTE_PGM_RSRC2:TGID_Y_EN: 0
; COMPUTE_PGM_RSRC2:TGID_Z_EN: 0
; COMPUTE_PGM_RSRC2:TIDIG_COMP_CNT: 0
	.section	.text._ZN2at6native12_GLOBAL__N_125multi_tensor_apply_kernelINS1_18TensorListMetadataILi2EEENS1_14UnaryOpFunctorIN3c104HalfELi2ELi1ELi1EEEJNS0_4CoshIfEEEEEvT_T0_DpT1_,"axG",@progbits,_ZN2at6native12_GLOBAL__N_125multi_tensor_apply_kernelINS1_18TensorListMetadataILi2EEENS1_14UnaryOpFunctorIN3c104HalfELi2ELi1ELi1EEEJNS0_4CoshIfEEEEEvT_T0_DpT1_,comdat
	.globl	_ZN2at6native12_GLOBAL__N_125multi_tensor_apply_kernelINS1_18TensorListMetadataILi2EEENS1_14UnaryOpFunctorIN3c104HalfELi2ELi1ELi1EEEJNS0_4CoshIfEEEEEvT_T0_DpT1_ ; -- Begin function _ZN2at6native12_GLOBAL__N_125multi_tensor_apply_kernelINS1_18TensorListMetadataILi2EEENS1_14UnaryOpFunctorIN3c104HalfELi2ELi1ELi1EEEJNS0_4CoshIfEEEEEvT_T0_DpT1_
	.p2align	8
	.type	_ZN2at6native12_GLOBAL__N_125multi_tensor_apply_kernelINS1_18TensorListMetadataILi2EEENS1_14UnaryOpFunctorIN3c104HalfELi2ELi1ELi1EEEJNS0_4CoshIfEEEEEvT_T0_DpT1_,@function
_ZN2at6native12_GLOBAL__N_125multi_tensor_apply_kernelINS1_18TensorListMetadataILi2EEENS1_14UnaryOpFunctorIN3c104HalfELi2ELi1ELi1EEEJNS0_4CoshIfEEEEEvT_T0_DpT1_: ; @_ZN2at6native12_GLOBAL__N_125multi_tensor_apply_kernelINS1_18TensorListMetadataILi2EEENS1_14UnaryOpFunctorIN3c104HalfELi2ELi1ELi1EEEJNS0_4CoshIfEEEEEvT_T0_DpT1_
; %bb.0:
	s_bfe_u32 s2, ttmp6, 0x4000c
	s_and_b32 s3, ttmp6, 15
	s_add_co_i32 s2, s2, 1
	s_getreg_b32 s4, hwreg(HW_REG_IB_STS2, 6, 4)
	s_mul_i32 s2, ttmp9, s2
	s_delay_alu instid0(SALU_CYCLE_1)
	s_add_co_i32 s3, s3, s2
	s_cmp_eq_u32 s4, 0
	s_cselect_b32 s2, ttmp9, s3
	s_mov_b32 s3, 0
	s_load_u8 s11, s[0:1], s2 offset:0x600
	s_add_nc_u64 s[4:5], s[0:1], s[2:3]
	s_mul_u64 s[6:7], s[2:3], 3
	s_mov_b32 s15, s3
	s_add_nc_u64 s[4:5], s[4:5], s[6:7]
	s_load_b32 s10, s[4:5], 0x740
	s_wait_kmcnt 0x0
	s_clause 0x2
	s_load_b64 s[6:7], s[0:1], s11 offset:0x0 scale_offset
	s_load_b64 s[8:9], s[0:1], s11 offset:0x200 scale_offset
	;; [unrolled: 1-line block ×3, first 2 shown]
	s_wait_xcnt 0x0
	s_ashr_i32 s11, s10, 31
	s_delay_alu instid0(SALU_CYCLE_1)
	s_lshl_b64 s[4:5], s[10:11], 17
	s_wait_kmcnt 0x0
	s_and_b64 s[18:19], s[8:9], 7
	s_add_nc_u64 s[16:17], s[6:7], s[4:5]
	s_and_b32 s14, s12, 3
	s_and_b32 s2, s16, 7
	s_or_b64 s[14:15], s[18:19], s[14:15]
	s_lshl_b64 s[10:11], s[10:11], 16
	s_or_b64 s[2:3], s[14:15], s[2:3]
	s_sub_nc_u64 s[10:11], s[12:13], s[10:11]
	s_cmp_eq_u64 s[2:3], 0
	s_mov_b32 s2, -1
	s_cbranch_scc0 .LBB83_5
; %bb.1:
	v_min_i64 v[2:3], 0x10000, s[10:11]
	v_dual_mov_b32 v13, 0 :: v_dual_lshlrev_b32 v12, 2, v0
	s_mov_b32 s3, exec_lo
	s_delay_alu instid0(VALU_DEP_1)
	v_cmpx_lt_i64_e64 v[12:13], v[2:3]
	s_cbranch_execz .LBB83_4
; %bb.2:
	s_load_b32 s2, s[0:1], 0xc5c
	v_dual_mov_b32 v1, v13 :: v_dual_lshlrev_b32 v12, 3, v0
	s_mov_b32 s15, -1.0
	v_mov_b32_e32 v5, 0x3f317218
	v_mov_b64_e32 v[10:11], s[14:15]
	s_delay_alu instid0(VALU_DEP_3)
	v_mov_b64_e32 v[14:15], v[0:1]
	v_add_nc_u64_e32 v[12:13], s[4:5], v[12:13]
	v_dual_mov_b32 v7, -1.0 :: v_dual_mov_b32 v9, 1.0
	s_mov_b32 s13, 0
	s_mov_b32 s16, 0x3ab42872
	;; [unrolled: 1-line block ×4, first 2 shown]
	s_wait_kmcnt 0x0
	s_and_b32 s12, s2, 0xffff
	s_delay_alu instid0(SALU_CYCLE_1)
	s_lshl_b32 s14, s12, 3
.LBB83_3:                               ; =>This Inner Loop Header: Depth=1
	v_add_nc_u64_e32 v[16:17], s[6:7], v[12:13]
	v_dual_mov_b32 v25, v5 :: v_dual_mov_b32 v23, v5
	v_add_nc_u64_e32 v[14:15], s[12:13], v[14:15]
	global_load_b64 v[16:17], v[16:17], off
	v_mov_b32_e32 v21, v5
	v_lshlrev_b64_e32 v[18:19], 2, v[14:15]
	s_wait_loadcnt 0x0
	v_cvt_f32_f16_e64 v4, |v16|
	v_lshrrev_b32_e32 v1, 16, v16
	v_cvt_f32_f16_e64 v22, |v17|
	v_lshrrev_b32_e32 v6, 16, v17
	s_delay_alu instid0(VALU_DEP_4) | instskip(NEXT) | instid1(VALU_DEP_4)
	v_cmp_nlt_f32_e32 vcc_lo, 0x42b2d4fc, v4
	v_cvt_f32_f16_e64 v24, |v1|
	s_delay_alu instid0(VALU_DEP_4) | instskip(NEXT) | instid1(VALU_DEP_4)
	v_dual_add_f32 v1, 0xbf317218, v22 :: v_dual_add_f32 v8, 0xbf317218, v4
	v_cvt_f32_f16_e64 v20, |v6|
	s_delay_alu instid0(VALU_DEP_3) | instskip(SKIP_1) | instid1(VALU_DEP_3)
	v_cmp_nlt_f32_e64 s2, 0x42b2d4fc, v24
	s_wait_xcnt 0x0
	v_dual_sub_f32 v27, v1, v22 :: v_dual_sub_f32 v17, v8, v4
	s_delay_alu instid0(VALU_DEP_1) | instskip(NEXT) | instid1(VALU_DEP_1)
	v_dual_sub_f32 v26, v27, v1 :: v_dual_sub_f32 v16, v17, v8
	v_pk_add_f32 v[26:27], v[26:27], v[22:23]
	s_delay_alu instid0(VALU_DEP_2) | instskip(SKIP_1) | instid1(VALU_DEP_2)
	v_pk_add_f32 v[16:17], v[16:17], v[4:5]
	v_add_f32_e32 v6, 0xbf317218, v24
	v_dual_add_f32 v32, 0xbf317218, v20 :: v_dual_sub_f32 v23, v16, v17
	s_delay_alu instid0(VALU_DEP_2) | instskip(NEXT) | instid1(VALU_DEP_1)
	v_sub_f32_e32 v29, v6, v24
	v_sub_f32_e32 v28, v29, v6
	s_delay_alu instid0(VALU_DEP_1) | instskip(NEXT) | instid1(VALU_DEP_4)
	v_pk_add_f32 v[16:17], v[28:29], v[24:25]
	v_dual_sub_f32 v25, v26, v27 :: v_dual_sub_f32 v31, v32, v20
	s_delay_alu instid0(VALU_DEP_2) | instskip(NEXT) | instid1(VALU_DEP_2)
	v_sub_f32_e32 v16, v16, v17
	v_dual_add_f32 v17, 0x3102e308, v25 :: v_dual_sub_f32 v30, v31, v32
	s_delay_alu instid0(VALU_DEP_2) | instskip(NEXT) | instid1(VALU_DEP_2)
	v_add_f32_e32 v16, 0x3102e308, v16
	v_pk_add_f32 v[26:27], v[30:31], v[20:21]
	s_delay_alu instid0(VALU_DEP_2) | instskip(NEXT) | instid1(VALU_DEP_1)
	v_dual_add_f32 v21, 0x3102e308, v23 :: v_dual_add_f32 v28, v6, v16
	v_dual_sub_f32 v23, v26, v27 :: v_dual_add_f32 v25, v8, v21
	s_delay_alu instid0(VALU_DEP_2) | instskip(NEXT) | instid1(VALU_DEP_2)
	v_dual_add_f32 v26, v1, v17 :: v_dual_sub_f32 v6, v6, v28
	v_dual_add_f32 v23, 0x3102e308, v23 :: v_dual_sub_f32 v8, v8, v25
	v_mul_f32_e32 v27, 0x3fb8aa3b, v25
	s_delay_alu instid0(VALU_DEP_3) | instskip(NEXT) | instid1(VALU_DEP_3)
	v_mul_f32_e32 v29, 0x3fb8aa3b, v26
	v_dual_sub_f32 v1, v1, v26 :: v_dual_add_f32 v30, v32, v23
	s_delay_alu instid0(VALU_DEP_4) | instskip(NEXT) | instid1(VALU_DEP_4)
	v_add_f32_e32 v8, v21, v8
	v_rndne_f32_e32 v21, v27
	v_mul_f32_e32 v27, 0x3fb8aa3b, v28
	s_delay_alu instid0(VALU_DEP_4) | instskip(SKIP_1) | instid1(VALU_DEP_4)
	v_dual_add_f32 v1, v17, v1 :: v_dual_sub_f32 v31, v32, v30
	v_rndne_f32_e32 v29, v29
	v_dual_fmac_f32 v25, 0xbf317200, v21 :: v_dual_add_f32 v6, v16, v6
	s_delay_alu instid0(VALU_DEP_3) | instskip(SKIP_1) | instid1(VALU_DEP_3)
	v_dual_mul_f32 v32, 0x3fb8aa3b, v30 :: v_dual_add_f32 v23, v23, v31
	v_rndne_f32_e32 v16, v27
	v_add_f32_e32 v36, v8, v25
	v_cvt_i32_f32_e32 v48, v29
	s_delay_alu instid0(VALU_DEP_4) | instskip(NEXT) | instid1(VALU_DEP_4)
	v_rndne_f32_e32 v32, v32
	v_mul_f32_e32 v37, 0x35bfbc00, v16
	s_delay_alu instid0(VALU_DEP_4)
	v_dual_fmac_f32 v26, 0xbf317200, v29 :: v_dual_sub_f32 v25, v25, v36
	v_mul_f32_e32 v33, 0x35bfbc00, v21
	v_mul_f32_e32 v35, 0x35bfbc00, v29
	v_mul_f32_e32 v27, 0x2ea39ef3, v29
	v_mul_f32_e32 v29, 0x2ea39ef3, v16
	v_cvt_i32_f32_e32 v44, v16
	v_fmac_f32_e32 v30, 0xbf317200, v32
	v_fmac_f32_e32 v28, 0xbf317200, v16
	v_dual_add_f32 v16, v1, v26 :: v_dual_mul_f32 v39, 0x35bfbc00, v32
	v_dual_add_f32 v8, v8, v25 :: v_dual_mul_f32 v31, 0x2ea39ef3, v32
	v_cvt_i32_f32_e32 v49, v32
	s_delay_alu instid0(VALU_DEP_3) | instskip(SKIP_1) | instid1(VALU_DEP_2)
	v_dual_sub_f32 v32, v36, v33 :: v_dual_sub_f32 v26, v26, v16
	v_sub_f32_e32 v34, v16, v35
	v_dual_sub_f32 v25, v36, v32 :: v_dual_add_f32 v41, v23, v30
	v_dual_mul_f32 v17, 0x2ea39ef3, v21 :: v_dual_add_f32 v40, v6, v28
	s_delay_alu instid0(VALU_DEP_4) | instskip(NEXT) | instid1(VALU_DEP_3)
	v_add_f32_e32 v1, v1, v26
	v_dual_sub_f32 v16, v16, v34 :: v_dual_sub_f32 v26, v30, v41
	v_cvt_i32_f32_e32 v21, v21
	s_delay_alu instid0(VALU_DEP_4) | instskip(SKIP_1) | instid1(VALU_DEP_4)
	v_sub_f32_e32 v28, v28, v40
	v_dual_sub_f32 v36, v40, v37 :: v_dual_sub_f32 v38, v41, v39
	v_dual_sub_f32 v25, v25, v33 :: v_dual_sub_f32 v16, v16, v35
	s_delay_alu instid0(VALU_DEP_3) | instskip(NEXT) | instid1(VALU_DEP_3)
	v_dual_add_f32 v23, v23, v26 :: v_dual_add_f32 v6, v6, v28
	v_dual_sub_f32 v28, v40, v36 :: v_dual_sub_f32 v26, v41, v38
	s_delay_alu instid0(VALU_DEP_3) | instskip(NEXT) | instid1(VALU_DEP_2)
	v_dual_add_f32 v8, v8, v25 :: v_dual_add_f32 v1, v1, v16
	v_dual_sub_f32 v25, v28, v37 :: v_dual_sub_f32 v16, v26, v39
	s_delay_alu instid0(VALU_DEP_2) | instskip(NEXT) | instid1(VALU_DEP_2)
	v_dual_add_f32 v33, v32, v8 :: v_dual_add_f32 v35, v34, v1
	v_dual_add_f32 v6, v6, v25 :: v_dual_add_f32 v23, v23, v16
	s_delay_alu instid0(VALU_DEP_2) | instskip(NEXT) | instid1(VALU_DEP_2)
	v_dual_mov_b32 v16, v33 :: v_dual_mov_b32 v26, v35
	v_dual_add_f32 v37, v36, v6 :: v_dual_add_f32 v39, v38, v23
	s_delay_alu instid0(VALU_DEP_2) | instskip(NEXT) | instid1(VALU_DEP_3)
	v_pk_add_f32 v[40:41], v[32:33], v[16:17] neg_lo:[0,1] neg_hi:[0,1]
	v_pk_add_f32 v[42:43], v[34:35], v[26:27] neg_lo:[0,1] neg_hi:[0,1]
	s_delay_alu instid0(VALU_DEP_3) | instskip(NEXT) | instid1(VALU_DEP_3)
	v_dual_mov_b32 v28, v37 :: v_dual_mov_b32 v30, v39
	v_dual_sub_f32 v16, v33, v41 :: v_dual_add_f32 v8, v8, v40
	s_delay_alu instid0(VALU_DEP_3) | instskip(NEXT) | instid1(VALU_DEP_3)
	v_sub_f32_e32 v25, v35, v43
	v_pk_add_f32 v[32:33], v[36:37], v[28:29] neg_lo:[0,1] neg_hi:[0,1]
	s_delay_alu instid0(VALU_DEP_3) | instskip(SKIP_1) | instid1(VALU_DEP_4)
	v_dual_add_f32 v1, v1, v42 :: v_dual_sub_f32 v16, v16, v17
	v_pk_add_f32 v[34:35], v[38:39], v[30:31] neg_lo:[0,1] neg_hi:[0,1]
	v_sub_f32_e32 v25, v25, v27
	s_delay_alu instid0(VALU_DEP_4) | instskip(NEXT) | instid1(VALU_DEP_3)
	v_dual_sub_f32 v17, v37, v33 :: v_dual_add_f32 v6, v6, v32
	v_dual_add_f32 v8, v8, v16 :: v_dual_sub_f32 v26, v39, v35
	s_delay_alu instid0(VALU_DEP_2) | instskip(NEXT) | instid1(VALU_DEP_2)
	v_dual_add_f32 v23, v23, v34 :: v_dual_sub_f32 v16, v17, v29
	v_dual_sub_f32 v17, v26, v31 :: v_dual_add_f32 v1, v1, v25
	s_delay_alu instid0(VALU_DEP_2) | instskip(NEXT) | instid1(VALU_DEP_2)
	v_add_f32_e32 v6, v6, v16
	v_dual_add_f32 v25, v41, v8 :: v_dual_add_f32 v16, v23, v17
	s_delay_alu instid0(VALU_DEP_2) | instskip(NEXT) | instid1(VALU_DEP_2)
	v_dual_add_f32 v34, v43, v1 :: v_dual_add_f32 v32, v33, v6
	v_sub_f32_e32 v23, v41, v25
	v_dual_fmaak_f32 v17, s16, v25, 0x3c091de6 :: v_dual_mul_f32 v26, v25, v25
	s_delay_alu instid0(VALU_DEP_3) | instskip(SKIP_1) | instid1(VALU_DEP_4)
	v_dual_fmaak_f32 v27, s16, v34, 0x3c091de6 :: v_dual_add_f32 v42, v35, v16
	v_dual_sub_f32 v28, v43, v34 :: v_dual_mul_f32 v29, v34, v34
	v_add_f32_e32 v8, v8, v23
	v_dual_fmaak_f32 v30, s16, v32, 0x3c091de6 :: v_dual_sub_f32 v31, v33, v32
	v_fmaak_f32 v17, v25, v17, 0x3d2aadcc
	v_dual_fma_f32 v23, v25, v25, -v26 :: v_dual_mul_f32 v33, v32, v32
	v_dual_add_f32 v1, v1, v28 :: v_dual_fma_f32 v28, v34, v34, -v29
	v_dual_fmaak_f32 v36, s16, v42, 0x3c091de6 :: v_dual_sub_f32 v35, v35, v42
	v_dual_mul_f32 v37, v42, v42 :: v_dual_add_f32 v38, v8, v8
	s_delay_alu instid0(VALU_DEP_3)
	v_dual_add_f32 v31, v6, v31 :: v_dual_add_f32 v39, v1, v1
	v_dual_fmaak_f32 v27, v34, v27, 0x3d2aadcc :: v_dual_fmaak_f32 v30, v32, v30, 0x3d2aadcc
	v_fmaak_f32 v17, v25, v17, 0x3e2aaa47
	v_fma_f32 v6, v32, v32, -v33
	v_dual_fmaak_f32 v36, v42, v36, 0x3d2aadcc :: v_dual_add_f32 v35, v16, v35
	v_fma_f32 v16, v42, v42, -v37
	v_dual_fmac_f32 v23, v25, v38 :: v_dual_add_f32 v38, v31, v31
	v_dual_fmaak_f32 v27, v34, v27, 0x3e2aaa47 :: v_dual_fmaak_f32 v30, v32, v30, 0x3e2aaa47
	v_dual_fmaak_f32 v17, v25, v17, 0x3efffffc :: v_dual_fmac_f32 v28, v34, v39
	s_delay_alu instid0(VALU_DEP_3) | instskip(NEXT) | instid1(VALU_DEP_3)
	v_dual_add_f32 v39, v35, v35 :: v_dual_fmac_f32 v6, v32, v38
	v_dual_fmaak_f32 v27, v34, v27, 0x3efffffc :: v_dual_fmaak_f32 v30, v32, v30, 0x3efffffc
	v_fmaak_f32 v36, v42, v36, 0x3e2aaa47
	s_delay_alu instid0(VALU_DEP_3) | instskip(NEXT) | instid1(VALU_DEP_4)
	v_dual_add_f32 v40, v26, v23 :: v_dual_add_f32 v41, v33, v6
	v_dual_add_f32 v38, v29, v28 :: v_dual_fmac_f32 v16, v42, v39
	s_delay_alu instid0(VALU_DEP_3) | instskip(NEXT) | instid1(VALU_DEP_3)
	v_fmaak_f32 v36, v42, v36, 0x3efffffc
	v_dual_sub_f32 v26, v40, v26 :: v_dual_mul_f32 v39, v17, v40
	s_delay_alu instid0(VALU_DEP_3) | instskip(NEXT) | instid1(VALU_DEP_2)
	v_dual_sub_f32 v29, v38, v29 :: v_dual_mul_f32 v43, v27, v38
	v_dual_add_f32 v45, v37, v16 :: v_dual_sub_f32 v23, v23, v26
	v_sub_f32_e32 v33, v41, v33
	s_delay_alu instid0(VALU_DEP_4) | instskip(NEXT) | instid1(VALU_DEP_4)
	v_fma_f32 v26, v40, v17, -v39
	v_dual_sub_f32 v28, v28, v29 :: v_dual_fma_f32 v29, v38, v27, -v43
	s_delay_alu instid0(VALU_DEP_3) | instskip(SKIP_1) | instid1(VALU_DEP_4)
	v_sub_f32_e32 v6, v6, v33
	v_mul_f32_e32 v38, v36, v45
	v_fmac_f32_e32 v26, v23, v17
	s_delay_alu instid0(VALU_DEP_2) | instskip(SKIP_1) | instid1(VALU_DEP_2)
	v_dual_sub_f32 v37, v45, v37 :: v_dual_fma_f32 v23, v45, v36, -v38
	v_dual_mul_f32 v40, v30, v41 :: v_dual_fmac_f32 v29, v28, v27
	v_dual_add_f32 v27, v39, v26 :: v_dual_sub_f32 v16, v16, v37
	s_delay_alu instid0(VALU_DEP_1) | instskip(NEXT) | instid1(VALU_DEP_1)
	v_dual_fma_f32 v17, v41, v30, -v40 :: v_dual_fmac_f32 v23, v16, v36
	v_dual_sub_f32 v16, v27, v39 :: v_dual_fmac_f32 v17, v6, v30
	s_delay_alu instid0(VALU_DEP_4) | instskip(NEXT) | instid1(VALU_DEP_1)
	v_dual_add_f32 v37, v43, v29 :: v_dual_add_f32 v6, v25, v27
	v_dual_add_f32 v33, v40, v17 :: v_dual_sub_f32 v28, v37, v43
	s_delay_alu instid0(VALU_DEP_4) | instskip(NEXT) | instid1(VALU_DEP_3)
	v_add_f32_e32 v43, v38, v23
	v_sub_f32_e32 v25, v6, v25
	v_sub_f32_e32 v16, v26, v16
	s_delay_alu instid0(VALU_DEP_4) | instskip(NEXT) | instid1(VALU_DEP_4)
	v_sub_f32_e32 v26, v33, v40
	v_dual_sub_f32 v28, v29, v28 :: v_dual_sub_f32 v29, v43, v38
	s_delay_alu instid0(VALU_DEP_3) | instskip(NEXT) | instid1(VALU_DEP_3)
	v_dual_sub_f32 v25, v27, v25 :: v_dual_add_f32 v8, v8, v16
	v_sub_f32_e32 v17, v17, v26
	s_delay_alu instid0(VALU_DEP_3) | instskip(NEXT) | instid1(VALU_DEP_1)
	v_dual_add_f32 v1, v1, v28 :: v_dual_sub_f32 v23, v23, v29
	v_dual_add_f32 v16, v8, v25 :: v_dual_add_f32 v23, v35, v23
	s_delay_alu instid0(VALU_DEP_1) | instskip(NEXT) | instid1(VALU_DEP_1)
	v_dual_add_f32 v8, v31, v17 :: v_dual_add_f32 v26, v6, v16
	v_dual_add_f32 v27, 1.0, v26 :: v_dual_mov_b32 v17, v26
	s_delay_alu instid0(VALU_DEP_1) | instskip(SKIP_1) | instid1(VALU_DEP_2)
	v_pk_add_f32 v[30:31], v[26:27], v[10:11]
	v_pk_add_f32 v[28:29], v[26:27], v[6:7] neg_lo:[0,1] neg_hi:[0,1]
	v_dual_add_f32 v6, v32, v33 :: v_dual_mov_b32 v29, v31
	s_delay_alu instid0(VALU_DEP_1) | instskip(NEXT) | instid1(VALU_DEP_1)
	v_pk_add_f32 v[16:17], v[16:17], v[28:29] neg_lo:[0,1] neg_hi:[0,1]
	v_dual_sub_f32 v25, v6, v32 :: v_dual_add_f32 v35, v16, v17
	s_delay_alu instid0(VALU_DEP_1) | instskip(NEXT) | instid1(VALU_DEP_1)
	v_sub_f32_e32 v25, v33, v25
	v_dual_add_f32 v16, v8, v25 :: v_dual_add_f32 v8, v27, v35
	s_delay_alu instid0(VALU_DEP_1) | instskip(NEXT) | instid1(VALU_DEP_2)
	v_add_f32_e32 v28, v6, v16
	v_ldexp_f32 v26, v8, v21
	s_delay_alu instid0(VALU_DEP_2) | instskip(NEXT) | instid1(VALU_DEP_2)
	v_dual_sub_f32 v8, v8, v27 :: v_dual_add_f32 v29, 1.0, v28
	v_rcp_f32_e32 v25, v26
	v_mov_b32_e32 v17, v28
	s_delay_alu instid0(VALU_DEP_2)
	v_pk_add_f32 v[30:31], v[28:29], v[10:11]
	v_pk_add_f32 v[32:33], v[28:29], v[6:7] neg_lo:[0,1] neg_hi:[0,1]
	v_dual_add_f32 v6, v34, v37 :: v_dual_sub_f32 v8, v35, v8
	s_delay_alu instid0(TRANS32_DEP_1) | instid1(VALU_DEP_3)
	v_dual_mul_f32 v30, v26, v25 :: v_dual_mov_b32 v33, v31
	s_delay_alu instid0(VALU_DEP_2) | instskip(NEXT) | instid1(VALU_DEP_3)
	v_sub_f32_e32 v27, v6, v34
	v_ldexp_f32 v28, v8, v21
	s_delay_alu instid0(VALU_DEP_3) | instskip(NEXT) | instid1(VALU_DEP_1)
	v_pk_add_f32 v[16:17], v[16:17], v[32:33] neg_lo:[0,1] neg_hi:[0,1]
	v_dual_sub_f32 v8, v37, v27 :: v_dual_add_f32 v21, v16, v17
	s_delay_alu instid0(VALU_DEP_1) | instskip(NEXT) | instid1(VALU_DEP_2)
	v_add_f32_e32 v16, v1, v8
	v_add_f32_e32 v1, v29, v21
	s_delay_alu instid0(VALU_DEP_1) | instskip(NEXT) | instid1(VALU_DEP_3)
	v_sub_f32_e32 v29, v1, v29
	v_dual_fma_f32 v32, v25, v26, -v30 :: v_dual_add_f32 v34, v6, v16
	s_delay_alu instid0(VALU_DEP_1) | instskip(NEXT) | instid1(VALU_DEP_1)
	v_dual_fmac_f32 v32, v25, v28 :: v_dual_add_f32 v35, 1.0, v34
	v_add_f32_e32 v8, v30, v32
	v_ldexp_f32 v27, v1, v44
	v_mov_b32_e32 v17, v34
	s_delay_alu instid0(VALU_DEP_4) | instskip(NEXT) | instid1(VALU_DEP_4)
	v_pk_add_f32 v[38:39], v[34:35], v[10:11]
	v_dual_sub_f32 v1, v21, v29 :: v_dual_mov_b32 v33, v8
	v_sub_f32_e32 v31, 1.0, v8
	v_rcp_f32_e32 v21, v27
	v_pk_add_f32 v[36:37], v[34:35], v[6:7] neg_lo:[0,1] neg_hi:[0,1]
	v_dual_add_f32 v6, v42, v43 :: v_dual_mov_b32 v37, v39
	s_delay_alu instid0(VALU_DEP_3)
	v_pk_add_f32 v[40:41], v[8:9], v[30:31] neg_lo:[0,1] neg_hi:[0,1]
	v_ldexp_f32 v29, v1, v44
	s_delay_alu instid0(TRANS32_DEP_1) | instid1(VALU_DEP_3)
	v_dual_sub_f32 v1, v6, v42 :: v_dual_mul_f32 v30, v27, v21
	s_delay_alu instid0(VALU_DEP_3) | instskip(SKIP_1) | instid1(VALU_DEP_3)
	v_pk_add_f32 v[32:33], v[40:41], v[32:33] neg_lo:[0,1] neg_hi:[0,1]
	v_pk_add_f32 v[16:17], v[16:17], v[36:37] neg_lo:[0,1] neg_hi:[0,1]
	v_sub_f32_e32 v1, v43, v1
	s_delay_alu instid0(VALU_DEP_2) | instskip(NEXT) | instid1(VALU_DEP_4)
	v_add_f32_e32 v36, v16, v17
	v_dual_add_f32 v33, v32, v33 :: v_dual_fma_f32 v32, v21, v27, -v30
	s_delay_alu instid0(VALU_DEP_1) | instskip(NEXT) | instid1(VALU_DEP_1)
	v_fmac_f32_e32 v32, v21, v29
	v_dual_add_f32 v16, v23, v1 :: v_dual_add_f32 v8, v30, v32
	s_delay_alu instid0(VALU_DEP_1) | instskip(SKIP_1) | instid1(VALU_DEP_1)
	v_add_f32_e32 v34, v6, v16
	v_add_f32_e32 v1, v35, v36
	v_dual_add_f32 v37, v31, v33 :: v_dual_sub_f32 v39, v1, v35
	s_delay_alu instid0(VALU_DEP_1) | instskip(NEXT) | instid1(VALU_DEP_4)
	v_dual_mul_f32 v23, v25, v37 :: v_dual_sub_f32 v31, v31, v37
	v_add_f32_e32 v35, 1.0, v34
	v_ldexp_f32 v38, v1, v48
	v_mov_b32_e32 v17, v34
	s_delay_alu instid0(VALU_DEP_4) | instskip(SKIP_3) | instid1(VALU_DEP_4)
	v_dual_mul_f32 v40, v26, v23 :: v_dual_add_f32 v50, v25, v23
	v_dual_add_f32 v1, v33, v31 :: v_dual_sub_f32 v31, 1.0, v8
	v_mov_b32_e32 v33, v8
	v_pk_add_f32 v[44:45], v[34:35], v[10:11]
	v_dual_sub_f32 v36, v36, v39 :: v_dual_fma_f32 v44, v23, v26, -v40
	v_rcp_f32_e32 v51, v38
	v_pk_add_f32 v[46:47], v[8:9], v[30:31] neg_lo:[0,1] neg_hi:[0,1]
	v_pk_add_f32 v[42:43], v[34:35], v[6:7] neg_lo:[0,1] neg_hi:[0,1]
	v_dual_sub_f32 v6, v50, v25 :: v_dual_mov_b32 v43, v45
	v_fmac_f32_e32 v44, v23, v28
	s_delay_alu instid0(VALU_DEP_4) | instskip(SKIP_1) | instid1(VALU_DEP_4)
	v_pk_add_f32 v[32:33], v[46:47], v[32:33] neg_lo:[0,1] neg_hi:[0,1]
	v_ldexp_f32 v30, v36, v48
	v_dual_sub_f32 v6, v23, v6 :: v_dual_mul_f32 v34, v38, v51
	s_delay_alu instid0(VALU_DEP_4) | instskip(SKIP_1) | instid1(VALU_DEP_3)
	v_add_f32_e32 v36, v40, v44
	v_pk_add_f32 v[16:17], v[16:17], v[42:43] neg_lo:[0,1] neg_hi:[0,1]
	v_dual_add_f32 v23, v32, v33 :: v_dual_fma_f32 v32, v51, v38, -v34
	s_delay_alu instid0(VALU_DEP_2) | instskip(NEXT) | instid1(VALU_DEP_2)
	v_dual_sub_f32 v41, v37, v36 :: v_dual_add_f32 v16, v16, v17
	v_dual_add_f32 v17, v31, v23 :: v_dual_mov_b32 v45, v36
	s_delay_alu instid0(VALU_DEP_3) | instskip(NEXT) | instid1(VALU_DEP_3)
	v_fmac_f32_e32 v32, v51, v30
	v_pk_add_f32 v[36:37], v[36:37], v[40:41] neg_lo:[0,1] neg_hi:[0,1]
	s_delay_alu instid0(VALU_DEP_3) | instskip(NEXT) | instid1(VALU_DEP_3)
	v_dual_mul_f32 v43, v21, v17 :: v_dual_add_f32 v33, v35, v16
	v_dual_sub_f32 v31, v31, v17 :: v_dual_add_f32 v8, v34, v32
	s_delay_alu instid0(VALU_DEP_3) | instskip(NEXT) | instid1(VALU_DEP_3)
	v_pk_add_f32 v[36:37], v[36:37], v[44:45] neg_lo:[0,1] neg_hi:[0,1]
	v_mul_f32_e32 v40, v27, v43
	s_delay_alu instid0(VALU_DEP_3) | instskip(SKIP_4) | instid1(VALU_DEP_3)
	v_add_f32_e32 v23, v23, v31
	v_add_f32_e32 v31, v21, v43
	v_ldexp_f32 v39, v33, v49
	v_dual_sub_f32 v42, v33, v35 :: v_dual_sub_f32 v35, 1.0, v8
	v_dual_mov_b32 v33, v8 :: v_dual_add_f32 v1, v1, v37
	v_rcp_f32_e32 v48, v39
	s_delay_alu instid0(VALU_DEP_2) | instskip(NEXT) | instid1(VALU_DEP_3)
	v_dual_sub_f32 v16, v16, v42 :: v_dual_fma_f32 v42, v43, v27, -v40
	v_pk_add_f32 v[44:45], v[8:9], v[34:35] neg_lo:[0,1] neg_hi:[0,1]
	s_delay_alu instid0(VALU_DEP_3) | instskip(NEXT) | instid1(VALU_DEP_3)
	v_add_f32_e32 v1, v36, v1
	v_ldexp_f32 v37, v16, v49
	s_delay_alu instid0(VALU_DEP_4) | instskip(NEXT) | instid1(TRANS32_DEP_1)
	v_fmac_f32_e32 v42, v43, v29
	v_mul_f32_e32 v34, v39, v48
	v_pk_add_f32 v[32:33], v[44:45], v[32:33] neg_lo:[0,1] neg_hi:[0,1]
	v_sub_f32_e32 v46, v31, v21
	s_delay_alu instid0(VALU_DEP_4) | instskip(NEXT) | instid1(VALU_DEP_4)
	v_dual_add_f32 v1, v41, v1 :: v_dual_add_f32 v16, v40, v42
	v_fma_f32 v44, v48, v39, -v34
	s_delay_alu instid0(VALU_DEP_3) | instskip(NEXT) | instid1(VALU_DEP_3)
	v_dual_add_f32 v32, v32, v33 :: v_dual_sub_f32 v36, v43, v46
	v_sub_f32_e32 v41, v17, v16
	s_delay_alu instid0(VALU_DEP_2) | instskip(NEXT) | instid1(VALU_DEP_4)
	v_dual_mul_f32 v1, v25, v1 :: v_dual_add_f32 v33, v35, v32
	v_fmac_f32_e32 v44, v48, v37
	v_mov_b32_e32 v43, v16
	s_delay_alu instid0(VALU_DEP_4) | instskip(NEXT) | instid1(VALU_DEP_4)
	v_pk_add_f32 v[16:17], v[16:17], v[40:41] neg_lo:[0,1] neg_hi:[0,1]
	v_add_f32_e32 v1, v6, v1
	s_delay_alu instid0(VALU_DEP_4) | instskip(SKIP_1) | instid1(VALU_DEP_4)
	v_dual_mul_f32 v6, v51, v33 :: v_dual_add_f32 v8, v34, v44
	v_sub_f32_e32 v25, v35, v33
	v_pk_add_f32 v[16:17], v[16:17], v[42:43] neg_lo:[0,1] neg_hi:[0,1]
	s_delay_alu instid0(VALU_DEP_3) | instskip(NEXT) | instid1(VALU_DEP_4)
	v_dual_add_f32 v47, v50, v1 :: v_dual_add_f32 v49, v51, v6
	v_dual_sub_f32 v35, 1.0, v8 :: v_dual_mul_f32 v40, v38, v6
	v_mov_b32_e32 v45, v8
	v_add_f32_e32 v25, v32, v25
	s_delay_alu instid0(VALU_DEP_4) | instskip(NEXT) | instid1(VALU_DEP_4)
	v_dual_add_f32 v17, v23, v17 :: v_dual_sub_f32 v23, v49, v51
	v_pk_add_f32 v[42:43], v[8:9], v[34:35] neg_lo:[0,1] neg_hi:[0,1]
	v_fma_f32 v46, v6, v38, -v40
	s_delay_alu instid0(VALU_DEP_3) | instskip(SKIP_1) | instid1(VALU_DEP_4)
	v_dual_sub_f32 v8, v47, v50 :: v_dual_add_f32 v16, v16, v17
	v_ldexp_f32 v34, v47, -2
	v_pk_add_f32 v[42:43], v[42:43], v[44:45] neg_lo:[0,1] neg_hi:[0,1]
	s_delay_alu instid0(VALU_DEP_3) | instskip(SKIP_1) | instid1(VALU_DEP_2)
	v_dual_fmac_f32 v46, v6, v30 :: v_dual_sub_f32 v1, v1, v8
	v_sub_f32_e32 v6, v6, v23
	v_dual_add_f32 v8, v42, v43 :: v_dual_add_f32 v32, v40, v46
	v_add_f32_e32 v17, v41, v16
	s_delay_alu instid0(VALU_DEP_4) | instskip(NEXT) | instid1(VALU_DEP_3)
	v_ldexp_f32 v16, v1, -2
	v_dual_mov_b32 v47, v32 :: v_dual_add_f32 v43, v35, v8
	s_delay_alu instid0(VALU_DEP_3) | instskip(NEXT) | instid1(VALU_DEP_2)
	v_mul_f32_e32 v1, v21, v17
	v_dual_sub_f32 v41, v33, v32 :: v_dual_mul_f32 v17, v48, v43
	s_delay_alu instid0(VALU_DEP_2) | instskip(NEXT) | instid1(VALU_DEP_2)
	v_dual_add_f32 v1, v36, v1 :: v_dual_sub_f32 v21, v35, v43
	v_pk_add_f32 v[32:33], v[32:33], v[40:41] neg_lo:[0,1] neg_hi:[0,1]
	s_delay_alu instid0(VALU_DEP_3) | instskip(NEXT) | instid1(VALU_DEP_3)
	v_mul_f32_e32 v40, v39, v17
	v_add_f32_e32 v8, v8, v21
	s_delay_alu instid0(VALU_DEP_3) | instskip(SKIP_1) | instid1(VALU_DEP_4)
	v_pk_add_f32 v[32:33], v[32:33], v[46:47] neg_lo:[0,1] neg_hi:[0,1]
	v_add_f32_e32 v21, v48, v17
	v_dual_add_f32 v23, v31, v1 :: v_dual_fma_f32 v44, v17, v39, -v40
	s_delay_alu instid0(VALU_DEP_1) | instskip(SKIP_1) | instid1(VALU_DEP_3)
	v_sub_f32_e32 v31, v23, v31
	v_ldexp_f32 v35, v23, -2
	v_fmac_f32_e32 v44, v17, v37
	s_delay_alu instid0(VALU_DEP_1) | instskip(NEXT) | instid1(VALU_DEP_1)
	v_dual_add_f32 v25, v25, v33 :: v_dual_add_f32 v42, v40, v44
	v_dual_sub_f32 v23, v21, v48 :: v_dual_add_f32 v25, v32, v25
	s_delay_alu instid0(VALU_DEP_4) | instskip(SKIP_1) | instid1(VALU_DEP_3)
	v_pk_add_f32 v[32:33], v[26:27], v[34:35]
	v_sub_f32_e32 v1, v1, v31
	v_sub_f32_e32 v23, v17, v23
	s_delay_alu instid0(VALU_DEP_4) | instskip(NEXT) | instid1(VALU_DEP_4)
	v_dual_add_f32 v25, v41, v25 :: v_dual_sub_f32 v41, v43, v42
	v_sub_f32_e32 v26, v32, v26
	s_delay_alu instid0(VALU_DEP_4) | instskip(NEXT) | instid1(VALU_DEP_3)
	v_ldexp_f32 v17, v1, -2
	v_dual_sub_f32 v1, v33, v27 :: v_dual_mul_f32 v25, v51, v25
	v_mov_b32_e32 v45, v42
	s_delay_alu instid0(VALU_DEP_3) | instskip(SKIP_1) | instid1(VALU_DEP_4)
	v_pk_add_f32 v[16:17], v[16:17], v[28:29]
	v_pk_add_f32 v[28:29], v[42:43], v[40:41] neg_lo:[0,1] neg_hi:[0,1]
	v_sub_f32_e32 v27, v35, v1
	s_delay_alu instid0(VALU_DEP_2) | instskip(NEXT) | instid1(VALU_DEP_1)
	v_pk_add_f32 v[28:29], v[28:29], v[44:45] neg_lo:[0,1] neg_hi:[0,1]
	v_add_f32_e32 v8, v8, v29
	v_add_f32_e32 v1, v6, v25
	s_delay_alu instid0(VALU_DEP_1) | instskip(NEXT) | instid1(VALU_DEP_1)
	v_dual_sub_f32 v26, v34, v26 :: v_dual_add_f32 v6, v49, v1
	v_pk_add_f32 v[16:17], v[16:17], v[26:27]
	s_delay_alu instid0(VALU_DEP_2) | instskip(SKIP_2) | instid1(VALU_DEP_4)
	v_sub_f32_e32 v25, v6, v49
	v_ldexp_f32 v34, v6, -2
	v_add_f32_e32 v6, v28, v8
	v_pk_add_f32 v[16:17], v[32:33], v[16:17]
	s_delay_alu instid0(VALU_DEP_4) | instskip(NEXT) | instid1(VALU_DEP_3)
	v_sub_f32_e32 v1, v1, v25
	v_add_f32_e32 v6, v41, v6
	s_delay_alu instid0(VALU_DEP_3) | instskip(SKIP_1) | instid1(VALU_DEP_4)
	v_cndmask_b32_e32 v4, 0x7f800000, v16, vcc_lo
	v_cmp_nlt_f32_e32 vcc_lo, 0x42b2d4fc, v22
	v_ldexp_f32 v36, v1, -2
	s_delay_alu instid0(VALU_DEP_4) | instskip(NEXT) | instid1(VALU_DEP_1)
	v_mul_f32_e32 v1, v48, v6
	v_add_f32_e32 v1, v23, v1
	s_delay_alu instid0(VALU_DEP_1) | instskip(NEXT) | instid1(VALU_DEP_1)
	v_add_f32_e32 v6, v21, v1
	v_ldexp_f32 v35, v6, -2
	s_delay_alu instid0(VALU_DEP_1) | instskip(NEXT) | instid1(VALU_DEP_1)
	v_pk_add_f32 v[28:29], v[38:39], v[34:35]
	v_sub_f32_e32 v8, v28, v38
	s_delay_alu instid0(VALU_DEP_1) | instskip(SKIP_1) | instid1(VALU_DEP_1)
	v_sub_f32_e32 v34, v34, v8
	v_sub_f32_e32 v6, v6, v21
	;; [unrolled: 1-line block ×4, first 2 shown]
	s_delay_alu instid0(VALU_DEP_1) | instskip(NEXT) | instid1(VALU_DEP_3)
	v_sub_f32_e32 v35, v35, v6
	v_ldexp_f32 v31, v1, -2
	v_cndmask_b32_e64 v1, 0x7f800000, v17, s2
	v_cmp_nlt_f32_e64 s2, 0x42b2d4fc, v20
	v_add_nc_u64_e32 v[16:17], s[8:9], v[12:13]
	v_add_nc_u64_e32 v[12:13], s[14:15], v[12:13]
	v_pk_add_f32 v[30:31], v[36:37], v[30:31]
	s_delay_alu instid0(VALU_DEP_1) | instskip(NEXT) | instid1(VALU_DEP_1)
	v_pk_add_f32 v[26:27], v[30:31], v[34:35]
	v_pk_add_f32 v[24:25], v[28:29], v[26:27]
	s_delay_alu instid0(VALU_DEP_1) | instskip(NEXT) | instid1(VALU_DEP_2)
	v_cndmask_b32_e64 v6, 0x7f800000, v25, s2
	v_cndmask_b32_e32 v8, 0x7f800000, v24, vcc_lo
	v_cmp_ge_i64_e32 vcc_lo, v[18:19], v[2:3]
	v_cvt_pk_f16_f32 v18, v4, v1
	s_delay_alu instid0(VALU_DEP_3)
	v_cvt_pk_f16_f32 v19, v8, v6
	s_or_b32 s17, vcc_lo, s17
	global_store_b64 v[16:17], v[18:19], off
	s_wait_xcnt 0x0
	s_and_not1_b32 exec_lo, exec_lo, s17
	s_cbranch_execnz .LBB83_3
.LBB83_4:
	s_or_b32 exec_lo, exec_lo, s3
	s_mov_b32 s2, 0
.LBB83_5:
	s_delay_alu instid0(SALU_CYCLE_1)
	s_and_not1_b32 vcc_lo, exec_lo, s2
	s_cbranch_vccnz .LBB83_25
; %bb.6:
	v_cmp_lt_i64_e64 s2, s[10:11], 1
	s_and_b32 vcc_lo, exec_lo, s2
	s_cbranch_vccnz .LBB83_25
; %bb.7:
	s_load_b32 s0, s[0:1], 0xc5c
	v_min_i64 v[2:3], 0x10000, s[10:11]
	v_min_u64 v[4:5], 0x10000, s[10:11]
	v_dual_mov_b32 v1, 0 :: v_dual_lshlrev_b32 v12, 1, v0
	s_wait_xcnt 0x0
	s_mov_b32 s1, 0
	v_dual_mov_b32 v31, 1.0 :: v_dual_mov_b32 v33, -1.0
	s_delay_alu instid0(VALU_DEP_2) | instskip(SKIP_3) | instid1(VALU_DEP_1)
	v_dual_mov_b32 v13, v1 :: v_dual_mov_b32 v27, v1
	s_mov_b32 s11, s1
	s_mov_b32 s3, s1
	;; [unrolled: 1-line block ×3, first 2 shown]
	v_add_nc_u64_e32 v[6:7], s[6:7], v[12:13]
	v_add_nc_u64_e32 v[8:9], s[8:9], v[12:13]
	s_mov_b32 s13, s1
	v_mov_b32_e32 v29, 0x3f317218
	s_wait_kmcnt 0x0
	s_and_b32 s0, s0, 0xffff
	s_delay_alu instid0(SALU_CYCLE_1)
	v_add_nc_u64_e32 v[10:11], s[0:1], v[0:1]
	v_mad_nc_u64_u32 v[22:23], s0, 6, v[12:13]
	s_lshl_b32 s10, s0, 2
	s_lshl_b32 s2, s0, 1
	v_add_nc_u64_e32 v[18:19], s[10:11], v[12:13]
	s_mul_i32 s14, s0, 3
	v_add_nc_u64_e32 v[14:15], s[2:3], v[0:1]
	v_lshlrev_b32_e32 v26, 1, v10
	v_add_nc_u64_e32 v[12:13], s[14:15], v[0:1]
	s_lshl_b32 s12, s0, 3
	s_mov_b32 s3, -1.0
	v_add_nc_u64_e32 v[16:17], s[6:7], v[18:19]
	v_add_nc_u64_e32 v[18:19], s[8:9], v[18:19]
	;; [unrolled: 1-line block ×6, first 2 shown]
	s_mov_b64 s[6:7], 0
	s_mov_b32 s8, 0x3ab42872
	s_branch .LBB83_9
.LBB83_8:                               ;   in Loop: Header=BB83_9 Depth=1
	s_wait_xcnt 0x0
	s_or_b32 exec_lo, exec_lo, s0
	s_add_nc_u64 s[6:7], s[6:7], s[10:11]
	v_add_nc_u64_e32 v[6:7], s[12:13], v[6:7]
	v_cmp_ge_i64_e32 vcc_lo, s[6:7], v[2:3]
	v_add_nc_u64_e32 v[8:9], s[12:13], v[8:9]
	v_add_nc_u64_e32 v[20:21], s[12:13], v[20:21]
	;; [unrolled: 1-line block ×7, first 2 shown]
	s_cbranch_vccnz .LBB83_25
.LBB83_9:                               ; =>This Inner Loop Header: Depth=1
	v_add_nc_u64_e32 v[34:35], s[6:7], v[0:1]
	v_mov_b32_e32 v28, 0
	s_delay_alu instid0(VALU_DEP_2)
	v_cmp_lt_u64_e64 s2, v[34:35], v[4:5]
	s_and_saveexec_b32 s0, s2
	s_cbranch_execz .LBB83_11
; %bb.10:                               ;   in Loop: Header=BB83_9 Depth=1
	v_add_nc_u64_e32 v[34:35], s[4:5], v[6:7]
	global_load_u16 v28, v[34:35], off
	s_wait_loadcnt 0x0
	v_cvt_f32_f16_e64 v28, |v28|
.LBB83_11:                              ;   in Loop: Header=BB83_9 Depth=1
	s_wait_xcnt 0x0
	s_or_b32 exec_lo, exec_lo, s0
	v_add_nc_u64_e32 v[34:35], s[6:7], v[10:11]
	v_mov_b32_e32 v36, 0
	s_delay_alu instid0(VALU_DEP_2)
	v_cmp_lt_u64_e64 s1, v[34:35], v[4:5]
	v_mov_b32_e32 v35, 0
	s_and_saveexec_b32 s0, s1
	s_cbranch_execz .LBB83_13
; %bb.12:                               ;   in Loop: Header=BB83_9 Depth=1
	v_add_nc_u64_e32 v[36:37], s[4:5], v[24:25]
	global_load_u16 v30, v[36:37], off
	s_wait_loadcnt 0x0
	v_cvt_f32_f16_e64 v36, |v30|
.LBB83_13:                              ;   in Loop: Header=BB83_9 Depth=1
	s_or_b32 exec_lo, exec_lo, s0
	v_add_nc_u64_e32 v[38:39], s[6:7], v[14:15]
	s_delay_alu instid0(VALU_DEP_1)
	v_cmp_lt_u64_e64 s0, v[38:39], v[4:5]
	s_and_saveexec_b32 s9, s0
	s_cbranch_execz .LBB83_15
; %bb.14:                               ;   in Loop: Header=BB83_9 Depth=1
	v_add_nc_u64_e32 v[34:35], s[4:5], v[16:17]
	global_load_u16 v30, v[34:35], off
	s_wait_loadcnt 0x0
	v_cvt_f32_f16_e64 v35, |v30|
.LBB83_15:                              ;   in Loop: Header=BB83_9 Depth=1
	s_or_b32 exec_lo, exec_lo, s9
	v_add_nc_u64_e32 v[38:39], s[6:7], v[12:13]
	v_mov_b32_e32 v34, 0
	s_delay_alu instid0(VALU_DEP_2)
	v_cmp_lt_u64_e32 vcc_lo, v[38:39], v[4:5]
	s_and_saveexec_b32 s9, vcc_lo
	s_cbranch_execnz .LBB83_20
; %bb.16:                               ;   in Loop: Header=BB83_9 Depth=1
	s_or_b32 exec_lo, exec_lo, s9
	s_and_saveexec_b32 s9, s2
	s_cbranch_execnz .LBB83_21
.LBB83_17:                              ;   in Loop: Header=BB83_9 Depth=1
	s_or_b32 exec_lo, exec_lo, s9
	s_and_saveexec_b32 s2, s1
	s_cbranch_execnz .LBB83_22
.LBB83_18:                              ;   in Loop: Header=BB83_9 Depth=1
	s_or_b32 exec_lo, exec_lo, s2
	s_and_saveexec_b32 s1, s0
	s_cbranch_execnz .LBB83_23
.LBB83_19:                              ;   in Loop: Header=BB83_9 Depth=1
	s_or_b32 exec_lo, exec_lo, s1
	s_and_saveexec_b32 s0, vcc_lo
	s_cbranch_execz .LBB83_8
	s_branch .LBB83_24
.LBB83_20:                              ;   in Loop: Header=BB83_9 Depth=1
	v_add_nc_u64_e32 v[38:39], s[4:5], v[20:21]
	global_load_u16 v30, v[38:39], off
	s_wait_loadcnt 0x0
	v_cvt_f32_f16_e64 v34, |v30|
	s_wait_xcnt 0x0
	s_or_b32 exec_lo, exec_lo, s9
	s_and_saveexec_b32 s9, s2
	s_cbranch_execz .LBB83_17
.LBB83_21:                              ;   in Loop: Header=BB83_9 Depth=1
	v_add_f32_e32 v30, 0xbf317218, v28
	s_delay_alu instid0(VALU_DEP_1) | instskip(NEXT) | instid1(VALU_DEP_1)
	v_sub_f32_e32 v39, v30, v28
	v_sub_f32_e32 v38, v39, v30
	s_delay_alu instid0(VALU_DEP_1) | instskip(NEXT) | instid1(VALU_DEP_1)
	v_pk_add_f32 v[38:39], v[28:29], v[38:39]
	v_sub_f32_e32 v32, v38, v39
	s_delay_alu instid0(VALU_DEP_1) | instskip(NEXT) | instid1(VALU_DEP_1)
	v_add_f32_e32 v32, 0x3102e308, v32
	v_add_f32_e32 v37, v30, v32
	s_delay_alu instid0(VALU_DEP_1) | instskip(SKIP_1) | instid1(VALU_DEP_2)
	v_mul_f32_e32 v38, 0x3fb8aa3b, v37
	v_sub_f32_e32 v30, v30, v37
	v_rndne_f32_e32 v46, v38
	s_delay_alu instid0(VALU_DEP_2) | instskip(NEXT) | instid1(VALU_DEP_2)
	v_add_f32_e32 v30, v32, v30
	v_fmac_f32_e32 v37, 0xbf317200, v46
	v_mul_f32_e32 v32, 0x35bfbc00, v46
	v_mul_f32_e32 v41, 0x2ea39ef3, v46
	s_delay_alu instid0(VALU_DEP_3) | instskip(NEXT) | instid1(VALU_DEP_1)
	v_add_f32_e32 v39, v30, v37
	v_dual_sub_f32 v38, v39, v32 :: v_dual_sub_f32 v37, v37, v39
	s_delay_alu instid0(VALU_DEP_1) | instskip(NEXT) | instid1(VALU_DEP_1)
	v_sub_f32_e32 v39, v39, v38
	v_dual_sub_f32 v32, v39, v32 :: v_dual_add_f32 v30, v30, v37
	s_delay_alu instid0(VALU_DEP_1) | instskip(NEXT) | instid1(VALU_DEP_1)
	v_add_f32_e32 v30, v30, v32
	v_add_f32_e32 v39, v38, v30
	s_delay_alu instid0(VALU_DEP_1) | instskip(NEXT) | instid1(VALU_DEP_1)
	v_mov_b32_e32 v40, v39
	v_pk_add_f32 v[42:43], v[38:39], v[40:41] neg_lo:[0,1] neg_hi:[0,1]
	s_delay_alu instid0(VALU_DEP_1) | instskip(NEXT) | instid1(VALU_DEP_1)
	v_dual_sub_f32 v32, v39, v43 :: v_dual_add_f32 v30, v30, v42
	v_sub_f32_e32 v32, v32, v41
	s_delay_alu instid0(VALU_DEP_1) | instskip(NEXT) | instid1(VALU_DEP_1)
	v_add_f32_e32 v30, v30, v32
	v_add_f32_e32 v37, v43, v30
	s_delay_alu instid0(VALU_DEP_1) | instskip(SKIP_2) | instid1(VALU_DEP_3)
	v_dual_sub_f32 v32, v43, v37 :: v_dual_mul_f32 v38, v37, v37
	v_mov_b64_e32 v[42:43], s[2:3]
	v_cmp_nlt_f32_e64 s2, 0x42b2d4fc, v28
	v_add_f32_e32 v30, v30, v32
	v_fmaak_f32 v32, s8, v37, 0x3c091de6
	s_delay_alu instid0(VALU_DEP_2) | instskip(NEXT) | instid1(VALU_DEP_2)
	v_dual_fma_f32 v39, v37, v37, -v38 :: v_dual_add_f32 v40, v30, v30
	v_fmaak_f32 v32, v37, v32, 0x3d2aadcc
	s_delay_alu instid0(VALU_DEP_2) | instskip(NEXT) | instid1(VALU_DEP_2)
	v_fmac_f32_e32 v39, v37, v40
	v_fmaak_f32 v32, v37, v32, 0x3e2aaa47
	s_delay_alu instid0(VALU_DEP_2) | instskip(NEXT) | instid1(VALU_DEP_2)
	v_add_f32_e32 v40, v38, v39
	v_fmaak_f32 v32, v37, v32, 0x3efffffc
	s_delay_alu instid0(VALU_DEP_2) | instskip(NEXT) | instid1(VALU_DEP_1)
	v_sub_f32_e32 v38, v40, v38
	v_dual_sub_f32 v38, v39, v38 :: v_dual_mul_f32 v41, v32, v40
	s_delay_alu instid0(VALU_DEP_1) | instskip(NEXT) | instid1(VALU_DEP_1)
	v_fma_f32 v39, v40, v32, -v41
	v_fmac_f32_e32 v39, v38, v32
	s_delay_alu instid0(VALU_DEP_1) | instskip(NEXT) | instid1(VALU_DEP_1)
	v_add_f32_e32 v38, v41, v39
	v_add_f32_e32 v32, v37, v38
	s_delay_alu instid0(VALU_DEP_1) | instskip(SKIP_1) | instid1(VALU_DEP_1)
	v_sub_f32_e32 v37, v32, v37
	v_sub_f32_e32 v40, v38, v41
	v_dual_sub_f32 v37, v38, v37 :: v_dual_sub_f32 v39, v39, v40
	s_delay_alu instid0(VALU_DEP_1) | instskip(NEXT) | instid1(VALU_DEP_1)
	v_add_f32_e32 v30, v30, v39
	v_add_f32_e32 v38, v30, v37
	s_delay_alu instid0(VALU_DEP_1) | instskip(NEXT) | instid1(VALU_DEP_1)
	v_add_f32_e32 v40, v32, v38
	v_dual_add_f32 v41, 1.0, v40 :: v_dual_mov_b32 v39, v40
	s_delay_alu instid0(VALU_DEP_1) | instskip(SKIP_2) | instid1(VALU_DEP_3)
	v_pk_add_f32 v[42:43], v[40:41], v[42:43]
	v_pk_add_f32 v[44:45], v[40:41], v[32:33] neg_lo:[0,1] neg_hi:[0,1]
	v_cvt_i32_f32_e32 v32, v46
	v_mov_b32_e32 v45, v43
	s_delay_alu instid0(VALU_DEP_1) | instskip(NEXT) | instid1(VALU_DEP_1)
	v_pk_add_f32 v[38:39], v[38:39], v[44:45] neg_lo:[0,1] neg_hi:[0,1]
	v_add_f32_e32 v30, v38, v39
	s_delay_alu instid0(VALU_DEP_1) | instskip(NEXT) | instid1(VALU_DEP_1)
	v_add_f32_e32 v37, v41, v30
	v_ldexp_f32 v38, v37, v32
	s_delay_alu instid0(VALU_DEP_1) | instskip(SKIP_1) | instid1(TRANS32_DEP_1)
	v_rcp_f32_e32 v48, v38
	v_nop
	v_dual_mul_f32 v40, v38, v48 :: v_dual_sub_f32 v37, v37, v41
	s_delay_alu instid0(VALU_DEP_1) | instskip(NEXT) | instid1(VALU_DEP_1)
	v_dual_fma_f32 v42, v48, v38, -v40 :: v_dual_sub_f32 v30, v30, v37
	v_ldexp_f32 v39, v30, v32
	s_delay_alu instid0(VALU_DEP_1) | instskip(NEXT) | instid1(VALU_DEP_1)
	v_fmac_f32_e32 v42, v48, v39
	v_add_f32_e32 v30, v40, v42
	s_delay_alu instid0(VALU_DEP_1) | instskip(NEXT) | instid1(VALU_DEP_1)
	v_dual_sub_f32 v41, 1.0, v30 :: v_dual_mov_b32 v43, v30
	v_pk_add_f32 v[44:45], v[30:31], v[40:41] neg_lo:[0,1] neg_hi:[0,1]
	s_delay_alu instid0(VALU_DEP_1) | instskip(NEXT) | instid1(VALU_DEP_1)
	v_pk_add_f32 v[42:43], v[44:45], v[42:43] neg_lo:[0,1] neg_hi:[0,1]
	v_add_f32_e32 v30, v42, v43
	s_delay_alu instid0(VALU_DEP_1) | instskip(NEXT) | instid1(VALU_DEP_1)
	v_add_f32_e32 v43, v41, v30
	v_mul_f32_e32 v32, v48, v43
	s_delay_alu instid0(VALU_DEP_1) | instskip(NEXT) | instid1(VALU_DEP_1)
	v_mul_f32_e32 v44, v38, v32
	v_fma_f32 v40, v32, v38, -v44
	s_delay_alu instid0(VALU_DEP_1) | instskip(NEXT) | instid1(VALU_DEP_1)
	v_fmac_f32_e32 v40, v32, v39
	v_dual_sub_f32 v37, v41, v43 :: v_dual_add_f32 v42, v44, v40
	s_delay_alu instid0(VALU_DEP_1) | instskip(NEXT) | instid1(VALU_DEP_2)
	v_dual_add_f32 v30, v30, v37 :: v_dual_add_f32 v37, v48, v32
	v_dual_sub_f32 v45, v43, v42 :: v_dual_mov_b32 v41, v42
	s_delay_alu instid0(VALU_DEP_1) | instskip(NEXT) | instid1(VALU_DEP_1)
	v_pk_add_f32 v[46:47], v[42:43], v[44:45] neg_lo:[0,1] neg_hi:[0,1]
	v_pk_add_f32 v[40:41], v[46:47], v[40:41] neg_lo:[0,1] neg_hi:[0,1]
	s_delay_alu instid0(VALU_DEP_1) | instskip(NEXT) | instid1(VALU_DEP_1)
	v_add_f32_e32 v30, v30, v41
	v_dual_add_f32 v30, v40, v30 :: v_dual_sub_f32 v40, v37, v48
	s_delay_alu instid0(VALU_DEP_1) | instskip(NEXT) | instid1(VALU_DEP_1)
	v_dual_add_f32 v30, v45, v30 :: v_dual_sub_f32 v32, v32, v40
	v_mul_f32_e32 v30, v48, v30
	s_delay_alu instid0(VALU_DEP_1) | instskip(NEXT) | instid1(VALU_DEP_1)
	v_add_f32_e32 v30, v32, v30
	v_add_f32_e32 v32, v37, v30
	s_delay_alu instid0(VALU_DEP_1) | instskip(NEXT) | instid1(VALU_DEP_1)
	v_sub_f32_e32 v37, v32, v37
	v_sub_f32_e32 v30, v30, v37
	v_ldexp_f32 v40, v32, -2
	s_delay_alu instid0(VALU_DEP_2) | instskip(NEXT) | instid1(VALU_DEP_1)
	v_ldexp_f32 v41, v30, -2
	v_pk_add_f32 v[42:43], v[38:39], v[40:41]
	s_delay_alu instid0(VALU_DEP_1) | instskip(SKIP_1) | instid1(VALU_DEP_2)
	v_sub_f32_e32 v30, v42, v38
	v_add_nc_u64_e32 v[38:39], s[4:5], v[8:9]
	v_sub_f32_e32 v30, v40, v30
	s_delay_alu instid0(VALU_DEP_1) | instskip(NEXT) | instid1(VALU_DEP_1)
	v_add_f32_e32 v30, v43, v30
	v_add_f32_e32 v30, v42, v30
	s_delay_alu instid0(VALU_DEP_1) | instskip(NEXT) | instid1(VALU_DEP_1)
	v_cndmask_b32_e64 v28, 0x7f800000, v30, s2
	v_cvt_f16_f32_e32 v28, v28
	global_store_b16 v[38:39], v28, off
	s_wait_xcnt 0x0
	s_or_b32 exec_lo, exec_lo, s9
	s_and_saveexec_b32 s2, s1
	s_cbranch_execz .LBB83_18
.LBB83_22:                              ;   in Loop: Header=BB83_9 Depth=1
	v_add_f32_e32 v28, 0xbf317218, v36
	v_cmp_nlt_f32_e64 s1, 0x42b2d4fc, v36
	s_delay_alu instid0(VALU_DEP_2) | instskip(NEXT) | instid1(VALU_DEP_1)
	v_sub_f32_e32 v30, v28, v36
	v_sub_f32_e32 v32, v30, v28
	v_add_f32_e32 v30, 0x3f317218, v30
	s_delay_alu instid0(VALU_DEP_2) | instskip(NEXT) | instid1(VALU_DEP_1)
	v_add_f32_e32 v32, v36, v32
	v_sub_f32_e32 v30, v32, v30
	s_delay_alu instid0(VALU_DEP_1) | instskip(NEXT) | instid1(VALU_DEP_1)
	v_add_f32_e32 v30, 0x3102e308, v30
	v_add_f32_e32 v32, v28, v30
	s_delay_alu instid0(VALU_DEP_1) | instskip(NEXT) | instid1(VALU_DEP_1)
	v_dual_mul_f32 v37, 0x3fb8aa3b, v32 :: v_dual_sub_f32 v28, v28, v32
	v_rndne_f32_e32 v37, v37
	s_delay_alu instid0(VALU_DEP_2) | instskip(NEXT) | instid1(VALU_DEP_2)
	v_add_f32_e32 v28, v30, v28
	v_fmac_f32_e32 v32, 0xbf317200, v37
	v_mul_f32_e32 v30, 0x35bfbc00, v37
	s_delay_alu instid0(VALU_DEP_2) | instskip(NEXT) | instid1(VALU_DEP_1)
	v_add_f32_e32 v38, v28, v32
	v_sub_f32_e32 v32, v32, v38
	s_delay_alu instid0(VALU_DEP_1) | instskip(NEXT) | instid1(VALU_DEP_1)
	v_dual_add_f32 v28, v28, v32 :: v_dual_sub_f32 v39, v38, v30
	v_sub_f32_e32 v38, v38, v39
	s_delay_alu instid0(VALU_DEP_1) | instskip(NEXT) | instid1(VALU_DEP_1)
	v_sub_f32_e32 v30, v38, v30
	v_add_f32_e32 v28, v28, v30
	v_mul_f32_e32 v30, 0x2ea39ef3, v37
	s_delay_alu instid0(VALU_DEP_2) | instskip(NEXT) | instid1(VALU_DEP_1)
	v_add_f32_e32 v32, v39, v28
	v_sub_f32_e32 v39, v39, v32
	s_delay_alu instid0(VALU_DEP_1) | instskip(NEXT) | instid1(VALU_DEP_4)
	v_add_f32_e32 v28, v28, v39
	v_sub_f32_e32 v38, v32, v30
	s_delay_alu instid0(VALU_DEP_1) | instskip(NEXT) | instid1(VALU_DEP_1)
	v_sub_f32_e32 v32, v32, v38
	v_sub_f32_e32 v30, v32, v30
	s_delay_alu instid0(VALU_DEP_1) | instskip(NEXT) | instid1(VALU_DEP_1)
	v_add_f32_e32 v28, v28, v30
	v_add_f32_e32 v30, v38, v28
	s_delay_alu instid0(VALU_DEP_1) | instskip(NEXT) | instid1(VALU_DEP_1)
	v_sub_f32_e32 v32, v38, v30
	v_dual_mul_f32 v38, v30, v30 :: v_dual_add_f32 v28, v28, v32
	s_delay_alu instid0(VALU_DEP_1) | instskip(SKIP_1) | instid1(VALU_DEP_3)
	v_fma_f32 v39, v30, v30, -v38
	v_fmaak_f32 v32, s8, v30, 0x3c091de6
	v_add_f32_e32 v40, v28, v28
	s_delay_alu instid0(VALU_DEP_2) | instskip(NEXT) | instid1(VALU_DEP_2)
	v_fmaak_f32 v32, v30, v32, 0x3d2aadcc
	v_fmac_f32_e32 v39, v30, v40
	s_delay_alu instid0(VALU_DEP_2) | instskip(NEXT) | instid1(VALU_DEP_2)
	v_fmaak_f32 v32, v30, v32, 0x3e2aaa47
	v_add_f32_e32 v40, v38, v39
	s_delay_alu instid0(VALU_DEP_2) | instskip(NEXT) | instid1(VALU_DEP_1)
	v_fmaak_f32 v32, v30, v32, 0x3efffffc
	v_mul_f32_e32 v41, v32, v40
	v_sub_f32_e32 v38, v40, v38
	s_delay_alu instid0(VALU_DEP_1) | instskip(NEXT) | instid1(VALU_DEP_1)
	v_dual_sub_f32 v38, v39, v38 :: v_dual_fma_f32 v39, v40, v32, -v41
	v_fmac_f32_e32 v39, v38, v32
	s_delay_alu instid0(VALU_DEP_1) | instskip(NEXT) | instid1(VALU_DEP_1)
	v_add_f32_e32 v32, v41, v39
	v_add_f32_e32 v38, v30, v32
	s_delay_alu instid0(VALU_DEP_1) | instskip(NEXT) | instid1(VALU_DEP_1)
	v_dual_sub_f32 v30, v38, v30 :: v_dual_sub_f32 v40, v32, v41
	v_dual_sub_f32 v30, v32, v30 :: v_dual_sub_f32 v39, v39, v40
	s_delay_alu instid0(VALU_DEP_1) | instskip(NEXT) | instid1(VALU_DEP_1)
	v_add_f32_e32 v28, v28, v39
	v_add_f32_e32 v28, v28, v30
	s_delay_alu instid0(VALU_DEP_1) | instskip(NEXT) | instid1(VALU_DEP_1)
	v_add_f32_e32 v30, v38, v28
	v_add_f32_e32 v32, 1.0, v30
	s_delay_alu instid0(VALU_DEP_1) | instskip(NEXT) | instid1(VALU_DEP_1)
	v_dual_sub_f32 v38, v30, v38 :: v_dual_add_f32 v39, -1.0, v32
	v_dual_sub_f32 v30, v30, v39 :: v_dual_sub_f32 v28, v28, v38
	s_delay_alu instid0(VALU_DEP_1) | instskip(SKIP_1) | instid1(VALU_DEP_2)
	v_add_f32_e32 v28, v28, v30
	v_cvt_i32_f32_e32 v30, v37
	v_add_f32_e32 v37, v32, v28
	s_delay_alu instid0(VALU_DEP_1) | instskip(SKIP_1) | instid1(VALU_DEP_2)
	v_ldexp_f32 v38, v37, v30
	v_sub_f32_e32 v32, v37, v32
	v_rcp_f32_e32 v39, v38
	v_nop
	s_delay_alu instid0(TRANS32_DEP_1) | instskip(NEXT) | instid1(VALU_DEP_1)
	v_dual_sub_f32 v28, v28, v32 :: v_dual_mul_f32 v32, v38, v39
	v_ldexp_f32 v28, v28, v30
	s_delay_alu instid0(VALU_DEP_2) | instskip(NEXT) | instid1(VALU_DEP_1)
	v_fma_f32 v30, v39, v38, -v32
	v_fmac_f32_e32 v30, v39, v28
	s_delay_alu instid0(VALU_DEP_1) | instskip(NEXT) | instid1(VALU_DEP_1)
	v_add_f32_e32 v37, v32, v30
	v_sub_f32_e32 v32, v37, v32
	s_delay_alu instid0(VALU_DEP_1) | instskip(NEXT) | instid1(VALU_DEP_1)
	v_dual_sub_f32 v30, v32, v30 :: v_dual_sub_f32 v40, 1.0, v37
	v_sub_f32_e32 v41, 1.0, v40
	s_delay_alu instid0(VALU_DEP_1) | instskip(NEXT) | instid1(VALU_DEP_1)
	v_sub_f32_e32 v32, v41, v37
	v_add_f32_e32 v30, v30, v32
	s_delay_alu instid0(VALU_DEP_1) | instskip(NEXT) | instid1(VALU_DEP_1)
	v_add_f32_e32 v32, v40, v30
	v_mul_f32_e32 v37, v39, v32
	s_delay_alu instid0(VALU_DEP_1) | instskip(NEXT) | instid1(VALU_DEP_1)
	v_mul_f32_e32 v41, v38, v37
	v_fma_f32 v42, v37, v38, -v41
	s_delay_alu instid0(VALU_DEP_1) | instskip(NEXT) | instid1(VALU_DEP_1)
	v_fmac_f32_e32 v42, v37, v28
	v_dual_sub_f32 v40, v40, v32 :: v_dual_add_f32 v43, v41, v42
	s_delay_alu instid0(VALU_DEP_1) | instskip(NEXT) | instid1(VALU_DEP_1)
	v_sub_f32_e32 v44, v32, v43
	v_sub_f32_e32 v32, v32, v44
	s_delay_alu instid0(VALU_DEP_3) | instskip(NEXT) | instid1(VALU_DEP_2)
	v_dual_add_f32 v30, v30, v40 :: v_dual_sub_f32 v40, v43, v41
	v_sub_f32_e32 v32, v32, v43
	s_delay_alu instid0(VALU_DEP_1) | instskip(NEXT) | instid1(VALU_DEP_1)
	v_dual_sub_f32 v40, v40, v42 :: v_dual_add_f32 v30, v30, v32
	v_dual_add_f32 v32, v39, v37 :: v_dual_add_f32 v30, v40, v30
	s_delay_alu instid0(VALU_DEP_1) | instskip(NEXT) | instid1(VALU_DEP_1)
	v_sub_f32_e32 v40, v32, v39
	v_dual_sub_f32 v37, v37, v40 :: v_dual_add_f32 v30, v44, v30
	s_delay_alu instid0(VALU_DEP_1) | instskip(NEXT) | instid1(VALU_DEP_1)
	v_mul_f32_e32 v30, v39, v30
	v_add_f32_e32 v30, v37, v30
	s_delay_alu instid0(VALU_DEP_1) | instskip(NEXT) | instid1(VALU_DEP_1)
	v_add_f32_e32 v37, v32, v30
	v_ldexp_f32 v39, v37, -2
	s_delay_alu instid0(VALU_DEP_1) | instskip(NEXT) | instid1(VALU_DEP_1)
	v_dual_sub_f32 v32, v37, v32 :: v_dual_add_f32 v37, v38, v39
	v_dual_sub_f32 v30, v30, v32 :: v_dual_sub_f32 v32, v37, v38
	s_delay_alu instid0(VALU_DEP_1) | instskip(NEXT) | instid1(VALU_DEP_1)
	v_ldexp_f32 v30, v30, -2
	v_dual_sub_f32 v32, v39, v32 :: v_dual_add_f32 v28, v28, v30
	s_delay_alu instid0(VALU_DEP_1) | instskip(NEXT) | instid1(VALU_DEP_1)
	v_add_f32_e32 v28, v28, v32
	v_add_f32_e32 v28, v37, v28
	v_add_nc_u64_e32 v[36:37], s[4:5], v[26:27]
	s_delay_alu instid0(VALU_DEP_2) | instskip(NEXT) | instid1(VALU_DEP_1)
	v_cndmask_b32_e64 v28, 0x7f800000, v28, s1
	v_cvt_f16_f32_e32 v28, v28
	global_store_b16 v[36:37], v28, off
	s_wait_xcnt 0x0
	s_or_b32 exec_lo, exec_lo, s2
	s_and_saveexec_b32 s1, s0
	s_cbranch_execz .LBB83_19
.LBB83_23:                              ;   in Loop: Header=BB83_9 Depth=1
	v_add_f32_e32 v28, 0xbf317218, v35
	v_cmp_nlt_f32_e64 s0, 0x42b2d4fc, v35
	s_delay_alu instid0(VALU_DEP_2) | instskip(NEXT) | instid1(VALU_DEP_1)
	v_sub_f32_e32 v30, v28, v35
	v_sub_f32_e32 v32, v30, v28
	s_delay_alu instid0(VALU_DEP_1) | instskip(SKIP_1) | instid1(VALU_DEP_1)
	v_add_f32_e32 v32, v35, v32
	v_add_f32_e32 v30, 0x3f317218, v30
	v_sub_f32_e32 v30, v32, v30
	s_delay_alu instid0(VALU_DEP_1) | instskip(NEXT) | instid1(VALU_DEP_1)
	v_add_f32_e32 v30, 0x3102e308, v30
	v_add_f32_e32 v32, v28, v30
	s_delay_alu instid0(VALU_DEP_1) | instskip(SKIP_1) | instid1(VALU_DEP_2)
	v_mul_f32_e32 v36, 0x3fb8aa3b, v32
	v_sub_f32_e32 v28, v28, v32
	v_rndne_f32_e32 v36, v36
	s_delay_alu instid0(VALU_DEP_2) | instskip(NEXT) | instid1(VALU_DEP_2)
	v_add_f32_e32 v28, v30, v28
	v_fmac_f32_e32 v32, 0xbf317200, v36
	v_mul_f32_e32 v30, 0x35bfbc00, v36
	s_delay_alu instid0(VALU_DEP_2) | instskip(NEXT) | instid1(VALU_DEP_1)
	v_add_f32_e32 v37, v28, v32
	v_dual_sub_f32 v38, v37, v30 :: v_dual_sub_f32 v32, v32, v37
	s_delay_alu instid0(VALU_DEP_1) | instskip(NEXT) | instid1(VALU_DEP_1)
	v_dual_sub_f32 v37, v37, v38 :: v_dual_add_f32 v28, v28, v32
	v_sub_f32_e32 v30, v37, v30
	s_delay_alu instid0(VALU_DEP_1) | instskip(SKIP_1) | instid1(VALU_DEP_2)
	v_add_f32_e32 v28, v28, v30
	v_mul_f32_e32 v30, 0x2ea39ef3, v36
	v_add_f32_e32 v32, v38, v28
	s_delay_alu instid0(VALU_DEP_1) | instskip(NEXT) | instid1(VALU_DEP_1)
	v_sub_f32_e32 v38, v38, v32
	v_add_f32_e32 v28, v28, v38
	s_delay_alu instid0(VALU_DEP_4) | instskip(NEXT) | instid1(VALU_DEP_1)
	v_sub_f32_e32 v37, v32, v30
	v_sub_f32_e32 v32, v32, v37
	s_delay_alu instid0(VALU_DEP_1) | instskip(NEXT) | instid1(VALU_DEP_1)
	v_sub_f32_e32 v30, v32, v30
	v_add_f32_e32 v28, v28, v30
	s_delay_alu instid0(VALU_DEP_1) | instskip(NEXT) | instid1(VALU_DEP_1)
	v_add_f32_e32 v30, v37, v28
	v_dual_sub_f32 v32, v37, v30 :: v_dual_mul_f32 v37, v30, v30
	s_delay_alu instid0(VALU_DEP_1) | instskip(NEXT) | instid1(VALU_DEP_1)
	v_dual_fma_f32 v38, v30, v30, -v37 :: v_dual_add_f32 v28, v28, v32
	v_add_f32_e32 v39, v28, v28
	s_delay_alu instid0(VALU_DEP_1) | instskip(NEXT) | instid1(VALU_DEP_1)
	v_fmac_f32_e32 v38, v30, v39
	v_add_f32_e32 v39, v37, v38
	s_delay_alu instid0(VALU_DEP_1) | instskip(NEXT) | instid1(VALU_DEP_1)
	v_dual_sub_f32 v37, v39, v37 :: v_dual_fmaak_f32 v32, s8, v30, 0x3c091de6
	v_sub_f32_e32 v37, v38, v37
	s_delay_alu instid0(VALU_DEP_2) | instskip(NEXT) | instid1(VALU_DEP_1)
	v_fmaak_f32 v32, v30, v32, 0x3d2aadcc
	v_fmaak_f32 v32, v30, v32, 0x3e2aaa47
	s_delay_alu instid0(VALU_DEP_1) | instskip(NEXT) | instid1(VALU_DEP_1)
	v_fmaak_f32 v32, v30, v32, 0x3efffffc
	v_mul_f32_e32 v40, v32, v39
	s_delay_alu instid0(VALU_DEP_1) | instskip(NEXT) | instid1(VALU_DEP_1)
	v_fma_f32 v38, v39, v32, -v40
	v_fmac_f32_e32 v38, v37, v32
	s_delay_alu instid0(VALU_DEP_1) | instskip(NEXT) | instid1(VALU_DEP_1)
	v_add_f32_e32 v32, v40, v38
	v_add_f32_e32 v37, v30, v32
	s_delay_alu instid0(VALU_DEP_1) | instskip(NEXT) | instid1(VALU_DEP_1)
	v_dual_sub_f32 v30, v37, v30 :: v_dual_sub_f32 v39, v32, v40
	v_dual_sub_f32 v38, v38, v39 :: v_dual_sub_f32 v30, v32, v30
	s_delay_alu instid0(VALU_DEP_1) | instskip(NEXT) | instid1(VALU_DEP_1)
	v_add_f32_e32 v28, v28, v38
	v_add_f32_e32 v28, v28, v30
	s_delay_alu instid0(VALU_DEP_1) | instskip(NEXT) | instid1(VALU_DEP_1)
	v_add_f32_e32 v30, v37, v28
	v_dual_add_f32 v32, 1.0, v30 :: v_dual_sub_f32 v37, v30, v37
	s_delay_alu instid0(VALU_DEP_1) | instskip(NEXT) | instid1(VALU_DEP_1)
	v_dual_add_f32 v38, -1.0, v32 :: v_dual_sub_f32 v28, v28, v37
	v_sub_f32_e32 v30, v30, v38
	s_delay_alu instid0(VALU_DEP_1) | instskip(SKIP_1) | instid1(VALU_DEP_2)
	v_add_f32_e32 v28, v28, v30
	v_cvt_i32_f32_e32 v30, v36
	v_add_f32_e32 v36, v32, v28
	s_delay_alu instid0(VALU_DEP_1) | instskip(SKIP_1) | instid1(VALU_DEP_2)
	v_ldexp_f32 v37, v36, v30
	v_sub_f32_e32 v32, v36, v32
	v_rcp_f32_e32 v38, v37
	v_nop
	s_delay_alu instid0(TRANS32_DEP_1) | instskip(NEXT) | instid1(VALU_DEP_1)
	v_dual_sub_f32 v28, v28, v32 :: v_dual_mul_f32 v32, v37, v38
	v_ldexp_f32 v28, v28, v30
	s_delay_alu instid0(VALU_DEP_2) | instskip(NEXT) | instid1(VALU_DEP_1)
	v_fma_f32 v30, v38, v37, -v32
	v_fmac_f32_e32 v30, v38, v28
	s_delay_alu instid0(VALU_DEP_1) | instskip(NEXT) | instid1(VALU_DEP_1)
	v_add_f32_e32 v36, v32, v30
	v_sub_f32_e32 v32, v36, v32
	s_delay_alu instid0(VALU_DEP_1) | instskip(NEXT) | instid1(VALU_DEP_1)
	v_dual_sub_f32 v30, v32, v30 :: v_dual_sub_f32 v39, 1.0, v36
	v_sub_f32_e32 v40, 1.0, v39
	s_delay_alu instid0(VALU_DEP_1) | instskip(NEXT) | instid1(VALU_DEP_1)
	v_sub_f32_e32 v32, v40, v36
	v_add_f32_e32 v30, v30, v32
	s_delay_alu instid0(VALU_DEP_1) | instskip(NEXT) | instid1(VALU_DEP_1)
	v_add_f32_e32 v32, v39, v30
	v_mul_f32_e32 v36, v38, v32
	s_delay_alu instid0(VALU_DEP_1) | instskip(NEXT) | instid1(VALU_DEP_1)
	v_mul_f32_e32 v40, v37, v36
	v_fma_f32 v41, v36, v37, -v40
	s_delay_alu instid0(VALU_DEP_1) | instskip(NEXT) | instid1(VALU_DEP_1)
	v_fmac_f32_e32 v41, v36, v28
	v_add_f32_e32 v42, v40, v41
	s_delay_alu instid0(VALU_DEP_1) | instskip(NEXT) | instid1(VALU_DEP_1)
	v_dual_sub_f32 v43, v32, v42 :: v_dual_sub_f32 v39, v39, v32
	v_sub_f32_e32 v32, v32, v43
	s_delay_alu instid0(VALU_DEP_2) | instskip(NEXT) | instid1(VALU_DEP_2)
	v_add_f32_e32 v30, v30, v39
	v_dual_sub_f32 v39, v42, v40 :: v_dual_sub_f32 v32, v32, v42
	s_delay_alu instid0(VALU_DEP_1) | instskip(NEXT) | instid1(VALU_DEP_1)
	v_dual_sub_f32 v39, v39, v41 :: v_dual_add_f32 v30, v30, v32
	v_dual_add_f32 v30, v39, v30 :: v_dual_add_f32 v32, v38, v36
	s_delay_alu instid0(VALU_DEP_1) | instskip(NEXT) | instid1(VALU_DEP_2)
	v_add_f32_e32 v30, v43, v30
	v_sub_f32_e32 v39, v32, v38
	s_delay_alu instid0(VALU_DEP_1) | instskip(NEXT) | instid1(VALU_DEP_1)
	v_dual_mul_f32 v30, v38, v30 :: v_dual_sub_f32 v36, v36, v39
	v_add_f32_e32 v30, v36, v30
	s_delay_alu instid0(VALU_DEP_1) | instskip(NEXT) | instid1(VALU_DEP_1)
	v_add_f32_e32 v36, v32, v30
	v_sub_f32_e32 v32, v36, v32
	s_delay_alu instid0(VALU_DEP_1) | instskip(SKIP_1) | instid1(VALU_DEP_2)
	v_sub_f32_e32 v30, v30, v32
	v_ldexp_f32 v38, v36, -2
	v_ldexp_f32 v30, v30, -2
	s_delay_alu instid0(VALU_DEP_2) | instskip(NEXT) | instid1(VALU_DEP_2)
	v_add_f32_e32 v36, v37, v38
	v_add_f32_e32 v28, v28, v30
	s_delay_alu instid0(VALU_DEP_2) | instskip(NEXT) | instid1(VALU_DEP_1)
	v_sub_f32_e32 v32, v36, v37
	v_sub_f32_e32 v32, v38, v32
	s_delay_alu instid0(VALU_DEP_1) | instskip(NEXT) | instid1(VALU_DEP_1)
	v_add_f32_e32 v28, v28, v32
	v_add_f32_e32 v28, v36, v28
	v_add_nc_u64_e32 v[36:37], s[4:5], v[18:19]
	s_delay_alu instid0(VALU_DEP_2) | instskip(NEXT) | instid1(VALU_DEP_1)
	v_cndmask_b32_e64 v28, 0x7f800000, v28, s0
	v_cvt_f16_f32_e32 v28, v28
	global_store_b16 v[36:37], v28, off
	s_wait_xcnt 0x0
	s_or_b32 exec_lo, exec_lo, s1
	s_and_saveexec_b32 s0, vcc_lo
	s_cbranch_execz .LBB83_8
.LBB83_24:                              ;   in Loop: Header=BB83_9 Depth=1
	v_add_f32_e32 v28, 0xbf317218, v34
	v_cmp_nlt_f32_e32 vcc_lo, 0x42b2d4fc, v34
	s_delay_alu instid0(VALU_DEP_2) | instskip(NEXT) | instid1(VALU_DEP_1)
	v_sub_f32_e32 v30, v28, v34
	v_sub_f32_e32 v32, v30, v28
	s_delay_alu instid0(VALU_DEP_1) | instskip(SKIP_1) | instid1(VALU_DEP_1)
	v_add_f32_e32 v32, v34, v32
	v_add_f32_e32 v30, 0x3f317218, v30
	v_sub_f32_e32 v30, v32, v30
	s_delay_alu instid0(VALU_DEP_1) | instskip(NEXT) | instid1(VALU_DEP_1)
	v_add_f32_e32 v30, 0x3102e308, v30
	v_add_f32_e32 v32, v28, v30
	s_delay_alu instid0(VALU_DEP_1) | instskip(NEXT) | instid1(VALU_DEP_1)
	v_dual_mul_f32 v35, 0x3fb8aa3b, v32 :: v_dual_sub_f32 v28, v28, v32
	v_rndne_f32_e32 v35, v35
	s_delay_alu instid0(VALU_DEP_2) | instskip(NEXT) | instid1(VALU_DEP_2)
	v_add_f32_e32 v28, v30, v28
	v_mul_f32_e32 v30, 0x35bfbc00, v35
	v_fmac_f32_e32 v32, 0xbf317200, v35
	s_delay_alu instid0(VALU_DEP_1) | instskip(NEXT) | instid1(VALU_DEP_1)
	v_add_f32_e32 v36, v28, v32
	v_sub_f32_e32 v37, v36, v30
	v_sub_f32_e32 v32, v32, v36
	s_delay_alu instid0(VALU_DEP_1) | instskip(NEXT) | instid1(VALU_DEP_3)
	v_add_f32_e32 v28, v28, v32
	v_sub_f32_e32 v36, v36, v37
	s_delay_alu instid0(VALU_DEP_1) | instskip(NEXT) | instid1(VALU_DEP_1)
	v_sub_f32_e32 v30, v36, v30
	v_add_f32_e32 v28, v28, v30
	v_mul_f32_e32 v30, 0x2ea39ef3, v35
	s_delay_alu instid0(VALU_DEP_2) | instskip(NEXT) | instid1(VALU_DEP_1)
	v_add_f32_e32 v32, v37, v28
	v_dual_sub_f32 v36, v32, v30 :: v_dual_sub_f32 v37, v37, v32
	s_delay_alu instid0(VALU_DEP_1) | instskip(NEXT) | instid1(VALU_DEP_2)
	v_sub_f32_e32 v32, v32, v36
	v_add_f32_e32 v28, v28, v37
	s_delay_alu instid0(VALU_DEP_2) | instskip(NEXT) | instid1(VALU_DEP_1)
	v_sub_f32_e32 v30, v32, v30
	v_add_f32_e32 v28, v28, v30
	s_delay_alu instid0(VALU_DEP_1) | instskip(NEXT) | instid1(VALU_DEP_1)
	v_add_f32_e32 v30, v36, v28
	v_dual_sub_f32 v32, v36, v30 :: v_dual_mul_f32 v36, v30, v30
	s_delay_alu instid0(VALU_DEP_1) | instskip(SKIP_1) | instid1(VALU_DEP_2)
	v_add_f32_e32 v28, v28, v32
	v_fmaak_f32 v32, s8, v30, 0x3c091de6
	v_dual_fma_f32 v37, v30, v30, -v36 :: v_dual_add_f32 v38, v28, v28
	s_delay_alu instid0(VALU_DEP_1) | instskip(NEXT) | instid1(VALU_DEP_1)
	v_dual_fmaak_f32 v32, v30, v32, 0x3d2aadcc :: v_dual_fmac_f32 v37, v30, v38
	v_fmaak_f32 v32, v30, v32, 0x3e2aaa47
	s_delay_alu instid0(VALU_DEP_2) | instskip(NEXT) | instid1(VALU_DEP_2)
	v_add_f32_e32 v38, v36, v37
	v_fmaak_f32 v32, v30, v32, 0x3efffffc
	s_delay_alu instid0(VALU_DEP_1) | instskip(NEXT) | instid1(VALU_DEP_1)
	v_dual_sub_f32 v36, v38, v36 :: v_dual_mul_f32 v39, v32, v38
	v_sub_f32_e32 v36, v37, v36
	s_delay_alu instid0(VALU_DEP_2) | instskip(NEXT) | instid1(VALU_DEP_1)
	v_fma_f32 v37, v38, v32, -v39
	v_fmac_f32_e32 v37, v36, v32
	s_delay_alu instid0(VALU_DEP_1) | instskip(NEXT) | instid1(VALU_DEP_1)
	v_add_f32_e32 v32, v39, v37
	v_dual_add_f32 v36, v30, v32 :: v_dual_sub_f32 v38, v32, v39
	s_delay_alu instid0(VALU_DEP_1) | instskip(NEXT) | instid1(VALU_DEP_2)
	v_sub_f32_e32 v30, v36, v30
	v_sub_f32_e32 v37, v37, v38
	s_delay_alu instid0(VALU_DEP_2) | instskip(NEXT) | instid1(VALU_DEP_2)
	v_sub_f32_e32 v30, v32, v30
	v_add_f32_e32 v28, v28, v37
	s_delay_alu instid0(VALU_DEP_1) | instskip(NEXT) | instid1(VALU_DEP_1)
	v_add_f32_e32 v28, v28, v30
	v_add_f32_e32 v30, v36, v28
	s_delay_alu instid0(VALU_DEP_1) | instskip(NEXT) | instid1(VALU_DEP_1)
	v_add_f32_e32 v32, 1.0, v30
	v_add_f32_e32 v37, -1.0, v32
	s_delay_alu instid0(VALU_DEP_1) | instskip(NEXT) | instid1(VALU_DEP_1)
	v_dual_sub_f32 v36, v30, v36 :: v_dual_sub_f32 v30, v30, v37
	v_sub_f32_e32 v28, v28, v36
	s_delay_alu instid0(VALU_DEP_1) | instskip(SKIP_1) | instid1(VALU_DEP_2)
	v_add_f32_e32 v28, v28, v30
	v_cvt_i32_f32_e32 v30, v35
	v_add_f32_e32 v35, v32, v28
	s_delay_alu instid0(VALU_DEP_1) | instskip(SKIP_1) | instid1(VALU_DEP_2)
	v_ldexp_f32 v36, v35, v30
	v_sub_f32_e32 v32, v35, v32
	v_rcp_f32_e32 v37, v36
	s_delay_alu instid0(VALU_DEP_1) | instskip(NEXT) | instid1(VALU_DEP_1)
	v_sub_f32_e32 v28, v28, v32
	v_ldexp_f32 v28, v28, v30
	s_delay_alu instid0(TRANS32_DEP_1) | instskip(NEXT) | instid1(VALU_DEP_1)
	v_mul_f32_e32 v32, v36, v37
	v_fma_f32 v30, v37, v36, -v32
	s_delay_alu instid0(VALU_DEP_1) | instskip(NEXT) | instid1(VALU_DEP_1)
	v_fmac_f32_e32 v30, v37, v28
	v_add_f32_e32 v35, v32, v30
	s_delay_alu instid0(VALU_DEP_1) | instskip(NEXT) | instid1(VALU_DEP_1)
	v_sub_f32_e32 v32, v35, v32
	v_dual_sub_f32 v30, v32, v30 :: v_dual_sub_f32 v38, 1.0, v35
	s_delay_alu instid0(VALU_DEP_1) | instskip(NEXT) | instid1(VALU_DEP_1)
	v_sub_f32_e32 v39, 1.0, v38
	v_sub_f32_e32 v32, v39, v35
	s_delay_alu instid0(VALU_DEP_1) | instskip(NEXT) | instid1(VALU_DEP_1)
	v_add_f32_e32 v30, v30, v32
	v_add_f32_e32 v32, v38, v30
	s_delay_alu instid0(VALU_DEP_1) | instskip(NEXT) | instid1(VALU_DEP_1)
	v_mul_f32_e32 v35, v37, v32
	v_mul_f32_e32 v39, v36, v35
	s_delay_alu instid0(VALU_DEP_1) | instskip(NEXT) | instid1(VALU_DEP_1)
	v_fma_f32 v40, v35, v36, -v39
	v_fmac_f32_e32 v40, v35, v28
	s_delay_alu instid0(VALU_DEP_1) | instskip(NEXT) | instid1(VALU_DEP_1)
	v_add_f32_e32 v41, v39, v40
	v_dual_sub_f32 v38, v38, v32 :: v_dual_sub_f32 v42, v32, v41
	s_delay_alu instid0(VALU_DEP_1) | instskip(NEXT) | instid1(VALU_DEP_1)
	v_sub_f32_e32 v32, v32, v42
	v_dual_sub_f32 v32, v32, v41 :: v_dual_add_f32 v30, v30, v38
	s_delay_alu instid0(VALU_DEP_1) | instskip(NEXT) | instid1(VALU_DEP_1)
	v_dual_sub_f32 v38, v41, v39 :: v_dual_add_f32 v30, v30, v32
	v_dual_sub_f32 v38, v38, v40 :: v_dual_add_f32 v32, v37, v35
	s_delay_alu instid0(VALU_DEP_1) | instskip(NEXT) | instid1(VALU_DEP_1)
	v_dual_add_f32 v30, v38, v30 :: v_dual_sub_f32 v38, v32, v37
	v_add_f32_e32 v30, v42, v30
	s_delay_alu instid0(VALU_DEP_2) | instskip(NEXT) | instid1(VALU_DEP_2)
	v_sub_f32_e32 v35, v35, v38
	v_mul_f32_e32 v30, v37, v30
	s_delay_alu instid0(VALU_DEP_1) | instskip(NEXT) | instid1(VALU_DEP_1)
	v_add_f32_e32 v30, v35, v30
	v_add_f32_e32 v35, v32, v30
	s_delay_alu instid0(VALU_DEP_1) | instskip(NEXT) | instid1(VALU_DEP_1)
	v_sub_f32_e32 v32, v35, v32
	v_sub_f32_e32 v30, v30, v32
	v_ldexp_f32 v37, v35, -2
	s_delay_alu instid0(VALU_DEP_2) | instskip(NEXT) | instid1(VALU_DEP_2)
	v_ldexp_f32 v30, v30, -2
	v_add_f32_e32 v35, v36, v37
	s_delay_alu instid0(VALU_DEP_1) | instskip(NEXT) | instid1(VALU_DEP_1)
	v_dual_add_f32 v28, v28, v30 :: v_dual_sub_f32 v32, v35, v36
	v_sub_f32_e32 v32, v37, v32
	s_delay_alu instid0(VALU_DEP_1) | instskip(NEXT) | instid1(VALU_DEP_1)
	v_add_f32_e32 v28, v28, v32
	v_add_f32_e32 v28, v35, v28
	v_add_nc_u64_e32 v[34:35], s[4:5], v[22:23]
	s_delay_alu instid0(VALU_DEP_2) | instskip(NEXT) | instid1(VALU_DEP_1)
	v_cndmask_b32_e32 v28, 0x7f800000, v28, vcc_lo
	v_cvt_f16_f32_e32 v28, v28
	global_store_b16 v[34:35], v28, off
	s_branch .LBB83_8
.LBB83_25:
	s_endpgm
	.section	.rodata,"a",@progbits
	.p2align	6, 0x0
	.amdhsa_kernel _ZN2at6native12_GLOBAL__N_125multi_tensor_apply_kernelINS1_18TensorListMetadataILi2EEENS1_14UnaryOpFunctorIN3c104HalfELi2ELi1ELi1EEEJNS0_4CoshIfEEEEEvT_T0_DpT1_
		.amdhsa_group_segment_fixed_size 0
		.amdhsa_private_segment_fixed_size 0
		.amdhsa_kernarg_size 3408
		.amdhsa_user_sgpr_count 2
		.amdhsa_user_sgpr_dispatch_ptr 0
		.amdhsa_user_sgpr_queue_ptr 0
		.amdhsa_user_sgpr_kernarg_segment_ptr 1
		.amdhsa_user_sgpr_dispatch_id 0
		.amdhsa_user_sgpr_kernarg_preload_length 0
		.amdhsa_user_sgpr_kernarg_preload_offset 0
		.amdhsa_user_sgpr_private_segment_size 0
		.amdhsa_wavefront_size32 1
		.amdhsa_uses_dynamic_stack 0
		.amdhsa_enable_private_segment 0
		.amdhsa_system_sgpr_workgroup_id_x 1
		.amdhsa_system_sgpr_workgroup_id_y 0
		.amdhsa_system_sgpr_workgroup_id_z 0
		.amdhsa_system_sgpr_workgroup_info 0
		.amdhsa_system_vgpr_workitem_id 0
		.amdhsa_next_free_vgpr 52
		.amdhsa_next_free_sgpr 20
		.amdhsa_named_barrier_count 0
		.amdhsa_reserve_vcc 1
		.amdhsa_float_round_mode_32 0
		.amdhsa_float_round_mode_16_64 0
		.amdhsa_float_denorm_mode_32 3
		.amdhsa_float_denorm_mode_16_64 3
		.amdhsa_fp16_overflow 0
		.amdhsa_memory_ordered 1
		.amdhsa_forward_progress 1
		.amdhsa_inst_pref_size 56
		.amdhsa_round_robin_scheduling 0
		.amdhsa_exception_fp_ieee_invalid_op 0
		.amdhsa_exception_fp_denorm_src 0
		.amdhsa_exception_fp_ieee_div_zero 0
		.amdhsa_exception_fp_ieee_overflow 0
		.amdhsa_exception_fp_ieee_underflow 0
		.amdhsa_exception_fp_ieee_inexact 0
		.amdhsa_exception_int_div_zero 0
	.end_amdhsa_kernel
	.section	.text._ZN2at6native12_GLOBAL__N_125multi_tensor_apply_kernelINS1_18TensorListMetadataILi2EEENS1_14UnaryOpFunctorIN3c104HalfELi2ELi1ELi1EEEJNS0_4CoshIfEEEEEvT_T0_DpT1_,"axG",@progbits,_ZN2at6native12_GLOBAL__N_125multi_tensor_apply_kernelINS1_18TensorListMetadataILi2EEENS1_14UnaryOpFunctorIN3c104HalfELi2ELi1ELi1EEEJNS0_4CoshIfEEEEEvT_T0_DpT1_,comdat
.Lfunc_end83:
	.size	_ZN2at6native12_GLOBAL__N_125multi_tensor_apply_kernelINS1_18TensorListMetadataILi2EEENS1_14UnaryOpFunctorIN3c104HalfELi2ELi1ELi1EEEJNS0_4CoshIfEEEEEvT_T0_DpT1_, .Lfunc_end83-_ZN2at6native12_GLOBAL__N_125multi_tensor_apply_kernelINS1_18TensorListMetadataILi2EEENS1_14UnaryOpFunctorIN3c104HalfELi2ELi1ELi1EEEJNS0_4CoshIfEEEEEvT_T0_DpT1_
                                        ; -- End function
	.set _ZN2at6native12_GLOBAL__N_125multi_tensor_apply_kernelINS1_18TensorListMetadataILi2EEENS1_14UnaryOpFunctorIN3c104HalfELi2ELi1ELi1EEEJNS0_4CoshIfEEEEEvT_T0_DpT1_.num_vgpr, 52
	.set _ZN2at6native12_GLOBAL__N_125multi_tensor_apply_kernelINS1_18TensorListMetadataILi2EEENS1_14UnaryOpFunctorIN3c104HalfELi2ELi1ELi1EEEJNS0_4CoshIfEEEEEvT_T0_DpT1_.num_agpr, 0
	.set _ZN2at6native12_GLOBAL__N_125multi_tensor_apply_kernelINS1_18TensorListMetadataILi2EEENS1_14UnaryOpFunctorIN3c104HalfELi2ELi1ELi1EEEJNS0_4CoshIfEEEEEvT_T0_DpT1_.numbered_sgpr, 20
	.set _ZN2at6native12_GLOBAL__N_125multi_tensor_apply_kernelINS1_18TensorListMetadataILi2EEENS1_14UnaryOpFunctorIN3c104HalfELi2ELi1ELi1EEEJNS0_4CoshIfEEEEEvT_T0_DpT1_.num_named_barrier, 0
	.set _ZN2at6native12_GLOBAL__N_125multi_tensor_apply_kernelINS1_18TensorListMetadataILi2EEENS1_14UnaryOpFunctorIN3c104HalfELi2ELi1ELi1EEEJNS0_4CoshIfEEEEEvT_T0_DpT1_.private_seg_size, 0
	.set _ZN2at6native12_GLOBAL__N_125multi_tensor_apply_kernelINS1_18TensorListMetadataILi2EEENS1_14UnaryOpFunctorIN3c104HalfELi2ELi1ELi1EEEJNS0_4CoshIfEEEEEvT_T0_DpT1_.uses_vcc, 1
	.set _ZN2at6native12_GLOBAL__N_125multi_tensor_apply_kernelINS1_18TensorListMetadataILi2EEENS1_14UnaryOpFunctorIN3c104HalfELi2ELi1ELi1EEEJNS0_4CoshIfEEEEEvT_T0_DpT1_.uses_flat_scratch, 0
	.set _ZN2at6native12_GLOBAL__N_125multi_tensor_apply_kernelINS1_18TensorListMetadataILi2EEENS1_14UnaryOpFunctorIN3c104HalfELi2ELi1ELi1EEEJNS0_4CoshIfEEEEEvT_T0_DpT1_.has_dyn_sized_stack, 0
	.set _ZN2at6native12_GLOBAL__N_125multi_tensor_apply_kernelINS1_18TensorListMetadataILi2EEENS1_14UnaryOpFunctorIN3c104HalfELi2ELi1ELi1EEEJNS0_4CoshIfEEEEEvT_T0_DpT1_.has_recursion, 0
	.set _ZN2at6native12_GLOBAL__N_125multi_tensor_apply_kernelINS1_18TensorListMetadataILi2EEENS1_14UnaryOpFunctorIN3c104HalfELi2ELi1ELi1EEEJNS0_4CoshIfEEEEEvT_T0_DpT1_.has_indirect_call, 0
	.section	.AMDGPU.csdata,"",@progbits
; Kernel info:
; codeLenInByte = 7104
; TotalNumSgprs: 22
; NumVgprs: 52
; ScratchSize: 0
; MemoryBound: 0
; FloatMode: 240
; IeeeMode: 1
; LDSByteSize: 0 bytes/workgroup (compile time only)
; SGPRBlocks: 0
; VGPRBlocks: 3
; NumSGPRsForWavesPerEU: 22
; NumVGPRsForWavesPerEU: 52
; NamedBarCnt: 0
; Occupancy: 16
; WaveLimiterHint : 0
; COMPUTE_PGM_RSRC2:SCRATCH_EN: 0
; COMPUTE_PGM_RSRC2:USER_SGPR: 2
; COMPUTE_PGM_RSRC2:TRAP_HANDLER: 0
; COMPUTE_PGM_RSRC2:TGID_X_EN: 1
; COMPUTE_PGM_RSRC2:TGID_Y_EN: 0
; COMPUTE_PGM_RSRC2:TGID_Z_EN: 0
; COMPUTE_PGM_RSRC2:TIDIG_COMP_CNT: 0
	.section	.text._ZN2at6native12_GLOBAL__N_125multi_tensor_apply_kernelINS1_18TensorListMetadataILi2EEENS1_14UnaryOpFunctorIN3c108BFloat16ELi2ELi1ELi1EEEJNS0_4CoshIfEEEEEvT_T0_DpT1_,"axG",@progbits,_ZN2at6native12_GLOBAL__N_125multi_tensor_apply_kernelINS1_18TensorListMetadataILi2EEENS1_14UnaryOpFunctorIN3c108BFloat16ELi2ELi1ELi1EEEJNS0_4CoshIfEEEEEvT_T0_DpT1_,comdat
	.globl	_ZN2at6native12_GLOBAL__N_125multi_tensor_apply_kernelINS1_18TensorListMetadataILi2EEENS1_14UnaryOpFunctorIN3c108BFloat16ELi2ELi1ELi1EEEJNS0_4CoshIfEEEEEvT_T0_DpT1_ ; -- Begin function _ZN2at6native12_GLOBAL__N_125multi_tensor_apply_kernelINS1_18TensorListMetadataILi2EEENS1_14UnaryOpFunctorIN3c108BFloat16ELi2ELi1ELi1EEEJNS0_4CoshIfEEEEEvT_T0_DpT1_
	.p2align	8
	.type	_ZN2at6native12_GLOBAL__N_125multi_tensor_apply_kernelINS1_18TensorListMetadataILi2EEENS1_14UnaryOpFunctorIN3c108BFloat16ELi2ELi1ELi1EEEJNS0_4CoshIfEEEEEvT_T0_DpT1_,@function
_ZN2at6native12_GLOBAL__N_125multi_tensor_apply_kernelINS1_18TensorListMetadataILi2EEENS1_14UnaryOpFunctorIN3c108BFloat16ELi2ELi1ELi1EEEJNS0_4CoshIfEEEEEvT_T0_DpT1_: ; @_ZN2at6native12_GLOBAL__N_125multi_tensor_apply_kernelINS1_18TensorListMetadataILi2EEENS1_14UnaryOpFunctorIN3c108BFloat16ELi2ELi1ELi1EEEJNS0_4CoshIfEEEEEvT_T0_DpT1_
; %bb.0:
	s_bfe_u32 s2, ttmp6, 0x4000c
	s_and_b32 s3, ttmp6, 15
	s_add_co_i32 s2, s2, 1
	s_getreg_b32 s4, hwreg(HW_REG_IB_STS2, 6, 4)
	s_mul_i32 s2, ttmp9, s2
	s_delay_alu instid0(SALU_CYCLE_1)
	s_add_co_i32 s3, s3, s2
	s_cmp_eq_u32 s4, 0
	s_cselect_b32 s2, ttmp9, s3
	s_mov_b32 s3, 0
	s_load_u8 s11, s[0:1], s2 offset:0x600
	s_add_nc_u64 s[4:5], s[0:1], s[2:3]
	s_mul_u64 s[6:7], s[2:3], 3
	s_mov_b32 s15, s3
	s_add_nc_u64 s[4:5], s[4:5], s[6:7]
	s_load_b32 s10, s[4:5], 0x740
	s_wait_kmcnt 0x0
	s_clause 0x2
	s_load_b64 s[6:7], s[0:1], s11 offset:0x0 scale_offset
	s_load_b64 s[8:9], s[0:1], s11 offset:0x200 scale_offset
	;; [unrolled: 1-line block ×3, first 2 shown]
	s_wait_xcnt 0x0
	s_ashr_i32 s11, s10, 31
	s_delay_alu instid0(SALU_CYCLE_1)
	s_lshl_b64 s[4:5], s[10:11], 17
	s_wait_kmcnt 0x0
	s_and_b64 s[18:19], s[8:9], 7
	s_add_nc_u64 s[16:17], s[6:7], s[4:5]
	s_and_b32 s14, s12, 3
	s_and_b32 s2, s16, 7
	s_or_b64 s[14:15], s[18:19], s[14:15]
	s_lshl_b64 s[10:11], s[10:11], 16
	s_or_b64 s[2:3], s[14:15], s[2:3]
	s_sub_nc_u64 s[10:11], s[12:13], s[10:11]
	s_cmp_eq_u64 s[2:3], 0
	s_mov_b32 s2, -1
	s_cbranch_scc0 .LBB84_5
; %bb.1:
	v_min_i64 v[2:3], 0x10000, s[10:11]
	v_dual_mov_b32 v13, 0 :: v_dual_lshlrev_b32 v12, 2, v0
	s_mov_b32 s3, exec_lo
	s_delay_alu instid0(VALU_DEP_1)
	v_cmpx_lt_i64_e64 v[12:13], v[2:3]
	s_cbranch_execz .LBB84_4
; %bb.2:
	s_load_b32 s2, s[0:1], 0xc5c
	v_dual_mov_b32 v1, v13 :: v_dual_lshlrev_b32 v12, 3, v0
	s_mov_b32 s15, -1.0
	v_mov_b32_e32 v5, 0x3f317218
	v_mov_b64_e32 v[10:11], s[14:15]
	s_delay_alu instid0(VALU_DEP_3)
	v_mov_b64_e32 v[14:15], v[0:1]
	v_add_nc_u64_e32 v[12:13], s[4:5], v[12:13]
	v_dual_mov_b32 v7, -1.0 :: v_dual_mov_b32 v9, 1.0
	s_mov_b32 s13, 0
	s_mov_b32 s16, 0x3ab42872
	;; [unrolled: 1-line block ×4, first 2 shown]
	s_wait_kmcnt 0x0
	s_and_b32 s12, s2, 0xffff
	s_delay_alu instid0(SALU_CYCLE_1)
	s_lshl_b32 s14, s12, 3
.LBB84_3:                               ; =>This Inner Loop Header: Depth=1
	v_add_nc_u64_e32 v[16:17], s[6:7], v[12:13]
	v_add_nc_u64_e32 v[14:15], s[12:13], v[14:15]
	global_load_b64 v[16:17], v[16:17], off
	v_lshlrev_b64_e32 v[18:19], 2, v[14:15]
	s_wait_loadcnt 0x0
	v_and_b32_e32 v42, 0xffff0000, v16
	v_alignbit_b32 v6, v17, v16, 16
	v_and_b32_e32 v43, 0xffff0000, v17
	s_delay_alu instid0(VALU_DEP_3) | instskip(NEXT) | instid1(VALU_DEP_3)
	v_add_f32_e64 v26, 0xbf317218, |v42|
	v_and_b32_e32 v44, 0xffff0000, v6
	s_delay_alu instid0(VALU_DEP_3) | instskip(SKIP_1) | instid1(VALU_DEP_4)
	v_add_f32_e64 v6, 0xbf317218, |v43|
	v_cmp_nlt_f32_e64 vcc_lo, 0x42b2d4fc, |v42|
	v_sub_f32_e64 v21, v26, |v42|
	v_lshlrev_b32_e32 v1, 16, v16
	v_add_f32_e64 v27, 0xbf317218, |v44|
	v_sub_f32_e64 v23, v6, |v43|
	s_delay_alu instid0(VALU_DEP_4) | instskip(NEXT) | instid1(VALU_DEP_4)
	v_sub_f32_e32 v20, v21, v26
	v_add_f32_e64 v8, 0xbf317218, |v1|
	v_and_b32_e32 v4, 0x7fffffff, v1
	v_sub_f32_e64 v25, v27, |v44|
	v_cmp_nlt_f32_e64 s2, 0x42b2d4fc, |v1|
	v_sub_f32_e32 v22, v23, v6
	s_wait_xcnt 0x0
	v_sub_f32_e64 v17, v8, |v1|
	s_delay_alu instid0(VALU_DEP_1) | instskip(NEXT) | instid1(VALU_DEP_1)
	v_sub_f32_e32 v16, v17, v8
	v_pk_add_f32 v[16:17], v[4:5], v[16:17]
	v_and_b32_e32 v4, 0x7fffffff, v42
	s_delay_alu instid0(VALU_DEP_2) | instskip(NEXT) | instid1(VALU_DEP_2)
	v_dual_sub_f32 v24, v25, v27 :: v_dual_sub_f32 v28, v16, v17
	v_pk_add_f32 v[16:17], v[4:5], v[20:21]
	v_and_b32_e32 v4, 0x7fffffff, v44
	s_delay_alu instid0(VALU_DEP_2) | instskip(NEXT) | instid1(VALU_DEP_2)
	v_dual_add_f32 v20, 0x3102e308, v28 :: v_dual_sub_f32 v21, v16, v17
	v_pk_add_f32 v[16:17], v[4:5], v[24:25]
	v_and_b32_e32 v4, 0x7fffffff, v43
	s_delay_alu instid0(VALU_DEP_3) | instskip(NEXT) | instid1(VALU_DEP_3)
	v_dual_add_f32 v24, v8, v20 :: v_dual_add_f32 v21, 0x3102e308, v21
	v_sub_f32_e32 v25, v16, v17
	s_delay_alu instid0(VALU_DEP_3) | instskip(NEXT) | instid1(VALU_DEP_3)
	v_pk_add_f32 v[16:17], v[4:5], v[22:23]
	v_dual_sub_f32 v4, v8, v24 :: v_dual_add_f32 v23, v26, v21
	v_mul_f32_e32 v8, 0x3fb8aa3b, v24
	s_delay_alu instid0(VALU_DEP_3) | instskip(NEXT) | instid1(VALU_DEP_3)
	v_sub_f32_e32 v16, v16, v17
	v_dual_add_f32 v4, v20, v4 :: v_dual_sub_f32 v20, v26, v23
	s_delay_alu instid0(VALU_DEP_3) | instskip(NEXT) | instid1(VALU_DEP_3)
	v_rndne_f32_e32 v8, v8
	v_add_f32_e32 v16, 0x3102e308, v16
	v_add_f32_e32 v22, 0x3102e308, v25
	v_mul_f32_e32 v25, 0x3fb8aa3b, v23
	s_delay_alu instid0(VALU_DEP_4) | instskip(NEXT) | instid1(VALU_DEP_3)
	v_mul_f32_e32 v17, 0x2ea39ef3, v8
	v_dual_add_f32 v31, v6, v16 :: v_dual_add_f32 v28, v27, v22
	s_delay_alu instid0(VALU_DEP_3) | instskip(SKIP_1) | instid1(VALU_DEP_3)
	v_rndne_f32_e32 v25, v25
	v_fmac_f32_e32 v24, 0xbf317200, v8
	v_dual_add_f32 v20, v21, v20 :: v_dual_sub_f32 v6, v6, v31
	s_delay_alu instid0(VALU_DEP_4) | instskip(NEXT) | instid1(VALU_DEP_4)
	v_dual_sub_f32 v26, v27, v28 :: v_dual_mul_f32 v27, 0x3fb8aa3b, v28
	v_fmac_f32_e32 v23, 0xbf317200, v25
	s_delay_alu instid0(VALU_DEP_4) | instskip(NEXT) | instid1(VALU_DEP_3)
	v_dual_add_f32 v29, v4, v24 :: v_dual_mul_f32 v32, 0x35bfbc00, v25
	v_add_f32_e32 v33, v22, v26
	s_delay_alu instid0(VALU_DEP_4) | instskip(SKIP_3) | instid1(VALU_DEP_4)
	v_rndne_f32_e32 v26, v27
	v_mul_f32_e32 v30, 0x35bfbc00, v8
	v_mul_f32_e32 v27, 0x3fb8aa3b, v31
	v_dual_mul_f32 v21, 0x2ea39ef3, v25 :: v_dual_add_f32 v34, v20, v23
	v_dual_mul_f32 v35, 0x35bfbc00, v26 :: v_dual_sub_f32 v24, v24, v29
	s_delay_alu instid0(VALU_DEP_4)
	v_sub_f32_e32 v22, v29, v30
	v_add_f32_e32 v6, v16, v6
	v_rndne_f32_e32 v16, v27
	v_cvt_i32_f32_e32 v36, v25
	v_fmac_f32_e32 v28, 0xbf317200, v26
	v_mul_f32_e32 v25, 0x2ea39ef3, v26
	v_cvt_i32_f32_e32 v45, v26
	v_dual_add_f32 v4, v4, v24 :: v_dual_sub_f32 v24, v29, v22
	v_sub_f32_e32 v26, v34, v32
	v_fmac_f32_e32 v31, 0xbf317200, v16
	v_dual_sub_f32 v23, v23, v34 :: v_dual_add_f32 v27, v33, v28
	v_mul_f32_e32 v37, 0x35bfbc00, v16
	v_mul_f32_e32 v29, 0x2ea39ef3, v16
	v_cvt_i32_f32_e32 v46, v16
	v_sub_f32_e32 v16, v24, v30
	v_dual_add_f32 v20, v20, v23 :: v_dual_sub_f32 v23, v34, v26
	v_sub_f32_e32 v24, v28, v27
	s_delay_alu instid0(VALU_DEP_3) | instskip(NEXT) | instid1(VALU_DEP_3)
	v_dual_sub_f32 v30, v27, v35 :: v_dual_add_f32 v4, v4, v16
	v_dual_add_f32 v28, v6, v31 :: v_dual_sub_f32 v16, v23, v32
	s_delay_alu instid0(VALU_DEP_2) | instskip(NEXT) | instid1(VALU_DEP_2)
	v_dual_add_f32 v24, v33, v24 :: v_dual_sub_f32 v27, v27, v30
	v_dual_add_f32 v23, v22, v4 :: v_dual_sub_f32 v32, v28, v37
	v_sub_f32_e32 v31, v31, v28
	s_delay_alu instid0(VALU_DEP_3) | instskip(NEXT) | instid1(VALU_DEP_3)
	v_dual_add_f32 v38, v20, v16 :: v_dual_sub_f32 v20, v27, v35
	v_dual_mov_b32 v16, v23 :: v_dual_sub_f32 v28, v28, v32
	s_delay_alu instid0(VALU_DEP_3) | instskip(NEXT) | instid1(VALU_DEP_3)
	v_add_f32_e32 v6, v6, v31
	v_dual_add_f32 v27, v26, v38 :: v_dual_add_f32 v39, v24, v20
	s_delay_alu instid0(VALU_DEP_3) | instskip(NEXT) | instid1(VALU_DEP_4)
	v_pk_add_f32 v[34:35], v[22:23], v[16:17] neg_lo:[0,1] neg_hi:[0,1]
	v_sub_f32_e32 v24, v28, v37
	v_cvt_i32_f32_e32 v8, v8
	s_delay_alu instid0(VALU_DEP_4) | instskip(NEXT) | instid1(VALU_DEP_3)
	v_mov_b32_e32 v20, v27
	v_dual_sub_f32 v16, v23, v35 :: v_dual_add_f32 v6, v6, v24
	v_add_f32_e32 v31, v30, v39
	s_delay_alu instid0(VALU_DEP_3) | instskip(SKIP_1) | instid1(VALU_DEP_4)
	v_pk_add_f32 v[22:23], v[26:27], v[20:21] neg_lo:[0,1] neg_hi:[0,1]
	v_add_f32_e32 v4, v4, v34
	v_sub_f32_e32 v20, v16, v17
	s_delay_alu instid0(VALU_DEP_4) | instskip(NEXT) | instid1(VALU_DEP_4)
	v_dual_add_f32 v33, v32, v6 :: v_dual_mov_b32 v24, v31
	v_dual_sub_f32 v26, v27, v23 :: v_dual_add_f32 v22, v38, v22
	s_delay_alu instid0(VALU_DEP_2) | instskip(NEXT) | instid1(VALU_DEP_3)
	v_dual_add_f32 v4, v4, v20 :: v_dual_mov_b32 v28, v33
	v_pk_add_f32 v[16:17], v[30:31], v[24:25] neg_lo:[0,1] neg_hi:[0,1]
	s_delay_alu instid0(VALU_DEP_3) | instskip(NEXT) | instid1(VALU_DEP_3)
	v_sub_f32_e32 v24, v26, v21
	v_pk_add_f32 v[20:21], v[32:33], v[28:29] neg_lo:[0,1] neg_hi:[0,1]
	s_delay_alu instid0(VALU_DEP_2) | instskip(SKIP_1) | instid1(VALU_DEP_2)
	v_dual_sub_f32 v26, v31, v17 :: v_dual_add_f32 v22, v22, v24
	v_add_f32_e32 v27, v35, v4
	v_dual_add_f32 v16, v39, v16 :: v_dual_sub_f32 v24, v26, v25
	s_delay_alu instid0(VALU_DEP_4) | instskip(NEXT) | instid1(VALU_DEP_3)
	v_dual_sub_f32 v25, v33, v21 :: v_dual_add_f32 v6, v6, v20
	v_sub_f32_e32 v26, v35, v27
	v_add_f32_e32 v30, v23, v22
	s_delay_alu instid0(VALU_DEP_4) | instskip(NEXT) | instid1(VALU_DEP_4)
	v_dual_mul_f32 v28, v27, v27 :: v_dual_add_f32 v16, v16, v24
	v_sub_f32_e32 v24, v25, v29
	s_delay_alu instid0(VALU_DEP_3) | instskip(NEXT) | instid1(VALU_DEP_3)
	v_dual_fmaak_f32 v20, s16, v27, 0x3c091de6 :: v_dual_sub_f32 v23, v23, v30
	v_dual_add_f32 v4, v4, v26 :: v_dual_fma_f32 v25, v27, v27, -v28
	s_delay_alu instid0(VALU_DEP_4) | instskip(NEXT) | instid1(VALU_DEP_3)
	v_dual_fmaak_f32 v26, s16, v30, 0x3c091de6 :: v_dual_add_f32 v31, v17, v16
	v_dual_fmaak_f32 v20, v27, v20, 0x3d2aadcc :: v_dual_mul_f32 v29, v30, v30
	v_add_f32_e32 v6, v6, v24
	s_delay_alu instid0(VALU_DEP_4) | instskip(NEXT) | instid1(VALU_DEP_4)
	v_dual_add_f32 v24, v4, v4 :: v_dual_add_f32 v22, v22, v23
	v_dual_fmaak_f32 v26, v30, v26, 0x3d2aadcc :: v_dual_mul_f32 v33, v31, v31
	s_delay_alu instid0(VALU_DEP_2)
	v_dual_fmaak_f32 v32, s16, v31, 0x3c091de6 :: v_dual_fmac_f32 v25, v27, v24
	v_dual_sub_f32 v17, v17, v31 :: v_dual_fmaak_f32 v20, v27, v20, 0x3e2aaa47
	v_add_f32_e32 v37, v21, v6
	v_fma_f32 v23, v30, v30, -v29
	v_fmaak_f32 v24, v30, v26, 0x3e2aaa47
	v_add_f32_e32 v26, v22, v22
	s_delay_alu instid0(VALU_DEP_4) | instskip(SKIP_1) | instid1(VALU_DEP_3)
	v_dual_fmaak_f32 v20, v27, v20, 0x3efffffc :: v_dual_sub_f32 v21, v21, v37
	v_dual_add_f32 v17, v16, v17 :: v_dual_fma_f32 v16, v31, v31, -v33
	v_dual_fmaak_f32 v32, v31, v32, 0x3d2aadcc :: v_dual_fmac_f32 v23, v30, v26
	v_add_f32_e32 v38, v28, v25
	v_mul_f32_e32 v35, v37, v37
	s_delay_alu instid0(VALU_DEP_3) | instskip(NEXT) | instid1(VALU_DEP_4)
	v_dual_add_f32 v39, v6, v21 :: v_dual_fmaak_f32 v26, v31, v32, 0x3e2aaa47
	v_add_f32_e32 v40, v29, v23
	s_delay_alu instid0(VALU_DEP_4) | instskip(NEXT) | instid1(VALU_DEP_4)
	v_dual_add_f32 v32, v17, v17 :: v_dual_sub_f32 v6, v38, v28
	v_dual_fma_f32 v21, v37, v37, -v35 :: v_dual_mul_f32 v28, v20, v38
	s_delay_alu instid0(VALU_DEP_3) | instskip(NEXT) | instid1(VALU_DEP_3)
	v_dual_fmaak_f32 v24, v30, v24, 0x3efffffc :: v_dual_sub_f32 v29, v40, v29
	v_dual_fmac_f32 v16, v31, v32 :: v_dual_sub_f32 v6, v25, v6
	v_fmaak_f32 v34, s16, v37, 0x3c091de6
	s_delay_alu instid0(VALU_DEP_4) | instskip(NEXT) | instid1(VALU_DEP_4)
	v_fma_f32 v25, v38, v20, -v28
	v_mul_f32_e32 v38, v24, v40
	s_delay_alu instid0(VALU_DEP_4) | instskip(NEXT) | instid1(VALU_DEP_3)
	v_dual_add_f32 v41, v33, v16 :: v_dual_fmaak_f32 v26, v31, v26, 0x3efffffc
	v_dual_fmaak_f32 v34, v37, v34, 0x3d2aadcc :: v_dual_fmac_f32 v25, v6, v20
	v_sub_f32_e32 v6, v23, v29
	s_delay_alu instid0(VALU_DEP_3) | instskip(NEXT) | instid1(VALU_DEP_3)
	v_sub_f32_e32 v23, v41, v33
	v_dual_mul_f32 v29, v26, v41 :: v_dual_fmaak_f32 v32, v37, v34, 0x3e2aaa47
	v_add_f32_e32 v34, v39, v39
	s_delay_alu instid0(VALU_DEP_2) | instskip(NEXT) | instid1(VALU_DEP_2)
	v_dual_sub_f32 v16, v16, v23 :: v_dual_fma_f32 v23, v41, v26, -v29
	v_dual_fmac_f32 v21, v37, v34 :: v_dual_fma_f32 v20, v40, v24, -v38
	s_delay_alu instid0(VALU_DEP_2) | instskip(NEXT) | instid1(VALU_DEP_2)
	v_dual_fmaak_f32 v32, v37, v32, 0x3efffffc :: v_dual_fmac_f32 v23, v16, v26
	v_add_f32_e32 v33, v35, v21
	s_delay_alu instid0(VALU_DEP_3) | instskip(NEXT) | instid1(VALU_DEP_2)
	v_dual_add_f32 v34, v28, v25 :: v_dual_fmac_f32 v20, v6, v24
	v_dual_sub_f32 v24, v33, v35 :: v_dual_mul_f32 v35, v32, v33
	s_delay_alu instid0(VALU_DEP_2) | instskip(NEXT) | instid1(VALU_DEP_3)
	v_dual_sub_f32 v28, v34, v28 :: v_dual_add_f32 v6, v27, v34
	v_add_f32_e32 v40, v38, v20
	s_delay_alu instid0(VALU_DEP_3) | instskip(NEXT) | instid1(VALU_DEP_3)
	v_sub_f32_e32 v16, v21, v24
	v_dual_fma_f32 v21, v33, v32, -v35 :: v_dual_sub_f32 v24, v6, v27
	s_delay_alu instid0(VALU_DEP_3) | instskip(NEXT) | instid1(VALU_DEP_2)
	v_dual_sub_f32 v26, v40, v38 :: v_dual_sub_f32 v25, v25, v28
	v_dual_add_f32 v28, v29, v23 :: v_dual_fmac_f32 v21, v16, v32
	s_delay_alu instid0(VALU_DEP_2) | instskip(NEXT) | instid1(VALU_DEP_3)
	v_dual_sub_f32 v20, v20, v26 :: v_dual_sub_f32 v16, v34, v24
	v_add_f32_e32 v4, v4, v25
	s_delay_alu instid0(VALU_DEP_3) | instskip(NEXT) | instid1(VALU_DEP_2)
	v_sub_f32_e32 v24, v28, v29
	v_dual_add_f32 v38, v35, v21 :: v_dual_add_f32 v16, v4, v16
	s_delay_alu instid0(VALU_DEP_4) | instskip(NEXT) | instid1(VALU_DEP_2)
	v_add_f32_e32 v4, v22, v20
	v_dual_sub_f32 v22, v23, v24 :: v_dual_sub_f32 v23, v38, v35
	s_delay_alu instid0(VALU_DEP_1) | instskip(NEXT) | instid1(VALU_DEP_1)
	v_dual_add_f32 v20, v6, v16 :: v_dual_add_f32 v29, v17, v22
	v_dual_sub_f32 v22, v21, v23 :: v_dual_add_f32 v21, 1.0, v20
	s_delay_alu instid0(VALU_DEP_1) | instskip(NEXT) | instid1(VALU_DEP_2)
	v_dual_mov_b32 v17, v20 :: v_dual_add_f32 v39, v39, v22
	v_pk_add_f32 v[24:25], v[20:21], v[10:11]
	v_pk_add_f32 v[22:23], v[20:21], v[6:7] neg_lo:[0,1] neg_hi:[0,1]
	s_delay_alu instid0(VALU_DEP_2) | instskip(NEXT) | instid1(VALU_DEP_1)
	v_dual_add_f32 v6, v30, v40 :: v_dual_mov_b32 v23, v25
	v_pk_add_f32 v[16:17], v[16:17], v[22:23] neg_lo:[0,1] neg_hi:[0,1]
	s_delay_alu instid0(VALU_DEP_1) | instskip(NEXT) | instid1(VALU_DEP_1)
	v_dual_sub_f32 v20, v6, v30 :: v_dual_add_f32 v30, v16, v17
	v_sub_f32_e32 v20, v40, v20
	s_delay_alu instid0(VALU_DEP_1) | instskip(NEXT) | instid1(VALU_DEP_1)
	v_dual_add_f32 v16, v4, v20 :: v_dual_add_f32 v4, v21, v30
	v_add_f32_e32 v22, v6, v16
	s_delay_alu instid0(VALU_DEP_2) | instskip(NEXT) | instid1(VALU_DEP_2)
	v_ldexp_f32 v20, v4, v8
	v_dual_sub_f32 v4, v4, v21 :: v_dual_add_f32 v23, 1.0, v22
	v_mov_b32_e32 v17, v22
	s_delay_alu instid0(VALU_DEP_3) | instskip(NEXT) | instid1(VALU_DEP_2)
	v_rcp_f32_e32 v47, v20
	v_pk_add_f32 v[24:25], v[22:23], v[10:11]
	v_pk_add_f32 v[26:27], v[22:23], v[6:7] neg_lo:[0,1] neg_hi:[0,1]
	v_add_f32_e32 v6, v31, v28
	s_delay_alu instid0(VALU_DEP_3) | instskip(NEXT) | instid1(VALU_DEP_1)
	v_dual_sub_f32 v4, v30, v4 :: v_dual_mov_b32 v27, v25
	v_ldexp_f32 v21, v4, v8
	s_delay_alu instid0(VALU_DEP_2) | instskip(NEXT) | instid1(VALU_DEP_1)
	v_pk_add_f32 v[16:17], v[16:17], v[26:27] neg_lo:[0,1] neg_hi:[0,1]
	v_dual_sub_f32 v24, v6, v31 :: v_dual_add_f32 v30, v16, v17
	s_delay_alu instid0(VALU_DEP_1) | instskip(NEXT) | instid1(VALU_DEP_1)
	v_sub_f32_e32 v4, v28, v24
	v_dual_mul_f32 v22, v20, v47 :: v_dual_add_f32 v16, v29, v4
	s_delay_alu instid0(VALU_DEP_1) | instskip(NEXT) | instid1(VALU_DEP_1)
	v_dual_add_f32 v4, v23, v30 :: v_dual_add_f32 v26, v6, v16
	v_dual_fma_f32 v24, v47, v20, -v22 :: v_dual_sub_f32 v29, v4, v23
	v_ldexp_f32 v28, v4, v36
	s_delay_alu instid0(VALU_DEP_2) | instskip(NEXT) | instid1(VALU_DEP_3)
	v_dual_add_f32 v27, 1.0, v26 :: v_dual_fmac_f32 v24, v47, v21
	v_sub_f32_e32 v4, v30, v29
	s_delay_alu instid0(VALU_DEP_3) | instskip(NEXT) | instid1(VALU_DEP_2)
	v_rcp_f32_e32 v48, v28
	v_pk_add_f32 v[30:31], v[26:27], v[6:7] neg_lo:[0,1] neg_hi:[0,1]
	s_delay_alu instid0(VALU_DEP_3)
	v_add_f32_e32 v8, v22, v24
	v_mov_b32_e32 v17, v26
	v_pk_add_f32 v[32:33], v[26:27], v[10:11]
	v_add_f32_e32 v6, v37, v38
	v_ldexp_f32 v29, v4, v36
	v_dual_sub_f32 v23, 1.0, v8 :: v_dual_mov_b32 v25, v8
	s_delay_alu instid0(VALU_DEP_1) | instskip(SKIP_2) | instid1(VALU_DEP_3)
	v_pk_add_f32 v[34:35], v[8:9], v[22:23] neg_lo:[0,1] neg_hi:[0,1]
	v_dual_mul_f32 v22, v28, v48 :: v_dual_mov_b32 v31, v33
	v_sub_f32_e32 v4, v6, v37
	v_pk_add_f32 v[24:25], v[34:35], v[24:25] neg_lo:[0,1] neg_hi:[0,1]
	s_delay_alu instid0(VALU_DEP_3) | instskip(NEXT) | instid1(VALU_DEP_2)
	v_pk_add_f32 v[16:17], v[16:17], v[30:31] neg_lo:[0,1] neg_hi:[0,1]
	v_dual_sub_f32 v4, v38, v4 :: v_dual_add_f32 v25, v24, v25
	v_fma_f32 v24, v48, v28, -v22
	s_delay_alu instid0(VALU_DEP_2) | instskip(NEXT) | instid1(VALU_DEP_3)
	v_dual_add_f32 v30, v16, v17 :: v_dual_add_f32 v16, v39, v4
	v_add_f32_e32 v31, v23, v25
	s_delay_alu instid0(VALU_DEP_2) | instskip(NEXT) | instid1(VALU_DEP_2)
	v_dual_fmac_f32 v24, v48, v29 :: v_dual_add_f32 v4, v27, v30
	v_dual_add_f32 v26, v6, v16 :: v_dual_mul_f32 v35, v47, v31
	s_delay_alu instid0(VALU_DEP_2) | instskip(NEXT) | instid1(VALU_DEP_2)
	v_dual_sub_f32 v23, v23, v31 :: v_dual_add_f32 v8, v22, v24
	v_dual_sub_f32 v33, v4, v27 :: v_dual_add_f32 v27, 1.0, v26
	v_ldexp_f32 v32, v4, v45
	s_delay_alu instid0(VALU_DEP_4) | instskip(NEXT) | instid1(VALU_DEP_4)
	v_dual_mov_b32 v17, v26 :: v_dual_mul_f32 v34, v20, v35
	v_dual_add_f32 v4, v25, v23 :: v_dual_sub_f32 v23, 1.0, v8
	s_delay_alu instid0(VALU_DEP_4) | instskip(SKIP_1) | instid1(VALU_DEP_4)
	v_pk_add_f32 v[38:39], v[26:27], v[10:11]
	v_dual_add_f32 v49, v47, v35 :: v_dual_mov_b32 v25, v8
	v_dual_sub_f32 v30, v30, v33 :: v_dual_fma_f32 v38, v35, v20, -v34
	s_delay_alu instid0(VALU_DEP_4)
	v_pk_add_f32 v[40:41], v[8:9], v[22:23] neg_lo:[0,1] neg_hi:[0,1]
	v_rcp_f32_e32 v50, v32
	v_pk_add_f32 v[36:37], v[26:27], v[6:7] neg_lo:[0,1] neg_hi:[0,1]
	v_dual_sub_f32 v6, v49, v47 :: v_dual_mov_b32 v37, v39
	v_fmac_f32_e32 v38, v35, v21
	v_pk_add_f32 v[24:25], v[40:41], v[24:25] neg_lo:[0,1] neg_hi:[0,1]
	v_ldexp_f32 v33, v30, v45
	s_delay_alu instid0(VALU_DEP_4) | instskip(SKIP_1) | instid1(VALU_DEP_4)
	v_sub_f32_e32 v6, v35, v6
	v_pk_add_f32 v[16:17], v[16:17], v[36:37] neg_lo:[0,1] neg_hi:[0,1]
	v_dual_add_f32 v30, v34, v38 :: v_dual_add_f32 v25, v24, v25
	v_mul_f32_e32 v22, v32, v50
	s_delay_alu instid0(VALU_DEP_2) | instskip(NEXT) | instid1(VALU_DEP_2)
	v_dual_add_f32 v16, v16, v17 :: v_dual_mov_b32 v39, v30
	v_dual_add_f32 v17, v23, v25 :: v_dual_fma_f32 v24, v50, v32, -v22
	v_sub_f32_e32 v35, v31, v30
	s_delay_alu instid0(VALU_DEP_2) | instskip(SKIP_1) | instid1(VALU_DEP_4)
	v_dual_add_f32 v26, v27, v16 :: v_dual_mul_f32 v37, v48, v17
	v_sub_f32_e32 v23, v23, v17
	v_fmac_f32_e32 v24, v50, v33
	s_delay_alu instid0(VALU_DEP_4) | instskip(NEXT) | instid1(VALU_DEP_4)
	v_pk_add_f32 v[30:31], v[30:31], v[34:35] neg_lo:[0,1] neg_hi:[0,1]
	v_dual_sub_f32 v27, v26, v27 :: v_dual_add_f32 v45, v48, v37
	s_delay_alu instid0(VALU_DEP_3) | instskip(SKIP_1) | instid1(VALU_DEP_4)
	v_dual_mul_f32 v34, v28, v37 :: v_dual_add_f32 v8, v22, v24
	v_ldexp_f32 v26, v26, v46
	v_pk_add_f32 v[30:31], v[30:31], v[38:39] neg_lo:[0,1] neg_hi:[0,1]
	v_add_f32_e32 v40, v25, v23
	s_delay_alu instid0(VALU_DEP_4) | instskip(SKIP_3) | instid1(VALU_DEP_3)
	v_dual_fma_f32 v36, v37, v28, -v34 :: v_dual_mov_b32 v25, v8
	v_sub_f32_e32 v23, 1.0, v8
	v_rcp_f32_e32 v51, v26
	v_sub_f32_e32 v16, v16, v27
	v_dual_add_f32 v4, v4, v31 :: v_dual_fmac_f32 v36, v37, v29
	s_delay_alu instid0(VALU_DEP_3) | instskip(SKIP_1) | instid1(VALU_DEP_4)
	v_pk_add_f32 v[38:39], v[8:9], v[22:23] neg_lo:[0,1] neg_hi:[0,1]
	v_sub_f32_e32 v8, v45, v48
	v_ldexp_f32 v27, v16, v46
	s_delay_alu instid0(TRANS32_DEP_1) | instskip(SKIP_3) | instid1(VALU_DEP_2)
	v_mul_f32_e32 v22, v26, v51
	v_add_f32_e32 v16, v34, v36
	v_pk_add_f32 v[24:25], v[38:39], v[24:25] neg_lo:[0,1] neg_hi:[0,1]
	v_add_f32_e32 v4, v30, v4
	v_dual_sub_f32 v46, v37, v8 :: v_dual_add_f32 v25, v24, v25
	v_fma_f32 v24, v51, v26, -v22
	s_delay_alu instid0(VALU_DEP_3) | instskip(NEXT) | instid1(VALU_DEP_3)
	v_dual_add_f32 v4, v35, v4 :: v_dual_mov_b32 v37, v16
	v_dual_sub_f32 v35, v17, v16 :: v_dual_add_f32 v31, v23, v25
	s_delay_alu instid0(VALU_DEP_2) | instskip(NEXT) | instid1(VALU_DEP_4)
	v_mul_f32_e32 v4, v47, v4
	v_fmac_f32_e32 v24, v51, v27
	s_delay_alu instid0(VALU_DEP_3) | instskip(NEXT) | instid1(VALU_DEP_3)
	v_pk_add_f32 v[16:17], v[16:17], v[34:35] neg_lo:[0,1] neg_hi:[0,1]
	v_add_f32_e32 v4, v6, v4
	v_dual_mul_f32 v6, v50, v31 :: v_dual_sub_f32 v23, v23, v31
	s_delay_alu instid0(VALU_DEP_4) | instskip(NEXT) | instid1(VALU_DEP_4)
	v_add_f32_e32 v8, v22, v24
	v_pk_add_f32 v[16:17], v[16:17], v[36:37] neg_lo:[0,1] neg_hi:[0,1]
	s_delay_alu instid0(VALU_DEP_3) | instskip(NEXT) | instid1(VALU_DEP_3)
	v_dual_add_f32 v30, v49, v4 :: v_dual_mul_f32 v34, v32, v6
	v_dual_add_f32 v47, v25, v23 :: v_dual_sub_f32 v23, 1.0, v8
	v_dual_add_f32 v52, v50, v6 :: v_dual_mov_b32 v25, v8
	s_delay_alu instid0(VALU_DEP_3) | instskip(NEXT) | instid1(VALU_DEP_4)
	v_dual_add_f32 v17, v40, v17 :: v_dual_fma_f32 v38, v6, v32, -v34
	v_sub_f32_e32 v39, v30, v49
	s_delay_alu instid0(VALU_DEP_4) | instskip(NEXT) | instid1(VALU_DEP_4)
	v_pk_add_f32 v[36:37], v[8:9], v[22:23] neg_lo:[0,1] neg_hi:[0,1]
	v_sub_f32_e32 v8, v52, v50
	s_delay_alu instid0(VALU_DEP_4) | instskip(NEXT) | instid1(VALU_DEP_4)
	v_add_f32_e32 v22, v16, v17
	v_dual_fmac_f32 v38, v6, v33 :: v_dual_sub_f32 v4, v4, v39
	s_delay_alu instid0(VALU_DEP_4) | instskip(NEXT) | instid1(VALU_DEP_3)
	v_pk_add_f32 v[16:17], v[36:37], v[24:25] neg_lo:[0,1] neg_hi:[0,1]
	v_dual_sub_f32 v6, v6, v8 :: v_dual_add_f32 v8, v35, v22
	v_ldexp_f32 v40, v30, -2
	s_delay_alu instid0(VALU_DEP_4) | instskip(NEXT) | instid1(VALU_DEP_4)
	v_ldexp_f32 v41, v4, -2
	v_dual_add_f32 v16, v16, v17 :: v_dual_add_f32 v30, v34, v38
	s_delay_alu instid0(VALU_DEP_4) | instskip(NEXT) | instid1(VALU_DEP_3)
	v_mul_f32_e32 v4, v48, v8
	v_pk_add_f32 v[24:25], v[20:21], v[40:41]
	s_delay_alu instid0(VALU_DEP_3) | instskip(NEXT) | instid1(VALU_DEP_3)
	v_dual_add_f32 v17, v23, v16 :: v_dual_mov_b32 v39, v30
	v_dual_sub_f32 v35, v31, v30 :: v_dual_add_f32 v4, v46, v4
	s_delay_alu instid0(VALU_DEP_2) | instskip(SKIP_1) | instid1(VALU_DEP_3)
	v_dual_mov_b32 v21, v24 :: v_dual_mul_f32 v8, v51, v17
	v_sub_f32_e32 v23, v23, v17
	v_pk_add_f32 v[30:31], v[30:31], v[34:35] neg_lo:[0,1] neg_hi:[0,1]
	s_delay_alu instid0(VALU_DEP_4) | instskip(NEXT) | instid1(VALU_DEP_4)
	v_add_f32_e32 v24, v45, v4
	v_mul_f32_e32 v22, v26, v8
	s_delay_alu instid0(VALU_DEP_3) | instskip(SKIP_1) | instid1(VALU_DEP_4)
	v_pk_add_f32 v[30:31], v[30:31], v[38:39] neg_lo:[0,1] neg_hi:[0,1]
	v_dual_add_f32 v38, v16, v23 :: v_dual_add_f32 v39, v51, v8
	v_sub_f32_e32 v16, v24, v45
	s_delay_alu instid0(VALU_DEP_3) | instskip(SKIP_1) | instid1(VALU_DEP_3)
	v_dual_fma_f32 v34, v8, v26, -v22 :: v_dual_add_f32 v23, v47, v31
	v_ldexp_f32 v36, v24, -2
	v_dual_sub_f32 v24, v39, v51 :: v_dual_sub_f32 v4, v4, v16
	s_delay_alu instid0(VALU_DEP_3) | instskip(NEXT) | instid1(VALU_DEP_2)
	v_fmac_f32_e32 v34, v8, v27
	v_dual_add_f32 v23, v30, v23 :: v_dual_sub_f32 v8, v8, v24
	s_delay_alu instid0(VALU_DEP_3) | instskip(NEXT) | instid1(VALU_DEP_1)
	v_ldexp_f32 v37, v4, -2
	v_pk_add_f32 v[30:31], v[28:29], v[36:37]
	s_delay_alu instid0(VALU_DEP_4) | instskip(NEXT) | instid1(VALU_DEP_4)
	v_dual_mov_b32 v29, v20 :: v_dual_add_f32 v16, v22, v34
	v_dual_add_f32 v4, v35, v23 :: v_dual_mov_b32 v37, v40
	s_delay_alu instid0(VALU_DEP_3) | instskip(NEXT) | instid1(VALU_DEP_3)
	v_dual_mov_b32 v20, v30 :: v_dual_mov_b32 v24, v31
	v_sub_f32_e32 v23, v17, v16
	s_delay_alu instid0(VALU_DEP_3) | instskip(NEXT) | instid1(VALU_DEP_3)
	v_dual_mul_f32 v4, v50, v4 :: v_dual_mov_b32 v35, v16
	v_pk_add_f32 v[28:29], v[20:21], v[28:29] neg_lo:[0,1] neg_hi:[0,1]
	s_delay_alu instid0(VALU_DEP_3) | instskip(NEXT) | instid1(VALU_DEP_2)
	v_pk_add_f32 v[16:17], v[16:17], v[22:23] neg_lo:[0,1] neg_hi:[0,1]
	v_pk_add_f32 v[28:29], v[36:37], v[28:29] neg_lo:[0,1] neg_hi:[0,1]
	s_delay_alu instid0(VALU_DEP_2) | instskip(NEXT) | instid1(VALU_DEP_1)
	v_pk_add_f32 v[16:17], v[16:17], v[34:35] neg_lo:[0,1] neg_hi:[0,1]
	v_add_f32_e32 v17, v38, v17
	v_add_f32_e32 v4, v6, v4
	s_delay_alu instid0(VALU_DEP_1) | instskip(NEXT) | instid1(VALU_DEP_1)
	v_add_f32_e32 v6, v52, v4
	v_sub_f32_e32 v30, v6, v52
	v_ldexp_f32 v22, v6, -2
	v_add_f32_e32 v6, v16, v17
	v_pk_add_f32 v[16:17], v[24:25], v[28:29]
	s_delay_alu instid0(VALU_DEP_2) | instskip(SKIP_1) | instid1(VALU_DEP_3)
	v_add_f32_e32 v6, v23, v6
	v_sub_f32_e32 v4, v4, v30
	v_pk_add_f32 v[16:17], v[20:21], v[16:17]
	s_delay_alu instid0(VALU_DEP_3) | instskip(NEXT) | instid1(VALU_DEP_3)
	v_mul_f32_e32 v1, v51, v6
	v_ldexp_f32 v23, v4, -2
	s_delay_alu instid0(VALU_DEP_3) | instskip(NEXT) | instid1(VALU_DEP_4)
	v_cndmask_b32_e64 v4, 0x7f800000, v17, s2
	v_cndmask_b32_e32 v6, 0x7f800000, v16, vcc_lo
	v_cmp_nlt_f32_e64 vcc_lo, 0x42b2d4fc, |v44|
	v_add_f32_e32 v1, v8, v1
	v_pk_add_f32 v[16:17], v[32:33], v[22:23]
	v_cmp_nlt_f32_e64 s2, 0x42b2d4fc, |v43|
	v_bfe_u32 v30, v6, 16, 1
	v_bfe_u32 v8, v4, 16, 1
	s_delay_alu instid0(VALU_DEP_4) | instskip(NEXT) | instid1(VALU_DEP_2)
	v_dual_mov_b32 v21, v16 :: v_dual_add_f32 v16, v39, v1
	v_add3_u32 v8, v4, v8, 0x7fff
	s_delay_alu instid0(VALU_DEP_2) | instskip(SKIP_1) | instid1(VALU_DEP_3)
	v_sub_f32_e32 v20, v16, v39
	v_ldexp_f32 v24, v16, -2
	v_lshrrev_b32_e32 v8, 16, v8
	s_delay_alu instid0(VALU_DEP_3) | instskip(NEXT) | instid1(VALU_DEP_1)
	v_sub_f32_e32 v1, v1, v20
	v_ldexp_f32 v25, v1, -2
	s_delay_alu instid0(VALU_DEP_1) | instskip(SKIP_1) | instid1(VALU_DEP_2)
	v_pk_add_f32 v[28:29], v[26:27], v[24:25]
	v_dual_mov_b32 v27, v32 :: v_dual_mov_b32 v25, v22
	v_dual_mov_b32 v20, v28 :: v_dual_mov_b32 v16, v29
	s_delay_alu instid0(VALU_DEP_1) | instskip(NEXT) | instid1(VALU_DEP_1)
	v_pk_add_f32 v[22:23], v[20:21], v[26:27] neg_lo:[0,1] neg_hi:[0,1]
	v_pk_add_f32 v[22:23], v[24:25], v[22:23] neg_lo:[0,1] neg_hi:[0,1]
	s_delay_alu instid0(VALU_DEP_1) | instskip(NEXT) | instid1(VALU_DEP_1)
	v_pk_add_f32 v[16:17], v[16:17], v[22:23]
	v_pk_add_f32 v[16:17], v[20:21], v[16:17]
	s_delay_alu instid0(VALU_DEP_1) | instskip(NEXT) | instid1(VALU_DEP_2)
	v_cndmask_b32_e64 v1, 0x7f800000, v16, s2
	v_cndmask_b32_e32 v16, 0x7f800000, v17, vcc_lo
	v_add3_u32 v17, v6, v30, 0x7fff
	v_cmp_o_f32_e64 s2, v6, v6
	v_cmp_o_f32_e32 vcc_lo, v4, v4
	v_bfe_u32 v20, v1, 16, 1
	v_bfe_u32 v21, v16, 16, 1
	v_and_b32_e32 v17, 0xffff0000, v17
	v_cndmask_b32_e32 v8, 0x7fc0, v8, vcc_lo
	s_delay_alu instid0(VALU_DEP_4) | instskip(NEXT) | instid1(VALU_DEP_3)
	v_add3_u32 v6, v1, v20, 0x7fff
	v_cndmask_b32_e64 v4, 0x7fc00000, v17, s2
	v_add3_u32 v17, v16, v21, 0x7fff
	v_cmp_o_f32_e64 s2, v1, v1
	s_delay_alu instid0(VALU_DEP_4) | instskip(NEXT) | instid1(VALU_DEP_3)
	v_and_b32_e32 v6, 0xffff0000, v6
	v_dual_lshrrev_b32 v17, 16, v17 :: v_dual_bitop2_b32 v4, v8, v4 bitop3:0x54
	v_cmp_o_f32_e32 vcc_lo, v16, v16
	s_delay_alu instid0(VALU_DEP_3) | instskip(NEXT) | instid1(VALU_DEP_3)
	v_cndmask_b32_e64 v1, 0x7fc00000, v6, s2
	v_cndmask_b32_e32 v6, 0x7fc0, v17, vcc_lo
	v_cmp_ge_i64_e32 vcc_lo, v[18:19], v[2:3]
	v_add_nc_u64_e32 v[16:17], s[8:9], v[12:13]
	v_add_nc_u64_e32 v[12:13], s[14:15], v[12:13]
	v_or3_b32 v18, v4, 0, 0
	v_or3_b32 v19, 0, v6, v1
	s_or_b32 s17, vcc_lo, s17
	global_store_b64 v[16:17], v[18:19], off
	s_wait_xcnt 0x0
	s_and_not1_b32 exec_lo, exec_lo, s17
	s_cbranch_execnz .LBB84_3
.LBB84_4:
	s_or_b32 exec_lo, exec_lo, s3
	s_mov_b32 s2, 0
.LBB84_5:
	s_delay_alu instid0(SALU_CYCLE_1)
	s_and_not1_b32 vcc_lo, exec_lo, s2
	s_cbranch_vccnz .LBB84_25
; %bb.6:
	v_cmp_lt_i64_e64 s2, s[10:11], 1
	s_and_b32 vcc_lo, exec_lo, s2
	s_cbranch_vccnz .LBB84_25
; %bb.7:
	s_load_b32 s0, s[0:1], 0xc5c
	v_min_i64 v[2:3], 0x10000, s[10:11]
	v_min_u64 v[4:5], 0x10000, s[10:11]
	v_dual_mov_b32 v1, 0 :: v_dual_lshlrev_b32 v12, 1, v0
	s_wait_xcnt 0x0
	s_mov_b32 s1, 0
	v_dual_mov_b32 v31, 1.0 :: v_dual_mov_b32 v33, -1.0
	s_delay_alu instid0(VALU_DEP_2) | instskip(SKIP_3) | instid1(VALU_DEP_1)
	v_dual_mov_b32 v13, v1 :: v_dual_mov_b32 v27, v1
	s_mov_b32 s11, s1
	s_mov_b32 s3, s1
	;; [unrolled: 1-line block ×3, first 2 shown]
	v_add_nc_u64_e32 v[6:7], s[6:7], v[12:13]
	v_add_nc_u64_e32 v[8:9], s[8:9], v[12:13]
	s_mov_b32 s13, s1
	v_mov_b32_e32 v29, 0x3f317218
	s_wait_kmcnt 0x0
	s_and_b32 s0, s0, 0xffff
	s_delay_alu instid0(SALU_CYCLE_1)
	v_add_nc_u64_e32 v[10:11], s[0:1], v[0:1]
	v_mad_nc_u64_u32 v[22:23], s0, 6, v[12:13]
	s_lshl_b32 s10, s0, 2
	s_lshl_b32 s2, s0, 1
	v_add_nc_u64_e32 v[18:19], s[10:11], v[12:13]
	s_mul_i32 s14, s0, 3
	v_add_nc_u64_e32 v[14:15], s[2:3], v[0:1]
	v_lshlrev_b32_e32 v26, 1, v10
	v_add_nc_u64_e32 v[12:13], s[14:15], v[0:1]
	s_lshl_b32 s12, s0, 3
	s_mov_b32 s3, -1.0
	v_add_nc_u64_e32 v[16:17], s[6:7], v[18:19]
	v_add_nc_u64_e32 v[18:19], s[8:9], v[18:19]
	;; [unrolled: 1-line block ×6, first 2 shown]
	s_mov_b64 s[6:7], 0
	s_mov_b32 s8, 0x3ab42872
	s_branch .LBB84_9
.LBB84_8:                               ;   in Loop: Header=BB84_9 Depth=1
	s_wait_xcnt 0x0
	s_or_b32 exec_lo, exec_lo, s2
	s_add_nc_u64 s[6:7], s[6:7], s[10:11]
	v_add_nc_u64_e32 v[6:7], s[12:13], v[6:7]
	v_cmp_ge_i64_e32 vcc_lo, s[6:7], v[2:3]
	v_add_nc_u64_e32 v[8:9], s[12:13], v[8:9]
	v_add_nc_u64_e32 v[20:21], s[12:13], v[20:21]
	v_add_nc_u64_e32 v[22:23], s[12:13], v[22:23]
	v_add_nc_u64_e32 v[16:17], s[12:13], v[16:17]
	v_add_nc_u64_e32 v[18:19], s[12:13], v[18:19]
	v_add_nc_u64_e32 v[24:25], s[12:13], v[24:25]
	v_add_nc_u64_e32 v[26:27], s[12:13], v[26:27]
	s_cbranch_vccnz .LBB84_25
.LBB84_9:                               ; =>This Inner Loop Header: Depth=1
	v_add_nc_u64_e32 v[34:35], s[6:7], v[0:1]
	v_mov_b32_e32 v38, 0
	s_delay_alu instid0(VALU_DEP_2)
	v_cmp_lt_u64_e64 s2, v[34:35], v[4:5]
	s_and_saveexec_b32 s0, s2
	s_cbranch_execz .LBB84_11
; %bb.10:                               ;   in Loop: Header=BB84_9 Depth=1
	v_add_nc_u64_e32 v[34:35], s[4:5], v[6:7]
	global_load_u16 v28, v[34:35], off
	s_wait_loadcnt 0x0
	v_lshlrev_b32_e32 v28, 16, v28
	s_delay_alu instid0(VALU_DEP_1)
	v_and_b32_e32 v38, 0x7fffffff, v28
.LBB84_11:                              ;   in Loop: Header=BB84_9 Depth=1
	s_wait_xcnt 0x0
	s_or_b32 exec_lo, exec_lo, s0
	v_add_nc_u64_e32 v[34:35], s[6:7], v[10:11]
	v_dual_mov_b32 v28, 0 :: v_dual_mov_b32 v36, 0
	s_delay_alu instid0(VALU_DEP_2)
	v_cmp_lt_u64_e64 s1, v[34:35], v[4:5]
	s_and_saveexec_b32 s0, s1
	s_cbranch_execz .LBB84_13
; %bb.12:                               ;   in Loop: Header=BB84_9 Depth=1
	v_add_nc_u64_e32 v[34:35], s[4:5], v[24:25]
	global_load_u16 v30, v[34:35], off
	s_wait_loadcnt 0x0
	v_lshlrev_b32_e32 v30, 16, v30
	s_delay_alu instid0(VALU_DEP_1)
	v_and_b32_e32 v36, 0x7fffffff, v30
.LBB84_13:                              ;   in Loop: Header=BB84_9 Depth=1
	s_wait_xcnt 0x0
	s_or_b32 exec_lo, exec_lo, s0
	v_add_nc_u64_e32 v[34:35], s[6:7], v[14:15]
	s_delay_alu instid0(VALU_DEP_1)
	v_cmp_lt_u64_e32 vcc_lo, v[34:35], v[4:5]
	s_and_saveexec_b32 s0, vcc_lo
	s_cbranch_execz .LBB84_15
; %bb.14:                               ;   in Loop: Header=BB84_9 Depth=1
	v_add_nc_u64_e32 v[34:35], s[4:5], v[16:17]
	global_load_u16 v28, v[34:35], off
	s_wait_loadcnt 0x0
	v_lshlrev_b32_e32 v28, 16, v28
	s_delay_alu instid0(VALU_DEP_1)
	v_and_b32_e32 v28, 0x7fffffff, v28
.LBB84_15:                              ;   in Loop: Header=BB84_9 Depth=1
	s_wait_xcnt 0x0
	s_or_b32 exec_lo, exec_lo, s0
	v_add_nc_u64_e32 v[34:35], s[6:7], v[12:13]
	s_delay_alu instid0(VALU_DEP_1)
	v_cmp_lt_u64_e64 s0, v[34:35], v[4:5]
	v_mov_b32_e32 v34, 0
	s_and_saveexec_b32 s9, s0
	s_cbranch_execnz .LBB84_23
; %bb.16:                               ;   in Loop: Header=BB84_9 Depth=1
	s_or_b32 exec_lo, exec_lo, s9
	s_and_saveexec_b32 s9, s2
	s_cbranch_execnz .LBB84_24
.LBB84_17:                              ;   in Loop: Header=BB84_9 Depth=1
	s_or_b32 exec_lo, exec_lo, s9
	s_and_saveexec_b32 s2, s1
	s_cbranch_execz .LBB84_19
.LBB84_18:                              ;   in Loop: Header=BB84_9 Depth=1
	v_dual_add_f32 v30, 0xbf317218, v36 :: v_dual_mov_b32 v37, v29
	v_cmp_nlt_f32_e64 s1, 0x42b2d4fc, v36
	s_delay_alu instid0(VALU_DEP_2) | instskip(NEXT) | instid1(VALU_DEP_1)
	v_sub_f32_e32 v39, v30, v36
	v_sub_f32_e32 v38, v39, v30
	s_delay_alu instid0(VALU_DEP_1) | instskip(NEXT) | instid1(VALU_DEP_1)
	v_pk_add_f32 v[38:39], v[36:37], v[38:39]
	v_sub_f32_e32 v32, v38, v39
	s_delay_alu instid0(VALU_DEP_1) | instskip(NEXT) | instid1(VALU_DEP_1)
	v_add_f32_e32 v32, 0x3102e308, v32
	v_add_f32_e32 v35, v30, v32
	s_delay_alu instid0(VALU_DEP_1) | instskip(NEXT) | instid1(VALU_DEP_1)
	v_dual_sub_f32 v30, v30, v35 :: v_dual_mul_f32 v37, 0x3fb8aa3b, v35
	v_add_f32_e32 v30, v32, v30
	s_delay_alu instid0(VALU_DEP_2) | instskip(NEXT) | instid1(VALU_DEP_1)
	v_rndne_f32_e32 v37, v37
	v_fmac_f32_e32 v35, 0xbf317200, v37
	s_delay_alu instid0(VALU_DEP_1) | instskip(NEXT) | instid1(VALU_DEP_1)
	v_dual_add_f32 v39, v30, v35 :: v_dual_mul_f32 v32, 0x35bfbc00, v37
	v_sub_f32_e32 v35, v35, v39
	s_delay_alu instid0(VALU_DEP_1) | instskip(NEXT) | instid1(VALU_DEP_1)
	v_dual_sub_f32 v38, v39, v32 :: v_dual_add_f32 v30, v30, v35
	v_sub_f32_e32 v39, v39, v38
	s_delay_alu instid0(VALU_DEP_1) | instskip(NEXT) | instid1(VALU_DEP_1)
	v_sub_f32_e32 v32, v39, v32
	v_add_f32_e32 v30, v30, v32
	s_delay_alu instid0(VALU_DEP_1) | instskip(NEXT) | instid1(VALU_DEP_1)
	v_add_f32_e32 v39, v38, v30
	v_dual_mul_f32 v41, 0x2ea39ef3, v37 :: v_dual_mov_b32 v40, v39
	s_delay_alu instid0(VALU_DEP_1) | instskip(NEXT) | instid1(VALU_DEP_1)
	v_pk_add_f32 v[42:43], v[38:39], v[40:41] neg_lo:[0,1] neg_hi:[0,1]
	v_dual_sub_f32 v32, v39, v43 :: v_dual_add_f32 v30, v30, v42
	s_delay_alu instid0(VALU_DEP_1) | instskip(NEXT) | instid1(VALU_DEP_1)
	v_sub_f32_e32 v32, v32, v41
	v_add_f32_e32 v30, v30, v32
	s_delay_alu instid0(VALU_DEP_1) | instskip(NEXT) | instid1(VALU_DEP_1)
	v_add_f32_e32 v35, v43, v30
	v_sub_f32_e32 v32, v43, v35
	v_mul_f32_e32 v38, v35, v35
	v_mov_b64_e32 v[42:43], s[2:3]
	s_delay_alu instid0(VALU_DEP_2) | instskip(NEXT) | instid1(VALU_DEP_1)
	v_dual_add_f32 v30, v30, v32 :: v_dual_fma_f32 v39, v35, v35, -v38
	v_add_f32_e32 v40, v30, v30
	s_delay_alu instid0(VALU_DEP_1) | instskip(NEXT) | instid1(VALU_DEP_1)
	v_dual_fmaak_f32 v32, s8, v35, 0x3c091de6 :: v_dual_fmac_f32 v39, v35, v40
	v_fmaak_f32 v32, v35, v32, 0x3d2aadcc
	s_delay_alu instid0(VALU_DEP_2) | instskip(NEXT) | instid1(VALU_DEP_2)
	v_add_f32_e32 v40, v38, v39
	v_fmaak_f32 v32, v35, v32, 0x3e2aaa47
	s_delay_alu instid0(VALU_DEP_1) | instskip(NEXT) | instid1(VALU_DEP_3)
	v_fmaak_f32 v32, v35, v32, 0x3efffffc
	v_sub_f32_e32 v38, v40, v38
	s_delay_alu instid0(VALU_DEP_1) | instskip(NEXT) | instid1(VALU_DEP_1)
	v_dual_sub_f32 v38, v39, v38 :: v_dual_mul_f32 v41, v32, v40
	v_fma_f32 v39, v40, v32, -v41
	s_delay_alu instid0(VALU_DEP_1) | instskip(NEXT) | instid1(VALU_DEP_1)
	v_fmac_f32_e32 v39, v38, v32
	v_add_f32_e32 v38, v41, v39
	s_delay_alu instid0(VALU_DEP_1) | instskip(NEXT) | instid1(VALU_DEP_1)
	v_dual_add_f32 v32, v35, v38 :: v_dual_sub_f32 v40, v38, v41
	v_dual_sub_f32 v35, v32, v35 :: v_dual_sub_f32 v39, v39, v40
	s_delay_alu instid0(VALU_DEP_1) | instskip(NEXT) | instid1(VALU_DEP_2)
	v_sub_f32_e32 v35, v38, v35
	v_add_f32_e32 v30, v30, v39
	s_delay_alu instid0(VALU_DEP_1) | instskip(NEXT) | instid1(VALU_DEP_1)
	v_add_f32_e32 v38, v30, v35
	v_add_f32_e32 v40, v32, v38
	s_delay_alu instid0(VALU_DEP_1) | instskip(NEXT) | instid1(VALU_DEP_1)
	v_dual_add_f32 v41, 1.0, v40 :: v_dual_mov_b32 v39, v40
	v_pk_add_f32 v[42:43], v[40:41], v[42:43]
	v_pk_add_f32 v[44:45], v[40:41], v[32:33] neg_lo:[0,1] neg_hi:[0,1]
	v_cvt_i32_f32_e32 v32, v37
	s_delay_alu instid0(VALU_DEP_3) | instskip(NEXT) | instid1(VALU_DEP_1)
	v_mov_b32_e32 v45, v43
	v_pk_add_f32 v[38:39], v[38:39], v[44:45] neg_lo:[0,1] neg_hi:[0,1]
	s_delay_alu instid0(VALU_DEP_1) | instskip(NEXT) | instid1(VALU_DEP_1)
	v_add_f32_e32 v30, v38, v39
	v_add_f32_e32 v35, v41, v30
	s_delay_alu instid0(VALU_DEP_1) | instskip(SKIP_1) | instid1(VALU_DEP_2)
	v_ldexp_f32 v38, v35, v32
	v_sub_f32_e32 v35, v35, v41
	v_rcp_f32_e32 v37, v38
	v_nop
	s_delay_alu instid0(TRANS32_DEP_1) | instskip(NEXT) | instid1(VALU_DEP_1)
	v_mul_f32_e32 v40, v38, v37
	v_dual_sub_f32 v30, v30, v35 :: v_dual_fma_f32 v42, v37, v38, -v40
	s_delay_alu instid0(VALU_DEP_1) | instskip(NEXT) | instid1(VALU_DEP_1)
	v_ldexp_f32 v39, v30, v32
	v_fmac_f32_e32 v42, v37, v39
	s_delay_alu instid0(VALU_DEP_1) | instskip(NEXT) | instid1(VALU_DEP_1)
	v_add_f32_e32 v30, v40, v42
	v_dual_sub_f32 v41, 1.0, v30 :: v_dual_mov_b32 v43, v30
	s_delay_alu instid0(VALU_DEP_1) | instskip(NEXT) | instid1(VALU_DEP_1)
	v_pk_add_f32 v[44:45], v[30:31], v[40:41] neg_lo:[0,1] neg_hi:[0,1]
	v_pk_add_f32 v[42:43], v[44:45], v[42:43] neg_lo:[0,1] neg_hi:[0,1]
	s_delay_alu instid0(VALU_DEP_1) | instskip(NEXT) | instid1(VALU_DEP_1)
	v_add_f32_e32 v30, v42, v43
	v_add_f32_e32 v43, v41, v30
	s_delay_alu instid0(VALU_DEP_1) | instskip(NEXT) | instid1(VALU_DEP_1)
	v_mul_f32_e32 v32, v37, v43
	v_dual_mul_f32 v44, v38, v32 :: v_dual_sub_f32 v35, v41, v43
	s_delay_alu instid0(VALU_DEP_1) | instskip(NEXT) | instid1(VALU_DEP_1)
	v_dual_fma_f32 v40, v32, v38, -v44 :: v_dual_add_f32 v30, v30, v35
	v_dual_add_f32 v35, v37, v32 :: v_dual_fmac_f32 v40, v32, v39
	s_delay_alu instid0(VALU_DEP_1) | instskip(NEXT) | instid1(VALU_DEP_1)
	v_add_f32_e32 v42, v44, v40
	v_dual_sub_f32 v45, v43, v42 :: v_dual_mov_b32 v41, v42
	s_delay_alu instid0(VALU_DEP_1) | instskip(NEXT) | instid1(VALU_DEP_1)
	v_pk_add_f32 v[42:43], v[42:43], v[44:45] neg_lo:[0,1] neg_hi:[0,1]
	v_pk_add_f32 v[40:41], v[42:43], v[40:41] neg_lo:[0,1] neg_hi:[0,1]
	s_delay_alu instid0(VALU_DEP_1) | instskip(NEXT) | instid1(VALU_DEP_1)
	v_add_f32_e32 v30, v30, v41
	v_dual_add_f32 v30, v40, v30 :: v_dual_sub_f32 v40, v35, v37
	s_delay_alu instid0(VALU_DEP_1) | instskip(NEXT) | instid1(VALU_DEP_1)
	v_dual_add_f32 v30, v45, v30 :: v_dual_sub_f32 v32, v32, v40
	v_mul_f32_e32 v30, v37, v30
	v_add_nc_u64_e32 v[36:37], s[4:5], v[26:27]
	s_delay_alu instid0(VALU_DEP_2) | instskip(NEXT) | instid1(VALU_DEP_1)
	v_add_f32_e32 v30, v32, v30
	v_add_f32_e32 v32, v35, v30
	s_delay_alu instid0(VALU_DEP_1) | instskip(NEXT) | instid1(VALU_DEP_1)
	v_sub_f32_e32 v35, v32, v35
	v_sub_f32_e32 v30, v30, v35
	v_ldexp_f32 v40, v32, -2
	s_delay_alu instid0(VALU_DEP_2) | instskip(NEXT) | instid1(VALU_DEP_1)
	v_ldexp_f32 v41, v30, -2
	v_pk_add_f32 v[42:43], v[38:39], v[40:41]
	s_delay_alu instid0(VALU_DEP_1) | instskip(NEXT) | instid1(VALU_DEP_1)
	v_sub_f32_e32 v30, v42, v38
	v_sub_f32_e32 v30, v40, v30
	s_delay_alu instid0(VALU_DEP_1) | instskip(NEXT) | instid1(VALU_DEP_1)
	v_add_f32_e32 v30, v43, v30
	v_add_f32_e32 v30, v42, v30
	s_delay_alu instid0(VALU_DEP_1) | instskip(NEXT) | instid1(VALU_DEP_1)
	v_cndmask_b32_e64 v30, 0x7f800000, v30, s1
	v_bfe_u32 v32, v30, 16, 1
	v_cmp_o_f32_e64 s1, v30, v30
	s_delay_alu instid0(VALU_DEP_2) | instskip(NEXT) | instid1(VALU_DEP_1)
	v_add3_u32 v32, v30, v32, 0x7fff
	v_lshrrev_b32_e32 v32, 16, v32
	s_delay_alu instid0(VALU_DEP_1)
	v_cndmask_b32_e64 v30, 0x7fc0, v32, s1
	global_store_b16 v[36:37], v30, off
.LBB84_19:                              ;   in Loop: Header=BB84_9 Depth=1
	s_wait_xcnt 0x0
	s_or_b32 exec_lo, exec_lo, s2
	v_add_f32_e32 v38, 0xbf317218, v34
	v_add_f32_e32 v30, 0xbf317218, v28
	v_cmp_nlt_f32_e64 s1, 0x42b2d4fc, v28
	s_delay_alu instid0(VALU_DEP_2) | instskip(NEXT) | instid1(VALU_DEP_1)
	v_dual_mov_b32 v35, v29 :: v_dual_sub_f32 v37, v30, v28
	v_sub_f32_e32 v36, v37, v30
	s_delay_alu instid0(VALU_DEP_1) | instskip(NEXT) | instid1(VALU_DEP_1)
	v_pk_add_f32 v[36:37], v[28:29], v[36:37]
	v_dual_sub_f32 v32, v36, v37 :: v_dual_sub_f32 v37, v38, v34
	s_delay_alu instid0(VALU_DEP_1) | instskip(NEXT) | instid1(VALU_DEP_1)
	v_add_f32_e32 v32, 0x3102e308, v32
	v_dual_add_f32 v39, v30, v32 :: v_dual_sub_f32 v36, v37, v38
	s_delay_alu instid0(VALU_DEP_1) | instskip(SKIP_1) | instid1(VALU_DEP_3)
	v_sub_f32_e32 v30, v30, v39
	v_mul_f32_e32 v40, 0x3fb8aa3b, v39
	v_pk_add_f32 v[36:37], v[34:35], v[36:37]
	s_delay_alu instid0(VALU_DEP_2) | instskip(NEXT) | instid1(VALU_DEP_4)
	v_rndne_f32_e32 v48, v40
	v_add_f32_e32 v30, v32, v30
	s_delay_alu instid0(VALU_DEP_2) | instskip(SKIP_1) | instid1(VALU_DEP_1)
	v_dual_sub_f32 v32, v36, v37 :: v_dual_mul_f32 v35, 0x35bfbc00, v48
	v_fmac_f32_e32 v39, 0xbf317200, v48
	v_add_f32_e32 v37, v30, v39
	s_delay_alu instid0(VALU_DEP_1) | instskip(NEXT) | instid1(VALU_DEP_1)
	v_dual_sub_f32 v39, v39, v37 :: v_dual_sub_f32 v36, v37, v35
	v_sub_f32_e32 v37, v37, v36
	s_delay_alu instid0(VALU_DEP_1) | instskip(NEXT) | instid1(VALU_DEP_1)
	v_dual_add_f32 v32, 0x3102e308, v32 :: v_dual_sub_f32 v35, v37, v35
	v_add_f32_e32 v41, v38, v32
	s_delay_alu instid0(VALU_DEP_1) | instskip(SKIP_1) | instid1(VALU_DEP_2)
	v_dual_mul_f32 v40, 0x3fb8aa3b, v41 :: v_dual_sub_f32 v37, v38, v41
	v_add_f32_e32 v30, v30, v39
	v_rndne_f32_e32 v49, v40
	s_delay_alu instid0(VALU_DEP_2) | instskip(NEXT) | instid1(VALU_DEP_2)
	v_dual_add_f32 v32, v32, v37 :: v_dual_add_f32 v30, v30, v35
	v_fmac_f32_e32 v41, 0xbf317200, v49
	s_delay_alu instid0(VALU_DEP_1) | instskip(NEXT) | instid1(VALU_DEP_3)
	v_add_f32_e32 v44, v32, v41
	v_add_f32_e32 v37, v36, v30
	s_delay_alu instid0(VALU_DEP_1) | instskip(NEXT) | instid1(VALU_DEP_1)
	v_dual_mul_f32 v35, 0x35bfbc00, v49 :: v_dual_mov_b32 v38, v37
	v_dual_mul_f32 v39, 0x2ea39ef3, v48 :: v_dual_sub_f32 v40, v44, v35
	s_delay_alu instid0(VALU_DEP_1) | instskip(SKIP_1) | instid1(VALU_DEP_2)
	v_pk_add_f32 v[42:43], v[36:37], v[38:39] neg_lo:[0,1] neg_hi:[0,1]
	v_sub_f32_e32 v36, v41, v44
	v_dual_sub_f32 v38, v44, v40 :: v_dual_sub_f32 v37, v37, v43
	s_delay_alu instid0(VALU_DEP_1) | instskip(NEXT) | instid1(VALU_DEP_2)
	v_dual_add_f32 v32, v32, v36 :: v_dual_sub_f32 v35, v38, v35
	v_dual_add_f32 v30, v30, v42 :: v_dual_sub_f32 v36, v37, v39
	s_delay_alu instid0(VALU_DEP_1) | instskip(NEXT) | instid1(VALU_DEP_1)
	v_dual_add_f32 v32, v32, v35 :: v_dual_add_f32 v30, v30, v36
	v_dual_add_f32 v41, v40, v32 :: v_dual_add_f32 v35, v43, v30
	s_delay_alu instid0(VALU_DEP_1) | instskip(NEXT) | instid1(VALU_DEP_2)
	v_dual_mul_f32 v37, 0x2ea39ef3, v49 :: v_dual_mov_b32 v36, v41
	v_sub_f32_e32 v42, v43, v35
	s_delay_alu instid0(VALU_DEP_2) | instskip(NEXT) | instid1(VALU_DEP_2)
	v_pk_add_f32 v[38:39], v[40:41], v[36:37] neg_lo:[0,1] neg_hi:[0,1]
	v_dual_mul_f32 v36, v35, v35 :: v_dual_add_f32 v30, v30, v42
	s_delay_alu instid0(VALU_DEP_2) | instskip(SKIP_1) | instid1(VALU_DEP_3)
	v_sub_f32_e32 v41, v41, v39
	v_fmaak_f32 v40, s8, v35, 0x3c091de6
	v_dual_fma_f32 v42, v35, v35, -v36 :: v_dual_add_f32 v32, v32, v38
	s_delay_alu instid0(VALU_DEP_3) | instskip(NEXT) | instid1(VALU_DEP_3)
	v_dual_add_f32 v43, v30, v30 :: v_dual_sub_f32 v37, v41, v37
	v_fmaak_f32 v40, v35, v40, 0x3d2aadcc
	s_delay_alu instid0(VALU_DEP_2) | instskip(NEXT) | instid1(VALU_DEP_1)
	v_dual_fmac_f32 v42, v35, v43 :: v_dual_add_f32 v32, v32, v37
	v_dual_fmaak_f32 v38, v35, v40, 0x3e2aaa47 :: v_dual_add_f32 v37, v36, v42
	s_delay_alu instid0(VALU_DEP_1) | instskip(NEXT) | instid1(VALU_DEP_1)
	v_fmaak_f32 v38, v35, v38, 0x3efffffc
	v_dual_add_f32 v43, v39, v32 :: v_dual_mul_f32 v40, v38, v37
	s_delay_alu instid0(VALU_DEP_1) | instskip(NEXT) | instid1(VALU_DEP_2)
	v_dual_sub_f32 v36, v37, v36 :: v_dual_sub_f32 v39, v39, v43
	v_dual_mul_f32 v41, v43, v43 :: v_dual_fma_f32 v37, v37, v38, -v40
	s_delay_alu instid0(VALU_DEP_2) | instskip(NEXT) | instid1(VALU_DEP_1)
	v_dual_sub_f32 v36, v42, v36 :: v_dual_add_f32 v42, v32, v39
	v_dual_fmaak_f32 v32, s8, v43, 0x3c091de6 :: v_dual_fmac_f32 v37, v36, v38
	s_delay_alu instid0(VALU_DEP_2) | instskip(NEXT) | instid1(VALU_DEP_2)
	v_dual_fma_f32 v36, v43, v43, -v41 :: v_dual_add_f32 v38, v42, v42
	v_dual_fmaak_f32 v32, v43, v32, 0x3d2aadcc :: v_dual_add_f32 v39, v40, v37
	s_delay_alu instid0(VALU_DEP_2) | instskip(NEXT) | instid1(VALU_DEP_2)
	v_fmac_f32_e32 v36, v43, v38
	v_fmaak_f32 v38, v43, v32, 0x3e2aaa47
	s_delay_alu instid0(VALU_DEP_2) | instskip(NEXT) | instid1(VALU_DEP_1)
	v_dual_add_f32 v32, v35, v39 :: v_dual_add_f32 v44, v41, v36
	v_dual_sub_f32 v35, v32, v35 :: v_dual_sub_f32 v40, v39, v40
	s_delay_alu instid0(VALU_DEP_1) | instskip(NEXT) | instid1(VALU_DEP_2)
	v_sub_f32_e32 v35, v39, v35
	v_dual_fmaak_f32 v38, v43, v38, 0x3efffffc :: v_dual_sub_f32 v37, v37, v40
	s_delay_alu instid0(VALU_DEP_1) | instskip(NEXT) | instid1(VALU_DEP_1)
	v_dual_sub_f32 v40, v44, v41 :: v_dual_mul_f32 v41, v38, v44
	v_dual_add_f32 v30, v30, v37 :: v_dual_sub_f32 v37, v36, v40
	s_delay_alu instid0(VALU_DEP_1) | instskip(NEXT) | instid1(VALU_DEP_1)
	v_dual_fma_f32 v44, v44, v38, -v41 :: v_dual_add_f32 v36, v30, v35
	v_dual_fmac_f32 v44, v37, v38 :: v_dual_add_f32 v38, v32, v36
	s_delay_alu instid0(VALU_DEP_1) | instskip(NEXT) | instid1(VALU_DEP_1)
	v_dual_add_f32 v30, v41, v44 :: v_dual_add_f32 v39, 1.0, v38
	v_sub_f32_e32 v35, v30, v41
	s_delay_alu instid0(VALU_DEP_2) | instskip(SKIP_1) | instid1(VALU_DEP_1)
	v_pk_add_f32 v[40:41], v[38:39], v[32:33] neg_lo:[0,1] neg_hi:[0,1]
	v_add_f32_e32 v32, v43, v30
	v_sub_f32_e32 v37, v32, v43
	s_delay_alu instid0(VALU_DEP_1) | instskip(NEXT) | instid1(VALU_DEP_1)
	v_dual_sub_f32 v35, v44, v35 :: v_dual_sub_f32 v30, v30, v37
	v_add_f32_e32 v35, v42, v35
	v_mov_b64_e32 v[42:43], s[2:3]
	s_delay_alu instid0(VALU_DEP_2) | instskip(NEXT) | instid1(VALU_DEP_2)
	v_add_f32_e32 v44, v35, v30
	v_pk_add_f32 v[46:47], v[38:39], v[42:43]
	s_delay_alu instid0(VALU_DEP_2) | instskip(NEXT) | instid1(VALU_DEP_2)
	v_dual_mov_b32 v37, v38 :: v_dual_add_f32 v46, v32, v44
	v_mov_b32_e32 v41, v47
	s_delay_alu instid0(VALU_DEP_1) | instskip(NEXT) | instid1(VALU_DEP_1)
	v_pk_add_f32 v[36:37], v[36:37], v[40:41] neg_lo:[0,1] neg_hi:[0,1]
	v_dual_add_f32 v47, 1.0, v46 :: v_dual_add_f32 v30, v36, v37
	s_delay_alu instid0(VALU_DEP_1) | instskip(SKIP_3) | instid1(VALU_DEP_4)
	v_pk_add_f32 v[40:41], v[46:47], v[42:43]
	v_pk_add_f32 v[36:37], v[46:47], v[32:33] neg_lo:[0,1] neg_hi:[0,1]
	v_mov_b32_e32 v45, v46
	v_cvt_i32_f32_e32 v32, v48
	v_mov_b32_e32 v37, v41
	v_cvt_i32_f32_e32 v41, v49
	s_delay_alu instid0(VALU_DEP_2) | instskip(NEXT) | instid1(VALU_DEP_1)
	v_pk_add_f32 v[36:37], v[44:45], v[36:37] neg_lo:[0,1] neg_hi:[0,1]
	v_dual_add_f32 v35, v39, v30 :: v_dual_add_f32 v37, v36, v37
	s_delay_alu instid0(VALU_DEP_1) | instskip(NEXT) | instid1(VALU_DEP_1)
	v_ldexp_f32 v38, v35, v32
	v_rcp_f32_e32 v52, v38
	v_nop
	s_delay_alu instid0(TRANS32_DEP_1) | instskip(NEXT) | instid1(VALU_DEP_1)
	v_dual_sub_f32 v35, v35, v39 :: v_dual_mul_f32 v36, v38, v52
	v_dual_add_f32 v43, v47, v37 :: v_dual_sub_f32 v30, v30, v35
	s_delay_alu instid0(VALU_DEP_2) | instskip(NEXT) | instid1(VALU_DEP_2)
	v_fma_f32 v42, v52, v38, -v36
	v_ldexp_f32 v40, v43, v41
	s_delay_alu instid0(VALU_DEP_3) | instskip(SKIP_1) | instid1(VALU_DEP_3)
	v_ldexp_f32 v39, v30, v32
	v_sub_f32_e32 v30, v43, v47
	v_rcp_f32_e32 v32, v40
	s_delay_alu instid0(VALU_DEP_1) | instskip(NEXT) | instid1(VALU_DEP_1)
	v_dual_fmac_f32 v42, v52, v39 :: v_dual_sub_f32 v35, v37, v30
	v_add_f32_e32 v30, v36, v42
	s_delay_alu instid0(TRANS32_DEP_1) | instskip(NEXT) | instid1(VALU_DEP_3)
	v_mul_f32_e32 v44, v40, v32
	v_ldexp_f32 v41, v35, v41
	s_delay_alu instid0(VALU_DEP_2) | instskip(SKIP_1) | instid1(VALU_DEP_2)
	v_dual_sub_f32 v37, 1.0, v30 :: v_dual_fma_f32 v46, v32, v40, -v44
	v_mov_b32_e32 v43, v30
	v_pk_add_f32 v[48:49], v[30:31], v[36:37] neg_lo:[0,1] neg_hi:[0,1]
	s_delay_alu instid0(VALU_DEP_3) | instskip(NEXT) | instid1(VALU_DEP_2)
	v_fmac_f32_e32 v46, v32, v41
	v_pk_add_f32 v[42:43], v[48:49], v[42:43] neg_lo:[0,1] neg_hi:[0,1]
	s_delay_alu instid0(VALU_DEP_2) | instskip(NEXT) | instid1(VALU_DEP_1)
	v_add_f32_e32 v30, v44, v46
	v_dual_sub_f32 v45, 1.0, v30 :: v_dual_mov_b32 v47, v30
	s_delay_alu instid0(VALU_DEP_1) | instskip(NEXT) | instid1(VALU_DEP_4)
	v_pk_add_f32 v[50:51], v[30:31], v[44:45] neg_lo:[0,1] neg_hi:[0,1]
	v_add_f32_e32 v30, v42, v43
	s_delay_alu instid0(VALU_DEP_1) | instskip(NEXT) | instid1(VALU_DEP_3)
	v_add_f32_e32 v43, v37, v30
	v_pk_add_f32 v[46:47], v[50:51], v[46:47] neg_lo:[0,1] neg_hi:[0,1]
	s_delay_alu instid0(VALU_DEP_2) | instskip(NEXT) | instid1(VALU_DEP_2)
	v_mul_f32_e32 v53, v52, v43
	v_add_f32_e32 v35, v46, v47
	s_delay_alu instid0(VALU_DEP_1) | instskip(NEXT) | instid1(VALU_DEP_1)
	v_dual_mul_f32 v48, v38, v53 :: v_dual_add_f32 v47, v45, v35
	v_dual_fma_f32 v50, v53, v38, -v48 :: v_dual_mul_f32 v54, v32, v47
	s_delay_alu instid0(VALU_DEP_1) | instskip(NEXT) | instid1(VALU_DEP_1)
	v_dual_fmac_f32 v50, v53, v39 :: v_dual_mul_f32 v36, v40, v54
	v_dual_add_f32 v42, v48, v50 :: v_dual_fma_f32 v44, v54, v40, -v36
	s_delay_alu instid0(VALU_DEP_1) | instskip(NEXT) | instid1(VALU_DEP_1)
	v_dual_sub_f32 v49, v43, v42 :: v_dual_fmac_f32 v44, v54, v41
	v_dual_mov_b32 v51, v42 :: v_dual_add_f32 v46, v36, v44
	v_sub_f32_e32 v55, v37, v43
	s_delay_alu instid0(VALU_DEP_3) | instskip(NEXT) | instid1(VALU_DEP_3)
	v_pk_add_f32 v[42:43], v[42:43], v[48:49] neg_lo:[0,1] neg_hi:[0,1]
	v_dual_sub_f32 v48, v45, v47 :: v_dual_sub_f32 v37, v47, v46
	v_mov_b32_e32 v45, v46
	s_delay_alu instid0(VALU_DEP_3) | instskip(NEXT) | instid1(VALU_DEP_3)
	v_pk_add_f32 v[42:43], v[42:43], v[50:51] neg_lo:[0,1] neg_hi:[0,1]
	v_add_f32_e32 v35, v35, v48
	s_delay_alu instid0(VALU_DEP_4) | instskip(SKIP_1) | instid1(VALU_DEP_2)
	v_pk_add_f32 v[46:47], v[46:47], v[36:37] neg_lo:[0,1] neg_hi:[0,1]
	v_add_f32_e32 v36, v52, v53
	v_pk_add_f32 v[44:45], v[46:47], v[44:45] neg_lo:[0,1] neg_hi:[0,1]
	s_delay_alu instid0(VALU_DEP_1) | instskip(NEXT) | instid1(VALU_DEP_1)
	v_dual_add_f32 v30, v30, v55 :: v_dual_add_f32 v35, v35, v45
	v_add_f32_e32 v30, v30, v43
	s_delay_alu instid0(VALU_DEP_1) | instskip(SKIP_1) | instid1(VALU_DEP_2)
	v_dual_add_f32 v35, v44, v35 :: v_dual_add_f32 v30, v42, v30
	v_add_f32_e32 v42, v32, v54
	v_dual_sub_f32 v43, v36, v52 :: v_dual_add_f32 v35, v37, v35
	s_delay_alu instid0(VALU_DEP_2) | instskip(NEXT) | instid1(VALU_DEP_1)
	v_dual_add_f32 v30, v49, v30 :: v_dual_sub_f32 v44, v42, v32
	v_dual_sub_f32 v37, v53, v43 :: v_dual_mul_f32 v30, v52, v30
	s_delay_alu instid0(VALU_DEP_2) | instskip(NEXT) | instid1(VALU_DEP_1)
	v_dual_sub_f32 v43, v54, v44 :: v_dual_mul_f32 v32, v32, v35
	v_dual_add_f32 v30, v37, v30 :: v_dual_add_f32 v32, v43, v32
	s_delay_alu instid0(VALU_DEP_1) | instskip(NEXT) | instid1(VALU_DEP_1)
	v_dual_add_f32 v35, v36, v30 :: v_dual_add_f32 v43, v42, v32
	v_sub_f32_e32 v36, v35, v36
	s_delay_alu instid0(VALU_DEP_1) | instskip(SKIP_1) | instid1(VALU_DEP_2)
	v_dual_sub_f32 v37, v43, v42 :: v_dual_sub_f32 v30, v30, v36
	v_ldexp_f32 v36, v35, -2
	v_sub_f32_e32 v32, v32, v37
	v_ldexp_f32 v42, v43, -2
	s_delay_alu instid0(VALU_DEP_4) | instskip(NEXT) | instid1(VALU_DEP_3)
	v_ldexp_f32 v37, v30, -2
	v_ldexp_f32 v43, v32, -2
	s_delay_alu instid0(VALU_DEP_2) | instskip(NEXT) | instid1(VALU_DEP_2)
	v_pk_add_f32 v[44:45], v[38:39], v[36:37]
	v_pk_add_f32 v[46:47], v[40:41], v[42:43]
	v_dual_mov_b32 v41, v38 :: v_dual_mov_b32 v43, v36
	s_delay_alu instid0(VALU_DEP_2) | instskip(NEXT) | instid1(VALU_DEP_3)
	v_dual_mov_b32 v39, v44 :: v_dual_mov_b32 v38, v46
	v_mov_b32_e32 v44, v47
	s_delay_alu instid0(VALU_DEP_2) | instskip(NEXT) | instid1(VALU_DEP_1)
	v_pk_add_f32 v[36:37], v[38:39], v[40:41] neg_lo:[0,1] neg_hi:[0,1]
	v_pk_add_f32 v[36:37], v[42:43], v[36:37] neg_lo:[0,1] neg_hi:[0,1]
	s_delay_alu instid0(VALU_DEP_1) | instskip(NEXT) | instid1(VALU_DEP_1)
	v_pk_add_f32 v[36:37], v[44:45], v[36:37]
	v_pk_add_f32 v[36:37], v[38:39], v[36:37]
	s_delay_alu instid0(VALU_DEP_1) | instskip(SKIP_1) | instid1(VALU_DEP_2)
	v_cndmask_b32_e64 v30, 0x7f800000, v37, s1
	v_cmp_nlt_f32_e64 s1, 0x42b2d4fc, v34
	v_cmp_u_f32_e64 s2, v30, v30
	s_delay_alu instid0(VALU_DEP_2) | instskip(NEXT) | instid1(VALU_DEP_1)
	v_cndmask_b32_e64 v28, 0x7f800000, v36, s1
	v_cmp_u_f32_e64 s1, v28, v28
	s_and_saveexec_b32 s9, vcc_lo
	s_cbranch_execz .LBB84_21
; %bb.20:                               ;   in Loop: Header=BB84_9 Depth=1
	v_bfe_u32 v32, v30, 16, 1
	v_add_nc_u64_e32 v[34:35], s[4:5], v[18:19]
	s_delay_alu instid0(VALU_DEP_2) | instskip(NEXT) | instid1(VALU_DEP_1)
	v_add3_u32 v30, v30, v32, 0x7fff
	v_lshrrev_b32_e32 v30, 16, v30
	s_delay_alu instid0(VALU_DEP_1)
	v_cndmask_b32_e64 v30, v30, 0x7fc0, s2
	global_store_b16 v[34:35], v30, off
.LBB84_21:                              ;   in Loop: Header=BB84_9 Depth=1
	s_wait_xcnt 0x0
	s_or_b32 exec_lo, exec_lo, s9
	s_and_saveexec_b32 s2, s0
	s_cbranch_execz .LBB84_8
; %bb.22:                               ;   in Loop: Header=BB84_9 Depth=1
	v_bfe_u32 v30, v28, 16, 1
	v_add_nc_u64_e32 v[34:35], s[4:5], v[22:23]
	s_delay_alu instid0(VALU_DEP_2) | instskip(NEXT) | instid1(VALU_DEP_1)
	v_add3_u32 v28, v28, v30, 0x7fff
	v_lshrrev_b32_e32 v28, 16, v28
	s_delay_alu instid0(VALU_DEP_1)
	v_cndmask_b32_e64 v28, v28, 0x7fc0, s1
	global_store_b16 v[34:35], v28, off
	s_branch .LBB84_8
.LBB84_23:                              ;   in Loop: Header=BB84_9 Depth=1
	v_add_nc_u64_e32 v[34:35], s[4:5], v[20:21]
	global_load_u16 v30, v[34:35], off
	s_wait_loadcnt 0x0
	v_lshlrev_b32_e32 v30, 16, v30
	s_wait_xcnt 0x0
	s_delay_alu instid0(VALU_DEP_1)
	v_and_b32_e32 v34, 0x7fffffff, v30
	s_or_b32 exec_lo, exec_lo, s9
	s_and_saveexec_b32 s9, s2
	s_cbranch_execz .LBB84_17
.LBB84_24:                              ;   in Loop: Header=BB84_9 Depth=1
	v_dual_add_f32 v30, 0xbf317218, v38 :: v_dual_mov_b32 v39, v29
	s_delay_alu instid0(VALU_DEP_1) | instskip(NEXT) | instid1(VALU_DEP_1)
	v_sub_f32_e32 v41, v30, v38
	v_sub_f32_e32 v40, v41, v30
	s_delay_alu instid0(VALU_DEP_1) | instskip(NEXT) | instid1(VALU_DEP_1)
	v_pk_add_f32 v[40:41], v[38:39], v[40:41]
	v_sub_f32_e32 v32, v40, v41
	s_delay_alu instid0(VALU_DEP_1) | instskip(NEXT) | instid1(VALU_DEP_1)
	v_add_f32_e32 v32, 0x3102e308, v32
	v_add_f32_e32 v35, v30, v32
	s_delay_alu instid0(VALU_DEP_1) | instskip(NEXT) | instid1(VALU_DEP_1)
	v_mul_f32_e32 v37, 0x3fb8aa3b, v35
	v_rndne_f32_e32 v37, v37
	s_delay_alu instid0(VALU_DEP_1) | instskip(NEXT) | instid1(VALU_DEP_1)
	v_dual_sub_f32 v30, v30, v35 :: v_dual_fmac_f32 v35, 0xbf317200, v37
	v_add_f32_e32 v30, v32, v30
	s_delay_alu instid0(VALU_DEP_1) | instskip(NEXT) | instid1(VALU_DEP_1)
	v_dual_mul_f32 v32, 0x35bfbc00, v37 :: v_dual_add_f32 v39, v30, v35
	v_sub_f32_e32 v40, v39, v32
	v_sub_f32_e32 v35, v35, v39
	s_delay_alu instid0(VALU_DEP_1) | instskip(NEXT) | instid1(VALU_DEP_1)
	v_dual_sub_f32 v39, v39, v40 :: v_dual_add_f32 v30, v30, v35
	v_sub_f32_e32 v32, v39, v32
	s_delay_alu instid0(VALU_DEP_1) | instskip(NEXT) | instid1(VALU_DEP_1)
	v_add_f32_e32 v30, v30, v32
	v_add_f32_e32 v41, v40, v30
	s_delay_alu instid0(VALU_DEP_1) | instskip(NEXT) | instid1(VALU_DEP_1)
	v_dual_mul_f32 v43, 0x2ea39ef3, v37 :: v_dual_mov_b32 v42, v41
	v_pk_add_f32 v[44:45], v[40:41], v[42:43] neg_lo:[0,1] neg_hi:[0,1]
	s_delay_alu instid0(VALU_DEP_1) | instskip(NEXT) | instid1(VALU_DEP_1)
	v_dual_sub_f32 v32, v41, v45 :: v_dual_add_f32 v30, v30, v44
	v_sub_f32_e32 v32, v32, v43
	s_delay_alu instid0(VALU_DEP_1) | instskip(NEXT) | instid1(VALU_DEP_1)
	v_add_f32_e32 v30, v30, v32
	v_add_f32_e32 v35, v45, v30
	s_delay_alu instid0(VALU_DEP_1) | instskip(SKIP_2) | instid1(VALU_DEP_3)
	v_dual_sub_f32 v32, v45, v35 :: v_dual_mul_f32 v39, v35, v35
	v_mov_b64_e32 v[44:45], s[2:3]
	v_cmp_nlt_f32_e64 s2, 0x42b2d4fc, v38
	v_add_f32_e32 v30, v30, v32
	s_delay_alu instid0(VALU_DEP_1) | instskip(NEXT) | instid1(VALU_DEP_1)
	v_dual_fmaak_f32 v32, s8, v35, 0x3c091de6 :: v_dual_add_f32 v41, v30, v30
	v_fmaak_f32 v32, v35, v32, 0x3d2aadcc
	s_delay_alu instid0(VALU_DEP_1) | instskip(NEXT) | instid1(VALU_DEP_1)
	v_fmaak_f32 v32, v35, v32, 0x3e2aaa47
	v_fmaak_f32 v32, v35, v32, 0x3efffffc
	v_fma_f32 v40, v35, v35, -v39
	s_delay_alu instid0(VALU_DEP_1) | instskip(NEXT) | instid1(VALU_DEP_1)
	v_fmac_f32_e32 v40, v35, v41
	v_add_f32_e32 v41, v39, v40
	s_delay_alu instid0(VALU_DEP_1) | instskip(NEXT) | instid1(VALU_DEP_1)
	v_dual_sub_f32 v39, v41, v39 :: v_dual_mul_f32 v42, v32, v41
	v_dual_sub_f32 v39, v40, v39 :: v_dual_fma_f32 v40, v41, v32, -v42
	s_delay_alu instid0(VALU_DEP_1) | instskip(NEXT) | instid1(VALU_DEP_1)
	v_fmac_f32_e32 v40, v39, v32
	v_add_f32_e32 v39, v42, v40
	s_delay_alu instid0(VALU_DEP_1) | instskip(SKIP_1) | instid1(VALU_DEP_1)
	v_sub_f32_e32 v41, v39, v42
	v_add_f32_e32 v32, v35, v39
	v_sub_f32_e32 v35, v32, v35
	s_delay_alu instid0(VALU_DEP_1) | instskip(NEXT) | instid1(VALU_DEP_1)
	v_dual_sub_f32 v40, v40, v41 :: v_dual_sub_f32 v35, v39, v35
	v_add_f32_e32 v30, v30, v40
	s_delay_alu instid0(VALU_DEP_1) | instskip(NEXT) | instid1(VALU_DEP_1)
	v_add_f32_e32 v40, v30, v35
	v_add_f32_e32 v42, v32, v40
	s_delay_alu instid0(VALU_DEP_1) | instskip(NEXT) | instid1(VALU_DEP_1)
	v_dual_add_f32 v43, 1.0, v42 :: v_dual_mov_b32 v41, v42
	v_pk_add_f32 v[44:45], v[42:43], v[44:45]
	v_pk_add_f32 v[46:47], v[42:43], v[32:33] neg_lo:[0,1] neg_hi:[0,1]
	v_cvt_i32_f32_e32 v32, v37
	s_delay_alu instid0(VALU_DEP_3) | instskip(NEXT) | instid1(VALU_DEP_1)
	v_mov_b32_e32 v47, v45
	v_pk_add_f32 v[40:41], v[40:41], v[46:47] neg_lo:[0,1] neg_hi:[0,1]
	s_delay_alu instid0(VALU_DEP_1) | instskip(NEXT) | instid1(VALU_DEP_1)
	v_add_f32_e32 v30, v40, v41
	v_add_f32_e32 v35, v43, v30
	s_delay_alu instid0(VALU_DEP_1) | instskip(SKIP_1) | instid1(VALU_DEP_2)
	v_ldexp_f32 v40, v35, v32
	v_sub_f32_e32 v35, v35, v43
	v_rcp_f32_e32 v37, v40
	v_nop
	s_delay_alu instid0(TRANS32_DEP_1) | instskip(NEXT) | instid1(VALU_DEP_1)
	v_dual_sub_f32 v30, v30, v35 :: v_dual_mul_f32 v42, v40, v37
	v_ldexp_f32 v41, v30, v32
	s_delay_alu instid0(VALU_DEP_2) | instskip(NEXT) | instid1(VALU_DEP_1)
	v_fma_f32 v44, v37, v40, -v42
	v_fmac_f32_e32 v44, v37, v41
	s_delay_alu instid0(VALU_DEP_1) | instskip(NEXT) | instid1(VALU_DEP_1)
	v_add_f32_e32 v30, v42, v44
	v_dual_sub_f32 v43, 1.0, v30 :: v_dual_mov_b32 v45, v30
	s_delay_alu instid0(VALU_DEP_1) | instskip(NEXT) | instid1(VALU_DEP_1)
	v_pk_add_f32 v[46:47], v[30:31], v[42:43] neg_lo:[0,1] neg_hi:[0,1]
	v_pk_add_f32 v[44:45], v[46:47], v[44:45] neg_lo:[0,1] neg_hi:[0,1]
	s_delay_alu instid0(VALU_DEP_1) | instskip(NEXT) | instid1(VALU_DEP_1)
	v_add_f32_e32 v30, v44, v45
	v_add_f32_e32 v45, v43, v30
	s_delay_alu instid0(VALU_DEP_1) | instskip(NEXT) | instid1(VALU_DEP_1)
	v_mul_f32_e32 v32, v37, v45
	v_dual_mul_f32 v46, v40, v32 :: v_dual_sub_f32 v35, v43, v45
	s_delay_alu instid0(VALU_DEP_1) | instskip(NEXT) | instid1(VALU_DEP_1)
	v_fma_f32 v42, v32, v40, -v46
	v_fmac_f32_e32 v42, v32, v41
	s_delay_alu instid0(VALU_DEP_1) | instskip(NEXT) | instid1(VALU_DEP_4)
	v_add_f32_e32 v44, v46, v42
	v_dual_add_f32 v30, v30, v35 :: v_dual_add_f32 v35, v37, v32
	s_delay_alu instid0(VALU_DEP_2) | instskip(NEXT) | instid1(VALU_DEP_2)
	v_dual_sub_f32 v47, v45, v44 :: v_dual_mov_b32 v43, v44
	v_sub_f32_e32 v39, v35, v37
	s_delay_alu instid0(VALU_DEP_2) | instskip(NEXT) | instid1(VALU_DEP_2)
	v_pk_add_f32 v[48:49], v[44:45], v[46:47] neg_lo:[0,1] neg_hi:[0,1]
	v_sub_f32_e32 v32, v32, v39
	v_add_nc_u64_e32 v[38:39], s[4:5], v[8:9]
	s_delay_alu instid0(VALU_DEP_3) | instskip(NEXT) | instid1(VALU_DEP_1)
	v_pk_add_f32 v[42:43], v[48:49], v[42:43] neg_lo:[0,1] neg_hi:[0,1]
	v_add_f32_e32 v30, v30, v43
	s_delay_alu instid0(VALU_DEP_1) | instskip(NEXT) | instid1(VALU_DEP_1)
	v_add_f32_e32 v30, v42, v30
	v_add_f32_e32 v30, v47, v30
	s_delay_alu instid0(VALU_DEP_1) | instskip(NEXT) | instid1(VALU_DEP_1)
	v_mul_f32_e32 v30, v37, v30
	v_add_f32_e32 v30, v32, v30
	s_delay_alu instid0(VALU_DEP_1) | instskip(NEXT) | instid1(VALU_DEP_1)
	v_add_f32_e32 v32, v35, v30
	v_sub_f32_e32 v35, v32, v35
	s_delay_alu instid0(VALU_DEP_1) | instskip(SKIP_1) | instid1(VALU_DEP_2)
	v_sub_f32_e32 v30, v30, v35
	v_ldexp_f32 v42, v32, -2
	v_ldexp_f32 v43, v30, -2
	s_delay_alu instid0(VALU_DEP_1) | instskip(NEXT) | instid1(VALU_DEP_1)
	v_pk_add_f32 v[44:45], v[40:41], v[42:43]
	v_sub_f32_e32 v30, v44, v40
	s_delay_alu instid0(VALU_DEP_1) | instskip(NEXT) | instid1(VALU_DEP_1)
	v_sub_f32_e32 v30, v42, v30
	v_add_f32_e32 v30, v45, v30
	s_delay_alu instid0(VALU_DEP_1) | instskip(NEXT) | instid1(VALU_DEP_1)
	v_add_f32_e32 v30, v44, v30
	v_cndmask_b32_e64 v30, 0x7f800000, v30, s2
	s_delay_alu instid0(VALU_DEP_1) | instskip(SKIP_1) | instid1(VALU_DEP_2)
	v_bfe_u32 v32, v30, 16, 1
	v_cmp_o_f32_e64 s2, v30, v30
	v_add3_u32 v32, v30, v32, 0x7fff
	s_delay_alu instid0(VALU_DEP_1) | instskip(NEXT) | instid1(VALU_DEP_1)
	v_lshrrev_b32_e32 v32, 16, v32
	v_cndmask_b32_e64 v30, 0x7fc0, v32, s2
	global_store_b16 v[38:39], v30, off
	s_wait_xcnt 0x0
	s_or_b32 exec_lo, exec_lo, s9
	s_and_saveexec_b32 s2, s1
	s_cbranch_execnz .LBB84_18
	s_branch .LBB84_19
.LBB84_25:
	s_endpgm
	.section	.rodata,"a",@progbits
	.p2align	6, 0x0
	.amdhsa_kernel _ZN2at6native12_GLOBAL__N_125multi_tensor_apply_kernelINS1_18TensorListMetadataILi2EEENS1_14UnaryOpFunctorIN3c108BFloat16ELi2ELi1ELi1EEEJNS0_4CoshIfEEEEEvT_T0_DpT1_
		.amdhsa_group_segment_fixed_size 0
		.amdhsa_private_segment_fixed_size 0
		.amdhsa_kernarg_size 3408
		.amdhsa_user_sgpr_count 2
		.amdhsa_user_sgpr_dispatch_ptr 0
		.amdhsa_user_sgpr_queue_ptr 0
		.amdhsa_user_sgpr_kernarg_segment_ptr 1
		.amdhsa_user_sgpr_dispatch_id 0
		.amdhsa_user_sgpr_kernarg_preload_length 0
		.amdhsa_user_sgpr_kernarg_preload_offset 0
		.amdhsa_user_sgpr_private_segment_size 0
		.amdhsa_wavefront_size32 1
		.amdhsa_uses_dynamic_stack 0
		.amdhsa_enable_private_segment 0
		.amdhsa_system_sgpr_workgroup_id_x 1
		.amdhsa_system_sgpr_workgroup_id_y 0
		.amdhsa_system_sgpr_workgroup_id_z 0
		.amdhsa_system_sgpr_workgroup_info 0
		.amdhsa_system_vgpr_workitem_id 0
		.amdhsa_next_free_vgpr 56
		.amdhsa_next_free_sgpr 20
		.amdhsa_named_barrier_count 0
		.amdhsa_reserve_vcc 1
		.amdhsa_float_round_mode_32 0
		.amdhsa_float_round_mode_16_64 0
		.amdhsa_float_denorm_mode_32 3
		.amdhsa_float_denorm_mode_16_64 3
		.amdhsa_fp16_overflow 0
		.amdhsa_memory_ordered 1
		.amdhsa_forward_progress 1
		.amdhsa_inst_pref_size 60
		.amdhsa_round_robin_scheduling 0
		.amdhsa_exception_fp_ieee_invalid_op 0
		.amdhsa_exception_fp_denorm_src 0
		.amdhsa_exception_fp_ieee_div_zero 0
		.amdhsa_exception_fp_ieee_overflow 0
		.amdhsa_exception_fp_ieee_underflow 0
		.amdhsa_exception_fp_ieee_inexact 0
		.amdhsa_exception_int_div_zero 0
	.end_amdhsa_kernel
	.section	.text._ZN2at6native12_GLOBAL__N_125multi_tensor_apply_kernelINS1_18TensorListMetadataILi2EEENS1_14UnaryOpFunctorIN3c108BFloat16ELi2ELi1ELi1EEEJNS0_4CoshIfEEEEEvT_T0_DpT1_,"axG",@progbits,_ZN2at6native12_GLOBAL__N_125multi_tensor_apply_kernelINS1_18TensorListMetadataILi2EEENS1_14UnaryOpFunctorIN3c108BFloat16ELi2ELi1ELi1EEEJNS0_4CoshIfEEEEEvT_T0_DpT1_,comdat
.Lfunc_end84:
	.size	_ZN2at6native12_GLOBAL__N_125multi_tensor_apply_kernelINS1_18TensorListMetadataILi2EEENS1_14UnaryOpFunctorIN3c108BFloat16ELi2ELi1ELi1EEEJNS0_4CoshIfEEEEEvT_T0_DpT1_, .Lfunc_end84-_ZN2at6native12_GLOBAL__N_125multi_tensor_apply_kernelINS1_18TensorListMetadataILi2EEENS1_14UnaryOpFunctorIN3c108BFloat16ELi2ELi1ELi1EEEJNS0_4CoshIfEEEEEvT_T0_DpT1_
                                        ; -- End function
	.set _ZN2at6native12_GLOBAL__N_125multi_tensor_apply_kernelINS1_18TensorListMetadataILi2EEENS1_14UnaryOpFunctorIN3c108BFloat16ELi2ELi1ELi1EEEJNS0_4CoshIfEEEEEvT_T0_DpT1_.num_vgpr, 56
	.set _ZN2at6native12_GLOBAL__N_125multi_tensor_apply_kernelINS1_18TensorListMetadataILi2EEENS1_14UnaryOpFunctorIN3c108BFloat16ELi2ELi1ELi1EEEJNS0_4CoshIfEEEEEvT_T0_DpT1_.num_agpr, 0
	.set _ZN2at6native12_GLOBAL__N_125multi_tensor_apply_kernelINS1_18TensorListMetadataILi2EEENS1_14UnaryOpFunctorIN3c108BFloat16ELi2ELi1ELi1EEEJNS0_4CoshIfEEEEEvT_T0_DpT1_.numbered_sgpr, 20
	.set _ZN2at6native12_GLOBAL__N_125multi_tensor_apply_kernelINS1_18TensorListMetadataILi2EEENS1_14UnaryOpFunctorIN3c108BFloat16ELi2ELi1ELi1EEEJNS0_4CoshIfEEEEEvT_T0_DpT1_.num_named_barrier, 0
	.set _ZN2at6native12_GLOBAL__N_125multi_tensor_apply_kernelINS1_18TensorListMetadataILi2EEENS1_14UnaryOpFunctorIN3c108BFloat16ELi2ELi1ELi1EEEJNS0_4CoshIfEEEEEvT_T0_DpT1_.private_seg_size, 0
	.set _ZN2at6native12_GLOBAL__N_125multi_tensor_apply_kernelINS1_18TensorListMetadataILi2EEENS1_14UnaryOpFunctorIN3c108BFloat16ELi2ELi1ELi1EEEJNS0_4CoshIfEEEEEvT_T0_DpT1_.uses_vcc, 1
	.set _ZN2at6native12_GLOBAL__N_125multi_tensor_apply_kernelINS1_18TensorListMetadataILi2EEENS1_14UnaryOpFunctorIN3c108BFloat16ELi2ELi1ELi1EEEJNS0_4CoshIfEEEEEvT_T0_DpT1_.uses_flat_scratch, 0
	.set _ZN2at6native12_GLOBAL__N_125multi_tensor_apply_kernelINS1_18TensorListMetadataILi2EEENS1_14UnaryOpFunctorIN3c108BFloat16ELi2ELi1ELi1EEEJNS0_4CoshIfEEEEEvT_T0_DpT1_.has_dyn_sized_stack, 0
	.set _ZN2at6native12_GLOBAL__N_125multi_tensor_apply_kernelINS1_18TensorListMetadataILi2EEENS1_14UnaryOpFunctorIN3c108BFloat16ELi2ELi1ELi1EEEJNS0_4CoshIfEEEEEvT_T0_DpT1_.has_recursion, 0
	.set _ZN2at6native12_GLOBAL__N_125multi_tensor_apply_kernelINS1_18TensorListMetadataILi2EEENS1_14UnaryOpFunctorIN3c108BFloat16ELi2ELi1ELi1EEEJNS0_4CoshIfEEEEEvT_T0_DpT1_.has_indirect_call, 0
	.section	.AMDGPU.csdata,"",@progbits
; Kernel info:
; codeLenInByte = 7620
; TotalNumSgprs: 22
; NumVgprs: 56
; ScratchSize: 0
; MemoryBound: 0
; FloatMode: 240
; IeeeMode: 1
; LDSByteSize: 0 bytes/workgroup (compile time only)
; SGPRBlocks: 0
; VGPRBlocks: 3
; NumSGPRsForWavesPerEU: 22
; NumVGPRsForWavesPerEU: 56
; NamedBarCnt: 0
; Occupancy: 16
; WaveLimiterHint : 0
; COMPUTE_PGM_RSRC2:SCRATCH_EN: 0
; COMPUTE_PGM_RSRC2:USER_SGPR: 2
; COMPUTE_PGM_RSRC2:TRAP_HANDLER: 0
; COMPUTE_PGM_RSRC2:TGID_X_EN: 1
; COMPUTE_PGM_RSRC2:TGID_Y_EN: 0
; COMPUTE_PGM_RSRC2:TGID_Z_EN: 0
; COMPUTE_PGM_RSRC2:TIDIG_COMP_CNT: 0
	.section	.text._ZN2at6native12_GLOBAL__N_125multi_tensor_apply_kernelINS1_18TensorListMetadataILi1EEENS1_14UnaryOpFunctorIdLi1ELi1ELi0EEEJNS0_4CoshIdEEEEEvT_T0_DpT1_,"axG",@progbits,_ZN2at6native12_GLOBAL__N_125multi_tensor_apply_kernelINS1_18TensorListMetadataILi1EEENS1_14UnaryOpFunctorIdLi1ELi1ELi0EEEJNS0_4CoshIdEEEEEvT_T0_DpT1_,comdat
	.globl	_ZN2at6native12_GLOBAL__N_125multi_tensor_apply_kernelINS1_18TensorListMetadataILi1EEENS1_14UnaryOpFunctorIdLi1ELi1ELi0EEEJNS0_4CoshIdEEEEEvT_T0_DpT1_ ; -- Begin function _ZN2at6native12_GLOBAL__N_125multi_tensor_apply_kernelINS1_18TensorListMetadataILi1EEENS1_14UnaryOpFunctorIdLi1ELi1ELi0EEEJNS0_4CoshIdEEEEEvT_T0_DpT1_
	.p2align	8
	.type	_ZN2at6native12_GLOBAL__N_125multi_tensor_apply_kernelINS1_18TensorListMetadataILi1EEENS1_14UnaryOpFunctorIdLi1ELi1ELi0EEEJNS0_4CoshIdEEEEEvT_T0_DpT1_,@function
_ZN2at6native12_GLOBAL__N_125multi_tensor_apply_kernelINS1_18TensorListMetadataILi1EEENS1_14UnaryOpFunctorIdLi1ELi1ELi0EEEJNS0_4CoshIdEEEEEvT_T0_DpT1_: ; @_ZN2at6native12_GLOBAL__N_125multi_tensor_apply_kernelINS1_18TensorListMetadataILi1EEENS1_14UnaryOpFunctorIdLi1ELi1ELi0EEEJNS0_4CoshIdEEEEEvT_T0_DpT1_
; %bb.0:
	s_bfe_u32 s2, ttmp6, 0x4000c
	s_and_b32 s3, ttmp6, 15
	s_add_co_i32 s2, s2, 1
	s_getreg_b32 s4, hwreg(HW_REG_IB_STS2, 6, 4)
	s_mul_i32 s2, ttmp9, s2
	s_delay_alu instid0(SALU_CYCLE_1)
	s_add_co_i32 s3, s3, s2
	s_cmp_eq_u32 s4, 0
	s_cselect_b32 s2, ttmp9, s3
	s_mov_b32 s3, 0
	s_load_u8 s8, s[0:1], s2 offset:0x6e0
	s_add_nc_u64 s[4:5], s[0:1], s[2:3]
	s_mul_u64 s[6:7], s[2:3], 3
	s_delay_alu instid0(SALU_CYCLE_1)
	s_add_nc_u64 s[4:5], s[4:5], s[6:7]
	s_load_b32 s10, s[4:5], 0x820
	s_wait_kmcnt 0x0
	s_clause 0x1
	s_load_b64 s[6:7], s[0:1], s8 offset:0x0 scale_offset
	s_load_b64 s[12:13], s[0:1], s8 offset:0x370 scale_offset
	s_ashr_i32 s11, s10, 31
	s_wait_kmcnt 0x0
	s_and_b64 s[4:5], s[6:7], 31
	s_and_b32 s2, s12, 3
	s_lshl_b64 s[8:9], s[10:11], 19
	s_or_b64 s[2:3], s[4:5], s[2:3]
	s_lshl_b64 s[4:5], s[10:11], 16
	s_cmp_eq_u64 s[2:3], 0
	s_sub_nc_u64 s[10:11], s[12:13], s[4:5]
	s_cbranch_scc1 .LBB85_21
; %bb.1:
	v_cmp_lt_i64_e64 s2, s[10:11], 1
	s_and_b32 vcc_lo, exec_lo, s2
	s_cbranch_vccnz .LBB85_20
; %bb.2:
	s_load_b32 s4, s[0:1], 0xd3c
	v_min_i64 v[2:3], 0x10000, s[10:11]
	v_min_u64 v[4:5], 0x10000, s[10:11]
	v_dual_mov_b32 v1, 0 :: v_dual_lshlrev_b32 v10, 3, v0
	s_mov_b32 s21, 0
	s_add_nc_u64 s[2:3], s[6:7], s[8:9]
	s_mov_b32 s5, s21
	s_delay_alu instid0(VALU_DEP_1) | instskip(SKIP_3) | instid1(VALU_DEP_2)
	v_dual_mov_b32 v11, v1 :: v_dual_mov_b32 v17, v1
	s_mov_b32 s17, s21
	v_mov_b64_e32 v[6:7], 0x3e928af3fca7ab0c
	s_mov_b32 s13, s21
	v_add_nc_u64_e32 v[10:11], s[2:3], v[10:11]
	s_mov_b32 s15, s21
	s_mov_b64 s[22:23], 0
                                        ; implicit-def: $vgpr18_vgpr19
                                        ; implicit-def: $vgpr18_vgpr19
	;; [unrolled: 1-line block ×8, first 2 shown]
	s_wait_kmcnt 0x0
	s_and_b32 s20, s4, 0xffff
	s_delay_alu instid0(SALU_CYCLE_1)
	v_add_nc_u64_e32 v[8:9], s[20:21], v[0:1]
	s_lshl_b32 s4, s20, 1
	s_mul_i32 s16, s20, 3
	v_add_nc_u64_e32 v[14:15], s[4:5], v[0:1]
	v_add_nc_u64_e32 v[12:13], s[16:17], v[0:1]
	s_lshl_b32 s12, s20, 2
	s_lshl_b32 s14, s20, 5
	v_lshlrev_b32_e32 v16, 3, v8
	s_mov_b64 s[16:17], 0x408633ce8fb9f87e
	s_mul_u64 s[18:19], s[20:21], 24
	s_lshl_b32 s20, s20, 4
	s_delay_alu instid0(VALU_DEP_1)
	v_add_nc_u64_e32 v[16:17], s[2:3], v[16:17]
	s_branch .LBB85_4
.LBB85_3:                               ;   in Loop: Header=BB85_4 Depth=1
	s_wait_xcnt 0x0
	s_or_b32 exec_lo, exec_lo, s2
	s_add_nc_u64 s[22:23], s[22:23], s[12:13]
	v_add_nc_u64_e32 v[10:11], s[14:15], v[10:11]
	v_cmp_lt_i64_e32 vcc_lo, s[22:23], v[2:3]
	v_add_nc_u64_e32 v[16:17], s[14:15], v[16:17]
	s_cbranch_vccz .LBB85_20
.LBB85_4:                               ; =>This Inner Loop Header: Depth=1
	v_add_nc_u64_e32 v[18:19], s[22:23], v[0:1]
	v_mov_b64_e32 v[26:27], 0
	v_mov_b64_e32 v[28:29], 0
	s_delay_alu instid0(VALU_DEP_3)
	v_cmp_lt_u64_e64 s4, v[18:19], v[4:5]
	s_and_saveexec_b32 s2, s4
	s_cbranch_execz .LBB85_6
; %bb.5:                                ;   in Loop: Header=BB85_4 Depth=1
	global_load_b64 v[28:29], v[10:11], off
	s_wait_loadcnt 0x0
	v_and_b32_e32 v29, 0x7fffffff, v29
.LBB85_6:                               ;   in Loop: Header=BB85_4 Depth=1
	s_wait_xcnt 0x0
	s_or_b32 exec_lo, exec_lo, s2
	v_add_nc_u64_e32 v[18:19], s[22:23], v[8:9]
	s_delay_alu instid0(VALU_DEP_1)
	v_cmp_lt_u64_e64 s3, v[18:19], v[4:5]
	s_and_saveexec_b32 s2, s3
	s_cbranch_execz .LBB85_8
; %bb.7:                                ;   in Loop: Header=BB85_4 Depth=1
	global_load_b64 v[26:27], v[16:17], off
	s_wait_loadcnt 0x0
	v_and_b32_e32 v27, 0x7fffffff, v27
.LBB85_8:                               ;   in Loop: Header=BB85_4 Depth=1
	s_wait_xcnt 0x0
	s_or_b32 exec_lo, exec_lo, s2
	v_add_nc_u64_e32 v[20:21], s[22:23], v[14:15]
	v_mov_b64_e32 v[18:19], 0
	v_add_nc_u64_e32 v[22:23], s[20:21], v[10:11]
	v_mov_b64_e32 v[24:25], 0
	s_delay_alu instid0(VALU_DEP_4)
	v_cmp_lt_u64_e64 s2, v[20:21], v[4:5]
	s_and_saveexec_b32 s5, s2
	s_cbranch_execz .LBB85_10
; %bb.9:                                ;   in Loop: Header=BB85_4 Depth=1
	global_load_b64 v[24:25], v[22:23], off
	s_wait_loadcnt 0x0
	v_and_b32_e32 v25, 0x7fffffff, v25
.LBB85_10:                              ;   in Loop: Header=BB85_4 Depth=1
	s_wait_xcnt 0x0
	s_or_b32 exec_lo, exec_lo, s5
	v_add_nc_u64_e32 v[20:21], s[22:23], v[12:13]
	s_delay_alu instid0(VALU_DEP_1)
	v_cmp_lt_u64_e32 vcc_lo, v[20:21], v[4:5]
	v_add_nc_u64_e32 v[20:21], s[18:19], v[10:11]
	s_and_saveexec_b32 s5, vcc_lo
	s_cbranch_execnz .LBB85_15
; %bb.11:                               ;   in Loop: Header=BB85_4 Depth=1
	s_or_b32 exec_lo, exec_lo, s5
	s_and_saveexec_b32 s5, s4
	s_cbranch_execnz .LBB85_16
.LBB85_12:                              ;   in Loop: Header=BB85_4 Depth=1
	s_or_b32 exec_lo, exec_lo, s5
	s_and_saveexec_b32 s4, s3
	s_cbranch_execnz .LBB85_17
.LBB85_13:                              ;   in Loop: Header=BB85_4 Depth=1
	s_or_b32 exec_lo, exec_lo, s4
	s_and_saveexec_b32 s3, s2
	s_cbranch_execnz .LBB85_18
.LBB85_14:                              ;   in Loop: Header=BB85_4 Depth=1
	s_or_b32 exec_lo, exec_lo, s3
	s_and_saveexec_b32 s2, vcc_lo
	s_cbranch_execz .LBB85_3
	s_branch .LBB85_19
.LBB85_15:                              ;   in Loop: Header=BB85_4 Depth=1
	global_load_b64 v[18:19], v[20:21], off
	s_wait_loadcnt 0x0
	v_and_b32_e32 v19, 0x7fffffff, v19
	s_wait_xcnt 0x0
	s_or_b32 exec_lo, exec_lo, s5
	s_and_saveexec_b32 s5, s4
	s_cbranch_execz .LBB85_12
.LBB85_16:                              ;   in Loop: Header=BB85_4 Depth=1
	v_add_f64_e32 v[30:31], 0xbfe62e42fefa39ef, v[28:29]
	v_cmp_nle_f64_e64 s4, s[16:17], v[28:29]
	s_delay_alu instid0(VALU_DEP_2) | instskip(NEXT) | instid1(VALU_DEP_1)
	v_add_f64_e64 v[32:33], v[30:31], -v[28:29]
	v_add_f64_e64 v[34:35], v[32:33], -v[30:31]
	v_add_f64_e32 v[32:33], 0x3fe62e42fefa39ef, v[32:33]
	s_delay_alu instid0(VALU_DEP_2) | instskip(NEXT) | instid1(VALU_DEP_1)
	v_add_f64_e32 v[34:35], v[28:29], v[34:35]
	v_add_f64_e64 v[32:33], v[34:35], -v[32:33]
	s_delay_alu instid0(VALU_DEP_1) | instskip(NEXT) | instid1(VALU_DEP_1)
	v_add_f64_e32 v[32:33], 0xbc7abc9e3b39803f, v[32:33]
	v_add_f64_e32 v[34:35], v[30:31], v[32:33]
	s_delay_alu instid0(VALU_DEP_1) | instskip(SKIP_1) | instid1(VALU_DEP_2)
	v_mul_f64_e32 v[36:37], 0x3ff71547652b82fe, v[34:35]
	v_add_f64_e64 v[30:31], v[30:31], -v[34:35]
	v_rndne_f64_e32 v[36:37], v[36:37]
	s_delay_alu instid0(VALU_DEP_2) | instskip(NEXT) | instid1(VALU_DEP_2)
	v_add_f64_e32 v[30:31], v[32:33], v[30:31]
	v_fmac_f64_e32 v[34:35], 0xbfe62e42fefa3000, v[36:37]
	v_mul_f64_e32 v[32:33], 0xbd53de6af278e000, v[36:37]
	s_delay_alu instid0(VALU_DEP_2) | instskip(NEXT) | instid1(VALU_DEP_1)
	v_add_f64_e32 v[38:39], v[30:31], v[34:35]
	v_add_f64_e32 v[40:41], v[38:39], v[32:33]
	v_add_f64_e64 v[34:35], v[34:35], -v[38:39]
	s_delay_alu instid0(VALU_DEP_2) | instskip(NEXT) | instid1(VALU_DEP_2)
	v_add_f64_e64 v[38:39], v[38:39], -v[40:41]
	v_add_f64_e32 v[30:31], v[30:31], v[34:35]
	s_delay_alu instid0(VALU_DEP_2) | instskip(NEXT) | instid1(VALU_DEP_1)
	v_add_f64_e32 v[32:33], v[38:39], v[32:33]
	v_add_f64_e32 v[30:31], v[30:31], v[32:33]
	v_mul_f64_e32 v[32:33], 0xbac9cc01f97b57a0, v[36:37]
	s_delay_alu instid0(VALU_DEP_2) | instskip(NEXT) | instid1(VALU_DEP_1)
	v_add_f64_e32 v[34:35], v[40:41], v[30:31]
	v_add_f64_e32 v[38:39], v[34:35], v[32:33]
	v_add_f64_e64 v[40:41], v[40:41], -v[34:35]
	s_delay_alu instid0(VALU_DEP_2) | instskip(NEXT) | instid1(VALU_DEP_2)
	v_add_f64_e64 v[34:35], v[34:35], -v[38:39]
	v_add_f64_e32 v[30:31], v[30:31], v[40:41]
	s_delay_alu instid0(VALU_DEP_2) | instskip(NEXT) | instid1(VALU_DEP_1)
	v_add_f64_e32 v[32:33], v[34:35], v[32:33]
	v_add_f64_e32 v[30:31], v[30:31], v[32:33]
	s_delay_alu instid0(VALU_DEP_1) | instskip(NEXT) | instid1(VALU_DEP_1)
	v_add_f64_e32 v[32:33], v[38:39], v[30:31]
	v_add_f64_e64 v[34:35], v[38:39], -v[32:33]
	v_mul_f64_e32 v[38:39], v[32:33], v[32:33]
	s_delay_alu instid0(VALU_DEP_2) | instskip(NEXT) | instid1(VALU_DEP_2)
	v_add_f64_e32 v[30:31], v[30:31], v[34:35]
	v_fma_f64 v[34:35], v[32:33], v[32:33], -v[38:39]
	s_delay_alu instid0(VALU_DEP_2) | instskip(NEXT) | instid1(VALU_DEP_1)
	v_add_f64_e32 v[40:41], v[30:31], v[30:31]
	v_fmac_f64_e32 v[34:35], v[32:33], v[40:41]
	v_fmamk_f64 v[40:41], v[32:33], 0x3e5ade156a5dcb37, v[6:7]
	s_delay_alu instid0(VALU_DEP_1) | instskip(NEXT) | instid1(VALU_DEP_1)
	v_fmaak_f64 v[40:41], v[32:33], v[40:41], 0x3ec71dee623fde64
	v_fmaak_f64 v[40:41], v[32:33], v[40:41], 0x3efa01997c89e6b0
	s_delay_alu instid0(VALU_DEP_1) | instskip(NEXT) | instid1(VALU_DEP_1)
	v_fmaak_f64 v[40:41], v[32:33], v[40:41], 0x3f2a01a014761f6e
	v_fmaak_f64 v[40:41], v[32:33], v[40:41], 0x3f56c16c1852b7b0
	v_add_f64_e32 v[42:43], v[38:39], v[34:35]
	s_delay_alu instid0(VALU_DEP_2) | instskip(NEXT) | instid1(VALU_DEP_1)
	v_fmaak_f64 v[40:41], v[32:33], v[40:41], 0x3f81111111122322
	v_fmaak_f64 v[40:41], v[32:33], v[40:41], 0x3fa55555555502a1
	s_delay_alu instid0(VALU_DEP_1) | instskip(NEXT) | instid1(VALU_DEP_1)
	v_fmaak_f64 v[40:41], v[32:33], v[40:41], 0x3fc5555555555511
	v_fmaak_f64 v[40:41], v[32:33], v[40:41], 0x3fe000000000000b
	v_add_f64_e64 v[38:39], v[42:43], -v[38:39]
	s_delay_alu instid0(VALU_DEP_2) | instskip(NEXT) | instid1(VALU_DEP_2)
	v_mul_f64_e32 v[44:45], v[42:43], v[40:41]
	v_add_f64_e64 v[34:35], v[34:35], -v[38:39]
	s_delay_alu instid0(VALU_DEP_2) | instskip(NEXT) | instid1(VALU_DEP_1)
	v_fma_f64 v[38:39], v[42:43], v[40:41], -v[44:45]
	v_fmac_f64_e32 v[38:39], v[34:35], v[40:41]
	s_delay_alu instid0(VALU_DEP_1) | instskip(NEXT) | instid1(VALU_DEP_1)
	v_add_f64_e32 v[34:35], v[44:45], v[38:39]
	v_add_f64_e64 v[40:41], v[34:35], -v[44:45]
	v_add_f64_e32 v[42:43], v[32:33], v[34:35]
	s_delay_alu instid0(VALU_DEP_2) | instskip(NEXT) | instid1(VALU_DEP_2)
	v_add_f64_e64 v[38:39], v[38:39], -v[40:41]
	v_add_f64_e64 v[32:33], v[42:43], -v[32:33]
	s_delay_alu instid0(VALU_DEP_2) | instskip(NEXT) | instid1(VALU_DEP_2)
	v_add_f64_e32 v[30:31], v[30:31], v[38:39]
	v_add_f64_e64 v[32:33], v[34:35], -v[32:33]
	s_delay_alu instid0(VALU_DEP_1) | instskip(NEXT) | instid1(VALU_DEP_1)
	v_add_f64_e32 v[30:31], v[30:31], v[32:33]
	v_add_f64_e32 v[32:33], v[42:43], v[30:31]
	s_delay_alu instid0(VALU_DEP_1) | instskip(SKIP_2) | instid1(VALU_DEP_3)
	v_add_f64_e32 v[34:35], 1.0, v[32:33]
	v_add_f64_e64 v[38:39], v[32:33], -v[42:43]
	v_cvt_i32_f64_e32 v42, v[36:37]
	v_add_f64_e32 v[40:41], -1.0, v[34:35]
	s_delay_alu instid0(VALU_DEP_3) | instskip(NEXT) | instid1(VALU_DEP_2)
	v_add_f64_e64 v[30:31], v[30:31], -v[38:39]
	v_add_f64_e64 v[32:33], v[32:33], -v[40:41]
	s_delay_alu instid0(VALU_DEP_1) | instskip(NEXT) | instid1(VALU_DEP_1)
	v_add_f64_e32 v[30:31], v[30:31], v[32:33]
	v_add_f64_e32 v[32:33], v[34:35], v[30:31]
	s_delay_alu instid0(VALU_DEP_1) | instskip(SKIP_1) | instid1(VALU_DEP_2)
	v_ldexp_f64 v[36:37], v[32:33], v42
	v_add_f64_e64 v[32:33], v[32:33], -v[34:35]
	v_rcp_f64_e32 v[38:39], v[36:37]
	s_delay_alu instid0(VALU_DEP_1) | instskip(NEXT) | instid1(VALU_DEP_1)
	v_add_f64_e64 v[30:31], v[30:31], -v[32:33]
	v_ldexp_f64 v[30:31], v[30:31], v42
	s_delay_alu instid0(TRANS32_DEP_1) | instskip(NEXT) | instid1(VALU_DEP_1)
	v_fma_f64 v[40:41], -v[36:37], v[38:39], 1.0
	v_fmac_f64_e32 v[38:39], v[40:41], v[38:39]
	s_delay_alu instid0(VALU_DEP_1) | instskip(NEXT) | instid1(VALU_DEP_1)
	v_fma_f64 v[40:41], -v[36:37], v[38:39], 1.0
	v_fmac_f64_e32 v[38:39], v[40:41], v[38:39]
	s_delay_alu instid0(VALU_DEP_1) | instskip(NEXT) | instid1(VALU_DEP_1)
	v_mul_f64_e32 v[32:33], v[36:37], v[38:39]
	v_fma_f64 v[34:35], v[38:39], v[36:37], -v[32:33]
	s_delay_alu instid0(VALU_DEP_1) | instskip(NEXT) | instid1(VALU_DEP_1)
	v_fmac_f64_e32 v[34:35], v[38:39], v[30:31]
	v_add_f64_e32 v[40:41], v[32:33], v[34:35]
	s_delay_alu instid0(VALU_DEP_1) | instskip(SKIP_1) | instid1(VALU_DEP_2)
	v_add_f64_e64 v[42:43], -v[40:41], 1.0
	v_add_f64_e64 v[32:33], v[40:41], -v[32:33]
	v_add_f64_e64 v[44:45], -v[42:43], 1.0
	s_delay_alu instid0(VALU_DEP_2) | instskip(NEXT) | instid1(VALU_DEP_2)
	v_add_f64_e64 v[32:33], v[32:33], -v[34:35]
	v_add_f64_e64 v[34:35], v[44:45], -v[40:41]
	s_delay_alu instid0(VALU_DEP_1) | instskip(NEXT) | instid1(VALU_DEP_1)
	v_add_f64_e32 v[32:33], v[32:33], v[34:35]
	v_add_f64_e32 v[34:35], v[42:43], v[32:33]
	s_delay_alu instid0(VALU_DEP_1) | instskip(SKIP_1) | instid1(VALU_DEP_2)
	v_mul_f64_e32 v[40:41], v[38:39], v[34:35]
	v_add_f64_e64 v[42:43], v[42:43], -v[34:35]
	v_mul_f64_e32 v[44:45], v[36:37], v[40:41]
	s_delay_alu instid0(VALU_DEP_2) | instskip(NEXT) | instid1(VALU_DEP_2)
	v_add_f64_e32 v[32:33], v[32:33], v[42:43]
	v_fma_f64 v[46:47], v[40:41], v[36:37], -v[44:45]
	s_delay_alu instid0(VALU_DEP_1) | instskip(NEXT) | instid1(VALU_DEP_1)
	v_fmac_f64_e32 v[46:47], v[40:41], v[30:31]
	v_add_f64_e32 v[48:49], v[44:45], v[46:47]
	s_delay_alu instid0(VALU_DEP_1) | instskip(SKIP_1) | instid1(VALU_DEP_2)
	v_add_f64_e64 v[50:51], v[34:35], -v[48:49]
	v_add_f64_e64 v[42:43], v[48:49], -v[44:45]
	;; [unrolled: 1-line block ×3, first 2 shown]
	s_delay_alu instid0(VALU_DEP_2) | instskip(NEXT) | instid1(VALU_DEP_2)
	v_add_f64_e64 v[42:43], v[42:43], -v[46:47]
	v_add_f64_e64 v[34:35], v[34:35], -v[48:49]
	s_delay_alu instid0(VALU_DEP_1) | instskip(SKIP_1) | instid1(VALU_DEP_2)
	v_add_f64_e32 v[32:33], v[32:33], v[34:35]
	v_add_f64_e32 v[34:35], v[38:39], v[40:41]
	v_add_f64_e32 v[32:33], v[42:43], v[32:33]
	s_delay_alu instid0(VALU_DEP_2) | instskip(NEXT) | instid1(VALU_DEP_2)
	v_add_f64_e64 v[42:43], v[34:35], -v[38:39]
	v_add_f64_e32 v[32:33], v[50:51], v[32:33]
	s_delay_alu instid0(VALU_DEP_2) | instskip(NEXT) | instid1(VALU_DEP_2)
	v_add_f64_e64 v[40:41], v[40:41], -v[42:43]
	v_mul_f64_e32 v[32:33], v[38:39], v[32:33]
	s_delay_alu instid0(VALU_DEP_1) | instskip(NEXT) | instid1(VALU_DEP_1)
	v_add_f64_e32 v[32:33], v[40:41], v[32:33]
	v_add_f64_e32 v[38:39], v[34:35], v[32:33]
	s_delay_alu instid0(VALU_DEP_1) | instskip(SKIP_1) | instid1(VALU_DEP_2)
	v_add_f64_e64 v[34:35], v[38:39], -v[34:35]
	v_ldexp_f64 v[38:39], v[38:39], -2
	v_add_f64_e64 v[32:33], v[32:33], -v[34:35]
	s_delay_alu instid0(VALU_DEP_2) | instskip(NEXT) | instid1(VALU_DEP_2)
	v_add_f64_e32 v[34:35], v[36:37], v[38:39]
	v_ldexp_f64 v[32:33], v[32:33], -2
	s_delay_alu instid0(VALU_DEP_2) | instskip(NEXT) | instid1(VALU_DEP_2)
	v_add_f64_e64 v[36:37], v[34:35], -v[36:37]
	v_add_f64_e32 v[30:31], v[30:31], v[32:33]
	s_delay_alu instid0(VALU_DEP_2) | instskip(NEXT) | instid1(VALU_DEP_1)
	v_add_f64_e64 v[32:33], v[38:39], -v[36:37]
	v_add_f64_e32 v[30:31], v[30:31], v[32:33]
	s_delay_alu instid0(VALU_DEP_1) | instskip(NEXT) | instid1(VALU_DEP_1)
	v_add_f64_e32 v[30:31], v[34:35], v[30:31]
	v_cndmask_b32_e64 v29, 0x7ff00000, v31, s4
	s_delay_alu instid0(VALU_DEP_2)
	v_cndmask_b32_e64 v28, 0, v30, s4
	global_store_b64 v[10:11], v[28:29], off
	s_wait_xcnt 0x0
	s_or_b32 exec_lo, exec_lo, s5
	s_and_saveexec_b32 s4, s3
	s_cbranch_execz .LBB85_13
.LBB85_17:                              ;   in Loop: Header=BB85_4 Depth=1
	v_add_f64_e32 v[28:29], 0xbfe62e42fefa39ef, v[26:27]
	v_cmp_nle_f64_e64 s3, s[16:17], v[26:27]
	s_delay_alu instid0(VALU_DEP_2) | instskip(NEXT) | instid1(VALU_DEP_1)
	v_add_f64_e64 v[30:31], v[28:29], -v[26:27]
	v_add_f64_e64 v[32:33], v[30:31], -v[28:29]
	v_add_f64_e32 v[30:31], 0x3fe62e42fefa39ef, v[30:31]
	s_delay_alu instid0(VALU_DEP_2) | instskip(NEXT) | instid1(VALU_DEP_1)
	v_add_f64_e32 v[32:33], v[26:27], v[32:33]
	v_add_f64_e64 v[30:31], v[32:33], -v[30:31]
	s_delay_alu instid0(VALU_DEP_1) | instskip(NEXT) | instid1(VALU_DEP_1)
	v_add_f64_e32 v[30:31], 0xbc7abc9e3b39803f, v[30:31]
	v_add_f64_e32 v[32:33], v[28:29], v[30:31]
	s_delay_alu instid0(VALU_DEP_1) | instskip(SKIP_1) | instid1(VALU_DEP_2)
	v_mul_f64_e32 v[34:35], 0x3ff71547652b82fe, v[32:33]
	v_add_f64_e64 v[28:29], v[28:29], -v[32:33]
	v_rndne_f64_e32 v[34:35], v[34:35]
	s_delay_alu instid0(VALU_DEP_2) | instskip(NEXT) | instid1(VALU_DEP_2)
	v_add_f64_e32 v[28:29], v[30:31], v[28:29]
	v_fmac_f64_e32 v[32:33], 0xbfe62e42fefa3000, v[34:35]
	v_mul_f64_e32 v[30:31], 0xbd53de6af278e000, v[34:35]
	s_delay_alu instid0(VALU_DEP_2) | instskip(NEXT) | instid1(VALU_DEP_1)
	v_add_f64_e32 v[36:37], v[28:29], v[32:33]
	v_add_f64_e32 v[38:39], v[36:37], v[30:31]
	v_add_f64_e64 v[32:33], v[32:33], -v[36:37]
	s_delay_alu instid0(VALU_DEP_2) | instskip(NEXT) | instid1(VALU_DEP_2)
	v_add_f64_e64 v[36:37], v[36:37], -v[38:39]
	v_add_f64_e32 v[28:29], v[28:29], v[32:33]
	s_delay_alu instid0(VALU_DEP_2) | instskip(NEXT) | instid1(VALU_DEP_1)
	v_add_f64_e32 v[30:31], v[36:37], v[30:31]
	v_add_f64_e32 v[28:29], v[28:29], v[30:31]
	v_mul_f64_e32 v[30:31], 0xbac9cc01f97b57a0, v[34:35]
	s_delay_alu instid0(VALU_DEP_2) | instskip(NEXT) | instid1(VALU_DEP_1)
	v_add_f64_e32 v[32:33], v[38:39], v[28:29]
	v_add_f64_e32 v[36:37], v[32:33], v[30:31]
	v_add_f64_e64 v[38:39], v[38:39], -v[32:33]
	s_delay_alu instid0(VALU_DEP_2) | instskip(NEXT) | instid1(VALU_DEP_2)
	v_add_f64_e64 v[32:33], v[32:33], -v[36:37]
	v_add_f64_e32 v[28:29], v[28:29], v[38:39]
	s_delay_alu instid0(VALU_DEP_2) | instskip(NEXT) | instid1(VALU_DEP_1)
	v_add_f64_e32 v[30:31], v[32:33], v[30:31]
	v_add_f64_e32 v[28:29], v[28:29], v[30:31]
	s_delay_alu instid0(VALU_DEP_1) | instskip(NEXT) | instid1(VALU_DEP_1)
	v_add_f64_e32 v[30:31], v[36:37], v[28:29]
	v_add_f64_e64 v[32:33], v[36:37], -v[30:31]
	v_mul_f64_e32 v[36:37], v[30:31], v[30:31]
	s_delay_alu instid0(VALU_DEP_2) | instskip(NEXT) | instid1(VALU_DEP_2)
	v_add_f64_e32 v[28:29], v[28:29], v[32:33]
	v_fma_f64 v[32:33], v[30:31], v[30:31], -v[36:37]
	s_delay_alu instid0(VALU_DEP_2) | instskip(NEXT) | instid1(VALU_DEP_1)
	v_add_f64_e32 v[38:39], v[28:29], v[28:29]
	v_fmac_f64_e32 v[32:33], v[30:31], v[38:39]
	v_fmamk_f64 v[38:39], v[30:31], 0x3e5ade156a5dcb37, v[6:7]
	s_delay_alu instid0(VALU_DEP_1) | instskip(NEXT) | instid1(VALU_DEP_1)
	v_fmaak_f64 v[38:39], v[30:31], v[38:39], 0x3ec71dee623fde64
	v_fmaak_f64 v[38:39], v[30:31], v[38:39], 0x3efa01997c89e6b0
	s_delay_alu instid0(VALU_DEP_1) | instskip(NEXT) | instid1(VALU_DEP_1)
	v_fmaak_f64 v[38:39], v[30:31], v[38:39], 0x3f2a01a014761f6e
	v_fmaak_f64 v[38:39], v[30:31], v[38:39], 0x3f56c16c1852b7b0
	v_add_f64_e32 v[40:41], v[36:37], v[32:33]
	s_delay_alu instid0(VALU_DEP_2) | instskip(NEXT) | instid1(VALU_DEP_1)
	v_fmaak_f64 v[38:39], v[30:31], v[38:39], 0x3f81111111122322
	v_fmaak_f64 v[38:39], v[30:31], v[38:39], 0x3fa55555555502a1
	s_delay_alu instid0(VALU_DEP_1) | instskip(NEXT) | instid1(VALU_DEP_1)
	v_fmaak_f64 v[38:39], v[30:31], v[38:39], 0x3fc5555555555511
	v_fmaak_f64 v[38:39], v[30:31], v[38:39], 0x3fe000000000000b
	v_add_f64_e64 v[36:37], v[40:41], -v[36:37]
	s_delay_alu instid0(VALU_DEP_2) | instskip(NEXT) | instid1(VALU_DEP_2)
	v_mul_f64_e32 v[42:43], v[40:41], v[38:39]
	v_add_f64_e64 v[32:33], v[32:33], -v[36:37]
	s_delay_alu instid0(VALU_DEP_2) | instskip(NEXT) | instid1(VALU_DEP_1)
	v_fma_f64 v[36:37], v[40:41], v[38:39], -v[42:43]
	v_fmac_f64_e32 v[36:37], v[32:33], v[38:39]
	s_delay_alu instid0(VALU_DEP_1) | instskip(NEXT) | instid1(VALU_DEP_1)
	v_add_f64_e32 v[32:33], v[42:43], v[36:37]
	v_add_f64_e32 v[38:39], v[30:31], v[32:33]
	v_add_f64_e64 v[40:41], v[32:33], -v[42:43]
	s_delay_alu instid0(VALU_DEP_2) | instskip(NEXT) | instid1(VALU_DEP_2)
	v_add_f64_e64 v[30:31], v[38:39], -v[30:31]
	v_add_f64_e64 v[36:37], v[36:37], -v[40:41]
	v_cvt_i32_f64_e32 v40, v[34:35]
	s_delay_alu instid0(VALU_DEP_3) | instskip(NEXT) | instid1(VALU_DEP_3)
	v_add_f64_e64 v[30:31], v[32:33], -v[30:31]
	v_add_f64_e32 v[28:29], v[28:29], v[36:37]
	s_delay_alu instid0(VALU_DEP_1) | instskip(NEXT) | instid1(VALU_DEP_1)
	v_add_f64_e32 v[28:29], v[28:29], v[30:31]
	v_add_f64_e32 v[30:31], v[38:39], v[28:29]
	s_delay_alu instid0(VALU_DEP_1) | instskip(SKIP_1) | instid1(VALU_DEP_2)
	v_add_f64_e32 v[32:33], 1.0, v[30:31]
	v_add_f64_e64 v[36:37], v[30:31], -v[38:39]
	v_add_f64_e32 v[38:39], -1.0, v[32:33]
	s_delay_alu instid0(VALU_DEP_2) | instskip(NEXT) | instid1(VALU_DEP_2)
	v_add_f64_e64 v[28:29], v[28:29], -v[36:37]
	v_add_f64_e64 v[30:31], v[30:31], -v[38:39]
	s_delay_alu instid0(VALU_DEP_1) | instskip(NEXT) | instid1(VALU_DEP_1)
	v_add_f64_e32 v[28:29], v[28:29], v[30:31]
	v_add_f64_e32 v[30:31], v[32:33], v[28:29]
	s_delay_alu instid0(VALU_DEP_1) | instskip(SKIP_1) | instid1(VALU_DEP_2)
	v_ldexp_f64 v[34:35], v[30:31], v40
	v_add_f64_e64 v[30:31], v[30:31], -v[32:33]
	v_rcp_f64_e32 v[36:37], v[34:35]
	s_delay_alu instid0(VALU_DEP_1) | instskip(NEXT) | instid1(VALU_DEP_1)
	v_add_f64_e64 v[28:29], v[28:29], -v[30:31]
	v_ldexp_f64 v[28:29], v[28:29], v40
	s_delay_alu instid0(TRANS32_DEP_1) | instskip(NEXT) | instid1(VALU_DEP_1)
	v_fma_f64 v[38:39], -v[34:35], v[36:37], 1.0
	v_fmac_f64_e32 v[36:37], v[38:39], v[36:37]
	s_delay_alu instid0(VALU_DEP_1) | instskip(NEXT) | instid1(VALU_DEP_1)
	v_fma_f64 v[38:39], -v[34:35], v[36:37], 1.0
	v_fmac_f64_e32 v[36:37], v[38:39], v[36:37]
	s_delay_alu instid0(VALU_DEP_1) | instskip(NEXT) | instid1(VALU_DEP_1)
	v_mul_f64_e32 v[30:31], v[34:35], v[36:37]
	v_fma_f64 v[32:33], v[36:37], v[34:35], -v[30:31]
	s_delay_alu instid0(VALU_DEP_1) | instskip(NEXT) | instid1(VALU_DEP_1)
	v_fmac_f64_e32 v[32:33], v[36:37], v[28:29]
	v_add_f64_e32 v[38:39], v[30:31], v[32:33]
	s_delay_alu instid0(VALU_DEP_1) | instskip(SKIP_1) | instid1(VALU_DEP_2)
	v_add_f64_e64 v[40:41], -v[38:39], 1.0
	v_add_f64_e64 v[30:31], v[38:39], -v[30:31]
	v_add_f64_e64 v[42:43], -v[40:41], 1.0
	s_delay_alu instid0(VALU_DEP_2) | instskip(NEXT) | instid1(VALU_DEP_2)
	v_add_f64_e64 v[30:31], v[30:31], -v[32:33]
	v_add_f64_e64 v[32:33], v[42:43], -v[38:39]
	s_delay_alu instid0(VALU_DEP_1) | instskip(NEXT) | instid1(VALU_DEP_1)
	v_add_f64_e32 v[30:31], v[30:31], v[32:33]
	v_add_f64_e32 v[32:33], v[40:41], v[30:31]
	s_delay_alu instid0(VALU_DEP_1) | instskip(SKIP_1) | instid1(VALU_DEP_2)
	v_mul_f64_e32 v[38:39], v[36:37], v[32:33]
	v_add_f64_e64 v[40:41], v[40:41], -v[32:33]
	v_mul_f64_e32 v[42:43], v[34:35], v[38:39]
	s_delay_alu instid0(VALU_DEP_2) | instskip(NEXT) | instid1(VALU_DEP_2)
	v_add_f64_e32 v[30:31], v[30:31], v[40:41]
	v_fma_f64 v[44:45], v[38:39], v[34:35], -v[42:43]
	s_delay_alu instid0(VALU_DEP_1) | instskip(NEXT) | instid1(VALU_DEP_1)
	v_fmac_f64_e32 v[44:45], v[38:39], v[28:29]
	v_add_f64_e32 v[46:47], v[42:43], v[44:45]
	s_delay_alu instid0(VALU_DEP_1) | instskip(SKIP_1) | instid1(VALU_DEP_2)
	v_add_f64_e64 v[48:49], v[32:33], -v[46:47]
	v_add_f64_e64 v[40:41], v[46:47], -v[42:43]
	;; [unrolled: 1-line block ×3, first 2 shown]
	s_delay_alu instid0(VALU_DEP_2) | instskip(NEXT) | instid1(VALU_DEP_2)
	v_add_f64_e64 v[40:41], v[40:41], -v[44:45]
	v_add_f64_e64 v[32:33], v[32:33], -v[46:47]
	s_delay_alu instid0(VALU_DEP_1) | instskip(SKIP_1) | instid1(VALU_DEP_2)
	v_add_f64_e32 v[30:31], v[30:31], v[32:33]
	v_add_f64_e32 v[32:33], v[36:37], v[38:39]
	;; [unrolled: 1-line block ×3, first 2 shown]
	s_delay_alu instid0(VALU_DEP_2) | instskip(NEXT) | instid1(VALU_DEP_2)
	v_add_f64_e64 v[40:41], v[32:33], -v[36:37]
	v_add_f64_e32 v[30:31], v[48:49], v[30:31]
	s_delay_alu instid0(VALU_DEP_2) | instskip(NEXT) | instid1(VALU_DEP_2)
	v_add_f64_e64 v[38:39], v[38:39], -v[40:41]
	v_mul_f64_e32 v[30:31], v[36:37], v[30:31]
	s_delay_alu instid0(VALU_DEP_1) | instskip(NEXT) | instid1(VALU_DEP_1)
	v_add_f64_e32 v[30:31], v[38:39], v[30:31]
	v_add_f64_e32 v[36:37], v[32:33], v[30:31]
	s_delay_alu instid0(VALU_DEP_1) | instskip(SKIP_1) | instid1(VALU_DEP_2)
	v_ldexp_f64 v[38:39], v[36:37], -2
	v_add_f64_e64 v[32:33], v[36:37], -v[32:33]
	v_add_f64_e32 v[36:37], v[34:35], v[38:39]
	s_delay_alu instid0(VALU_DEP_2) | instskip(NEXT) | instid1(VALU_DEP_2)
	v_add_f64_e64 v[30:31], v[30:31], -v[32:33]
	v_add_f64_e64 v[32:33], v[36:37], -v[34:35]
	s_delay_alu instid0(VALU_DEP_2) | instskip(NEXT) | instid1(VALU_DEP_2)
	v_ldexp_f64 v[30:31], v[30:31], -2
	v_add_f64_e64 v[32:33], v[38:39], -v[32:33]
	s_delay_alu instid0(VALU_DEP_2) | instskip(NEXT) | instid1(VALU_DEP_1)
	v_add_f64_e32 v[28:29], v[28:29], v[30:31]
	v_add_f64_e32 v[28:29], v[28:29], v[32:33]
	s_delay_alu instid0(VALU_DEP_1) | instskip(NEXT) | instid1(VALU_DEP_1)
	v_add_f64_e32 v[28:29], v[36:37], v[28:29]
	v_cndmask_b32_e64 v27, 0x7ff00000, v29, s3
	s_delay_alu instid0(VALU_DEP_2)
	v_cndmask_b32_e64 v26, 0, v28, s3
	global_store_b64 v[16:17], v[26:27], off
	s_wait_xcnt 0x0
	s_or_b32 exec_lo, exec_lo, s4
	s_and_saveexec_b32 s3, s2
	s_cbranch_execz .LBB85_14
.LBB85_18:                              ;   in Loop: Header=BB85_4 Depth=1
	v_add_f64_e32 v[26:27], 0xbfe62e42fefa39ef, v[24:25]
	v_cmp_nle_f64_e64 s2, s[16:17], v[24:25]
	s_delay_alu instid0(VALU_DEP_2) | instskip(NEXT) | instid1(VALU_DEP_1)
	v_add_f64_e64 v[28:29], v[26:27], -v[24:25]
	v_add_f64_e64 v[30:31], v[28:29], -v[26:27]
	v_add_f64_e32 v[28:29], 0x3fe62e42fefa39ef, v[28:29]
	s_delay_alu instid0(VALU_DEP_2) | instskip(NEXT) | instid1(VALU_DEP_1)
	v_add_f64_e32 v[30:31], v[24:25], v[30:31]
	v_add_f64_e64 v[28:29], v[30:31], -v[28:29]
	s_delay_alu instid0(VALU_DEP_1) | instskip(NEXT) | instid1(VALU_DEP_1)
	v_add_f64_e32 v[28:29], 0xbc7abc9e3b39803f, v[28:29]
	v_add_f64_e32 v[30:31], v[26:27], v[28:29]
	s_delay_alu instid0(VALU_DEP_1) | instskip(SKIP_1) | instid1(VALU_DEP_2)
	v_mul_f64_e32 v[32:33], 0x3ff71547652b82fe, v[30:31]
	v_add_f64_e64 v[26:27], v[26:27], -v[30:31]
	v_rndne_f64_e32 v[32:33], v[32:33]
	s_delay_alu instid0(VALU_DEP_2) | instskip(NEXT) | instid1(VALU_DEP_2)
	v_add_f64_e32 v[26:27], v[28:29], v[26:27]
	v_fmac_f64_e32 v[30:31], 0xbfe62e42fefa3000, v[32:33]
	v_mul_f64_e32 v[28:29], 0xbd53de6af278e000, v[32:33]
	s_delay_alu instid0(VALU_DEP_2) | instskip(NEXT) | instid1(VALU_DEP_1)
	v_add_f64_e32 v[34:35], v[26:27], v[30:31]
	v_add_f64_e32 v[36:37], v[34:35], v[28:29]
	v_add_f64_e64 v[30:31], v[30:31], -v[34:35]
	s_delay_alu instid0(VALU_DEP_2) | instskip(NEXT) | instid1(VALU_DEP_2)
	v_add_f64_e64 v[34:35], v[34:35], -v[36:37]
	v_add_f64_e32 v[26:27], v[26:27], v[30:31]
	s_delay_alu instid0(VALU_DEP_2) | instskip(NEXT) | instid1(VALU_DEP_1)
	v_add_f64_e32 v[28:29], v[34:35], v[28:29]
	v_add_f64_e32 v[26:27], v[26:27], v[28:29]
	v_mul_f64_e32 v[28:29], 0xbac9cc01f97b57a0, v[32:33]
	s_delay_alu instid0(VALU_DEP_2) | instskip(NEXT) | instid1(VALU_DEP_1)
	v_add_f64_e32 v[30:31], v[36:37], v[26:27]
	v_add_f64_e32 v[34:35], v[30:31], v[28:29]
	v_add_f64_e64 v[36:37], v[36:37], -v[30:31]
	s_delay_alu instid0(VALU_DEP_2) | instskip(NEXT) | instid1(VALU_DEP_2)
	v_add_f64_e64 v[30:31], v[30:31], -v[34:35]
	v_add_f64_e32 v[26:27], v[26:27], v[36:37]
	s_delay_alu instid0(VALU_DEP_2) | instskip(NEXT) | instid1(VALU_DEP_1)
	v_add_f64_e32 v[28:29], v[30:31], v[28:29]
	v_add_f64_e32 v[26:27], v[26:27], v[28:29]
	s_delay_alu instid0(VALU_DEP_1) | instskip(NEXT) | instid1(VALU_DEP_1)
	v_add_f64_e32 v[28:29], v[34:35], v[26:27]
	v_add_f64_e64 v[30:31], v[34:35], -v[28:29]
	v_mul_f64_e32 v[34:35], v[28:29], v[28:29]
	s_delay_alu instid0(VALU_DEP_2) | instskip(NEXT) | instid1(VALU_DEP_2)
	v_add_f64_e32 v[26:27], v[26:27], v[30:31]
	v_fma_f64 v[30:31], v[28:29], v[28:29], -v[34:35]
	s_delay_alu instid0(VALU_DEP_2) | instskip(NEXT) | instid1(VALU_DEP_1)
	v_add_f64_e32 v[36:37], v[26:27], v[26:27]
	v_fmac_f64_e32 v[30:31], v[28:29], v[36:37]
	v_fmamk_f64 v[36:37], v[28:29], 0x3e5ade156a5dcb37, v[6:7]
	s_delay_alu instid0(VALU_DEP_1) | instskip(NEXT) | instid1(VALU_DEP_1)
	v_fmaak_f64 v[36:37], v[28:29], v[36:37], 0x3ec71dee623fde64
	v_fmaak_f64 v[36:37], v[28:29], v[36:37], 0x3efa01997c89e6b0
	s_delay_alu instid0(VALU_DEP_1) | instskip(NEXT) | instid1(VALU_DEP_1)
	v_fmaak_f64 v[36:37], v[28:29], v[36:37], 0x3f2a01a014761f6e
	v_fmaak_f64 v[36:37], v[28:29], v[36:37], 0x3f56c16c1852b7b0
	v_add_f64_e32 v[38:39], v[34:35], v[30:31]
	s_delay_alu instid0(VALU_DEP_2) | instskip(NEXT) | instid1(VALU_DEP_1)
	v_fmaak_f64 v[36:37], v[28:29], v[36:37], 0x3f81111111122322
	v_fmaak_f64 v[36:37], v[28:29], v[36:37], 0x3fa55555555502a1
	s_delay_alu instid0(VALU_DEP_1) | instskip(NEXT) | instid1(VALU_DEP_1)
	v_fmaak_f64 v[36:37], v[28:29], v[36:37], 0x3fc5555555555511
	v_fmaak_f64 v[36:37], v[28:29], v[36:37], 0x3fe000000000000b
	v_add_f64_e64 v[34:35], v[38:39], -v[34:35]
	s_delay_alu instid0(VALU_DEP_2) | instskip(NEXT) | instid1(VALU_DEP_2)
	v_mul_f64_e32 v[40:41], v[38:39], v[36:37]
	v_add_f64_e64 v[30:31], v[30:31], -v[34:35]
	s_delay_alu instid0(VALU_DEP_2) | instskip(NEXT) | instid1(VALU_DEP_1)
	v_fma_f64 v[34:35], v[38:39], v[36:37], -v[40:41]
	v_fmac_f64_e32 v[34:35], v[30:31], v[36:37]
	s_delay_alu instid0(VALU_DEP_1) | instskip(NEXT) | instid1(VALU_DEP_1)
	v_add_f64_e32 v[30:31], v[40:41], v[34:35]
	v_add_f64_e32 v[36:37], v[28:29], v[30:31]
	v_add_f64_e64 v[38:39], v[30:31], -v[40:41]
	s_delay_alu instid0(VALU_DEP_2) | instskip(NEXT) | instid1(VALU_DEP_2)
	v_add_f64_e64 v[28:29], v[36:37], -v[28:29]
	v_add_f64_e64 v[34:35], v[34:35], -v[38:39]
	v_cvt_i32_f64_e32 v38, v[32:33]
	s_delay_alu instid0(VALU_DEP_3) | instskip(NEXT) | instid1(VALU_DEP_3)
	v_add_f64_e64 v[28:29], v[30:31], -v[28:29]
	v_add_f64_e32 v[26:27], v[26:27], v[34:35]
	s_delay_alu instid0(VALU_DEP_1) | instskip(NEXT) | instid1(VALU_DEP_1)
	v_add_f64_e32 v[26:27], v[26:27], v[28:29]
	v_add_f64_e32 v[28:29], v[36:37], v[26:27]
	s_delay_alu instid0(VALU_DEP_1) | instskip(SKIP_1) | instid1(VALU_DEP_2)
	v_add_f64_e32 v[30:31], 1.0, v[28:29]
	v_add_f64_e64 v[34:35], v[28:29], -v[36:37]
	v_add_f64_e32 v[36:37], -1.0, v[30:31]
	s_delay_alu instid0(VALU_DEP_2) | instskip(NEXT) | instid1(VALU_DEP_2)
	v_add_f64_e64 v[26:27], v[26:27], -v[34:35]
	v_add_f64_e64 v[28:29], v[28:29], -v[36:37]
	s_delay_alu instid0(VALU_DEP_1) | instskip(NEXT) | instid1(VALU_DEP_1)
	v_add_f64_e32 v[26:27], v[26:27], v[28:29]
	v_add_f64_e32 v[28:29], v[30:31], v[26:27]
	s_delay_alu instid0(VALU_DEP_1) | instskip(SKIP_1) | instid1(VALU_DEP_2)
	v_ldexp_f64 v[32:33], v[28:29], v38
	v_add_f64_e64 v[28:29], v[28:29], -v[30:31]
	v_rcp_f64_e32 v[34:35], v[32:33]
	s_delay_alu instid0(VALU_DEP_1) | instskip(NEXT) | instid1(VALU_DEP_1)
	v_add_f64_e64 v[26:27], v[26:27], -v[28:29]
	v_ldexp_f64 v[26:27], v[26:27], v38
	s_delay_alu instid0(TRANS32_DEP_1) | instskip(NEXT) | instid1(VALU_DEP_1)
	v_fma_f64 v[36:37], -v[32:33], v[34:35], 1.0
	v_fmac_f64_e32 v[34:35], v[36:37], v[34:35]
	s_delay_alu instid0(VALU_DEP_1) | instskip(NEXT) | instid1(VALU_DEP_1)
	v_fma_f64 v[36:37], -v[32:33], v[34:35], 1.0
	v_fmac_f64_e32 v[34:35], v[36:37], v[34:35]
	s_delay_alu instid0(VALU_DEP_1) | instskip(NEXT) | instid1(VALU_DEP_1)
	v_mul_f64_e32 v[28:29], v[32:33], v[34:35]
	v_fma_f64 v[30:31], v[34:35], v[32:33], -v[28:29]
	s_delay_alu instid0(VALU_DEP_1) | instskip(NEXT) | instid1(VALU_DEP_1)
	v_fmac_f64_e32 v[30:31], v[34:35], v[26:27]
	v_add_f64_e32 v[36:37], v[28:29], v[30:31]
	s_delay_alu instid0(VALU_DEP_1) | instskip(SKIP_1) | instid1(VALU_DEP_2)
	v_add_f64_e64 v[38:39], -v[36:37], 1.0
	v_add_f64_e64 v[28:29], v[36:37], -v[28:29]
	v_add_f64_e64 v[40:41], -v[38:39], 1.0
	s_delay_alu instid0(VALU_DEP_2) | instskip(NEXT) | instid1(VALU_DEP_2)
	v_add_f64_e64 v[28:29], v[28:29], -v[30:31]
	v_add_f64_e64 v[30:31], v[40:41], -v[36:37]
	s_delay_alu instid0(VALU_DEP_1) | instskip(NEXT) | instid1(VALU_DEP_1)
	v_add_f64_e32 v[28:29], v[28:29], v[30:31]
	v_add_f64_e32 v[30:31], v[38:39], v[28:29]
	s_delay_alu instid0(VALU_DEP_1) | instskip(SKIP_1) | instid1(VALU_DEP_2)
	v_mul_f64_e32 v[36:37], v[34:35], v[30:31]
	v_add_f64_e64 v[38:39], v[38:39], -v[30:31]
	v_mul_f64_e32 v[40:41], v[32:33], v[36:37]
	s_delay_alu instid0(VALU_DEP_2) | instskip(NEXT) | instid1(VALU_DEP_2)
	v_add_f64_e32 v[28:29], v[28:29], v[38:39]
	v_fma_f64 v[42:43], v[36:37], v[32:33], -v[40:41]
	s_delay_alu instid0(VALU_DEP_1) | instskip(NEXT) | instid1(VALU_DEP_1)
	v_fmac_f64_e32 v[42:43], v[36:37], v[26:27]
	v_add_f64_e32 v[44:45], v[40:41], v[42:43]
	s_delay_alu instid0(VALU_DEP_1) | instskip(SKIP_1) | instid1(VALU_DEP_2)
	v_add_f64_e64 v[46:47], v[30:31], -v[44:45]
	v_add_f64_e64 v[38:39], v[44:45], -v[40:41]
	;; [unrolled: 1-line block ×3, first 2 shown]
	s_delay_alu instid0(VALU_DEP_2) | instskip(NEXT) | instid1(VALU_DEP_2)
	v_add_f64_e64 v[38:39], v[38:39], -v[42:43]
	v_add_f64_e64 v[30:31], v[30:31], -v[44:45]
	s_delay_alu instid0(VALU_DEP_1) | instskip(SKIP_1) | instid1(VALU_DEP_2)
	v_add_f64_e32 v[28:29], v[28:29], v[30:31]
	v_add_f64_e32 v[30:31], v[34:35], v[36:37]
	;; [unrolled: 1-line block ×3, first 2 shown]
	s_delay_alu instid0(VALU_DEP_2) | instskip(NEXT) | instid1(VALU_DEP_2)
	v_add_f64_e64 v[38:39], v[30:31], -v[34:35]
	v_add_f64_e32 v[28:29], v[46:47], v[28:29]
	s_delay_alu instid0(VALU_DEP_2) | instskip(NEXT) | instid1(VALU_DEP_2)
	v_add_f64_e64 v[36:37], v[36:37], -v[38:39]
	v_mul_f64_e32 v[28:29], v[34:35], v[28:29]
	s_delay_alu instid0(VALU_DEP_1) | instskip(NEXT) | instid1(VALU_DEP_1)
	v_add_f64_e32 v[28:29], v[36:37], v[28:29]
	v_add_f64_e32 v[34:35], v[30:31], v[28:29]
	s_delay_alu instid0(VALU_DEP_1) | instskip(SKIP_1) | instid1(VALU_DEP_2)
	v_ldexp_f64 v[36:37], v[34:35], -2
	v_add_f64_e64 v[30:31], v[34:35], -v[30:31]
	v_add_f64_e32 v[34:35], v[32:33], v[36:37]
	s_delay_alu instid0(VALU_DEP_2) | instskip(NEXT) | instid1(VALU_DEP_2)
	v_add_f64_e64 v[28:29], v[28:29], -v[30:31]
	v_add_f64_e64 v[30:31], v[34:35], -v[32:33]
	s_delay_alu instid0(VALU_DEP_2) | instskip(NEXT) | instid1(VALU_DEP_2)
	v_ldexp_f64 v[28:29], v[28:29], -2
	v_add_f64_e64 v[30:31], v[36:37], -v[30:31]
	s_delay_alu instid0(VALU_DEP_2) | instskip(NEXT) | instid1(VALU_DEP_1)
	v_add_f64_e32 v[26:27], v[26:27], v[28:29]
	v_add_f64_e32 v[26:27], v[26:27], v[30:31]
	s_delay_alu instid0(VALU_DEP_1) | instskip(NEXT) | instid1(VALU_DEP_1)
	v_add_f64_e32 v[26:27], v[34:35], v[26:27]
	v_cndmask_b32_e64 v25, 0x7ff00000, v27, s2
	s_delay_alu instid0(VALU_DEP_2)
	v_cndmask_b32_e64 v24, 0, v26, s2
	global_store_b64 v[22:23], v[24:25], off
	s_wait_xcnt 0x0
	s_or_b32 exec_lo, exec_lo, s3
	s_and_saveexec_b32 s2, vcc_lo
	s_cbranch_execz .LBB85_3
.LBB85_19:                              ;   in Loop: Header=BB85_4 Depth=1
	v_add_f64_e32 v[22:23], 0xbfe62e42fefa39ef, v[18:19]
	v_cmp_nle_f64_e32 vcc_lo, s[16:17], v[18:19]
	s_delay_alu instid0(VALU_DEP_2) | instskip(NEXT) | instid1(VALU_DEP_1)
	v_add_f64_e64 v[24:25], v[22:23], -v[18:19]
	v_add_f64_e64 v[26:27], v[24:25], -v[22:23]
	v_add_f64_e32 v[24:25], 0x3fe62e42fefa39ef, v[24:25]
	s_delay_alu instid0(VALU_DEP_2) | instskip(NEXT) | instid1(VALU_DEP_1)
	v_add_f64_e32 v[26:27], v[18:19], v[26:27]
	v_add_f64_e64 v[24:25], v[26:27], -v[24:25]
	s_delay_alu instid0(VALU_DEP_1) | instskip(NEXT) | instid1(VALU_DEP_1)
	v_add_f64_e32 v[24:25], 0xbc7abc9e3b39803f, v[24:25]
	v_add_f64_e32 v[26:27], v[22:23], v[24:25]
	s_delay_alu instid0(VALU_DEP_1) | instskip(SKIP_1) | instid1(VALU_DEP_2)
	v_mul_f64_e32 v[28:29], 0x3ff71547652b82fe, v[26:27]
	v_add_f64_e64 v[22:23], v[22:23], -v[26:27]
	v_rndne_f64_e32 v[28:29], v[28:29]
	s_delay_alu instid0(VALU_DEP_2) | instskip(NEXT) | instid1(VALU_DEP_2)
	v_add_f64_e32 v[22:23], v[24:25], v[22:23]
	v_fmac_f64_e32 v[26:27], 0xbfe62e42fefa3000, v[28:29]
	v_mul_f64_e32 v[24:25], 0xbd53de6af278e000, v[28:29]
	s_delay_alu instid0(VALU_DEP_2) | instskip(NEXT) | instid1(VALU_DEP_1)
	v_add_f64_e32 v[30:31], v[22:23], v[26:27]
	v_add_f64_e32 v[32:33], v[30:31], v[24:25]
	v_add_f64_e64 v[26:27], v[26:27], -v[30:31]
	s_delay_alu instid0(VALU_DEP_2) | instskip(NEXT) | instid1(VALU_DEP_2)
	v_add_f64_e64 v[30:31], v[30:31], -v[32:33]
	v_add_f64_e32 v[22:23], v[22:23], v[26:27]
	s_delay_alu instid0(VALU_DEP_2) | instskip(NEXT) | instid1(VALU_DEP_1)
	v_add_f64_e32 v[24:25], v[30:31], v[24:25]
	v_add_f64_e32 v[22:23], v[22:23], v[24:25]
	v_mul_f64_e32 v[24:25], 0xbac9cc01f97b57a0, v[28:29]
	s_delay_alu instid0(VALU_DEP_2) | instskip(NEXT) | instid1(VALU_DEP_1)
	v_add_f64_e32 v[26:27], v[32:33], v[22:23]
	v_add_f64_e32 v[30:31], v[26:27], v[24:25]
	v_add_f64_e64 v[32:33], v[32:33], -v[26:27]
	s_delay_alu instid0(VALU_DEP_2) | instskip(NEXT) | instid1(VALU_DEP_2)
	v_add_f64_e64 v[26:27], v[26:27], -v[30:31]
	v_add_f64_e32 v[22:23], v[22:23], v[32:33]
	s_delay_alu instid0(VALU_DEP_2) | instskip(NEXT) | instid1(VALU_DEP_1)
	v_add_f64_e32 v[24:25], v[26:27], v[24:25]
	v_add_f64_e32 v[22:23], v[22:23], v[24:25]
	s_delay_alu instid0(VALU_DEP_1) | instskip(NEXT) | instid1(VALU_DEP_1)
	v_add_f64_e32 v[24:25], v[30:31], v[22:23]
	v_add_f64_e64 v[26:27], v[30:31], -v[24:25]
	v_mul_f64_e32 v[30:31], v[24:25], v[24:25]
	s_delay_alu instid0(VALU_DEP_2) | instskip(NEXT) | instid1(VALU_DEP_2)
	v_add_f64_e32 v[22:23], v[22:23], v[26:27]
	v_fma_f64 v[26:27], v[24:25], v[24:25], -v[30:31]
	s_delay_alu instid0(VALU_DEP_2) | instskip(NEXT) | instid1(VALU_DEP_1)
	v_add_f64_e32 v[32:33], v[22:23], v[22:23]
	v_fmac_f64_e32 v[26:27], v[24:25], v[32:33]
	v_fmamk_f64 v[32:33], v[24:25], 0x3e5ade156a5dcb37, v[6:7]
	s_delay_alu instid0(VALU_DEP_1) | instskip(NEXT) | instid1(VALU_DEP_1)
	v_fmaak_f64 v[32:33], v[24:25], v[32:33], 0x3ec71dee623fde64
	v_fmaak_f64 v[32:33], v[24:25], v[32:33], 0x3efa01997c89e6b0
	s_delay_alu instid0(VALU_DEP_1) | instskip(NEXT) | instid1(VALU_DEP_1)
	v_fmaak_f64 v[32:33], v[24:25], v[32:33], 0x3f2a01a014761f6e
	v_fmaak_f64 v[32:33], v[24:25], v[32:33], 0x3f56c16c1852b7b0
	v_add_f64_e32 v[34:35], v[30:31], v[26:27]
	s_delay_alu instid0(VALU_DEP_2) | instskip(NEXT) | instid1(VALU_DEP_1)
	v_fmaak_f64 v[32:33], v[24:25], v[32:33], 0x3f81111111122322
	v_fmaak_f64 v[32:33], v[24:25], v[32:33], 0x3fa55555555502a1
	s_delay_alu instid0(VALU_DEP_1) | instskip(NEXT) | instid1(VALU_DEP_1)
	v_fmaak_f64 v[32:33], v[24:25], v[32:33], 0x3fc5555555555511
	v_fmaak_f64 v[32:33], v[24:25], v[32:33], 0x3fe000000000000b
	v_add_f64_e64 v[30:31], v[34:35], -v[30:31]
	s_delay_alu instid0(VALU_DEP_2) | instskip(NEXT) | instid1(VALU_DEP_2)
	v_mul_f64_e32 v[36:37], v[34:35], v[32:33]
	v_add_f64_e64 v[26:27], v[26:27], -v[30:31]
	s_delay_alu instid0(VALU_DEP_2) | instskip(NEXT) | instid1(VALU_DEP_1)
	v_fma_f64 v[30:31], v[34:35], v[32:33], -v[36:37]
	v_fmac_f64_e32 v[30:31], v[26:27], v[32:33]
	s_delay_alu instid0(VALU_DEP_1) | instskip(NEXT) | instid1(VALU_DEP_1)
	v_add_f64_e32 v[26:27], v[36:37], v[30:31]
	v_add_f64_e32 v[32:33], v[24:25], v[26:27]
	v_add_f64_e64 v[34:35], v[26:27], -v[36:37]
	s_delay_alu instid0(VALU_DEP_2) | instskip(NEXT) | instid1(VALU_DEP_2)
	v_add_f64_e64 v[24:25], v[32:33], -v[24:25]
	v_add_f64_e64 v[30:31], v[30:31], -v[34:35]
	v_cvt_i32_f64_e32 v34, v[28:29]
	s_delay_alu instid0(VALU_DEP_3) | instskip(NEXT) | instid1(VALU_DEP_3)
	v_add_f64_e64 v[24:25], v[26:27], -v[24:25]
	v_add_f64_e32 v[22:23], v[22:23], v[30:31]
	s_delay_alu instid0(VALU_DEP_1) | instskip(NEXT) | instid1(VALU_DEP_1)
	v_add_f64_e32 v[22:23], v[22:23], v[24:25]
	v_add_f64_e32 v[24:25], v[32:33], v[22:23]
	s_delay_alu instid0(VALU_DEP_1) | instskip(SKIP_1) | instid1(VALU_DEP_2)
	v_add_f64_e32 v[26:27], 1.0, v[24:25]
	v_add_f64_e64 v[30:31], v[24:25], -v[32:33]
	v_add_f64_e32 v[32:33], -1.0, v[26:27]
	s_delay_alu instid0(VALU_DEP_2) | instskip(NEXT) | instid1(VALU_DEP_2)
	v_add_f64_e64 v[22:23], v[22:23], -v[30:31]
	v_add_f64_e64 v[24:25], v[24:25], -v[32:33]
	s_delay_alu instid0(VALU_DEP_1) | instskip(NEXT) | instid1(VALU_DEP_1)
	v_add_f64_e32 v[22:23], v[22:23], v[24:25]
	v_add_f64_e32 v[24:25], v[26:27], v[22:23]
	s_delay_alu instid0(VALU_DEP_1) | instskip(SKIP_1) | instid1(VALU_DEP_2)
	v_ldexp_f64 v[28:29], v[24:25], v34
	v_add_f64_e64 v[24:25], v[24:25], -v[26:27]
	v_rcp_f64_e32 v[30:31], v[28:29]
	s_delay_alu instid0(VALU_DEP_1) | instskip(NEXT) | instid1(VALU_DEP_1)
	v_add_f64_e64 v[22:23], v[22:23], -v[24:25]
	v_ldexp_f64 v[22:23], v[22:23], v34
	s_delay_alu instid0(TRANS32_DEP_1) | instskip(NEXT) | instid1(VALU_DEP_1)
	v_fma_f64 v[32:33], -v[28:29], v[30:31], 1.0
	v_fmac_f64_e32 v[30:31], v[32:33], v[30:31]
	s_delay_alu instid0(VALU_DEP_1) | instskip(NEXT) | instid1(VALU_DEP_1)
	v_fma_f64 v[32:33], -v[28:29], v[30:31], 1.0
	v_fmac_f64_e32 v[30:31], v[32:33], v[30:31]
	s_delay_alu instid0(VALU_DEP_1) | instskip(NEXT) | instid1(VALU_DEP_1)
	v_mul_f64_e32 v[24:25], v[28:29], v[30:31]
	v_fma_f64 v[26:27], v[30:31], v[28:29], -v[24:25]
	s_delay_alu instid0(VALU_DEP_1) | instskip(NEXT) | instid1(VALU_DEP_1)
	v_fmac_f64_e32 v[26:27], v[30:31], v[22:23]
	v_add_f64_e32 v[32:33], v[24:25], v[26:27]
	s_delay_alu instid0(VALU_DEP_1) | instskip(SKIP_1) | instid1(VALU_DEP_2)
	v_add_f64_e64 v[34:35], -v[32:33], 1.0
	v_add_f64_e64 v[24:25], v[32:33], -v[24:25]
	v_add_f64_e64 v[36:37], -v[34:35], 1.0
	s_delay_alu instid0(VALU_DEP_2) | instskip(NEXT) | instid1(VALU_DEP_2)
	v_add_f64_e64 v[24:25], v[24:25], -v[26:27]
	v_add_f64_e64 v[26:27], v[36:37], -v[32:33]
	s_delay_alu instid0(VALU_DEP_1) | instskip(NEXT) | instid1(VALU_DEP_1)
	v_add_f64_e32 v[24:25], v[24:25], v[26:27]
	v_add_f64_e32 v[26:27], v[34:35], v[24:25]
	s_delay_alu instid0(VALU_DEP_1) | instskip(SKIP_1) | instid1(VALU_DEP_2)
	v_mul_f64_e32 v[32:33], v[30:31], v[26:27]
	v_add_f64_e64 v[34:35], v[34:35], -v[26:27]
	v_mul_f64_e32 v[36:37], v[28:29], v[32:33]
	s_delay_alu instid0(VALU_DEP_2) | instskip(NEXT) | instid1(VALU_DEP_2)
	v_add_f64_e32 v[24:25], v[24:25], v[34:35]
	v_fma_f64 v[38:39], v[32:33], v[28:29], -v[36:37]
	s_delay_alu instid0(VALU_DEP_1) | instskip(NEXT) | instid1(VALU_DEP_1)
	v_fmac_f64_e32 v[38:39], v[32:33], v[22:23]
	v_add_f64_e32 v[40:41], v[36:37], v[38:39]
	s_delay_alu instid0(VALU_DEP_1) | instskip(SKIP_1) | instid1(VALU_DEP_2)
	v_add_f64_e64 v[42:43], v[26:27], -v[40:41]
	v_add_f64_e64 v[34:35], v[40:41], -v[36:37]
	;; [unrolled: 1-line block ×3, first 2 shown]
	s_delay_alu instid0(VALU_DEP_2) | instskip(NEXT) | instid1(VALU_DEP_2)
	v_add_f64_e64 v[34:35], v[34:35], -v[38:39]
	v_add_f64_e64 v[26:27], v[26:27], -v[40:41]
	s_delay_alu instid0(VALU_DEP_1) | instskip(SKIP_1) | instid1(VALU_DEP_2)
	v_add_f64_e32 v[24:25], v[24:25], v[26:27]
	v_add_f64_e32 v[26:27], v[30:31], v[32:33]
	;; [unrolled: 1-line block ×3, first 2 shown]
	s_delay_alu instid0(VALU_DEP_2) | instskip(NEXT) | instid1(VALU_DEP_2)
	v_add_f64_e64 v[34:35], v[26:27], -v[30:31]
	v_add_f64_e32 v[24:25], v[42:43], v[24:25]
	s_delay_alu instid0(VALU_DEP_2) | instskip(NEXT) | instid1(VALU_DEP_2)
	v_add_f64_e64 v[32:33], v[32:33], -v[34:35]
	v_mul_f64_e32 v[24:25], v[30:31], v[24:25]
	s_delay_alu instid0(VALU_DEP_1) | instskip(NEXT) | instid1(VALU_DEP_1)
	v_add_f64_e32 v[24:25], v[32:33], v[24:25]
	v_add_f64_e32 v[30:31], v[26:27], v[24:25]
	s_delay_alu instid0(VALU_DEP_1) | instskip(SKIP_1) | instid1(VALU_DEP_2)
	v_ldexp_f64 v[32:33], v[30:31], -2
	v_add_f64_e64 v[26:27], v[30:31], -v[26:27]
	v_add_f64_e32 v[30:31], v[28:29], v[32:33]
	s_delay_alu instid0(VALU_DEP_2) | instskip(NEXT) | instid1(VALU_DEP_2)
	v_add_f64_e64 v[24:25], v[24:25], -v[26:27]
	v_add_f64_e64 v[26:27], v[30:31], -v[28:29]
	s_delay_alu instid0(VALU_DEP_2) | instskip(NEXT) | instid1(VALU_DEP_2)
	v_ldexp_f64 v[24:25], v[24:25], -2
	v_add_f64_e64 v[26:27], v[32:33], -v[26:27]
	s_delay_alu instid0(VALU_DEP_2) | instskip(NEXT) | instid1(VALU_DEP_1)
	v_add_f64_e32 v[22:23], v[22:23], v[24:25]
	v_add_f64_e32 v[22:23], v[22:23], v[26:27]
	s_delay_alu instid0(VALU_DEP_1) | instskip(NEXT) | instid1(VALU_DEP_1)
	v_add_f64_e32 v[22:23], v[30:31], v[22:23]
	v_cndmask_b32_e32 v19, 0x7ff00000, v23, vcc_lo
	s_delay_alu instid0(VALU_DEP_2)
	v_cndmask_b32_e32 v18, 0, v22, vcc_lo
	global_store_b64 v[20:21], v[18:19], off
	s_branch .LBB85_3
.LBB85_20:
	s_cbranch_execz .LBB85_22
	s_branch .LBB85_25
.LBB85_21:
.LBB85_22:
	v_min_i64 v[10:11], 0x10000, s[10:11]
	v_dual_mov_b32 v3, 0 :: v_dual_lshlrev_b32 v2, 2, v0
	s_mov_b32 s2, exec_lo
	s_delay_alu instid0(VALU_DEP_1)
	v_cmpx_lt_i64_e64 v[2:3], v[10:11]
	s_cbranch_execz .LBB85_25
; %bb.23:
	s_load_b32 s2, s[0:1], 0xd3c
	v_dual_mov_b32 v1, v3 :: v_dual_lshlrev_b32 v2, 5, v0
	s_wait_xcnt 0x0
	s_add_nc_u64 s[0:1], s[6:7], s[8:9]
	v_mov_b64_e32 v[12:13], 0x3e928af3fca7ab0c
	s_mov_b32 s9, 0
	v_add_nc_u64_e32 v[4:5], s[0:1], v[2:3]
	s_mov_b64 s[4:5], 0xbfe62e42fefa39ef
	s_mov_b64 s[6:7], 0x408633ce8fb9f87e
	s_mov_b32 s11, s9
	s_mov_b32 s3, s9
                                        ; implicit-def: $vgpr2_vgpr3
                                        ; implicit-def: $vgpr2_vgpr3
	;; [unrolled: 1-line block ×8, first 2 shown]
	s_delay_alu instid0(VALU_DEP_1) | instskip(SKIP_2) | instid1(SALU_CYCLE_1)
	v_add_nc_u64_e32 v[14:15], 16, v[4:5]
	s_wait_kmcnt 0x0
	s_and_b32 s8, s2, 0xffff
	s_lshl_b32 s10, s8, 5
.LBB85_24:                              ; =>This Inner Loop Header: Depth=1
	s_clause 0x1
	global_load_b128 v[6:9], v[14:15], off offset:-16
	global_load_b128 v[2:5], v[14:15], off
	v_add_nc_u64_e32 v[0:1], s[8:9], v[0:1]
	s_wait_loadcnt 0x1
	v_add_f64_e64 v[16:17], |v[6:7]|, s[4:5]
	v_add_f64_e64 v[18:19], |v[8:9]|, s[4:5]
	s_wait_loadcnt 0x0
	v_add_f64_e64 v[24:25], |v[2:3]|, s[4:5]
	v_add_f64_e64 v[26:27], |v[4:5]|, s[4:5]
	v_cmp_nge_f64_e64 vcc_lo, |v[6:7]|, s[6:7]
	v_cmp_nge_f64_e64 s0, |v[8:9]|, s[6:7]
	v_cmp_nge_f64_e64 s1, |v[2:3]|, s[6:7]
	v_cmp_nge_f64_e64 s2, |v[4:5]|, s[6:7]
	v_add_f64_e64 v[20:21], v[16:17], -|v[6:7]|
	v_add_f64_e64 v[22:23], v[18:19], -|v[8:9]|
	;; [unrolled: 1-line block ×4, first 2 shown]
	s_delay_alu instid0(VALU_DEP_4) | instskip(NEXT) | instid1(VALU_DEP_4)
	v_add_f64_e64 v[28:29], v[20:21], -v[16:17]
	v_add_f64_e64 v[30:31], v[22:23], -v[18:19]
	v_add_f64_e32 v[20:21], 0x3fe62e42fefa39ef, v[20:21]
	v_add_f64_e32 v[22:23], 0x3fe62e42fefa39ef, v[22:23]
	v_add_f64_e64 v[36:37], v[32:33], -v[24:25]
	v_add_f64_e64 v[38:39], v[34:35], -v[26:27]
	v_add_f64_e64 v[28:29], |v[6:7]|, v[28:29]
	v_add_f64_e64 v[30:31], |v[8:9]|, v[30:31]
	s_delay_alu instid0(VALU_DEP_2) | instskip(NEXT) | instid1(VALU_DEP_2)
	v_add_f64_e64 v[20:21], v[28:29], -v[20:21]
	v_add_f64_e64 v[22:23], v[30:31], -v[22:23]
	v_add_f64_e32 v[28:29], 0x3fe62e42fefa39ef, v[32:33]
	v_add_f64_e32 v[30:31], 0x3fe62e42fefa39ef, v[34:35]
	v_add_f64_e64 v[32:33], |v[2:3]|, v[36:37]
	v_add_f64_e64 v[34:35], |v[4:5]|, v[38:39]
	v_add_f64_e32 v[20:21], 0xbc7abc9e3b39803f, v[20:21]
	v_add_f64_e32 v[36:37], 0xbc7abc9e3b39803f, v[22:23]
	s_delay_alu instid0(VALU_DEP_4) | instskip(NEXT) | instid1(VALU_DEP_4)
	v_add_f64_e64 v[22:23], v[32:33], -v[28:29]
	v_add_f64_e64 v[28:29], v[34:35], -v[30:31]
	s_delay_alu instid0(VALU_DEP_4) | instskip(NEXT) | instid1(VALU_DEP_4)
	v_add_f64_e32 v[30:31], v[16:17], v[20:21]
	v_add_f64_e32 v[32:33], v[18:19], v[36:37]
	s_delay_alu instid0(VALU_DEP_4) | instskip(NEXT) | instid1(VALU_DEP_4)
	v_add_f64_e32 v[34:35], 0xbc7abc9e3b39803f, v[22:23]
	v_add_f64_e32 v[28:29], 0xbc7abc9e3b39803f, v[28:29]
	s_delay_alu instid0(VALU_DEP_4) | instskip(NEXT) | instid1(VALU_DEP_4)
	v_mul_f64_e32 v[22:23], 0x3ff71547652b82fe, v[30:31]
	v_mul_f64_e32 v[38:39], 0x3ff71547652b82fe, v[32:33]
	v_add_f64_e64 v[44:45], v[16:17], -v[30:31]
	v_add_f64_e64 v[18:19], v[18:19], -v[32:33]
	v_add_f64_e32 v[40:41], v[24:25], v[34:35]
	v_add_f64_e32 v[42:43], v[26:27], v[28:29]
	v_rndne_f64_e32 v[22:23], v[22:23]
	v_rndne_f64_e32 v[16:17], v[38:39]
	v_add_f64_e32 v[44:45], v[20:21], v[44:45]
	v_add_f64_e32 v[36:37], v[36:37], v[18:19]
	v_mul_f64_e32 v[38:39], 0x3ff71547652b82fe, v[40:41]
	v_mul_f64_e32 v[46:47], 0x3ff71547652b82fe, v[42:43]
	v_add_f64_e64 v[24:25], v[24:25], -v[40:41]
	v_add_f64_e64 v[26:27], v[26:27], -v[42:43]
	v_fmac_f64_e32 v[30:31], 0xbfe62e42fefa3000, v[22:23]
	v_fmac_f64_e32 v[32:33], 0xbfe62e42fefa3000, v[16:17]
	v_mul_f64_e32 v[48:49], 0x3d53de6af278e000, v[16:17]
	v_rndne_f64_e32 v[20:21], v[38:39]
	v_rndne_f64_e32 v[18:19], v[46:47]
	v_mul_f64_e32 v[38:39], 0x3d53de6af278e000, v[22:23]
	v_add_f64_e32 v[24:25], v[34:35], v[24:25]
	v_add_f64_e32 v[26:27], v[28:29], v[26:27]
	v_add_f64_e32 v[46:47], v[44:45], v[30:31]
	v_add_f64_e32 v[50:51], v[36:37], v[32:33]
	v_fmac_f64_e32 v[40:41], 0xbfe62e42fefa3000, v[20:21]
	v_fmac_f64_e32 v[42:43], 0xbfe62e42fefa3000, v[18:19]
	v_mul_f64_e32 v[52:53], 0x3d53de6af278e000, v[20:21]
	v_mul_f64_e32 v[54:55], 0x3d53de6af278e000, v[18:19]
	v_add_f64_e64 v[28:29], v[46:47], -v[38:39]
	v_add_f64_e64 v[34:35], v[50:51], -v[48:49]
	;; [unrolled: 1-line block ×4, first 2 shown]
	v_add_f64_e32 v[56:57], v[24:25], v[40:41]
	v_add_f64_e32 v[58:59], v[26:27], v[42:43]
	v_add_f64_e64 v[46:47], v[46:47], -v[28:29]
	v_add_f64_e64 v[50:51], v[50:51], -v[34:35]
	v_add_f64_e32 v[30:31], v[44:45], v[30:31]
	v_add_f64_e32 v[32:33], v[36:37], v[32:33]
	v_add_f64_e64 v[60:61], v[56:57], -v[52:53]
	v_add_f64_e64 v[62:63], v[58:59], -v[54:55]
	;; [unrolled: 1-line block ×6, first 2 shown]
	v_mul_f64_e32 v[48:49], 0x3ac9cc01f97b57a0, v[20:21]
	v_mul_f64_e32 v[50:51], 0x3ac9cc01f97b57a0, v[18:19]
	v_add_f64_e64 v[44:45], v[56:57], -v[60:61]
	v_add_f64_e64 v[46:47], v[58:59], -v[62:63]
	v_add_f64_e32 v[24:25], v[24:25], v[40:41]
	v_add_f64_e32 v[26:27], v[26:27], v[42:43]
	v_mul_f64_e32 v[40:41], 0x3ac9cc01f97b57a0, v[22:23]
	v_add_f64_e32 v[30:31], v[30:31], v[38:39]
	v_add_f64_e32 v[32:33], v[32:33], v[36:37]
	v_add_f64_e64 v[36:37], v[44:45], -v[52:53]
	v_add_f64_e64 v[38:39], v[46:47], -v[54:55]
	v_mul_f64_e32 v[44:45], 0x3ac9cc01f97b57a0, v[16:17]
	v_add_f64_e32 v[42:43], v[28:29], v[30:31]
	v_add_f64_e32 v[46:47], v[34:35], v[32:33]
	v_add_f64_e32 v[24:25], v[24:25], v[36:37]
	v_add_f64_e32 v[26:27], v[26:27], v[38:39]
	s_delay_alu instid0(VALU_DEP_4) | instskip(NEXT) | instid1(VALU_DEP_4)
	v_add_f64_e64 v[36:37], v[42:43], -v[40:41]
	v_add_f64_e64 v[38:39], v[46:47], -v[44:45]
	;; [unrolled: 1-line block ×4, first 2 shown]
	v_add_f64_e32 v[52:53], v[60:61], v[24:25]
	v_add_f64_e32 v[54:55], v[62:63], v[26:27]
	v_add_f64_e64 v[42:43], v[42:43], -v[36:37]
	v_add_f64_e64 v[46:47], v[46:47], -v[38:39]
	v_add_f64_e32 v[28:29], v[30:31], v[28:29]
	v_add_f64_e32 v[32:33], v[32:33], v[34:35]
	v_add_f64_e64 v[56:57], v[52:53], -v[48:49]
	v_add_f64_e64 v[58:59], v[54:55], -v[50:51]
	;; [unrolled: 1-line block ×8, first 2 shown]
	v_add_f64_e32 v[28:29], v[28:29], v[30:31]
	v_add_f64_e32 v[30:31], v[32:33], v[34:35]
	;; [unrolled: 1-line block ×4, first 2 shown]
	v_add_f64_e64 v[32:33], v[44:45], -v[48:49]
	v_add_f64_e64 v[34:35], v[46:47], -v[50:51]
	v_add_f64_e32 v[40:41], v[36:37], v[28:29]
	v_add_f64_e32 v[42:43], v[38:39], v[30:31]
	s_delay_alu instid0(VALU_DEP_4) | instskip(NEXT) | instid1(VALU_DEP_4)
	v_add_f64_e32 v[24:25], v[24:25], v[32:33]
	v_add_f64_e32 v[26:27], v[26:27], v[34:35]
	s_delay_alu instid0(VALU_DEP_4) | instskip(NEXT) | instid1(VALU_DEP_4)
	v_add_f64_e64 v[32:33], v[36:37], -v[40:41]
	v_add_f64_e64 v[34:35], v[38:39], -v[42:43]
	v_mul_f64_e32 v[44:45], v[40:41], v[40:41]
	v_fmamk_f64 v[60:61], v[42:43], 0x3e5ade156a5dcb37, v[12:13]
	v_add_f64_e32 v[36:37], v[56:57], v[24:25]
	v_add_f64_e32 v[38:39], v[58:59], v[26:27]
	;; [unrolled: 1-line block ×3, first 2 shown]
	v_mul_f64_e32 v[32:33], v[42:43], v[42:43]
	v_add_f64_e32 v[30:31], v[30:31], v[34:35]
	v_fma_f64 v[48:49], v[40:41], v[40:41], -v[44:45]
	v_add_f64_e64 v[34:35], v[56:57], -v[36:37]
	v_add_f64_e64 v[46:47], v[58:59], -v[38:39]
	v_mul_f64_e32 v[58:59], v[36:37], v[36:37]
	v_fmamk_f64 v[56:57], v[40:41], 0x3e5ade156a5dcb37, v[12:13]
	v_fmamk_f64 v[68:69], v[36:37], 0x3e5ade156a5dcb37, v[12:13]
	;; [unrolled: 1-line block ×3, first 2 shown]
	s_delay_alu instid0(VALU_DEP_1) | instskip(NEXT) | instid1(VALU_DEP_1)
	v_fmaak_f64 v[70:71], v[38:39], v[70:71], 0x3ec71dee623fde64
	v_fmaak_f64 v[70:71], v[38:39], v[70:71], 0x3efa01997c89e6b0
	s_delay_alu instid0(VALU_DEP_1)
	v_fmaak_f64 v[70:71], v[38:39], v[70:71], 0x3f2a01a014761f6e
	v_add_f64_e32 v[50:51], v[28:29], v[28:29]
	v_fma_f64 v[52:53], v[42:43], v[42:43], -v[32:33]
	v_add_f64_e32 v[54:55], v[30:31], v[30:31]
	v_add_f64_e32 v[24:25], v[24:25], v[34:35]
	v_mul_f64_e32 v[34:35], v[38:39], v[38:39]
	v_add_f64_e32 v[26:27], v[26:27], v[46:47]
	v_fmaak_f64 v[46:47], v[40:41], v[56:57], 0x3ec71dee623fde64
	v_fmaak_f64 v[70:71], v[38:39], v[70:71], 0x3f56c16c1852b7b0
	s_delay_alu instid0(VALU_DEP_2) | instskip(NEXT) | instid1(VALU_DEP_1)
	v_fmaak_f64 v[46:47], v[40:41], v[46:47], 0x3efa01997c89e6b0
	v_fmaak_f64 v[46:47], v[40:41], v[46:47], 0x3f2a01a014761f6e
	s_delay_alu instid0(VALU_DEP_1)
	v_fmaak_f64 v[46:47], v[40:41], v[46:47], 0x3f56c16c1852b7b0
	v_fmac_f64_e32 v[48:49], v[40:41], v[50:51]
	v_fmaak_f64 v[50:51], v[42:43], v[60:61], 0x3ec71dee623fde64
	v_fmac_f64_e32 v[52:53], v[42:43], v[54:55]
	v_fma_f64 v[54:55], v[36:37], v[36:37], -v[58:59]
	v_add_f64_e32 v[56:57], v[24:25], v[24:25]
	v_fma_f64 v[60:61], v[38:39], v[38:39], -v[34:35]
	v_add_f64_e32 v[62:63], v[26:27], v[26:27]
	v_fmaak_f64 v[46:47], v[40:41], v[46:47], 0x3f81111111122322
	v_fmaak_f64 v[50:51], v[42:43], v[50:51], 0x3efa01997c89e6b0
	s_delay_alu instid0(VALU_DEP_2) | instskip(NEXT) | instid1(VALU_DEP_2)
	v_fmaak_f64 v[46:47], v[40:41], v[46:47], 0x3fa55555555502a1
	v_fmaak_f64 v[50:51], v[42:43], v[50:51], 0x3f2a01a014761f6e
	s_delay_alu instid0(VALU_DEP_2) | instskip(NEXT) | instid1(VALU_DEP_2)
	;; [unrolled: 3-line block ×3, first 2 shown]
	v_fmaak_f64 v[46:47], v[40:41], v[46:47], 0x3fe000000000000b
	v_fmaak_f64 v[50:51], v[42:43], v[50:51], 0x3f81111111122322
	v_add_f64_e32 v[64:65], v[44:45], v[48:49]
	v_add_f64_e32 v[66:67], v[32:33], v[52:53]
	s_delay_alu instid0(VALU_DEP_3) | instskip(SKIP_3) | instid1(VALU_DEP_4)
	v_fmaak_f64 v[50:51], v[42:43], v[50:51], 0x3fa55555555502a1
	v_fmac_f64_e32 v[54:55], v[36:37], v[56:57]
	v_fmaak_f64 v[56:57], v[36:37], v[68:69], 0x3ec71dee623fde64
	v_fmac_f64_e32 v[60:61], v[38:39], v[62:63]
	v_fmaak_f64 v[50:51], v[42:43], v[50:51], 0x3fc5555555555511
	s_delay_alu instid0(VALU_DEP_3) | instskip(NEXT) | instid1(VALU_DEP_2)
	v_fmaak_f64 v[56:57], v[36:37], v[56:57], 0x3efa01997c89e6b0
	v_fmaak_f64 v[50:51], v[42:43], v[50:51], 0x3fe000000000000b
	s_delay_alu instid0(VALU_DEP_2) | instskip(NEXT) | instid1(VALU_DEP_1)
	v_fmaak_f64 v[56:57], v[36:37], v[56:57], 0x3f2a01a014761f6e
	v_fmaak_f64 v[56:57], v[36:37], v[56:57], 0x3f56c16c1852b7b0
	v_add_f64_e64 v[44:45], v[64:65], -v[44:45]
	v_mul_f64_e32 v[62:63], v[64:65], v[46:47]
	v_add_f64_e64 v[32:33], v[66:67], -v[32:33]
	v_mul_f64_e32 v[68:69], v[66:67], v[50:51]
	v_fmaak_f64 v[56:57], v[36:37], v[56:57], 0x3f81111111122322
	v_add_f64_e32 v[72:73], v[58:59], v[54:55]
	v_add_f64_e32 v[74:75], v[34:35], v[60:61]
	s_delay_alu instid0(VALU_DEP_3) | instskip(NEXT) | instid1(VALU_DEP_1)
	v_fmaak_f64 v[56:57], v[36:37], v[56:57], 0x3fa55555555502a1
	v_fmaak_f64 v[56:57], v[36:37], v[56:57], 0x3fc5555555555511
	s_delay_alu instid0(VALU_DEP_1)
	v_fmaak_f64 v[56:57], v[36:37], v[56:57], 0x3fe000000000000b
	v_add_f64_e64 v[44:45], v[48:49], -v[44:45]
	v_fma_f64 v[48:49], v[64:65], v[46:47], -v[62:63]
	v_add_f64_e64 v[32:33], v[52:53], -v[32:33]
	v_fma_f64 v[52:53], v[66:67], v[50:51], -v[68:69]
	v_fmaak_f64 v[64:65], v[38:39], v[70:71], 0x3f81111111122322
	v_add_f64_e64 v[58:59], v[72:73], -v[58:59]
	v_mul_f64_e32 v[66:67], v[72:73], v[56:57]
	v_add_f64_e64 v[34:35], v[74:75], -v[34:35]
	s_delay_alu instid0(VALU_DEP_4) | instskip(NEXT) | instid1(VALU_DEP_1)
	v_fmaak_f64 v[64:65], v[38:39], v[64:65], 0x3fa55555555502a1
	v_fmaak_f64 v[64:65], v[38:39], v[64:65], 0x3fc5555555555511
	s_delay_alu instid0(VALU_DEP_1) | instskip(NEXT) | instid1(VALU_DEP_1)
	v_fmaak_f64 v[64:65], v[38:39], v[64:65], 0x3fe000000000000b
	v_mul_f64_e32 v[70:71], v[74:75], v[64:65]
	v_fmac_f64_e32 v[48:49], v[44:45], v[46:47]
	v_fmac_f64_e32 v[52:53], v[32:33], v[50:51]
	v_add_f64_e64 v[32:33], v[54:55], -v[58:59]
	v_fma_f64 v[44:45], v[72:73], v[56:57], -v[66:67]
	v_add_f64_e64 v[34:35], v[60:61], -v[34:35]
	v_fma_f64 v[46:47], v[74:75], v[64:65], -v[70:71]
	v_add_f64_e32 v[50:51], v[62:63], v[48:49]
	v_add_f64_e32 v[54:55], v[68:69], v[52:53]
	v_fmac_f64_e32 v[44:45], v[32:33], v[56:57]
	s_delay_alu instid0(VALU_DEP_4) | instskip(NEXT) | instid1(VALU_DEP_4)
	v_fmac_f64_e32 v[46:47], v[34:35], v[64:65]
	v_add_f64_e32 v[32:33], v[40:41], v[50:51]
	v_add_f64_e64 v[34:35], v[50:51], -v[62:63]
	v_add_f64_e32 v[56:57], v[42:43], v[54:55]
	v_add_f64_e64 v[58:59], v[54:55], -v[68:69]
	v_add_f64_e32 v[60:61], v[66:67], v[44:45]
	v_add_f64_e32 v[62:63], v[70:71], v[46:47]
	v_add_f64_e64 v[40:41], v[32:33], -v[40:41]
	v_add_f64_e64 v[34:35], v[48:49], -v[34:35]
	;; [unrolled: 1-line block ×4, first 2 shown]
	v_add_f64_e32 v[52:53], v[36:37], v[60:61]
	v_add_f64_e64 v[58:59], v[60:61], -v[66:67]
	v_cvt_i32_f64_e32 v66, v[20:21]
	v_cvt_i32_f64_e32 v67, v[18:19]
	v_add_f64_e32 v[64:65], v[38:39], v[62:63]
	v_add_f64_e64 v[40:41], v[50:51], -v[40:41]
	v_add_f64_e32 v[28:29], v[28:29], v[34:35]
	v_add_f64_e64 v[34:35], v[54:55], -v[42:43]
	;; [unrolled: 2-line block ×3, first 2 shown]
	v_add_f64_e64 v[36:37], v[52:53], -v[36:37]
	v_add_f64_e64 v[44:45], v[44:45], -v[58:59]
	;; [unrolled: 1-line block ×3, first 2 shown]
	v_add_f64_e32 v[28:29], v[28:29], v[40:41]
	v_add_f64_e32 v[30:31], v[30:31], v[34:35]
	v_add_f64_e64 v[34:35], v[46:47], -v[42:43]
	v_add_f64_e64 v[36:37], v[60:61], -v[36:37]
	v_add_f64_e32 v[24:25], v[24:25], v[44:45]
	v_add_f64_e64 v[38:39], v[62:63], -v[38:39]
	v_add_f64_e32 v[40:41], v[32:33], v[28:29]
	v_add_f64_e32 v[42:43], v[56:57], v[30:31]
	;; [unrolled: 1-line block ×4, first 2 shown]
	s_delay_alu instid0(VALU_DEP_4)
	v_add_f64_e32 v[34:35], 1.0, v[40:41]
	v_add_f64_e64 v[32:33], v[40:41], -v[32:33]
	v_add_f64_e32 v[36:37], 1.0, v[42:43]
	v_add_f64_e32 v[26:27], v[26:27], v[38:39]
	v_add_f64_e64 v[46:47], v[42:43], -v[56:57]
	v_add_f64_e32 v[38:39], v[52:53], v[24:25]
	v_add_f64_e32 v[44:45], -1.0, v[34:35]
	v_add_f64_e64 v[28:29], v[28:29], -v[32:33]
	v_add_f64_e32 v[48:49], -1.0, v[36:37]
	v_add_f64_e32 v[50:51], v[64:65], v[26:27]
	v_add_f64_e64 v[30:31], v[30:31], -v[46:47]
	v_add_f64_e32 v[54:55], 1.0, v[38:39]
	v_add_f64_e64 v[32:33], v[40:41], -v[44:45]
	v_add_f64_e64 v[44:45], v[38:39], -v[52:53]
	;; [unrolled: 1-line block ×3, first 2 shown]
	v_add_f64_e32 v[42:43], 1.0, v[50:51]
	v_add_f64_e32 v[46:47], -1.0, v[54:55]
	v_add_f64_e32 v[32:33], v[28:29], v[32:33]
	v_add_f64_e64 v[28:29], v[50:51], -v[64:65]
	v_add_f64_e32 v[40:41], v[30:31], v[40:41]
	v_add_f64_e32 v[30:31], -1.0, v[42:43]
	v_cvt_i32_f64_e32 v64, v[22:23]
	v_add_f64_e64 v[22:23], v[24:25], -v[44:45]
	v_add_f64_e64 v[24:25], v[38:39], -v[46:47]
	v_cvt_i32_f64_e32 v65, v[16:17]
	v_add_f64_e32 v[38:39], v[34:35], v[32:33]
	v_add_f64_e64 v[26:27], v[26:27], -v[28:29]
	v_add_f64_e32 v[44:45], v[36:37], v[40:41]
	v_add_f64_e64 v[28:29], v[50:51], -v[30:31]
	v_add_f64_e32 v[46:47], v[22:23], v[24:25]
	v_ldexp_f64 v[16:17], v[38:39], v64
	v_add_f64_e64 v[34:35], v[38:39], -v[34:35]
	v_ldexp_f64 v[22:23], v[44:45], v65
	v_add_f64_e32 v[48:49], v[26:27], v[28:29]
	v_add_f64_e64 v[36:37], v[44:45], -v[36:37]
	v_add_f64_e32 v[50:51], v[54:55], v[46:47]
	v_rcp_f64_e32 v[24:25], v[16:17]
	v_add_f64_e64 v[32:33], v[32:33], -v[34:35]
	v_rcp_f64_e32 v[26:27], v[22:23]
	s_delay_alu instid0(VALU_DEP_4) | instskip(NEXT) | instid1(VALU_DEP_4)
	v_add_f64_e32 v[52:53], v[42:43], v[48:49]
	v_add_f64_e64 v[34:35], v[40:41], -v[36:37]
	s_delay_alu instid0(VALU_DEP_4)
	v_ldexp_f64 v[20:21], v[50:51], v66
	v_add_f64_e64 v[50:51], v[50:51], -v[54:55]
	v_ldexp_f64 v[32:33], v[32:33], v64
	v_ldexp_f64 v[18:19], v[52:53], v67
	v_add_f64_e64 v[42:43], v[52:53], -v[42:43]
	v_ldexp_f64 v[34:35], v[34:35], v65
	s_delay_alu instid0(TRANS32_DEP_2) | instskip(SKIP_1) | instid1(TRANS32_DEP_2)
	v_fma_f64 v[56:57], -v[16:17], v[24:25], 1.0
	v_rcp_f64_e32 v[30:31], v[20:21]
	v_fma_f64 v[58:59], -v[22:23], v[26:27], 1.0
	v_rcp_f64_e32 v[28:29], v[18:19]
	s_delay_alu instid0(VALU_DEP_2) | instskip(NEXT) | instid1(VALU_DEP_2)
	v_fmac_f64_e32 v[24:25], v[56:57], v[24:25]
	v_fmac_f64_e32 v[26:27], v[58:59], v[26:27]
	s_delay_alu instid0(TRANS32_DEP_2) | instskip(NEXT) | instid1(VALU_DEP_3)
	v_fma_f64 v[56:57], -v[20:21], v[30:31], 1.0
	v_fma_f64 v[58:59], -v[16:17], v[24:25], 1.0
	s_delay_alu instid0(VALU_DEP_3) | instskip(NEXT) | instid1(TRANS32_DEP_1)
	v_fma_f64 v[60:61], -v[22:23], v[26:27], 1.0
	v_fma_f64 v[62:63], -v[18:19], v[28:29], 1.0
	s_delay_alu instid0(VALU_DEP_4) | instskip(NEXT) | instid1(VALU_DEP_4)
	v_fmac_f64_e32 v[30:31], v[56:57], v[30:31]
	v_fmac_f64_e32 v[24:25], v[58:59], v[24:25]
	s_delay_alu instid0(VALU_DEP_4) | instskip(NEXT) | instid1(VALU_DEP_4)
	v_fmac_f64_e32 v[26:27], v[60:61], v[26:27]
	v_fmac_f64_e32 v[28:29], v[62:63], v[28:29]
	s_delay_alu instid0(VALU_DEP_4) | instskip(NEXT) | instid1(VALU_DEP_4)
	v_fma_f64 v[38:39], -v[20:21], v[30:31], 1.0
	v_mul_f64_e32 v[44:45], v[16:17], v[24:25]
	s_delay_alu instid0(VALU_DEP_4) | instskip(NEXT) | instid1(VALU_DEP_4)
	v_mul_f64_e32 v[40:41], v[22:23], v[26:27]
	v_fma_f64 v[36:37], -v[18:19], v[28:29], 1.0
	s_delay_alu instid0(VALU_DEP_4)
	v_fmac_f64_e32 v[30:31], v[38:39], v[30:31]
	v_add_f64_e64 v[38:39], v[48:49], -v[42:43]
	v_fma_f64 v[52:53], v[24:25], v[16:17], -v[44:45]
	v_fma_f64 v[54:55], v[26:27], v[22:23], -v[40:41]
	v_fmac_f64_e32 v[28:29], v[36:37], v[28:29]
	v_add_f64_e64 v[36:37], v[46:47], -v[50:51]
	v_mul_f64_e32 v[46:47], v[20:21], v[30:31]
	v_ldexp_f64 v[38:39], v[38:39], v67
	v_fmac_f64_e32 v[52:53], v[24:25], v[32:33]
	v_fmac_f64_e32 v[54:55], v[26:27], v[34:35]
	v_mul_f64_e32 v[42:43], v[18:19], v[28:29]
	v_ldexp_f64 v[36:37], v[36:37], v66
	v_fma_f64 v[48:49], v[30:31], v[20:21], -v[46:47]
	v_add_f64_e32 v[50:51], v[44:45], v[52:53]
	v_add_f64_e32 v[56:57], v[40:41], v[54:55]
	v_fma_f64 v[58:59], v[28:29], v[18:19], -v[42:43]
	s_delay_alu instid0(VALU_DEP_4) | instskip(NEXT) | instid1(VALU_DEP_4)
	v_fmac_f64_e32 v[48:49], v[30:31], v[36:37]
	v_add_f64_e64 v[60:61], -v[50:51], 1.0
	v_add_f64_e64 v[44:45], v[50:51], -v[44:45]
	v_add_f64_e64 v[62:63], -v[56:57], 1.0
	v_fmac_f64_e32 v[58:59], v[28:29], v[38:39]
	v_add_f64_e64 v[40:41], v[56:57], -v[40:41]
	v_add_f64_e32 v[64:65], v[46:47], v[48:49]
	v_add_f64_e64 v[66:67], -v[60:61], 1.0
	v_add_f64_e64 v[44:45], v[44:45], -v[52:53]
	v_add_f64_e64 v[68:69], -v[62:63], 1.0
	v_add_f64_e32 v[70:71], v[42:43], v[58:59]
	v_add_f64_e64 v[40:41], v[40:41], -v[54:55]
	v_add_f64_e64 v[72:73], -v[64:65], 1.0
	v_add_f64_e64 v[46:47], v[64:65], -v[46:47]
	v_add_f64_e64 v[50:51], v[66:67], -v[50:51]
	;; [unrolled: 1-line block ×3, first 2 shown]
	v_add_f64_e64 v[54:55], -v[70:71], 1.0
	v_add_f64_e64 v[42:43], v[70:71], -v[42:43]
	v_add_f64_e64 v[46:47], v[46:47], -v[48:49]
	v_add_f64_e32 v[44:45], v[44:45], v[50:51]
	v_add_f64_e64 v[50:51], -v[72:73], 1.0
	v_add_f64_e32 v[40:41], v[40:41], v[52:53]
	v_add_f64_e64 v[52:53], -v[54:55], 1.0
	v_add_f64_e64 v[42:43], v[42:43], -v[58:59]
	v_add_f64_e32 v[48:49], v[60:61], v[44:45]
	v_add_f64_e64 v[50:51], v[50:51], -v[64:65]
	v_add_f64_e32 v[56:57], v[62:63], v[40:41]
	v_add_f64_e64 v[52:53], v[52:53], -v[70:71]
	s_delay_alu instid0(VALU_DEP_4) | instskip(NEXT) | instid1(VALU_DEP_4)
	v_mul_f64_e32 v[58:59], v[24:25], v[48:49]
	v_add_f64_e32 v[46:47], v[46:47], v[50:51]
	s_delay_alu instid0(VALU_DEP_4) | instskip(NEXT) | instid1(VALU_DEP_4)
	v_mul_f64_e32 v[50:51], v[26:27], v[56:57]
	v_add_f64_e32 v[42:43], v[42:43], v[52:53]
	v_add_f64_e64 v[60:61], v[60:61], -v[48:49]
	v_add_f64_e64 v[62:63], v[62:63], -v[56:57]
	v_mul_f64_e32 v[52:53], v[16:17], v[58:59]
	v_add_f64_e32 v[64:65], v[72:73], v[46:47]
	v_mul_f64_e32 v[66:67], v[22:23], v[50:51]
	v_add_f64_e32 v[68:69], v[54:55], v[42:43]
	v_add_f64_e32 v[44:45], v[44:45], v[60:61]
	;; [unrolled: 1-line block ×3, first 2 shown]
	v_fma_f64 v[70:71], v[58:59], v[16:17], -v[52:53]
	v_mul_f64_e32 v[74:75], v[30:31], v[64:65]
	v_fma_f64 v[76:77], v[50:51], v[22:23], -v[66:67]
	v_mul_f64_e32 v[78:79], v[28:29], v[68:69]
	v_add_f64_e64 v[72:73], v[72:73], -v[64:65]
	v_add_f64_e64 v[54:55], v[54:55], -v[68:69]
	v_fmac_f64_e32 v[70:71], v[58:59], v[32:33]
	v_mul_f64_e32 v[80:81], v[20:21], v[74:75]
	v_fmac_f64_e32 v[76:77], v[50:51], v[34:35]
	v_mul_f64_e32 v[82:83], v[18:19], v[78:79]
	v_add_f64_e32 v[46:47], v[46:47], v[72:73]
	v_add_f64_e32 v[42:43], v[42:43], v[54:55]
	;; [unrolled: 1-line block ×3, first 2 shown]
	v_fma_f64 v[86:87], v[74:75], v[20:21], -v[80:81]
	v_add_f64_e32 v[88:89], v[66:67], v[76:77]
	v_fma_f64 v[90:91], v[78:79], v[18:19], -v[82:83]
	s_delay_alu instid0(VALU_DEP_4) | instskip(NEXT) | instid1(VALU_DEP_4)
	v_add_f64_e64 v[60:61], v[48:49], -v[84:85]
	v_fmac_f64_e32 v[86:87], v[74:75], v[36:37]
	s_delay_alu instid0(VALU_DEP_4) | instskip(NEXT) | instid1(VALU_DEP_4)
	v_add_f64_e64 v[62:63], v[56:57], -v[88:89]
	v_fmac_f64_e32 v[90:91], v[78:79], v[38:39]
	v_add_f64_e64 v[52:53], v[84:85], -v[52:53]
	v_add_f64_e64 v[66:67], v[88:89], -v[66:67]
	;; [unrolled: 1-line block ×3, first 2 shown]
	v_add_f64_e32 v[54:55], v[80:81], v[86:87]
	v_add_f64_e64 v[56:57], v[56:57], -v[62:63]
	v_add_f64_e32 v[72:73], v[82:83], v[90:91]
	v_add_f64_e64 v[52:53], v[52:53], -v[70:71]
	v_add_f64_e64 v[48:49], v[48:49], -v[84:85]
	;; [unrolled: 1-line block ×6, first 2 shown]
	v_add_f64_e32 v[44:45], v[44:45], v[48:49]
	v_add_f64_e64 v[64:65], v[64:65], -v[84:85]
	v_add_f64_e64 v[48:49], v[66:67], -v[76:77]
	;; [unrolled: 1-line block ×3, first 2 shown]
	v_add_f64_e32 v[40:41], v[40:41], v[56:57]
	v_add_f64_e64 v[56:57], v[80:81], -v[86:87]
	v_add_f64_e32 v[44:45], v[52:53], v[44:45]
	v_add_f64_e64 v[54:55], v[64:65], -v[54:55]
	v_add_f64_e64 v[64:65], v[72:73], -v[82:83]
	;; [unrolled: 1-line block ×3, first 2 shown]
	v_add_f64_e32 v[52:53], v[26:27], v[50:51]
	v_add_f64_e32 v[40:41], v[48:49], v[40:41]
	;; [unrolled: 1-line block ×5, first 2 shown]
	v_add_f64_e64 v[54:55], v[64:65], -v[90:91]
	v_add_f64_e32 v[42:43], v[42:43], v[68:69]
	v_add_f64_e32 v[64:65], v[24:25], v[58:59]
	v_add_f64_e64 v[60:61], v[52:53], -v[26:27]
	v_add_f64_e32 v[40:41], v[62:63], v[40:41]
	v_add_f64_e64 v[62:63], v[48:49], -v[30:31]
	v_add_f64_e32 v[46:47], v[56:57], v[46:47]
	v_add_f64_e32 v[56:57], v[28:29], v[78:79]
	;; [unrolled: 1-line block ×3, first 2 shown]
	v_add_f64_e64 v[54:55], v[64:65], -v[24:25]
	v_mul_f64_e32 v[24:25], v[24:25], v[44:45]
	v_add_f64_e64 v[44:45], v[50:51], -v[60:61]
	v_mul_f64_e32 v[26:27], v[26:27], v[40:41]
	v_add_f64_e64 v[40:41], v[74:75], -v[62:63]
	v_add_f64_e32 v[46:47], v[84:85], v[46:47]
	v_add_f64_e64 v[66:67], v[56:57], -v[28:29]
	v_add_f64_e32 v[42:43], v[88:89], v[42:43]
	;; [unrolled: 2-line block ×3, first 2 shown]
	v_mul_f64_e32 v[30:31], v[30:31], v[46:47]
	v_add_f64_e64 v[46:47], v[78:79], -v[66:67]
	v_mul_f64_e32 v[28:29], v[28:29], v[42:43]
	v_add_f64_e32 v[24:25], v[54:55], v[24:25]
	v_add_f64_e32 v[42:43], v[52:53], v[26:27]
	;; [unrolled: 1-line block ×3, first 2 shown]
	s_delay_alu instid0(VALU_DEP_4) | instskip(NEXT) | instid1(VALU_DEP_4)
	v_add_f64_e32 v[28:29], v[46:47], v[28:29]
	v_add_f64_e32 v[40:41], v[64:65], v[24:25]
	s_delay_alu instid0(VALU_DEP_4)
	v_ldexp_f64 v[54:55], v[42:43], -2
	v_add_f64_e64 v[42:43], v[42:43], -v[52:53]
	v_add_f64_e32 v[44:45], v[48:49], v[30:31]
	v_add_f64_e32 v[46:47], v[56:57], v[28:29]
	v_ldexp_f64 v[50:51], v[40:41], -2
	v_add_f64_e64 v[40:41], v[40:41], -v[64:65]
	v_add_f64_e64 v[26:27], v[26:27], -v[42:43]
	v_ldexp_f64 v[52:53], v[44:45], -2
	v_add_f64_e64 v[44:45], v[44:45], -v[48:49]
	v_ldexp_f64 v[48:49], v[46:47], -2
	v_add_f64_e64 v[46:47], v[46:47], -v[56:57]
	v_add_f64_e32 v[56:57], v[16:17], v[50:51]
	v_add_f64_e64 v[24:25], v[24:25], -v[40:41]
	v_add_f64_e32 v[40:41], v[22:23], v[54:55]
	v_ldexp_f64 v[26:27], v[26:27], -2
	v_add_f64_e32 v[42:43], v[20:21], v[52:53]
	v_add_f64_e64 v[30:31], v[30:31], -v[44:45]
	v_add_f64_e32 v[44:45], v[18:19], v[48:49]
	v_add_f64_e64 v[28:29], v[28:29], -v[46:47]
	v_add_f64_e64 v[16:17], v[56:57], -v[16:17]
	v_ldexp_f64 v[24:25], v[24:25], -2
	v_add_f64_e64 v[22:23], v[40:41], -v[22:23]
	v_add_f64_e32 v[26:27], v[34:35], v[26:27]
	v_add_f64_e64 v[20:21], v[42:43], -v[20:21]
	v_ldexp_f64 v[30:31], v[30:31], -2
	v_add_f64_e64 v[18:19], v[44:45], -v[18:19]
	v_ldexp_f64 v[28:29], v[28:29], -2
	v_add_f64_e64 v[16:17], v[50:51], -v[16:17]
	v_add_f64_e32 v[24:25], v[32:33], v[24:25]
	v_add_f64_e64 v[22:23], v[54:55], -v[22:23]
	v_add_f64_e64 v[20:21], v[52:53], -v[20:21]
	v_add_f64_e32 v[30:31], v[36:37], v[30:31]
	v_add_f64_e64 v[18:19], v[48:49], -v[18:19]
	v_add_f64_e32 v[28:29], v[38:39], v[28:29]
	v_add_f64_e32 v[16:17], v[24:25], v[16:17]
	;; [unrolled: 1-line block ×4, first 2 shown]
	s_delay_alu instid0(VALU_DEP_4) | instskip(NEXT) | instid1(VALU_DEP_4)
	v_add_f64_e32 v[18:19], v[28:29], v[18:19]
	v_add_f64_e32 v[16:17], v[56:57], v[16:17]
	s_delay_alu instid0(VALU_DEP_4) | instskip(NEXT) | instid1(VALU_DEP_4)
	v_add_f64_e32 v[6:7], v[40:41], v[22:23]
	v_add_f64_e32 v[8:9], v[42:43], v[20:21]
	v_lshlrev_b64_e32 v[20:21], 2, v[0:1]
	v_add_f64_e32 v[18:19], v[44:45], v[18:19]
	v_cndmask_b32_e32 v3, 0x7ff00000, v17, vcc_lo
	v_cndmask_b32_e32 v2, 0, v16, vcc_lo
	v_cndmask_b32_e64 v5, 0x7ff00000, v7, s0
	v_cndmask_b32_e64 v4, 0, v6, s0
	v_cmp_ge_i64_e32 vcc_lo, v[20:21], v[10:11]
	s_or_b32 s3, vcc_lo, s3
	v_cndmask_b32_e64 v7, 0x7ff00000, v9, s1
	v_cndmask_b32_e64 v6, 0, v8, s1
	;; [unrolled: 1-line block ×4, first 2 shown]
	s_clause 0x1
	global_store_b128 v[14:15], v[2:5], off offset:-16
	global_store_b128 v[14:15], v[6:9], off
	s_wait_xcnt 0x0
	v_add_nc_u64_e32 v[14:15], s[10:11], v[14:15]
	s_and_not1_b32 exec_lo, exec_lo, s3
	s_cbranch_execnz .LBB85_24
.LBB85_25:
	s_sendmsg sendmsg(MSG_DEALLOC_VGPRS)
	s_endpgm
	.section	.rodata,"a",@progbits
	.p2align	6, 0x0
	.amdhsa_kernel _ZN2at6native12_GLOBAL__N_125multi_tensor_apply_kernelINS1_18TensorListMetadataILi1EEENS1_14UnaryOpFunctorIdLi1ELi1ELi0EEEJNS0_4CoshIdEEEEEvT_T0_DpT1_
		.amdhsa_group_segment_fixed_size 0
		.amdhsa_private_segment_fixed_size 0
		.amdhsa_kernarg_size 3632
		.amdhsa_user_sgpr_count 2
		.amdhsa_user_sgpr_dispatch_ptr 0
		.amdhsa_user_sgpr_queue_ptr 0
		.amdhsa_user_sgpr_kernarg_segment_ptr 1
		.amdhsa_user_sgpr_dispatch_id 0
		.amdhsa_user_sgpr_kernarg_preload_length 0
		.amdhsa_user_sgpr_kernarg_preload_offset 0
		.amdhsa_user_sgpr_private_segment_size 0
		.amdhsa_wavefront_size32 1
		.amdhsa_uses_dynamic_stack 0
		.amdhsa_enable_private_segment 0
		.amdhsa_system_sgpr_workgroup_id_x 1
		.amdhsa_system_sgpr_workgroup_id_y 0
		.amdhsa_system_sgpr_workgroup_id_z 0
		.amdhsa_system_sgpr_workgroup_info 0
		.amdhsa_system_vgpr_workitem_id 0
		.amdhsa_next_free_vgpr 92
		.amdhsa_next_free_sgpr 24
		.amdhsa_named_barrier_count 0
		.amdhsa_reserve_vcc 1
		.amdhsa_float_round_mode_32 0
		.amdhsa_float_round_mode_16_64 0
		.amdhsa_float_denorm_mode_32 3
		.amdhsa_float_denorm_mode_16_64 3
		.amdhsa_fp16_overflow 0
		.amdhsa_memory_ordered 1
		.amdhsa_forward_progress 1
		.amdhsa_inst_pref_size 68
		.amdhsa_round_robin_scheduling 0
		.amdhsa_exception_fp_ieee_invalid_op 0
		.amdhsa_exception_fp_denorm_src 0
		.amdhsa_exception_fp_ieee_div_zero 0
		.amdhsa_exception_fp_ieee_overflow 0
		.amdhsa_exception_fp_ieee_underflow 0
		.amdhsa_exception_fp_ieee_inexact 0
		.amdhsa_exception_int_div_zero 0
	.end_amdhsa_kernel
	.section	.text._ZN2at6native12_GLOBAL__N_125multi_tensor_apply_kernelINS1_18TensorListMetadataILi1EEENS1_14UnaryOpFunctorIdLi1ELi1ELi0EEEJNS0_4CoshIdEEEEEvT_T0_DpT1_,"axG",@progbits,_ZN2at6native12_GLOBAL__N_125multi_tensor_apply_kernelINS1_18TensorListMetadataILi1EEENS1_14UnaryOpFunctorIdLi1ELi1ELi0EEEJNS0_4CoshIdEEEEEvT_T0_DpT1_,comdat
.Lfunc_end85:
	.size	_ZN2at6native12_GLOBAL__N_125multi_tensor_apply_kernelINS1_18TensorListMetadataILi1EEENS1_14UnaryOpFunctorIdLi1ELi1ELi0EEEJNS0_4CoshIdEEEEEvT_T0_DpT1_, .Lfunc_end85-_ZN2at6native12_GLOBAL__N_125multi_tensor_apply_kernelINS1_18TensorListMetadataILi1EEENS1_14UnaryOpFunctorIdLi1ELi1ELi0EEEJNS0_4CoshIdEEEEEvT_T0_DpT1_
                                        ; -- End function
	.set _ZN2at6native12_GLOBAL__N_125multi_tensor_apply_kernelINS1_18TensorListMetadataILi1EEENS1_14UnaryOpFunctorIdLi1ELi1ELi0EEEJNS0_4CoshIdEEEEEvT_T0_DpT1_.num_vgpr, 92
	.set _ZN2at6native12_GLOBAL__N_125multi_tensor_apply_kernelINS1_18TensorListMetadataILi1EEENS1_14UnaryOpFunctorIdLi1ELi1ELi0EEEJNS0_4CoshIdEEEEEvT_T0_DpT1_.num_agpr, 0
	.set _ZN2at6native12_GLOBAL__N_125multi_tensor_apply_kernelINS1_18TensorListMetadataILi1EEENS1_14UnaryOpFunctorIdLi1ELi1ELi0EEEJNS0_4CoshIdEEEEEvT_T0_DpT1_.numbered_sgpr, 24
	.set _ZN2at6native12_GLOBAL__N_125multi_tensor_apply_kernelINS1_18TensorListMetadataILi1EEENS1_14UnaryOpFunctorIdLi1ELi1ELi0EEEJNS0_4CoshIdEEEEEvT_T0_DpT1_.num_named_barrier, 0
	.set _ZN2at6native12_GLOBAL__N_125multi_tensor_apply_kernelINS1_18TensorListMetadataILi1EEENS1_14UnaryOpFunctorIdLi1ELi1ELi0EEEJNS0_4CoshIdEEEEEvT_T0_DpT1_.private_seg_size, 0
	.set _ZN2at6native12_GLOBAL__N_125multi_tensor_apply_kernelINS1_18TensorListMetadataILi1EEENS1_14UnaryOpFunctorIdLi1ELi1ELi0EEEJNS0_4CoshIdEEEEEvT_T0_DpT1_.uses_vcc, 1
	.set _ZN2at6native12_GLOBAL__N_125multi_tensor_apply_kernelINS1_18TensorListMetadataILi1EEENS1_14UnaryOpFunctorIdLi1ELi1ELi0EEEJNS0_4CoshIdEEEEEvT_T0_DpT1_.uses_flat_scratch, 0
	.set _ZN2at6native12_GLOBAL__N_125multi_tensor_apply_kernelINS1_18TensorListMetadataILi1EEENS1_14UnaryOpFunctorIdLi1ELi1ELi0EEEJNS0_4CoshIdEEEEEvT_T0_DpT1_.has_dyn_sized_stack, 0
	.set _ZN2at6native12_GLOBAL__N_125multi_tensor_apply_kernelINS1_18TensorListMetadataILi1EEENS1_14UnaryOpFunctorIdLi1ELi1ELi0EEEJNS0_4CoshIdEEEEEvT_T0_DpT1_.has_recursion, 0
	.set _ZN2at6native12_GLOBAL__N_125multi_tensor_apply_kernelINS1_18TensorListMetadataILi1EEENS1_14UnaryOpFunctorIdLi1ELi1ELi0EEEJNS0_4CoshIdEEEEEvT_T0_DpT1_.has_indirect_call, 0
	.section	.AMDGPU.csdata,"",@progbits
; Kernel info:
; codeLenInByte = 8620
; TotalNumSgprs: 26
; NumVgprs: 92
; ScratchSize: 0
; MemoryBound: 1
; FloatMode: 240
; IeeeMode: 1
; LDSByteSize: 0 bytes/workgroup (compile time only)
; SGPRBlocks: 0
; VGPRBlocks: 5
; NumSGPRsForWavesPerEU: 26
; NumVGPRsForWavesPerEU: 92
; NamedBarCnt: 0
; Occupancy: 10
; WaveLimiterHint : 0
; COMPUTE_PGM_RSRC2:SCRATCH_EN: 0
; COMPUTE_PGM_RSRC2:USER_SGPR: 2
; COMPUTE_PGM_RSRC2:TRAP_HANDLER: 0
; COMPUTE_PGM_RSRC2:TGID_X_EN: 1
; COMPUTE_PGM_RSRC2:TGID_Y_EN: 0
; COMPUTE_PGM_RSRC2:TGID_Z_EN: 0
; COMPUTE_PGM_RSRC2:TIDIG_COMP_CNT: 0
	.section	.text._ZN2at6native12_GLOBAL__N_125multi_tensor_apply_kernelINS1_18TensorListMetadataILi1EEENS1_14UnaryOpFunctorIfLi1ELi1ELi0EEEJNS0_4CoshIfEEEEEvT_T0_DpT1_,"axG",@progbits,_ZN2at6native12_GLOBAL__N_125multi_tensor_apply_kernelINS1_18TensorListMetadataILi1EEENS1_14UnaryOpFunctorIfLi1ELi1ELi0EEEJNS0_4CoshIfEEEEEvT_T0_DpT1_,comdat
	.globl	_ZN2at6native12_GLOBAL__N_125multi_tensor_apply_kernelINS1_18TensorListMetadataILi1EEENS1_14UnaryOpFunctorIfLi1ELi1ELi0EEEJNS0_4CoshIfEEEEEvT_T0_DpT1_ ; -- Begin function _ZN2at6native12_GLOBAL__N_125multi_tensor_apply_kernelINS1_18TensorListMetadataILi1EEENS1_14UnaryOpFunctorIfLi1ELi1ELi0EEEJNS0_4CoshIfEEEEEvT_T0_DpT1_
	.p2align	8
	.type	_ZN2at6native12_GLOBAL__N_125multi_tensor_apply_kernelINS1_18TensorListMetadataILi1EEENS1_14UnaryOpFunctorIfLi1ELi1ELi0EEEJNS0_4CoshIfEEEEEvT_T0_DpT1_,@function
_ZN2at6native12_GLOBAL__N_125multi_tensor_apply_kernelINS1_18TensorListMetadataILi1EEENS1_14UnaryOpFunctorIfLi1ELi1ELi0EEEJNS0_4CoshIfEEEEEvT_T0_DpT1_: ; @_ZN2at6native12_GLOBAL__N_125multi_tensor_apply_kernelINS1_18TensorListMetadataILi1EEENS1_14UnaryOpFunctorIfLi1ELi1ELi0EEEJNS0_4CoshIfEEEEEvT_T0_DpT1_
; %bb.0:
	s_bfe_u32 s2, ttmp6, 0x4000c
	s_and_b32 s3, ttmp6, 15
	s_add_co_i32 s2, s2, 1
	s_getreg_b32 s4, hwreg(HW_REG_IB_STS2, 6, 4)
	s_mul_i32 s2, ttmp9, s2
	s_delay_alu instid0(SALU_CYCLE_1)
	s_add_co_i32 s3, s3, s2
	s_cmp_eq_u32 s4, 0
	s_cselect_b32 s2, ttmp9, s3
	s_mov_b32 s3, 0
	s_load_u8 s8, s[0:1], s2 offset:0x6e0
	s_add_nc_u64 s[4:5], s[0:1], s[2:3]
	s_mul_u64 s[6:7], s[2:3], 3
	s_delay_alu instid0(SALU_CYCLE_1)
	s_add_nc_u64 s[4:5], s[4:5], s[6:7]
	s_load_b32 s10, s[4:5], 0x820
	s_wait_kmcnt 0x0
	s_clause 0x1
	s_load_b64 s[6:7], s[0:1], s8 offset:0x0 scale_offset
	s_load_b64 s[12:13], s[0:1], s8 offset:0x370 scale_offset
	s_ashr_i32 s11, s10, 31
	s_wait_kmcnt 0x0
	s_and_b64 s[4:5], s[6:7], 15
	s_and_b32 s2, s12, 3
	s_lshl_b64 s[8:9], s[10:11], 18
	s_or_b64 s[2:3], s[4:5], s[2:3]
	s_lshl_b64 s[4:5], s[10:11], 16
	s_cmp_eq_u64 s[2:3], 0
	s_sub_nc_u64 s[10:11], s[12:13], s[4:5]
	s_cbranch_scc1 .LBB86_21
; %bb.1:
	v_cmp_lt_i64_e64 s2, s[10:11], 1
	s_and_b32 vcc_lo, exec_lo, s2
	s_cbranch_vccnz .LBB86_20
; %bb.2:
	s_load_b32 s2, s[0:1], 0xd3c
	v_min_i64 v[2:3], 0x10000, s[10:11]
	v_min_u64 v[4:5], 0x10000, s[10:11]
	v_dual_mov_b32 v1, 0 :: v_dual_lshlrev_b32 v8, 2, v0
	s_mov_b32 s3, 0
	s_add_nc_u64 s[4:5], s[6:7], s[8:9]
	s_mov_b32 s21, s3
	s_delay_alu instid0(VALU_DEP_1) | instskip(SKIP_2) | instid1(VALU_DEP_2)
	v_dual_mov_b32 v9, v1 :: v_dual_mov_b32 v15, v1
	s_mov_b32 s23, s3
	v_dual_mov_b32 v19, 1.0 :: v_dual_mov_b32 v21, -1.0
	v_add_nc_u64_e32 v[8:9], s[4:5], v[8:9]
	s_mov_b32 s13, s3
	s_mov_b32 s15, s3
	;; [unrolled: 1-line block ×3, first 2 shown]
	v_mov_b32_e32 v17, 0x3f317218
	s_wait_kmcnt 0x0
	s_and_b32 s2, s2, 0xffff
	s_delay_alu instid0(SALU_CYCLE_1)
	v_add_nc_u64_e32 v[6:7], s[2:3], v[0:1]
	s_lshl_b32 s20, s2, 1
	s_mul_i32 s22, s2, 3
	v_add_nc_u64_e32 v[12:13], s[20:21], v[0:1]
	v_add_nc_u64_e32 v[10:11], s[22:23], v[0:1]
	s_lshl_b32 s12, s2, 2
	s_lshl_b32 s14, s2, 4
	v_lshlrev_b32_e32 v14, 2, v6
	s_mul_u64 s[18:19], s[2:3], 12
	s_lshl_b32 s16, s2, 3
	s_mov_b64 s[20:21], 0
	s_mov_b32 s22, 0x3ab42872
	v_add_nc_u64_e32 v[14:15], s[4:5], v[14:15]
	s_mov_b32 s5, -1.0
	s_branch .LBB86_4
.LBB86_3:                               ;   in Loop: Header=BB86_4 Depth=1
	s_wait_xcnt 0x0
	s_or_b32 exec_lo, exec_lo, s2
	s_add_nc_u64 s[20:21], s[20:21], s[12:13]
	v_add_nc_u64_e32 v[8:9], s[14:15], v[8:9]
	v_cmp_lt_i64_e32 vcc_lo, s[20:21], v[2:3]
	v_add_nc_u64_e32 v[14:15], s[14:15], v[14:15]
	s_cbranch_vccz .LBB86_20
.LBB86_4:                               ; =>This Inner Loop Header: Depth=1
	v_add_nc_u64_e32 v[22:23], s[20:21], v[0:1]
	v_mov_b32_e32 v16, 0
	s_delay_alu instid0(VALU_DEP_2)
	v_cmp_lt_u64_e64 s4, v[22:23], v[4:5]
	s_and_saveexec_b32 s2, s4
	s_cbranch_execz .LBB86_6
; %bb.5:                                ;   in Loop: Header=BB86_4 Depth=1
	global_load_b32 v16, v[8:9], off
	s_wait_loadcnt 0x0
	v_and_b32_e32 v16, 0x7fffffff, v16
.LBB86_6:                               ;   in Loop: Header=BB86_4 Depth=1
	s_wait_xcnt 0x0
	s_or_b32 exec_lo, exec_lo, s2
	v_add_nc_u64_e32 v[22:23], s[20:21], v[6:7]
	v_dual_mov_b32 v27, 0 :: v_dual_mov_b32 v28, 0
	s_delay_alu instid0(VALU_DEP_2)
	v_cmp_lt_u64_e64 s3, v[22:23], v[4:5]
	s_and_saveexec_b32 s2, s3
	s_cbranch_execz .LBB86_8
; %bb.7:                                ;   in Loop: Header=BB86_4 Depth=1
	global_load_b32 v18, v[14:15], off
	s_wait_loadcnt 0x0
	v_and_b32_e32 v28, 0x7fffffff, v18
.LBB86_8:                               ;   in Loop: Header=BB86_4 Depth=1
	s_wait_xcnt 0x0
	s_or_b32 exec_lo, exec_lo, s2
	v_add_nc_u64_e32 v[22:23], s[20:21], v[12:13]
	v_add_nc_u64_e32 v[24:25], s[16:17], v[8:9]
	s_delay_alu instid0(VALU_DEP_2)
	v_cmp_lt_u64_e64 s2, v[22:23], v[4:5]
	s_and_saveexec_b32 s23, s2
	s_cbranch_execz .LBB86_10
; %bb.9:                                ;   in Loop: Header=BB86_4 Depth=1
	global_load_b32 v18, v[24:25], off
	s_wait_loadcnt 0x0
	v_and_b32_e32 v27, 0x7fffffff, v18
.LBB86_10:                              ;   in Loop: Header=BB86_4 Depth=1
	s_wait_xcnt 0x0
	s_or_b32 exec_lo, exec_lo, s23
	v_add_nc_u64_e32 v[22:23], s[20:21], v[10:11]
	v_mov_b32_e32 v26, 0
	s_delay_alu instid0(VALU_DEP_2)
	v_cmp_lt_u64_e32 vcc_lo, v[22:23], v[4:5]
	v_add_nc_u64_e32 v[22:23], s[18:19], v[8:9]
	s_and_saveexec_b32 s23, vcc_lo
	s_cbranch_execnz .LBB86_15
; %bb.11:                               ;   in Loop: Header=BB86_4 Depth=1
	s_or_b32 exec_lo, exec_lo, s23
	s_and_saveexec_b32 s23, s4
	s_cbranch_execnz .LBB86_16
.LBB86_12:                              ;   in Loop: Header=BB86_4 Depth=1
	s_or_b32 exec_lo, exec_lo, s23
	s_and_saveexec_b32 s4, s3
	s_cbranch_execnz .LBB86_17
.LBB86_13:                              ;   in Loop: Header=BB86_4 Depth=1
	s_or_b32 exec_lo, exec_lo, s4
	s_and_saveexec_b32 s3, s2
	s_cbranch_execnz .LBB86_18
.LBB86_14:                              ;   in Loop: Header=BB86_4 Depth=1
	s_or_b32 exec_lo, exec_lo, s3
	s_and_saveexec_b32 s2, vcc_lo
	s_cbranch_execz .LBB86_3
	s_branch .LBB86_19
.LBB86_15:                              ;   in Loop: Header=BB86_4 Depth=1
	global_load_b32 v18, v[22:23], off
	s_wait_loadcnt 0x0
	v_and_b32_e32 v26, 0x7fffffff, v18
	s_wait_xcnt 0x0
	s_or_b32 exec_lo, exec_lo, s23
	s_and_saveexec_b32 s23, s4
	s_cbranch_execz .LBB86_12
.LBB86_16:                              ;   in Loop: Header=BB86_4 Depth=1
	v_add_f32_e32 v18, 0xbf317218, v16
	s_delay_alu instid0(VALU_DEP_1) | instskip(NEXT) | instid1(VALU_DEP_1)
	v_sub_f32_e32 v31, v18, v16
	v_sub_f32_e32 v30, v31, v18
	s_delay_alu instid0(VALU_DEP_1) | instskip(NEXT) | instid1(VALU_DEP_1)
	v_pk_add_f32 v[30:31], v[16:17], v[30:31]
	v_sub_f32_e32 v20, v30, v31
	s_delay_alu instid0(VALU_DEP_1) | instskip(NEXT) | instid1(VALU_DEP_1)
	v_add_f32_e32 v20, 0x3102e308, v20
	v_add_f32_e32 v29, v18, v20
	s_delay_alu instid0(VALU_DEP_1) | instskip(SKIP_1) | instid1(VALU_DEP_2)
	v_mul_f32_e32 v30, 0x3fb8aa3b, v29
	v_sub_f32_e32 v18, v18, v29
	v_rndne_f32_e32 v38, v30
	s_delay_alu instid0(VALU_DEP_2) | instskip(NEXT) | instid1(VALU_DEP_2)
	v_add_f32_e32 v18, v20, v18
	v_fmac_f32_e32 v29, 0xbf317200, v38
	v_mul_f32_e32 v20, 0x35bfbc00, v38
	v_mul_f32_e32 v33, 0x2ea39ef3, v38
	s_delay_alu instid0(VALU_DEP_3) | instskip(NEXT) | instid1(VALU_DEP_1)
	v_add_f32_e32 v31, v18, v29
	v_dual_sub_f32 v30, v31, v20 :: v_dual_sub_f32 v29, v29, v31
	s_delay_alu instid0(VALU_DEP_1) | instskip(NEXT) | instid1(VALU_DEP_1)
	v_sub_f32_e32 v31, v31, v30
	v_dual_sub_f32 v20, v31, v20 :: v_dual_add_f32 v18, v18, v29
	s_delay_alu instid0(VALU_DEP_1) | instskip(NEXT) | instid1(VALU_DEP_1)
	v_add_f32_e32 v18, v18, v20
	v_add_f32_e32 v31, v30, v18
	s_delay_alu instid0(VALU_DEP_1) | instskip(NEXT) | instid1(VALU_DEP_1)
	v_mov_b32_e32 v32, v31
	v_pk_add_f32 v[34:35], v[30:31], v[32:33] neg_lo:[0,1] neg_hi:[0,1]
	s_delay_alu instid0(VALU_DEP_1) | instskip(NEXT) | instid1(VALU_DEP_1)
	v_dual_sub_f32 v20, v31, v35 :: v_dual_add_f32 v18, v18, v34
	v_sub_f32_e32 v20, v20, v33
	s_delay_alu instid0(VALU_DEP_1) | instskip(NEXT) | instid1(VALU_DEP_1)
	v_add_f32_e32 v18, v18, v20
	v_add_f32_e32 v29, v35, v18
	s_delay_alu instid0(VALU_DEP_1) | instskip(SKIP_2) | instid1(VALU_DEP_3)
	v_dual_sub_f32 v20, v35, v29 :: v_dual_mul_f32 v30, v29, v29
	v_mov_b64_e32 v[34:35], s[4:5]
	v_cmp_nlt_f32_e64 s4, 0x42b2d4fc, v16
	v_add_f32_e32 v18, v18, v20
	v_fmaak_f32 v20, s22, v29, 0x3c091de6
	s_delay_alu instid0(VALU_DEP_2) | instskip(NEXT) | instid1(VALU_DEP_2)
	v_dual_fma_f32 v31, v29, v29, -v30 :: v_dual_add_f32 v32, v18, v18
	v_fmaak_f32 v20, v29, v20, 0x3d2aadcc
	s_delay_alu instid0(VALU_DEP_2) | instskip(NEXT) | instid1(VALU_DEP_2)
	v_fmac_f32_e32 v31, v29, v32
	v_fmaak_f32 v20, v29, v20, 0x3e2aaa47
	s_delay_alu instid0(VALU_DEP_2) | instskip(NEXT) | instid1(VALU_DEP_2)
	v_add_f32_e32 v32, v30, v31
	v_fmaak_f32 v20, v29, v20, 0x3efffffc
	s_delay_alu instid0(VALU_DEP_2) | instskip(NEXT) | instid1(VALU_DEP_1)
	v_sub_f32_e32 v30, v32, v30
	v_dual_sub_f32 v30, v31, v30 :: v_dual_mul_f32 v33, v20, v32
	s_delay_alu instid0(VALU_DEP_1) | instskip(NEXT) | instid1(VALU_DEP_1)
	v_fma_f32 v31, v32, v20, -v33
	v_fmac_f32_e32 v31, v30, v20
	s_delay_alu instid0(VALU_DEP_1) | instskip(NEXT) | instid1(VALU_DEP_1)
	v_add_f32_e32 v30, v33, v31
	v_add_f32_e32 v20, v29, v30
	s_delay_alu instid0(VALU_DEP_1) | instskip(SKIP_1) | instid1(VALU_DEP_1)
	v_sub_f32_e32 v29, v20, v29
	v_sub_f32_e32 v32, v30, v33
	v_dual_sub_f32 v29, v30, v29 :: v_dual_sub_f32 v31, v31, v32
	s_delay_alu instid0(VALU_DEP_1) | instskip(NEXT) | instid1(VALU_DEP_1)
	v_add_f32_e32 v18, v18, v31
	v_add_f32_e32 v30, v18, v29
	s_delay_alu instid0(VALU_DEP_1) | instskip(NEXT) | instid1(VALU_DEP_1)
	v_add_f32_e32 v32, v20, v30
	v_dual_add_f32 v33, 1.0, v32 :: v_dual_mov_b32 v31, v32
	s_delay_alu instid0(VALU_DEP_1) | instskip(SKIP_2) | instid1(VALU_DEP_3)
	v_pk_add_f32 v[34:35], v[32:33], v[34:35]
	v_pk_add_f32 v[36:37], v[32:33], v[20:21] neg_lo:[0,1] neg_hi:[0,1]
	v_cvt_i32_f32_e32 v20, v38
	v_mov_b32_e32 v37, v35
	s_delay_alu instid0(VALU_DEP_1) | instskip(NEXT) | instid1(VALU_DEP_1)
	v_pk_add_f32 v[30:31], v[30:31], v[36:37] neg_lo:[0,1] neg_hi:[0,1]
	v_add_f32_e32 v18, v30, v31
	s_delay_alu instid0(VALU_DEP_1) | instskip(NEXT) | instid1(VALU_DEP_1)
	v_add_f32_e32 v29, v33, v18
	v_ldexp_f32 v30, v29, v20
	s_delay_alu instid0(VALU_DEP_1) | instskip(SKIP_1) | instid1(TRANS32_DEP_1)
	v_rcp_f32_e32 v40, v30
	v_nop
	v_dual_mul_f32 v32, v30, v40 :: v_dual_sub_f32 v29, v29, v33
	s_delay_alu instid0(VALU_DEP_1) | instskip(NEXT) | instid1(VALU_DEP_1)
	v_dual_fma_f32 v34, v40, v30, -v32 :: v_dual_sub_f32 v18, v18, v29
	v_ldexp_f32 v31, v18, v20
	s_delay_alu instid0(VALU_DEP_1) | instskip(NEXT) | instid1(VALU_DEP_1)
	v_fmac_f32_e32 v34, v40, v31
	v_add_f32_e32 v18, v32, v34
	s_delay_alu instid0(VALU_DEP_1) | instskip(NEXT) | instid1(VALU_DEP_1)
	v_dual_sub_f32 v33, 1.0, v18 :: v_dual_mov_b32 v35, v18
	v_pk_add_f32 v[36:37], v[18:19], v[32:33] neg_lo:[0,1] neg_hi:[0,1]
	s_delay_alu instid0(VALU_DEP_1) | instskip(NEXT) | instid1(VALU_DEP_1)
	v_pk_add_f32 v[34:35], v[36:37], v[34:35] neg_lo:[0,1] neg_hi:[0,1]
	v_add_f32_e32 v18, v34, v35
	s_delay_alu instid0(VALU_DEP_1) | instskip(NEXT) | instid1(VALU_DEP_1)
	v_add_f32_e32 v35, v33, v18
	v_mul_f32_e32 v20, v40, v35
	s_delay_alu instid0(VALU_DEP_1) | instskip(NEXT) | instid1(VALU_DEP_1)
	v_mul_f32_e32 v36, v30, v20
	v_fma_f32 v32, v20, v30, -v36
	s_delay_alu instid0(VALU_DEP_1) | instskip(NEXT) | instid1(VALU_DEP_1)
	v_fmac_f32_e32 v32, v20, v31
	v_dual_sub_f32 v29, v33, v35 :: v_dual_add_f32 v34, v36, v32
	s_delay_alu instid0(VALU_DEP_1) | instskip(NEXT) | instid1(VALU_DEP_2)
	v_dual_add_f32 v18, v18, v29 :: v_dual_add_f32 v29, v40, v20
	v_dual_sub_f32 v37, v35, v34 :: v_dual_mov_b32 v33, v34
	s_delay_alu instid0(VALU_DEP_1) | instskip(NEXT) | instid1(VALU_DEP_1)
	v_pk_add_f32 v[38:39], v[34:35], v[36:37] neg_lo:[0,1] neg_hi:[0,1]
	v_pk_add_f32 v[32:33], v[38:39], v[32:33] neg_lo:[0,1] neg_hi:[0,1]
	s_delay_alu instid0(VALU_DEP_1) | instskip(NEXT) | instid1(VALU_DEP_1)
	v_add_f32_e32 v18, v18, v33
	v_dual_add_f32 v18, v32, v18 :: v_dual_sub_f32 v32, v29, v40
	s_delay_alu instid0(VALU_DEP_1) | instskip(NEXT) | instid1(VALU_DEP_1)
	v_dual_add_f32 v18, v37, v18 :: v_dual_sub_f32 v20, v20, v32
	v_mul_f32_e32 v18, v40, v18
	s_delay_alu instid0(VALU_DEP_1) | instskip(NEXT) | instid1(VALU_DEP_1)
	v_add_f32_e32 v18, v20, v18
	v_add_f32_e32 v20, v29, v18
	s_delay_alu instid0(VALU_DEP_1) | instskip(NEXT) | instid1(VALU_DEP_1)
	v_sub_f32_e32 v29, v20, v29
	v_sub_f32_e32 v18, v18, v29
	v_ldexp_f32 v32, v20, -2
	s_delay_alu instid0(VALU_DEP_2) | instskip(NEXT) | instid1(VALU_DEP_1)
	v_ldexp_f32 v33, v18, -2
	v_pk_add_f32 v[34:35], v[30:31], v[32:33]
	s_delay_alu instid0(VALU_DEP_1) | instskip(NEXT) | instid1(VALU_DEP_1)
	v_sub_f32_e32 v18, v34, v30
	v_sub_f32_e32 v18, v32, v18
	s_delay_alu instid0(VALU_DEP_1) | instskip(NEXT) | instid1(VALU_DEP_1)
	v_add_f32_e32 v18, v35, v18
	v_add_f32_e32 v18, v34, v18
	s_delay_alu instid0(VALU_DEP_1)
	v_cndmask_b32_e64 v16, 0x7f800000, v18, s4
	global_store_b32 v[8:9], v16, off
	s_wait_xcnt 0x0
	s_or_b32 exec_lo, exec_lo, s23
	s_and_saveexec_b32 s4, s3
	s_cbranch_execz .LBB86_13
.LBB86_17:                              ;   in Loop: Header=BB86_4 Depth=1
	v_add_f32_e32 v16, 0xbf317218, v28
	v_cmp_nlt_f32_e64 s3, 0x42b2d4fc, v28
	s_delay_alu instid0(VALU_DEP_2) | instskip(NEXT) | instid1(VALU_DEP_1)
	v_sub_f32_e32 v18, v16, v28
	v_sub_f32_e32 v20, v18, v16
	v_add_f32_e32 v18, 0x3f317218, v18
	s_delay_alu instid0(VALU_DEP_2) | instskip(NEXT) | instid1(VALU_DEP_1)
	v_add_f32_e32 v20, v28, v20
	v_sub_f32_e32 v18, v20, v18
	s_delay_alu instid0(VALU_DEP_1) | instskip(NEXT) | instid1(VALU_DEP_1)
	v_add_f32_e32 v18, 0x3102e308, v18
	v_add_f32_e32 v20, v16, v18
	s_delay_alu instid0(VALU_DEP_1) | instskip(NEXT) | instid1(VALU_DEP_1)
	v_dual_mul_f32 v29, 0x3fb8aa3b, v20 :: v_dual_sub_f32 v16, v16, v20
	v_rndne_f32_e32 v29, v29
	s_delay_alu instid0(VALU_DEP_2) | instskip(NEXT) | instid1(VALU_DEP_2)
	v_add_f32_e32 v16, v18, v16
	v_fmac_f32_e32 v20, 0xbf317200, v29
	v_mul_f32_e32 v18, 0x35bfbc00, v29
	s_delay_alu instid0(VALU_DEP_2) | instskip(NEXT) | instid1(VALU_DEP_1)
	v_add_f32_e32 v30, v16, v20
	v_sub_f32_e32 v20, v20, v30
	s_delay_alu instid0(VALU_DEP_1) | instskip(NEXT) | instid1(VALU_DEP_1)
	v_dual_add_f32 v16, v16, v20 :: v_dual_sub_f32 v31, v30, v18
	v_sub_f32_e32 v30, v30, v31
	s_delay_alu instid0(VALU_DEP_1) | instskip(NEXT) | instid1(VALU_DEP_1)
	v_sub_f32_e32 v18, v30, v18
	v_add_f32_e32 v16, v16, v18
	v_mul_f32_e32 v18, 0x2ea39ef3, v29
	s_delay_alu instid0(VALU_DEP_2) | instskip(NEXT) | instid1(VALU_DEP_1)
	v_add_f32_e32 v20, v31, v16
	v_sub_f32_e32 v31, v31, v20
	s_delay_alu instid0(VALU_DEP_1) | instskip(NEXT) | instid1(VALU_DEP_4)
	v_add_f32_e32 v16, v16, v31
	v_sub_f32_e32 v30, v20, v18
	s_delay_alu instid0(VALU_DEP_1) | instskip(NEXT) | instid1(VALU_DEP_1)
	v_sub_f32_e32 v20, v20, v30
	v_sub_f32_e32 v18, v20, v18
	s_delay_alu instid0(VALU_DEP_1) | instskip(NEXT) | instid1(VALU_DEP_1)
	v_add_f32_e32 v16, v16, v18
	v_add_f32_e32 v18, v30, v16
	s_delay_alu instid0(VALU_DEP_1) | instskip(NEXT) | instid1(VALU_DEP_1)
	v_sub_f32_e32 v20, v30, v18
	v_dual_mul_f32 v30, v18, v18 :: v_dual_add_f32 v16, v16, v20
	s_delay_alu instid0(VALU_DEP_1) | instskip(SKIP_1) | instid1(VALU_DEP_3)
	v_fma_f32 v31, v18, v18, -v30
	v_fmaak_f32 v20, s22, v18, 0x3c091de6
	v_add_f32_e32 v32, v16, v16
	s_delay_alu instid0(VALU_DEP_2) | instskip(NEXT) | instid1(VALU_DEP_2)
	v_fmaak_f32 v20, v18, v20, 0x3d2aadcc
	v_fmac_f32_e32 v31, v18, v32
	s_delay_alu instid0(VALU_DEP_2) | instskip(NEXT) | instid1(VALU_DEP_2)
	v_fmaak_f32 v20, v18, v20, 0x3e2aaa47
	v_add_f32_e32 v32, v30, v31
	s_delay_alu instid0(VALU_DEP_2) | instskip(NEXT) | instid1(VALU_DEP_1)
	v_fmaak_f32 v20, v18, v20, 0x3efffffc
	v_mul_f32_e32 v33, v20, v32
	v_sub_f32_e32 v30, v32, v30
	s_delay_alu instid0(VALU_DEP_1) | instskip(NEXT) | instid1(VALU_DEP_1)
	v_dual_sub_f32 v30, v31, v30 :: v_dual_fma_f32 v31, v32, v20, -v33
	v_fmac_f32_e32 v31, v30, v20
	s_delay_alu instid0(VALU_DEP_1) | instskip(NEXT) | instid1(VALU_DEP_1)
	v_add_f32_e32 v20, v33, v31
	v_add_f32_e32 v30, v18, v20
	s_delay_alu instid0(VALU_DEP_1) | instskip(NEXT) | instid1(VALU_DEP_1)
	v_dual_sub_f32 v18, v30, v18 :: v_dual_sub_f32 v32, v20, v33
	v_dual_sub_f32 v18, v20, v18 :: v_dual_sub_f32 v31, v31, v32
	s_delay_alu instid0(VALU_DEP_1) | instskip(NEXT) | instid1(VALU_DEP_1)
	v_add_f32_e32 v16, v16, v31
	v_add_f32_e32 v16, v16, v18
	s_delay_alu instid0(VALU_DEP_1) | instskip(NEXT) | instid1(VALU_DEP_1)
	v_add_f32_e32 v18, v30, v16
	v_add_f32_e32 v20, 1.0, v18
	s_delay_alu instid0(VALU_DEP_1) | instskip(NEXT) | instid1(VALU_DEP_1)
	v_dual_sub_f32 v30, v18, v30 :: v_dual_add_f32 v31, -1.0, v20
	v_dual_sub_f32 v18, v18, v31 :: v_dual_sub_f32 v16, v16, v30
	s_delay_alu instid0(VALU_DEP_1) | instskip(SKIP_1) | instid1(VALU_DEP_2)
	v_add_f32_e32 v16, v16, v18
	v_cvt_i32_f32_e32 v18, v29
	v_add_f32_e32 v29, v20, v16
	s_delay_alu instid0(VALU_DEP_1) | instskip(SKIP_1) | instid1(VALU_DEP_2)
	v_ldexp_f32 v30, v29, v18
	v_sub_f32_e32 v20, v29, v20
	v_rcp_f32_e32 v31, v30
	v_nop
	s_delay_alu instid0(TRANS32_DEP_1) | instskip(NEXT) | instid1(VALU_DEP_1)
	v_dual_sub_f32 v16, v16, v20 :: v_dual_mul_f32 v20, v30, v31
	v_ldexp_f32 v16, v16, v18
	s_delay_alu instid0(VALU_DEP_2) | instskip(NEXT) | instid1(VALU_DEP_1)
	v_fma_f32 v18, v31, v30, -v20
	v_fmac_f32_e32 v18, v31, v16
	s_delay_alu instid0(VALU_DEP_1) | instskip(NEXT) | instid1(VALU_DEP_1)
	v_add_f32_e32 v29, v20, v18
	v_sub_f32_e32 v20, v29, v20
	s_delay_alu instid0(VALU_DEP_1) | instskip(NEXT) | instid1(VALU_DEP_1)
	v_dual_sub_f32 v18, v20, v18 :: v_dual_sub_f32 v32, 1.0, v29
	v_sub_f32_e32 v33, 1.0, v32
	s_delay_alu instid0(VALU_DEP_1) | instskip(NEXT) | instid1(VALU_DEP_1)
	v_sub_f32_e32 v20, v33, v29
	v_add_f32_e32 v18, v18, v20
	s_delay_alu instid0(VALU_DEP_1) | instskip(NEXT) | instid1(VALU_DEP_1)
	v_add_f32_e32 v20, v32, v18
	v_mul_f32_e32 v29, v31, v20
	s_delay_alu instid0(VALU_DEP_1) | instskip(NEXT) | instid1(VALU_DEP_1)
	v_mul_f32_e32 v33, v30, v29
	v_fma_f32 v34, v29, v30, -v33
	s_delay_alu instid0(VALU_DEP_1) | instskip(NEXT) | instid1(VALU_DEP_1)
	v_fmac_f32_e32 v34, v29, v16
	v_dual_sub_f32 v32, v32, v20 :: v_dual_add_f32 v35, v33, v34
	s_delay_alu instid0(VALU_DEP_1) | instskip(NEXT) | instid1(VALU_DEP_1)
	v_sub_f32_e32 v36, v20, v35
	v_sub_f32_e32 v20, v20, v36
	s_delay_alu instid0(VALU_DEP_3) | instskip(NEXT) | instid1(VALU_DEP_2)
	v_dual_add_f32 v18, v18, v32 :: v_dual_sub_f32 v32, v35, v33
	v_sub_f32_e32 v20, v20, v35
	s_delay_alu instid0(VALU_DEP_1) | instskip(NEXT) | instid1(VALU_DEP_1)
	v_dual_sub_f32 v32, v32, v34 :: v_dual_add_f32 v18, v18, v20
	v_dual_add_f32 v20, v31, v29 :: v_dual_add_f32 v18, v32, v18
	s_delay_alu instid0(VALU_DEP_1) | instskip(NEXT) | instid1(VALU_DEP_1)
	v_sub_f32_e32 v32, v20, v31
	v_dual_sub_f32 v29, v29, v32 :: v_dual_add_f32 v18, v36, v18
	s_delay_alu instid0(VALU_DEP_1) | instskip(NEXT) | instid1(VALU_DEP_1)
	v_mul_f32_e32 v18, v31, v18
	v_add_f32_e32 v18, v29, v18
	s_delay_alu instid0(VALU_DEP_1) | instskip(NEXT) | instid1(VALU_DEP_1)
	v_add_f32_e32 v29, v20, v18
	v_ldexp_f32 v31, v29, -2
	s_delay_alu instid0(VALU_DEP_1) | instskip(NEXT) | instid1(VALU_DEP_1)
	v_dual_sub_f32 v20, v29, v20 :: v_dual_add_f32 v29, v30, v31
	v_dual_sub_f32 v18, v18, v20 :: v_dual_sub_f32 v20, v29, v30
	s_delay_alu instid0(VALU_DEP_1) | instskip(NEXT) | instid1(VALU_DEP_1)
	v_ldexp_f32 v18, v18, -2
	v_dual_sub_f32 v20, v31, v20 :: v_dual_add_f32 v16, v16, v18
	s_delay_alu instid0(VALU_DEP_1) | instskip(NEXT) | instid1(VALU_DEP_1)
	v_add_f32_e32 v16, v16, v20
	v_add_f32_e32 v16, v29, v16
	s_delay_alu instid0(VALU_DEP_1)
	v_cndmask_b32_e64 v16, 0x7f800000, v16, s3
	global_store_b32 v[14:15], v16, off
	s_wait_xcnt 0x0
	s_or_b32 exec_lo, exec_lo, s4
	s_and_saveexec_b32 s3, s2
	s_cbranch_execz .LBB86_14
.LBB86_18:                              ;   in Loop: Header=BB86_4 Depth=1
	v_add_f32_e32 v16, 0xbf317218, v27
	v_cmp_nlt_f32_e64 s2, 0x42b2d4fc, v27
	s_delay_alu instid0(VALU_DEP_2) | instskip(NEXT) | instid1(VALU_DEP_1)
	v_sub_f32_e32 v18, v16, v27
	v_sub_f32_e32 v20, v18, v16
	s_delay_alu instid0(VALU_DEP_1) | instskip(SKIP_1) | instid1(VALU_DEP_1)
	v_add_f32_e32 v20, v27, v20
	v_add_f32_e32 v18, 0x3f317218, v18
	v_sub_f32_e32 v18, v20, v18
	s_delay_alu instid0(VALU_DEP_1) | instskip(NEXT) | instid1(VALU_DEP_1)
	v_add_f32_e32 v18, 0x3102e308, v18
	v_add_f32_e32 v20, v16, v18
	s_delay_alu instid0(VALU_DEP_1) | instskip(SKIP_1) | instid1(VALU_DEP_2)
	v_mul_f32_e32 v28, 0x3fb8aa3b, v20
	v_sub_f32_e32 v16, v16, v20
	v_rndne_f32_e32 v28, v28
	s_delay_alu instid0(VALU_DEP_2) | instskip(NEXT) | instid1(VALU_DEP_2)
	v_add_f32_e32 v16, v18, v16
	v_fmac_f32_e32 v20, 0xbf317200, v28
	v_mul_f32_e32 v18, 0x35bfbc00, v28
	s_delay_alu instid0(VALU_DEP_2) | instskip(NEXT) | instid1(VALU_DEP_1)
	v_add_f32_e32 v29, v16, v20
	v_dual_sub_f32 v30, v29, v18 :: v_dual_sub_f32 v20, v20, v29
	s_delay_alu instid0(VALU_DEP_1) | instskip(NEXT) | instid1(VALU_DEP_1)
	v_dual_sub_f32 v29, v29, v30 :: v_dual_add_f32 v16, v16, v20
	v_sub_f32_e32 v18, v29, v18
	s_delay_alu instid0(VALU_DEP_1) | instskip(SKIP_1) | instid1(VALU_DEP_2)
	v_add_f32_e32 v16, v16, v18
	v_mul_f32_e32 v18, 0x2ea39ef3, v28
	v_add_f32_e32 v20, v30, v16
	s_delay_alu instid0(VALU_DEP_1) | instskip(NEXT) | instid1(VALU_DEP_1)
	v_sub_f32_e32 v30, v30, v20
	v_add_f32_e32 v16, v16, v30
	s_delay_alu instid0(VALU_DEP_4) | instskip(NEXT) | instid1(VALU_DEP_1)
	v_sub_f32_e32 v29, v20, v18
	v_sub_f32_e32 v20, v20, v29
	s_delay_alu instid0(VALU_DEP_1) | instskip(NEXT) | instid1(VALU_DEP_1)
	v_sub_f32_e32 v18, v20, v18
	v_add_f32_e32 v16, v16, v18
	s_delay_alu instid0(VALU_DEP_1) | instskip(NEXT) | instid1(VALU_DEP_1)
	v_add_f32_e32 v18, v29, v16
	v_dual_sub_f32 v20, v29, v18 :: v_dual_mul_f32 v29, v18, v18
	s_delay_alu instid0(VALU_DEP_1) | instskip(NEXT) | instid1(VALU_DEP_1)
	v_dual_fma_f32 v30, v18, v18, -v29 :: v_dual_add_f32 v16, v16, v20
	v_add_f32_e32 v31, v16, v16
	s_delay_alu instid0(VALU_DEP_1) | instskip(NEXT) | instid1(VALU_DEP_1)
	v_fmac_f32_e32 v30, v18, v31
	v_add_f32_e32 v31, v29, v30
	s_delay_alu instid0(VALU_DEP_1) | instskip(NEXT) | instid1(VALU_DEP_1)
	v_dual_sub_f32 v29, v31, v29 :: v_dual_fmaak_f32 v20, s22, v18, 0x3c091de6
	v_sub_f32_e32 v29, v30, v29
	s_delay_alu instid0(VALU_DEP_2) | instskip(NEXT) | instid1(VALU_DEP_1)
	v_fmaak_f32 v20, v18, v20, 0x3d2aadcc
	v_fmaak_f32 v20, v18, v20, 0x3e2aaa47
	s_delay_alu instid0(VALU_DEP_1) | instskip(NEXT) | instid1(VALU_DEP_1)
	v_fmaak_f32 v20, v18, v20, 0x3efffffc
	v_mul_f32_e32 v32, v20, v31
	s_delay_alu instid0(VALU_DEP_1) | instskip(NEXT) | instid1(VALU_DEP_1)
	v_fma_f32 v30, v31, v20, -v32
	v_fmac_f32_e32 v30, v29, v20
	s_delay_alu instid0(VALU_DEP_1) | instskip(NEXT) | instid1(VALU_DEP_1)
	v_add_f32_e32 v20, v32, v30
	v_add_f32_e32 v29, v18, v20
	s_delay_alu instid0(VALU_DEP_1) | instskip(NEXT) | instid1(VALU_DEP_1)
	v_dual_sub_f32 v18, v29, v18 :: v_dual_sub_f32 v31, v20, v32
	v_dual_sub_f32 v30, v30, v31 :: v_dual_sub_f32 v18, v20, v18
	s_delay_alu instid0(VALU_DEP_1) | instskip(NEXT) | instid1(VALU_DEP_1)
	v_add_f32_e32 v16, v16, v30
	v_add_f32_e32 v16, v16, v18
	s_delay_alu instid0(VALU_DEP_1) | instskip(NEXT) | instid1(VALU_DEP_1)
	v_add_f32_e32 v18, v29, v16
	v_dual_add_f32 v20, 1.0, v18 :: v_dual_sub_f32 v29, v18, v29
	s_delay_alu instid0(VALU_DEP_1) | instskip(NEXT) | instid1(VALU_DEP_1)
	v_dual_add_f32 v30, -1.0, v20 :: v_dual_sub_f32 v16, v16, v29
	v_sub_f32_e32 v18, v18, v30
	s_delay_alu instid0(VALU_DEP_1) | instskip(SKIP_1) | instid1(VALU_DEP_2)
	v_add_f32_e32 v16, v16, v18
	v_cvt_i32_f32_e32 v18, v28
	v_add_f32_e32 v28, v20, v16
	s_delay_alu instid0(VALU_DEP_1) | instskip(SKIP_1) | instid1(VALU_DEP_2)
	v_ldexp_f32 v29, v28, v18
	v_sub_f32_e32 v20, v28, v20
	v_rcp_f32_e32 v30, v29
	v_nop
	s_delay_alu instid0(TRANS32_DEP_1) | instskip(NEXT) | instid1(VALU_DEP_1)
	v_dual_sub_f32 v16, v16, v20 :: v_dual_mul_f32 v20, v29, v30
	v_ldexp_f32 v16, v16, v18
	s_delay_alu instid0(VALU_DEP_2) | instskip(NEXT) | instid1(VALU_DEP_1)
	v_fma_f32 v18, v30, v29, -v20
	v_fmac_f32_e32 v18, v30, v16
	s_delay_alu instid0(VALU_DEP_1) | instskip(NEXT) | instid1(VALU_DEP_1)
	v_add_f32_e32 v28, v20, v18
	v_sub_f32_e32 v20, v28, v20
	s_delay_alu instid0(VALU_DEP_1) | instskip(NEXT) | instid1(VALU_DEP_1)
	v_dual_sub_f32 v18, v20, v18 :: v_dual_sub_f32 v31, 1.0, v28
	v_sub_f32_e32 v32, 1.0, v31
	s_delay_alu instid0(VALU_DEP_1) | instskip(NEXT) | instid1(VALU_DEP_1)
	v_sub_f32_e32 v20, v32, v28
	v_add_f32_e32 v18, v18, v20
	s_delay_alu instid0(VALU_DEP_1) | instskip(NEXT) | instid1(VALU_DEP_1)
	v_add_f32_e32 v20, v31, v18
	v_mul_f32_e32 v28, v30, v20
	s_delay_alu instid0(VALU_DEP_1) | instskip(NEXT) | instid1(VALU_DEP_1)
	v_mul_f32_e32 v32, v29, v28
	v_fma_f32 v33, v28, v29, -v32
	s_delay_alu instid0(VALU_DEP_1) | instskip(NEXT) | instid1(VALU_DEP_1)
	v_fmac_f32_e32 v33, v28, v16
	v_add_f32_e32 v34, v32, v33
	s_delay_alu instid0(VALU_DEP_1) | instskip(NEXT) | instid1(VALU_DEP_1)
	v_dual_sub_f32 v35, v20, v34 :: v_dual_sub_f32 v31, v31, v20
	v_sub_f32_e32 v20, v20, v35
	s_delay_alu instid0(VALU_DEP_2) | instskip(NEXT) | instid1(VALU_DEP_2)
	v_add_f32_e32 v18, v18, v31
	v_dual_sub_f32 v31, v34, v32 :: v_dual_sub_f32 v20, v20, v34
	s_delay_alu instid0(VALU_DEP_1) | instskip(NEXT) | instid1(VALU_DEP_1)
	v_dual_sub_f32 v31, v31, v33 :: v_dual_add_f32 v18, v18, v20
	v_dual_add_f32 v18, v31, v18 :: v_dual_add_f32 v20, v30, v28
	s_delay_alu instid0(VALU_DEP_1) | instskip(NEXT) | instid1(VALU_DEP_2)
	v_add_f32_e32 v18, v35, v18
	v_sub_f32_e32 v31, v20, v30
	s_delay_alu instid0(VALU_DEP_1) | instskip(NEXT) | instid1(VALU_DEP_1)
	v_dual_mul_f32 v18, v30, v18 :: v_dual_sub_f32 v28, v28, v31
	v_add_f32_e32 v18, v28, v18
	s_delay_alu instid0(VALU_DEP_1) | instskip(NEXT) | instid1(VALU_DEP_1)
	v_add_f32_e32 v28, v20, v18
	v_sub_f32_e32 v20, v28, v20
	s_delay_alu instid0(VALU_DEP_1) | instskip(SKIP_1) | instid1(VALU_DEP_2)
	v_sub_f32_e32 v18, v18, v20
	v_ldexp_f32 v30, v28, -2
	v_ldexp_f32 v18, v18, -2
	s_delay_alu instid0(VALU_DEP_2) | instskip(NEXT) | instid1(VALU_DEP_2)
	v_add_f32_e32 v28, v29, v30
	v_add_f32_e32 v16, v16, v18
	s_delay_alu instid0(VALU_DEP_2) | instskip(NEXT) | instid1(VALU_DEP_1)
	v_sub_f32_e32 v20, v28, v29
	v_sub_f32_e32 v20, v30, v20
	s_delay_alu instid0(VALU_DEP_1) | instskip(NEXT) | instid1(VALU_DEP_1)
	v_add_f32_e32 v16, v16, v20
	v_add_f32_e32 v16, v28, v16
	s_delay_alu instid0(VALU_DEP_1)
	v_cndmask_b32_e64 v16, 0x7f800000, v16, s2
	global_store_b32 v[24:25], v16, off
	s_wait_xcnt 0x0
	s_or_b32 exec_lo, exec_lo, s3
	s_and_saveexec_b32 s2, vcc_lo
	s_cbranch_execz .LBB86_3
.LBB86_19:                              ;   in Loop: Header=BB86_4 Depth=1
	v_add_f32_e32 v16, 0xbf317218, v26
	v_cmp_nlt_f32_e32 vcc_lo, 0x42b2d4fc, v26
	s_delay_alu instid0(VALU_DEP_2) | instskip(NEXT) | instid1(VALU_DEP_1)
	v_sub_f32_e32 v18, v16, v26
	v_sub_f32_e32 v20, v18, v16
	s_delay_alu instid0(VALU_DEP_1) | instskip(SKIP_1) | instid1(VALU_DEP_1)
	v_add_f32_e32 v20, v26, v20
	v_add_f32_e32 v18, 0x3f317218, v18
	v_sub_f32_e32 v18, v20, v18
	s_delay_alu instid0(VALU_DEP_1) | instskip(NEXT) | instid1(VALU_DEP_1)
	v_add_f32_e32 v18, 0x3102e308, v18
	v_add_f32_e32 v20, v16, v18
	s_delay_alu instid0(VALU_DEP_1) | instskip(SKIP_1) | instid1(VALU_DEP_2)
	v_mul_f32_e32 v24, 0x3fb8aa3b, v20
	v_sub_f32_e32 v16, v16, v20
	v_rndne_f32_e32 v24, v24
	s_delay_alu instid0(VALU_DEP_2) | instskip(NEXT) | instid1(VALU_DEP_2)
	v_add_f32_e32 v16, v18, v16
	v_fmac_f32_e32 v20, 0xbf317200, v24
	v_mul_f32_e32 v18, 0x35bfbc00, v24
	s_delay_alu instid0(VALU_DEP_2) | instskip(NEXT) | instid1(VALU_DEP_1)
	v_add_f32_e32 v25, v16, v20
	v_dual_sub_f32 v27, v25, v18 :: v_dual_sub_f32 v20, v20, v25
	s_delay_alu instid0(VALU_DEP_1) | instskip(NEXT) | instid1(VALU_DEP_1)
	v_dual_sub_f32 v25, v25, v27 :: v_dual_add_f32 v16, v16, v20
	v_sub_f32_e32 v18, v25, v18
	s_delay_alu instid0(VALU_DEP_1) | instskip(SKIP_1) | instid1(VALU_DEP_2)
	v_add_f32_e32 v16, v16, v18
	v_mul_f32_e32 v18, 0x2ea39ef3, v24
	v_add_f32_e32 v20, v27, v16
	s_delay_alu instid0(VALU_DEP_1) | instskip(NEXT) | instid1(VALU_DEP_1)
	v_sub_f32_e32 v27, v27, v20
	v_add_f32_e32 v16, v16, v27
	s_delay_alu instid0(VALU_DEP_4) | instskip(NEXT) | instid1(VALU_DEP_1)
	v_sub_f32_e32 v25, v20, v18
	v_sub_f32_e32 v20, v20, v25
	s_delay_alu instid0(VALU_DEP_1) | instskip(NEXT) | instid1(VALU_DEP_1)
	v_sub_f32_e32 v18, v20, v18
	v_add_f32_e32 v16, v16, v18
	s_delay_alu instid0(VALU_DEP_1) | instskip(NEXT) | instid1(VALU_DEP_1)
	v_add_f32_e32 v18, v25, v16
	v_dual_sub_f32 v20, v25, v18 :: v_dual_mul_f32 v25, v18, v18
	s_delay_alu instid0(VALU_DEP_1) | instskip(SKIP_1) | instid1(VALU_DEP_2)
	v_add_f32_e32 v16, v16, v20
	v_fmaak_f32 v20, s22, v18, 0x3c091de6
	v_dual_fma_f32 v27, v18, v18, -v25 :: v_dual_add_f32 v28, v16, v16
	s_delay_alu instid0(VALU_DEP_2) | instskip(NEXT) | instid1(VALU_DEP_2)
	v_fmaak_f32 v20, v18, v20, 0x3d2aadcc
	v_fmac_f32_e32 v27, v18, v28
	s_delay_alu instid0(VALU_DEP_2) | instskip(NEXT) | instid1(VALU_DEP_2)
	v_fmaak_f32 v20, v18, v20, 0x3e2aaa47
	v_add_f32_e32 v28, v25, v27
	s_delay_alu instid0(VALU_DEP_1) | instskip(NEXT) | instid1(VALU_DEP_1)
	v_dual_fmaak_f32 v20, v18, v20, 0x3efffffc :: v_dual_sub_f32 v25, v28, v25
	v_dual_mul_f32 v29, v20, v28 :: v_dual_sub_f32 v25, v27, v25
	s_delay_alu instid0(VALU_DEP_1) | instskip(NEXT) | instid1(VALU_DEP_1)
	v_fma_f32 v27, v28, v20, -v29
	v_fmac_f32_e32 v27, v25, v20
	s_delay_alu instid0(VALU_DEP_1) | instskip(NEXT) | instid1(VALU_DEP_1)
	v_add_f32_e32 v20, v29, v27
	v_add_f32_e32 v25, v18, v20
	s_delay_alu instid0(VALU_DEP_1) | instskip(NEXT) | instid1(VALU_DEP_1)
	v_dual_sub_f32 v18, v25, v18 :: v_dual_sub_f32 v28, v20, v29
	v_dual_sub_f32 v18, v20, v18 :: v_dual_sub_f32 v27, v27, v28
	s_delay_alu instid0(VALU_DEP_1) | instskip(NEXT) | instid1(VALU_DEP_1)
	v_add_f32_e32 v16, v16, v27
	v_add_f32_e32 v16, v16, v18
	s_delay_alu instid0(VALU_DEP_1) | instskip(NEXT) | instid1(VALU_DEP_1)
	v_add_f32_e32 v18, v25, v16
	v_dual_add_f32 v20, 1.0, v18 :: v_dual_sub_f32 v25, v18, v25
	s_delay_alu instid0(VALU_DEP_1) | instskip(NEXT) | instid1(VALU_DEP_1)
	v_dual_add_f32 v27, -1.0, v20 :: v_dual_sub_f32 v16, v16, v25
	v_sub_f32_e32 v18, v18, v27
	s_delay_alu instid0(VALU_DEP_1) | instskip(SKIP_1) | instid1(VALU_DEP_2)
	v_add_f32_e32 v16, v16, v18
	v_cvt_i32_f32_e32 v18, v24
	v_add_f32_e32 v24, v20, v16
	s_delay_alu instid0(VALU_DEP_1) | instskip(SKIP_1) | instid1(VALU_DEP_2)
	v_ldexp_f32 v25, v24, v18
	v_sub_f32_e32 v20, v24, v20
	v_rcp_f32_e32 v27, v25
	s_delay_alu instid0(VALU_DEP_1) | instskip(NEXT) | instid1(VALU_DEP_1)
	v_sub_f32_e32 v16, v16, v20
	v_ldexp_f32 v16, v16, v18
	s_delay_alu instid0(TRANS32_DEP_1) | instskip(NEXT) | instid1(VALU_DEP_1)
	v_mul_f32_e32 v20, v25, v27
	v_fma_f32 v18, v27, v25, -v20
	s_delay_alu instid0(VALU_DEP_1) | instskip(NEXT) | instid1(VALU_DEP_1)
	v_fmac_f32_e32 v18, v27, v16
	v_add_f32_e32 v24, v20, v18
	s_delay_alu instid0(VALU_DEP_1) | instskip(NEXT) | instid1(VALU_DEP_1)
	v_sub_f32_e32 v28, 1.0, v24
	v_sub_f32_e32 v29, 1.0, v28
	v_sub_f32_e32 v20, v24, v20
	s_delay_alu instid0(VALU_DEP_1) | instskip(NEXT) | instid1(VALU_DEP_1)
	v_dual_sub_f32 v18, v20, v18 :: v_dual_sub_f32 v20, v29, v24
	v_add_f32_e32 v18, v18, v20
	s_delay_alu instid0(VALU_DEP_1) | instskip(NEXT) | instid1(VALU_DEP_1)
	v_add_f32_e32 v20, v28, v18
	v_mul_f32_e32 v24, v27, v20
	s_delay_alu instid0(VALU_DEP_1) | instskip(SKIP_1) | instid1(VALU_DEP_2)
	v_mul_f32_e32 v29, v25, v24
	v_sub_f32_e32 v28, v28, v20
	v_fma_f32 v30, v24, v25, -v29
	s_delay_alu instid0(VALU_DEP_1) | instskip(NEXT) | instid1(VALU_DEP_1)
	v_fmac_f32_e32 v30, v24, v16
	v_add_f32_e32 v31, v29, v30
	s_delay_alu instid0(VALU_DEP_1) | instskip(NEXT) | instid1(VALU_DEP_1)
	v_sub_f32_e32 v32, v20, v31
	v_sub_f32_e32 v20, v20, v32
	v_dual_add_f32 v18, v18, v28 :: v_dual_sub_f32 v28, v31, v29
	s_delay_alu instid0(VALU_DEP_2) | instskip(NEXT) | instid1(VALU_DEP_1)
	v_sub_f32_e32 v20, v20, v31
	v_dual_sub_f32 v28, v28, v30 :: v_dual_add_f32 v18, v18, v20
	s_delay_alu instid0(VALU_DEP_1) | instskip(NEXT) | instid1(VALU_DEP_1)
	v_dual_add_f32 v20, v27, v24 :: v_dual_add_f32 v18, v28, v18
	v_sub_f32_e32 v28, v20, v27
	s_delay_alu instid0(VALU_DEP_2) | instskip(NEXT) | instid1(VALU_DEP_1)
	v_add_f32_e32 v18, v32, v18
	v_dual_sub_f32 v24, v24, v28 :: v_dual_mul_f32 v18, v27, v18
	s_delay_alu instid0(VALU_DEP_1) | instskip(NEXT) | instid1(VALU_DEP_1)
	v_add_f32_e32 v18, v24, v18
	v_add_f32_e32 v24, v20, v18
	s_delay_alu instid0(VALU_DEP_1) | instskip(NEXT) | instid1(VALU_DEP_1)
	v_ldexp_f32 v27, v24, -2
	v_dual_sub_f32 v20, v24, v20 :: v_dual_add_f32 v24, v25, v27
	s_delay_alu instid0(VALU_DEP_1) | instskip(NEXT) | instid1(VALU_DEP_1)
	v_dual_sub_f32 v18, v18, v20 :: v_dual_sub_f32 v20, v24, v25
	v_ldexp_f32 v18, v18, -2
	s_delay_alu instid0(VALU_DEP_1) | instskip(NEXT) | instid1(VALU_DEP_1)
	v_dual_sub_f32 v20, v27, v20 :: v_dual_add_f32 v16, v16, v18
	v_add_f32_e32 v16, v16, v20
	s_delay_alu instid0(VALU_DEP_1) | instskip(NEXT) | instid1(VALU_DEP_1)
	v_add_f32_e32 v16, v24, v16
	v_cndmask_b32_e32 v16, 0x7f800000, v16, vcc_lo
	global_store_b32 v[22:23], v16, off
	s_branch .LBB86_3
.LBB86_20:
	s_cbranch_execz .LBB86_22
	s_branch .LBB86_25
.LBB86_21:
.LBB86_22:
	v_min_i64 v[6:7], 0x10000, s[10:11]
	v_dual_mov_b32 v3, 0 :: v_dual_lshlrev_b32 v2, 2, v0
	s_mov_b32 s2, exec_lo
	s_delay_alu instid0(VALU_DEP_1)
	v_cmpx_lt_i64_e64 v[2:3], v[6:7]
	s_cbranch_execz .LBB86_25
; %bb.23:
	s_load_b32 s2, s[0:1], 0xd3c
	v_dual_mov_b32 v1, v3 :: v_dual_lshlrev_b32 v2, 4, v0
	s_wait_xcnt 0x0
	s_add_nc_u64 s[0:1], s[6:7], s[8:9]
	s_mov_b32 s3, -1.0
	v_mov_b32_e32 v9, 0x3f317218
	v_add_nc_u64_e32 v[2:3], s[0:1], v[2:3]
	v_dual_mov_b32 v11, -1.0 :: v_dual_mov_b32 v13, 1.0
	s_mov_b32 s1, 0
	s_mov_b32 s4, 0x3ab42872
	;; [unrolled: 1-line block ×3, first 2 shown]
	s_delay_alu instid0(VALU_DEP_2)
	v_add_nc_u64_e32 v[14:15], 8, v[2:3]
	s_wait_kmcnt 0x0
	v_mov_b64_e32 v[16:17], s[2:3]
	s_and_b32 s0, s2, 0xffff
	s_mov_b32 s3, s1
	s_lshl_b32 s2, s0, 4
.LBB86_24:                              ; =>This Inner Loop Header: Depth=1
	global_load_b128 v[2:5], v[14:15], off offset:-8
	v_add_nc_u64_e32 v[0:1], s[0:1], v[0:1]
	s_wait_loadcnt 0x0
	v_add_f32_e64 v10, 0xbf317218, |v2|
	v_add_f32_e64 v12, 0xbf317218, |v3|
	v_and_b32_e32 v8, 0x7fffffff, v2
	v_add_f32_e64 v24, 0xbf317218, |v4|
	v_add_f32_e64 v25, 0xbf317218, |v5|
	v_sub_f32_e64 v19, v10, |v2|
	v_sub_f32_e64 v21, v12, |v3|
	v_cmp_nlt_f32_e64 vcc_lo, 0x42b2d4fc, |v3|
	v_sub_f32_e64 v23, v24, |v4|
	s_delay_alu instid0(VALU_DEP_3) | instskip(NEXT) | instid1(VALU_DEP_2)
	v_dual_sub_f32 v18, v19, v10 :: v_dual_sub_f32 v20, v21, v12
	v_sub_f32_e32 v22, v23, v24
	s_delay_alu instid0(VALU_DEP_2) | instskip(SKIP_1) | instid1(VALU_DEP_2)
	v_pk_add_f32 v[18:19], v[8:9], v[18:19]
	v_and_b32_e32 v8, 0x7fffffff, v3
	v_sub_f32_e32 v18, v18, v19
	s_delay_alu instid0(VALU_DEP_2) | instskip(SKIP_2) | instid1(VALU_DEP_3)
	v_pk_add_f32 v[20:21], v[8:9], v[20:21]
	v_and_b32_e32 v8, 0x7fffffff, v4
	v_sub_f32_e64 v19, v25, |v5|
	v_sub_f32_e32 v28, v20, v21
	s_delay_alu instid0(VALU_DEP_3) | instskip(SKIP_1) | instid1(VALU_DEP_2)
	v_pk_add_f32 v[20:21], v[8:9], v[22:23]
	v_and_b32_e32 v8, 0x7fffffff, v5
	v_sub_f32_e32 v20, v20, v21
	s_delay_alu instid0(VALU_DEP_4) | instskip(NEXT) | instid1(VALU_DEP_2)
	v_dual_add_f32 v26, 0x3102e308, v18 :: v_dual_add_f32 v23, 0x3102e308, v28
	v_dual_sub_f32 v18, v19, v25 :: v_dual_add_f32 v21, 0x3102e308, v20
	s_delay_alu instid0(VALU_DEP_2) | instskip(NEXT) | instid1(VALU_DEP_2)
	v_add_f32_e32 v27, v10, v26
	v_pk_add_f32 v[18:19], v[8:9], v[18:19]
	s_delay_alu instid0(VALU_DEP_2) | instskip(NEXT) | instid1(VALU_DEP_1)
	v_dual_add_f32 v30, v24, v21 :: v_dual_sub_f32 v8, v10, v27
	v_dual_sub_f32 v24, v24, v30 :: v_dual_add_f32 v8, v26, v8
	v_mul_f32_e32 v22, 0x3fb8aa3b, v27
	s_delay_alu instid0(VALU_DEP_1) | instskip(NEXT) | instid1(VALU_DEP_1)
	v_rndne_f32_e32 v10, v22
	v_dual_add_f32 v22, v12, v23 :: v_dual_fmac_f32 v27, 0xbf317200, v10
	s_delay_alu instid0(VALU_DEP_1) | instskip(SKIP_2) | instid1(VALU_DEP_4)
	v_dual_sub_f32 v18, v18, v19 :: v_dual_sub_f32 v12, v12, v22
	v_mul_f32_e32 v19, 0x2ea39ef3, v10
	v_cvt_i32_f32_e32 v32, v10
	v_dual_add_f32 v29, v8, v27 :: v_dual_mul_f32 v28, 0x35bfbc00, v10
	v_mul_f32_e32 v26, 0x3fb8aa3b, v22
	v_add_f32_e32 v10, v23, v12
	s_delay_alu instid0(VALU_DEP_3) | instskip(NEXT) | instid1(VALU_DEP_3)
	v_dual_sub_f32 v23, v27, v29 :: v_dual_sub_f32 v20, v29, v28
	v_rndne_f32_e32 v12, v26
	s_delay_alu instid0(VALU_DEP_2) | instskip(SKIP_1) | instid1(VALU_DEP_3)
	v_dual_add_f32 v8, v8, v23 :: v_dual_sub_f32 v27, v29, v20
	v_add_f32_e32 v18, 0x3102e308, v18
	v_mul_f32_e32 v33, 0x35bfbc00, v12
	v_fmac_f32_e32 v22, 0xbf317200, v12
	v_cvt_i32_f32_e32 v40, v12
	s_delay_alu instid0(VALU_DEP_4) | instskip(SKIP_2) | instid1(VALU_DEP_3)
	v_dual_sub_f32 v27, v27, v28 :: v_dual_add_f32 v31, v25, v18
	v_mul_f32_e32 v26, 0x3fb8aa3b, v30
	v_add_f32_e32 v24, v21, v24
	v_dual_mul_f32 v23, 0x2ea39ef3, v12 :: v_dual_add_f32 v8, v8, v27
	s_delay_alu instid0(VALU_DEP_4) | instskip(NEXT) | instid1(VALU_DEP_4)
	v_mul_f32_e32 v27, 0x3fb8aa3b, v31
	v_rndne_f32_e32 v38, v26
	v_dual_sub_f32 v26, v25, v31 :: v_dual_add_f32 v34, v10, v22
	s_delay_alu instid0(VALU_DEP_4) | instskip(NEXT) | instid1(VALU_DEP_4)
	v_add_f32_e32 v21, v20, v8
	v_rndne_f32_e32 v39, v27
	s_delay_alu instid0(VALU_DEP_4) | instskip(NEXT) | instid1(VALU_DEP_4)
	v_mul_f32_e32 v35, 0x35bfbc00, v38
	v_add_f32_e32 v36, v18, v26
	v_fmac_f32_e32 v30, 0xbf317200, v38
	v_dual_mov_b32 v18, v21 :: v_dual_mul_f32 v25, 0x2ea39ef3, v38
	v_dual_sub_f32 v26, v34, v33 :: v_dual_fmac_f32 v31, 0xbf317200, v39
	v_mul_f32_e32 v37, 0x35bfbc00, v39
	s_delay_alu instid0(VALU_DEP_3) | instskip(SKIP_1) | instid1(VALU_DEP_2)
	v_pk_add_f32 v[28:29], v[20:21], v[18:19] neg_lo:[0,1] neg_hi:[0,1]
	v_add_f32_e32 v27, v24, v30
	v_dual_sub_f32 v20, v34, v26 :: v_dual_add_f32 v8, v8, v28
	s_delay_alu instid0(VALU_DEP_3) | instskip(NEXT) | instid1(VALU_DEP_2)
	v_dual_sub_f32 v21, v21, v29 :: v_dual_sub_f32 v22, v22, v34
	v_dual_sub_f32 v18, v27, v35 :: v_dual_sub_f32 v33, v20, v33
	s_delay_alu instid0(VALU_DEP_2) | instskip(SKIP_1) | instid1(VALU_DEP_3)
	v_dual_sub_f32 v19, v21, v19 :: v_dual_add_f32 v10, v10, v22
	v_sub_f32_e32 v22, v30, v27
	v_dual_add_f32 v30, v36, v31 :: v_dual_sub_f32 v21, v27, v18
	s_delay_alu instid0(VALU_DEP_2) | instskip(NEXT) | instid1(VALU_DEP_2)
	v_dual_add_f32 v10, v10, v33 :: v_dual_add_f32 v22, v24, v22
	v_dual_sub_f32 v20, v30, v37 :: v_dual_add_f32 v8, v8, v19
	s_delay_alu instid0(VALU_DEP_3) | instskip(NEXT) | instid1(VALU_DEP_3)
	v_dual_sub_f32 v24, v31, v30 :: v_dual_sub_f32 v19, v21, v35
	v_add_f32_e32 v27, v26, v10
	s_delay_alu instid0(VALU_DEP_3) | instskip(NEXT) | instid1(VALU_DEP_4)
	v_sub_f32_e32 v21, v30, v20
	v_add_f32_e32 v33, v29, v8
	s_delay_alu instid0(VALU_DEP_4) | instskip(NEXT) | instid1(VALU_DEP_4)
	v_dual_add_f32 v24, v36, v24 :: v_dual_add_f32 v34, v22, v19
	v_dual_mov_b32 v22, v27 :: v_dual_mul_f32 v31, 0x2ea39ef3, v39
	s_delay_alu instid0(VALU_DEP_3) | instskip(NEXT) | instid1(VALU_DEP_3)
	v_sub_f32_e32 v30, v29, v33
	v_dual_sub_f32 v21, v21, v37 :: v_dual_add_f32 v19, v18, v34
	s_delay_alu instid0(VALU_DEP_3) | instskip(NEXT) | instid1(VALU_DEP_3)
	v_pk_add_f32 v[28:29], v[26:27], v[22:23] neg_lo:[0,1] neg_hi:[0,1]
	v_dual_mul_f32 v26, v33, v33 :: v_dual_add_f32 v8, v8, v30
	s_delay_alu instid0(VALU_DEP_3) | instskip(SKIP_1) | instid1(VALU_DEP_4)
	v_dual_add_f32 v35, v24, v21 :: v_dual_mov_b32 v24, v19
	v_fmaak_f32 v21, s4, v33, 0x3c091de6
	v_sub_f32_e32 v22, v27, v29
	s_delay_alu instid0(VALU_DEP_4) | instskip(SKIP_1) | instid1(VALU_DEP_4)
	v_dual_fma_f32 v27, v33, v33, -v26 :: v_dual_add_f32 v10, v10, v28
	v_add_f32_e32 v30, v8, v8
	v_dual_fmaak_f32 v36, v33, v21, 0x3d2aadcc :: v_dual_add_f32 v21, v20, v35
	s_delay_alu instid0(VALU_DEP_4) | instskip(SKIP_1) | instid1(VALU_DEP_4)
	v_sub_f32_e32 v28, v22, v23
	v_pk_add_f32 v[22:23], v[18:19], v[24:25] neg_lo:[0,1] neg_hi:[0,1]
	v_fmac_f32_e32 v27, v33, v30
	s_delay_alu instid0(VALU_DEP_3) | instskip(NEXT) | instid1(VALU_DEP_2)
	v_dual_mov_b32 v30, v21 :: v_dual_add_f32 v10, v10, v28
	v_add_f32_e32 v24, v26, v27
	s_delay_alu instid0(VALU_DEP_4) | instskip(NEXT) | instid1(VALU_DEP_3)
	v_add_f32_e32 v22, v34, v22
	v_add_f32_e32 v34, v29, v10
	v_fmaak_f32 v36, v33, v36, 0x3e2aaa47
	s_delay_alu instid0(VALU_DEP_4) | instskip(NEXT) | instid1(VALU_DEP_1)
	v_sub_f32_e32 v26, v24, v26
	v_sub_f32_e32 v26, v27, v26
	s_delay_alu instid0(VALU_DEP_3) | instskip(SKIP_2) | instid1(VALU_DEP_2)
	v_dual_mul_f32 v27, v34, v34 :: v_dual_fmaak_f32 v28, v33, v36, 0x3efffffc
	v_sub_f32_e32 v36, v19, v23
	v_pk_add_f32 v[18:19], v[20:21], v[30:31] neg_lo:[0,1] neg_hi:[0,1]
	v_dual_sub_f32 v20, v36, v25 :: v_dual_sub_f32 v25, v29, v34
	s_delay_alu instid0(VALU_DEP_2) | instskip(NEXT) | instid1(VALU_DEP_2)
	v_dual_sub_f32 v21, v21, v19 :: v_dual_add_f32 v18, v35, v18
	v_dual_add_f32 v25, v10, v25 :: v_dual_mul_f32 v37, v28, v24
	s_delay_alu instid0(VALU_DEP_1) | instskip(NEXT) | instid1(VALU_DEP_1)
	v_dual_sub_f32 v21, v21, v31 :: v_dual_fma_f32 v24, v24, v28, -v37
	v_fmac_f32_e32 v24, v26, v28
	v_fmaak_f32 v10, s4, v34, 0x3c091de6
	s_delay_alu instid0(VALU_DEP_4) | instskip(NEXT) | instid1(VALU_DEP_2)
	v_dual_fma_f32 v26, v34, v34, -v27 :: v_dual_add_f32 v28, v25, v25
	v_dual_add_f32 v29, v37, v24 :: v_dual_fmaak_f32 v10, v34, v10, 0x3d2aadcc
	v_add_f32_e32 v20, v22, v20
	s_delay_alu instid0(VALU_DEP_2) | instskip(NEXT) | instid1(VALU_DEP_3)
	v_dual_fmac_f32 v26, v34, v28 :: v_dual_sub_f32 v28, v29, v37
	v_fmaak_f32 v22, v34, v10, 0x3e2aaa47
	s_delay_alu instid0(VALU_DEP_3) | instskip(NEXT) | instid1(VALU_DEP_3)
	v_dual_add_f32 v10, v33, v29 :: v_dual_add_f32 v30, v23, v20
	v_dual_add_f32 v31, v27, v26 :: v_dual_sub_f32 v24, v24, v28
	v_add_f32_e32 v28, v18, v21
	s_delay_alu instid0(VALU_DEP_2) | instskip(NEXT) | instid1(VALU_DEP_3)
	v_dual_sub_f32 v33, v10, v33 :: v_dual_sub_f32 v18, v31, v27
	v_add_f32_e32 v8, v8, v24
	s_delay_alu instid0(VALU_DEP_2) | instskip(SKIP_3) | instid1(VALU_DEP_4)
	v_dual_fmaak_f32 v24, s4, v30, 0x3c091de6 :: v_dual_sub_f32 v21, v29, v33
	v_sub_f32_e32 v23, v23, v30
	v_fmaak_f32 v22, v34, v22, 0x3efffffc
	v_dual_sub_f32 v26, v26, v18 :: v_dual_add_f32 v33, v19, v28
	v_dual_add_f32 v18, v8, v21 :: v_dual_mul_f32 v8, v30, v30
	s_delay_alu instid0(VALU_DEP_2) | instskip(NEXT) | instid1(VALU_DEP_1)
	v_dual_mul_f32 v27, v22, v31 :: v_dual_sub_f32 v19, v19, v33
	v_dual_mul_f32 v36, v33, v33 :: v_dual_fma_f32 v29, v31, v22, -v27
	s_delay_alu instid0(VALU_DEP_3) | instskip(SKIP_1) | instid1(VALU_DEP_3)
	v_dual_add_f32 v31, v20, v23 :: v_dual_add_f32 v20, v10, v18
	v_fmaak_f32 v23, v30, v24, 0x3d2aadcc
	v_dual_add_f32 v37, v28, v19 :: v_dual_fma_f32 v28, v33, v33, -v36
	s_delay_alu instid0(VALU_DEP_3) | instskip(NEXT) | instid1(VALU_DEP_4)
	v_dual_add_f32 v21, 1.0, v20 :: v_dual_fmac_f32 v29, v26, v22
	v_add_f32_e32 v22, v31, v31
	s_delay_alu instid0(VALU_DEP_2) | instskip(SKIP_1) | instid1(VALU_DEP_2)
	v_dual_fmaak_f32 v35, v30, v23, 0x3e2aaa47 :: v_dual_add_f32 v24, v27, v29
	v_fma_f32 v26, v30, v30, -v8
	v_fmaak_f32 v35, v30, v35, 0x3efffffc
	s_delay_alu instid0(VALU_DEP_2) | instskip(SKIP_1) | instid1(VALU_DEP_2)
	v_dual_sub_f32 v27, v24, v27 :: v_dual_fmac_f32 v26, v30, v22
	v_pk_add_f32 v[22:23], v[20:21], v[10:11] neg_lo:[0,1] neg_hi:[0,1]
	v_dual_add_f32 v10, v34, v24 :: v_dual_add_f32 v23, v8, v26
	s_delay_alu instid0(VALU_DEP_1) | instskip(NEXT) | instid1(VALU_DEP_2)
	v_dual_sub_f32 v27, v29, v27 :: v_dual_sub_f32 v29, v10, v34
	v_sub_f32_e32 v8, v23, v8
	s_delay_alu instid0(VALU_DEP_2) | instskip(NEXT) | instid1(VALU_DEP_2)
	v_dual_mul_f32 v34, v35, v23 :: v_dual_sub_f32 v24, v24, v29
	v_dual_add_f32 v19, v25, v27 :: v_dual_sub_f32 v8, v26, v8
	s_delay_alu instid0(VALU_DEP_2) | instskip(NEXT) | instid1(VALU_DEP_2)
	v_fma_f32 v25, v23, v35, -v34
	v_dual_fmaak_f32 v23, s4, v33, 0x3c091de6 :: v_dual_add_f32 v24, v19, v24
	v_add_f32_e32 v19, v37, v37
	v_pk_add_f32 v[26:27], v[20:21], v[16:17]
	s_delay_alu instid0(VALU_DEP_4) | instskip(NEXT) | instid1(VALU_DEP_4)
	v_fmac_f32_e32 v25, v8, v35
	v_fmaak_f32 v8, v33, v23, 0x3d2aadcc
	s_delay_alu instid0(VALU_DEP_4) | instskip(NEXT) | instid1(VALU_DEP_4)
	v_dual_add_f32 v26, v10, v24 :: v_dual_fmac_f32 v28, v33, v19
	v_dual_mov_b32 v19, v20 :: v_dual_mov_b32 v23, v27
	s_delay_alu instid0(VALU_DEP_2) | instskip(NEXT) | instid1(VALU_DEP_4)
	v_dual_add_f32 v29, v34, v25 :: v_dual_add_f32 v27, 1.0, v26
	v_fmaak_f32 v8, v33, v8, 0x3e2aaa47
	s_delay_alu instid0(VALU_DEP_4) | instskip(NEXT) | instid1(VALU_DEP_4)
	v_add_f32_e32 v20, v36, v28
	v_pk_add_f32 v[18:19], v[18:19], v[22:23] neg_lo:[0,1] neg_hi:[0,1]
	s_delay_alu instid0(VALU_DEP_4) | instskip(SKIP_1) | instid1(VALU_DEP_4)
	v_sub_f32_e32 v34, v29, v34
	v_pk_add_f32 v[22:23], v[26:27], v[10:11] neg_lo:[0,1] neg_hi:[0,1]
	v_dual_add_f32 v10, v30, v29 :: v_dual_sub_f32 v23, v20, v36
	s_delay_alu instid0(VALU_DEP_4) | instskip(NEXT) | instid1(VALU_DEP_4)
	v_dual_fmaak_f32 v8, v33, v8, 0x3efffffc :: v_dual_add_f32 v19, v18, v19
	v_sub_f32_e32 v18, v25, v34
	s_delay_alu instid0(VALU_DEP_3) | instskip(NEXT) | instid1(VALU_DEP_3)
	v_dual_sub_f32 v25, v10, v30 :: v_dual_sub_f32 v23, v28, v23
	v_dual_mul_f32 v30, v8, v20 :: v_dual_add_f32 v28, v21, v19
	s_delay_alu instid0(VALU_DEP_2) | instskip(NEXT) | instid1(VALU_DEP_2)
	v_dual_add_f32 v31, v31, v18 :: v_dual_sub_f32 v25, v29, v25
	v_fma_f32 v34, v20, v8, -v30
	s_delay_alu instid0(VALU_DEP_3) | instskip(NEXT) | instid1(VALU_DEP_2)
	v_ldexp_f32 v18, v28, v32
	v_dual_fmac_f32 v34, v23, v8 :: v_dual_sub_f32 v8, v28, v21
	s_delay_alu instid0(VALU_DEP_4) | instskip(NEXT) | instid1(VALU_DEP_3)
	v_add_f32_e32 v20, v31, v25
	v_rcp_f32_e32 v48, v18
	v_pk_add_f32 v[28:29], v[26:27], v[16:17]
	s_delay_alu instid0(VALU_DEP_3) | instskip(SKIP_1) | instid1(VALU_DEP_3)
	v_add_f32_e32 v21, v30, v34
	v_dual_mov_b32 v25, v26 :: v_dual_sub_f32 v8, v19, v8
	v_dual_add_f32 v28, v10, v20 :: v_dual_mov_b32 v23, v29
	s_delay_alu instid0(TRANS32_DEP_1) | instid1(VALU_DEP_3)
	v_dual_sub_f32 v19, v21, v30 :: v_dual_mul_f32 v30, v18, v48
	s_delay_alu instid0(VALU_DEP_3) | instskip(NEXT) | instid1(VALU_DEP_3)
	v_ldexp_f32 v26, v8, v32
	v_add_f32_e32 v29, 1.0, v28
	s_delay_alu instid0(VALU_DEP_4) | instskip(NEXT) | instid1(VALU_DEP_2)
	v_pk_add_f32 v[22:23], v[24:25], v[22:23] neg_lo:[0,1] neg_hi:[0,1]
	v_pk_add_f32 v[24:25], v[28:29], v[10:11] neg_lo:[0,1] neg_hi:[0,1]
	v_dual_add_f32 v10, v33, v21 :: v_dual_fma_f32 v32, v48, v18, -v30
	s_delay_alu instid0(VALU_DEP_3) | instskip(SKIP_2) | instid1(VALU_DEP_4)
	v_add_f32_e32 v8, v22, v23
	v_sub_f32_e32 v19, v34, v19
	v_pk_add_f32 v[34:35], v[28:29], v[16:17]
	v_dual_sub_f32 v22, v10, v33 :: v_dual_fmac_f32 v32, v48, v26
	s_delay_alu instid0(VALU_DEP_3) | instskip(NEXT) | instid1(VALU_DEP_2)
	v_dual_add_f32 v23, v27, v8 :: v_dual_add_f32 v25, v37, v19
	v_dual_sub_f32 v22, v21, v22 :: v_dual_mov_b32 v21, v28
	s_delay_alu instid0(VALU_DEP_3) | instskip(NEXT) | instid1(VALU_DEP_3)
	v_add_f32_e32 v12, v30, v32
	v_ldexp_f32 v19, v23, v40
	s_delay_alu instid0(VALU_DEP_2) | instskip(SKIP_1) | instid1(VALU_DEP_3)
	v_dual_add_f32 v22, v25, v22 :: v_dual_sub_f32 v31, 1.0, v12
	v_mov_b32_e32 v33, v12
	v_rcp_f32_e32 v49, v19
	s_delay_alu instid0(VALU_DEP_2) | instskip(NEXT) | instid1(VALU_DEP_3)
	v_dual_add_f32 v34, v10, v22 :: v_dual_mov_b32 v25, v35
	v_pk_add_f32 v[36:37], v[12:13], v[30:31] neg_lo:[0,1] neg_hi:[0,1]
	s_delay_alu instid0(VALU_DEP_2) | instskip(NEXT) | instid1(VALU_DEP_3)
	v_add_f32_e32 v35, 1.0, v34
	v_pk_add_f32 v[20:21], v[20:21], v[24:25] neg_lo:[0,1] neg_hi:[0,1]
	s_delay_alu instid0(VALU_DEP_3)
	v_pk_add_f32 v[32:33], v[36:37], v[32:33] neg_lo:[0,1] neg_hi:[0,1]
	v_sub_f32_e32 v12, v23, v27
	v_mul_f32_e32 v24, v19, v49
	v_pk_add_f32 v[36:37], v[34:35], v[16:17]
	v_dual_add_f32 v30, v20, v21 :: v_dual_mov_b32 v23, v34
	v_add_f32_e32 v25, v32, v33
	v_pk_add_f32 v[20:21], v[34:35], v[10:11] neg_lo:[0,1] neg_hi:[0,1]
	s_delay_alu instid0(VALU_DEP_4) | instskip(SKIP_1) | instid1(VALU_DEP_4)
	v_dual_sub_f32 v8, v8, v12 :: v_dual_mov_b32 v21, v37
	v_cvt_i32_f32_e32 v27, v38
	v_add_f32_e32 v37, v31, v25
	v_cvt_i32_f32_e32 v10, v39
	s_delay_alu instid0(VALU_DEP_4) | instskip(SKIP_3) | instid1(VALU_DEP_3)
	v_ldexp_f32 v33, v8, v40
	v_add_f32_e32 v8, v29, v30
	v_pk_add_f32 v[20:21], v[22:23], v[20:21] neg_lo:[0,1] neg_hi:[0,1]
	v_dual_fma_f32 v28, v49, v19, -v24 :: v_dual_mul_f32 v32, v48, v37
	v_ldexp_f32 v22, v8, v27
	s_delay_alu instid0(VALU_DEP_3) | instskip(NEXT) | instid1(VALU_DEP_3)
	v_add_f32_e32 v21, v20, v21
	v_dual_fmac_f32 v28, v49, v33 :: v_dual_mul_f32 v20, v18, v32
	v_sub_f32_e32 v23, v31, v37
	s_delay_alu instid0(VALU_DEP_4) | instskip(SKIP_1) | instid1(VALU_DEP_3)
	v_rcp_f32_e32 v50, v22
	v_add_f32_e32 v52, v48, v32
	v_add_f32_e32 v12, v24, v28
	s_delay_alu instid0(VALU_DEP_3) | instskip(NEXT) | instid1(VALU_DEP_1)
	v_dual_sub_f32 v8, v8, v29 :: v_dual_add_f32 v51, v25, v23
	v_dual_add_f32 v29, v35, v21 :: v_dual_sub_f32 v8, v30, v8
	s_delay_alu instid0(TRANS32_DEP_1) | instskip(NEXT) | instid1(VALU_DEP_2)
	v_mul_f32_e32 v30, v22, v50
	v_ldexp_f32 v23, v29, v10
	v_sub_f32_e32 v25, 1.0, v12
	s_delay_alu instid0(VALU_DEP_4) | instskip(NEXT) | instid1(VALU_DEP_4)
	v_ldexp_f32 v34, v8, v27
	v_fma_f32 v38, v50, v22, -v30
	s_delay_alu instid0(VALU_DEP_4) | instskip(SKIP_3) | instid1(VALU_DEP_3)
	v_rcp_f32_e32 v8, v23
	v_dual_sub_f32 v27, v29, v35 :: v_dual_mov_b32 v29, v12
	v_fma_f32 v40, v32, v18, -v20
	v_pk_add_f32 v[42:43], v[12:13], v[24:25] neg_lo:[0,1] neg_hi:[0,1]
	v_dual_fmac_f32 v38, v50, v34 :: v_dual_sub_f32 v21, v21, v27
	s_delay_alu instid0(TRANS32_DEP_1) | instskip(NEXT) | instid1(VALU_DEP_3)
	v_mul_f32_e32 v44, v23, v8
	v_pk_add_f32 v[28:29], v[42:43], v[28:29] neg_lo:[0,1] neg_hi:[0,1]
	s_delay_alu instid0(VALU_DEP_3) | instskip(NEXT) | instid1(VALU_DEP_4)
	v_add_f32_e32 v12, v30, v38
	v_ldexp_f32 v43, v21, v10
	s_delay_alu instid0(VALU_DEP_4) | instskip(SKIP_1) | instid1(VALU_DEP_4)
	v_fma_f32 v24, v8, v23, -v44
	v_fmac_f32_e32 v40, v32, v26
	v_dual_add_f32 v10, v28, v29 :: v_dual_sub_f32 v31, 1.0, v12
	s_delay_alu instid0(VALU_DEP_3) | instskip(NEXT) | instid1(VALU_DEP_2)
	v_fmac_f32_e32 v24, v8, v43
	v_dual_add_f32 v36, v20, v40 :: v_dual_add_f32 v29, v25, v10
	v_mov_b32_e32 v39, v12
	s_delay_alu instid0(VALU_DEP_4) | instskip(NEXT) | instid1(VALU_DEP_4)
	v_pk_add_f32 v[46:47], v[12:13], v[30:31] neg_lo:[0,1] neg_hi:[0,1]
	v_add_f32_e32 v12, v44, v24
	s_delay_alu instid0(VALU_DEP_4) | instskip(SKIP_2) | instid1(VALU_DEP_3)
	v_sub_f32_e32 v21, v37, v36
	v_dual_sub_f32 v27, v52, v48 :: v_dual_mul_f32 v30, v49, v29
	v_dual_mov_b32 v41, v36 :: v_dual_sub_f32 v28, v25, v29
	v_pk_add_f32 v[36:37], v[36:37], v[20:21] neg_lo:[0,1] neg_hi:[0,1]
	s_delay_alu instid0(VALU_DEP_3) | instskip(NEXT) | instid1(VALU_DEP_4)
	v_dual_sub_f32 v45, 1.0, v12 :: v_dual_sub_f32 v27, v32, v27
	v_dual_mul_f32 v20, v19, v30 :: v_dual_mov_b32 v25, v12
	s_delay_alu instid0(VALU_DEP_3) | instskip(NEXT) | instid1(VALU_DEP_3)
	v_pk_add_f32 v[36:37], v[36:37], v[40:41] neg_lo:[0,1] neg_hi:[0,1]
	v_pk_add_f32 v[40:41], v[12:13], v[44:45] neg_lo:[0,1] neg_hi:[0,1]
	;; [unrolled: 1-line block ×3, first 2 shown]
	s_delay_alu instid0(VALU_DEP_4) | instskip(NEXT) | instid1(VALU_DEP_4)
	v_fma_f32 v46, v30, v19, -v20
	v_dual_add_f32 v10, v10, v28 :: v_dual_add_f32 v12, v51, v37
	s_delay_alu instid0(VALU_DEP_4) | instskip(NEXT) | instid1(VALU_DEP_3)
	v_pk_add_f32 v[24:25], v[40:41], v[24:25] neg_lo:[0,1] neg_hi:[0,1]
	v_dual_add_f32 v35, v49, v30 :: v_dual_fmac_f32 v46, v30, v33
	s_delay_alu instid0(VALU_DEP_3) | instskip(NEXT) | instid1(VALU_DEP_3)
	v_dual_add_f32 v32, v38, v39 :: v_dual_add_f32 v12, v36, v12
	v_add_f32_e32 v42, v24, v25
	s_delay_alu instid0(VALU_DEP_3) | instskip(NEXT) | instid1(VALU_DEP_3)
	v_dual_sub_f32 v24, v35, v49 :: v_dual_add_f32 v28, v20, v46
	v_add_f32_e32 v25, v31, v32
	s_delay_alu instid0(VALU_DEP_4) | instskip(NEXT) | instid1(VALU_DEP_3)
	v_add_f32_e32 v12, v21, v12
	v_dual_add_f32 v37, v45, v42 :: v_dual_sub_f32 v51, v30, v24
	s_delay_alu instid0(VALU_DEP_3) | instskip(NEXT) | instid1(VALU_DEP_3)
	v_dual_sub_f32 v21, v29, v28 :: v_dual_mul_f32 v53, v50, v25
	v_mul_f32_e32 v12, v48, v12
	s_delay_alu instid0(VALU_DEP_3) | instskip(NEXT) | instid1(VALU_DEP_3)
	v_mul_f32_e32 v48, v8, v37
	v_dual_mul_f32 v30, v22, v53 :: v_dual_mov_b32 v47, v28
	s_delay_alu instid0(VALU_DEP_3) | instskip(NEXT) | instid1(VALU_DEP_3)
	v_add_f32_e32 v12, v27, v12
	v_mul_f32_e32 v38, v23, v48
	v_pk_add_f32 v[28:29], v[28:29], v[20:21] neg_lo:[0,1] neg_hi:[0,1]
	s_delay_alu instid0(VALU_DEP_4) | instskip(NEXT) | instid1(VALU_DEP_3)
	v_dual_fma_f32 v40, v53, v22, -v30 :: v_dual_sub_f32 v20, v31, v25
	v_dual_fma_f32 v44, v48, v23, -v38 :: v_dual_sub_f32 v27, v45, v37
	s_delay_alu instid0(VALU_DEP_3) | instskip(NEXT) | instid1(VALU_DEP_3)
	v_pk_add_f32 v[28:29], v[28:29], v[46:47] neg_lo:[0,1] neg_hi:[0,1]
	v_add_f32_e32 v20, v32, v20
	s_delay_alu instid0(VALU_DEP_3) | instskip(NEXT) | instid1(VALU_DEP_4)
	v_fmac_f32_e32 v44, v48, v43
	v_dual_fmac_f32 v40, v53, v34 :: v_dual_add_f32 v27, v42, v27
	s_delay_alu instid0(VALU_DEP_4) | instskip(NEXT) | instid1(VALU_DEP_3)
	v_dual_add_f32 v10, v10, v29 :: v_dual_add_f32 v29, v52, v12
	v_add_f32_e32 v36, v38, v44
	s_delay_alu instid0(VALU_DEP_2) | instskip(NEXT) | instid1(VALU_DEP_2)
	v_dual_add_f32 v24, v30, v40 :: v_dual_add_f32 v10, v28, v10
	v_dual_sub_f32 v39, v37, v36 :: v_dual_mov_b32 v45, v36
	s_delay_alu instid0(VALU_DEP_2) | instskip(NEXT) | instid1(VALU_DEP_3)
	v_dual_sub_f32 v31, v25, v24 :: v_dual_mov_b32 v41, v24
	v_add_f32_e32 v10, v21, v10
	s_delay_alu instid0(VALU_DEP_3) | instskip(NEXT) | instid1(VALU_DEP_3)
	v_pk_add_f32 v[36:37], v[36:37], v[38:39] neg_lo:[0,1] neg_hi:[0,1]
	v_pk_add_f32 v[24:25], v[24:25], v[30:31] neg_lo:[0,1] neg_hi:[0,1]
	s_delay_alu instid0(VALU_DEP_3) | instskip(NEXT) | instid1(VALU_DEP_3)
	v_mul_f32_e32 v10, v49, v10
	v_pk_add_f32 v[36:37], v[36:37], v[44:45] neg_lo:[0,1] neg_hi:[0,1]
	s_delay_alu instid0(VALU_DEP_3) | instskip(NEXT) | instid1(VALU_DEP_3)
	v_pk_add_f32 v[24:25], v[24:25], v[40:41] neg_lo:[0,1] neg_hi:[0,1]
	v_add_f32_e32 v10, v51, v10
	s_delay_alu instid0(VALU_DEP_3) | instskip(NEXT) | instid1(VALU_DEP_3)
	v_add_f32_e32 v27, v27, v37
	v_add_f32_e32 v20, v20, v25
	v_dual_add_f32 v25, v50, v53 :: v_dual_sub_f32 v28, v29, v52
	v_add_f32_e32 v30, v8, v48
	s_delay_alu instid0(VALU_DEP_3) | instskip(NEXT) | instid1(VALU_DEP_3)
	v_add_f32_e32 v20, v24, v20
	v_dual_add_f32 v24, v36, v27 :: v_dual_sub_f32 v21, v25, v50
	s_delay_alu instid0(VALU_DEP_3) | instskip(NEXT) | instid1(VALU_DEP_3)
	v_sub_f32_e32 v27, v30, v8
	v_add_f32_e32 v20, v31, v20
	s_delay_alu instid0(VALU_DEP_3) | instskip(NEXT) | instid1(VALU_DEP_2)
	v_dual_add_f32 v24, v39, v24 :: v_dual_sub_f32 v21, v53, v21
	v_dual_sub_f32 v27, v48, v27 :: v_dual_mul_f32 v20, v50, v20
	s_delay_alu instid0(VALU_DEP_2) | instskip(NEXT) | instid1(VALU_DEP_2)
	v_mul_f32_e32 v8, v8, v24
	v_dual_add_f32 v31, v21, v20 :: v_dual_add_f32 v21, v35, v10
	v_sub_f32_e32 v12, v12, v28
	s_delay_alu instid0(VALU_DEP_3) | instskip(SKIP_1) | instid1(VALU_DEP_4)
	v_add_f32_e32 v8, v27, v8
	v_ldexp_f32 v20, v29, -2
	v_add_f32_e32 v24, v25, v31
	v_sub_f32_e32 v27, v21, v35
	v_ldexp_f32 v32, v12, -2
	v_add_f32_e32 v12, v30, v8
	v_ldexp_f32 v21, v21, -2
	s_delay_alu instid0(VALU_DEP_4) | instskip(SKIP_1) | instid1(VALU_DEP_4)
	v_dual_sub_f32 v35, v24, v25 :: v_dual_sub_f32 v10, v10, v27
	v_ldexp_f32 v24, v24, -2
	v_ldexp_f32 v25, v12, -2
	v_sub_f32_e32 v12, v12, v30
	v_pk_add_f32 v[28:29], v[18:19], v[20:21]
	v_ldexp_f32 v27, v10, -2
	v_sub_f32_e32 v35, v31, v35
	v_pk_add_f32 v[30:31], v[22:23], v[24:25]
	v_sub_f32_e32 v8, v8, v12
	v_pk_add_f32 v[18:19], v[28:29], v[18:19] neg_lo:[0,1] neg_hi:[0,1]
	s_delay_alu instid0(VALU_DEP_4) | instskip(NEXT) | instid1(VALU_DEP_4)
	v_ldexp_f32 v42, v35, -2
	v_pk_add_f32 v[22:23], v[30:31], v[22:23] neg_lo:[0,1] neg_hi:[0,1]
	s_delay_alu instid0(VALU_DEP_4) | instskip(NEXT) | instid1(VALU_DEP_4)
	v_ldexp_f32 v35, v8, -2
	v_pk_add_f32 v[18:19], v[20:21], v[18:19] neg_lo:[0,1] neg_hi:[0,1]
	v_pk_add_f32 v[20:21], v[32:33], v[26:27]
	s_delay_alu instid0(VALU_DEP_4) | instskip(NEXT) | instid1(VALU_DEP_4)
	v_pk_add_f32 v[22:23], v[24:25], v[22:23] neg_lo:[0,1] neg_hi:[0,1]
	v_pk_add_f32 v[24:25], v[42:43], v[34:35]
	s_delay_alu instid0(VALU_DEP_3) | instskip(NEXT) | instid1(VALU_DEP_2)
	v_pk_add_f32 v[18:19], v[20:21], v[18:19]
	v_pk_add_f32 v[20:21], v[24:25], v[22:23]
	v_lshlrev_b64_e32 v[22:23], 2, v[0:1]
	s_delay_alu instid0(VALU_DEP_3) | instskip(NEXT) | instid1(VALU_DEP_3)
	v_pk_add_f32 v[18:19], v[28:29], v[18:19]
	v_pk_add_f32 v[20:21], v[30:31], v[20:21]
	s_delay_alu instid0(VALU_DEP_2) | instskip(SKIP_1) | instid1(VALU_DEP_4)
	v_cndmask_b32_e32 v3, 0x7f800000, v19, vcc_lo
	v_cmp_nlt_f32_e64 vcc_lo, 0x42b2d4fc, |v2|
	v_cndmask_b32_e32 v2, 0x7f800000, v18, vcc_lo
	v_cmp_nlt_f32_e64 vcc_lo, 0x42b2d4fc, |v5|
	;; [unrolled: 2-line block ×3, first 2 shown]
	v_cndmask_b32_e32 v4, 0x7f800000, v20, vcc_lo
	v_cmp_ge_i64_e32 vcc_lo, v[22:23], v[6:7]
	global_store_b128 v[14:15], v[2:5], off offset:-8
	s_wait_xcnt 0x0
	v_add_nc_u64_e32 v[14:15], s[2:3], v[14:15]
	s_or_b32 s5, vcc_lo, s5
	s_delay_alu instid0(SALU_CYCLE_1)
	s_and_not1_b32 exec_lo, exec_lo, s5
	s_cbranch_execnz .LBB86_24
.LBB86_25:
	s_endpgm
	.section	.rodata,"a",@progbits
	.p2align	6, 0x0
	.amdhsa_kernel _ZN2at6native12_GLOBAL__N_125multi_tensor_apply_kernelINS1_18TensorListMetadataILi1EEENS1_14UnaryOpFunctorIfLi1ELi1ELi0EEEJNS0_4CoshIfEEEEEvT_T0_DpT1_
		.amdhsa_group_segment_fixed_size 0
		.amdhsa_private_segment_fixed_size 0
		.amdhsa_kernarg_size 3632
		.amdhsa_user_sgpr_count 2
		.amdhsa_user_sgpr_dispatch_ptr 0
		.amdhsa_user_sgpr_queue_ptr 0
		.amdhsa_user_sgpr_kernarg_segment_ptr 1
		.amdhsa_user_sgpr_dispatch_id 0
		.amdhsa_user_sgpr_kernarg_preload_length 0
		.amdhsa_user_sgpr_kernarg_preload_offset 0
		.amdhsa_user_sgpr_private_segment_size 0
		.amdhsa_wavefront_size32 1
		.amdhsa_uses_dynamic_stack 0
		.amdhsa_enable_private_segment 0
		.amdhsa_system_sgpr_workgroup_id_x 1
		.amdhsa_system_sgpr_workgroup_id_y 0
		.amdhsa_system_sgpr_workgroup_id_z 0
		.amdhsa_system_sgpr_workgroup_info 0
		.amdhsa_system_vgpr_workitem_id 0
		.amdhsa_next_free_vgpr 54
		.amdhsa_next_free_sgpr 24
		.amdhsa_named_barrier_count 0
		.amdhsa_reserve_vcc 1
		.amdhsa_float_round_mode_32 0
		.amdhsa_float_round_mode_16_64 0
		.amdhsa_float_denorm_mode_32 3
		.amdhsa_float_denorm_mode_16_64 3
		.amdhsa_fp16_overflow 0
		.amdhsa_memory_ordered 1
		.amdhsa_forward_progress 1
		.amdhsa_inst_pref_size 55
		.amdhsa_round_robin_scheduling 0
		.amdhsa_exception_fp_ieee_invalid_op 0
		.amdhsa_exception_fp_denorm_src 0
		.amdhsa_exception_fp_ieee_div_zero 0
		.amdhsa_exception_fp_ieee_overflow 0
		.amdhsa_exception_fp_ieee_underflow 0
		.amdhsa_exception_fp_ieee_inexact 0
		.amdhsa_exception_int_div_zero 0
	.end_amdhsa_kernel
	.section	.text._ZN2at6native12_GLOBAL__N_125multi_tensor_apply_kernelINS1_18TensorListMetadataILi1EEENS1_14UnaryOpFunctorIfLi1ELi1ELi0EEEJNS0_4CoshIfEEEEEvT_T0_DpT1_,"axG",@progbits,_ZN2at6native12_GLOBAL__N_125multi_tensor_apply_kernelINS1_18TensorListMetadataILi1EEENS1_14UnaryOpFunctorIfLi1ELi1ELi0EEEJNS0_4CoshIfEEEEEvT_T0_DpT1_,comdat
.Lfunc_end86:
	.size	_ZN2at6native12_GLOBAL__N_125multi_tensor_apply_kernelINS1_18TensorListMetadataILi1EEENS1_14UnaryOpFunctorIfLi1ELi1ELi0EEEJNS0_4CoshIfEEEEEvT_T0_DpT1_, .Lfunc_end86-_ZN2at6native12_GLOBAL__N_125multi_tensor_apply_kernelINS1_18TensorListMetadataILi1EEENS1_14UnaryOpFunctorIfLi1ELi1ELi0EEEJNS0_4CoshIfEEEEEvT_T0_DpT1_
                                        ; -- End function
	.set _ZN2at6native12_GLOBAL__N_125multi_tensor_apply_kernelINS1_18TensorListMetadataILi1EEENS1_14UnaryOpFunctorIfLi1ELi1ELi0EEEJNS0_4CoshIfEEEEEvT_T0_DpT1_.num_vgpr, 54
	.set _ZN2at6native12_GLOBAL__N_125multi_tensor_apply_kernelINS1_18TensorListMetadataILi1EEENS1_14UnaryOpFunctorIfLi1ELi1ELi0EEEJNS0_4CoshIfEEEEEvT_T0_DpT1_.num_agpr, 0
	.set _ZN2at6native12_GLOBAL__N_125multi_tensor_apply_kernelINS1_18TensorListMetadataILi1EEENS1_14UnaryOpFunctorIfLi1ELi1ELi0EEEJNS0_4CoshIfEEEEEvT_T0_DpT1_.numbered_sgpr, 24
	.set _ZN2at6native12_GLOBAL__N_125multi_tensor_apply_kernelINS1_18TensorListMetadataILi1EEENS1_14UnaryOpFunctorIfLi1ELi1ELi0EEEJNS0_4CoshIfEEEEEvT_T0_DpT1_.num_named_barrier, 0
	.set _ZN2at6native12_GLOBAL__N_125multi_tensor_apply_kernelINS1_18TensorListMetadataILi1EEENS1_14UnaryOpFunctorIfLi1ELi1ELi0EEEJNS0_4CoshIfEEEEEvT_T0_DpT1_.private_seg_size, 0
	.set _ZN2at6native12_GLOBAL__N_125multi_tensor_apply_kernelINS1_18TensorListMetadataILi1EEENS1_14UnaryOpFunctorIfLi1ELi1ELi0EEEJNS0_4CoshIfEEEEEvT_T0_DpT1_.uses_vcc, 1
	.set _ZN2at6native12_GLOBAL__N_125multi_tensor_apply_kernelINS1_18TensorListMetadataILi1EEENS1_14UnaryOpFunctorIfLi1ELi1ELi0EEEJNS0_4CoshIfEEEEEvT_T0_DpT1_.uses_flat_scratch, 0
	.set _ZN2at6native12_GLOBAL__N_125multi_tensor_apply_kernelINS1_18TensorListMetadataILi1EEENS1_14UnaryOpFunctorIfLi1ELi1ELi0EEEJNS0_4CoshIfEEEEEvT_T0_DpT1_.has_dyn_sized_stack, 0
	.set _ZN2at6native12_GLOBAL__N_125multi_tensor_apply_kernelINS1_18TensorListMetadataILi1EEENS1_14UnaryOpFunctorIfLi1ELi1ELi0EEEJNS0_4CoshIfEEEEEvT_T0_DpT1_.has_recursion, 0
	.set _ZN2at6native12_GLOBAL__N_125multi_tensor_apply_kernelINS1_18TensorListMetadataILi1EEENS1_14UnaryOpFunctorIfLi1ELi1ELi0EEEJNS0_4CoshIfEEEEEvT_T0_DpT1_.has_indirect_call, 0
	.section	.AMDGPU.csdata,"",@progbits
; Kernel info:
; codeLenInByte = 6928
; TotalNumSgprs: 26
; NumVgprs: 54
; ScratchSize: 0
; MemoryBound: 0
; FloatMode: 240
; IeeeMode: 1
; LDSByteSize: 0 bytes/workgroup (compile time only)
; SGPRBlocks: 0
; VGPRBlocks: 3
; NumSGPRsForWavesPerEU: 26
; NumVGPRsForWavesPerEU: 54
; NamedBarCnt: 0
; Occupancy: 16
; WaveLimiterHint : 0
; COMPUTE_PGM_RSRC2:SCRATCH_EN: 0
; COMPUTE_PGM_RSRC2:USER_SGPR: 2
; COMPUTE_PGM_RSRC2:TRAP_HANDLER: 0
; COMPUTE_PGM_RSRC2:TGID_X_EN: 1
; COMPUTE_PGM_RSRC2:TGID_Y_EN: 0
; COMPUTE_PGM_RSRC2:TGID_Z_EN: 0
; COMPUTE_PGM_RSRC2:TIDIG_COMP_CNT: 0
	.section	.text._ZN2at6native12_GLOBAL__N_125multi_tensor_apply_kernelINS1_18TensorListMetadataILi1EEENS1_14UnaryOpFunctorIN3c107complexIdEELi1ELi1ELi0EEEJNS0_4CoshIS8_EEEEEvT_T0_DpT1_,"axG",@progbits,_ZN2at6native12_GLOBAL__N_125multi_tensor_apply_kernelINS1_18TensorListMetadataILi1EEENS1_14UnaryOpFunctorIN3c107complexIdEELi1ELi1ELi0EEEJNS0_4CoshIS8_EEEEEvT_T0_DpT1_,comdat
	.globl	_ZN2at6native12_GLOBAL__N_125multi_tensor_apply_kernelINS1_18TensorListMetadataILi1EEENS1_14UnaryOpFunctorIN3c107complexIdEELi1ELi1ELi0EEEJNS0_4CoshIS8_EEEEEvT_T0_DpT1_ ; -- Begin function _ZN2at6native12_GLOBAL__N_125multi_tensor_apply_kernelINS1_18TensorListMetadataILi1EEENS1_14UnaryOpFunctorIN3c107complexIdEELi1ELi1ELi0EEEJNS0_4CoshIS8_EEEEEvT_T0_DpT1_
	.p2align	8
	.type	_ZN2at6native12_GLOBAL__N_125multi_tensor_apply_kernelINS1_18TensorListMetadataILi1EEENS1_14UnaryOpFunctorIN3c107complexIdEELi1ELi1ELi0EEEJNS0_4CoshIS8_EEEEEvT_T0_DpT1_,@function
_ZN2at6native12_GLOBAL__N_125multi_tensor_apply_kernelINS1_18TensorListMetadataILi1EEENS1_14UnaryOpFunctorIN3c107complexIdEELi1ELi1ELi0EEEJNS0_4CoshIS8_EEEEEvT_T0_DpT1_: ; @_ZN2at6native12_GLOBAL__N_125multi_tensor_apply_kernelINS1_18TensorListMetadataILi1EEENS1_14UnaryOpFunctorIN3c107complexIdEELi1ELi1ELi0EEEJNS0_4CoshIS8_EEEEEvT_T0_DpT1_
; %bb.0:
	s_mov_b64 s[10:11], s[0:1]
	s_bfe_u32 s0, ttmp6, 0x4000c
	s_and_b32 s1, ttmp6, 15
	s_add_co_i32 s0, s0, 1
	s_getreg_b32 s2, hwreg(HW_REG_IB_STS2, 6, 4)
	s_mul_i32 s0, ttmp9, s0
	v_mov_b32_e32 v60, v0
	s_add_co_i32 s1, s1, s0
	s_cmp_eq_u32 s2, 0
	s_mov_b32 s32, 0
	s_cselect_b32 s0, ttmp9, s1
	s_mov_b32 s1, 0
	s_load_u8 s8, s[10:11], s0 offset:0x6e0
	s_add_nc_u64 s[2:3], s[10:11], s[0:1]
	s_mul_u64 s[4:5], s[0:1], 3
	s_delay_alu instid0(SALU_CYCLE_1)
	s_add_nc_u64 s[2:3], s[2:3], s[4:5]
	s_load_b32 s4, s[2:3], 0x820
	s_wait_kmcnt 0x0
	s_clause 0x1
	s_load_b64 s[16:17], s[10:11], s8 offset:0x0 scale_offset
	s_load_b64 s[6:7], s[10:11], s8 offset:0x370 scale_offset
	s_ashr_i32 s5, s4, 31
	s_delay_alu instid0(SALU_CYCLE_1) | instskip(SKIP_3) | instid1(SALU_CYCLE_1)
	s_lshl_b64 s[18:19], s[4:5], 20
	s_wait_kmcnt 0x0
	s_and_b32 s0, s6, 3
	s_add_nc_u64 s[22:23], s[16:17], s[18:19]
	s_and_b64 s[2:3], s[22:23], 63
	s_delay_alu instid0(SALU_CYCLE_1)
	s_or_b64 s[0:1], s[2:3], s[0:1]
	s_lshl_b64 s[2:3], s[4:5], 16
	s_cmp_eq_u64 s[0:1], 0
	s_sub_nc_u64 s[20:21], s[6:7], s[2:3]
	s_cbranch_scc1 .LBB87_21
; %bb.1:
	v_cmp_lt_i64_e64 s0, s[20:21], 1
	s_and_b32 vcc_lo, exec_lo, s0
	s_cbranch_vccnz .LBB87_20
; %bb.2:
	s_load_b32 s0, s[10:11], 0xd3c
	v_min_i64 v[62:63], 0x10000, s[20:21]
	v_min_u64 v[72:73], 0x10000, s[20:21]
	v_dual_mov_b32 v61, 0 :: v_dual_lshlrev_b32 v74, 4, v60
	s_mov_b32 s1, 0
	s_mov_b64 s[34:35], 0
	s_mov_b32 s3, s1
	s_delay_alu instid0(VALU_DEP_1)
	v_dual_mov_b32 v75, v61 :: v_dual_mov_b32 v87, v61
	s_mov_b32 s5, s1
	s_mov_b32 s25, s1
	;; [unrolled: 1-line block ×3, first 2 shown]
	s_get_pc_i64 s[28:29]
	s_add_nc_u64 s[28:29], s[28:29], _ZN6thrust23THRUST_200600_302600_NS6detail7complex5ccoshERKNS0_7complexIdEE@rel64+4
	s_wait_kmcnt 0x0
	s_and_b32 s0, s0, 0xffff
	s_delay_alu instid0(SALU_CYCLE_1)
	v_mad_nc_u64_u32 v[78:79], s0, 48, v[74:75]
	s_lshl_b32 s2, s0, 1
	s_mul_i32 s4, s0, 3
	s_lshl_b32 s24, s0, 2
	s_lshl_b32 s26, s0, 6
	v_add_nc_u64_e32 v[76:77], s[0:1], v[60:61]
	s_lshl_b32 s0, s0, 5
	v_add_nc_u64_e32 v[88:89], s[4:5], v[60:61]
	v_add_nc_u64_e32 v[84:85], s[0:1], v[74:75]
	;; [unrolled: 1-line block ×3, first 2 shown]
	s_delay_alu instid0(VALU_DEP_4) | instskip(NEXT) | instid1(VALU_DEP_3)
	v_dual_lshlrev_b32 v86, 4, v76 :: v_dual_bitop2_b32 v78, 8, v78 bitop3:0x54
	v_or_b32_e32 v84, 8, v84
	s_branch .LBB87_4
.LBB87_3:                               ;   in Loop: Header=BB87_4 Depth=1
	s_wait_xcnt 0x0
	s_or_b32 exec_lo, exec_lo, s13
	s_add_nc_u64 s[34:35], s[34:35], s[24:25]
	s_add_nc_u64 s[22:23], s[22:23], s[26:27]
	v_cmp_lt_i64_e32 vcc_lo, s[34:35], v[62:63]
	s_cbranch_vccz .LBB87_20
.LBB87_4:                               ; =>This Inner Loop Header: Depth=1
	s_wait_loadcnt 0x0
	v_add_nc_u64_e32 v[0:1], s[34:35], v[60:61]
	v_mov_b64_e32 v[46:47], 0
	v_add_nc_u64_e32 v[98:99], s[22:23], v[74:75]
	v_mov_b64_e32 v[2:3], 0
	s_delay_alu instid0(VALU_DEP_4)
	v_cmp_lt_u64_e32 vcc_lo, v[0:1], v[72:73]
	v_mov_b64_e32 v[0:1], 0
	s_and_saveexec_b32 s0, vcc_lo
	s_cbranch_execz .LBB87_6
; %bb.5:                                ;   in Loop: Header=BB87_4 Depth=1
	global_load_b128 v[0:3], v[98:99], off
.LBB87_6:                               ;   in Loop: Header=BB87_4 Depth=1
	s_wait_xcnt 0x0
	s_or_b32 exec_lo, exec_lo, s0
	v_add_nc_u64_e32 v[4:5], s[34:35], v[76:77]
	v_add_nc_u64_e32 v[96:97], s[22:23], v[86:87]
	v_mov_b64_e32 v[44:45], 0
	s_delay_alu instid0(VALU_DEP_3)
	v_cmp_lt_u64_e64 s14, v[4:5], v[72:73]
	s_and_saveexec_b32 s0, s14
	s_cbranch_execz .LBB87_8
; %bb.7:                                ;   in Loop: Header=BB87_4 Depth=1
	global_load_b128 v[44:47], v[96:97], off
.LBB87_8:                               ;   in Loop: Header=BB87_4 Depth=1
	s_wait_xcnt 0x0
	s_or_b32 exec_lo, exec_lo, s0
	v_add_nc_u64_e32 v[4:5], s[34:35], v[90:91]
	v_mov_b64_e32 v[42:43], 0
	v_add_nc_u64_e32 v[94:95], s[22:23], v[84:85]
	v_mov_b64_e32 v[58:59], 0
	v_mov_b64_e32 v[56:57], 0
	v_cmp_lt_u64_e64 s13, v[4:5], v[72:73]
	s_and_saveexec_b32 s0, s13
	s_cbranch_execz .LBB87_10
; %bb.9:                                ;   in Loop: Header=BB87_4 Depth=1
	global_load_b128 v[56:59], v[94:95], off offset:-8
.LBB87_10:                              ;   in Loop: Header=BB87_4 Depth=1
	s_wait_xcnt 0x0
	s_or_b32 exec_lo, exec_lo, s0
	v_add_nc_u64_e32 v[4:5], s[34:35], v[88:89]
	v_add_nc_u64_e32 v[92:93], s[22:23], v[78:79]
	v_mov_b64_e32 v[40:41], 0
	s_delay_alu instid0(VALU_DEP_3)
	v_cmp_lt_u64_e64 s12, v[4:5], v[72:73]
	s_and_saveexec_b32 s0, s12
	s_cbranch_execnz .LBB87_15
; %bb.11:                               ;   in Loop: Header=BB87_4 Depth=1
	s_or_b32 exec_lo, exec_lo, s0
	s_and_saveexec_b32 s15, vcc_lo
	s_cbranch_execnz .LBB87_16
.LBB87_12:                              ;   in Loop: Header=BB87_4 Depth=1
	s_or_b32 exec_lo, exec_lo, s15
	s_and_saveexec_b32 s15, s14
	s_cbranch_execnz .LBB87_17
.LBB87_13:                              ;   in Loop: Header=BB87_4 Depth=1
	s_or_b32 exec_lo, exec_lo, s15
	s_and_saveexec_b32 s14, s13
	s_cbranch_execnz .LBB87_18
.LBB87_14:                              ;   in Loop: Header=BB87_4 Depth=1
	s_or_b32 exec_lo, exec_lo, s14
	s_and_saveexec_b32 s13, s12
	s_cbranch_execz .LBB87_3
	s_branch .LBB87_19
.LBB87_15:                              ;   in Loop: Header=BB87_4 Depth=1
	global_load_b128 v[40:43], v[92:93], off offset:-8
	s_wait_xcnt 0x0
	s_or_b32 exec_lo, exec_lo, s0
	s_and_saveexec_b32 s15, vcc_lo
	s_cbranch_execz .LBB87_12
.LBB87_16:                              ;   in Loop: Header=BB87_4 Depth=1
	s_swap_pc_i64 s[30:31], s[28:29]
	global_store_b128 v[98:99], v[0:3], off
	s_wait_xcnt 0x0
	s_or_b32 exec_lo, exec_lo, s15
	s_and_saveexec_b32 s15, s14
	s_cbranch_execz .LBB87_13
.LBB87_17:                              ;   in Loop: Header=BB87_4 Depth=1
	s_wait_loadcnt 0x0
	v_dual_mov_b32 v0, v44 :: v_dual_mov_b32 v1, v45
	v_dual_mov_b32 v2, v46 :: v_dual_mov_b32 v3, v47
	s_swap_pc_i64 s[30:31], s[28:29]
	global_store_b128 v[96:97], v[0:3], off
	s_wait_xcnt 0x0
	s_or_b32 exec_lo, exec_lo, s15
	s_and_saveexec_b32 s14, s13
	s_cbranch_execz .LBB87_14
.LBB87_18:                              ;   in Loop: Header=BB87_4 Depth=1
	s_wait_loadcnt 0x0
	v_dual_mov_b32 v0, v56 :: v_dual_mov_b32 v1, v57
	v_dual_mov_b32 v2, v58 :: v_dual_mov_b32 v3, v59
	s_swap_pc_i64 s[30:31], s[28:29]
	global_store_b128 v[94:95], v[0:3], off offset:-8
	s_wait_xcnt 0x0
	s_or_b32 exec_lo, exec_lo, s14
	s_and_saveexec_b32 s13, s12
	s_cbranch_execz .LBB87_3
.LBB87_19:                              ;   in Loop: Header=BB87_4 Depth=1
	s_wait_loadcnt 0x0
	v_dual_mov_b32 v0, v40 :: v_dual_mov_b32 v1, v41
	v_dual_mov_b32 v2, v42 :: v_dual_mov_b32 v3, v43
	s_swap_pc_i64 s[30:31], s[28:29]
	global_store_b128 v[92:93], v[0:3], off offset:-8
	s_branch .LBB87_3
.LBB87_20:
	s_cbranch_execz .LBB87_22
	s_branch .LBB87_25
.LBB87_21:
.LBB87_22:
	v_min_i64 v[62:63], 0x10000, s[20:21]
	s_wait_loadcnt 0x0
	v_dual_mov_b32 v1, 0 :: v_dual_lshlrev_b32 v0, 2, v60
	s_mov_b32 s0, exec_lo
	s_delay_alu instid0(VALU_DEP_1)
	v_cmpx_lt_i64_e64 v[0:1], v[62:63]
	s_cbranch_execz .LBB87_25
; %bb.23:
	s_load_b32 s2, s[10:11], 0xd3c
	v_dual_mov_b32 v61, v1 :: v_dual_lshlrev_b32 v0, 6, v60
	s_add_nc_u64 s[0:1], s[16:17], s[18:19]
	s_wait_xcnt 0x0
	s_mov_b32 s11, 0
	s_get_pc_i64 s[12:13]
	s_add_nc_u64 s[12:13], s[12:13], _ZN6thrust23THRUST_200600_302600_NS6detail7complex5ccoshERKNS0_7complexIdEE@rel64+4
	v_add_nc_u64_e32 v[76:77], s[0:1], v[0:1]
	s_mov_b32 s15, s11
	s_mov_b32 s16, s11
	s_wait_kmcnt 0x0
	s_and_b32 s10, s2, 0xffff
	s_delay_alu instid0(SALU_CYCLE_1)
	s_lshl_b32 s14, s10, 6
.LBB87_24:                              ; =>This Inner Loop Header: Depth=1
	s_clause 0x3
	global_load_b128 v[0:3], v[76:77], off
	global_load_b128 v[40:43], v[76:77], off offset:16
	global_load_b128 v[44:47], v[76:77], off offset:48
	;; [unrolled: 1-line block ×3, first 2 shown]
	s_swap_pc_i64 s[30:31], s[12:13]
	v_dual_mov_b32 v72, v0 :: v_dual_mov_b32 v73, v1
	v_dual_mov_b32 v74, v2 :: v_dual_mov_b32 v75, v3
	;; [unrolled: 1-line block ×4, first 2 shown]
	s_swap_pc_i64 s[30:31], s[12:13]
	s_delay_alu instid0(VALU_DEP_2) | instskip(NEXT) | instid1(VALU_DEP_2)
	v_dual_mov_b32 v40, v0 :: v_dual_mov_b32 v41, v1
	v_dual_mov_b32 v42, v2 :: v_dual_mov_b32 v43, v3
	;; [unrolled: 1-line block ×4, first 2 shown]
	s_swap_pc_i64 s[30:31], s[12:13]
	s_delay_alu instid0(VALU_DEP_2) | instskip(NEXT) | instid1(VALU_DEP_2)
	v_dual_mov_b32 v56, v0 :: v_dual_mov_b32 v57, v1
	v_dual_mov_b32 v58, v2 :: v_dual_mov_b32 v59, v3
	;; [unrolled: 1-line block ×4, first 2 shown]
	s_swap_pc_i64 s[30:31], s[12:13]
	v_add_nc_u64_e32 v[60:61], s[10:11], v[60:61]
	s_clause 0x3
	global_store_b128 v[76:77], v[72:75], off
	global_store_b128 v[76:77], v[40:43], off offset:16
	global_store_b128 v[76:77], v[56:59], off offset:32
	;; [unrolled: 1-line block ×3, first 2 shown]
	s_wait_xcnt 0x0
	v_add_nc_u64_e32 v[76:77], s[14:15], v[76:77]
	v_lshlrev_b64_e32 v[4:5], 2, v[60:61]
	s_delay_alu instid0(VALU_DEP_1) | instskip(SKIP_1) | instid1(SALU_CYCLE_1)
	v_cmp_ge_i64_e32 vcc_lo, v[4:5], v[62:63]
	s_or_b32 s16, vcc_lo, s16
	s_and_not1_b32 exec_lo, exec_lo, s16
	s_cbranch_execnz .LBB87_24
.LBB87_25:
	s_endpgm
	.section	.rodata,"a",@progbits
	.p2align	6, 0x0
	.amdhsa_kernel _ZN2at6native12_GLOBAL__N_125multi_tensor_apply_kernelINS1_18TensorListMetadataILi1EEENS1_14UnaryOpFunctorIN3c107complexIdEELi1ELi1ELi0EEEJNS0_4CoshIS8_EEEEEvT_T0_DpT1_
		.amdhsa_group_segment_fixed_size 0
		.amdhsa_private_segment_fixed_size 0
		.amdhsa_kernarg_size 3632
		.amdhsa_user_sgpr_count 2
		.amdhsa_user_sgpr_dispatch_ptr 0
		.amdhsa_user_sgpr_queue_ptr 0
		.amdhsa_user_sgpr_kernarg_segment_ptr 1
		.amdhsa_user_sgpr_dispatch_id 0
		.amdhsa_user_sgpr_kernarg_preload_length 0
		.amdhsa_user_sgpr_kernarg_preload_offset 0
		.amdhsa_user_sgpr_private_segment_size 0
		.amdhsa_wavefront_size32 1
		.amdhsa_uses_dynamic_stack 0
		.amdhsa_enable_private_segment 0
		.amdhsa_system_sgpr_workgroup_id_x 1
		.amdhsa_system_sgpr_workgroup_id_y 0
		.amdhsa_system_sgpr_workgroup_id_z 0
		.amdhsa_system_sgpr_workgroup_info 0
		.amdhsa_system_vgpr_workitem_id 0
		.amdhsa_next_free_vgpr 100
		.amdhsa_next_free_sgpr 36
		.amdhsa_named_barrier_count 0
		.amdhsa_reserve_vcc 1
		.amdhsa_float_round_mode_32 0
		.amdhsa_float_round_mode_16_64 0
		.amdhsa_float_denorm_mode_32 3
		.amdhsa_float_denorm_mode_16_64 3
		.amdhsa_fp16_overflow 0
		.amdhsa_memory_ordered 1
		.amdhsa_forward_progress 1
		.amdhsa_inst_pref_size 10
		.amdhsa_round_robin_scheduling 0
		.amdhsa_exception_fp_ieee_invalid_op 0
		.amdhsa_exception_fp_denorm_src 0
		.amdhsa_exception_fp_ieee_div_zero 0
		.amdhsa_exception_fp_ieee_overflow 0
		.amdhsa_exception_fp_ieee_underflow 0
		.amdhsa_exception_fp_ieee_inexact 0
		.amdhsa_exception_int_div_zero 0
	.end_amdhsa_kernel
	.section	.text._ZN2at6native12_GLOBAL__N_125multi_tensor_apply_kernelINS1_18TensorListMetadataILi1EEENS1_14UnaryOpFunctorIN3c107complexIdEELi1ELi1ELi0EEEJNS0_4CoshIS8_EEEEEvT_T0_DpT1_,"axG",@progbits,_ZN2at6native12_GLOBAL__N_125multi_tensor_apply_kernelINS1_18TensorListMetadataILi1EEENS1_14UnaryOpFunctorIN3c107complexIdEELi1ELi1ELi0EEEJNS0_4CoshIS8_EEEEEvT_T0_DpT1_,comdat
.Lfunc_end87:
	.size	_ZN2at6native12_GLOBAL__N_125multi_tensor_apply_kernelINS1_18TensorListMetadataILi1EEENS1_14UnaryOpFunctorIN3c107complexIdEELi1ELi1ELi0EEEJNS0_4CoshIS8_EEEEEvT_T0_DpT1_, .Lfunc_end87-_ZN2at6native12_GLOBAL__N_125multi_tensor_apply_kernelINS1_18TensorListMetadataILi1EEENS1_14UnaryOpFunctorIN3c107complexIdEELi1ELi1ELi0EEEJNS0_4CoshIS8_EEEEEvT_T0_DpT1_
                                        ; -- End function
	.set _ZN2at6native12_GLOBAL__N_125multi_tensor_apply_kernelINS1_18TensorListMetadataILi1EEENS1_14UnaryOpFunctorIN3c107complexIdEELi1ELi1ELi0EEEJNS0_4CoshIS8_EEEEEvT_T0_DpT1_.num_vgpr, max(100, .L_ZN6thrust23THRUST_200600_302600_NS6detail7complex5ccoshERKNS0_7complexIdEE.num_vgpr)
	.set _ZN2at6native12_GLOBAL__N_125multi_tensor_apply_kernelINS1_18TensorListMetadataILi1EEENS1_14UnaryOpFunctorIN3c107complexIdEELi1ELi1ELi0EEEJNS0_4CoshIS8_EEEEEvT_T0_DpT1_.num_agpr, max(0, .L_ZN6thrust23THRUST_200600_302600_NS6detail7complex5ccoshERKNS0_7complexIdEE.num_agpr)
	.set _ZN2at6native12_GLOBAL__N_125multi_tensor_apply_kernelINS1_18TensorListMetadataILi1EEENS1_14UnaryOpFunctorIN3c107complexIdEELi1ELi1ELi0EEEJNS0_4CoshIS8_EEEEEvT_T0_DpT1_.numbered_sgpr, max(36, .L_ZN6thrust23THRUST_200600_302600_NS6detail7complex5ccoshERKNS0_7complexIdEE.numbered_sgpr)
	.set _ZN2at6native12_GLOBAL__N_125multi_tensor_apply_kernelINS1_18TensorListMetadataILi1EEENS1_14UnaryOpFunctorIN3c107complexIdEELi1ELi1ELi0EEEJNS0_4CoshIS8_EEEEEvT_T0_DpT1_.num_named_barrier, max(0, .L_ZN6thrust23THRUST_200600_302600_NS6detail7complex5ccoshERKNS0_7complexIdEE.num_named_barrier)
	.set _ZN2at6native12_GLOBAL__N_125multi_tensor_apply_kernelINS1_18TensorListMetadataILi1EEENS1_14UnaryOpFunctorIN3c107complexIdEELi1ELi1ELi0EEEJNS0_4CoshIS8_EEEEEvT_T0_DpT1_.private_seg_size, 0+max(.L_ZN6thrust23THRUST_200600_302600_NS6detail7complex5ccoshERKNS0_7complexIdEE.private_seg_size)
	.set _ZN2at6native12_GLOBAL__N_125multi_tensor_apply_kernelINS1_18TensorListMetadataILi1EEENS1_14UnaryOpFunctorIN3c107complexIdEELi1ELi1ELi0EEEJNS0_4CoshIS8_EEEEEvT_T0_DpT1_.uses_vcc, or(1, .L_ZN6thrust23THRUST_200600_302600_NS6detail7complex5ccoshERKNS0_7complexIdEE.uses_vcc)
	.set _ZN2at6native12_GLOBAL__N_125multi_tensor_apply_kernelINS1_18TensorListMetadataILi1EEENS1_14UnaryOpFunctorIN3c107complexIdEELi1ELi1ELi0EEEJNS0_4CoshIS8_EEEEEvT_T0_DpT1_.uses_flat_scratch, or(0, .L_ZN6thrust23THRUST_200600_302600_NS6detail7complex5ccoshERKNS0_7complexIdEE.uses_flat_scratch)
	.set _ZN2at6native12_GLOBAL__N_125multi_tensor_apply_kernelINS1_18TensorListMetadataILi1EEENS1_14UnaryOpFunctorIN3c107complexIdEELi1ELi1ELi0EEEJNS0_4CoshIS8_EEEEEvT_T0_DpT1_.has_dyn_sized_stack, or(0, .L_ZN6thrust23THRUST_200600_302600_NS6detail7complex5ccoshERKNS0_7complexIdEE.has_dyn_sized_stack)
	.set _ZN2at6native12_GLOBAL__N_125multi_tensor_apply_kernelINS1_18TensorListMetadataILi1EEENS1_14UnaryOpFunctorIN3c107complexIdEELi1ELi1ELi0EEEJNS0_4CoshIS8_EEEEEvT_T0_DpT1_.has_recursion, or(0, .L_ZN6thrust23THRUST_200600_302600_NS6detail7complex5ccoshERKNS0_7complexIdEE.has_recursion)
	.set _ZN2at6native12_GLOBAL__N_125multi_tensor_apply_kernelINS1_18TensorListMetadataILi1EEENS1_14UnaryOpFunctorIN3c107complexIdEELi1ELi1ELi0EEEJNS0_4CoshIS8_EEEEEvT_T0_DpT1_.has_indirect_call, or(0, .L_ZN6thrust23THRUST_200600_302600_NS6detail7complex5ccoshERKNS0_7complexIdEE.has_indirect_call)
	.section	.AMDGPU.csdata,"",@progbits
; Kernel info:
; codeLenInByte = 1228
; TotalNumSgprs: 38
; NumVgprs: 100
; ScratchSize: 0
; MemoryBound: 1
; FloatMode: 240
; IeeeMode: 1
; LDSByteSize: 0 bytes/workgroup (compile time only)
; SGPRBlocks: 0
; VGPRBlocks: 6
; NumSGPRsForWavesPerEU: 38
; NumVGPRsForWavesPerEU: 100
; NamedBarCnt: 0
; Occupancy: 9
; WaveLimiterHint : 0
; COMPUTE_PGM_RSRC2:SCRATCH_EN: 0
; COMPUTE_PGM_RSRC2:USER_SGPR: 2
; COMPUTE_PGM_RSRC2:TRAP_HANDLER: 0
; COMPUTE_PGM_RSRC2:TGID_X_EN: 1
; COMPUTE_PGM_RSRC2:TGID_Y_EN: 0
; COMPUTE_PGM_RSRC2:TGID_Z_EN: 0
; COMPUTE_PGM_RSRC2:TIDIG_COMP_CNT: 0
	.section	.text._ZN2at6native12_GLOBAL__N_125multi_tensor_apply_kernelINS1_18TensorListMetadataILi1EEENS1_14UnaryOpFunctorIN3c107complexIfEELi1ELi1ELi0EEEJNS0_4CoshIS8_EEEEEvT_T0_DpT1_,"axG",@progbits,_ZN2at6native12_GLOBAL__N_125multi_tensor_apply_kernelINS1_18TensorListMetadataILi1EEENS1_14UnaryOpFunctorIN3c107complexIfEELi1ELi1ELi0EEEJNS0_4CoshIS8_EEEEEvT_T0_DpT1_,comdat
	.globl	_ZN2at6native12_GLOBAL__N_125multi_tensor_apply_kernelINS1_18TensorListMetadataILi1EEENS1_14UnaryOpFunctorIN3c107complexIfEELi1ELi1ELi0EEEJNS0_4CoshIS8_EEEEEvT_T0_DpT1_ ; -- Begin function _ZN2at6native12_GLOBAL__N_125multi_tensor_apply_kernelINS1_18TensorListMetadataILi1EEENS1_14UnaryOpFunctorIN3c107complexIfEELi1ELi1ELi0EEEJNS0_4CoshIS8_EEEEEvT_T0_DpT1_
	.p2align	8
	.type	_ZN2at6native12_GLOBAL__N_125multi_tensor_apply_kernelINS1_18TensorListMetadataILi1EEENS1_14UnaryOpFunctorIN3c107complexIfEELi1ELi1ELi0EEEJNS0_4CoshIS8_EEEEEvT_T0_DpT1_,@function
_ZN2at6native12_GLOBAL__N_125multi_tensor_apply_kernelINS1_18TensorListMetadataILi1EEENS1_14UnaryOpFunctorIN3c107complexIfEELi1ELi1ELi0EEEJNS0_4CoshIS8_EEEEEvT_T0_DpT1_: ; @_ZN2at6native12_GLOBAL__N_125multi_tensor_apply_kernelINS1_18TensorListMetadataILi1EEENS1_14UnaryOpFunctorIN3c107complexIfEELi1ELi1ELi0EEEJNS0_4CoshIS8_EEEEEvT_T0_DpT1_
; %bb.0:
	s_mov_b64 s[10:11], s[0:1]
	s_bfe_u32 s0, ttmp6, 0x4000c
	s_and_b32 s1, ttmp6, 15
	s_add_co_i32 s0, s0, 1
	s_getreg_b32 s2, hwreg(HW_REG_IB_STS2, 6, 4)
	s_mul_i32 s0, ttmp9, s0
	v_mov_b32_e32 v22, v0
	s_add_co_i32 s1, s1, s0
	s_cmp_eq_u32 s2, 0
	s_mov_b32 s32, 0
	s_cselect_b32 s0, ttmp9, s1
	s_mov_b32 s1, 0
	s_load_u8 s8, s[10:11], s0 offset:0x6e0
	s_add_nc_u64 s[2:3], s[10:11], s[0:1]
	s_mul_u64 s[4:5], s[0:1], 3
	s_delay_alu instid0(SALU_CYCLE_1)
	s_add_nc_u64 s[2:3], s[2:3], s[4:5]
	s_load_b32 s4, s[2:3], 0x820
	s_wait_kmcnt 0x0
	s_clause 0x1
	s_load_b64 s[16:17], s[10:11], s8 offset:0x0 scale_offset
	s_load_b64 s[6:7], s[10:11], s8 offset:0x370 scale_offset
	s_ashr_i32 s5, s4, 31
	s_delay_alu instid0(SALU_CYCLE_1) | instskip(SKIP_3) | instid1(SALU_CYCLE_1)
	s_lshl_b64 s[18:19], s[4:5], 19
	s_wait_kmcnt 0x0
	s_and_b32 s0, s6, 3
	s_add_nc_u64 s[22:23], s[16:17], s[18:19]
	s_and_b64 s[2:3], s[22:23], 31
	s_delay_alu instid0(SALU_CYCLE_1)
	s_or_b64 s[0:1], s[2:3], s[0:1]
	s_lshl_b64 s[2:3], s[4:5], 16
	s_cmp_eq_u64 s[0:1], 0
	s_sub_nc_u64 s[20:21], s[6:7], s[2:3]
	s_cbranch_scc1 .LBB88_21
; %bb.1:
	v_cmp_lt_i64_e64 s0, s[20:21], 1
	s_and_b32 vcc_lo, exec_lo, s0
	s_cbranch_vccnz .LBB88_20
; %bb.2:
	s_load_b32 s0, s[10:11], 0xd3c
	v_min_i64 v[30:31], 0x10000, s[20:21]
	v_min_u64 v[32:33], 0x10000, s[20:21]
	v_dual_mov_b32 v23, 0 :: v_dual_lshlrev_b32 v34, 3, v22
	s_mov_b32 s29, 0
	s_mov_b64 s[34:35], 0
	s_mov_b32 s1, s29
	s_delay_alu instid0(VALU_DEP_1)
	v_dual_mov_b32 v35, v23 :: v_dual_mov_b32 v37, v23
	s_mov_b32 s3, s29
	s_mov_b32 s5, s29
	;; [unrolled: 1-line block ×3, first 2 shown]
	s_get_pc_i64 s[26:27]
	s_add_nc_u64 s[26:27], s[26:27], _ZN6thrust23THRUST_200600_302600_NS6detail7complex6ccoshfERKNS0_7complexIfEE@rel64+4
	s_wait_kmcnt 0x0
	s_and_b32 s28, s0, 0xffff
	s_delay_alu instid0(SALU_CYCLE_1)
	v_add_nc_u64_e32 v[38:39], s[28:29], v[22:23]
	v_mad_nc_u64_u32 v[40:41], s28, 24, v[34:35]
	s_lshl_b32 s0, s28, 1
	s_mul_i32 s2, s28, 3
	s_lshl_b32 s4, s28, 4
	v_add_nc_u64_e32 v[42:43], s[2:3], v[22:23]
	v_add_nc_u64_e32 v[44:45], s[4:5], v[34:35]
	;; [unrolled: 1-line block ×3, first 2 shown]
	v_lshlrev_b32_e32 v36, 3, v38
	s_lshl_b32 s24, s28, 2
	s_lshl_b32 s28, s28, 5
	s_branch .LBB88_4
.LBB88_3:                               ;   in Loop: Header=BB88_4 Depth=1
	s_wait_xcnt 0x0
	s_or_b32 exec_lo, exec_lo, s12
	s_add_nc_u64 s[34:35], s[34:35], s[24:25]
	s_add_nc_u64 s[22:23], s[22:23], s[28:29]
	v_cmp_lt_i64_e32 vcc_lo, s[34:35], v[30:31]
	s_cbranch_vccz .LBB88_20
.LBB88_4:                               ; =>This Inner Loop Header: Depth=1
	s_wait_loadcnt 0x0
	v_add_nc_u64_e32 v[0:1], s[34:35], v[22:23]
	v_add_nc_u64_e32 v[48:49], s[22:23], v[34:35]
	s_delay_alu instid0(VALU_DEP_2)
	v_cmp_lt_u64_e32 vcc_lo, v[0:1], v[32:33]
	v_dual_mov_b32 v0, 0 :: v_dual_mov_b32 v1, 0
	s_and_saveexec_b32 s0, vcc_lo
	s_cbranch_execz .LBB88_6
; %bb.5:                                ;   in Loop: Header=BB88_4 Depth=1
	global_load_b64 v[0:1], v[48:49], off
.LBB88_6:                               ;   in Loop: Header=BB88_4 Depth=1
	s_wait_xcnt 0x0
	s_or_b32 exec_lo, exec_lo, s0
	v_add_nc_u64_e32 v[2:3], s[34:35], v[38:39]
	v_add_nc_u64_e32 v[52:53], s[22:23], v[36:37]
	v_dual_mov_b32 v24, 0 :: v_dual_mov_b32 v26, 0
	v_mov_b32_e32 v27, 0
	s_delay_alu instid0(VALU_DEP_4)
	v_cmp_lt_u64_e64 s12, v[2:3], v[32:33]
	s_and_saveexec_b32 s0, s12
	s_cbranch_execz .LBB88_8
; %bb.7:                                ;   in Loop: Header=BB88_4 Depth=1
	global_load_b64 v[26:27], v[52:53], off
.LBB88_8:                               ;   in Loop: Header=BB88_4 Depth=1
	s_wait_xcnt 0x0
	s_or_b32 exec_lo, exec_lo, s0
	v_add_nc_u64_e32 v[2:3], s[34:35], v[46:47]
	v_add_nc_u64_e32 v[50:51], s[22:23], v[44:45]
	v_mov_b32_e32 v25, 0
	s_delay_alu instid0(VALU_DEP_3)
	v_cmp_lt_u64_e64 s13, v[2:3], v[32:33]
	s_and_saveexec_b32 s0, s13
	s_cbranch_execz .LBB88_10
; %bb.9:                                ;   in Loop: Header=BB88_4 Depth=1
	global_load_b64 v[24:25], v[50:51], off
.LBB88_10:                              ;   in Loop: Header=BB88_4 Depth=1
	s_wait_xcnt 0x0
	s_or_b32 exec_lo, exec_lo, s0
	v_add_nc_u64_e32 v[2:3], s[34:35], v[42:43]
	v_add_nc_u64_e32 v[54:55], s[22:23], v[40:41]
	v_dual_mov_b32 v28, 0 :: v_dual_mov_b32 v29, 0
	s_delay_alu instid0(VALU_DEP_3)
	v_cmp_lt_u64_e64 s14, v[2:3], v[32:33]
	s_and_saveexec_b32 s0, s14
	s_cbranch_execnz .LBB88_15
; %bb.11:                               ;   in Loop: Header=BB88_4 Depth=1
	s_or_b32 exec_lo, exec_lo, s0
	s_and_saveexec_b32 s15, vcc_lo
	s_cbranch_execnz .LBB88_16
.LBB88_12:                              ;   in Loop: Header=BB88_4 Depth=1
	s_or_b32 exec_lo, exec_lo, s15
	s_and_saveexec_b32 s15, s12
	s_cbranch_execnz .LBB88_17
.LBB88_13:                              ;   in Loop: Header=BB88_4 Depth=1
	s_or_b32 exec_lo, exec_lo, s15
	s_and_saveexec_b32 s12, s13
	s_cbranch_execnz .LBB88_18
.LBB88_14:                              ;   in Loop: Header=BB88_4 Depth=1
	s_or_b32 exec_lo, exec_lo, s12
	s_and_saveexec_b32 s12, s14
	s_cbranch_execz .LBB88_3
	s_branch .LBB88_19
.LBB88_15:                              ;   in Loop: Header=BB88_4 Depth=1
	global_load_b64 v[28:29], v[54:55], off
	s_wait_xcnt 0x0
	s_or_b32 exec_lo, exec_lo, s0
	s_and_saveexec_b32 s15, vcc_lo
	s_cbranch_execz .LBB88_12
.LBB88_16:                              ;   in Loop: Header=BB88_4 Depth=1
	s_swap_pc_i64 s[30:31], s[26:27]
	global_store_b64 v[48:49], v[0:1], off
	s_wait_xcnt 0x0
	s_or_b32 exec_lo, exec_lo, s15
	s_and_saveexec_b32 s15, s12
	s_cbranch_execz .LBB88_13
.LBB88_17:                              ;   in Loop: Header=BB88_4 Depth=1
	s_wait_loadcnt 0x0
	v_dual_mov_b32 v0, v26 :: v_dual_mov_b32 v1, v27
	s_swap_pc_i64 s[30:31], s[26:27]
	global_store_b64 v[52:53], v[0:1], off
	s_wait_xcnt 0x0
	s_or_b32 exec_lo, exec_lo, s15
	s_and_saveexec_b32 s12, s13
	s_cbranch_execz .LBB88_14
.LBB88_18:                              ;   in Loop: Header=BB88_4 Depth=1
	s_wait_loadcnt 0x0
	v_dual_mov_b32 v0, v24 :: v_dual_mov_b32 v1, v25
	s_swap_pc_i64 s[30:31], s[26:27]
	global_store_b64 v[50:51], v[0:1], off
	s_wait_xcnt 0x0
	s_or_b32 exec_lo, exec_lo, s12
	s_and_saveexec_b32 s12, s14
	s_cbranch_execz .LBB88_3
.LBB88_19:                              ;   in Loop: Header=BB88_4 Depth=1
	s_wait_loadcnt 0x0
	v_dual_mov_b32 v0, v28 :: v_dual_mov_b32 v1, v29
	s_swap_pc_i64 s[30:31], s[26:27]
	global_store_b64 v[54:55], v[0:1], off
	s_branch .LBB88_3
.LBB88_20:
	s_cbranch_execz .LBB88_22
	s_branch .LBB88_25
.LBB88_21:
.LBB88_22:
	v_min_i64 v[32:33], 0x10000, s[20:21]
	s_wait_loadcnt 0x0
	v_dual_mov_b32 v1, 0 :: v_dual_lshlrev_b32 v0, 2, v22
	s_mov_b32 s0, exec_lo
	s_delay_alu instid0(VALU_DEP_1)
	v_cmpx_lt_i64_e64 v[0:1], v[32:33]
	s_cbranch_execz .LBB88_25
; %bb.23:
	s_load_b32 s2, s[10:11], 0xd3c
	v_dual_mov_b32 v23, v1 :: v_dual_lshlrev_b32 v0, 5, v22
	s_add_nc_u64 s[0:1], s[16:17], s[18:19]
	s_wait_xcnt 0x0
	s_mov_b32 s11, 0
	s_get_pc_i64 s[12:13]
	s_add_nc_u64 s[12:13], s[12:13], _ZN6thrust23THRUST_200600_302600_NS6detail7complex6ccoshfERKNS0_7complexIfEE@rel64+4
	v_add_nc_u64_e32 v[34:35], s[0:1], v[0:1]
	s_mov_b32 s15, s11
	s_mov_b32 s16, s11
	s_wait_kmcnt 0x0
	s_and_b32 s10, s2, 0xffff
	s_delay_alu instid0(SALU_CYCLE_1)
	s_lshl_b32 s14, s10, 5
.LBB88_24:                              ; =>This Inner Loop Header: Depth=1
	s_clause 0x1
	global_load_b128 v[24:27], v[34:35], off
	global_load_b128 v[28:31], v[34:35], off offset:16
	s_wait_loadcnt 0x1
	v_dual_mov_b32 v0, v24 :: v_dual_mov_b32 v1, v25
	s_swap_pc_i64 s[30:31], s[12:13]
	s_delay_alu instid0(VALU_DEP_1) | instskip(SKIP_2) | instid1(VALU_DEP_1)
	v_dual_mov_b32 v24, v0 :: v_dual_mov_b32 v25, v1
	v_dual_mov_b32 v0, v26 :: v_dual_mov_b32 v1, v27
	s_swap_pc_i64 s[30:31], s[12:13]
	v_dual_mov_b32 v26, v0 :: v_dual_mov_b32 v27, v1
	v_dual_mov_b32 v0, v28 :: v_dual_mov_b32 v1, v29
	s_swap_pc_i64 s[30:31], s[12:13]
	s_delay_alu instid0(VALU_DEP_1) | instskip(SKIP_3) | instid1(VALU_DEP_2)
	v_dual_mov_b32 v28, v0 :: v_dual_mov_b32 v29, v1
	v_dual_mov_b32 v0, v30 :: v_dual_mov_b32 v1, v31
	s_swap_pc_i64 s[30:31], s[12:13]
	v_add_nc_u64_e32 v[22:23], s[10:11], v[22:23]
	v_dual_mov_b32 v30, v0 :: v_dual_mov_b32 v31, v1
	s_clause 0x1
	global_store_b128 v[34:35], v[24:27], off
	global_store_b128 v[34:35], v[28:31], off offset:16
	v_lshlrev_b64_e32 v[0:1], 2, v[22:23]
	s_wait_xcnt 0x0
	v_add_nc_u64_e32 v[34:35], s[14:15], v[34:35]
	s_delay_alu instid0(VALU_DEP_2) | instskip(SKIP_1) | instid1(SALU_CYCLE_1)
	v_cmp_ge_i64_e32 vcc_lo, v[0:1], v[32:33]
	s_or_b32 s16, vcc_lo, s16
	s_and_not1_b32 exec_lo, exec_lo, s16
	s_cbranch_execnz .LBB88_24
.LBB88_25:
	s_endpgm
	.section	.rodata,"a",@progbits
	.p2align	6, 0x0
	.amdhsa_kernel _ZN2at6native12_GLOBAL__N_125multi_tensor_apply_kernelINS1_18TensorListMetadataILi1EEENS1_14UnaryOpFunctorIN3c107complexIfEELi1ELi1ELi0EEEJNS0_4CoshIS8_EEEEEvT_T0_DpT1_
		.amdhsa_group_segment_fixed_size 0
		.amdhsa_private_segment_fixed_size 0
		.amdhsa_kernarg_size 3632
		.amdhsa_user_sgpr_count 2
		.amdhsa_user_sgpr_dispatch_ptr 0
		.amdhsa_user_sgpr_queue_ptr 0
		.amdhsa_user_sgpr_kernarg_segment_ptr 1
		.amdhsa_user_sgpr_dispatch_id 0
		.amdhsa_user_sgpr_kernarg_preload_length 0
		.amdhsa_user_sgpr_kernarg_preload_offset 0
		.amdhsa_user_sgpr_private_segment_size 0
		.amdhsa_wavefront_size32 1
		.amdhsa_uses_dynamic_stack 0
		.amdhsa_enable_private_segment 0
		.amdhsa_system_sgpr_workgroup_id_x 1
		.amdhsa_system_sgpr_workgroup_id_y 0
		.amdhsa_system_sgpr_workgroup_id_z 0
		.amdhsa_system_sgpr_workgroup_info 0
		.amdhsa_system_vgpr_workitem_id 0
		.amdhsa_next_free_vgpr 56
		.amdhsa_next_free_sgpr 36
		.amdhsa_named_barrier_count 0
		.amdhsa_reserve_vcc 1
		.amdhsa_float_round_mode_32 0
		.amdhsa_float_round_mode_16_64 0
		.amdhsa_float_denorm_mode_32 3
		.amdhsa_float_denorm_mode_16_64 3
		.amdhsa_fp16_overflow 0
		.amdhsa_memory_ordered 1
		.amdhsa_forward_progress 1
		.amdhsa_inst_pref_size 9
		.amdhsa_round_robin_scheduling 0
		.amdhsa_exception_fp_ieee_invalid_op 0
		.amdhsa_exception_fp_denorm_src 0
		.amdhsa_exception_fp_ieee_div_zero 0
		.amdhsa_exception_fp_ieee_overflow 0
		.amdhsa_exception_fp_ieee_underflow 0
		.amdhsa_exception_fp_ieee_inexact 0
		.amdhsa_exception_int_div_zero 0
	.end_amdhsa_kernel
	.section	.text._ZN2at6native12_GLOBAL__N_125multi_tensor_apply_kernelINS1_18TensorListMetadataILi1EEENS1_14UnaryOpFunctorIN3c107complexIfEELi1ELi1ELi0EEEJNS0_4CoshIS8_EEEEEvT_T0_DpT1_,"axG",@progbits,_ZN2at6native12_GLOBAL__N_125multi_tensor_apply_kernelINS1_18TensorListMetadataILi1EEENS1_14UnaryOpFunctorIN3c107complexIfEELi1ELi1ELi0EEEJNS0_4CoshIS8_EEEEEvT_T0_DpT1_,comdat
.Lfunc_end88:
	.size	_ZN2at6native12_GLOBAL__N_125multi_tensor_apply_kernelINS1_18TensorListMetadataILi1EEENS1_14UnaryOpFunctorIN3c107complexIfEELi1ELi1ELi0EEEJNS0_4CoshIS8_EEEEEvT_T0_DpT1_, .Lfunc_end88-_ZN2at6native12_GLOBAL__N_125multi_tensor_apply_kernelINS1_18TensorListMetadataILi1EEENS1_14UnaryOpFunctorIN3c107complexIfEELi1ELi1ELi0EEEJNS0_4CoshIS8_EEEEEvT_T0_DpT1_
                                        ; -- End function
	.set _ZN2at6native12_GLOBAL__N_125multi_tensor_apply_kernelINS1_18TensorListMetadataILi1EEENS1_14UnaryOpFunctorIN3c107complexIfEELi1ELi1ELi0EEEJNS0_4CoshIS8_EEEEEvT_T0_DpT1_.num_vgpr, max(56, .L_ZN6thrust23THRUST_200600_302600_NS6detail7complex6ccoshfERKNS0_7complexIfEE.num_vgpr)
	.set _ZN2at6native12_GLOBAL__N_125multi_tensor_apply_kernelINS1_18TensorListMetadataILi1EEENS1_14UnaryOpFunctorIN3c107complexIfEELi1ELi1ELi0EEEJNS0_4CoshIS8_EEEEEvT_T0_DpT1_.num_agpr, max(0, .L_ZN6thrust23THRUST_200600_302600_NS6detail7complex6ccoshfERKNS0_7complexIfEE.num_agpr)
	.set _ZN2at6native12_GLOBAL__N_125multi_tensor_apply_kernelINS1_18TensorListMetadataILi1EEENS1_14UnaryOpFunctorIN3c107complexIfEELi1ELi1ELi0EEEJNS0_4CoshIS8_EEEEEvT_T0_DpT1_.numbered_sgpr, max(36, .L_ZN6thrust23THRUST_200600_302600_NS6detail7complex6ccoshfERKNS0_7complexIfEE.numbered_sgpr)
	.set _ZN2at6native12_GLOBAL__N_125multi_tensor_apply_kernelINS1_18TensorListMetadataILi1EEENS1_14UnaryOpFunctorIN3c107complexIfEELi1ELi1ELi0EEEJNS0_4CoshIS8_EEEEEvT_T0_DpT1_.num_named_barrier, max(0, .L_ZN6thrust23THRUST_200600_302600_NS6detail7complex6ccoshfERKNS0_7complexIfEE.num_named_barrier)
	.set _ZN2at6native12_GLOBAL__N_125multi_tensor_apply_kernelINS1_18TensorListMetadataILi1EEENS1_14UnaryOpFunctorIN3c107complexIfEELi1ELi1ELi0EEEJNS0_4CoshIS8_EEEEEvT_T0_DpT1_.private_seg_size, 0+max(.L_ZN6thrust23THRUST_200600_302600_NS6detail7complex6ccoshfERKNS0_7complexIfEE.private_seg_size)
	.set _ZN2at6native12_GLOBAL__N_125multi_tensor_apply_kernelINS1_18TensorListMetadataILi1EEENS1_14UnaryOpFunctorIN3c107complexIfEELi1ELi1ELi0EEEJNS0_4CoshIS8_EEEEEvT_T0_DpT1_.uses_vcc, or(1, .L_ZN6thrust23THRUST_200600_302600_NS6detail7complex6ccoshfERKNS0_7complexIfEE.uses_vcc)
	.set _ZN2at6native12_GLOBAL__N_125multi_tensor_apply_kernelINS1_18TensorListMetadataILi1EEENS1_14UnaryOpFunctorIN3c107complexIfEELi1ELi1ELi0EEEJNS0_4CoshIS8_EEEEEvT_T0_DpT1_.uses_flat_scratch, or(0, .L_ZN6thrust23THRUST_200600_302600_NS6detail7complex6ccoshfERKNS0_7complexIfEE.uses_flat_scratch)
	.set _ZN2at6native12_GLOBAL__N_125multi_tensor_apply_kernelINS1_18TensorListMetadataILi1EEENS1_14UnaryOpFunctorIN3c107complexIfEELi1ELi1ELi0EEEJNS0_4CoshIS8_EEEEEvT_T0_DpT1_.has_dyn_sized_stack, or(0, .L_ZN6thrust23THRUST_200600_302600_NS6detail7complex6ccoshfERKNS0_7complexIfEE.has_dyn_sized_stack)
	.set _ZN2at6native12_GLOBAL__N_125multi_tensor_apply_kernelINS1_18TensorListMetadataILi1EEENS1_14UnaryOpFunctorIN3c107complexIfEELi1ELi1ELi0EEEJNS0_4CoshIS8_EEEEEvT_T0_DpT1_.has_recursion, or(0, .L_ZN6thrust23THRUST_200600_302600_NS6detail7complex6ccoshfERKNS0_7complexIfEE.has_recursion)
	.set _ZN2at6native12_GLOBAL__N_125multi_tensor_apply_kernelINS1_18TensorListMetadataILi1EEENS1_14UnaryOpFunctorIN3c107complexIfEELi1ELi1ELi0EEEJNS0_4CoshIS8_EEEEEvT_T0_DpT1_.has_indirect_call, or(0, .L_ZN6thrust23THRUST_200600_302600_NS6detail7complex6ccoshfERKNS0_7complexIfEE.has_indirect_call)
	.section	.AMDGPU.csdata,"",@progbits
; Kernel info:
; codeLenInByte = 1120
; TotalNumSgprs: 38
; NumVgprs: 56
; ScratchSize: 0
; MemoryBound: 0
; FloatMode: 240
; IeeeMode: 1
; LDSByteSize: 0 bytes/workgroup (compile time only)
; SGPRBlocks: 0
; VGPRBlocks: 3
; NumSGPRsForWavesPerEU: 38
; NumVGPRsForWavesPerEU: 56
; NamedBarCnt: 0
; Occupancy: 16
; WaveLimiterHint : 0
; COMPUTE_PGM_RSRC2:SCRATCH_EN: 0
; COMPUTE_PGM_RSRC2:USER_SGPR: 2
; COMPUTE_PGM_RSRC2:TRAP_HANDLER: 0
; COMPUTE_PGM_RSRC2:TGID_X_EN: 1
; COMPUTE_PGM_RSRC2:TGID_Y_EN: 0
; COMPUTE_PGM_RSRC2:TGID_Z_EN: 0
; COMPUTE_PGM_RSRC2:TIDIG_COMP_CNT: 0
	.section	.text._ZN2at6native12_GLOBAL__N_125multi_tensor_apply_kernelINS1_18TensorListMetadataILi1EEENS1_14UnaryOpFunctorIN3c104HalfELi1ELi1ELi0EEEJNS0_4CoshIfEEEEEvT_T0_DpT1_,"axG",@progbits,_ZN2at6native12_GLOBAL__N_125multi_tensor_apply_kernelINS1_18TensorListMetadataILi1EEENS1_14UnaryOpFunctorIN3c104HalfELi1ELi1ELi0EEEJNS0_4CoshIfEEEEEvT_T0_DpT1_,comdat
	.globl	_ZN2at6native12_GLOBAL__N_125multi_tensor_apply_kernelINS1_18TensorListMetadataILi1EEENS1_14UnaryOpFunctorIN3c104HalfELi1ELi1ELi0EEEJNS0_4CoshIfEEEEEvT_T0_DpT1_ ; -- Begin function _ZN2at6native12_GLOBAL__N_125multi_tensor_apply_kernelINS1_18TensorListMetadataILi1EEENS1_14UnaryOpFunctorIN3c104HalfELi1ELi1ELi0EEEJNS0_4CoshIfEEEEEvT_T0_DpT1_
	.p2align	8
	.type	_ZN2at6native12_GLOBAL__N_125multi_tensor_apply_kernelINS1_18TensorListMetadataILi1EEENS1_14UnaryOpFunctorIN3c104HalfELi1ELi1ELi0EEEJNS0_4CoshIfEEEEEvT_T0_DpT1_,@function
_ZN2at6native12_GLOBAL__N_125multi_tensor_apply_kernelINS1_18TensorListMetadataILi1EEENS1_14UnaryOpFunctorIN3c104HalfELi1ELi1ELi0EEEJNS0_4CoshIfEEEEEvT_T0_DpT1_: ; @_ZN2at6native12_GLOBAL__N_125multi_tensor_apply_kernelINS1_18TensorListMetadataILi1EEENS1_14UnaryOpFunctorIN3c104HalfELi1ELi1ELi0EEEJNS0_4CoshIfEEEEEvT_T0_DpT1_
; %bb.0:
	s_bfe_u32 s2, ttmp6, 0x4000c
	s_and_b32 s3, ttmp6, 15
	s_add_co_i32 s2, s2, 1
	s_getreg_b32 s4, hwreg(HW_REG_IB_STS2, 6, 4)
	s_mul_i32 s2, ttmp9, s2
	s_delay_alu instid0(SALU_CYCLE_1)
	s_add_co_i32 s3, s3, s2
	s_cmp_eq_u32 s4, 0
	s_cselect_b32 s2, ttmp9, s3
	s_mov_b32 s3, 0
	s_load_u8 s8, s[0:1], s2 offset:0x6e0
	s_add_nc_u64 s[4:5], s[0:1], s[2:3]
	s_mul_u64 s[6:7], s[2:3], 3
	s_delay_alu instid0(SALU_CYCLE_1)
	s_add_nc_u64 s[4:5], s[4:5], s[6:7]
	s_load_b32 s10, s[4:5], 0x820
	s_wait_kmcnt 0x0
	s_clause 0x1
	s_load_b64 s[6:7], s[0:1], s8 offset:0x0 scale_offset
	s_load_b64 s[12:13], s[0:1], s8 offset:0x370 scale_offset
	s_ashr_i32 s11, s10, 31
	s_wait_kmcnt 0x0
	s_and_b64 s[4:5], s[6:7], 7
	s_and_b32 s2, s12, 3
	s_lshl_b64 s[8:9], s[10:11], 17
	s_or_b64 s[2:3], s[4:5], s[2:3]
	s_lshl_b64 s[4:5], s[10:11], 16
	s_cmp_eq_u64 s[2:3], 0
	s_sub_nc_u64 s[10:11], s[12:13], s[4:5]
	s_cbranch_scc1 .LBB89_21
; %bb.1:
	v_cmp_lt_i64_e64 s2, s[10:11], 1
	s_and_b32 vcc_lo, exec_lo, s2
	s_cbranch_vccnz .LBB89_20
; %bb.2:
	s_load_b32 s2, s[0:1], 0xd3c
	v_min_i64 v[2:3], 0x10000, s[10:11]
	v_min_u64 v[4:5], 0x10000, s[10:11]
	v_dual_mov_b32 v1, 0 :: v_dual_lshlrev_b32 v8, 1, v0
	s_mov_b32 s3, 0
	s_add_nc_u64 s[4:5], s[6:7], s[8:9]
	s_mov_b32 s19, s3
	s_delay_alu instid0(VALU_DEP_1) | instskip(SKIP_2) | instid1(VALU_DEP_2)
	v_dual_mov_b32 v9, v1 :: v_dual_mov_b32 v15, v1
	s_mov_b32 s21, s3
	v_dual_mov_b32 v19, 1.0 :: v_dual_mov_b32 v21, -1.0
	v_add_nc_u64_e32 v[8:9], s[4:5], v[8:9]
	s_mov_b32 s13, s3
	s_mov_b32 s15, s3
	v_mov_b32_e32 v17, 0x3f317218
	s_wait_kmcnt 0x0
	s_and_b32 s2, s2, 0xffff
	s_delay_alu instid0(SALU_CYCLE_1)
	v_add_nc_u64_e32 v[6:7], s[2:3], v[0:1]
	s_lshl_b32 s18, s2, 1
	s_mul_i32 s20, s2, 3
	v_add_nc_u64_e32 v[12:13], s[18:19], v[0:1]
	v_add_nc_u64_e32 v[10:11], s[20:21], v[0:1]
	s_lshl_b32 s12, s2, 2
	s_lshl_b32 s14, s2, 3
	v_lshlrev_b32_e32 v14, 1, v6
	s_mul_u64 s[16:17], s[2:3], 6
	s_mov_b64 s[18:19], 0
	s_mov_b32 s20, 0x3ab42872
	s_delay_alu instid0(VALU_DEP_1)
	v_add_nc_u64_e32 v[14:15], s[4:5], v[14:15]
	s_mov_b32 s5, -1.0
	s_branch .LBB89_4
.LBB89_3:                               ;   in Loop: Header=BB89_4 Depth=1
	s_wait_xcnt 0x0
	s_or_b32 exec_lo, exec_lo, s2
	s_add_nc_u64 s[18:19], s[18:19], s[12:13]
	v_add_nc_u64_e32 v[8:9], s[14:15], v[8:9]
	v_cmp_lt_i64_e32 vcc_lo, s[18:19], v[2:3]
	v_add_nc_u64_e32 v[14:15], s[14:15], v[14:15]
	s_cbranch_vccz .LBB89_20
.LBB89_4:                               ; =>This Inner Loop Header: Depth=1
	v_add_nc_u64_e32 v[22:23], s[18:19], v[0:1]
	v_mov_b32_e32 v16, 0
	s_delay_alu instid0(VALU_DEP_2)
	v_cmp_lt_u64_e64 s4, v[22:23], v[4:5]
	s_and_saveexec_b32 s2, s4
	s_cbranch_execz .LBB89_6
; %bb.5:                                ;   in Loop: Header=BB89_4 Depth=1
	global_load_u16 v16, v[8:9], off
	s_wait_loadcnt 0x0
	v_cvt_f32_f16_e64 v16, |v16|
.LBB89_6:                               ;   in Loop: Header=BB89_4 Depth=1
	s_wait_xcnt 0x0
	s_or_b32 exec_lo, exec_lo, s2
	v_add_nc_u64_e32 v[22:23], s[18:19], v[6:7]
	v_dual_mov_b32 v27, 0 :: v_dual_mov_b32 v28, 0
	s_delay_alu instid0(VALU_DEP_2)
	v_cmp_lt_u64_e64 s3, v[22:23], v[4:5]
	s_and_saveexec_b32 s2, s3
	s_cbranch_execz .LBB89_8
; %bb.7:                                ;   in Loop: Header=BB89_4 Depth=1
	global_load_u16 v18, v[14:15], off
	s_wait_loadcnt 0x0
	v_cvt_f32_f16_e64 v28, |v18|
.LBB89_8:                               ;   in Loop: Header=BB89_4 Depth=1
	s_wait_xcnt 0x0
	s_or_b32 exec_lo, exec_lo, s2
	v_add_nc_u64_e32 v[22:23], s[18:19], v[12:13]
	v_add_nc_u64_e32 v[24:25], s[12:13], v[8:9]
	s_delay_alu instid0(VALU_DEP_2)
	v_cmp_lt_u64_e64 s2, v[22:23], v[4:5]
	s_and_saveexec_b32 s21, s2
	s_cbranch_execz .LBB89_10
; %bb.9:                                ;   in Loop: Header=BB89_4 Depth=1
	global_load_u16 v18, v[24:25], off
	s_wait_loadcnt 0x0
	v_cvt_f32_f16_e64 v27, |v18|
.LBB89_10:                              ;   in Loop: Header=BB89_4 Depth=1
	s_wait_xcnt 0x0
	s_or_b32 exec_lo, exec_lo, s21
	v_add_nc_u64_e32 v[22:23], s[18:19], v[10:11]
	v_mov_b32_e32 v26, 0
	s_delay_alu instid0(VALU_DEP_2)
	v_cmp_lt_u64_e32 vcc_lo, v[22:23], v[4:5]
	v_add_nc_u64_e32 v[22:23], s[16:17], v[8:9]
	s_and_saveexec_b32 s21, vcc_lo
	s_cbranch_execnz .LBB89_15
; %bb.11:                               ;   in Loop: Header=BB89_4 Depth=1
	s_or_b32 exec_lo, exec_lo, s21
	s_and_saveexec_b32 s21, s4
	s_cbranch_execnz .LBB89_16
.LBB89_12:                              ;   in Loop: Header=BB89_4 Depth=1
	s_or_b32 exec_lo, exec_lo, s21
	s_and_saveexec_b32 s4, s3
	s_cbranch_execnz .LBB89_17
.LBB89_13:                              ;   in Loop: Header=BB89_4 Depth=1
	s_or_b32 exec_lo, exec_lo, s4
	s_and_saveexec_b32 s3, s2
	s_cbranch_execnz .LBB89_18
.LBB89_14:                              ;   in Loop: Header=BB89_4 Depth=1
	s_or_b32 exec_lo, exec_lo, s3
	s_and_saveexec_b32 s2, vcc_lo
	s_cbranch_execz .LBB89_3
	s_branch .LBB89_19
.LBB89_15:                              ;   in Loop: Header=BB89_4 Depth=1
	global_load_u16 v18, v[22:23], off
	s_wait_loadcnt 0x0
	v_cvt_f32_f16_e64 v26, |v18|
	s_wait_xcnt 0x0
	s_or_b32 exec_lo, exec_lo, s21
	s_and_saveexec_b32 s21, s4
	s_cbranch_execz .LBB89_12
.LBB89_16:                              ;   in Loop: Header=BB89_4 Depth=1
	v_add_f32_e32 v18, 0xbf317218, v16
	s_delay_alu instid0(VALU_DEP_1) | instskip(NEXT) | instid1(VALU_DEP_1)
	v_sub_f32_e32 v31, v18, v16
	v_sub_f32_e32 v30, v31, v18
	s_delay_alu instid0(VALU_DEP_1) | instskip(NEXT) | instid1(VALU_DEP_1)
	v_pk_add_f32 v[30:31], v[16:17], v[30:31]
	v_sub_f32_e32 v20, v30, v31
	s_delay_alu instid0(VALU_DEP_1) | instskip(NEXT) | instid1(VALU_DEP_1)
	v_add_f32_e32 v20, 0x3102e308, v20
	v_add_f32_e32 v29, v18, v20
	s_delay_alu instid0(VALU_DEP_1) | instskip(SKIP_1) | instid1(VALU_DEP_2)
	v_mul_f32_e32 v30, 0x3fb8aa3b, v29
	v_sub_f32_e32 v18, v18, v29
	v_rndne_f32_e32 v38, v30
	s_delay_alu instid0(VALU_DEP_2) | instskip(NEXT) | instid1(VALU_DEP_2)
	v_add_f32_e32 v18, v20, v18
	v_fmac_f32_e32 v29, 0xbf317200, v38
	v_mul_f32_e32 v20, 0x35bfbc00, v38
	v_mul_f32_e32 v33, 0x2ea39ef3, v38
	s_delay_alu instid0(VALU_DEP_3) | instskip(NEXT) | instid1(VALU_DEP_1)
	v_add_f32_e32 v31, v18, v29
	v_dual_sub_f32 v30, v31, v20 :: v_dual_sub_f32 v29, v29, v31
	s_delay_alu instid0(VALU_DEP_1) | instskip(NEXT) | instid1(VALU_DEP_1)
	v_sub_f32_e32 v31, v31, v30
	v_dual_sub_f32 v20, v31, v20 :: v_dual_add_f32 v18, v18, v29
	s_delay_alu instid0(VALU_DEP_1) | instskip(NEXT) | instid1(VALU_DEP_1)
	v_add_f32_e32 v18, v18, v20
	v_add_f32_e32 v31, v30, v18
	s_delay_alu instid0(VALU_DEP_1) | instskip(NEXT) | instid1(VALU_DEP_1)
	v_mov_b32_e32 v32, v31
	v_pk_add_f32 v[34:35], v[30:31], v[32:33] neg_lo:[0,1] neg_hi:[0,1]
	s_delay_alu instid0(VALU_DEP_1) | instskip(NEXT) | instid1(VALU_DEP_1)
	v_dual_sub_f32 v20, v31, v35 :: v_dual_add_f32 v18, v18, v34
	v_sub_f32_e32 v20, v20, v33
	s_delay_alu instid0(VALU_DEP_1) | instskip(NEXT) | instid1(VALU_DEP_1)
	v_add_f32_e32 v18, v18, v20
	v_add_f32_e32 v29, v35, v18
	s_delay_alu instid0(VALU_DEP_1) | instskip(SKIP_2) | instid1(VALU_DEP_3)
	v_dual_sub_f32 v20, v35, v29 :: v_dual_mul_f32 v30, v29, v29
	v_mov_b64_e32 v[34:35], s[4:5]
	v_cmp_nlt_f32_e64 s4, 0x42b2d4fc, v16
	v_add_f32_e32 v18, v18, v20
	v_fmaak_f32 v20, s20, v29, 0x3c091de6
	s_delay_alu instid0(VALU_DEP_2) | instskip(NEXT) | instid1(VALU_DEP_2)
	v_dual_fma_f32 v31, v29, v29, -v30 :: v_dual_add_f32 v32, v18, v18
	v_fmaak_f32 v20, v29, v20, 0x3d2aadcc
	s_delay_alu instid0(VALU_DEP_2) | instskip(NEXT) | instid1(VALU_DEP_2)
	v_fmac_f32_e32 v31, v29, v32
	v_fmaak_f32 v20, v29, v20, 0x3e2aaa47
	s_delay_alu instid0(VALU_DEP_2) | instskip(NEXT) | instid1(VALU_DEP_2)
	v_add_f32_e32 v32, v30, v31
	v_fmaak_f32 v20, v29, v20, 0x3efffffc
	s_delay_alu instid0(VALU_DEP_2) | instskip(NEXT) | instid1(VALU_DEP_1)
	v_sub_f32_e32 v30, v32, v30
	v_dual_sub_f32 v30, v31, v30 :: v_dual_mul_f32 v33, v20, v32
	s_delay_alu instid0(VALU_DEP_1) | instskip(NEXT) | instid1(VALU_DEP_1)
	v_fma_f32 v31, v32, v20, -v33
	v_fmac_f32_e32 v31, v30, v20
	s_delay_alu instid0(VALU_DEP_1) | instskip(NEXT) | instid1(VALU_DEP_1)
	v_add_f32_e32 v30, v33, v31
	v_add_f32_e32 v20, v29, v30
	s_delay_alu instid0(VALU_DEP_1) | instskip(SKIP_1) | instid1(VALU_DEP_1)
	v_sub_f32_e32 v29, v20, v29
	v_sub_f32_e32 v32, v30, v33
	v_dual_sub_f32 v29, v30, v29 :: v_dual_sub_f32 v31, v31, v32
	s_delay_alu instid0(VALU_DEP_1) | instskip(NEXT) | instid1(VALU_DEP_1)
	v_add_f32_e32 v18, v18, v31
	v_add_f32_e32 v30, v18, v29
	s_delay_alu instid0(VALU_DEP_1) | instskip(NEXT) | instid1(VALU_DEP_1)
	v_add_f32_e32 v32, v20, v30
	v_dual_add_f32 v33, 1.0, v32 :: v_dual_mov_b32 v31, v32
	s_delay_alu instid0(VALU_DEP_1) | instskip(SKIP_2) | instid1(VALU_DEP_3)
	v_pk_add_f32 v[34:35], v[32:33], v[34:35]
	v_pk_add_f32 v[36:37], v[32:33], v[20:21] neg_lo:[0,1] neg_hi:[0,1]
	v_cvt_i32_f32_e32 v20, v38
	v_mov_b32_e32 v37, v35
	s_delay_alu instid0(VALU_DEP_1) | instskip(NEXT) | instid1(VALU_DEP_1)
	v_pk_add_f32 v[30:31], v[30:31], v[36:37] neg_lo:[0,1] neg_hi:[0,1]
	v_add_f32_e32 v18, v30, v31
	s_delay_alu instid0(VALU_DEP_1) | instskip(NEXT) | instid1(VALU_DEP_1)
	v_add_f32_e32 v29, v33, v18
	v_ldexp_f32 v30, v29, v20
	s_delay_alu instid0(VALU_DEP_1) | instskip(SKIP_1) | instid1(TRANS32_DEP_1)
	v_rcp_f32_e32 v40, v30
	v_nop
	v_dual_mul_f32 v32, v30, v40 :: v_dual_sub_f32 v29, v29, v33
	s_delay_alu instid0(VALU_DEP_1) | instskip(NEXT) | instid1(VALU_DEP_1)
	v_dual_fma_f32 v34, v40, v30, -v32 :: v_dual_sub_f32 v18, v18, v29
	v_ldexp_f32 v31, v18, v20
	s_delay_alu instid0(VALU_DEP_1) | instskip(NEXT) | instid1(VALU_DEP_1)
	v_fmac_f32_e32 v34, v40, v31
	v_add_f32_e32 v18, v32, v34
	s_delay_alu instid0(VALU_DEP_1) | instskip(NEXT) | instid1(VALU_DEP_1)
	v_dual_sub_f32 v33, 1.0, v18 :: v_dual_mov_b32 v35, v18
	v_pk_add_f32 v[36:37], v[18:19], v[32:33] neg_lo:[0,1] neg_hi:[0,1]
	s_delay_alu instid0(VALU_DEP_1) | instskip(NEXT) | instid1(VALU_DEP_1)
	v_pk_add_f32 v[34:35], v[36:37], v[34:35] neg_lo:[0,1] neg_hi:[0,1]
	v_add_f32_e32 v18, v34, v35
	s_delay_alu instid0(VALU_DEP_1) | instskip(NEXT) | instid1(VALU_DEP_1)
	v_add_f32_e32 v35, v33, v18
	v_mul_f32_e32 v20, v40, v35
	s_delay_alu instid0(VALU_DEP_1) | instskip(NEXT) | instid1(VALU_DEP_1)
	v_mul_f32_e32 v36, v30, v20
	v_fma_f32 v32, v20, v30, -v36
	s_delay_alu instid0(VALU_DEP_1) | instskip(NEXT) | instid1(VALU_DEP_1)
	v_fmac_f32_e32 v32, v20, v31
	v_dual_sub_f32 v29, v33, v35 :: v_dual_add_f32 v34, v36, v32
	s_delay_alu instid0(VALU_DEP_1) | instskip(NEXT) | instid1(VALU_DEP_2)
	v_dual_add_f32 v18, v18, v29 :: v_dual_add_f32 v29, v40, v20
	v_dual_sub_f32 v37, v35, v34 :: v_dual_mov_b32 v33, v34
	s_delay_alu instid0(VALU_DEP_1) | instskip(NEXT) | instid1(VALU_DEP_1)
	v_pk_add_f32 v[38:39], v[34:35], v[36:37] neg_lo:[0,1] neg_hi:[0,1]
	v_pk_add_f32 v[32:33], v[38:39], v[32:33] neg_lo:[0,1] neg_hi:[0,1]
	s_delay_alu instid0(VALU_DEP_1) | instskip(NEXT) | instid1(VALU_DEP_1)
	v_add_f32_e32 v18, v18, v33
	v_dual_add_f32 v18, v32, v18 :: v_dual_sub_f32 v32, v29, v40
	s_delay_alu instid0(VALU_DEP_1) | instskip(NEXT) | instid1(VALU_DEP_1)
	v_dual_add_f32 v18, v37, v18 :: v_dual_sub_f32 v20, v20, v32
	v_mul_f32_e32 v18, v40, v18
	s_delay_alu instid0(VALU_DEP_1) | instskip(NEXT) | instid1(VALU_DEP_1)
	v_add_f32_e32 v18, v20, v18
	v_add_f32_e32 v20, v29, v18
	s_delay_alu instid0(VALU_DEP_1) | instskip(NEXT) | instid1(VALU_DEP_1)
	v_sub_f32_e32 v29, v20, v29
	v_sub_f32_e32 v18, v18, v29
	v_ldexp_f32 v32, v20, -2
	s_delay_alu instid0(VALU_DEP_2) | instskip(NEXT) | instid1(VALU_DEP_1)
	v_ldexp_f32 v33, v18, -2
	v_pk_add_f32 v[34:35], v[30:31], v[32:33]
	s_delay_alu instid0(VALU_DEP_1) | instskip(NEXT) | instid1(VALU_DEP_1)
	v_sub_f32_e32 v18, v34, v30
	v_sub_f32_e32 v18, v32, v18
	s_delay_alu instid0(VALU_DEP_1) | instskip(NEXT) | instid1(VALU_DEP_1)
	v_add_f32_e32 v18, v35, v18
	v_add_f32_e32 v18, v34, v18
	s_delay_alu instid0(VALU_DEP_1) | instskip(NEXT) | instid1(VALU_DEP_1)
	v_cndmask_b32_e64 v16, 0x7f800000, v18, s4
	v_cvt_f16_f32_e32 v16, v16
	global_store_b16 v[8:9], v16, off
	s_wait_xcnt 0x0
	s_or_b32 exec_lo, exec_lo, s21
	s_and_saveexec_b32 s4, s3
	s_cbranch_execz .LBB89_13
.LBB89_17:                              ;   in Loop: Header=BB89_4 Depth=1
	v_add_f32_e32 v16, 0xbf317218, v28
	v_cmp_nlt_f32_e64 s3, 0x42b2d4fc, v28
	s_delay_alu instid0(VALU_DEP_2) | instskip(NEXT) | instid1(VALU_DEP_1)
	v_sub_f32_e32 v18, v16, v28
	v_sub_f32_e32 v20, v18, v16
	v_add_f32_e32 v18, 0x3f317218, v18
	s_delay_alu instid0(VALU_DEP_2) | instskip(NEXT) | instid1(VALU_DEP_1)
	v_add_f32_e32 v20, v28, v20
	v_sub_f32_e32 v18, v20, v18
	s_delay_alu instid0(VALU_DEP_1) | instskip(NEXT) | instid1(VALU_DEP_1)
	v_add_f32_e32 v18, 0x3102e308, v18
	v_add_f32_e32 v20, v16, v18
	s_delay_alu instid0(VALU_DEP_1) | instskip(NEXT) | instid1(VALU_DEP_1)
	v_dual_mul_f32 v29, 0x3fb8aa3b, v20 :: v_dual_sub_f32 v16, v16, v20
	v_rndne_f32_e32 v29, v29
	s_delay_alu instid0(VALU_DEP_2) | instskip(NEXT) | instid1(VALU_DEP_2)
	v_add_f32_e32 v16, v18, v16
	v_fmac_f32_e32 v20, 0xbf317200, v29
	v_mul_f32_e32 v18, 0x35bfbc00, v29
	s_delay_alu instid0(VALU_DEP_2) | instskip(NEXT) | instid1(VALU_DEP_1)
	v_add_f32_e32 v30, v16, v20
	v_sub_f32_e32 v20, v20, v30
	s_delay_alu instid0(VALU_DEP_1) | instskip(NEXT) | instid1(VALU_DEP_1)
	v_dual_add_f32 v16, v16, v20 :: v_dual_sub_f32 v31, v30, v18
	v_sub_f32_e32 v30, v30, v31
	s_delay_alu instid0(VALU_DEP_1) | instskip(NEXT) | instid1(VALU_DEP_1)
	v_sub_f32_e32 v18, v30, v18
	v_add_f32_e32 v16, v16, v18
	v_mul_f32_e32 v18, 0x2ea39ef3, v29
	s_delay_alu instid0(VALU_DEP_2) | instskip(NEXT) | instid1(VALU_DEP_1)
	v_add_f32_e32 v20, v31, v16
	v_sub_f32_e32 v31, v31, v20
	s_delay_alu instid0(VALU_DEP_1) | instskip(NEXT) | instid1(VALU_DEP_4)
	v_add_f32_e32 v16, v16, v31
	v_sub_f32_e32 v30, v20, v18
	s_delay_alu instid0(VALU_DEP_1) | instskip(NEXT) | instid1(VALU_DEP_1)
	v_sub_f32_e32 v20, v20, v30
	v_sub_f32_e32 v18, v20, v18
	s_delay_alu instid0(VALU_DEP_1) | instskip(NEXT) | instid1(VALU_DEP_1)
	v_add_f32_e32 v16, v16, v18
	v_add_f32_e32 v18, v30, v16
	s_delay_alu instid0(VALU_DEP_1) | instskip(NEXT) | instid1(VALU_DEP_1)
	v_sub_f32_e32 v20, v30, v18
	v_dual_mul_f32 v30, v18, v18 :: v_dual_add_f32 v16, v16, v20
	s_delay_alu instid0(VALU_DEP_1) | instskip(SKIP_1) | instid1(VALU_DEP_3)
	v_fma_f32 v31, v18, v18, -v30
	v_fmaak_f32 v20, s20, v18, 0x3c091de6
	v_add_f32_e32 v32, v16, v16
	s_delay_alu instid0(VALU_DEP_2) | instskip(NEXT) | instid1(VALU_DEP_2)
	v_fmaak_f32 v20, v18, v20, 0x3d2aadcc
	v_fmac_f32_e32 v31, v18, v32
	s_delay_alu instid0(VALU_DEP_2) | instskip(NEXT) | instid1(VALU_DEP_2)
	v_fmaak_f32 v20, v18, v20, 0x3e2aaa47
	v_add_f32_e32 v32, v30, v31
	s_delay_alu instid0(VALU_DEP_2) | instskip(NEXT) | instid1(VALU_DEP_1)
	v_fmaak_f32 v20, v18, v20, 0x3efffffc
	v_mul_f32_e32 v33, v20, v32
	v_sub_f32_e32 v30, v32, v30
	s_delay_alu instid0(VALU_DEP_1) | instskip(NEXT) | instid1(VALU_DEP_1)
	v_dual_sub_f32 v30, v31, v30 :: v_dual_fma_f32 v31, v32, v20, -v33
	v_fmac_f32_e32 v31, v30, v20
	s_delay_alu instid0(VALU_DEP_1) | instskip(NEXT) | instid1(VALU_DEP_1)
	v_add_f32_e32 v20, v33, v31
	v_add_f32_e32 v30, v18, v20
	s_delay_alu instid0(VALU_DEP_1) | instskip(NEXT) | instid1(VALU_DEP_1)
	v_dual_sub_f32 v18, v30, v18 :: v_dual_sub_f32 v32, v20, v33
	v_dual_sub_f32 v18, v20, v18 :: v_dual_sub_f32 v31, v31, v32
	s_delay_alu instid0(VALU_DEP_1) | instskip(NEXT) | instid1(VALU_DEP_1)
	v_add_f32_e32 v16, v16, v31
	v_add_f32_e32 v16, v16, v18
	s_delay_alu instid0(VALU_DEP_1) | instskip(NEXT) | instid1(VALU_DEP_1)
	v_add_f32_e32 v18, v30, v16
	v_add_f32_e32 v20, 1.0, v18
	s_delay_alu instid0(VALU_DEP_1) | instskip(NEXT) | instid1(VALU_DEP_1)
	v_dual_sub_f32 v30, v18, v30 :: v_dual_add_f32 v31, -1.0, v20
	v_dual_sub_f32 v18, v18, v31 :: v_dual_sub_f32 v16, v16, v30
	s_delay_alu instid0(VALU_DEP_1) | instskip(SKIP_1) | instid1(VALU_DEP_2)
	v_add_f32_e32 v16, v16, v18
	v_cvt_i32_f32_e32 v18, v29
	v_add_f32_e32 v29, v20, v16
	s_delay_alu instid0(VALU_DEP_1) | instskip(SKIP_1) | instid1(VALU_DEP_2)
	v_ldexp_f32 v30, v29, v18
	v_sub_f32_e32 v20, v29, v20
	v_rcp_f32_e32 v31, v30
	v_nop
	s_delay_alu instid0(TRANS32_DEP_1) | instskip(NEXT) | instid1(VALU_DEP_1)
	v_dual_sub_f32 v16, v16, v20 :: v_dual_mul_f32 v20, v30, v31
	v_ldexp_f32 v16, v16, v18
	s_delay_alu instid0(VALU_DEP_2) | instskip(NEXT) | instid1(VALU_DEP_1)
	v_fma_f32 v18, v31, v30, -v20
	v_fmac_f32_e32 v18, v31, v16
	s_delay_alu instid0(VALU_DEP_1) | instskip(NEXT) | instid1(VALU_DEP_1)
	v_add_f32_e32 v29, v20, v18
	v_sub_f32_e32 v20, v29, v20
	s_delay_alu instid0(VALU_DEP_1) | instskip(NEXT) | instid1(VALU_DEP_1)
	v_dual_sub_f32 v18, v20, v18 :: v_dual_sub_f32 v32, 1.0, v29
	v_sub_f32_e32 v33, 1.0, v32
	s_delay_alu instid0(VALU_DEP_1) | instskip(NEXT) | instid1(VALU_DEP_1)
	v_sub_f32_e32 v20, v33, v29
	v_add_f32_e32 v18, v18, v20
	s_delay_alu instid0(VALU_DEP_1) | instskip(NEXT) | instid1(VALU_DEP_1)
	v_add_f32_e32 v20, v32, v18
	v_mul_f32_e32 v29, v31, v20
	s_delay_alu instid0(VALU_DEP_1) | instskip(NEXT) | instid1(VALU_DEP_1)
	v_mul_f32_e32 v33, v30, v29
	v_fma_f32 v34, v29, v30, -v33
	s_delay_alu instid0(VALU_DEP_1) | instskip(NEXT) | instid1(VALU_DEP_1)
	v_fmac_f32_e32 v34, v29, v16
	v_dual_sub_f32 v32, v32, v20 :: v_dual_add_f32 v35, v33, v34
	s_delay_alu instid0(VALU_DEP_1) | instskip(NEXT) | instid1(VALU_DEP_1)
	v_sub_f32_e32 v36, v20, v35
	v_sub_f32_e32 v20, v20, v36
	s_delay_alu instid0(VALU_DEP_3) | instskip(NEXT) | instid1(VALU_DEP_2)
	v_dual_add_f32 v18, v18, v32 :: v_dual_sub_f32 v32, v35, v33
	v_sub_f32_e32 v20, v20, v35
	s_delay_alu instid0(VALU_DEP_1) | instskip(NEXT) | instid1(VALU_DEP_1)
	v_dual_sub_f32 v32, v32, v34 :: v_dual_add_f32 v18, v18, v20
	v_dual_add_f32 v20, v31, v29 :: v_dual_add_f32 v18, v32, v18
	s_delay_alu instid0(VALU_DEP_1) | instskip(NEXT) | instid1(VALU_DEP_1)
	v_sub_f32_e32 v32, v20, v31
	v_dual_sub_f32 v29, v29, v32 :: v_dual_add_f32 v18, v36, v18
	s_delay_alu instid0(VALU_DEP_1) | instskip(NEXT) | instid1(VALU_DEP_1)
	v_mul_f32_e32 v18, v31, v18
	v_add_f32_e32 v18, v29, v18
	s_delay_alu instid0(VALU_DEP_1) | instskip(NEXT) | instid1(VALU_DEP_1)
	v_add_f32_e32 v29, v20, v18
	v_ldexp_f32 v31, v29, -2
	s_delay_alu instid0(VALU_DEP_1) | instskip(NEXT) | instid1(VALU_DEP_1)
	v_dual_sub_f32 v20, v29, v20 :: v_dual_add_f32 v29, v30, v31
	v_dual_sub_f32 v18, v18, v20 :: v_dual_sub_f32 v20, v29, v30
	s_delay_alu instid0(VALU_DEP_1) | instskip(NEXT) | instid1(VALU_DEP_1)
	v_ldexp_f32 v18, v18, -2
	v_dual_sub_f32 v20, v31, v20 :: v_dual_add_f32 v16, v16, v18
	s_delay_alu instid0(VALU_DEP_1) | instskip(NEXT) | instid1(VALU_DEP_1)
	v_add_f32_e32 v16, v16, v20
	v_add_f32_e32 v16, v29, v16
	s_delay_alu instid0(VALU_DEP_1) | instskip(NEXT) | instid1(VALU_DEP_1)
	v_cndmask_b32_e64 v16, 0x7f800000, v16, s3
	v_cvt_f16_f32_e32 v16, v16
	global_store_b16 v[14:15], v16, off
	s_wait_xcnt 0x0
	s_or_b32 exec_lo, exec_lo, s4
	s_and_saveexec_b32 s3, s2
	s_cbranch_execz .LBB89_14
.LBB89_18:                              ;   in Loop: Header=BB89_4 Depth=1
	v_add_f32_e32 v16, 0xbf317218, v27
	v_cmp_nlt_f32_e64 s2, 0x42b2d4fc, v27
	s_delay_alu instid0(VALU_DEP_2) | instskip(NEXT) | instid1(VALU_DEP_1)
	v_sub_f32_e32 v18, v16, v27
	v_sub_f32_e32 v20, v18, v16
	s_delay_alu instid0(VALU_DEP_1) | instskip(SKIP_1) | instid1(VALU_DEP_1)
	v_add_f32_e32 v20, v27, v20
	v_add_f32_e32 v18, 0x3f317218, v18
	v_sub_f32_e32 v18, v20, v18
	s_delay_alu instid0(VALU_DEP_1) | instskip(NEXT) | instid1(VALU_DEP_1)
	v_add_f32_e32 v18, 0x3102e308, v18
	v_add_f32_e32 v20, v16, v18
	s_delay_alu instid0(VALU_DEP_1) | instskip(SKIP_1) | instid1(VALU_DEP_2)
	v_mul_f32_e32 v28, 0x3fb8aa3b, v20
	v_sub_f32_e32 v16, v16, v20
	v_rndne_f32_e32 v28, v28
	s_delay_alu instid0(VALU_DEP_2) | instskip(NEXT) | instid1(VALU_DEP_2)
	v_add_f32_e32 v16, v18, v16
	v_fmac_f32_e32 v20, 0xbf317200, v28
	v_mul_f32_e32 v18, 0x35bfbc00, v28
	s_delay_alu instid0(VALU_DEP_2) | instskip(NEXT) | instid1(VALU_DEP_1)
	v_add_f32_e32 v29, v16, v20
	v_dual_sub_f32 v30, v29, v18 :: v_dual_sub_f32 v20, v20, v29
	s_delay_alu instid0(VALU_DEP_1) | instskip(NEXT) | instid1(VALU_DEP_1)
	v_dual_sub_f32 v29, v29, v30 :: v_dual_add_f32 v16, v16, v20
	v_sub_f32_e32 v18, v29, v18
	s_delay_alu instid0(VALU_DEP_1) | instskip(SKIP_1) | instid1(VALU_DEP_2)
	v_add_f32_e32 v16, v16, v18
	v_mul_f32_e32 v18, 0x2ea39ef3, v28
	v_add_f32_e32 v20, v30, v16
	s_delay_alu instid0(VALU_DEP_1) | instskip(NEXT) | instid1(VALU_DEP_1)
	v_sub_f32_e32 v30, v30, v20
	v_add_f32_e32 v16, v16, v30
	s_delay_alu instid0(VALU_DEP_4) | instskip(NEXT) | instid1(VALU_DEP_1)
	v_sub_f32_e32 v29, v20, v18
	v_sub_f32_e32 v20, v20, v29
	s_delay_alu instid0(VALU_DEP_1) | instskip(NEXT) | instid1(VALU_DEP_1)
	v_sub_f32_e32 v18, v20, v18
	v_add_f32_e32 v16, v16, v18
	s_delay_alu instid0(VALU_DEP_1) | instskip(NEXT) | instid1(VALU_DEP_1)
	v_add_f32_e32 v18, v29, v16
	v_dual_sub_f32 v20, v29, v18 :: v_dual_mul_f32 v29, v18, v18
	s_delay_alu instid0(VALU_DEP_1) | instskip(NEXT) | instid1(VALU_DEP_1)
	v_dual_fma_f32 v30, v18, v18, -v29 :: v_dual_add_f32 v16, v16, v20
	v_add_f32_e32 v31, v16, v16
	s_delay_alu instid0(VALU_DEP_1) | instskip(NEXT) | instid1(VALU_DEP_1)
	v_fmac_f32_e32 v30, v18, v31
	v_add_f32_e32 v31, v29, v30
	s_delay_alu instid0(VALU_DEP_1) | instskip(NEXT) | instid1(VALU_DEP_1)
	v_dual_sub_f32 v29, v31, v29 :: v_dual_fmaak_f32 v20, s20, v18, 0x3c091de6
	v_sub_f32_e32 v29, v30, v29
	s_delay_alu instid0(VALU_DEP_2) | instskip(NEXT) | instid1(VALU_DEP_1)
	v_fmaak_f32 v20, v18, v20, 0x3d2aadcc
	v_fmaak_f32 v20, v18, v20, 0x3e2aaa47
	s_delay_alu instid0(VALU_DEP_1) | instskip(NEXT) | instid1(VALU_DEP_1)
	v_fmaak_f32 v20, v18, v20, 0x3efffffc
	v_mul_f32_e32 v32, v20, v31
	s_delay_alu instid0(VALU_DEP_1) | instskip(NEXT) | instid1(VALU_DEP_1)
	v_fma_f32 v30, v31, v20, -v32
	v_fmac_f32_e32 v30, v29, v20
	s_delay_alu instid0(VALU_DEP_1) | instskip(NEXT) | instid1(VALU_DEP_1)
	v_add_f32_e32 v20, v32, v30
	v_add_f32_e32 v29, v18, v20
	s_delay_alu instid0(VALU_DEP_1) | instskip(NEXT) | instid1(VALU_DEP_1)
	v_dual_sub_f32 v18, v29, v18 :: v_dual_sub_f32 v31, v20, v32
	v_dual_sub_f32 v30, v30, v31 :: v_dual_sub_f32 v18, v20, v18
	s_delay_alu instid0(VALU_DEP_1) | instskip(NEXT) | instid1(VALU_DEP_1)
	v_add_f32_e32 v16, v16, v30
	v_add_f32_e32 v16, v16, v18
	s_delay_alu instid0(VALU_DEP_1) | instskip(NEXT) | instid1(VALU_DEP_1)
	v_add_f32_e32 v18, v29, v16
	v_dual_add_f32 v20, 1.0, v18 :: v_dual_sub_f32 v29, v18, v29
	s_delay_alu instid0(VALU_DEP_1) | instskip(NEXT) | instid1(VALU_DEP_1)
	v_dual_add_f32 v30, -1.0, v20 :: v_dual_sub_f32 v16, v16, v29
	v_sub_f32_e32 v18, v18, v30
	s_delay_alu instid0(VALU_DEP_1) | instskip(SKIP_1) | instid1(VALU_DEP_2)
	v_add_f32_e32 v16, v16, v18
	v_cvt_i32_f32_e32 v18, v28
	v_add_f32_e32 v28, v20, v16
	s_delay_alu instid0(VALU_DEP_1) | instskip(SKIP_1) | instid1(VALU_DEP_2)
	v_ldexp_f32 v29, v28, v18
	v_sub_f32_e32 v20, v28, v20
	v_rcp_f32_e32 v30, v29
	v_nop
	s_delay_alu instid0(TRANS32_DEP_1) | instskip(NEXT) | instid1(VALU_DEP_1)
	v_dual_sub_f32 v16, v16, v20 :: v_dual_mul_f32 v20, v29, v30
	v_ldexp_f32 v16, v16, v18
	s_delay_alu instid0(VALU_DEP_2) | instskip(NEXT) | instid1(VALU_DEP_1)
	v_fma_f32 v18, v30, v29, -v20
	v_fmac_f32_e32 v18, v30, v16
	s_delay_alu instid0(VALU_DEP_1) | instskip(NEXT) | instid1(VALU_DEP_1)
	v_add_f32_e32 v28, v20, v18
	v_sub_f32_e32 v20, v28, v20
	s_delay_alu instid0(VALU_DEP_1) | instskip(NEXT) | instid1(VALU_DEP_1)
	v_dual_sub_f32 v18, v20, v18 :: v_dual_sub_f32 v31, 1.0, v28
	v_sub_f32_e32 v32, 1.0, v31
	s_delay_alu instid0(VALU_DEP_1) | instskip(NEXT) | instid1(VALU_DEP_1)
	v_sub_f32_e32 v20, v32, v28
	v_add_f32_e32 v18, v18, v20
	s_delay_alu instid0(VALU_DEP_1) | instskip(NEXT) | instid1(VALU_DEP_1)
	v_add_f32_e32 v20, v31, v18
	v_mul_f32_e32 v28, v30, v20
	s_delay_alu instid0(VALU_DEP_1) | instskip(NEXT) | instid1(VALU_DEP_1)
	v_mul_f32_e32 v32, v29, v28
	v_fma_f32 v33, v28, v29, -v32
	s_delay_alu instid0(VALU_DEP_1) | instskip(NEXT) | instid1(VALU_DEP_1)
	v_fmac_f32_e32 v33, v28, v16
	v_add_f32_e32 v34, v32, v33
	s_delay_alu instid0(VALU_DEP_1) | instskip(NEXT) | instid1(VALU_DEP_1)
	v_dual_sub_f32 v35, v20, v34 :: v_dual_sub_f32 v31, v31, v20
	v_sub_f32_e32 v20, v20, v35
	s_delay_alu instid0(VALU_DEP_2) | instskip(NEXT) | instid1(VALU_DEP_2)
	v_add_f32_e32 v18, v18, v31
	v_dual_sub_f32 v31, v34, v32 :: v_dual_sub_f32 v20, v20, v34
	s_delay_alu instid0(VALU_DEP_1) | instskip(NEXT) | instid1(VALU_DEP_1)
	v_dual_sub_f32 v31, v31, v33 :: v_dual_add_f32 v18, v18, v20
	v_dual_add_f32 v18, v31, v18 :: v_dual_add_f32 v20, v30, v28
	s_delay_alu instid0(VALU_DEP_1) | instskip(NEXT) | instid1(VALU_DEP_2)
	v_add_f32_e32 v18, v35, v18
	v_sub_f32_e32 v31, v20, v30
	s_delay_alu instid0(VALU_DEP_1) | instskip(NEXT) | instid1(VALU_DEP_1)
	v_dual_mul_f32 v18, v30, v18 :: v_dual_sub_f32 v28, v28, v31
	v_add_f32_e32 v18, v28, v18
	s_delay_alu instid0(VALU_DEP_1) | instskip(NEXT) | instid1(VALU_DEP_1)
	v_add_f32_e32 v28, v20, v18
	v_sub_f32_e32 v20, v28, v20
	s_delay_alu instid0(VALU_DEP_1) | instskip(SKIP_1) | instid1(VALU_DEP_2)
	v_sub_f32_e32 v18, v18, v20
	v_ldexp_f32 v30, v28, -2
	v_ldexp_f32 v18, v18, -2
	s_delay_alu instid0(VALU_DEP_2) | instskip(NEXT) | instid1(VALU_DEP_2)
	v_add_f32_e32 v28, v29, v30
	v_add_f32_e32 v16, v16, v18
	s_delay_alu instid0(VALU_DEP_2) | instskip(NEXT) | instid1(VALU_DEP_1)
	v_sub_f32_e32 v20, v28, v29
	v_sub_f32_e32 v20, v30, v20
	s_delay_alu instid0(VALU_DEP_1) | instskip(NEXT) | instid1(VALU_DEP_1)
	v_add_f32_e32 v16, v16, v20
	v_add_f32_e32 v16, v28, v16
	s_delay_alu instid0(VALU_DEP_1) | instskip(NEXT) | instid1(VALU_DEP_1)
	v_cndmask_b32_e64 v16, 0x7f800000, v16, s2
	v_cvt_f16_f32_e32 v16, v16
	global_store_b16 v[24:25], v16, off
	s_wait_xcnt 0x0
	s_or_b32 exec_lo, exec_lo, s3
	s_and_saveexec_b32 s2, vcc_lo
	s_cbranch_execz .LBB89_3
.LBB89_19:                              ;   in Loop: Header=BB89_4 Depth=1
	v_add_f32_e32 v16, 0xbf317218, v26
	v_cmp_nlt_f32_e32 vcc_lo, 0x42b2d4fc, v26
	s_delay_alu instid0(VALU_DEP_2) | instskip(NEXT) | instid1(VALU_DEP_1)
	v_sub_f32_e32 v18, v16, v26
	v_sub_f32_e32 v20, v18, v16
	s_delay_alu instid0(VALU_DEP_1) | instskip(SKIP_1) | instid1(VALU_DEP_1)
	v_add_f32_e32 v20, v26, v20
	v_add_f32_e32 v18, 0x3f317218, v18
	v_sub_f32_e32 v18, v20, v18
	s_delay_alu instid0(VALU_DEP_1) | instskip(NEXT) | instid1(VALU_DEP_1)
	v_add_f32_e32 v18, 0x3102e308, v18
	v_add_f32_e32 v20, v16, v18
	s_delay_alu instid0(VALU_DEP_1) | instskip(SKIP_1) | instid1(VALU_DEP_2)
	v_mul_f32_e32 v24, 0x3fb8aa3b, v20
	v_sub_f32_e32 v16, v16, v20
	v_rndne_f32_e32 v24, v24
	s_delay_alu instid0(VALU_DEP_2) | instskip(NEXT) | instid1(VALU_DEP_2)
	v_add_f32_e32 v16, v18, v16
	v_fmac_f32_e32 v20, 0xbf317200, v24
	v_mul_f32_e32 v18, 0x35bfbc00, v24
	s_delay_alu instid0(VALU_DEP_2) | instskip(NEXT) | instid1(VALU_DEP_1)
	v_add_f32_e32 v25, v16, v20
	v_dual_sub_f32 v27, v25, v18 :: v_dual_sub_f32 v20, v20, v25
	s_delay_alu instid0(VALU_DEP_1) | instskip(NEXT) | instid1(VALU_DEP_1)
	v_dual_sub_f32 v25, v25, v27 :: v_dual_add_f32 v16, v16, v20
	v_sub_f32_e32 v18, v25, v18
	s_delay_alu instid0(VALU_DEP_1) | instskip(SKIP_1) | instid1(VALU_DEP_2)
	v_add_f32_e32 v16, v16, v18
	v_mul_f32_e32 v18, 0x2ea39ef3, v24
	v_add_f32_e32 v20, v27, v16
	s_delay_alu instid0(VALU_DEP_1) | instskip(NEXT) | instid1(VALU_DEP_1)
	v_sub_f32_e32 v27, v27, v20
	v_add_f32_e32 v16, v16, v27
	s_delay_alu instid0(VALU_DEP_4) | instskip(NEXT) | instid1(VALU_DEP_1)
	v_sub_f32_e32 v25, v20, v18
	v_sub_f32_e32 v20, v20, v25
	s_delay_alu instid0(VALU_DEP_1) | instskip(NEXT) | instid1(VALU_DEP_1)
	v_sub_f32_e32 v18, v20, v18
	v_add_f32_e32 v16, v16, v18
	s_delay_alu instid0(VALU_DEP_1) | instskip(NEXT) | instid1(VALU_DEP_1)
	v_add_f32_e32 v18, v25, v16
	v_dual_sub_f32 v20, v25, v18 :: v_dual_mul_f32 v25, v18, v18
	s_delay_alu instid0(VALU_DEP_1) | instskip(SKIP_1) | instid1(VALU_DEP_2)
	v_add_f32_e32 v16, v16, v20
	v_fmaak_f32 v20, s20, v18, 0x3c091de6
	v_dual_fma_f32 v27, v18, v18, -v25 :: v_dual_add_f32 v28, v16, v16
	s_delay_alu instid0(VALU_DEP_2) | instskip(NEXT) | instid1(VALU_DEP_2)
	v_fmaak_f32 v20, v18, v20, 0x3d2aadcc
	v_fmac_f32_e32 v27, v18, v28
	s_delay_alu instid0(VALU_DEP_2) | instskip(NEXT) | instid1(VALU_DEP_2)
	v_fmaak_f32 v20, v18, v20, 0x3e2aaa47
	v_add_f32_e32 v28, v25, v27
	s_delay_alu instid0(VALU_DEP_1) | instskip(NEXT) | instid1(VALU_DEP_1)
	v_dual_fmaak_f32 v20, v18, v20, 0x3efffffc :: v_dual_sub_f32 v25, v28, v25
	v_dual_mul_f32 v29, v20, v28 :: v_dual_sub_f32 v25, v27, v25
	s_delay_alu instid0(VALU_DEP_1) | instskip(NEXT) | instid1(VALU_DEP_1)
	v_fma_f32 v27, v28, v20, -v29
	v_fmac_f32_e32 v27, v25, v20
	s_delay_alu instid0(VALU_DEP_1) | instskip(NEXT) | instid1(VALU_DEP_1)
	v_add_f32_e32 v20, v29, v27
	v_add_f32_e32 v25, v18, v20
	s_delay_alu instid0(VALU_DEP_1) | instskip(NEXT) | instid1(VALU_DEP_1)
	v_dual_sub_f32 v18, v25, v18 :: v_dual_sub_f32 v28, v20, v29
	v_dual_sub_f32 v18, v20, v18 :: v_dual_sub_f32 v27, v27, v28
	s_delay_alu instid0(VALU_DEP_1) | instskip(NEXT) | instid1(VALU_DEP_1)
	v_add_f32_e32 v16, v16, v27
	v_add_f32_e32 v16, v16, v18
	s_delay_alu instid0(VALU_DEP_1) | instskip(NEXT) | instid1(VALU_DEP_1)
	v_add_f32_e32 v18, v25, v16
	v_dual_add_f32 v20, 1.0, v18 :: v_dual_sub_f32 v25, v18, v25
	s_delay_alu instid0(VALU_DEP_1) | instskip(NEXT) | instid1(VALU_DEP_1)
	v_dual_add_f32 v27, -1.0, v20 :: v_dual_sub_f32 v16, v16, v25
	v_sub_f32_e32 v18, v18, v27
	s_delay_alu instid0(VALU_DEP_1) | instskip(SKIP_1) | instid1(VALU_DEP_2)
	v_add_f32_e32 v16, v16, v18
	v_cvt_i32_f32_e32 v18, v24
	v_add_f32_e32 v24, v20, v16
	s_delay_alu instid0(VALU_DEP_1) | instskip(SKIP_1) | instid1(VALU_DEP_2)
	v_ldexp_f32 v25, v24, v18
	v_sub_f32_e32 v20, v24, v20
	v_rcp_f32_e32 v27, v25
	s_delay_alu instid0(VALU_DEP_1) | instskip(NEXT) | instid1(VALU_DEP_1)
	v_sub_f32_e32 v16, v16, v20
	v_ldexp_f32 v16, v16, v18
	s_delay_alu instid0(TRANS32_DEP_1) | instskip(NEXT) | instid1(VALU_DEP_1)
	v_mul_f32_e32 v20, v25, v27
	v_fma_f32 v18, v27, v25, -v20
	s_delay_alu instid0(VALU_DEP_1) | instskip(NEXT) | instid1(VALU_DEP_1)
	v_fmac_f32_e32 v18, v27, v16
	v_add_f32_e32 v24, v20, v18
	s_delay_alu instid0(VALU_DEP_1) | instskip(NEXT) | instid1(VALU_DEP_1)
	v_sub_f32_e32 v28, 1.0, v24
	v_sub_f32_e32 v29, 1.0, v28
	v_sub_f32_e32 v20, v24, v20
	s_delay_alu instid0(VALU_DEP_1) | instskip(NEXT) | instid1(VALU_DEP_1)
	v_dual_sub_f32 v18, v20, v18 :: v_dual_sub_f32 v20, v29, v24
	v_add_f32_e32 v18, v18, v20
	s_delay_alu instid0(VALU_DEP_1) | instskip(NEXT) | instid1(VALU_DEP_1)
	v_add_f32_e32 v20, v28, v18
	v_mul_f32_e32 v24, v27, v20
	s_delay_alu instid0(VALU_DEP_1) | instskip(SKIP_1) | instid1(VALU_DEP_2)
	v_mul_f32_e32 v29, v25, v24
	v_sub_f32_e32 v28, v28, v20
	v_fma_f32 v30, v24, v25, -v29
	s_delay_alu instid0(VALU_DEP_1) | instskip(NEXT) | instid1(VALU_DEP_1)
	v_fmac_f32_e32 v30, v24, v16
	v_add_f32_e32 v31, v29, v30
	s_delay_alu instid0(VALU_DEP_1) | instskip(NEXT) | instid1(VALU_DEP_1)
	v_sub_f32_e32 v32, v20, v31
	v_sub_f32_e32 v20, v20, v32
	v_dual_add_f32 v18, v18, v28 :: v_dual_sub_f32 v28, v31, v29
	s_delay_alu instid0(VALU_DEP_2) | instskip(NEXT) | instid1(VALU_DEP_1)
	v_sub_f32_e32 v20, v20, v31
	v_dual_sub_f32 v28, v28, v30 :: v_dual_add_f32 v18, v18, v20
	s_delay_alu instid0(VALU_DEP_1) | instskip(NEXT) | instid1(VALU_DEP_1)
	v_dual_add_f32 v20, v27, v24 :: v_dual_add_f32 v18, v28, v18
	v_sub_f32_e32 v28, v20, v27
	s_delay_alu instid0(VALU_DEP_2) | instskip(NEXT) | instid1(VALU_DEP_1)
	v_add_f32_e32 v18, v32, v18
	v_dual_sub_f32 v24, v24, v28 :: v_dual_mul_f32 v18, v27, v18
	s_delay_alu instid0(VALU_DEP_1) | instskip(NEXT) | instid1(VALU_DEP_1)
	v_add_f32_e32 v18, v24, v18
	v_add_f32_e32 v24, v20, v18
	s_delay_alu instid0(VALU_DEP_1) | instskip(NEXT) | instid1(VALU_DEP_1)
	v_ldexp_f32 v27, v24, -2
	v_dual_sub_f32 v20, v24, v20 :: v_dual_add_f32 v24, v25, v27
	s_delay_alu instid0(VALU_DEP_1) | instskip(NEXT) | instid1(VALU_DEP_1)
	v_dual_sub_f32 v18, v18, v20 :: v_dual_sub_f32 v20, v24, v25
	v_ldexp_f32 v18, v18, -2
	s_delay_alu instid0(VALU_DEP_1) | instskip(NEXT) | instid1(VALU_DEP_1)
	v_dual_sub_f32 v20, v27, v20 :: v_dual_add_f32 v16, v16, v18
	v_add_f32_e32 v16, v16, v20
	s_delay_alu instid0(VALU_DEP_1) | instskip(NEXT) | instid1(VALU_DEP_1)
	v_add_f32_e32 v16, v24, v16
	v_cndmask_b32_e32 v16, 0x7f800000, v16, vcc_lo
	s_delay_alu instid0(VALU_DEP_1)
	v_cvt_f16_f32_e32 v16, v16
	global_store_b16 v[22:23], v16, off
	s_branch .LBB89_3
.LBB89_20:
	s_cbranch_execz .LBB89_22
	s_branch .LBB89_25
.LBB89_21:
.LBB89_22:
	v_min_i64 v[2:3], 0x10000, s[10:11]
	v_dual_mov_b32 v11, 0 :: v_dual_lshlrev_b32 v10, 2, v0
	s_mov_b32 s2, exec_lo
	s_delay_alu instid0(VALU_DEP_1)
	v_cmpx_lt_i64_e64 v[10:11], v[2:3]
	s_cbranch_execz .LBB89_25
; %bb.23:
	s_load_b32 s0, s[0:1], 0xd3c
	v_dual_mov_b32 v1, v11 :: v_dual_lshlrev_b32 v10, 3, v0
	s_add_nc_u64 s[2:3], s[6:7], s[8:9]
	s_mov_b32 s4, 0x3ab42872
	s_mov_b32 s5, -1.0
	v_mov_b32_e32 v5, 0x3f317218
	v_add_nc_u64_e32 v[10:11], s[2:3], v[10:11]
	v_mov_b64_e32 v[12:13], s[4:5]
	v_dual_mov_b32 v7, -1.0 :: v_dual_mov_b32 v9, 1.0
	s_wait_xcnt 0x0
	s_mov_b32 s1, 0
	s_delay_alu instid0(SALU_CYCLE_1) | instskip(SKIP_3) | instid1(SALU_CYCLE_1)
	s_mov_b32 s3, s1
	s_mov_b32 s5, s1
	s_wait_kmcnt 0x0
	s_and_b32 s0, s0, 0xffff
	s_lshl_b32 s2, s0, 3
.LBB89_24:                              ; =>This Inner Loop Header: Depth=1
	global_load_b64 v[14:15], v[10:11], off
	v_add_nc_u64_e32 v[0:1], s[0:1], v[0:1]
	v_mov_b32_e32 v17, v5
	s_wait_loadcnt 0x0
	v_cvt_f32_f16_e64 v4, |v14|
	v_lshrrev_b32_e32 v8, 16, v14
	v_cvt_f32_f16_e64 v14, |v15|
	s_delay_alu instid0(VALU_DEP_3) | instskip(NEXT) | instid1(VALU_DEP_3)
	v_dual_add_f32 v6, 0xbf317218, v4 :: v_dual_lshrrev_b32 v15, 16, v15
	v_cvt_f32_f16_e64 v16, |v8|
	s_delay_alu instid0(VALU_DEP_2) | instskip(NEXT) | instid1(VALU_DEP_1)
	v_dual_add_f32 v8, 0xbf317218, v14 :: v_dual_sub_f32 v19, v6, v4
	v_dual_add_f32 v26, 0xbf317218, v16 :: v_dual_sub_f32 v23, v8, v14
	v_cmp_nlt_f32_e32 vcc_lo, 0x42b2d4fc, v16
	s_delay_alu instid0(VALU_DEP_3) | instskip(NEXT) | instid1(VALU_DEP_3)
	v_sub_f32_e32 v18, v19, v6
	v_sub_f32_e32 v22, v23, v8
	s_delay_alu instid0(VALU_DEP_2) | instskip(SKIP_1) | instid1(VALU_DEP_2)
	v_pk_add_f32 v[20:21], v[18:19], v[4:5]
	v_cvt_f32_f16_e64 v18, |v15|
	v_dual_mov_b32 v15, v5 :: v_dual_sub_f32 v19, v20, v21
	s_delay_alu instid0(VALU_DEP_2) | instskip(SKIP_1) | instid1(VALU_DEP_3)
	v_add_f32_e32 v27, 0xbf317218, v18
	v_sub_f32_e32 v21, v26, v16
	v_pk_add_f32 v[22:23], v[22:23], v[14:15]
	s_delay_alu instid0(VALU_DEP_3) | instskip(NEXT) | instid1(VALU_DEP_3)
	v_dual_add_f32 v28, 0x3102e308, v19 :: v_dual_sub_f32 v25, v27, v18
	v_sub_f32_e32 v20, v21, v26
	s_delay_alu instid0(VALU_DEP_2) | instskip(NEXT) | instid1(VALU_DEP_2)
	v_dual_mov_b32 v19, v5 :: v_dual_add_f32 v15, v6, v28
	v_pk_add_f32 v[20:21], v[20:21], v[16:17]
	s_delay_alu instid0(VALU_DEP_4) | instskip(SKIP_1) | instid1(VALU_DEP_4)
	v_sub_f32_e32 v24, v25, v27
	v_sub_f32_e32 v17, v22, v23
	v_dual_mul_f32 v29, 0x3fb8aa3b, v15 :: v_dual_sub_f32 v6, v6, v15
	s_delay_alu instid0(VALU_DEP_3) | instskip(SKIP_1) | instid1(VALU_DEP_4)
	v_pk_add_f32 v[22:23], v[24:25], v[18:19]
	v_sub_f32_e32 v19, v20, v21
	v_add_f32_e32 v17, 0x3102e308, v17
	s_delay_alu instid0(VALU_DEP_4) | instskip(NEXT) | instid1(VALU_DEP_4)
	v_rndne_f32_e32 v21, v29
	v_dual_add_f32 v6, v28, v6 :: v_dual_sub_f32 v20, v22, v23
	s_delay_alu instid0(VALU_DEP_3) | instskip(NEXT) | instid1(VALU_DEP_3)
	v_dual_add_f32 v19, 0x3102e308, v19 :: v_dual_add_f32 v24, v8, v17
	v_fmac_f32_e32 v15, 0xbf317200, v21
	v_mul_f32_e32 v25, 0x35bfbc00, v21
	s_delay_alu instid0(VALU_DEP_3) | instskip(NEXT) | instid1(VALU_DEP_3)
	v_dual_add_f32 v22, 0x3102e308, v20 :: v_dual_add_f32 v29, v26, v19
	v_dual_sub_f32 v8, v8, v24 :: v_dual_add_f32 v23, v6, v15
	v_mul_f32_e32 v28, 0x3fb8aa3b, v24
	s_delay_alu instid0(VALU_DEP_3) | instskip(NEXT) | instid1(VALU_DEP_3)
	v_dual_add_f32 v32, v27, v22 :: v_dual_sub_f32 v26, v26, v29
	v_dual_add_f32 v8, v17, v8 :: v_dual_sub_f32 v20, v23, v25
	s_delay_alu instid0(VALU_DEP_3) | instskip(SKIP_1) | instid1(VALU_DEP_4)
	v_rndne_f32_e32 v17, v28
	v_dual_sub_f32 v15, v15, v23 :: v_dual_mul_f32 v30, 0x3fb8aa3b, v29
	v_sub_f32_e32 v27, v27, v32
	s_delay_alu instid0(VALU_DEP_4) | instskip(NEXT) | instid1(VALU_DEP_4)
	v_dual_sub_f32 v28, v23, v20 :: v_dual_mul_f32 v23, 0x2ea39ef3, v21
	v_fmac_f32_e32 v24, 0xbf317200, v17
	s_delay_alu instid0(VALU_DEP_4) | instskip(NEXT) | instid1(VALU_DEP_3)
	v_dual_mul_f32 v31, 0x3fb8aa3b, v32 :: v_dual_add_f32 v6, v6, v15
	v_dual_sub_f32 v15, v28, v25 :: v_dual_add_f32 v19, v19, v26
	v_rndne_f32_e32 v35, v30
	v_cvt_i32_f32_e32 v34, v21
	s_delay_alu instid0(VALU_DEP_3) | instskip(SKIP_3) | instid1(VALU_DEP_4)
	v_dual_mul_f32 v25, 0x2ea39ef3, v17 :: v_dual_add_f32 v6, v6, v15
	v_dual_mul_f32 v26, 0x35bfbc00, v17 :: v_dual_add_f32 v15, v22, v27
	v_rndne_f32_e32 v40, v31
	v_mul_f32_e32 v33, 0x35bfbc00, v35
	v_add_f32_e32 v21, v20, v6
	v_fmac_f32_e32 v29, 0xbf317200, v35
	v_cvt_i32_f32_e32 v41, v35
	v_mul_f32_e32 v38, 0x35bfbc00, v40
	v_cvt_i32_f32_e32 v17, v17
	s_delay_alu instid0(VALU_DEP_4) | instskip(SKIP_1) | instid1(VALU_DEP_2)
	v_dual_mov_b32 v22, v21 :: v_dual_add_f32 v36, v19, v29
	v_mul_f32_e32 v27, 0x2ea39ef3, v35
	v_pk_add_f32 v[30:31], v[20:21], v[22:23] neg_lo:[0,1] neg_hi:[0,1]
	v_add_f32_e32 v37, v8, v24
	s_delay_alu instid0(VALU_DEP_4) | instskip(NEXT) | instid1(VALU_DEP_2)
	v_dual_sub_f32 v28, v36, v33 :: v_dual_sub_f32 v22, v29, v36
	v_dual_sub_f32 v21, v21, v31 :: v_dual_sub_f32 v24, v24, v37
	s_delay_alu instid0(VALU_DEP_2) | instskip(NEXT) | instid1(VALU_DEP_2)
	v_dual_sub_f32 v20, v37, v26 :: v_dual_sub_f32 v29, v36, v28
	v_dual_add_f32 v6, v6, v30 :: v_dual_sub_f32 v21, v21, v23
	s_delay_alu instid0(VALU_DEP_2) | instskip(SKIP_1) | instid1(VALU_DEP_1)
	v_dual_add_f32 v8, v8, v24 :: v_dual_sub_f32 v24, v29, v33
	v_dual_fmac_f32 v32, 0xbf317200, v40 :: v_dual_add_f32 v19, v19, v22
	v_dual_add_f32 v6, v6, v21 :: v_dual_add_f32 v36, v15, v32
	v_sub_f32_e32 v23, v37, v20
	s_delay_alu instid0(VALU_DEP_2) | instskip(NEXT) | instid1(VALU_DEP_2)
	v_dual_add_f32 v19, v19, v24 :: v_dual_sub_f32 v22, v36, v38
	v_dual_sub_f32 v24, v32, v36 :: v_dual_sub_f32 v21, v23, v26
	s_delay_alu instid0(VALU_DEP_2) | instskip(NEXT) | instid1(VALU_DEP_2)
	v_add_f32_e32 v29, v28, v19
	v_dual_sub_f32 v23, v36, v22 :: v_dual_add_f32 v15, v15, v24
	s_delay_alu instid0(VALU_DEP_3) | instskip(NEXT) | instid1(VALU_DEP_2)
	v_dual_add_f32 v36, v31, v6 :: v_dual_add_f32 v8, v8, v21
	v_dual_mov_b32 v26, v29 :: v_dual_sub_f32 v23, v23, v38
	s_delay_alu instid0(VALU_DEP_2) | instskip(NEXT) | instid1(VALU_DEP_3)
	v_sub_f32_e32 v24, v31, v36
	v_add_f32_e32 v21, v20, v8
	s_delay_alu instid0(VALU_DEP_3) | instskip(NEXT) | instid1(VALU_DEP_4)
	v_pk_add_f32 v[30:31], v[28:29], v[26:27] neg_lo:[0,1] neg_hi:[0,1]
	v_dual_mul_f32 v28, v36, v36 :: v_dual_add_f32 v15, v15, v23
	s_delay_alu instid0(VALU_DEP_4) | instskip(SKIP_1) | instid1(VALU_DEP_3)
	v_add_f32_e32 v37, v6, v24
	v_fmaak_f32 v6, s4, v36, 0x3c091de6
	v_dual_sub_f32 v26, v29, v31 :: v_dual_fma_f32 v29, v36, v36, -v28
	v_dual_mul_f32 v33, 0x2ea39ef3, v40 :: v_dual_mov_b32 v24, v21
	s_delay_alu instid0(VALU_DEP_4) | instskip(NEXT) | instid1(VALU_DEP_4)
	v_dual_add_f32 v32, v37, v37 :: v_dual_add_f32 v23, v22, v15
	v_fmaak_f32 v6, v36, v6, 0x3d2aadcc
	s_delay_alu instid0(VALU_DEP_4) | instskip(NEXT) | instid1(VALU_DEP_3)
	v_dual_add_f32 v19, v19, v30 :: v_dual_sub_f32 v30, v26, v27
	v_fmac_f32_e32 v29, v36, v32
	v_pk_add_f32 v[26:27], v[20:21], v[24:25] neg_lo:[0,1] neg_hi:[0,1]
	v_mov_b32_e32 v32, v23
	s_delay_alu instid0(VALU_DEP_3) | instskip(NEXT) | instid1(VALU_DEP_3)
	v_dual_add_f32 v19, v19, v30 :: v_dual_add_f32 v24, v28, v29
	v_dual_sub_f32 v30, v21, v27 :: v_dual_add_f32 v8, v8, v26
	s_delay_alu instid0(VALU_DEP_3) | instskip(SKIP_1) | instid1(VALU_DEP_4)
	v_pk_add_f32 v[20:21], v[22:23], v[32:33] neg_lo:[0,1] neg_hi:[0,1]
	v_fmaak_f32 v6, v36, v6, 0x3e2aaa47
	v_dual_add_f32 v26, v31, v19 :: v_dual_sub_f32 v28, v24, v28
	s_delay_alu instid0(VALU_DEP_4) | instskip(NEXT) | instid1(VALU_DEP_4)
	v_sub_f32_e32 v22, v30, v25
	v_sub_f32_e32 v23, v23, v21
	v_add_f32_e32 v15, v15, v20
	s_delay_alu instid0(VALU_DEP_4) | instskip(SKIP_1) | instid1(VALU_DEP_4)
	v_dual_sub_f32 v25, v31, v26 :: v_dual_sub_f32 v28, v29, v28
	v_fmaak_f32 v6, v36, v6, 0x3efffffc
	v_dual_add_f32 v8, v8, v22 :: v_dual_sub_f32 v22, v23, v33
	s_delay_alu instid0(VALU_DEP_3) | instskip(NEXT) | instid1(VALU_DEP_3)
	v_add_f32_e32 v19, v19, v25
	v_dual_fmaak_f32 v25, s4, v26, 0x3c091de6 :: v_dual_mul_f32 v38, v6, v24
	s_delay_alu instid0(VALU_DEP_3) | instskip(NEXT) | instid1(VALU_DEP_4)
	v_dual_mul_f32 v29, v26, v26 :: v_dual_add_f32 v30, v27, v8
	v_add_f32_e32 v15, v15, v22
	s_delay_alu instid0(VALU_DEP_3) | instskip(NEXT) | instid1(VALU_DEP_4)
	v_fmaak_f32 v25, v26, v25, 0x3d2aadcc
	v_fma_f32 v24, v24, v6, -v38
	s_delay_alu instid0(VALU_DEP_4) | instskip(NEXT) | instid1(VALU_DEP_2)
	v_sub_f32_e32 v27, v27, v30
	v_dual_fmaak_f32 v23, v26, v25, 0x3e2aaa47 :: v_dual_fmac_f32 v24, v28, v6
	v_dual_add_f32 v6, v19, v19 :: v_dual_fma_f32 v20, v26, v26, -v29
	s_delay_alu instid0(VALU_DEP_2) | instskip(NEXT) | instid1(VALU_DEP_3)
	v_fmaak_f32 v23, v26, v23, 0x3efffffc
	v_add_f32_e32 v28, v38, v24
	s_delay_alu instid0(VALU_DEP_1) | instskip(NEXT) | instid1(VALU_DEP_1)
	v_dual_fmac_f32 v20, v26, v6 :: v_dual_add_f32 v6, v36, v28
	v_dual_sub_f32 v25, v28, v38 :: v_dual_add_f32 v31, v29, v20
	s_delay_alu instid0(VALU_DEP_1) | instskip(NEXT) | instid1(VALU_DEP_2)
	v_dual_sub_f32 v32, v6, v36 :: v_dual_sub_f32 v24, v24, v25
	v_sub_f32_e32 v22, v31, v29
	s_delay_alu instid0(VALU_DEP_2) | instskip(NEXT) | instid1(VALU_DEP_3)
	v_dual_mul_f32 v25, v23, v31 :: v_dual_sub_f32 v28, v28, v32
	v_dual_add_f32 v24, v37, v24 :: v_dual_fmaak_f32 v29, s4, v30, 0x3c091de6
	s_delay_alu instid0(VALU_DEP_2) | instskip(NEXT) | instid1(VALU_DEP_2)
	v_dual_sub_f32 v22, v20, v22 :: v_dual_fma_f32 v31, v31, v23, -v25
	v_dual_add_f32 v20, v24, v28 :: v_dual_mul_f32 v28, v30, v30
	v_add_f32_e32 v8, v8, v27
	s_delay_alu instid0(VALU_DEP_3) | instskip(NEXT) | instid1(VALU_DEP_3)
	v_fmac_f32_e32 v31, v22, v23
	v_dual_add_f32 v33, v21, v15 :: v_dual_add_f32 v22, v6, v20
	s_delay_alu instid0(VALU_DEP_3) | instskip(NEXT) | instid1(VALU_DEP_3)
	v_dual_fma_f32 v27, v30, v30, -v28 :: v_dual_add_f32 v24, v8, v8
	v_dual_fmaak_f32 v29, v30, v29, 0x3d2aadcc :: v_dual_add_f32 v32, v25, v31
	s_delay_alu instid0(VALU_DEP_3) | instskip(NEXT) | instid1(VALU_DEP_2)
	v_dual_add_f32 v23, 1.0, v22 :: v_dual_sub_f32 v21, v21, v33
	v_dual_fmac_f32 v27, v30, v24 :: v_dual_sub_f32 v36, v32, v25
	s_delay_alu instid0(VALU_DEP_2) | instskip(NEXT) | instid1(VALU_DEP_2)
	v_pk_add_f32 v[24:25], v[22:23], v[6:7] neg_lo:[0,1] neg_hi:[0,1]
	v_dual_add_f32 v6, v26, v32 :: v_dual_add_f32 v25, v28, v27
	s_delay_alu instid0(VALU_DEP_3) | instskip(SKIP_1) | instid1(VALU_DEP_3)
	v_dual_mul_f32 v37, v33, v33 :: v_dual_sub_f32 v31, v31, v36
	v_fmaak_f32 v29, v30, v29, 0x3e2aaa47
	v_dual_sub_f32 v26, v6, v26 :: v_dual_sub_f32 v28, v25, v28
	v_add_f32_e32 v15, v15, v21
	s_delay_alu instid0(VALU_DEP_2) | instskip(NEXT) | instid1(VALU_DEP_3)
	v_dual_add_f32 v19, v19, v31 :: v_dual_sub_f32 v21, v32, v26
	v_dual_sub_f32 v27, v27, v28 :: v_dual_fma_f32 v32, v33, v33, -v37
	s_delay_alu instid0(VALU_DEP_2) | instskip(NEXT) | instid1(VALU_DEP_4)
	v_add_f32_e32 v26, v19, v21
	v_dual_add_f32 v19, v15, v15 :: v_dual_mov_b32 v21, v22
	s_delay_alu instid0(VALU_DEP_1) | instskip(NEXT) | instid1(VALU_DEP_1)
	v_dual_fmaak_f32 v29, v30, v29, 0x3efffffc :: v_dual_fmac_f32 v32, v33, v19
	v_mul_f32_e32 v36, v29, v25
	s_delay_alu instid0(VALU_DEP_1) | instskip(NEXT) | instid1(VALU_DEP_1)
	v_fma_f32 v31, v25, v29, -v36
	v_fmac_f32_e32 v31, v27, v29
	v_pk_add_f32 v[28:29], v[22:23], v[12:13]
	s_delay_alu instid0(VALU_DEP_2) | instskip(SKIP_1) | instid1(VALU_DEP_1)
	v_add_f32_e32 v19, v36, v31
	v_dual_fmaak_f32 v25, s4, v33, 0x3c091de6 :: v_dual_add_f32 v28, v6, v26
	v_dual_sub_f32 v36, v19, v36 :: v_dual_fmaak_f32 v27, v33, v25, 0x3d2aadcc
	s_delay_alu instid0(VALU_DEP_2) | instskip(NEXT) | instid1(VALU_DEP_2)
	v_dual_mov_b32 v25, v29 :: v_dual_add_f32 v29, 1.0, v28
	v_fmaak_f32 v22, v33, v27, 0x3e2aaa47
	v_add_f32_e32 v27, v37, v32
	s_delay_alu instid0(VALU_DEP_3) | instskip(NEXT) | instid1(VALU_DEP_4)
	v_pk_add_f32 v[20:21], v[20:21], v[24:25] neg_lo:[0,1] neg_hi:[0,1]
	v_pk_add_f32 v[24:25], v[28:29], v[6:7] neg_lo:[0,1] neg_hi:[0,1]
	s_delay_alu instid0(VALU_DEP_4) | instskip(NEXT) | instid1(VALU_DEP_4)
	v_dual_add_f32 v6, v30, v19 :: v_dual_fmaak_f32 v25, v33, v22, 0x3efffffc
	v_sub_f32_e32 v22, v27, v37
	s_delay_alu instid0(VALU_DEP_4) | instskip(NEXT) | instid1(VALU_DEP_3)
	v_dual_add_f32 v21, v20, v21 :: v_dual_sub_f32 v20, v31, v36
	v_dual_sub_f32 v30, v6, v30 :: v_dual_mul_f32 v36, v25, v27
	s_delay_alu instid0(VALU_DEP_2) | instskip(NEXT) | instid1(VALU_DEP_2)
	v_dual_sub_f32 v31, v32, v22 :: v_dual_add_f32 v32, v23, v21
	v_dual_add_f32 v8, v8, v20 :: v_dual_sub_f32 v19, v19, v30
	s_delay_alu instid0(VALU_DEP_3) | instskip(NEXT) | instid1(VALU_DEP_3)
	v_fma_f32 v37, v27, v25, -v36
	v_ldexp_f32 v20, v32, v34
	s_delay_alu instid0(VALU_DEP_2) | instskip(SKIP_2) | instid1(VALU_DEP_4)
	v_dual_add_f32 v22, v8, v19 :: v_dual_fmac_f32 v37, v31, v25
	v_sub_f32_e32 v8, v32, v23
	v_pk_add_f32 v[30:31], v[28:29], v[12:13]
	v_rcp_f32_e32 v19, v20
	s_delay_alu instid0(VALU_DEP_3) | instskip(NEXT) | instid1(VALU_DEP_3)
	v_dual_add_f32 v30, v6, v22 :: v_dual_add_f32 v23, v36, v37
	v_dual_mov_b32 v27, v28 :: v_dual_sub_f32 v8, v21, v8
	s_delay_alu instid0(VALU_DEP_2)
	v_dual_mov_b32 v25, v31 :: v_dual_add_f32 v31, 1.0, v30
	s_delay_alu instid0(TRANS32_DEP_1) | instid1(VALU_DEP_3)
	v_dual_sub_f32 v21, v23, v36 :: v_dual_mul_f32 v32, v20, v19
	s_delay_alu instid0(VALU_DEP_3) | instskip(NEXT) | instid1(VALU_DEP_3)
	v_ldexp_f32 v28, v8, v34
	v_pk_add_f32 v[24:25], v[26:27], v[24:25] neg_lo:[0,1] neg_hi:[0,1]
	s_delay_alu instid0(VALU_DEP_4) | instskip(NEXT) | instid1(VALU_DEP_4)
	v_pk_add_f32 v[26:27], v[30:31], v[6:7] neg_lo:[0,1] neg_hi:[0,1]
	v_dual_add_f32 v6, v33, v23 :: v_dual_fma_f32 v34, v19, v20, -v32
	v_sub_f32_e32 v8, v37, v21
	s_delay_alu instid0(VALU_DEP_4) | instskip(SKIP_1) | instid1(VALU_DEP_4)
	v_add_f32_e32 v25, v24, v25
	v_pk_add_f32 v[36:37], v[30:31], v[12:13]
	v_dual_sub_f32 v21, v6, v33 :: v_dual_fmac_f32 v34, v19, v28
	s_delay_alu instid0(VALU_DEP_3) | instskip(NEXT) | instid1(VALU_DEP_2)
	v_add_f32_e32 v42, v29, v25
	v_dual_mov_b32 v27, v37 :: v_dual_sub_f32 v24, v23, v21
	s_delay_alu instid0(VALU_DEP_3) | instskip(SKIP_1) | instid1(VALU_DEP_4)
	v_dual_add_f32 v15, v15, v8 :: v_dual_add_f32 v8, v32, v34
	v_mov_b32_e32 v23, v30
	v_ldexp_f32 v21, v42, v41
	s_delay_alu instid0(VALU_DEP_3) | instskip(NEXT) | instid1(VALU_DEP_4)
	v_add_f32_e32 v24, v15, v24
	v_dual_sub_f32 v33, 1.0, v8 :: v_dual_mov_b32 v35, v8
	s_delay_alu instid0(VALU_DEP_3) | instskip(SKIP_1) | instid1(VALU_DEP_3)
	v_rcp_f32_e32 v15, v21
	v_pk_add_f32 v[22:23], v[22:23], v[26:27] neg_lo:[0,1] neg_hi:[0,1]
	v_add_f32_e32 v36, v6, v24
	s_delay_alu instid0(VALU_DEP_3) | instskip(NEXT) | instid1(VALU_DEP_2)
	v_pk_add_f32 v[38:39], v[8:9], v[32:33] neg_lo:[0,1] neg_hi:[0,1]
	v_dual_sub_f32 v8, v42, v29 :: v_dual_add_f32 v37, 1.0, v36
	s_delay_alu instid0(VALU_DEP_2) | instskip(NEXT) | instid1(VALU_DEP_2)
	v_pk_add_f32 v[34:35], v[38:39], v[34:35] neg_lo:[0,1] neg_hi:[0,1]
	v_sub_f32_e32 v8, v25, v8
	v_dual_mul_f32 v26, v21, v15 :: v_dual_mov_b32 v25, v36
	s_delay_alu instid0(VALU_DEP_4)
	v_pk_add_f32 v[38:39], v[36:37], v[12:13]
	v_add_f32_e32 v32, v22, v23
	v_pk_add_f32 v[22:23], v[36:37], v[6:7] neg_lo:[0,1] neg_hi:[0,1]
	v_add_f32_e32 v27, v34, v35
	v_ldexp_f32 v29, v8, v41
	v_mov_b32_e32 v23, v39
	v_add_f32_e32 v6, v31, v32
	v_cvt_i32_f32_e32 v34, v40
	v_add_f32_e32 v35, v33, v27
	s_delay_alu instid0(VALU_DEP_4) | instskip(SKIP_2) | instid1(VALU_DEP_4)
	v_pk_add_f32 v[22:23], v[24:25], v[22:23] neg_lo:[0,1] neg_hi:[0,1]
	v_fma_f32 v30, v15, v21, -v26
	v_ldexp_f32 v24, v6, v17
	v_sub_f32_e32 v25, v33, v35
	s_delay_alu instid0(VALU_DEP_3) | instskip(SKIP_1) | instid1(VALU_DEP_4)
	v_dual_add_f32 v23, v22, v23 :: v_dual_fmac_f32 v30, v15, v29
	v_mul_f32_e32 v45, v19, v35
	v_rcp_f32_e32 v48, v24
	s_delay_alu instid0(VALU_DEP_2) | instskip(NEXT) | instid1(VALU_DEP_2)
	v_dual_add_f32 v49, v27, v25 :: v_dual_add_f32 v8, v26, v30
	v_dual_sub_f32 v6, v6, v31 :: v_dual_mul_f32 v22, v20, v45
	v_dual_add_f32 v31, v37, v23 :: v_dual_add_f32 v50, v19, v45
	s_delay_alu instid0(VALU_DEP_2) | instskip(NEXT) | instid1(TRANS32_DEP_1)
	v_dual_sub_f32 v27, 1.0, v8 :: v_dual_sub_f32 v6, v32, v6
	v_mul_f32_e32 v32, v24, v48
	s_delay_alu instid0(VALU_DEP_3) | instskip(NEXT) | instid1(VALU_DEP_3)
	v_ldexp_f32 v25, v31, v34
	v_ldexp_f32 v36, v6, v17
	v_sub_f32_e32 v17, v31, v37
	s_delay_alu instid0(VALU_DEP_3) | instskip(SKIP_3) | instid1(VALU_DEP_3)
	v_rcp_f32_e32 v6, v25
	v_fma_f32 v38, v48, v24, -v32
	v_mov_b32_e32 v31, v8
	v_pk_add_f32 v[42:43], v[8:9], v[26:27] neg_lo:[0,1] neg_hi:[0,1]
	v_dual_sub_f32 v17, v23, v17 :: v_dual_fmac_f32 v38, v48, v36
	s_delay_alu instid0(TRANS32_DEP_1) | instskip(SKIP_1) | instid1(VALU_DEP_4)
	v_mul_f32_e32 v44, v25, v6
	v_fma_f32 v40, v45, v20, -v22
	v_pk_add_f32 v[30:31], v[42:43], v[30:31] neg_lo:[0,1] neg_hi:[0,1]
	s_delay_alu instid0(VALU_DEP_4) | instskip(NEXT) | instid1(VALU_DEP_4)
	v_ldexp_f32 v43, v17, v34
	v_dual_add_f32 v8, v32, v38 :: v_dual_fma_f32 v26, v6, v25, -v44
	s_delay_alu instid0(VALU_DEP_3) | instskip(NEXT) | instid1(VALU_DEP_2)
	v_dual_fmac_f32 v40, v45, v28 :: v_dual_add_f32 v17, v30, v31
	v_dual_sub_f32 v33, 1.0, v8 :: v_dual_fmac_f32 v26, v6, v43
	s_delay_alu instid0(VALU_DEP_2) | instskip(NEXT) | instid1(VALU_DEP_3)
	v_dual_mov_b32 v39, v8 :: v_dual_add_f32 v34, v22, v40
	v_dual_add_f32 v31, v27, v17 :: v_dual_sub_f32 v30, v50, v19
	s_delay_alu instid0(VALU_DEP_3) | instskip(NEXT) | instid1(VALU_DEP_3)
	v_pk_add_f32 v[46:47], v[8:9], v[32:33] neg_lo:[0,1] neg_hi:[0,1]
	v_dual_add_f32 v8, v44, v26 :: v_dual_mov_b32 v41, v34
	v_sub_f32_e32 v23, v35, v34
	s_delay_alu instid0(VALU_DEP_4) | instskip(NEXT) | instid1(VALU_DEP_3)
	v_dual_mul_f32 v32, v15, v31 :: v_dual_sub_f32 v37, v45, v30
	v_dual_sub_f32 v45, 1.0, v8 :: v_dual_sub_f32 v30, v27, v31
	s_delay_alu instid0(VALU_DEP_3) | instskip(NEXT) | instid1(VALU_DEP_3)
	v_pk_add_f32 v[34:35], v[34:35], v[22:23] neg_lo:[0,1] neg_hi:[0,1]
	v_dual_mul_f32 v22, v21, v32 :: v_dual_mov_b32 v27, v8
	v_pk_add_f32 v[38:39], v[46:47], v[38:39] neg_lo:[0,1] neg_hi:[0,1]
	v_add_f32_e32 v42, v15, v32
	s_delay_alu instid0(VALU_DEP_4) | instskip(SKIP_2) | instid1(VALU_DEP_3)
	v_pk_add_f32 v[34:35], v[34:35], v[40:41] neg_lo:[0,1] neg_hi:[0,1]
	v_pk_add_f32 v[40:41], v[8:9], v[44:45] neg_lo:[0,1] neg_hi:[0,1]
	v_dual_fma_f32 v46, v32, v21, -v22 :: v_dual_add_f32 v8, v17, v30
	v_add_f32_e32 v17, v49, v35
	s_delay_alu instid0(VALU_DEP_3) | instskip(NEXT) | instid1(VALU_DEP_3)
	v_pk_add_f32 v[26:27], v[40:41], v[26:27] neg_lo:[0,1] neg_hi:[0,1]
	v_dual_fmac_f32 v46, v32, v29 :: v_dual_add_f32 v49, v38, v39
	s_delay_alu instid0(VALU_DEP_1) | instskip(NEXT) | instid1(VALU_DEP_4)
	v_dual_add_f32 v51, v26, v27 :: v_dual_add_f32 v27, v33, v49
	v_add_f32_e32 v17, v34, v17
	s_delay_alu instid0(VALU_DEP_2) | instskip(SKIP_1) | instid1(VALU_DEP_3)
	v_dual_add_f32 v30, v22, v46 :: v_dual_add_f32 v35, v45, v51
	v_sub_f32_e32 v26, v42, v15
	v_dual_mul_f32 v53, v48, v27 :: v_dual_add_f32 v17, v23, v17
	s_delay_alu instid0(VALU_DEP_3) | instskip(NEXT) | instid1(VALU_DEP_3)
	v_dual_mov_b32 v47, v30 :: v_dual_sub_f32 v23, v31, v30
	v_sub_f32_e32 v52, v32, v26
	s_delay_alu instid0(VALU_DEP_3) | instskip(NEXT) | instid1(VALU_DEP_4)
	v_mul_f32_e32 v32, v24, v53
	v_dual_mul_f32 v17, v19, v17 :: v_dual_mul_f32 v19, v6, v35
	s_delay_alu instid0(VALU_DEP_4) | instskip(NEXT) | instid1(VALU_DEP_3)
	v_pk_add_f32 v[30:31], v[30:31], v[22:23] neg_lo:[0,1] neg_hi:[0,1]
	v_fma_f32 v40, v53, v24, -v32
	s_delay_alu instid0(VALU_DEP_2) | instskip(NEXT) | instid1(VALU_DEP_2)
	v_pk_add_f32 v[30:31], v[30:31], v[46:47] neg_lo:[0,1] neg_hi:[0,1]
	v_fmac_f32_e32 v40, v53, v36
	s_delay_alu instid0(VALU_DEP_1) | instskip(NEXT) | instid1(VALU_DEP_1)
	v_dual_mul_f32 v38, v25, v19 :: v_dual_add_f32 v26, v32, v40
	v_dual_sub_f32 v22, v33, v27 :: v_dual_fma_f32 v44, v19, v25, -v38
	s_delay_alu instid0(VALU_DEP_4) | instskip(NEXT) | instid1(VALU_DEP_3)
	v_dual_add_f32 v17, v37, v17 :: v_dual_add_f32 v8, v8, v31
	v_sub_f32_e32 v33, v27, v26
	s_delay_alu instid0(VALU_DEP_3) | instskip(NEXT) | instid1(VALU_DEP_3)
	v_dual_add_f32 v22, v49, v22 :: v_dual_fmac_f32 v44, v19, v43
	v_dual_sub_f32 v37, v45, v35 :: v_dual_add_f32 v8, v30, v8
	s_delay_alu instid0(VALU_DEP_2) | instskip(SKIP_2) | instid1(VALU_DEP_4)
	v_add_f32_e32 v34, v38, v44
	v_mov_b32_e32 v41, v26
	v_pk_add_f32 v[26:27], v[26:27], v[32:33] neg_lo:[0,1] neg_hi:[0,1]
	v_add_f32_e32 v31, v51, v37
	s_delay_alu instid0(VALU_DEP_4) | instskip(NEXT) | instid1(VALU_DEP_3)
	v_dual_sub_f32 v39, v35, v34 :: v_dual_mov_b32 v45, v34
	v_pk_add_f32 v[26:27], v[26:27], v[40:41] neg_lo:[0,1] neg_hi:[0,1]
	s_delay_alu instid0(VALU_DEP_2) | instskip(NEXT) | instid1(VALU_DEP_2)
	v_pk_add_f32 v[34:35], v[34:35], v[38:39] neg_lo:[0,1] neg_hi:[0,1]
	v_dual_add_f32 v22, v22, v27 :: v_dual_add_f32 v27, v48, v53
	s_delay_alu instid0(VALU_DEP_2) | instskip(NEXT) | instid1(VALU_DEP_1)
	v_pk_add_f32 v[34:35], v[34:35], v[44:45] neg_lo:[0,1] neg_hi:[0,1]
	v_dual_add_f32 v30, v50, v17 :: v_dual_add_f32 v31, v31, v35
	s_delay_alu instid0(VALU_DEP_1) | instskip(NEXT) | instid1(VALU_DEP_4)
	v_dual_add_f32 v8, v23, v8 :: v_dual_sub_f32 v23, v30, v50
	v_add_f32_e32 v22, v26, v22
	s_delay_alu instid0(VALU_DEP_2) | instskip(NEXT) | instid1(VALU_DEP_2)
	v_dual_add_f32 v35, v6, v19 :: v_dual_mul_f32 v8, v15, v8
	v_dual_add_f32 v26, v34, v31 :: v_dual_add_f32 v22, v33, v22
	v_sub_f32_e32 v15, v27, v48
	s_delay_alu instid0(VALU_DEP_3) | instskip(NEXT) | instid1(VALU_DEP_3)
	v_dual_sub_f32 v31, v35, v6 :: v_dual_add_f32 v8, v52, v8
	v_add_f32_e32 v26, v39, v26
	s_delay_alu instid0(VALU_DEP_3) | instskip(NEXT) | instid1(VALU_DEP_3)
	v_dual_mul_f32 v32, v48, v22 :: v_dual_sub_f32 v15, v53, v15
	v_sub_f32_e32 v19, v19, v31
	s_delay_alu instid0(VALU_DEP_3) | instskip(SKIP_1) | instid1(VALU_DEP_4)
	v_dual_sub_f32 v17, v17, v23 :: v_dual_mul_f32 v6, v6, v26
	v_add_f32_e32 v26, v42, v8
	v_add_f32_e32 v15, v15, v32
	v_ldexp_f32 v22, v30, -2
	s_delay_alu instid0(VALU_DEP_4) | instskip(NEXT) | instid1(VALU_DEP_3)
	v_add_f32_e32 v6, v19, v6
	v_dual_sub_f32 v19, v26, v42 :: v_dual_add_f32 v32, v27, v15
	v_ldexp_f32 v23, v26, -2
	v_ldexp_f32 v26, v17, -2
	s_delay_alu instid0(VALU_DEP_3) | instskip(NEXT) | instid1(VALU_DEP_4)
	v_dual_sub_f32 v8, v8, v19 :: v_dual_add_f32 v17, v35, v6
	v_sub_f32_e32 v19, v32, v27
	s_delay_alu instid0(VALU_DEP_4) | instskip(SKIP_1) | instid1(VALU_DEP_4)
	v_pk_add_f32 v[30:31], v[20:21], v[22:23]
	v_ldexp_f32 v32, v32, -2
	v_ldexp_f32 v27, v8, -2
	;; [unrolled: 1-line block ×3, first 2 shown]
	s_delay_alu instid0(VALU_DEP_4) | instskip(SKIP_1) | instid1(VALU_DEP_3)
	v_dual_sub_f32 v8, v17, v35 :: v_dual_sub_f32 v17, v31, v21
	v_dual_sub_f32 v15, v15, v19 :: v_dual_sub_f32 v19, v30, v20
	v_pk_add_f32 v[34:35], v[24:25], v[32:33]
	s_delay_alu instid0(VALU_DEP_3) | instskip(NEXT) | instid1(VALU_DEP_3)
	v_dual_sub_f32 v6, v6, v8 :: v_dual_sub_f32 v21, v23, v17
	v_ldexp_f32 v42, v15, -2
	s_delay_alu instid0(VALU_DEP_3) | instskip(SKIP_3) | instid1(VALU_DEP_4)
	v_dual_sub_f32 v8, v35, v25 :: v_dual_sub_f32 v15, v34, v24
	v_sub_f32_e32 v20, v22, v19
	v_pk_add_f32 v[22:23], v[26:27], v[28:29]
	v_ldexp_f32 v37, v6, -2
	v_dual_sub_f32 v25, v33, v8 :: v_dual_sub_f32 v24, v32, v15
	s_delay_alu instid0(VALU_DEP_3) | instskip(NEXT) | instid1(VALU_DEP_3)
	v_pk_add_f32 v[20:21], v[22:23], v[20:21]
	v_pk_add_f32 v[26:27], v[42:43], v[36:37]
	s_delay_alu instid0(VALU_DEP_2) | instskip(NEXT) | instid1(VALU_DEP_2)
	v_pk_add_f32 v[20:21], v[30:31], v[20:21]
	v_pk_add_f32 v[22:23], v[26:27], v[24:25]
	s_delay_alu instid0(VALU_DEP_2) | instskip(SKIP_1) | instid1(VALU_DEP_3)
	v_cndmask_b32_e32 v6, 0x7f800000, v21, vcc_lo
	v_cmp_nlt_f32_e32 vcc_lo, 0x42b2d4fc, v4
	v_pk_add_f32 v[22:23], v[34:35], v[22:23]
	v_cndmask_b32_e32 v4, 0x7f800000, v20, vcc_lo
	v_cmp_nlt_f32_e32 vcc_lo, 0x42b2d4fc, v18
	s_delay_alu instid0(VALU_DEP_2) | instskip(NEXT) | instid1(VALU_DEP_4)
	v_cvt_pk_f16_f32 v16, v4, v6
	v_cndmask_b32_e32 v8, 0x7f800000, v23, vcc_lo
	v_cmp_nlt_f32_e32 vcc_lo, 0x42b2d4fc, v14
	v_lshlrev_b64_e32 v[14:15], 2, v[0:1]
	v_cndmask_b32_e32 v17, 0x7f800000, v22, vcc_lo
	s_delay_alu instid0(VALU_DEP_2) | instskip(NEXT) | instid1(VALU_DEP_2)
	v_cmp_ge_i64_e32 vcc_lo, v[14:15], v[2:3]
	v_cvt_pk_f16_f32 v17, v17, v8
	global_store_b64 v[10:11], v[16:17], off
	s_wait_xcnt 0x0
	v_add_nc_u64_e32 v[10:11], s[2:3], v[10:11]
	s_or_b32 s5, vcc_lo, s5
	s_delay_alu instid0(SALU_CYCLE_1)
	s_and_not1_b32 exec_lo, exec_lo, s5
	s_cbranch_execnz .LBB89_24
.LBB89_25:
	s_endpgm
	.section	.rodata,"a",@progbits
	.p2align	6, 0x0
	.amdhsa_kernel _ZN2at6native12_GLOBAL__N_125multi_tensor_apply_kernelINS1_18TensorListMetadataILi1EEENS1_14UnaryOpFunctorIN3c104HalfELi1ELi1ELi0EEEJNS0_4CoshIfEEEEEvT_T0_DpT1_
		.amdhsa_group_segment_fixed_size 0
		.amdhsa_private_segment_fixed_size 0
		.amdhsa_kernarg_size 3632
		.amdhsa_user_sgpr_count 2
		.amdhsa_user_sgpr_dispatch_ptr 0
		.amdhsa_user_sgpr_queue_ptr 0
		.amdhsa_user_sgpr_kernarg_segment_ptr 1
		.amdhsa_user_sgpr_dispatch_id 0
		.amdhsa_user_sgpr_kernarg_preload_length 0
		.amdhsa_user_sgpr_kernarg_preload_offset 0
		.amdhsa_user_sgpr_private_segment_size 0
		.amdhsa_wavefront_size32 1
		.amdhsa_uses_dynamic_stack 0
		.amdhsa_enable_private_segment 0
		.amdhsa_system_sgpr_workgroup_id_x 1
		.amdhsa_system_sgpr_workgroup_id_y 0
		.amdhsa_system_sgpr_workgroup_id_z 0
		.amdhsa_system_sgpr_workgroup_info 0
		.amdhsa_system_vgpr_workitem_id 0
		.amdhsa_next_free_vgpr 54
		.amdhsa_next_free_sgpr 22
		.amdhsa_named_barrier_count 0
		.amdhsa_reserve_vcc 1
		.amdhsa_float_round_mode_32 0
		.amdhsa_float_round_mode_16_64 0
		.amdhsa_float_denorm_mode_32 3
		.amdhsa_float_denorm_mode_16_64 3
		.amdhsa_fp16_overflow 0
		.amdhsa_memory_ordered 1
		.amdhsa_forward_progress 1
		.amdhsa_inst_pref_size 55
		.amdhsa_round_robin_scheduling 0
		.amdhsa_exception_fp_ieee_invalid_op 0
		.amdhsa_exception_fp_denorm_src 0
		.amdhsa_exception_fp_ieee_div_zero 0
		.amdhsa_exception_fp_ieee_overflow 0
		.amdhsa_exception_fp_ieee_underflow 0
		.amdhsa_exception_fp_ieee_inexact 0
		.amdhsa_exception_int_div_zero 0
	.end_amdhsa_kernel
	.section	.text._ZN2at6native12_GLOBAL__N_125multi_tensor_apply_kernelINS1_18TensorListMetadataILi1EEENS1_14UnaryOpFunctorIN3c104HalfELi1ELi1ELi0EEEJNS0_4CoshIfEEEEEvT_T0_DpT1_,"axG",@progbits,_ZN2at6native12_GLOBAL__N_125multi_tensor_apply_kernelINS1_18TensorListMetadataILi1EEENS1_14UnaryOpFunctorIN3c104HalfELi1ELi1ELi0EEEJNS0_4CoshIfEEEEEvT_T0_DpT1_,comdat
.Lfunc_end89:
	.size	_ZN2at6native12_GLOBAL__N_125multi_tensor_apply_kernelINS1_18TensorListMetadataILi1EEENS1_14UnaryOpFunctorIN3c104HalfELi1ELi1ELi0EEEJNS0_4CoshIfEEEEEvT_T0_DpT1_, .Lfunc_end89-_ZN2at6native12_GLOBAL__N_125multi_tensor_apply_kernelINS1_18TensorListMetadataILi1EEENS1_14UnaryOpFunctorIN3c104HalfELi1ELi1ELi0EEEJNS0_4CoshIfEEEEEvT_T0_DpT1_
                                        ; -- End function
	.set _ZN2at6native12_GLOBAL__N_125multi_tensor_apply_kernelINS1_18TensorListMetadataILi1EEENS1_14UnaryOpFunctorIN3c104HalfELi1ELi1ELi0EEEJNS0_4CoshIfEEEEEvT_T0_DpT1_.num_vgpr, 54
	.set _ZN2at6native12_GLOBAL__N_125multi_tensor_apply_kernelINS1_18TensorListMetadataILi1EEENS1_14UnaryOpFunctorIN3c104HalfELi1ELi1ELi0EEEJNS0_4CoshIfEEEEEvT_T0_DpT1_.num_agpr, 0
	.set _ZN2at6native12_GLOBAL__N_125multi_tensor_apply_kernelINS1_18TensorListMetadataILi1EEENS1_14UnaryOpFunctorIN3c104HalfELi1ELi1ELi0EEEJNS0_4CoshIfEEEEEvT_T0_DpT1_.numbered_sgpr, 22
	.set _ZN2at6native12_GLOBAL__N_125multi_tensor_apply_kernelINS1_18TensorListMetadataILi1EEENS1_14UnaryOpFunctorIN3c104HalfELi1ELi1ELi0EEEJNS0_4CoshIfEEEEEvT_T0_DpT1_.num_named_barrier, 0
	.set _ZN2at6native12_GLOBAL__N_125multi_tensor_apply_kernelINS1_18TensorListMetadataILi1EEENS1_14UnaryOpFunctorIN3c104HalfELi1ELi1ELi0EEEJNS0_4CoshIfEEEEEvT_T0_DpT1_.private_seg_size, 0
	.set _ZN2at6native12_GLOBAL__N_125multi_tensor_apply_kernelINS1_18TensorListMetadataILi1EEENS1_14UnaryOpFunctorIN3c104HalfELi1ELi1ELi0EEEJNS0_4CoshIfEEEEEvT_T0_DpT1_.uses_vcc, 1
	.set _ZN2at6native12_GLOBAL__N_125multi_tensor_apply_kernelINS1_18TensorListMetadataILi1EEENS1_14UnaryOpFunctorIN3c104HalfELi1ELi1ELi0EEEJNS0_4CoshIfEEEEEvT_T0_DpT1_.uses_flat_scratch, 0
	.set _ZN2at6native12_GLOBAL__N_125multi_tensor_apply_kernelINS1_18TensorListMetadataILi1EEENS1_14UnaryOpFunctorIN3c104HalfELi1ELi1ELi0EEEJNS0_4CoshIfEEEEEvT_T0_DpT1_.has_dyn_sized_stack, 0
	.set _ZN2at6native12_GLOBAL__N_125multi_tensor_apply_kernelINS1_18TensorListMetadataILi1EEENS1_14UnaryOpFunctorIN3c104HalfELi1ELi1ELi0EEEJNS0_4CoshIfEEEEEvT_T0_DpT1_.has_recursion, 0
	.set _ZN2at6native12_GLOBAL__N_125multi_tensor_apply_kernelINS1_18TensorListMetadataILi1EEENS1_14UnaryOpFunctorIN3c104HalfELi1ELi1ELi0EEEJNS0_4CoshIfEEEEEvT_T0_DpT1_.has_indirect_call, 0
	.section	.AMDGPU.csdata,"",@progbits
; Kernel info:
; codeLenInByte = 6928
; TotalNumSgprs: 24
; NumVgprs: 54
; ScratchSize: 0
; MemoryBound: 0
; FloatMode: 240
; IeeeMode: 1
; LDSByteSize: 0 bytes/workgroup (compile time only)
; SGPRBlocks: 0
; VGPRBlocks: 3
; NumSGPRsForWavesPerEU: 24
; NumVGPRsForWavesPerEU: 54
; NamedBarCnt: 0
; Occupancy: 16
; WaveLimiterHint : 0
; COMPUTE_PGM_RSRC2:SCRATCH_EN: 0
; COMPUTE_PGM_RSRC2:USER_SGPR: 2
; COMPUTE_PGM_RSRC2:TRAP_HANDLER: 0
; COMPUTE_PGM_RSRC2:TGID_X_EN: 1
; COMPUTE_PGM_RSRC2:TGID_Y_EN: 0
; COMPUTE_PGM_RSRC2:TGID_Z_EN: 0
; COMPUTE_PGM_RSRC2:TIDIG_COMP_CNT: 0
	.section	.text._ZN2at6native12_GLOBAL__N_125multi_tensor_apply_kernelINS1_18TensorListMetadataILi1EEENS1_14UnaryOpFunctorIN3c108BFloat16ELi1ELi1ELi0EEEJNS0_4CoshIfEEEEEvT_T0_DpT1_,"axG",@progbits,_ZN2at6native12_GLOBAL__N_125multi_tensor_apply_kernelINS1_18TensorListMetadataILi1EEENS1_14UnaryOpFunctorIN3c108BFloat16ELi1ELi1ELi0EEEJNS0_4CoshIfEEEEEvT_T0_DpT1_,comdat
	.globl	_ZN2at6native12_GLOBAL__N_125multi_tensor_apply_kernelINS1_18TensorListMetadataILi1EEENS1_14UnaryOpFunctorIN3c108BFloat16ELi1ELi1ELi0EEEJNS0_4CoshIfEEEEEvT_T0_DpT1_ ; -- Begin function _ZN2at6native12_GLOBAL__N_125multi_tensor_apply_kernelINS1_18TensorListMetadataILi1EEENS1_14UnaryOpFunctorIN3c108BFloat16ELi1ELi1ELi0EEEJNS0_4CoshIfEEEEEvT_T0_DpT1_
	.p2align	8
	.type	_ZN2at6native12_GLOBAL__N_125multi_tensor_apply_kernelINS1_18TensorListMetadataILi1EEENS1_14UnaryOpFunctorIN3c108BFloat16ELi1ELi1ELi0EEEJNS0_4CoshIfEEEEEvT_T0_DpT1_,@function
_ZN2at6native12_GLOBAL__N_125multi_tensor_apply_kernelINS1_18TensorListMetadataILi1EEENS1_14UnaryOpFunctorIN3c108BFloat16ELi1ELi1ELi0EEEJNS0_4CoshIfEEEEEvT_T0_DpT1_: ; @_ZN2at6native12_GLOBAL__N_125multi_tensor_apply_kernelINS1_18TensorListMetadataILi1EEENS1_14UnaryOpFunctorIN3c108BFloat16ELi1ELi1ELi0EEEJNS0_4CoshIfEEEEEvT_T0_DpT1_
; %bb.0:
	s_bfe_u32 s2, ttmp6, 0x4000c
	s_and_b32 s3, ttmp6, 15
	s_add_co_i32 s2, s2, 1
	s_getreg_b32 s4, hwreg(HW_REG_IB_STS2, 6, 4)
	s_mul_i32 s2, ttmp9, s2
	s_delay_alu instid0(SALU_CYCLE_1)
	s_add_co_i32 s3, s3, s2
	s_cmp_eq_u32 s4, 0
	s_cselect_b32 s2, ttmp9, s3
	s_mov_b32 s3, 0
	s_load_u8 s8, s[0:1], s2 offset:0x6e0
	s_add_nc_u64 s[4:5], s[0:1], s[2:3]
	s_mul_u64 s[6:7], s[2:3], 3
	s_delay_alu instid0(SALU_CYCLE_1)
	s_add_nc_u64 s[4:5], s[4:5], s[6:7]
	s_load_b32 s10, s[4:5], 0x820
	s_wait_kmcnt 0x0
	s_clause 0x1
	s_load_b64 s[6:7], s[0:1], s8 offset:0x0 scale_offset
	s_load_b64 s[12:13], s[0:1], s8 offset:0x370 scale_offset
	s_ashr_i32 s11, s10, 31
	s_wait_kmcnt 0x0
	s_and_b64 s[4:5], s[6:7], 7
	s_and_b32 s2, s12, 3
	s_lshl_b64 s[8:9], s[10:11], 17
	s_or_b64 s[2:3], s[4:5], s[2:3]
	s_lshl_b64 s[4:5], s[10:11], 16
	s_cmp_eq_u64 s[2:3], 0
	s_sub_nc_u64 s[10:11], s[12:13], s[4:5]
	s_cbranch_scc1 .LBB90_21
; %bb.1:
	v_cmp_lt_i64_e64 s2, s[10:11], 1
	s_and_b32 vcc_lo, exec_lo, s2
	s_cbranch_vccnz .LBB90_20
; %bb.2:
	s_load_b32 s2, s[0:1], 0xd3c
	v_min_i64 v[2:3], 0x10000, s[10:11]
	v_min_u64 v[4:5], 0x10000, s[10:11]
	v_dual_mov_b32 v1, 0 :: v_dual_lshlrev_b32 v8, 1, v0
	s_mov_b32 s3, 0
	s_add_nc_u64 s[4:5], s[6:7], s[8:9]
	s_mov_b32 s19, s3
	s_delay_alu instid0(VALU_DEP_1) | instskip(SKIP_2) | instid1(VALU_DEP_2)
	v_dual_mov_b32 v9, v1 :: v_dual_mov_b32 v15, v1
	s_mov_b32 s21, s3
	v_dual_mov_b32 v19, 1.0 :: v_dual_mov_b32 v21, -1.0
	v_add_nc_u64_e32 v[8:9], s[4:5], v[8:9]
	s_mov_b32 s13, s3
	s_mov_b32 s15, s3
	v_mov_b32_e32 v17, 0x3f317218
	s_wait_kmcnt 0x0
	s_and_b32 s2, s2, 0xffff
	s_delay_alu instid0(SALU_CYCLE_1)
	v_add_nc_u64_e32 v[6:7], s[2:3], v[0:1]
	s_lshl_b32 s18, s2, 1
	s_mul_i32 s20, s2, 3
	v_add_nc_u64_e32 v[12:13], s[18:19], v[0:1]
	v_add_nc_u64_e32 v[10:11], s[20:21], v[0:1]
	s_lshl_b32 s12, s2, 2
	s_lshl_b32 s14, s2, 3
	v_lshlrev_b32_e32 v14, 1, v6
	s_mul_u64 s[16:17], s[2:3], 6
	s_mov_b64 s[18:19], 0
	s_mov_b32 s20, 0x3ab42872
	s_delay_alu instid0(VALU_DEP_1)
	v_add_nc_u64_e32 v[14:15], s[4:5], v[14:15]
	s_mov_b32 s5, -1.0
	s_branch .LBB90_4
.LBB90_3:                               ;   in Loop: Header=BB90_4 Depth=1
	s_wait_xcnt 0x0
	s_or_b32 exec_lo, exec_lo, s4
	s_add_nc_u64 s[18:19], s[18:19], s[12:13]
	v_add_nc_u64_e32 v[8:9], s[14:15], v[8:9]
	v_cmp_lt_i64_e32 vcc_lo, s[18:19], v[2:3]
	v_add_nc_u64_e32 v[14:15], s[14:15], v[14:15]
	s_cbranch_vccz .LBB90_20
.LBB90_4:                               ; =>This Inner Loop Header: Depth=1
	v_add_nc_u64_e32 v[22:23], s[18:19], v[0:1]
	v_mov_b32_e32 v30, 0
	s_delay_alu instid0(VALU_DEP_2)
	v_cmp_lt_u64_e64 s4, v[22:23], v[4:5]
	s_and_saveexec_b32 s2, s4
	s_cbranch_execz .LBB90_6
; %bb.5:                                ;   in Loop: Header=BB90_4 Depth=1
	global_load_u16 v16, v[8:9], off
	s_wait_loadcnt 0x0
	v_lshlrev_b32_e32 v16, 16, v16
	s_delay_alu instid0(VALU_DEP_1)
	v_and_b32_e32 v30, 0x7fffffff, v16
.LBB90_6:                               ;   in Loop: Header=BB90_4 Depth=1
	s_wait_xcnt 0x0
	s_or_b32 exec_lo, exec_lo, s2
	v_add_nc_u64_e32 v[22:23], s[18:19], v[6:7]
	v_dual_mov_b32 v16, 0 :: v_dual_mov_b32 v28, 0
	s_delay_alu instid0(VALU_DEP_2)
	v_cmp_lt_u64_e64 s3, v[22:23], v[4:5]
	s_and_saveexec_b32 s2, s3
	s_cbranch_execz .LBB90_8
; %bb.7:                                ;   in Loop: Header=BB90_4 Depth=1
	global_load_u16 v18, v[14:15], off
	s_wait_loadcnt 0x0
	v_lshlrev_b32_e32 v18, 16, v18
	s_delay_alu instid0(VALU_DEP_1)
	v_and_b32_e32 v28, 0x7fffffff, v18
.LBB90_8:                               ;   in Loop: Header=BB90_4 Depth=1
	s_wait_xcnt 0x0
	s_or_b32 exec_lo, exec_lo, s2
	v_add_nc_u64_e32 v[22:23], s[18:19], v[12:13]
	s_delay_alu instid0(VALU_DEP_1)
	v_cmp_lt_u64_e32 vcc_lo, v[22:23], v[4:5]
	v_add_nc_u64_e32 v[22:23], s[12:13], v[8:9]
	s_and_saveexec_b32 s2, vcc_lo
	s_cbranch_execz .LBB90_10
; %bb.9:                                ;   in Loop: Header=BB90_4 Depth=1
	global_load_u16 v16, v[22:23], off
	s_wait_loadcnt 0x0
	v_lshlrev_b32_e32 v16, 16, v16
	s_delay_alu instid0(VALU_DEP_1)
	v_and_b32_e32 v16, 0x7fffffff, v16
.LBB90_10:                              ;   in Loop: Header=BB90_4 Depth=1
	s_wait_xcnt 0x0
	s_or_b32 exec_lo, exec_lo, s2
	v_add_nc_u64_e32 v[24:25], s[18:19], v[10:11]
	v_mov_b32_e32 v26, 0
	s_delay_alu instid0(VALU_DEP_2)
	v_cmp_lt_u64_e64 s2, v[24:25], v[4:5]
	v_add_nc_u64_e32 v[24:25], s[16:17], v[8:9]
	s_and_saveexec_b32 s21, s2
	s_cbranch_execnz .LBB90_18
; %bb.11:                               ;   in Loop: Header=BB90_4 Depth=1
	s_or_b32 exec_lo, exec_lo, s21
	s_and_saveexec_b32 s21, s4
	s_cbranch_execnz .LBB90_19
.LBB90_12:                              ;   in Loop: Header=BB90_4 Depth=1
	s_or_b32 exec_lo, exec_lo, s21
	s_and_saveexec_b32 s4, s3
	s_cbranch_execz .LBB90_14
.LBB90_13:                              ;   in Loop: Header=BB90_4 Depth=1
	v_dual_add_f32 v18, 0xbf317218, v28 :: v_dual_mov_b32 v29, v17
	v_cmp_nlt_f32_e64 s3, 0x42b2d4fc, v28
	s_delay_alu instid0(VALU_DEP_2) | instskip(NEXT) | instid1(VALU_DEP_1)
	v_sub_f32_e32 v31, v18, v28
	v_sub_f32_e32 v30, v31, v18
	s_delay_alu instid0(VALU_DEP_1) | instskip(NEXT) | instid1(VALU_DEP_1)
	v_pk_add_f32 v[30:31], v[28:29], v[30:31]
	v_sub_f32_e32 v20, v30, v31
	s_delay_alu instid0(VALU_DEP_1) | instskip(NEXT) | instid1(VALU_DEP_1)
	v_add_f32_e32 v20, 0x3102e308, v20
	v_add_f32_e32 v27, v18, v20
	s_delay_alu instid0(VALU_DEP_1) | instskip(NEXT) | instid1(VALU_DEP_1)
	v_dual_sub_f32 v18, v18, v27 :: v_dual_mul_f32 v29, 0x3fb8aa3b, v27
	v_add_f32_e32 v18, v20, v18
	s_delay_alu instid0(VALU_DEP_2) | instskip(NEXT) | instid1(VALU_DEP_1)
	v_rndne_f32_e32 v29, v29
	v_fmac_f32_e32 v27, 0xbf317200, v29
	s_delay_alu instid0(VALU_DEP_1) | instskip(NEXT) | instid1(VALU_DEP_1)
	v_dual_add_f32 v31, v18, v27 :: v_dual_mul_f32 v20, 0x35bfbc00, v29
	v_sub_f32_e32 v27, v27, v31
	s_delay_alu instid0(VALU_DEP_1) | instskip(NEXT) | instid1(VALU_DEP_1)
	v_dual_sub_f32 v30, v31, v20 :: v_dual_add_f32 v18, v18, v27
	v_sub_f32_e32 v31, v31, v30
	s_delay_alu instid0(VALU_DEP_1) | instskip(NEXT) | instid1(VALU_DEP_1)
	v_sub_f32_e32 v20, v31, v20
	v_add_f32_e32 v18, v18, v20
	s_delay_alu instid0(VALU_DEP_1) | instskip(NEXT) | instid1(VALU_DEP_1)
	v_add_f32_e32 v31, v30, v18
	v_dual_mul_f32 v33, 0x2ea39ef3, v29 :: v_dual_mov_b32 v32, v31
	s_delay_alu instid0(VALU_DEP_1) | instskip(NEXT) | instid1(VALU_DEP_1)
	v_pk_add_f32 v[34:35], v[30:31], v[32:33] neg_lo:[0,1] neg_hi:[0,1]
	v_dual_sub_f32 v20, v31, v35 :: v_dual_add_f32 v18, v18, v34
	s_delay_alu instid0(VALU_DEP_1) | instskip(NEXT) | instid1(VALU_DEP_1)
	v_sub_f32_e32 v20, v20, v33
	v_add_f32_e32 v18, v18, v20
	s_delay_alu instid0(VALU_DEP_1) | instskip(NEXT) | instid1(VALU_DEP_1)
	v_add_f32_e32 v27, v35, v18
	v_sub_f32_e32 v20, v35, v27
	v_mul_f32_e32 v30, v27, v27
	v_mov_b64_e32 v[34:35], s[4:5]
	s_delay_alu instid0(VALU_DEP_2) | instskip(NEXT) | instid1(VALU_DEP_1)
	v_dual_add_f32 v18, v18, v20 :: v_dual_fma_f32 v31, v27, v27, -v30
	v_add_f32_e32 v32, v18, v18
	s_delay_alu instid0(VALU_DEP_1) | instskip(NEXT) | instid1(VALU_DEP_1)
	v_dual_fmaak_f32 v20, s20, v27, 0x3c091de6 :: v_dual_fmac_f32 v31, v27, v32
	v_fmaak_f32 v20, v27, v20, 0x3d2aadcc
	s_delay_alu instid0(VALU_DEP_2) | instskip(NEXT) | instid1(VALU_DEP_2)
	v_add_f32_e32 v32, v30, v31
	v_fmaak_f32 v20, v27, v20, 0x3e2aaa47
	s_delay_alu instid0(VALU_DEP_1) | instskip(NEXT) | instid1(VALU_DEP_3)
	v_fmaak_f32 v20, v27, v20, 0x3efffffc
	v_sub_f32_e32 v30, v32, v30
	s_delay_alu instid0(VALU_DEP_1) | instskip(NEXT) | instid1(VALU_DEP_1)
	v_dual_sub_f32 v30, v31, v30 :: v_dual_mul_f32 v33, v20, v32
	v_fma_f32 v31, v32, v20, -v33
	s_delay_alu instid0(VALU_DEP_1) | instskip(NEXT) | instid1(VALU_DEP_1)
	v_fmac_f32_e32 v31, v30, v20
	v_add_f32_e32 v30, v33, v31
	s_delay_alu instid0(VALU_DEP_1) | instskip(NEXT) | instid1(VALU_DEP_1)
	v_dual_add_f32 v20, v27, v30 :: v_dual_sub_f32 v32, v30, v33
	v_dual_sub_f32 v27, v20, v27 :: v_dual_sub_f32 v31, v31, v32
	s_delay_alu instid0(VALU_DEP_1) | instskip(NEXT) | instid1(VALU_DEP_2)
	v_sub_f32_e32 v27, v30, v27
	v_add_f32_e32 v18, v18, v31
	s_delay_alu instid0(VALU_DEP_1) | instskip(NEXT) | instid1(VALU_DEP_1)
	v_add_f32_e32 v30, v18, v27
	v_add_f32_e32 v32, v20, v30
	s_delay_alu instid0(VALU_DEP_1) | instskip(NEXT) | instid1(VALU_DEP_1)
	v_dual_add_f32 v33, 1.0, v32 :: v_dual_mov_b32 v31, v32
	v_pk_add_f32 v[34:35], v[32:33], v[34:35]
	v_pk_add_f32 v[36:37], v[32:33], v[20:21] neg_lo:[0,1] neg_hi:[0,1]
	v_cvt_i32_f32_e32 v20, v29
	s_delay_alu instid0(VALU_DEP_3) | instskip(NEXT) | instid1(VALU_DEP_1)
	v_mov_b32_e32 v37, v35
	v_pk_add_f32 v[30:31], v[30:31], v[36:37] neg_lo:[0,1] neg_hi:[0,1]
	s_delay_alu instid0(VALU_DEP_1) | instskip(NEXT) | instid1(VALU_DEP_1)
	v_add_f32_e32 v18, v30, v31
	v_add_f32_e32 v27, v33, v18
	s_delay_alu instid0(VALU_DEP_1) | instskip(SKIP_1) | instid1(VALU_DEP_2)
	v_ldexp_f32 v30, v27, v20
	v_sub_f32_e32 v27, v27, v33
	v_rcp_f32_e32 v29, v30
	v_nop
	s_delay_alu instid0(TRANS32_DEP_1) | instskip(NEXT) | instid1(VALU_DEP_1)
	v_mul_f32_e32 v32, v30, v29
	v_dual_sub_f32 v18, v18, v27 :: v_dual_fma_f32 v34, v29, v30, -v32
	s_delay_alu instid0(VALU_DEP_1) | instskip(NEXT) | instid1(VALU_DEP_1)
	v_ldexp_f32 v31, v18, v20
	v_fmac_f32_e32 v34, v29, v31
	s_delay_alu instid0(VALU_DEP_1) | instskip(NEXT) | instid1(VALU_DEP_1)
	v_add_f32_e32 v18, v32, v34
	v_dual_sub_f32 v33, 1.0, v18 :: v_dual_mov_b32 v35, v18
	s_delay_alu instid0(VALU_DEP_1) | instskip(NEXT) | instid1(VALU_DEP_1)
	v_pk_add_f32 v[36:37], v[18:19], v[32:33] neg_lo:[0,1] neg_hi:[0,1]
	v_pk_add_f32 v[34:35], v[36:37], v[34:35] neg_lo:[0,1] neg_hi:[0,1]
	s_delay_alu instid0(VALU_DEP_1) | instskip(NEXT) | instid1(VALU_DEP_1)
	v_add_f32_e32 v18, v34, v35
	v_add_f32_e32 v35, v33, v18
	s_delay_alu instid0(VALU_DEP_1) | instskip(NEXT) | instid1(VALU_DEP_1)
	v_mul_f32_e32 v20, v29, v35
	v_dual_mul_f32 v36, v30, v20 :: v_dual_sub_f32 v27, v33, v35
	s_delay_alu instid0(VALU_DEP_1) | instskip(NEXT) | instid1(VALU_DEP_1)
	v_dual_fma_f32 v32, v20, v30, -v36 :: v_dual_add_f32 v18, v18, v27
	v_dual_add_f32 v27, v29, v20 :: v_dual_fmac_f32 v32, v20, v31
	s_delay_alu instid0(VALU_DEP_1) | instskip(NEXT) | instid1(VALU_DEP_1)
	v_add_f32_e32 v34, v36, v32
	v_dual_sub_f32 v37, v35, v34 :: v_dual_mov_b32 v33, v34
	s_delay_alu instid0(VALU_DEP_1) | instskip(NEXT) | instid1(VALU_DEP_1)
	v_pk_add_f32 v[34:35], v[34:35], v[36:37] neg_lo:[0,1] neg_hi:[0,1]
	v_pk_add_f32 v[32:33], v[34:35], v[32:33] neg_lo:[0,1] neg_hi:[0,1]
	s_delay_alu instid0(VALU_DEP_1) | instskip(NEXT) | instid1(VALU_DEP_1)
	v_add_f32_e32 v18, v18, v33
	v_dual_add_f32 v18, v32, v18 :: v_dual_sub_f32 v32, v27, v29
	s_delay_alu instid0(VALU_DEP_1) | instskip(NEXT) | instid1(VALU_DEP_1)
	v_dual_add_f32 v18, v37, v18 :: v_dual_sub_f32 v20, v20, v32
	v_mul_f32_e32 v18, v29, v18
	s_delay_alu instid0(VALU_DEP_1) | instskip(NEXT) | instid1(VALU_DEP_1)
	v_add_f32_e32 v18, v20, v18
	v_add_f32_e32 v20, v27, v18
	s_delay_alu instid0(VALU_DEP_1) | instskip(NEXT) | instid1(VALU_DEP_1)
	v_sub_f32_e32 v27, v20, v27
	v_sub_f32_e32 v18, v18, v27
	v_ldexp_f32 v32, v20, -2
	s_delay_alu instid0(VALU_DEP_2) | instskip(NEXT) | instid1(VALU_DEP_1)
	v_ldexp_f32 v33, v18, -2
	v_pk_add_f32 v[34:35], v[30:31], v[32:33]
	s_delay_alu instid0(VALU_DEP_1) | instskip(NEXT) | instid1(VALU_DEP_1)
	v_sub_f32_e32 v18, v34, v30
	v_sub_f32_e32 v18, v32, v18
	s_delay_alu instid0(VALU_DEP_1) | instskip(NEXT) | instid1(VALU_DEP_1)
	v_add_f32_e32 v18, v35, v18
	v_add_f32_e32 v18, v34, v18
	s_delay_alu instid0(VALU_DEP_1) | instskip(NEXT) | instid1(VALU_DEP_1)
	v_cndmask_b32_e64 v18, 0x7f800000, v18, s3
	v_bfe_u32 v20, v18, 16, 1
	v_cmp_o_f32_e64 s3, v18, v18
	s_delay_alu instid0(VALU_DEP_2) | instskip(NEXT) | instid1(VALU_DEP_1)
	v_add3_u32 v20, v18, v20, 0x7fff
	v_lshrrev_b32_e32 v20, 16, v20
	s_delay_alu instid0(VALU_DEP_1)
	v_cndmask_b32_e64 v18, 0x7fc0, v20, s3
	global_store_b16 v[14:15], v18, off
.LBB90_14:                              ;   in Loop: Header=BB90_4 Depth=1
	s_wait_xcnt 0x0
	s_or_b32 exec_lo, exec_lo, s4
	v_add_f32_e32 v30, 0xbf317218, v26
	v_add_f32_e32 v18, 0xbf317218, v16
	v_cmp_nlt_f32_e64 s3, 0x42b2d4fc, v16
	s_delay_alu instid0(VALU_DEP_2) | instskip(NEXT) | instid1(VALU_DEP_1)
	v_dual_mov_b32 v27, v17 :: v_dual_sub_f32 v29, v18, v16
	v_sub_f32_e32 v28, v29, v18
	s_delay_alu instid0(VALU_DEP_1) | instskip(NEXT) | instid1(VALU_DEP_1)
	v_pk_add_f32 v[28:29], v[16:17], v[28:29]
	v_dual_sub_f32 v20, v28, v29 :: v_dual_sub_f32 v29, v30, v26
	s_delay_alu instid0(VALU_DEP_1) | instskip(NEXT) | instid1(VALU_DEP_1)
	v_add_f32_e32 v20, 0x3102e308, v20
	v_dual_add_f32 v31, v18, v20 :: v_dual_sub_f32 v28, v29, v30
	s_delay_alu instid0(VALU_DEP_1) | instskip(SKIP_1) | instid1(VALU_DEP_3)
	v_sub_f32_e32 v18, v18, v31
	v_mul_f32_e32 v32, 0x3fb8aa3b, v31
	v_pk_add_f32 v[28:29], v[26:27], v[28:29]
	s_delay_alu instid0(VALU_DEP_2) | instskip(NEXT) | instid1(VALU_DEP_4)
	v_rndne_f32_e32 v40, v32
	v_add_f32_e32 v18, v20, v18
	s_delay_alu instid0(VALU_DEP_2) | instskip(SKIP_1) | instid1(VALU_DEP_1)
	v_dual_sub_f32 v20, v28, v29 :: v_dual_mul_f32 v27, 0x35bfbc00, v40
	v_fmac_f32_e32 v31, 0xbf317200, v40
	v_add_f32_e32 v29, v18, v31
	s_delay_alu instid0(VALU_DEP_1) | instskip(NEXT) | instid1(VALU_DEP_1)
	v_dual_sub_f32 v31, v31, v29 :: v_dual_sub_f32 v28, v29, v27
	v_sub_f32_e32 v29, v29, v28
	s_delay_alu instid0(VALU_DEP_1) | instskip(NEXT) | instid1(VALU_DEP_1)
	v_dual_add_f32 v20, 0x3102e308, v20 :: v_dual_sub_f32 v27, v29, v27
	v_add_f32_e32 v33, v30, v20
	s_delay_alu instid0(VALU_DEP_1) | instskip(SKIP_1) | instid1(VALU_DEP_2)
	v_dual_mul_f32 v32, 0x3fb8aa3b, v33 :: v_dual_sub_f32 v29, v30, v33
	v_add_f32_e32 v18, v18, v31
	v_rndne_f32_e32 v41, v32
	s_delay_alu instid0(VALU_DEP_2) | instskip(NEXT) | instid1(VALU_DEP_2)
	v_dual_add_f32 v20, v20, v29 :: v_dual_add_f32 v18, v18, v27
	v_fmac_f32_e32 v33, 0xbf317200, v41
	s_delay_alu instid0(VALU_DEP_1) | instskip(NEXT) | instid1(VALU_DEP_3)
	v_add_f32_e32 v36, v20, v33
	v_add_f32_e32 v29, v28, v18
	s_delay_alu instid0(VALU_DEP_1) | instskip(NEXT) | instid1(VALU_DEP_1)
	v_dual_mul_f32 v27, 0x35bfbc00, v41 :: v_dual_mov_b32 v30, v29
	v_dual_mul_f32 v31, 0x2ea39ef3, v40 :: v_dual_sub_f32 v32, v36, v27
	s_delay_alu instid0(VALU_DEP_1) | instskip(SKIP_1) | instid1(VALU_DEP_2)
	v_pk_add_f32 v[34:35], v[28:29], v[30:31] neg_lo:[0,1] neg_hi:[0,1]
	v_sub_f32_e32 v28, v33, v36
	v_dual_sub_f32 v30, v36, v32 :: v_dual_sub_f32 v29, v29, v35
	s_delay_alu instid0(VALU_DEP_1) | instskip(NEXT) | instid1(VALU_DEP_2)
	v_dual_add_f32 v20, v20, v28 :: v_dual_sub_f32 v27, v30, v27
	v_dual_add_f32 v18, v18, v34 :: v_dual_sub_f32 v28, v29, v31
	s_delay_alu instid0(VALU_DEP_1) | instskip(NEXT) | instid1(VALU_DEP_1)
	v_dual_add_f32 v20, v20, v27 :: v_dual_add_f32 v18, v18, v28
	v_dual_add_f32 v33, v32, v20 :: v_dual_add_f32 v27, v35, v18
	s_delay_alu instid0(VALU_DEP_1) | instskip(NEXT) | instid1(VALU_DEP_2)
	v_dual_mul_f32 v29, 0x2ea39ef3, v41 :: v_dual_mov_b32 v28, v33
	v_sub_f32_e32 v34, v35, v27
	s_delay_alu instid0(VALU_DEP_2) | instskip(NEXT) | instid1(VALU_DEP_2)
	v_pk_add_f32 v[30:31], v[32:33], v[28:29] neg_lo:[0,1] neg_hi:[0,1]
	v_dual_mul_f32 v28, v27, v27 :: v_dual_add_f32 v18, v18, v34
	s_delay_alu instid0(VALU_DEP_2) | instskip(SKIP_1) | instid1(VALU_DEP_3)
	v_sub_f32_e32 v33, v33, v31
	v_fmaak_f32 v32, s20, v27, 0x3c091de6
	v_dual_fma_f32 v34, v27, v27, -v28 :: v_dual_add_f32 v20, v20, v30
	s_delay_alu instid0(VALU_DEP_3) | instskip(NEXT) | instid1(VALU_DEP_3)
	v_dual_add_f32 v35, v18, v18 :: v_dual_sub_f32 v29, v33, v29
	v_fmaak_f32 v32, v27, v32, 0x3d2aadcc
	s_delay_alu instid0(VALU_DEP_2) | instskip(NEXT) | instid1(VALU_DEP_1)
	v_dual_fmac_f32 v34, v27, v35 :: v_dual_add_f32 v20, v20, v29
	v_dual_fmaak_f32 v30, v27, v32, 0x3e2aaa47 :: v_dual_add_f32 v29, v28, v34
	s_delay_alu instid0(VALU_DEP_1) | instskip(NEXT) | instid1(VALU_DEP_1)
	v_fmaak_f32 v30, v27, v30, 0x3efffffc
	v_dual_add_f32 v35, v31, v20 :: v_dual_mul_f32 v32, v30, v29
	s_delay_alu instid0(VALU_DEP_1) | instskip(NEXT) | instid1(VALU_DEP_2)
	v_dual_sub_f32 v28, v29, v28 :: v_dual_sub_f32 v31, v31, v35
	v_dual_mul_f32 v33, v35, v35 :: v_dual_fma_f32 v29, v29, v30, -v32
	s_delay_alu instid0(VALU_DEP_2) | instskip(NEXT) | instid1(VALU_DEP_1)
	v_dual_sub_f32 v28, v34, v28 :: v_dual_add_f32 v34, v20, v31
	v_dual_fmaak_f32 v20, s20, v35, 0x3c091de6 :: v_dual_fmac_f32 v29, v28, v30
	s_delay_alu instid0(VALU_DEP_2) | instskip(NEXT) | instid1(VALU_DEP_2)
	v_dual_fma_f32 v28, v35, v35, -v33 :: v_dual_add_f32 v30, v34, v34
	v_dual_fmaak_f32 v20, v35, v20, 0x3d2aadcc :: v_dual_add_f32 v31, v32, v29
	s_delay_alu instid0(VALU_DEP_2) | instskip(NEXT) | instid1(VALU_DEP_2)
	v_fmac_f32_e32 v28, v35, v30
	v_fmaak_f32 v30, v35, v20, 0x3e2aaa47
	s_delay_alu instid0(VALU_DEP_2) | instskip(NEXT) | instid1(VALU_DEP_1)
	v_dual_add_f32 v20, v27, v31 :: v_dual_add_f32 v36, v33, v28
	v_dual_sub_f32 v27, v20, v27 :: v_dual_sub_f32 v32, v31, v32
	s_delay_alu instid0(VALU_DEP_1) | instskip(NEXT) | instid1(VALU_DEP_2)
	v_sub_f32_e32 v27, v31, v27
	v_dual_fmaak_f32 v30, v35, v30, 0x3efffffc :: v_dual_sub_f32 v29, v29, v32
	s_delay_alu instid0(VALU_DEP_1) | instskip(NEXT) | instid1(VALU_DEP_1)
	v_dual_sub_f32 v32, v36, v33 :: v_dual_mul_f32 v33, v30, v36
	v_dual_add_f32 v18, v18, v29 :: v_dual_sub_f32 v29, v28, v32
	s_delay_alu instid0(VALU_DEP_1) | instskip(NEXT) | instid1(VALU_DEP_1)
	v_dual_fma_f32 v36, v36, v30, -v33 :: v_dual_add_f32 v28, v18, v27
	v_dual_fmac_f32 v36, v29, v30 :: v_dual_add_f32 v30, v20, v28
	s_delay_alu instid0(VALU_DEP_1) | instskip(NEXT) | instid1(VALU_DEP_1)
	v_dual_add_f32 v18, v33, v36 :: v_dual_add_f32 v31, 1.0, v30
	v_sub_f32_e32 v27, v18, v33
	s_delay_alu instid0(VALU_DEP_2) | instskip(SKIP_1) | instid1(VALU_DEP_1)
	v_pk_add_f32 v[32:33], v[30:31], v[20:21] neg_lo:[0,1] neg_hi:[0,1]
	v_add_f32_e32 v20, v35, v18
	v_sub_f32_e32 v29, v20, v35
	s_delay_alu instid0(VALU_DEP_1) | instskip(NEXT) | instid1(VALU_DEP_1)
	v_dual_sub_f32 v27, v36, v27 :: v_dual_sub_f32 v18, v18, v29
	v_add_f32_e32 v27, v34, v27
	v_mov_b64_e32 v[34:35], s[4:5]
	s_delay_alu instid0(VALU_DEP_2) | instskip(NEXT) | instid1(VALU_DEP_2)
	v_add_f32_e32 v36, v27, v18
	v_pk_add_f32 v[38:39], v[30:31], v[34:35]
	s_delay_alu instid0(VALU_DEP_2) | instskip(NEXT) | instid1(VALU_DEP_2)
	v_dual_mov_b32 v29, v30 :: v_dual_add_f32 v38, v20, v36
	v_mov_b32_e32 v33, v39
	s_delay_alu instid0(VALU_DEP_1) | instskip(NEXT) | instid1(VALU_DEP_1)
	v_pk_add_f32 v[28:29], v[28:29], v[32:33] neg_lo:[0,1] neg_hi:[0,1]
	v_dual_add_f32 v39, 1.0, v38 :: v_dual_add_f32 v18, v28, v29
	s_delay_alu instid0(VALU_DEP_1) | instskip(SKIP_3) | instid1(VALU_DEP_4)
	v_pk_add_f32 v[32:33], v[38:39], v[34:35]
	v_pk_add_f32 v[28:29], v[38:39], v[20:21] neg_lo:[0,1] neg_hi:[0,1]
	v_mov_b32_e32 v37, v38
	v_cvt_i32_f32_e32 v20, v40
	v_mov_b32_e32 v29, v33
	v_cvt_i32_f32_e32 v33, v41
	s_delay_alu instid0(VALU_DEP_2) | instskip(NEXT) | instid1(VALU_DEP_1)
	v_pk_add_f32 v[28:29], v[36:37], v[28:29] neg_lo:[0,1] neg_hi:[0,1]
	v_dual_add_f32 v27, v31, v18 :: v_dual_add_f32 v29, v28, v29
	s_delay_alu instid0(VALU_DEP_1) | instskip(NEXT) | instid1(VALU_DEP_1)
	v_ldexp_f32 v30, v27, v20
	v_rcp_f32_e32 v44, v30
	v_nop
	s_delay_alu instid0(TRANS32_DEP_1) | instskip(NEXT) | instid1(VALU_DEP_1)
	v_dual_sub_f32 v27, v27, v31 :: v_dual_mul_f32 v28, v30, v44
	v_dual_add_f32 v35, v39, v29 :: v_dual_sub_f32 v18, v18, v27
	s_delay_alu instid0(VALU_DEP_2) | instskip(NEXT) | instid1(VALU_DEP_2)
	v_fma_f32 v34, v44, v30, -v28
	v_ldexp_f32 v32, v35, v33
	s_delay_alu instid0(VALU_DEP_3) | instskip(SKIP_1) | instid1(VALU_DEP_3)
	v_ldexp_f32 v31, v18, v20
	v_sub_f32_e32 v18, v35, v39
	v_rcp_f32_e32 v20, v32
	s_delay_alu instid0(VALU_DEP_1) | instskip(NEXT) | instid1(VALU_DEP_1)
	v_dual_fmac_f32 v34, v44, v31 :: v_dual_sub_f32 v27, v29, v18
	v_add_f32_e32 v18, v28, v34
	s_delay_alu instid0(TRANS32_DEP_1) | instskip(NEXT) | instid1(VALU_DEP_3)
	v_mul_f32_e32 v36, v32, v20
	v_ldexp_f32 v33, v27, v33
	s_delay_alu instid0(VALU_DEP_2) | instskip(SKIP_1) | instid1(VALU_DEP_2)
	v_dual_sub_f32 v29, 1.0, v18 :: v_dual_fma_f32 v38, v20, v32, -v36
	v_mov_b32_e32 v35, v18
	v_pk_add_f32 v[40:41], v[18:19], v[28:29] neg_lo:[0,1] neg_hi:[0,1]
	s_delay_alu instid0(VALU_DEP_3) | instskip(NEXT) | instid1(VALU_DEP_2)
	v_fmac_f32_e32 v38, v20, v33
	v_pk_add_f32 v[34:35], v[40:41], v[34:35] neg_lo:[0,1] neg_hi:[0,1]
	s_delay_alu instid0(VALU_DEP_2) | instskip(NEXT) | instid1(VALU_DEP_1)
	v_add_f32_e32 v18, v36, v38
	v_dual_sub_f32 v37, 1.0, v18 :: v_dual_mov_b32 v39, v18
	s_delay_alu instid0(VALU_DEP_1) | instskip(NEXT) | instid1(VALU_DEP_4)
	v_pk_add_f32 v[42:43], v[18:19], v[36:37] neg_lo:[0,1] neg_hi:[0,1]
	v_add_f32_e32 v18, v34, v35
	s_delay_alu instid0(VALU_DEP_1) | instskip(NEXT) | instid1(VALU_DEP_3)
	v_add_f32_e32 v35, v29, v18
	v_pk_add_f32 v[38:39], v[42:43], v[38:39] neg_lo:[0,1] neg_hi:[0,1]
	s_delay_alu instid0(VALU_DEP_2) | instskip(NEXT) | instid1(VALU_DEP_2)
	v_mul_f32_e32 v45, v44, v35
	v_add_f32_e32 v27, v38, v39
	s_delay_alu instid0(VALU_DEP_1) | instskip(NEXT) | instid1(VALU_DEP_1)
	v_dual_mul_f32 v40, v30, v45 :: v_dual_add_f32 v39, v37, v27
	v_dual_fma_f32 v42, v45, v30, -v40 :: v_dual_mul_f32 v46, v20, v39
	s_delay_alu instid0(VALU_DEP_1) | instskip(NEXT) | instid1(VALU_DEP_1)
	v_dual_fmac_f32 v42, v45, v31 :: v_dual_mul_f32 v28, v32, v46
	v_dual_add_f32 v34, v40, v42 :: v_dual_fma_f32 v36, v46, v32, -v28
	s_delay_alu instid0(VALU_DEP_1) | instskip(NEXT) | instid1(VALU_DEP_1)
	v_dual_sub_f32 v41, v35, v34 :: v_dual_fmac_f32 v36, v46, v33
	v_dual_mov_b32 v43, v34 :: v_dual_add_f32 v38, v28, v36
	v_sub_f32_e32 v47, v29, v35
	s_delay_alu instid0(VALU_DEP_3) | instskip(NEXT) | instid1(VALU_DEP_3)
	v_pk_add_f32 v[34:35], v[34:35], v[40:41] neg_lo:[0,1] neg_hi:[0,1]
	v_dual_sub_f32 v40, v37, v39 :: v_dual_sub_f32 v29, v39, v38
	v_mov_b32_e32 v37, v38
	s_delay_alu instid0(VALU_DEP_3) | instskip(NEXT) | instid1(VALU_DEP_3)
	v_pk_add_f32 v[34:35], v[34:35], v[42:43] neg_lo:[0,1] neg_hi:[0,1]
	v_add_f32_e32 v27, v27, v40
	s_delay_alu instid0(VALU_DEP_4) | instskip(SKIP_1) | instid1(VALU_DEP_2)
	v_pk_add_f32 v[38:39], v[38:39], v[28:29] neg_lo:[0,1] neg_hi:[0,1]
	v_add_f32_e32 v28, v44, v45
	v_pk_add_f32 v[36:37], v[38:39], v[36:37] neg_lo:[0,1] neg_hi:[0,1]
	s_delay_alu instid0(VALU_DEP_1) | instskip(NEXT) | instid1(VALU_DEP_1)
	v_dual_add_f32 v18, v18, v47 :: v_dual_add_f32 v27, v27, v37
	v_add_f32_e32 v18, v18, v35
	s_delay_alu instid0(VALU_DEP_1) | instskip(SKIP_1) | instid1(VALU_DEP_2)
	v_dual_add_f32 v27, v36, v27 :: v_dual_add_f32 v18, v34, v18
	v_add_f32_e32 v34, v20, v46
	v_dual_sub_f32 v35, v28, v44 :: v_dual_add_f32 v27, v29, v27
	s_delay_alu instid0(VALU_DEP_2) | instskip(NEXT) | instid1(VALU_DEP_1)
	v_dual_add_f32 v18, v41, v18 :: v_dual_sub_f32 v36, v34, v20
	v_dual_sub_f32 v29, v45, v35 :: v_dual_mul_f32 v18, v44, v18
	s_delay_alu instid0(VALU_DEP_2) | instskip(NEXT) | instid1(VALU_DEP_1)
	v_dual_sub_f32 v35, v46, v36 :: v_dual_mul_f32 v20, v20, v27
	v_dual_add_f32 v18, v29, v18 :: v_dual_add_f32 v20, v35, v20
	s_delay_alu instid0(VALU_DEP_1) | instskip(NEXT) | instid1(VALU_DEP_1)
	v_dual_add_f32 v27, v28, v18 :: v_dual_add_f32 v35, v34, v20
	v_sub_f32_e32 v28, v27, v28
	s_delay_alu instid0(VALU_DEP_1) | instskip(SKIP_1) | instid1(VALU_DEP_2)
	v_dual_sub_f32 v29, v35, v34 :: v_dual_sub_f32 v18, v18, v28
	v_ldexp_f32 v28, v27, -2
	v_sub_f32_e32 v20, v20, v29
	v_ldexp_f32 v34, v35, -2
	s_delay_alu instid0(VALU_DEP_4) | instskip(NEXT) | instid1(VALU_DEP_3)
	v_ldexp_f32 v29, v18, -2
	v_ldexp_f32 v35, v20, -2
	s_delay_alu instid0(VALU_DEP_2) | instskip(NEXT) | instid1(VALU_DEP_2)
	v_pk_add_f32 v[36:37], v[30:31], v[28:29]
	v_pk_add_f32 v[38:39], v[32:33], v[34:35]
	v_dual_mov_b32 v33, v30 :: v_dual_mov_b32 v35, v28
	s_delay_alu instid0(VALU_DEP_2) | instskip(NEXT) | instid1(VALU_DEP_3)
	v_dual_mov_b32 v31, v36 :: v_dual_mov_b32 v30, v38
	v_mov_b32_e32 v36, v39
	s_delay_alu instid0(VALU_DEP_2) | instskip(NEXT) | instid1(VALU_DEP_1)
	v_pk_add_f32 v[28:29], v[30:31], v[32:33] neg_lo:[0,1] neg_hi:[0,1]
	v_pk_add_f32 v[28:29], v[34:35], v[28:29] neg_lo:[0,1] neg_hi:[0,1]
	s_delay_alu instid0(VALU_DEP_1) | instskip(NEXT) | instid1(VALU_DEP_1)
	v_pk_add_f32 v[28:29], v[36:37], v[28:29]
	v_pk_add_f32 v[28:29], v[30:31], v[28:29]
	s_delay_alu instid0(VALU_DEP_1) | instskip(SKIP_1) | instid1(VALU_DEP_2)
	v_cndmask_b32_e64 v18, 0x7f800000, v29, s3
	v_cmp_nlt_f32_e64 s3, 0x42b2d4fc, v26
	v_cmp_u_f32_e64 s4, v18, v18
	s_delay_alu instid0(VALU_DEP_2) | instskip(NEXT) | instid1(VALU_DEP_1)
	v_cndmask_b32_e64 v16, 0x7f800000, v28, s3
	v_cmp_u_f32_e64 s3, v16, v16
	s_and_saveexec_b32 s21, vcc_lo
	s_cbranch_execz .LBB90_16
; %bb.15:                               ;   in Loop: Header=BB90_4 Depth=1
	v_bfe_u32 v20, v18, 16, 1
	s_delay_alu instid0(VALU_DEP_1) | instskip(NEXT) | instid1(VALU_DEP_1)
	v_add3_u32 v18, v18, v20, 0x7fff
	v_lshrrev_b32_e32 v18, 16, v18
	s_delay_alu instid0(VALU_DEP_1)
	v_cndmask_b32_e64 v18, v18, 0x7fc0, s4
	global_store_b16 v[22:23], v18, off
.LBB90_16:                              ;   in Loop: Header=BB90_4 Depth=1
	s_wait_xcnt 0x0
	s_or_b32 exec_lo, exec_lo, s21
	s_and_saveexec_b32 s4, s2
	s_cbranch_execz .LBB90_3
; %bb.17:                               ;   in Loop: Header=BB90_4 Depth=1
	v_bfe_u32 v18, v16, 16, 1
	s_delay_alu instid0(VALU_DEP_1) | instskip(NEXT) | instid1(VALU_DEP_1)
	v_add3_u32 v16, v16, v18, 0x7fff
	v_lshrrev_b32_e32 v16, 16, v16
	s_delay_alu instid0(VALU_DEP_1)
	v_cndmask_b32_e64 v16, v16, 0x7fc0, s3
	global_store_b16 v[24:25], v16, off
	s_branch .LBB90_3
.LBB90_18:                              ;   in Loop: Header=BB90_4 Depth=1
	global_load_u16 v18, v[24:25], off
	s_wait_loadcnt 0x0
	v_lshlrev_b32_e32 v18, 16, v18
	s_delay_alu instid0(VALU_DEP_1)
	v_and_b32_e32 v26, 0x7fffffff, v18
	s_wait_xcnt 0x0
	s_or_b32 exec_lo, exec_lo, s21
	s_and_saveexec_b32 s21, s4
	s_cbranch_execz .LBB90_12
.LBB90_19:                              ;   in Loop: Header=BB90_4 Depth=1
	v_dual_add_f32 v18, 0xbf317218, v30 :: v_dual_mov_b32 v31, v17
	s_delay_alu instid0(VALU_DEP_1) | instskip(NEXT) | instid1(VALU_DEP_1)
	v_sub_f32_e32 v33, v18, v30
	v_sub_f32_e32 v32, v33, v18
	s_delay_alu instid0(VALU_DEP_1) | instskip(NEXT) | instid1(VALU_DEP_1)
	v_pk_add_f32 v[32:33], v[30:31], v[32:33]
	v_sub_f32_e32 v20, v32, v33
	s_delay_alu instid0(VALU_DEP_1) | instskip(NEXT) | instid1(VALU_DEP_1)
	v_add_f32_e32 v20, 0x3102e308, v20
	v_add_f32_e32 v27, v18, v20
	s_delay_alu instid0(VALU_DEP_1) | instskip(NEXT) | instid1(VALU_DEP_1)
	v_mul_f32_e32 v29, 0x3fb8aa3b, v27
	v_rndne_f32_e32 v29, v29
	s_delay_alu instid0(VALU_DEP_1) | instskip(NEXT) | instid1(VALU_DEP_1)
	v_dual_sub_f32 v18, v18, v27 :: v_dual_fmac_f32 v27, 0xbf317200, v29
	v_add_f32_e32 v18, v20, v18
	s_delay_alu instid0(VALU_DEP_1) | instskip(NEXT) | instid1(VALU_DEP_1)
	v_dual_mul_f32 v20, 0x35bfbc00, v29 :: v_dual_add_f32 v31, v18, v27
	v_sub_f32_e32 v32, v31, v20
	v_sub_f32_e32 v27, v27, v31
	s_delay_alu instid0(VALU_DEP_1) | instskip(NEXT) | instid1(VALU_DEP_1)
	v_dual_sub_f32 v31, v31, v32 :: v_dual_add_f32 v18, v18, v27
	v_sub_f32_e32 v20, v31, v20
	s_delay_alu instid0(VALU_DEP_1) | instskip(NEXT) | instid1(VALU_DEP_1)
	v_add_f32_e32 v18, v18, v20
	v_add_f32_e32 v33, v32, v18
	s_delay_alu instid0(VALU_DEP_1) | instskip(NEXT) | instid1(VALU_DEP_1)
	v_dual_mul_f32 v35, 0x2ea39ef3, v29 :: v_dual_mov_b32 v34, v33
	v_pk_add_f32 v[36:37], v[32:33], v[34:35] neg_lo:[0,1] neg_hi:[0,1]
	s_delay_alu instid0(VALU_DEP_1) | instskip(NEXT) | instid1(VALU_DEP_1)
	v_dual_sub_f32 v20, v33, v37 :: v_dual_add_f32 v18, v18, v36
	v_sub_f32_e32 v20, v20, v35
	s_delay_alu instid0(VALU_DEP_1) | instskip(NEXT) | instid1(VALU_DEP_1)
	v_add_f32_e32 v18, v18, v20
	v_add_f32_e32 v27, v37, v18
	s_delay_alu instid0(VALU_DEP_1) | instskip(SKIP_2) | instid1(VALU_DEP_3)
	v_dual_sub_f32 v20, v37, v27 :: v_dual_mul_f32 v31, v27, v27
	v_mov_b64_e32 v[36:37], s[4:5]
	v_cmp_nlt_f32_e64 s4, 0x42b2d4fc, v30
	v_add_f32_e32 v18, v18, v20
	s_delay_alu instid0(VALU_DEP_1) | instskip(NEXT) | instid1(VALU_DEP_1)
	v_dual_fmaak_f32 v20, s20, v27, 0x3c091de6 :: v_dual_add_f32 v33, v18, v18
	v_fmaak_f32 v20, v27, v20, 0x3d2aadcc
	s_delay_alu instid0(VALU_DEP_1) | instskip(NEXT) | instid1(VALU_DEP_1)
	v_fmaak_f32 v20, v27, v20, 0x3e2aaa47
	v_fmaak_f32 v20, v27, v20, 0x3efffffc
	v_fma_f32 v32, v27, v27, -v31
	s_delay_alu instid0(VALU_DEP_1) | instskip(NEXT) | instid1(VALU_DEP_1)
	v_fmac_f32_e32 v32, v27, v33
	v_add_f32_e32 v33, v31, v32
	s_delay_alu instid0(VALU_DEP_1) | instskip(NEXT) | instid1(VALU_DEP_1)
	v_dual_sub_f32 v31, v33, v31 :: v_dual_mul_f32 v34, v20, v33
	v_dual_sub_f32 v31, v32, v31 :: v_dual_fma_f32 v32, v33, v20, -v34
	s_delay_alu instid0(VALU_DEP_1) | instskip(NEXT) | instid1(VALU_DEP_1)
	v_fmac_f32_e32 v32, v31, v20
	v_add_f32_e32 v31, v34, v32
	s_delay_alu instid0(VALU_DEP_1) | instskip(SKIP_1) | instid1(VALU_DEP_1)
	v_sub_f32_e32 v33, v31, v34
	v_add_f32_e32 v20, v27, v31
	v_sub_f32_e32 v27, v20, v27
	s_delay_alu instid0(VALU_DEP_1) | instskip(NEXT) | instid1(VALU_DEP_1)
	v_dual_sub_f32 v32, v32, v33 :: v_dual_sub_f32 v27, v31, v27
	v_add_f32_e32 v18, v18, v32
	s_delay_alu instid0(VALU_DEP_1) | instskip(NEXT) | instid1(VALU_DEP_1)
	v_add_f32_e32 v32, v18, v27
	v_add_f32_e32 v34, v20, v32
	s_delay_alu instid0(VALU_DEP_1) | instskip(NEXT) | instid1(VALU_DEP_1)
	v_dual_add_f32 v35, 1.0, v34 :: v_dual_mov_b32 v33, v34
	v_pk_add_f32 v[36:37], v[34:35], v[36:37]
	v_pk_add_f32 v[38:39], v[34:35], v[20:21] neg_lo:[0,1] neg_hi:[0,1]
	v_cvt_i32_f32_e32 v20, v29
	s_delay_alu instid0(VALU_DEP_3) | instskip(NEXT) | instid1(VALU_DEP_1)
	v_mov_b32_e32 v39, v37
	v_pk_add_f32 v[32:33], v[32:33], v[38:39] neg_lo:[0,1] neg_hi:[0,1]
	s_delay_alu instid0(VALU_DEP_1) | instskip(NEXT) | instid1(VALU_DEP_1)
	v_add_f32_e32 v18, v32, v33
	v_add_f32_e32 v27, v35, v18
	s_delay_alu instid0(VALU_DEP_1) | instskip(SKIP_1) | instid1(VALU_DEP_2)
	v_ldexp_f32 v32, v27, v20
	v_sub_f32_e32 v27, v27, v35
	v_rcp_f32_e32 v29, v32
	v_nop
	s_delay_alu instid0(TRANS32_DEP_1) | instskip(NEXT) | instid1(VALU_DEP_1)
	v_dual_sub_f32 v18, v18, v27 :: v_dual_mul_f32 v34, v32, v29
	v_ldexp_f32 v33, v18, v20
	s_delay_alu instid0(VALU_DEP_2) | instskip(NEXT) | instid1(VALU_DEP_1)
	v_fma_f32 v36, v29, v32, -v34
	v_fmac_f32_e32 v36, v29, v33
	s_delay_alu instid0(VALU_DEP_1) | instskip(NEXT) | instid1(VALU_DEP_1)
	v_add_f32_e32 v18, v34, v36
	v_dual_sub_f32 v35, 1.0, v18 :: v_dual_mov_b32 v37, v18
	s_delay_alu instid0(VALU_DEP_1) | instskip(NEXT) | instid1(VALU_DEP_1)
	v_pk_add_f32 v[38:39], v[18:19], v[34:35] neg_lo:[0,1] neg_hi:[0,1]
	v_pk_add_f32 v[36:37], v[38:39], v[36:37] neg_lo:[0,1] neg_hi:[0,1]
	s_delay_alu instid0(VALU_DEP_1) | instskip(NEXT) | instid1(VALU_DEP_1)
	v_add_f32_e32 v18, v36, v37
	v_add_f32_e32 v37, v35, v18
	s_delay_alu instid0(VALU_DEP_1) | instskip(NEXT) | instid1(VALU_DEP_1)
	v_mul_f32_e32 v20, v29, v37
	v_dual_mul_f32 v38, v32, v20 :: v_dual_sub_f32 v27, v35, v37
	s_delay_alu instid0(VALU_DEP_1) | instskip(NEXT) | instid1(VALU_DEP_1)
	v_fma_f32 v34, v20, v32, -v38
	v_fmac_f32_e32 v34, v20, v33
	s_delay_alu instid0(VALU_DEP_1) | instskip(NEXT) | instid1(VALU_DEP_4)
	v_add_f32_e32 v36, v38, v34
	v_dual_add_f32 v18, v18, v27 :: v_dual_add_f32 v27, v29, v20
	s_delay_alu instid0(VALU_DEP_2) | instskip(NEXT) | instid1(VALU_DEP_2)
	v_dual_sub_f32 v39, v37, v36 :: v_dual_mov_b32 v35, v36
	v_sub_f32_e32 v31, v27, v29
	s_delay_alu instid0(VALU_DEP_2) | instskip(NEXT) | instid1(VALU_DEP_2)
	v_pk_add_f32 v[40:41], v[36:37], v[38:39] neg_lo:[0,1] neg_hi:[0,1]
	v_sub_f32_e32 v20, v20, v31
	s_delay_alu instid0(VALU_DEP_2) | instskip(NEXT) | instid1(VALU_DEP_1)
	v_pk_add_f32 v[34:35], v[40:41], v[34:35] neg_lo:[0,1] neg_hi:[0,1]
	v_add_f32_e32 v18, v18, v35
	s_delay_alu instid0(VALU_DEP_1) | instskip(NEXT) | instid1(VALU_DEP_1)
	v_add_f32_e32 v18, v34, v18
	v_add_f32_e32 v18, v39, v18
	s_delay_alu instid0(VALU_DEP_1) | instskip(NEXT) | instid1(VALU_DEP_1)
	v_mul_f32_e32 v18, v29, v18
	v_add_f32_e32 v18, v20, v18
	s_delay_alu instid0(VALU_DEP_1) | instskip(NEXT) | instid1(VALU_DEP_1)
	v_add_f32_e32 v20, v27, v18
	v_sub_f32_e32 v27, v20, v27
	s_delay_alu instid0(VALU_DEP_1) | instskip(SKIP_1) | instid1(VALU_DEP_2)
	v_sub_f32_e32 v18, v18, v27
	v_ldexp_f32 v34, v20, -2
	v_ldexp_f32 v35, v18, -2
	s_delay_alu instid0(VALU_DEP_1) | instskip(NEXT) | instid1(VALU_DEP_1)
	v_pk_add_f32 v[36:37], v[32:33], v[34:35]
	v_sub_f32_e32 v18, v36, v32
	s_delay_alu instid0(VALU_DEP_1) | instskip(NEXT) | instid1(VALU_DEP_1)
	v_sub_f32_e32 v18, v34, v18
	v_add_f32_e32 v18, v37, v18
	s_delay_alu instid0(VALU_DEP_1) | instskip(NEXT) | instid1(VALU_DEP_1)
	v_add_f32_e32 v18, v36, v18
	v_cndmask_b32_e64 v18, 0x7f800000, v18, s4
	s_delay_alu instid0(VALU_DEP_1) | instskip(SKIP_1) | instid1(VALU_DEP_2)
	v_bfe_u32 v20, v18, 16, 1
	v_cmp_o_f32_e64 s4, v18, v18
	v_add3_u32 v20, v18, v20, 0x7fff
	s_delay_alu instid0(VALU_DEP_1) | instskip(NEXT) | instid1(VALU_DEP_1)
	v_lshrrev_b32_e32 v20, 16, v20
	v_cndmask_b32_e64 v18, 0x7fc0, v20, s4
	global_store_b16 v[8:9], v18, off
	s_wait_xcnt 0x0
	s_or_b32 exec_lo, exec_lo, s21
	s_and_saveexec_b32 s4, s3
	s_cbranch_execnz .LBB90_13
	s_branch .LBB90_14
.LBB90_20:
	s_cbranch_execz .LBB90_22
	s_branch .LBB90_25
.LBB90_21:
.LBB90_22:
	v_min_i64 v[2:3], 0x10000, s[10:11]
	v_dual_mov_b32 v11, 0 :: v_dual_lshlrev_b32 v10, 2, v0
	s_mov_b32 s2, exec_lo
	s_delay_alu instid0(VALU_DEP_1)
	v_cmpx_lt_i64_e64 v[10:11], v[2:3]
	s_cbranch_execz .LBB90_25
; %bb.23:
	s_load_b32 s0, s[0:1], 0xd3c
	v_dual_mov_b32 v1, v11 :: v_dual_lshlrev_b32 v10, 3, v0
	s_add_nc_u64 s[2:3], s[6:7], s[8:9]
	s_mov_b32 s4, 0x3ab42872
	s_mov_b32 s5, -1.0
	v_mov_b32_e32 v5, 0x3f317218
	v_add_nc_u64_e32 v[10:11], s[2:3], v[10:11]
	v_mov_b64_e32 v[12:13], s[4:5]
	v_dual_mov_b32 v7, -1.0 :: v_dual_mov_b32 v9, 1.0
	s_wait_xcnt 0x0
	s_mov_b32 s1, 0
	s_delay_alu instid0(SALU_CYCLE_1) | instskip(SKIP_3) | instid1(SALU_CYCLE_1)
	s_mov_b32 s3, s1
	s_mov_b32 s5, s1
	s_wait_kmcnt 0x0
	s_and_b32 s0, s0, 0xffff
	s_lshl_b32 s2, s0, 3
.LBB90_24:                              ; =>This Inner Loop Header: Depth=1
	global_load_b64 v[14:15], v[10:11], off
	v_add_nc_u64_e32 v[0:1], s[0:1], v[0:1]
	s_wait_loadcnt 0x0
	v_lshlrev_b32_e32 v18, 16, v14
	v_and_b32_e32 v19, 0xffff0000, v14
	v_alignbit_b32 v8, v15, v14, 16
	v_and_b32_e32 v15, 0xffff0000, v15
	s_delay_alu instid0(VALU_DEP_4)
	v_add_f32_e64 v6, 0xbf317218, |v18|
	v_and_b32_e32 v4, 0x7fffffff, v18
	v_add_f32_e64 v24, 0xbf317218, |v19|
	v_and_b32_e32 v14, 0xffff0000, v8
	v_add_f32_e64 v25, 0xbf317218, |v15|
	v_sub_f32_e64 v17, v6, |v18|
	v_cmp_nlt_f32_e64 vcc_lo, 0x42b2d4fc, |v19|
	v_sub_f32_e64 v21, v24, |v19|
	v_add_f32_e64 v8, 0xbf317218, |v14|
	v_sub_f32_e64 v23, v25, |v15|
	s_delay_alu instid0(VALU_DEP_1) | instskip(NEXT) | instid1(VALU_DEP_1)
	v_dual_sub_f32 v16, v17, v6 :: v_dual_sub_f32 v22, v23, v25
	v_pk_add_f32 v[16:17], v[4:5], v[16:17]
	v_and_b32_e32 v4, 0x7fffffff, v19
	s_delay_alu instid0(VALU_DEP_2) | instskip(SKIP_1) | instid1(VALU_DEP_2)
	v_sub_f32_e32 v16, v16, v17
	v_sub_f32_e64 v17, v8, |v14|
	v_add_f32_e32 v26, 0x3102e308, v16
	v_sub_f32_e32 v20, v21, v24
	s_delay_alu instid0(VALU_DEP_2) | instskip(NEXT) | instid1(VALU_DEP_2)
	v_dual_sub_f32 v16, v17, v8 :: v_dual_add_f32 v27, v6, v26
	v_pk_add_f32 v[20:21], v[4:5], v[20:21]
	v_and_b32_e32 v4, 0x7fffffff, v14
	s_delay_alu instid0(VALU_DEP_2) | instskip(SKIP_1) | instid1(VALU_DEP_3)
	v_dual_sub_f32 v6, v6, v27 :: v_dual_sub_f32 v20, v20, v21
	v_mul_f32_e32 v21, 0x3fb8aa3b, v27
	v_pk_add_f32 v[16:17], v[4:5], v[16:17]
	v_and_b32_e32 v4, 0x7fffffff, v15
	s_delay_alu instid0(VALU_DEP_4) | instskip(SKIP_4) | instid1(VALU_DEP_3)
	v_add_f32_e32 v6, v26, v6
	v_add_f32_e32 v28, 0x3102e308, v20
	v_rndne_f32_e32 v32, v21
	v_sub_f32_e32 v20, v16, v17
	v_pk_add_f32 v[16:17], v[4:5], v[22:23]
	v_fmac_f32_e32 v27, 0xbf317200, v32
	s_delay_alu instid0(VALU_DEP_2) | instskip(SKIP_1) | instid1(VALU_DEP_2)
	v_dual_add_f32 v21, 0x3102e308, v20 :: v_dual_sub_f32 v16, v16, v17
	v_add_f32_e32 v4, v24, v28
	v_dual_mul_f32 v23, 0x35bfbc00, v32 :: v_dual_add_f32 v30, v8, v21
	s_delay_alu instid0(VALU_DEP_2) | instskip(SKIP_1) | instid1(VALU_DEP_3)
	v_dual_sub_f32 v22, v24, v4 :: v_dual_add_f32 v24, v6, v27
	v_mul_f32_e32 v26, 0x3fb8aa3b, v4
	v_sub_f32_e32 v8, v8, v30
	s_delay_alu instid0(VALU_DEP_3) | instskip(NEXT) | instid1(VALU_DEP_3)
	v_sub_f32_e32 v20, v24, v23
	v_rndne_f32_e32 v33, v26
	v_dual_sub_f32 v26, v27, v24 :: v_dual_mul_f32 v27, 0x3fb8aa3b, v30
	v_dual_mul_f32 v17, 0x2ea39ef3, v32 :: v_dual_add_f32 v22, v28, v22
	s_delay_alu instid0(VALU_DEP_2) | instskip(NEXT) | instid1(VALU_DEP_3)
	v_dual_sub_f32 v24, v24, v20 :: v_dual_add_f32 v6, v6, v26
	v_rndne_f32_e32 v36, v27
	v_dual_mul_f32 v35, 0x35bfbc00, v33 :: v_dual_add_f32 v8, v21, v8
	s_delay_alu instid0(VALU_DEP_3) | instskip(NEXT) | instid1(VALU_DEP_3)
	v_dual_sub_f32 v24, v24, v23 :: v_dual_mul_f32 v23, 0x2ea39ef3, v33
	v_fmac_f32_e32 v30, 0xbf317200, v36
	v_add_f32_e32 v16, 0x3102e308, v16
	v_cvt_i32_f32_e32 v32, v32
	s_delay_alu instid0(VALU_DEP_3) | instskip(NEXT) | instid1(VALU_DEP_1)
	v_dual_add_f32 v6, v6, v24 :: v_dual_add_f32 v39, v8, v30
	v_dual_add_f32 v34, v25, v16 :: v_dual_add_f32 v21, v20, v6
	s_delay_alu instid0(VALU_DEP_1) | instskip(NEXT) | instid1(VALU_DEP_1)
	v_dual_mul_f32 v37, 0x35bfbc00, v36 :: v_dual_sub_f32 v24, v25, v34
	v_dual_add_f32 v24, v16, v24 :: v_dual_mov_b32 v16, v21
	s_delay_alu instid0(VALU_DEP_1) | instskip(SKIP_1) | instid1(VALU_DEP_4)
	v_pk_add_f32 v[28:29], v[20:21], v[16:17] neg_lo:[0,1] neg_hi:[0,1]
	v_mul_f32_e32 v26, 0x3fb8aa3b, v34
	v_sub_f32_e32 v16, v39, v37
	s_delay_alu instid0(VALU_DEP_3) | instskip(NEXT) | instid1(VALU_DEP_3)
	v_sub_f32_e32 v21, v21, v29
	v_rndne_f32_e32 v38, v26
	s_delay_alu instid0(VALU_DEP_1) | instskip(NEXT) | instid1(VALU_DEP_1)
	v_dual_sub_f32 v17, v21, v17 :: v_dual_fmac_f32 v34, 0xbf317200, v38
	v_dual_fmac_f32 v4, 0xbf317200, v33 :: v_dual_add_f32 v21, v24, v34
	s_delay_alu instid0(VALU_DEP_1) | instskip(NEXT) | instid1(VALU_DEP_1)
	v_add_f32_e32 v27, v22, v4
	v_dual_mul_f32 v25, 0x2ea39ef3, v36 :: v_dual_sub_f32 v4, v4, v27
	v_dual_sub_f32 v26, v27, v35 :: v_dual_mul_f32 v31, 0x2ea39ef3, v38
	s_delay_alu instid0(VALU_DEP_1) | instskip(SKIP_1) | instid1(VALU_DEP_2)
	v_dual_add_f32 v4, v22, v4 :: v_dual_sub_f32 v20, v27, v26
	v_sub_f32_e32 v22, v30, v39
	v_dual_add_f32 v6, v6, v28 :: v_dual_sub_f32 v20, v20, v35
	v_dual_sub_f32 v27, v39, v16 :: v_dual_mul_f32 v40, 0x35bfbc00, v38
	s_delay_alu instid0(VALU_DEP_2) | instskip(NEXT) | instid1(VALU_DEP_2)
	v_dual_add_f32 v8, v8, v22 :: v_dual_add_f32 v6, v6, v17
	v_dual_add_f32 v4, v4, v20 :: v_dual_sub_f32 v17, v27, v37
	s_delay_alu instid0(VALU_DEP_3) | instskip(NEXT) | instid1(VALU_DEP_2)
	v_dual_sub_f32 v20, v21, v40 :: v_dual_sub_f32 v28, v34, v21
	v_dual_add_f32 v34, v29, v6 :: v_dual_add_f32 v27, v26, v4
	s_delay_alu instid0(VALU_DEP_2) | instskip(NEXT) | instid1(VALU_DEP_2)
	v_dual_add_f32 v8, v8, v17 :: v_dual_sub_f32 v21, v21, v20
	v_dual_add_f32 v24, v24, v28 :: v_dual_sub_f32 v30, v29, v34
	s_delay_alu instid0(VALU_DEP_2) | instskip(NEXT) | instid1(VALU_DEP_3)
	v_dual_mov_b32 v22, v27 :: v_dual_add_f32 v17, v16, v8
	v_sub_f32_e32 v21, v21, v40
	s_delay_alu instid0(VALU_DEP_2) | instskip(SKIP_1) | instid1(VALU_DEP_3)
	v_pk_add_f32 v[28:29], v[26:27], v[22:23] neg_lo:[0,1] neg_hi:[0,1]
	v_mul_f32_e32 v26, v34, v34
	v_dual_add_f32 v35, v6, v30 :: v_dual_add_f32 v37, v24, v21
	s_delay_alu instid0(VALU_DEP_3) | instskip(NEXT) | instid1(VALU_DEP_2)
	v_dual_fmaak_f32 v6, s4, v34, 0x3c091de6 :: v_dual_sub_f32 v21, v27, v29
	v_dual_fma_f32 v27, v34, v34, -v26 :: v_dual_add_f32 v22, v35, v35
	v_dual_mov_b32 v24, v17 :: v_dual_add_f32 v4, v4, v28
	s_delay_alu instid0(VALU_DEP_3) | instskip(NEXT) | instid1(VALU_DEP_3)
	v_fmaak_f32 v6, v34, v6, 0x3d2aadcc
	v_dual_sub_f32 v28, v21, v23 :: v_dual_fmac_f32 v27, v34, v22
	v_add_f32_e32 v21, v20, v37
	s_delay_alu instid0(VALU_DEP_4) | instskip(NEXT) | instid1(VALU_DEP_3)
	v_pk_add_f32 v[22:23], v[16:17], v[24:25] neg_lo:[0,1] neg_hi:[0,1]
	v_dual_add_f32 v4, v4, v28 :: v_dual_add_f32 v24, v26, v27
	v_fmaak_f32 v6, v34, v6, 0x3e2aaa47
	s_delay_alu instid0(VALU_DEP_3) | instskip(SKIP_1) | instid1(VALU_DEP_4)
	v_sub_f32_e32 v28, v17, v23
	v_mov_b32_e32 v30, v21
	v_dual_add_f32 v39, v29, v4 :: v_dual_sub_f32 v26, v24, v26
	s_delay_alu instid0(VALU_DEP_3) | instskip(SKIP_1) | instid1(VALU_DEP_4)
	v_dual_fmaak_f32 v6, v34, v6, 0x3efffffc :: v_dual_sub_f32 v25, v28, v25
	v_add_f32_e32 v8, v8, v22
	v_pk_add_f32 v[16:17], v[20:21], v[30:31] neg_lo:[0,1] neg_hi:[0,1]
	s_delay_alu instid0(VALU_DEP_3) | instskip(SKIP_1) | instid1(VALU_DEP_3)
	v_dual_sub_f32 v20, v29, v39 :: v_dual_mul_f32 v40, v6, v24
	v_sub_f32_e32 v22, v27, v26
	v_dual_mul_f32 v26, v39, v39 :: v_dual_sub_f32 v21, v21, v17
	s_delay_alu instid0(VALU_DEP_3) | instskip(NEXT) | instid1(VALU_DEP_4)
	v_add_f32_e32 v4, v4, v20
	v_fma_f32 v24, v24, v6, -v40
	v_fmaak_f32 v20, s4, v39, 0x3c091de6
	v_dual_add_f32 v16, v37, v16 :: v_dual_add_f32 v8, v8, v25
	s_delay_alu instid0(VALU_DEP_3) | instskip(SKIP_1) | instid1(VALU_DEP_1)
	v_dual_sub_f32 v21, v21, v31 :: v_dual_fmac_f32 v24, v22, v6
	v_dual_fma_f32 v22, v39, v39, -v26 :: v_dual_add_f32 v6, v4, v4
	v_dual_add_f32 v27, v40, v24 :: v_dual_fmac_f32 v22, v39, v6
	s_delay_alu instid0(VALU_DEP_1) | instskip(SKIP_1) | instid1(VALU_DEP_3)
	v_dual_add_f32 v6, v34, v27 :: v_dual_sub_f32 v25, v27, v40
	v_fmaak_f32 v20, v39, v20, 0x3d2aadcc
	v_add_f32_e32 v28, v26, v22
	s_delay_alu instid0(VALU_DEP_3) | instskip(NEXT) | instid1(VALU_DEP_2)
	v_dual_sub_f32 v29, v6, v34 :: v_dual_sub_f32 v24, v24, v25
	v_dual_add_f32 v25, v23, v8 :: v_dual_sub_f32 v26, v28, v26
	s_delay_alu instid0(VALU_DEP_4) | instskip(NEXT) | instid1(VALU_DEP_3)
	v_fmaak_f32 v20, v39, v20, 0x3e2aaa47
	v_sub_f32_e32 v27, v27, v29
	s_delay_alu instid0(VALU_DEP_4) | instskip(NEXT) | instid1(VALU_DEP_4)
	v_dual_add_f32 v24, v35, v24 :: v_dual_add_f32 v29, v16, v21
	v_dual_sub_f32 v22, v22, v26 :: v_dual_sub_f32 v21, v23, v25
	s_delay_alu instid0(VALU_DEP_2) | instskip(SKIP_1) | instid1(VALU_DEP_4)
	v_dual_fmaak_f32 v23, s4, v25, 0x3c091de6 :: v_dual_add_f32 v16, v24, v27
	v_mul_f32_e32 v24, v25, v25
	v_add_f32_e32 v34, v17, v29
	s_delay_alu instid0(VALU_DEP_2) | instskip(SKIP_1) | instid1(VALU_DEP_1)
	v_fma_f32 v27, v25, v25, -v24
	v_fmaak_f32 v20, v39, v20, 0x3efffffc
	v_mul_f32_e32 v30, v20, v28
	s_delay_alu instid0(VALU_DEP_1) | instskip(NEXT) | instid1(VALU_DEP_1)
	v_fma_f32 v26, v28, v20, -v30
	v_dual_add_f32 v8, v8, v21 :: v_dual_fmac_f32 v26, v22, v20
	v_add_f32_e32 v20, v6, v16
	s_delay_alu instid0(VALU_DEP_2) | instskip(NEXT) | instid1(VALU_DEP_2)
	v_dual_fmaak_f32 v22, v25, v23, 0x3d2aadcc :: v_dual_add_f32 v23, v8, v8
	v_dual_add_f32 v28, v30, v26 :: v_dual_add_f32 v21, 1.0, v20
	s_delay_alu instid0(VALU_DEP_2) | instskip(NEXT) | instid1(VALU_DEP_3)
	v_fmaak_f32 v31, v25, v22, 0x3e2aaa47
	v_fmac_f32_e32 v27, v25, v23
	s_delay_alu instid0(VALU_DEP_3) | instskip(NEXT) | instid1(VALU_DEP_4)
	v_pk_add_f32 v[22:23], v[20:21], v[6:7] neg_lo:[0,1] neg_hi:[0,1]
	v_dual_add_f32 v6, v39, v28 :: v_dual_sub_f32 v30, v28, v30
	s_delay_alu instid0(VALU_DEP_4) | instskip(SKIP_1) | instid1(VALU_DEP_3)
	v_fmaak_f32 v31, v25, v31, 0x3efffffc
	v_fmaak_f32 v23, s4, v34, 0x3c091de6
	v_dual_add_f32 v35, v24, v27 :: v_dual_sub_f32 v26, v26, v30
	s_delay_alu instid0(VALU_DEP_4) | instskip(NEXT) | instid1(VALU_DEP_2)
	v_dual_sub_f32 v30, v6, v39 :: v_dual_sub_f32 v17, v17, v34
	v_sub_f32_e32 v24, v35, v24
	s_delay_alu instid0(VALU_DEP_3) | instskip(NEXT) | instid1(VALU_DEP_3)
	v_dual_mul_f32 v37, v31, v35 :: v_dual_add_f32 v4, v4, v26
	v_dual_sub_f32 v26, v28, v30 :: v_dual_add_f32 v39, v29, v17
	s_delay_alu instid0(VALU_DEP_3) | instskip(NEXT) | instid1(VALU_DEP_2)
	v_dual_mul_f32 v30, v34, v34 :: v_dual_sub_f32 v17, v27, v24
	v_dual_fma_f32 v35, v35, v31, -v37 :: v_dual_add_f32 v24, v4, v26
	s_delay_alu instid0(VALU_DEP_2) | instskip(NEXT) | instid1(VALU_DEP_2)
	v_dual_add_f32 v27, v39, v39 :: v_dual_fma_f32 v4, v34, v34, -v30
	v_dual_fmac_f32 v35, v17, v31 :: v_dual_add_f32 v26, v6, v24
	s_delay_alu instid0(VALU_DEP_1) | instskip(NEXT) | instid1(VALU_DEP_1)
	v_dual_fmac_f32 v4, v34, v27 :: v_dual_add_f32 v27, 1.0, v26
	v_add_f32_e32 v40, v30, v4
	s_delay_alu instid0(VALU_DEP_2) | instskip(NEXT) | instid1(VALU_DEP_2)
	v_pk_add_f32 v[28:29], v[26:27], v[6:7] neg_lo:[0,1] neg_hi:[0,1]
	v_sub_f32_e32 v29, v40, v30
	v_fmaak_f32 v23, v34, v23, 0x3d2aadcc
	v_pk_add_f32 v[30:31], v[20:21], v[12:13]
	s_delay_alu instid0(VALU_DEP_2) | instskip(SKIP_1) | instid1(VALU_DEP_1)
	v_dual_sub_f32 v4, v4, v29 :: v_dual_fmaak_f32 v17, v34, v23, 0x3e2aaa47
	v_add_f32_e32 v23, v37, v35
	v_dual_add_f32 v6, v25, v23 :: v_dual_fmaak_f32 v41, v34, v17, 0x3efffffc
	v_sub_f32_e32 v17, v23, v37
	s_delay_alu instid0(VALU_DEP_2) | instskip(NEXT) | instid1(VALU_DEP_2)
	v_sub_f32_e32 v25, v6, v25
	v_sub_f32_e32 v17, v35, v17
	s_delay_alu instid0(VALU_DEP_1) | instskip(NEXT) | instid1(VALU_DEP_3)
	v_dual_add_f32 v8, v8, v17 :: v_dual_mul_f32 v37, v41, v40
	v_dual_mov_b32 v17, v20 :: v_dual_sub_f32 v25, v23, v25
	s_delay_alu instid0(VALU_DEP_2) | instskip(NEXT) | instid1(VALU_DEP_2)
	v_dual_mov_b32 v23, v31 :: v_dual_fma_f32 v29, v40, v41, -v37
	v_add_f32_e32 v20, v8, v25
	s_delay_alu instid0(VALU_DEP_2) | instskip(NEXT) | instid1(VALU_DEP_1)
	v_pk_add_f32 v[16:17], v[16:17], v[22:23] neg_lo:[0,1] neg_hi:[0,1]
	v_add_f32_e32 v8, v16, v17
	s_delay_alu instid0(VALU_DEP_1) | instskip(NEXT) | instid1(VALU_DEP_4)
	v_add_f32_e32 v25, v21, v8
	v_dual_add_f32 v22, v6, v20 :: v_dual_fmac_f32 v29, v4, v41
	s_delay_alu instid0(VALU_DEP_1) | instskip(NEXT) | instid1(VALU_DEP_2)
	v_dual_sub_f32 v21, v25, v21 :: v_dual_add_f32 v23, 1.0, v22
	v_add_f32_e32 v4, v37, v29
	s_delay_alu instid0(VALU_DEP_2) | instskip(NEXT) | instid1(VALU_DEP_2)
	v_pk_add_f32 v[30:31], v[22:23], v[6:7] neg_lo:[0,1] neg_hi:[0,1]
	v_sub_f32_e32 v16, v4, v37
	v_cvt_i32_f32_e32 v37, v33
	s_delay_alu instid0(VALU_DEP_2) | instskip(SKIP_3) | instid1(VALU_DEP_4)
	v_sub_f32_e32 v35, v29, v16
	v_pk_add_f32 v[16:17], v[26:27], v[12:13]
	v_ldexp_f32 v16, v25, v32
	v_mov_b32_e32 v25, v26
	v_dual_add_f32 v6, v34, v4 :: v_dual_add_f32 v31, v39, v35
	s_delay_alu instid0(VALU_DEP_4) | instskip(NEXT) | instid1(VALU_DEP_4)
	v_mov_b32_e32 v29, v17
	v_rcp_f32_e32 v48, v16
	v_cvt_i32_f32_e32 v39, v36
	s_delay_alu instid0(VALU_DEP_3) | instskip(NEXT) | instid1(VALU_DEP_3)
	v_sub_f32_e32 v17, v6, v34
	v_pk_add_f32 v[24:25], v[24:25], v[28:29] neg_lo:[0,1] neg_hi:[0,1]
	v_pk_add_f32 v[28:29], v[22:23], v[12:13]
	s_delay_alu instid0(VALU_DEP_3) | instskip(SKIP_1) | instid1(VALU_DEP_4)
	v_sub_f32_e32 v4, v4, v17
	v_sub_f32_e32 v8, v8, v21
	v_dual_add_f32 v25, v24, v25 :: v_dual_mov_b32 v21, v22
	v_mul_f32_e32 v26, v16, v48
	s_delay_alu instid0(VALU_DEP_4) | instskip(NEXT) | instid1(VALU_DEP_4)
	v_add_f32_e32 v24, v31, v4
	v_ldexp_f32 v17, v8, v32
	s_delay_alu instid0(VALU_DEP_4) | instskip(NEXT) | instid1(VALU_DEP_4)
	v_dual_add_f32 v4, v27, v25 :: v_dual_mov_b32 v31, v29
	v_fma_f32 v28, v48, v16, -v26
	s_delay_alu instid0(VALU_DEP_4) | instskip(NEXT) | instid1(VALU_DEP_3)
	v_add_f32_e32 v32, v6, v24
	v_ldexp_f32 v34, v4, v37
	s_delay_alu instid0(VALU_DEP_4) | instskip(NEXT) | instid1(VALU_DEP_3)
	v_pk_add_f32 v[20:21], v[20:21], v[30:31] neg_lo:[0,1] neg_hi:[0,1]
	v_dual_fmac_f32 v28, v48, v17 :: v_dual_add_f32 v33, 1.0, v32
	v_sub_f32_e32 v4, v4, v27
	s_delay_alu instid0(VALU_DEP_4) | instskip(NEXT) | instid1(VALU_DEP_2)
	v_rcp_f32_e32 v49, v34
	v_dual_add_f32 v40, v20, v21 :: v_dual_add_f32 v8, v26, v28
	s_delay_alu instid0(VALU_DEP_3) | instskip(NEXT) | instid1(VALU_DEP_3)
	v_pk_add_f32 v[30:31], v[32:33], v[12:13]
	v_sub_f32_e32 v4, v25, v4
	v_pk_add_f32 v[20:21], v[32:33], v[6:7] neg_lo:[0,1] neg_hi:[0,1]
	s_delay_alu instid0(TRANS32_DEP_1) | instskip(SKIP_4) | instid1(VALU_DEP_4)
	v_dual_mov_b32 v25, v32 :: v_dual_mul_f32 v22, v34, v49
	v_add_f32_e32 v6, v23, v40
	v_dual_mov_b32 v21, v31 :: v_dual_sub_f32 v27, 1.0, v8
	v_ldexp_f32 v35, v4, v37
	v_cvt_i32_f32_e32 v32, v38
	v_ldexp_f32 v30, v6, v39
	s_delay_alu instid0(VALU_DEP_4) | instskip(SKIP_2) | instid1(VALU_DEP_4)
	v_pk_add_f32 v[20:21], v[24:25], v[20:21] neg_lo:[0,1] neg_hi:[0,1]
	v_dual_fma_f32 v24, v49, v34, -v22 :: v_dual_mov_b32 v29, v8
	v_pk_add_f32 v[36:37], v[8:9], v[26:27] neg_lo:[0,1] neg_hi:[0,1]
	v_rcp_f32_e32 v50, v30
	s_delay_alu instid0(VALU_DEP_3) | instskip(NEXT) | instid1(VALU_DEP_3)
	v_dual_add_f32 v4, v20, v21 :: v_dual_sub_f32 v6, v6, v23
	v_fmac_f32_e32 v24, v49, v35
	s_delay_alu instid0(VALU_DEP_3) | instskip(NEXT) | instid1(VALU_DEP_3)
	v_pk_add_f32 v[20:21], v[36:37], v[28:29] neg_lo:[0,1] neg_hi:[0,1]
	v_dual_add_f32 v25, v33, v4 :: v_dual_sub_f32 v6, v40, v6
	s_delay_alu instid0(VALU_DEP_2) | instskip(NEXT) | instid1(TRANS32_DEP_1)
	v_dual_add_f32 v8, v22, v24 :: v_dual_add_f32 v41, v20, v21
	v_mul_f32_e32 v26, v30, v50
	s_delay_alu instid0(VALU_DEP_3) | instskip(NEXT) | instid1(VALU_DEP_4)
	v_ldexp_f32 v28, v25, v32
	v_ldexp_f32 v31, v6, v39
	s_delay_alu instid0(VALU_DEP_4) | instskip(NEXT) | instid1(VALU_DEP_4)
	v_dual_sub_f32 v23, 1.0, v8 :: v_dual_sub_f32 v21, v25, v33
	v_fma_f32 v20, v50, v30, -v26
	s_delay_alu instid0(VALU_DEP_4) | instskip(SKIP_1) | instid1(VALU_DEP_3)
	v_rcp_f32_e32 v6, v28
	v_dual_add_f32 v33, v27, v41 :: v_dual_mov_b32 v25, v8
	v_pk_add_f32 v[36:37], v[8:9], v[22:23] neg_lo:[0,1] neg_hi:[0,1]
	s_delay_alu instid0(VALU_DEP_3)
	v_dual_fmac_f32 v20, v50, v31 :: v_dual_sub_f32 v4, v4, v21
	s_delay_alu instid0(TRANS32_DEP_1) | instid1(VALU_DEP_3)
	v_dual_sub_f32 v22, v27, v33 :: v_dual_mul_f32 v38, v28, v6
	s_delay_alu instid0(VALU_DEP_3) | instskip(NEXT) | instid1(VALU_DEP_3)
	v_pk_add_f32 v[24:25], v[36:37], v[24:25] neg_lo:[0,1] neg_hi:[0,1]
	v_dual_add_f32 v8, v26, v20 :: v_dual_mul_f32 v42, v48, v33
	s_delay_alu instid0(VALU_DEP_4) | instskip(NEXT) | instid1(VALU_DEP_3)
	v_ldexp_f32 v29, v4, v32
	v_dual_fma_f32 v36, v6, v28, -v38 :: v_dual_add_f32 v4, v24, v25
	s_delay_alu instid0(VALU_DEP_3) | instskip(NEXT) | instid1(VALU_DEP_2)
	v_dual_sub_f32 v27, 1.0, v8 :: v_dual_mul_f32 v40, v16, v42
	v_dual_mov_b32 v21, v8 :: v_dual_fmac_f32 v36, v6, v29
	s_delay_alu instid0(VALU_DEP_3) | instskip(NEXT) | instid1(VALU_DEP_3)
	v_add_f32_e32 v43, v23, v4
	v_pk_add_f32 v[44:45], v[8:9], v[26:27] neg_lo:[0,1] neg_hi:[0,1]
	s_delay_alu instid0(VALU_DEP_4) | instskip(NEXT) | instid1(VALU_DEP_4)
	v_dual_fma_f32 v24, v42, v16, -v40 :: v_dual_add_f32 v51, v48, v42
	v_dual_add_f32 v8, v38, v36 :: v_dual_add_f32 v26, v41, v22
	s_delay_alu instid0(VALU_DEP_2) | instskip(NEXT) | instid1(VALU_DEP_2)
	v_dual_mul_f32 v52, v49, v43 :: v_dual_fmac_f32 v24, v42, v17
	v_dual_sub_f32 v53, v51, v48 :: v_dual_mov_b32 v37, v8
	v_sub_f32_e32 v39, 1.0, v8
	v_pk_add_f32 v[20:21], v[44:45], v[20:21] neg_lo:[0,1] neg_hi:[0,1]
	s_delay_alu instid0(VALU_DEP_4) | instskip(NEXT) | instid1(VALU_DEP_3)
	v_dual_add_f32 v32, v40, v24 :: v_dual_sub_f32 v23, v23, v43
	v_pk_add_f32 v[46:47], v[8:9], v[38:39] neg_lo:[0,1] neg_hi:[0,1]
	s_delay_alu instid0(VALU_DEP_3) | instskip(NEXT) | instid1(VALU_DEP_3)
	v_add_f32_e32 v8, v20, v21
	v_add_f32_e32 v4, v4, v23
	s_delay_alu instid0(VALU_DEP_3) | instskip(SKIP_2) | instid1(VALU_DEP_1)
	v_pk_add_f32 v[36:37], v[46:47], v[36:37] neg_lo:[0,1] neg_hi:[0,1]
	v_sub_f32_e32 v46, v42, v53
	v_dual_mul_f32 v22, v34, v52 :: v_dual_mov_b32 v25, v32
	v_dual_sub_f32 v41, v33, v32 :: v_dual_fma_f32 v44, v52, v34, -v22
	s_delay_alu instid0(VALU_DEP_1) | instskip(NEXT) | instid1(VALU_DEP_2)
	v_pk_add_f32 v[32:33], v[32:33], v[40:41] neg_lo:[0,1] neg_hi:[0,1]
	v_fmac_f32_e32 v44, v52, v35
	s_delay_alu instid0(VALU_DEP_2) | instskip(SKIP_1) | instid1(VALU_DEP_3)
	v_pk_add_f32 v[20:21], v[32:33], v[24:25] neg_lo:[0,1] neg_hi:[0,1]
	v_dual_add_f32 v25, v27, v8 :: v_dual_add_f32 v47, v36, v37
	v_add_f32_e32 v42, v22, v44
	s_delay_alu instid0(VALU_DEP_3) | instskip(NEXT) | instid1(VALU_DEP_3)
	v_add_f32_e32 v21, v26, v21
	v_dual_mul_f32 v53, v50, v25 :: v_dual_add_f32 v33, v39, v47
	s_delay_alu instid0(VALU_DEP_3) | instskip(NEXT) | instid1(VALU_DEP_3)
	v_dual_sub_f32 v23, v43, v42 :: v_dual_mov_b32 v45, v42
	v_add_f32_e32 v21, v20, v21
	s_delay_alu instid0(VALU_DEP_3) | instskip(NEXT) | instid1(VALU_DEP_4)
	v_mul_f32_e32 v54, v6, v33
	v_mul_f32_e32 v20, v30, v53
	s_delay_alu instid0(VALU_DEP_4) | instskip(NEXT) | instid1(VALU_DEP_3)
	v_pk_add_f32 v[36:37], v[42:43], v[22:23] neg_lo:[0,1] neg_hi:[0,1]
	v_dual_mul_f32 v26, v28, v54 :: v_dual_add_f32 v21, v41, v21
	s_delay_alu instid0(VALU_DEP_2) | instskip(NEXT) | instid1(VALU_DEP_2)
	v_pk_add_f32 v[36:37], v[36:37], v[44:45] neg_lo:[0,1] neg_hi:[0,1]
	v_dual_sub_f32 v44, v27, v25 :: v_dual_fma_f32 v38, v54, v28, -v26
	s_delay_alu instid0(VALU_DEP_3) | instskip(SKIP_1) | instid1(VALU_DEP_3)
	v_dual_fma_f32 v40, v53, v30, -v20 :: v_dual_mul_f32 v21, v48, v21
	v_add_f32_e32 v22, v49, v52
	v_dual_add_f32 v8, v8, v44 :: v_dual_fmac_f32 v38, v54, v29
	s_delay_alu instid0(VALU_DEP_3) | instskip(NEXT) | instid1(VALU_DEP_1)
	v_dual_fmac_f32 v40, v53, v31 :: v_dual_add_f32 v43, v46, v21
	v_dual_sub_f32 v32, v22, v49 :: v_dual_add_f32 v24, v20, v40
	s_delay_alu instid0(VALU_DEP_1) | instskip(NEXT) | instid1(VALU_DEP_2)
	v_dual_sub_f32 v42, v52, v32 :: v_dual_add_f32 v32, v26, v38
	v_dual_add_f32 v4, v4, v37 :: v_dual_sub_f32 v21, v25, v24
	s_delay_alu instid0(VALU_DEP_2) | instskip(NEXT) | instid1(VALU_DEP_2)
	v_dual_mov_b32 v41, v24 :: v_dual_sub_f32 v27, v33, v32
	v_add_f32_e32 v4, v36, v4
	s_delay_alu instid0(VALU_DEP_3) | instskip(SKIP_1) | instid1(VALU_DEP_4)
	v_pk_add_f32 v[24:25], v[24:25], v[20:21] neg_lo:[0,1] neg_hi:[0,1]
	v_dual_sub_f32 v20, v39, v33 :: v_dual_mov_b32 v39, v32
	v_pk_add_f32 v[32:33], v[32:33], v[26:27] neg_lo:[0,1] neg_hi:[0,1]
	v_add_f32_e32 v26, v50, v53
	s_delay_alu instid0(VALU_DEP_4) | instskip(NEXT) | instid1(VALU_DEP_4)
	v_pk_add_f32 v[24:25], v[24:25], v[40:41] neg_lo:[0,1] neg_hi:[0,1]
	v_add_f32_e32 v20, v47, v20
	v_add_f32_e32 v4, v23, v4
	v_pk_add_f32 v[32:33], v[32:33], v[38:39] neg_lo:[0,1] neg_hi:[0,1]
	s_delay_alu instid0(VALU_DEP_4) | instskip(NEXT) | instid1(VALU_DEP_2)
	v_dual_add_f32 v23, v51, v43 :: v_dual_add_f32 v8, v8, v25
	v_dual_mul_f32 v4, v49, v4 :: v_dual_add_f32 v20, v20, v33
	s_delay_alu instid0(VALU_DEP_2) | instskip(SKIP_1) | instid1(VALU_DEP_3)
	v_dual_sub_f32 v25, v23, v51 :: v_dual_add_f32 v8, v24, v8
	v_add_f32_e32 v33, v6, v54
	v_dual_sub_f32 v24, v26, v50 :: v_dual_add_f32 v20, v32, v20
	s_delay_alu instid0(VALU_DEP_4) | instskip(NEXT) | instid1(VALU_DEP_4)
	v_add_f32_e32 v4, v42, v4
	v_add_f32_e32 v8, v21, v8
	s_delay_alu instid0(VALU_DEP_4) | instskip(NEXT) | instid1(VALU_DEP_4)
	v_dual_sub_f32 v21, v33, v6 :: v_dual_sub_f32 v25, v43, v25
	v_add_f32_e32 v20, v27, v20
	s_delay_alu instid0(VALU_DEP_4) | instskip(NEXT) | instid1(VALU_DEP_3)
	v_add_f32_e32 v27, v22, v4
	v_dual_sub_f32 v24, v53, v24 :: v_dual_sub_f32 v21, v54, v21
	s_delay_alu instid0(VALU_DEP_2) | instskip(SKIP_1) | instid1(VALU_DEP_2)
	v_dual_sub_f32 v22, v27, v22 :: v_dual_mul_f32 v6, v6, v20
	v_ldexp_f32 v20, v23, -2
	v_dual_sub_f32 v4, v4, v22 :: v_dual_mul_f32 v8, v50, v8
	s_delay_alu instid0(VALU_DEP_3) | instskip(SKIP_2) | instid1(VALU_DEP_4)
	v_add_f32_e32 v6, v21, v6
	v_ldexp_f32 v21, v25, -2
	v_ldexp_f32 v22, v27, -2
	;; [unrolled: 1-line block ×3, first 2 shown]
	s_delay_alu instid0(VALU_DEP_4) | instskip(NEXT) | instid1(VALU_DEP_4)
	v_dual_add_f32 v8, v24, v8 :: v_dual_add_f32 v36, v33, v6
	v_pk_add_f32 v[24:25], v[16:17], v[20:21]
	s_delay_alu instid0(VALU_DEP_2) | instskip(NEXT) | instid1(VALU_DEP_2)
	v_dual_add_f32 v32, v26, v8 :: v_dual_sub_f32 v21, v36, v33
	v_mov_b32_e32 v17, v24
	v_ldexp_f32 v36, v36, -2
	s_delay_alu instid0(VALU_DEP_3) | instskip(SKIP_2) | instid1(VALU_DEP_3)
	v_dual_sub_f32 v4, v32, v26 :: v_dual_sub_f32 v6, v6, v21
	v_pk_add_f32 v[26:27], v[34:35], v[22:23]
	v_dual_mov_b32 v35, v16 :: v_dual_mov_b32 v23, v20
	v_sub_f32_e32 v4, v8, v4
	v_ldexp_f32 v32, v32, -2
	s_delay_alu instid0(VALU_DEP_4) | instskip(SKIP_3) | instid1(VALU_DEP_4)
	v_mov_b32_e32 v16, v26
	v_ldexp_f32 v37, v6, -2
	v_mov_b32_e32 v24, v27
	v_ldexp_f32 v33, v4, -2
	v_pk_add_f32 v[20:21], v[16:17], v[34:35] neg_lo:[0,1] neg_hi:[0,1]
	s_delay_alu instid0(VALU_DEP_4) | instskip(SKIP_1) | instid1(VALU_DEP_4)
	v_pk_add_f32 v[38:39], v[28:29], v[36:37]
	v_mov_b32_e32 v29, v30
	v_pk_add_f32 v[34:35], v[30:31], v[32:33]
	v_mov_b32_e32 v37, v32
	v_pk_add_f32 v[20:21], v[22:23], v[20:21] neg_lo:[0,1] neg_hi:[0,1]
	s_delay_alu instid0(VALU_DEP_3) | instskip(NEXT) | instid1(VALU_DEP_2)
	v_dual_mov_b32 v22, v38 :: v_dual_mov_b32 v23, v34
	v_pk_add_f32 v[20:21], v[24:25], v[20:21]
	s_delay_alu instid0(VALU_DEP_2) | instskip(NEXT) | instid1(VALU_DEP_2)
	v_pk_add_f32 v[24:25], v[22:23], v[28:29] neg_lo:[0,1] neg_hi:[0,1]
	v_pk_add_f32 v[16:17], v[16:17], v[20:21]
	s_delay_alu instid0(VALU_DEP_2) | instskip(NEXT) | instid1(VALU_DEP_2)
	v_pk_add_f32 v[20:21], v[36:37], v[24:25] neg_lo:[0,1] neg_hi:[0,1]
	v_cndmask_b32_e32 v4, 0x7f800000, v16, vcc_lo
	v_cmp_nlt_f32_e64 vcc_lo, 0x42b2d4fc, |v18|
	s_delay_alu instid0(VALU_DEP_2) | instskip(SKIP_3) | instid1(VALU_DEP_4)
	v_bfe_u32 v8, v4, 16, 1
	v_cndmask_b32_e32 v6, 0x7f800000, v17, vcc_lo
	v_cmp_nlt_f32_e64 vcc_lo, 0x42b2d4fc, |v15|
	v_mov_b32_e32 v34, v39
	v_add3_u32 v8, v4, v8, 0x7fff
	s_delay_alu instid0(VALU_DEP_4) | instskip(NEXT) | instid1(VALU_DEP_3)
	v_bfe_u32 v18, v6, 16, 1
	v_pk_add_f32 v[20:21], v[34:35], v[20:21]
	s_delay_alu instid0(VALU_DEP_3) | instskip(NEXT) | instid1(VALU_DEP_2)
	v_and_b32_e32 v8, 0xffff0000, v8
	v_pk_add_f32 v[16:17], v[22:23], v[20:21]
	s_delay_alu instid0(VALU_DEP_1) | instskip(SKIP_2) | instid1(VALU_DEP_4)
	v_cndmask_b32_e32 v15, 0x7f800000, v16, vcc_lo
	v_cmp_nlt_f32_e64 vcc_lo, 0x42b2d4fc, |v14|
	v_add3_u32 v16, v6, v18, 0x7fff
	v_cndmask_b32_e32 v14, 0x7f800000, v17, vcc_lo
	s_delay_alu instid0(VALU_DEP_4) | instskip(SKIP_1) | instid1(VALU_DEP_4)
	v_bfe_u32 v17, v15, 16, 1
	v_cmp_o_f32_e32 vcc_lo, v4, v4
	v_lshrrev_b32_e32 v16, 16, v16
	s_delay_alu instid0(VALU_DEP_4) | instskip(SKIP_3) | instid1(VALU_DEP_4)
	v_bfe_u32 v18, v14, 16, 1
	v_cndmask_b32_e32 v4, 0x7fc00000, v8, vcc_lo
	v_add3_u32 v8, v15, v17, 0x7fff
	v_cmp_o_f32_e32 vcc_lo, v6, v6
	v_add3_u32 v17, v14, v18, 0x7fff
	s_delay_alu instid0(VALU_DEP_3) | instskip(SKIP_2) | instid1(VALU_DEP_2)
	v_and_b32_e32 v8, 0xffff0000, v8
	v_cndmask_b32_e32 v6, 0x7fc0, v16, vcc_lo
	v_cmp_o_f32_e32 vcc_lo, v15, v15
	v_dual_lshrrev_b32 v16, 16, v17 :: v_dual_bitop2_b32 v4, v6, v4 bitop3:0x54
	s_delay_alu instid0(VALU_DEP_4) | instskip(SKIP_2) | instid1(VALU_DEP_4)
	v_cndmask_b32_e32 v6, 0x7fc00000, v8, vcc_lo
	v_cmp_o_f32_e32 vcc_lo, v14, v14
	v_lshlrev_b64_e32 v[14:15], 2, v[0:1]
	v_cndmask_b32_e32 v8, 0x7fc0, v16, vcc_lo
	v_or3_b32 v16, v4, 0, 0
	s_delay_alu instid0(VALU_DEP_3) | instskip(NEXT) | instid1(VALU_DEP_3)
	v_cmp_ge_i64_e32 vcc_lo, v[14:15], v[2:3]
	v_or3_b32 v17, 0, v8, v6
	global_store_b64 v[10:11], v[16:17], off
	s_wait_xcnt 0x0
	v_add_nc_u64_e32 v[10:11], s[2:3], v[10:11]
	s_or_b32 s5, vcc_lo, s5
	s_delay_alu instid0(SALU_CYCLE_1)
	s_and_not1_b32 exec_lo, exec_lo, s5
	s_cbranch_execnz .LBB90_24
.LBB90_25:
	s_endpgm
	.section	.rodata,"a",@progbits
	.p2align	6, 0x0
	.amdhsa_kernel _ZN2at6native12_GLOBAL__N_125multi_tensor_apply_kernelINS1_18TensorListMetadataILi1EEENS1_14UnaryOpFunctorIN3c108BFloat16ELi1ELi1ELi0EEEJNS0_4CoshIfEEEEEvT_T0_DpT1_
		.amdhsa_group_segment_fixed_size 0
		.amdhsa_private_segment_fixed_size 0
		.amdhsa_kernarg_size 3632
		.amdhsa_user_sgpr_count 2
		.amdhsa_user_sgpr_dispatch_ptr 0
		.amdhsa_user_sgpr_queue_ptr 0
		.amdhsa_user_sgpr_kernarg_segment_ptr 1
		.amdhsa_user_sgpr_dispatch_id 0
		.amdhsa_user_sgpr_kernarg_preload_length 0
		.amdhsa_user_sgpr_kernarg_preload_offset 0
		.amdhsa_user_sgpr_private_segment_size 0
		.amdhsa_wavefront_size32 1
		.amdhsa_uses_dynamic_stack 0
		.amdhsa_enable_private_segment 0
		.amdhsa_system_sgpr_workgroup_id_x 1
		.amdhsa_system_sgpr_workgroup_id_y 0
		.amdhsa_system_sgpr_workgroup_id_z 0
		.amdhsa_system_sgpr_workgroup_info 0
		.amdhsa_system_vgpr_workitem_id 0
		.amdhsa_next_free_vgpr 55
		.amdhsa_next_free_sgpr 22
		.amdhsa_named_barrier_count 0
		.amdhsa_reserve_vcc 1
		.amdhsa_float_round_mode_32 0
		.amdhsa_float_round_mode_16_64 0
		.amdhsa_float_denorm_mode_32 3
		.amdhsa_float_denorm_mode_16_64 3
		.amdhsa_fp16_overflow 0
		.amdhsa_memory_ordered 1
		.amdhsa_forward_progress 1
		.amdhsa_inst_pref_size 59
		.amdhsa_round_robin_scheduling 0
		.amdhsa_exception_fp_ieee_invalid_op 0
		.amdhsa_exception_fp_denorm_src 0
		.amdhsa_exception_fp_ieee_div_zero 0
		.amdhsa_exception_fp_ieee_overflow 0
		.amdhsa_exception_fp_ieee_underflow 0
		.amdhsa_exception_fp_ieee_inexact 0
		.amdhsa_exception_int_div_zero 0
	.end_amdhsa_kernel
	.section	.text._ZN2at6native12_GLOBAL__N_125multi_tensor_apply_kernelINS1_18TensorListMetadataILi1EEENS1_14UnaryOpFunctorIN3c108BFloat16ELi1ELi1ELi0EEEJNS0_4CoshIfEEEEEvT_T0_DpT1_,"axG",@progbits,_ZN2at6native12_GLOBAL__N_125multi_tensor_apply_kernelINS1_18TensorListMetadataILi1EEENS1_14UnaryOpFunctorIN3c108BFloat16ELi1ELi1ELi0EEEJNS0_4CoshIfEEEEEvT_T0_DpT1_,comdat
.Lfunc_end90:
	.size	_ZN2at6native12_GLOBAL__N_125multi_tensor_apply_kernelINS1_18TensorListMetadataILi1EEENS1_14UnaryOpFunctorIN3c108BFloat16ELi1ELi1ELi0EEEJNS0_4CoshIfEEEEEvT_T0_DpT1_, .Lfunc_end90-_ZN2at6native12_GLOBAL__N_125multi_tensor_apply_kernelINS1_18TensorListMetadataILi1EEENS1_14UnaryOpFunctorIN3c108BFloat16ELi1ELi1ELi0EEEJNS0_4CoshIfEEEEEvT_T0_DpT1_
                                        ; -- End function
	.set _ZN2at6native12_GLOBAL__N_125multi_tensor_apply_kernelINS1_18TensorListMetadataILi1EEENS1_14UnaryOpFunctorIN3c108BFloat16ELi1ELi1ELi0EEEJNS0_4CoshIfEEEEEvT_T0_DpT1_.num_vgpr, 55
	.set _ZN2at6native12_GLOBAL__N_125multi_tensor_apply_kernelINS1_18TensorListMetadataILi1EEENS1_14UnaryOpFunctorIN3c108BFloat16ELi1ELi1ELi0EEEJNS0_4CoshIfEEEEEvT_T0_DpT1_.num_agpr, 0
	.set _ZN2at6native12_GLOBAL__N_125multi_tensor_apply_kernelINS1_18TensorListMetadataILi1EEENS1_14UnaryOpFunctorIN3c108BFloat16ELi1ELi1ELi0EEEJNS0_4CoshIfEEEEEvT_T0_DpT1_.numbered_sgpr, 22
	.set _ZN2at6native12_GLOBAL__N_125multi_tensor_apply_kernelINS1_18TensorListMetadataILi1EEENS1_14UnaryOpFunctorIN3c108BFloat16ELi1ELi1ELi0EEEJNS0_4CoshIfEEEEEvT_T0_DpT1_.num_named_barrier, 0
	.set _ZN2at6native12_GLOBAL__N_125multi_tensor_apply_kernelINS1_18TensorListMetadataILi1EEENS1_14UnaryOpFunctorIN3c108BFloat16ELi1ELi1ELi0EEEJNS0_4CoshIfEEEEEvT_T0_DpT1_.private_seg_size, 0
	.set _ZN2at6native12_GLOBAL__N_125multi_tensor_apply_kernelINS1_18TensorListMetadataILi1EEENS1_14UnaryOpFunctorIN3c108BFloat16ELi1ELi1ELi0EEEJNS0_4CoshIfEEEEEvT_T0_DpT1_.uses_vcc, 1
	.set _ZN2at6native12_GLOBAL__N_125multi_tensor_apply_kernelINS1_18TensorListMetadataILi1EEENS1_14UnaryOpFunctorIN3c108BFloat16ELi1ELi1ELi0EEEJNS0_4CoshIfEEEEEvT_T0_DpT1_.uses_flat_scratch, 0
	.set _ZN2at6native12_GLOBAL__N_125multi_tensor_apply_kernelINS1_18TensorListMetadataILi1EEENS1_14UnaryOpFunctorIN3c108BFloat16ELi1ELi1ELi0EEEJNS0_4CoshIfEEEEEvT_T0_DpT1_.has_dyn_sized_stack, 0
	.set _ZN2at6native12_GLOBAL__N_125multi_tensor_apply_kernelINS1_18TensorListMetadataILi1EEENS1_14UnaryOpFunctorIN3c108BFloat16ELi1ELi1ELi0EEEJNS0_4CoshIfEEEEEvT_T0_DpT1_.has_recursion, 0
	.set _ZN2at6native12_GLOBAL__N_125multi_tensor_apply_kernelINS1_18TensorListMetadataILi1EEENS1_14UnaryOpFunctorIN3c108BFloat16ELi1ELi1ELi0EEEJNS0_4CoshIfEEEEEvT_T0_DpT1_.has_indirect_call, 0
	.section	.AMDGPU.csdata,"",@progbits
; Kernel info:
; codeLenInByte = 7484
; TotalNumSgprs: 24
; NumVgprs: 55
; ScratchSize: 0
; MemoryBound: 0
; FloatMode: 240
; IeeeMode: 1
; LDSByteSize: 0 bytes/workgroup (compile time only)
; SGPRBlocks: 0
; VGPRBlocks: 3
; NumSGPRsForWavesPerEU: 24
; NumVGPRsForWavesPerEU: 55
; NamedBarCnt: 0
; Occupancy: 16
; WaveLimiterHint : 0
; COMPUTE_PGM_RSRC2:SCRATCH_EN: 0
; COMPUTE_PGM_RSRC2:USER_SGPR: 2
; COMPUTE_PGM_RSRC2:TRAP_HANDLER: 0
; COMPUTE_PGM_RSRC2:TGID_X_EN: 1
; COMPUTE_PGM_RSRC2:TGID_Y_EN: 0
; COMPUTE_PGM_RSRC2:TGID_Z_EN: 0
; COMPUTE_PGM_RSRC2:TIDIG_COMP_CNT: 0
	.section	.text._ZN2at6native12_GLOBAL__N_125multi_tensor_apply_kernelINS1_18TensorListMetadataILi2EEENS1_14UnaryOpFunctorIdLi2ELi1ELi1EEEJNS0_3TanIdEEEEEvT_T0_DpT1_,"axG",@progbits,_ZN2at6native12_GLOBAL__N_125multi_tensor_apply_kernelINS1_18TensorListMetadataILi2EEENS1_14UnaryOpFunctorIdLi2ELi1ELi1EEEJNS0_3TanIdEEEEEvT_T0_DpT1_,comdat
	.globl	_ZN2at6native12_GLOBAL__N_125multi_tensor_apply_kernelINS1_18TensorListMetadataILi2EEENS1_14UnaryOpFunctorIdLi2ELi1ELi1EEEJNS0_3TanIdEEEEEvT_T0_DpT1_ ; -- Begin function _ZN2at6native12_GLOBAL__N_125multi_tensor_apply_kernelINS1_18TensorListMetadataILi2EEENS1_14UnaryOpFunctorIdLi2ELi1ELi1EEEJNS0_3TanIdEEEEEvT_T0_DpT1_
	.p2align	8
	.type	_ZN2at6native12_GLOBAL__N_125multi_tensor_apply_kernelINS1_18TensorListMetadataILi2EEENS1_14UnaryOpFunctorIdLi2ELi1ELi1EEEJNS0_3TanIdEEEEEvT_T0_DpT1_,@function
_ZN2at6native12_GLOBAL__N_125multi_tensor_apply_kernelINS1_18TensorListMetadataILi2EEENS1_14UnaryOpFunctorIdLi2ELi1ELi1EEEJNS0_3TanIdEEEEEvT_T0_DpT1_: ; @_ZN2at6native12_GLOBAL__N_125multi_tensor_apply_kernelINS1_18TensorListMetadataILi2EEENS1_14UnaryOpFunctorIdLi2ELi1ELi1EEEJNS0_3TanIdEEEEEvT_T0_DpT1_
; %bb.0:
	s_bfe_u32 s2, ttmp6, 0x4000c
	s_and_b32 s3, ttmp6, 15
	s_add_co_i32 s2, s2, 1
	s_getreg_b32 s4, hwreg(HW_REG_IB_STS2, 6, 4)
	s_mul_i32 s2, ttmp9, s2
	s_delay_alu instid0(SALU_CYCLE_1)
	s_add_co_i32 s3, s3, s2
	s_cmp_eq_u32 s4, 0
	s_cselect_b32 s2, ttmp9, s3
	s_mov_b32 s3, 0
	s_load_u8 s10, s[0:1], s2 offset:0x600
	s_add_nc_u64 s[4:5], s[0:1], s[2:3]
	s_mul_u64 s[6:7], s[2:3], 3
	s_delay_alu instid0(SALU_CYCLE_1)
	s_add_nc_u64 s[4:5], s[4:5], s[6:7]
	s_load_b32 s6, s[4:5], 0x740
	s_wait_kmcnt 0x0
	s_clause 0x2
	s_load_b64 s[12:13], s[0:1], s10 offset:0x0 scale_offset
	s_load_b64 s[14:15], s[0:1], s10 offset:0x200 scale_offset
	;; [unrolled: 1-line block ×3, first 2 shown]
	s_mov_b32 s5, s3
	s_ashr_i32 s7, s6, 31
	s_wait_xcnt 0x0
	s_lshl_b64 s[10:11], s[6:7], 19
	s_wait_kmcnt 0x0
	s_and_b64 s[18:19], s[14:15], 31
	s_add_nc_u64 s[16:17], s[12:13], s[10:11]
	s_and_b32 s4, s8, 3
	s_and_b32 s2, s16, 31
	s_or_b64 s[4:5], s[18:19], s[4:5]
	s_lshl_b64 s[6:7], s[6:7], 16
	s_or_b64 s[2:3], s[4:5], s[2:3]
	s_sub_nc_u64 s[16:17], s[8:9], s[6:7]
	s_cmp_eq_u64 s[2:3], 0
	s_mov_b32 s2, -1
	s_cbranch_scc0 .LBB91_21
; %bb.1:
	v_min_i64 v[10:11], 0x10000, s[16:17]
	v_dual_mov_b32 v12, 0 :: v_dual_lshlrev_b32 v2, 2, v0
	s_mov_b32 s28, exec_lo
	s_delay_alu instid0(VALU_DEP_1) | instskip(NEXT) | instid1(VALU_DEP_1)
	v_mov_b32_e32 v3, v12
	v_cmpx_lt_i64_e64 v[2:3], v[10:11]
	s_cbranch_execz .LBB91_20
; %bb.2:
	s_load_b32 s2, s[0:1], 0xc5c
	v_dual_mov_b32 v1, v12 :: v_dual_lshlrev_b32 v2, 5, v0
	v_mov_b32_e32 v3, v12
	v_mov_b64_e32 v[14:15], 0xbf078809a9a29f71
	s_mov_b32 s19, 0
	s_delay_alu instid0(VALU_DEP_3)
	v_mov_b64_e32 v[18:19], v[0:1]
	s_mov_b64 s[20:21], 0x3ff921fb54442d18
	v_add_nc_u64_e32 v[16:17], s[10:11], v[2:3]
	s_mov_b64 s[22:23], 0x3fe45f306dc9c883
	s_mov_b64 s[24:25], 0xbff921fb54442d18
	s_mov_b32 s27, s19
	s_mov_b32 s29, s19
                                        ; implicit-def: $vgpr2_vgpr3
                                        ; implicit-def: $vgpr2_vgpr3
	;; [unrolled: 1-line block ×12, first 2 shown]
	s_wait_kmcnt 0x0
	s_and_b32 s18, s2, 0xffff
	s_delay_alu instid0(SALU_CYCLE_1)
	s_lshl_b32 s26, s18, 5
	s_branch .LBB91_4
.LBB91_3:                               ;   in Loop: Header=BB91_4 Depth=1
	s_or_b32 exec_lo, exec_lo, s2
	v_dual_mul_f64 v[36:37], v[30:31], v[30:31] :: v_dual_bitop2_b32 v13, 1, v41 bitop3:0x40
	v_dual_mul_f64 v[44:45], v[22:23], v[22:23] :: v_dual_bitop2_b32 v1, 1, v1 bitop3:0x40
	v_add_f64_e32 v[48:49], v[28:29], v[28:29]
	v_cmp_class_f64_e64 s2, v[6:7], 0x1f8
	v_mul_f64_e32 v[38:39], v[26:27], v[26:27]
	v_cmp_eq_u32_e32 vcc_lo, 0, v13
	v_cmp_eq_u32_e64 s5, 0, v1
	v_mul_f64_e32 v[46:47], v[34:35], v[34:35]
	v_add_f64_e32 v[56:57], v[20:21], v[20:21]
	v_cmp_class_f64_e64 s4, v[4:5], 0x1f8
	v_add_f64_e32 v[60:61], v[32:33], v[32:33]
	v_cmp_class_f64_e64 s6, v[2:3], 0x1f8
	v_cmp_class_f64_e64 s8, v[8:9], 0x1f8
	v_add_f64_e32 v[52:53], v[24:25], v[24:25]
	v_add_nc_u64_e32 v[18:19], s[18:19], v[18:19]
	v_fma_f64 v[50:51], v[30:31], v[30:31], -v[36:37]
	v_fma_f64 v[58:59], v[22:23], v[22:23], -v[44:45]
	;; [unrolled: 1-line block ×4, first 2 shown]
	s_delay_alu instid0(VALU_DEP_4) | instskip(NEXT) | instid1(VALU_DEP_4)
	v_fmac_f64_e32 v[50:51], v[30:31], v[48:49]
	v_fmac_f64_e32 v[58:59], v[22:23], v[56:57]
	s_delay_alu instid0(VALU_DEP_4) | instskip(NEXT) | instid1(VALU_DEP_4)
	v_fmac_f64_e32 v[54:55], v[26:27], v[52:53]
	v_fmac_f64_e32 v[62:63], v[34:35], v[60:61]
	s_delay_alu instid0(VALU_DEP_4) | instskip(NEXT) | instid1(VALU_DEP_4)
	v_add_f64_e32 v[36:37], v[36:37], v[50:51]
	v_add_f64_e32 v[44:45], v[44:45], v[58:59]
	s_delay_alu instid0(VALU_DEP_4) | instskip(NEXT) | instid1(VALU_DEP_4)
	v_add_f64_e32 v[38:39], v[38:39], v[54:55]
	v_add_f64_e32 v[46:47], v[46:47], v[62:63]
	s_delay_alu instid0(VALU_DEP_4) | instskip(NEXT) | instid1(VALU_DEP_4)
	v_fmamk_f64 v[48:49], v[36:37], 0x3ef5e089c751c08c, v[14:15]
	v_fmamk_f64 v[52:53], v[44:45], 0x3ef5e089c751c08c, v[14:15]
	s_delay_alu instid0(VALU_DEP_4) | instskip(NEXT) | instid1(VALU_DEP_3)
	v_fmamk_f64 v[50:51], v[38:39], 0x3ef5e089c751c08c, v[14:15]
	v_fmaak_f64 v[48:49], v[36:37], v[48:49], 0x3f17746f90a8aae0
	v_fmamk_f64 v[54:55], v[46:47], 0x3ef5e089c751c08c, v[14:15]
	s_delay_alu instid0(VALU_DEP_4) | instskip(NEXT) | instid1(VALU_DEP_4)
	v_fmaak_f64 v[52:53], v[44:45], v[52:53], 0x3f17746f90a8aae0
	v_fmaak_f64 v[50:51], v[38:39], v[50:51], 0x3f17746f90a8aae0
	s_delay_alu instid0(VALU_DEP_4) | instskip(NEXT) | instid1(VALU_DEP_4)
	v_fmaak_f64 v[48:49], v[36:37], v[48:49], 0xbefbb44da6fbf144
	v_fmaak_f64 v[54:55], v[46:47], v[54:55], 0x3f17746f90a8aae0
	;; [unrolled: 3-line block ×23, first 2 shown]
	s_delay_alu instid0(VALU_DEP_4) | instskip(NEXT) | instid1(VALU_DEP_4)
	v_mul_f64_e32 v[36:37], v[36:37], v[48:49]
	v_fmaak_f64 v[48:49], v[46:47], v[54:55], 0x3fd55555555554ee
	s_delay_alu instid0(VALU_DEP_4) | instskip(NEXT) | instid1(VALU_DEP_4)
	v_mul_f64_e32 v[44:45], v[44:45], v[52:53]
	v_mul_f64_e32 v[38:39], v[38:39], v[50:51]
	s_delay_alu instid0(VALU_DEP_3) | instskip(NEXT) | instid1(VALU_DEP_3)
	v_mul_f64_e32 v[46:47], v[46:47], v[48:49]
	v_mul_f64_e32 v[52:53], v[22:23], v[44:45]
	s_delay_alu instid0(VALU_DEP_3) | instskip(NEXT) | instid1(VALU_DEP_3)
	v_mul_f64_e32 v[50:51], v[26:27], v[38:39]
	v_mul_f64_e32 v[54:55], v[34:35], v[46:47]
	s_delay_alu instid0(VALU_DEP_3) | instskip(SKIP_1) | instid1(VALU_DEP_4)
	v_add_f64_e32 v[60:61], v[22:23], v[52:53]
	v_fma_f64 v[44:45], v[22:23], v[44:45], -v[52:53]
	v_add_f64_e32 v[58:59], v[26:27], v[50:51]
	v_fma_f64 v[38:39], v[26:27], v[38:39], -v[50:51]
	;; [unrolled: 2-line block ×3, first 2 shown]
	v_add_f64_e64 v[22:23], v[60:61], -v[22:23]
	v_add_f64_e32 v[20:21], v[20:21], v[44:45]
	v_add_f64_e64 v[26:27], v[58:59], -v[26:27]
	v_add_f64_e32 v[24:25], v[24:25], v[38:39]
	;; [unrolled: 2-line block ×3, first 2 shown]
	v_add_f64_e64 v[22:23], v[52:53], -v[22:23]
	v_add_f64_e64 v[26:27], v[50:51], -v[26:27]
	s_delay_alu instid0(VALU_DEP_4) | instskip(NEXT) | instid1(VALU_DEP_3)
	v_add_f64_e64 v[34:35], v[54:55], -v[34:35]
	v_add_f64_e32 v[20:21], v[20:21], v[22:23]
	s_delay_alu instid0(VALU_DEP_3) | instskip(NEXT) | instid1(VALU_DEP_3)
	v_add_f64_e32 v[24:25], v[24:25], v[26:27]
	v_add_f64_e32 v[22:23], v[32:33], v[34:35]
	s_delay_alu instid0(VALU_DEP_3) | instskip(NEXT) | instid1(VALU_DEP_2)
	v_add_f64_e32 v[32:33], v[60:61], v[20:21]
	v_add_f64_e32 v[34:35], v[62:63], v[22:23]
	v_mul_f64_e32 v[48:49], v[30:31], v[36:37]
	s_delay_alu instid0(VALU_DEP_3) | instskip(NEXT) | instid1(VALU_DEP_2)
	v_rcp_f64_e32 v[44:45], v[32:33]
	v_rcp_f64_e32 v[46:47], v[34:35]
	s_delay_alu instid0(VALU_DEP_1) | instskip(SKIP_1) | instid1(TRANS32_DEP_2)
	v_add_f64_e32 v[56:57], v[30:31], v[48:49]
	v_fma_f64 v[36:37], v[30:31], v[36:37], -v[48:49]
	v_fma_f64 v[52:53], -v[32:33], v[44:45], 1.0
	s_delay_alu instid0(VALU_DEP_3) | instskip(NEXT) | instid1(VALU_DEP_3)
	v_add_f64_e64 v[30:31], v[56:57], -v[30:31]
	v_add_f64_e32 v[28:29], v[28:29], v[36:37]
	s_delay_alu instid0(TRANS32_DEP_1) | instskip(NEXT) | instid1(VALU_DEP_4)
	v_fma_f64 v[54:55], -v[34:35], v[46:47], 1.0
	v_fmac_f64_e32 v[44:45], v[52:53], v[44:45]
	s_delay_alu instid0(VALU_DEP_4) | instskip(NEXT) | instid1(VALU_DEP_3)
	v_add_f64_e64 v[30:31], v[48:49], -v[30:31]
	v_fmac_f64_e32 v[46:47], v[54:55], v[46:47]
	s_delay_alu instid0(VALU_DEP_3) | instskip(NEXT) | instid1(VALU_DEP_3)
	v_fma_f64 v[52:53], -v[32:33], v[44:45], 1.0
	v_add_f64_e32 v[28:29], v[28:29], v[30:31]
	v_add_f64_e32 v[30:31], v[58:59], v[24:25]
	s_delay_alu instid0(VALU_DEP_4) | instskip(NEXT) | instid1(VALU_DEP_4)
	v_fma_f64 v[54:55], -v[34:35], v[46:47], 1.0
	v_fmac_f64_e32 v[44:45], v[52:53], v[44:45]
	s_delay_alu instid0(VALU_DEP_4) | instskip(NEXT) | instid1(VALU_DEP_4)
	v_add_f64_e32 v[26:27], v[56:57], v[28:29]
	v_rcp_f64_e32 v[38:39], v[30:31]
	v_add_f64_e64 v[52:53], v[30:31], -v[58:59]
	s_delay_alu instid0(VALU_DEP_4) | instskip(NEXT) | instid1(VALU_DEP_4)
	v_fmac_f64_e32 v[46:47], v[54:55], v[46:47]
	v_mul_f64_e32 v[58:59], v[32:33], v[44:45]
	s_delay_alu instid0(VALU_DEP_4) | instskip(NEXT) | instid1(VALU_DEP_3)
	v_rcp_f64_e32 v[36:37], v[26:27]
	v_add_f64_e64 v[24:25], v[24:25], -v[52:53]
	s_delay_alu instid0(TRANS32_DEP_2) | instskip(NEXT) | instid1(TRANS32_DEP_1)
	v_fma_f64 v[50:51], -v[30:31], v[38:39], 1.0
	v_fma_f64 v[48:49], -v[26:27], v[36:37], 1.0
	s_delay_alu instid0(VALU_DEP_2) | instskip(NEXT) | instid1(VALU_DEP_2)
	v_fmac_f64_e32 v[38:39], v[50:51], v[38:39]
	v_fmac_f64_e32 v[36:37], v[48:49], v[36:37]
	s_delay_alu instid0(VALU_DEP_2) | instskip(NEXT) | instid1(VALU_DEP_2)
	v_fma_f64 v[50:51], -v[30:31], v[38:39], 1.0
	v_fma_f64 v[48:49], -v[26:27], v[36:37], 1.0
	s_delay_alu instid0(VALU_DEP_2) | instskip(NEXT) | instid1(VALU_DEP_2)
	v_fmac_f64_e32 v[38:39], v[50:51], v[38:39]
	v_fmac_f64_e32 v[36:37], v[48:49], v[36:37]
	v_add_f64_e64 v[48:49], v[26:27], -v[56:57]
	s_delay_alu instid0(VALU_DEP_3)
	v_mul_f64_e32 v[54:55], v[30:31], v[38:39]
	v_add_f64_e64 v[56:57], v[32:33], -v[60:61]
	v_add_f64_e64 v[60:61], v[34:35], -v[62:63]
	v_mul_f64_e32 v[62:63], v[34:35], v[46:47]
	v_mul_f64_e32 v[50:51], v[26:27], v[36:37]
	v_add_f64_e64 v[28:29], v[28:29], -v[48:49]
	v_fma_f64 v[52:53], v[38:39], v[30:31], -v[54:55]
	v_add_f64_e64 v[20:21], v[20:21], -v[56:57]
	v_fma_f64 v[56:57], v[44:45], v[32:33], -v[58:59]
	;; [unrolled: 2-line block ×3, first 2 shown]
	v_fma_f64 v[48:49], v[36:37], v[26:27], -v[50:51]
	v_fmac_f64_e32 v[52:53], v[38:39], v[24:25]
	v_fmac_f64_e32 v[56:57], v[44:45], v[20:21]
	s_delay_alu instid0(VALU_DEP_4) | instskip(NEXT) | instid1(VALU_DEP_4)
	v_fmac_f64_e32 v[60:61], v[46:47], v[22:23]
	v_fmac_f64_e32 v[48:49], v[36:37], v[28:29]
	s_delay_alu instid0(VALU_DEP_4) | instskip(NEXT) | instid1(VALU_DEP_4)
	v_add_f64_e32 v[22:23], v[54:55], v[52:53]
	v_add_f64_e32 v[24:25], v[58:59], v[56:57]
	s_delay_alu instid0(VALU_DEP_4) | instskip(NEXT) | instid1(VALU_DEP_4)
	v_add_f64_e32 v[28:29], v[62:63], v[60:61]
	v_add_f64_e32 v[20:21], v[50:51], v[48:49]
	s_delay_alu instid0(VALU_DEP_4)
	v_add_f64_e64 v[66:67], -v[22:23], 1.0
	v_add_f64_e64 v[54:55], v[22:23], -v[54:55]
	v_add_f64_e64 v[68:69], -v[24:25], 1.0
	v_add_f64_e64 v[58:59], v[24:25], -v[58:59]
	;; [unrolled: 2-line block ×4, first 2 shown]
	v_add_f64_e64 v[74:75], -v[66:67], 1.0
	v_add_f64_e64 v[76:77], -v[68:69], 1.0
	;; [unrolled: 1-line block ×4, first 2 shown]
	v_add_f64_e64 v[48:49], v[50:51], -v[48:49]
	v_add_f64_e64 v[50:51], v[54:55], -v[52:53]
	v_add_f64_e64 v[22:23], v[74:75], -v[22:23]
	v_add_f64_e64 v[52:53], v[58:59], -v[56:57]
	v_add_f64_e64 v[24:25], v[76:77], -v[24:25]
	v_add_f64_e64 v[54:55], v[62:63], -v[60:61]
	v_add_f64_e64 v[28:29], v[78:79], -v[28:29]
	v_add_f64_e64 v[20:21], v[72:73], -v[20:21]
	v_add_f64_e32 v[22:23], v[50:51], v[22:23]
	v_add_f64_e32 v[24:25], v[52:53], v[24:25]
	s_delay_alu instid0(VALU_DEP_4) | instskip(NEXT) | instid1(VALU_DEP_4)
	v_add_f64_e32 v[28:29], v[54:55], v[28:29]
	v_add_f64_e32 v[20:21], v[48:49], v[20:21]
	s_delay_alu instid0(VALU_DEP_4) | instskip(NEXT) | instid1(VALU_DEP_4)
	v_add_f64_e32 v[22:23], v[66:67], v[22:23]
	v_add_f64_e32 v[24:25], v[68:69], v[24:25]
	s_delay_alu instid0(VALU_DEP_4) | instskip(NEXT) | instid1(VALU_DEP_4)
	v_add_f64_e32 v[28:29], v[70:71], v[28:29]
	v_add_f64_e32 v[20:21], v[64:65], v[20:21]
	s_delay_alu instid0(VALU_DEP_4) | instskip(NEXT) | instid1(VALU_DEP_4)
	v_mul_f64_e32 v[22:23], v[38:39], v[22:23]
	v_mul_f64_e32 v[24:25], v[44:45], v[24:25]
	s_delay_alu instid0(VALU_DEP_4) | instskip(NEXT) | instid1(VALU_DEP_4)
	v_mul_f64_e32 v[28:29], v[46:47], v[28:29]
	v_mul_f64_e32 v[20:21], v[36:37], v[20:21]
	s_delay_alu instid0(VALU_DEP_4)
	v_add_f64_e32 v[22:23], v[38:39], v[22:23]
	v_add_nc_u64_e32 v[38:39], s[14:15], v[16:17]
	v_add_f64_e32 v[24:25], v[44:45], v[24:25]
	v_add_nc_u64_e32 v[16:17], s[26:27], v[16:17]
	v_add_f64_e32 v[28:29], v[46:47], v[28:29]
	v_add_f64_e32 v[20:21], v[36:37], v[20:21]
	v_and_b32_e32 v36, 1, v40
	v_and_b32_e32 v37, 1, v42
	v_xor_b32_e32 v8, 0x80000000, v23
	v_cndmask_b32_e64 v1, v24, v32, s5
	s_delay_alu instid0(VALU_DEP_4) | instskip(NEXT) | instid1(VALU_DEP_4)
	v_cmp_eq_u32_e64 s3, 0, v36
	v_cmp_eq_u32_e64 s7, 0, v37
	v_lshlrev_b64_e32 v[36:37], 2, v[18:19]
	s_delay_alu instid0(VALU_DEP_3) | instskip(NEXT) | instid1(VALU_DEP_3)
	v_cndmask_b32_e64 v6, v22, v30, s3
	v_cndmask_b32_e64 v4, v28, v34, s7
	s_delay_alu instid0(VALU_DEP_3) | instskip(NEXT) | instid1(VALU_DEP_2)
	v_cmp_ge_i64_e64 s9, v[36:37], v[10:11]
	v_cndmask_b32_e64 v4, 0, v4, s8
	s_or_b32 s29, s9, s29
	v_cndmask_b32_e32 v13, v20, v26, vcc_lo
	v_xor_b32_e32 v2, 0x80000000, v21
	v_xor_b32_e32 v20, 0x80000000, v25
	;; [unrolled: 1-line block ×3, first 2 shown]
	s_delay_alu instid0(VALU_DEP_3) | instskip(SKIP_1) | instid1(VALU_DEP_3)
	v_dual_cndmask_b32 v22, v2, v27, vcc_lo :: v_dual_cndmask_b32 v2, 0, v13, s2
	v_cndmask_b32_e64 v13, v8, v31, s3
	v_dual_cndmask_b32 v20, v20, v33, s5 :: v_dual_cndmask_b32 v21, v21, v35, s7
	v_dual_cndmask_b32 v8, 0, v6, s4 :: v_dual_cndmask_b32 v6, 0, v1, s6
	s_delay_alu instid0(VALU_DEP_4) | instskip(NEXT) | instid1(VALU_DEP_4)
	v_bitop3_b32 v1, v22, v7, 0x80000000 bitop3:0x78
	v_bitop3_b32 v5, v13, v5, 0x80000000 bitop3:0x78
	s_delay_alu instid0(VALU_DEP_4) | instskip(SKIP_1) | instid1(VALU_DEP_4)
	v_bitop3_b32 v7, v20, v3, 0x80000000 bitop3:0x78
	v_bitop3_b32 v13, v21, v9, 0x80000000 bitop3:0x78
	v_cndmask_b32_e64 v3, 0x7ff80000, v1, s2
	s_delay_alu instid0(VALU_DEP_4) | instskip(NEXT) | instid1(VALU_DEP_4)
	v_cndmask_b32_e64 v9, 0x7ff80000, v5, s4
	v_cndmask_b32_e64 v7, 0x7ff80000, v7, s6
	s_delay_alu instid0(VALU_DEP_4)
	v_cndmask_b32_e64 v5, 0x7ff80000, v13, s8
	s_clause 0x1
	global_store_b128 v[38:39], v[6:9], off
	global_store_b128 v[38:39], v[2:5], off offset:16
	s_wait_xcnt 0x0
	s_and_not1_b32 exec_lo, exec_lo, s29
	s_cbranch_execz .LBB91_20
.LBB91_4:                               ; =>This Inner Loop Header: Depth=1
	v_add_nc_u64_e32 v[20:21], s[12:13], v[16:17]
                                        ; implicit-def: $vgpr1
                                        ; implicit-def: $vgpr22_vgpr23
	s_clause 0x1
	global_load_b128 v[2:5], v[20:21], off
	global_load_b128 v[6:9], v[20:21], off offset:16
                                        ; implicit-def: $vgpr20_vgpr21
	s_wait_loadcnt 0x1
	v_cmp_ngt_f64_e64 s2, 0x41d00000, |v[2:3]|
	s_wait_xcnt 0x0
	s_and_saveexec_b32 s3, s2
	s_delay_alu instid0(SALU_CYCLE_1)
	s_xor_b32 s2, exec_lo, s3
	s_cbranch_execz .LBB91_6
; %bb.5:                                ;   in Loop: Header=BB91_4 Depth=1
	v_ldexp_f64 v[20:21], |v[2:3]|, 0xffffff80
	v_cmp_le_f64_e64 vcc_lo, 0x7b000000, |v[2:3]|
	v_trig_preop_f64 v[22:23], |v[2:3]|, 0
	v_and_b32_e32 v1, 0x7fffffff, v3
	v_trig_preop_f64 v[24:25], |v[2:3]|, 1
	v_trig_preop_f64 v[34:35], |v[2:3]|, 2
	s_delay_alu instid0(VALU_DEP_3) | instskip(NEXT) | instid1(VALU_DEP_1)
	v_dual_cndmask_b32 v21, v1, v21 :: v_dual_cndmask_b32 v20, v2, v20
	v_mul_f64_e32 v[26:27], v[22:23], v[20:21]
	s_delay_alu instid0(VALU_DEP_4) | instskip(NEXT) | instid1(VALU_DEP_4)
	v_mul_f64_e32 v[28:29], v[24:25], v[20:21]
	v_mul_f64_e32 v[40:41], v[34:35], v[20:21]
	s_delay_alu instid0(VALU_DEP_3) | instskip(NEXT) | instid1(VALU_DEP_3)
	v_fma_f64 v[22:23], v[22:23], v[20:21], -v[26:27]
	v_fma_f64 v[24:25], v[24:25], v[20:21], -v[28:29]
	s_delay_alu instid0(VALU_DEP_3) | instskip(NEXT) | instid1(VALU_DEP_3)
	v_fma_f64 v[20:21], v[34:35], v[20:21], -v[40:41]
	v_add_f64_e32 v[30:31], v[28:29], v[22:23]
	s_delay_alu instid0(VALU_DEP_1) | instskip(SKIP_1) | instid1(VALU_DEP_2)
	v_add_f64_e64 v[32:33], v[30:31], -v[28:29]
	v_add_f64_e32 v[38:39], v[26:27], v[30:31]
	v_add_f64_e64 v[36:37], v[30:31], -v[32:33]
	v_add_f64_e64 v[22:23], v[22:23], -v[32:33]
	s_delay_alu instid0(VALU_DEP_3) | instskip(NEXT) | instid1(VALU_DEP_3)
	v_ldexp_f64 v[32:33], v[38:39], -2
	v_add_f64_e64 v[28:29], v[28:29], -v[36:37]
	v_add_f64_e32 v[36:37], v[40:41], v[24:25]
	s_delay_alu instid0(VALU_DEP_3) | instskip(NEXT) | instid1(VALU_DEP_3)
	v_cmp_neq_f64_e64 vcc_lo, 0x7ff00000, |v[32:33]|
	v_add_f64_e32 v[22:23], v[22:23], v[28:29]
	v_fract_f64_e32 v[28:29], v[32:33]
	s_delay_alu instid0(VALU_DEP_1) | instskip(NEXT) | instid1(VALU_DEP_1)
	v_ldexp_f64 v[28:29], v[28:29], 2
	v_dual_add_f64 v[26:27], v[38:39], -v[26:27] :: v_dual_cndmask_b32 v28, 0, v28, vcc_lo
	s_delay_alu instid0(VALU_DEP_1) | instskip(SKIP_1) | instid1(VALU_DEP_1)
	v_dual_add_f64 v[26:27], v[30:31], -v[26:27] :: v_dual_cndmask_b32 v29, 0, v29, vcc_lo
	v_add_f64_e32 v[30:31], v[36:37], v[22:23]
	v_add_f64_e32 v[32:33], v[26:27], v[30:31]
	v_add_f64_e64 v[42:43], v[30:31], -v[36:37]
	s_delay_alu instid0(VALU_DEP_2) | instskip(NEXT) | instid1(VALU_DEP_2)
	v_add_f64_e32 v[38:39], v[32:33], v[28:29]
	v_add_f64_e64 v[48:49], v[30:31], -v[42:43]
	v_add_f64_e64 v[22:23], v[22:23], -v[42:43]
	;; [unrolled: 1-line block ×3, first 2 shown]
	s_delay_alu instid0(VALU_DEP_4) | instskip(SKIP_1) | instid1(VALU_DEP_3)
	v_cmp_gt_f64_e32 vcc_lo, 0, v[38:39]
	v_add_f64_e64 v[38:39], v[36:37], -v[40:41]
	v_add_f64_e64 v[26:27], v[30:31], -v[26:27]
	v_cndmask_b32_e64 v13, 0, 0x40100000, vcc_lo
	s_delay_alu instid0(VALU_DEP_3) | instskip(SKIP_2) | instid1(VALU_DEP_4)
	v_add_f64_e64 v[46:47], v[36:37], -v[38:39]
	v_add_f64_e64 v[24:25], v[24:25], -v[38:39]
	v_add_f64_e64 v[36:37], v[36:37], -v[48:49]
	v_add_f64_e32 v[28:29], v[28:29], v[12:13]
	s_delay_alu instid0(VALU_DEP_4) | instskip(NEXT) | instid1(VALU_DEP_3)
	v_add_f64_e64 v[38:39], v[40:41], -v[46:47]
	v_add_f64_e32 v[22:23], v[22:23], v[36:37]
	s_delay_alu instid0(VALU_DEP_3) | instskip(NEXT) | instid1(VALU_DEP_3)
	v_add_f64_e32 v[44:45], v[32:33], v[28:29]
	v_add_f64_e32 v[24:25], v[24:25], v[38:39]
	s_delay_alu instid0(VALU_DEP_2) | instskip(NEXT) | instid1(VALU_DEP_2)
	v_cvt_i32_f64_e32 v1, v[44:45]
	v_add_f64_e32 v[22:23], v[24:25], v[22:23]
	s_delay_alu instid0(VALU_DEP_2) | instskip(NEXT) | instid1(VALU_DEP_2)
	v_cvt_f64_i32_e32 v[42:43], v1
	v_add_f64_e32 v[20:21], v[20:21], v[22:23]
	s_delay_alu instid0(VALU_DEP_2) | instskip(NEXT) | instid1(VALU_DEP_2)
	v_add_f64_e64 v[28:29], v[28:29], -v[42:43]
	v_add_f64_e32 v[20:21], v[26:27], v[20:21]
	s_delay_alu instid0(VALU_DEP_2) | instskip(NEXT) | instid1(VALU_DEP_1)
	v_add_f64_e32 v[24:25], v[32:33], v[28:29]
	v_add_f64_e64 v[22:23], v[24:25], -v[28:29]
	v_cmp_le_f64_e32 vcc_lo, 0.5, v[24:25]
	s_delay_alu instid0(VALU_DEP_2) | instskip(SKIP_2) | instid1(VALU_DEP_3)
	v_add_f64_e64 v[22:23], v[32:33], -v[22:23]
	v_cndmask_b32_e64 v13, 0, 0x3ff00000, vcc_lo
	v_add_co_ci_u32_e64 v1, null, 0, v1, vcc_lo
	v_add_f64_e32 v[20:21], v[20:21], v[22:23]
	s_delay_alu instid0(VALU_DEP_3) | instskip(NEXT) | instid1(VALU_DEP_1)
	v_add_f64_e64 v[22:23], v[24:25], -v[12:13]
	v_add_f64_e32 v[24:25], v[22:23], v[20:21]
	s_delay_alu instid0(VALU_DEP_1) | instskip(SKIP_1) | instid1(VALU_DEP_2)
	v_mul_f64_e32 v[26:27], 0x3ff921fb54442d18, v[24:25]
	v_add_f64_e64 v[22:23], v[24:25], -v[22:23]
	v_fma_f64 v[28:29], v[24:25], s[20:21], -v[26:27]
	s_delay_alu instid0(VALU_DEP_2) | instskip(NEXT) | instid1(VALU_DEP_2)
	v_add_f64_e64 v[20:21], v[20:21], -v[22:23]
	v_fmac_f64_e32 v[28:29], 0x3c91a62633145c07, v[24:25]
	s_delay_alu instid0(VALU_DEP_1) | instskip(NEXT) | instid1(VALU_DEP_1)
	v_fmac_f64_e32 v[28:29], 0x3ff921fb54442d18, v[20:21]
	v_add_f64_e32 v[22:23], v[26:27], v[28:29]
	s_delay_alu instid0(VALU_DEP_1) | instskip(NEXT) | instid1(VALU_DEP_1)
	v_add_f64_e64 v[20:21], v[22:23], -v[26:27]
	v_add_f64_e64 v[20:21], v[28:29], -v[20:21]
.LBB91_6:                               ;   in Loop: Header=BB91_4 Depth=1
	s_and_not1_saveexec_b32 s2, s2
	s_cbranch_execz .LBB91_8
; %bb.7:                                ;   in Loop: Header=BB91_4 Depth=1
	v_mul_f64_e64 v[20:21], |v[2:3]|, s[22:23]
	s_delay_alu instid0(VALU_DEP_1) | instskip(NEXT) | instid1(VALU_DEP_1)
	v_rndne_f64_e32 v[24:25], v[20:21]
	v_fma_f64 v[20:21], v[24:25], s[24:25], |v[2:3]|
	v_mul_f64_e32 v[22:23], 0xbc91a62633145c00, v[24:25]
	v_cvt_i32_f64_e32 v1, v[24:25]
	s_delay_alu instid0(VALU_DEP_2) | instskip(NEXT) | instid1(VALU_DEP_1)
	v_add_f64_e32 v[26:27], v[20:21], v[22:23]
	v_add_f64_e64 v[28:29], v[20:21], -v[26:27]
	v_fmamk_f64 v[20:21], v[24:25], 0xbc91a62633145c00, v[20:21]
	s_delay_alu instid0(VALU_DEP_1) | instskip(NEXT) | instid1(VALU_DEP_3)
	v_add_f64_e64 v[26:27], v[26:27], -v[20:21]
	v_add_f64_e32 v[28:29], v[28:29], v[22:23]
	v_fmamk_f64 v[22:23], v[24:25], 0x3c91a62633145c00, v[22:23]
	s_delay_alu instid0(VALU_DEP_2) | instskip(NEXT) | instid1(VALU_DEP_1)
	v_add_f64_e32 v[26:27], v[26:27], v[28:29]
	v_add_f64_e64 v[26:27], v[26:27], -v[22:23]
	s_delay_alu instid0(VALU_DEP_1) | instskip(NEXT) | instid1(VALU_DEP_1)
	v_fmac_f64_e32 v[26:27], 0xb97b839a252049c0, v[24:25]
	v_add_f64_e32 v[22:23], v[20:21], v[26:27]
	s_delay_alu instid0(VALU_DEP_1) | instskip(NEXT) | instid1(VALU_DEP_1)
	v_add_f64_e64 v[20:21], v[22:23], -v[20:21]
	v_add_f64_e64 v[20:21], v[26:27], -v[20:21]
.LBB91_8:                               ;   in Loop: Header=BB91_4 Depth=1
	s_or_b32 exec_lo, exec_lo, s2
	v_cmp_ngt_f64_e64 s2, 0x41d00000, |v[4:5]|
                                        ; implicit-def: $vgpr40
                                        ; implicit-def: $vgpr26_vgpr27
                                        ; implicit-def: $vgpr24_vgpr25
	s_and_saveexec_b32 s3, s2
	s_delay_alu instid0(SALU_CYCLE_1)
	s_xor_b32 s2, exec_lo, s3
	s_cbranch_execz .LBB91_10
; %bb.9:                                ;   in Loop: Header=BB91_4 Depth=1
	v_ldexp_f64 v[24:25], |v[4:5]|, 0xffffff80
	v_cmp_le_f64_e64 vcc_lo, 0x7b000000, |v[4:5]|
	v_trig_preop_f64 v[26:27], |v[4:5]|, 0
	v_and_b32_e32 v13, 0x7fffffff, v5
	v_trig_preop_f64 v[28:29], |v[4:5]|, 1
	v_trig_preop_f64 v[38:39], |v[4:5]|, 2
	s_delay_alu instid0(VALU_DEP_3) | instskip(NEXT) | instid1(VALU_DEP_1)
	v_dual_cndmask_b32 v25, v13, v25 :: v_dual_cndmask_b32 v24, v4, v24
	v_mul_f64_e32 v[30:31], v[26:27], v[24:25]
	s_delay_alu instid0(VALU_DEP_4) | instskip(NEXT) | instid1(VALU_DEP_4)
	v_mul_f64_e32 v[32:33], v[28:29], v[24:25]
	v_mul_f64_e32 v[44:45], v[38:39], v[24:25]
	s_delay_alu instid0(VALU_DEP_3) | instskip(NEXT) | instid1(VALU_DEP_3)
	v_fma_f64 v[26:27], v[26:27], v[24:25], -v[30:31]
	v_fma_f64 v[28:29], v[28:29], v[24:25], -v[32:33]
	s_delay_alu instid0(VALU_DEP_3) | instskip(NEXT) | instid1(VALU_DEP_3)
	v_fma_f64 v[24:25], v[38:39], v[24:25], -v[44:45]
	v_add_f64_e32 v[34:35], v[32:33], v[26:27]
	s_delay_alu instid0(VALU_DEP_1) | instskip(SKIP_1) | instid1(VALU_DEP_2)
	v_add_f64_e64 v[36:37], v[34:35], -v[32:33]
	v_add_f64_e32 v[42:43], v[30:31], v[34:35]
	v_add_f64_e64 v[40:41], v[34:35], -v[36:37]
	v_add_f64_e64 v[26:27], v[26:27], -v[36:37]
	s_delay_alu instid0(VALU_DEP_3) | instskip(NEXT) | instid1(VALU_DEP_3)
	v_ldexp_f64 v[36:37], v[42:43], -2
	v_add_f64_e64 v[32:33], v[32:33], -v[40:41]
	v_add_f64_e32 v[40:41], v[44:45], v[28:29]
	s_delay_alu instid0(VALU_DEP_3) | instskip(NEXT) | instid1(VALU_DEP_3)
	v_cmp_neq_f64_e64 vcc_lo, 0x7ff00000, |v[36:37]|
	v_add_f64_e32 v[26:27], v[26:27], v[32:33]
	v_fract_f64_e32 v[32:33], v[36:37]
	s_delay_alu instid0(VALU_DEP_1) | instskip(NEXT) | instid1(VALU_DEP_1)
	v_ldexp_f64 v[32:33], v[32:33], 2
	v_dual_add_f64 v[30:31], v[42:43], -v[30:31] :: v_dual_cndmask_b32 v32, 0, v32, vcc_lo
	s_delay_alu instid0(VALU_DEP_1) | instskip(SKIP_1) | instid1(VALU_DEP_1)
	v_dual_add_f64 v[30:31], v[34:35], -v[30:31] :: v_dual_cndmask_b32 v33, 0, v33, vcc_lo
	v_add_f64_e32 v[34:35], v[40:41], v[26:27]
	v_add_f64_e32 v[36:37], v[30:31], v[34:35]
	v_add_f64_e64 v[46:47], v[34:35], -v[40:41]
	s_delay_alu instid0(VALU_DEP_2) | instskip(NEXT) | instid1(VALU_DEP_2)
	v_add_f64_e32 v[42:43], v[36:37], v[32:33]
	v_add_f64_e64 v[52:53], v[34:35], -v[46:47]
	v_add_f64_e64 v[26:27], v[26:27], -v[46:47]
	;; [unrolled: 1-line block ×3, first 2 shown]
	s_delay_alu instid0(VALU_DEP_4) | instskip(SKIP_1) | instid1(VALU_DEP_3)
	v_cmp_gt_f64_e32 vcc_lo, 0, v[42:43]
	v_add_f64_e64 v[42:43], v[40:41], -v[44:45]
	v_add_f64_e64 v[30:31], v[34:35], -v[30:31]
	v_cndmask_b32_e64 v13, 0, 0x40100000, vcc_lo
	s_delay_alu instid0(VALU_DEP_3) | instskip(SKIP_2) | instid1(VALU_DEP_4)
	v_add_f64_e64 v[50:51], v[40:41], -v[42:43]
	v_add_f64_e64 v[28:29], v[28:29], -v[42:43]
	;; [unrolled: 1-line block ×3, first 2 shown]
	v_add_f64_e32 v[32:33], v[32:33], v[12:13]
	s_delay_alu instid0(VALU_DEP_4) | instskip(NEXT) | instid1(VALU_DEP_3)
	v_add_f64_e64 v[42:43], v[44:45], -v[50:51]
	v_add_f64_e32 v[26:27], v[26:27], v[40:41]
	s_delay_alu instid0(VALU_DEP_3) | instskip(NEXT) | instid1(VALU_DEP_3)
	v_add_f64_e32 v[48:49], v[36:37], v[32:33]
	v_add_f64_e32 v[28:29], v[28:29], v[42:43]
	s_delay_alu instid0(VALU_DEP_2) | instskip(NEXT) | instid1(VALU_DEP_2)
	v_cvt_i32_f64_e32 v13, v[48:49]
	v_add_f64_e32 v[26:27], v[28:29], v[26:27]
	s_delay_alu instid0(VALU_DEP_2) | instskip(NEXT) | instid1(VALU_DEP_2)
	v_cvt_f64_i32_e32 v[46:47], v13
	v_add_f64_e32 v[24:25], v[24:25], v[26:27]
	s_delay_alu instid0(VALU_DEP_2) | instskip(NEXT) | instid1(VALU_DEP_2)
	v_add_f64_e64 v[32:33], v[32:33], -v[46:47]
	v_add_f64_e32 v[24:25], v[30:31], v[24:25]
	s_delay_alu instid0(VALU_DEP_2) | instskip(NEXT) | instid1(VALU_DEP_1)
	v_add_f64_e32 v[28:29], v[36:37], v[32:33]
	v_add_f64_e64 v[26:27], v[28:29], -v[32:33]
	v_cmp_le_f64_e32 vcc_lo, 0.5, v[28:29]
	s_delay_alu instid0(VALU_DEP_2) | instskip(SKIP_2) | instid1(VALU_DEP_3)
	v_add_f64_e64 v[26:27], v[36:37], -v[26:27]
	v_add_co_ci_u32_e64 v40, null, 0, v13, vcc_lo
	v_cndmask_b32_e64 v13, 0, 0x3ff00000, vcc_lo
	v_add_f64_e32 v[24:25], v[24:25], v[26:27]
	s_delay_alu instid0(VALU_DEP_2) | instskip(NEXT) | instid1(VALU_DEP_1)
	v_add_f64_e64 v[26:27], v[28:29], -v[12:13]
	v_add_f64_e32 v[28:29], v[26:27], v[24:25]
	s_delay_alu instid0(VALU_DEP_1) | instskip(SKIP_1) | instid1(VALU_DEP_2)
	v_mul_f64_e32 v[30:31], 0x3ff921fb54442d18, v[28:29]
	v_add_f64_e64 v[26:27], v[28:29], -v[26:27]
	v_fma_f64 v[32:33], v[28:29], s[20:21], -v[30:31]
	s_delay_alu instid0(VALU_DEP_2) | instskip(NEXT) | instid1(VALU_DEP_2)
	v_add_f64_e64 v[24:25], v[24:25], -v[26:27]
	v_fmac_f64_e32 v[32:33], 0x3c91a62633145c07, v[28:29]
	s_delay_alu instid0(VALU_DEP_1) | instskip(NEXT) | instid1(VALU_DEP_1)
	v_fmac_f64_e32 v[32:33], 0x3ff921fb54442d18, v[24:25]
	v_add_f64_e32 v[26:27], v[30:31], v[32:33]
	s_delay_alu instid0(VALU_DEP_1) | instskip(NEXT) | instid1(VALU_DEP_1)
	v_add_f64_e64 v[24:25], v[26:27], -v[30:31]
	v_add_f64_e64 v[24:25], v[32:33], -v[24:25]
.LBB91_10:                              ;   in Loop: Header=BB91_4 Depth=1
	s_and_not1_saveexec_b32 s2, s2
	s_cbranch_execz .LBB91_12
; %bb.11:                               ;   in Loop: Header=BB91_4 Depth=1
	v_mul_f64_e64 v[24:25], |v[4:5]|, s[22:23]
	s_delay_alu instid0(VALU_DEP_1) | instskip(NEXT) | instid1(VALU_DEP_1)
	v_rndne_f64_e32 v[28:29], v[24:25]
	v_fma_f64 v[24:25], v[28:29], s[24:25], |v[4:5]|
	v_mul_f64_e32 v[26:27], 0xbc91a62633145c00, v[28:29]
	v_cvt_i32_f64_e32 v40, v[28:29]
	s_delay_alu instid0(VALU_DEP_2) | instskip(NEXT) | instid1(VALU_DEP_1)
	v_add_f64_e32 v[30:31], v[24:25], v[26:27]
	v_add_f64_e64 v[32:33], v[24:25], -v[30:31]
	v_fmamk_f64 v[24:25], v[28:29], 0xbc91a62633145c00, v[24:25]
	s_delay_alu instid0(VALU_DEP_1) | instskip(NEXT) | instid1(VALU_DEP_3)
	v_add_f64_e64 v[30:31], v[30:31], -v[24:25]
	v_add_f64_e32 v[32:33], v[32:33], v[26:27]
	v_fmamk_f64 v[26:27], v[28:29], 0x3c91a62633145c00, v[26:27]
	s_delay_alu instid0(VALU_DEP_2) | instskip(NEXT) | instid1(VALU_DEP_1)
	v_add_f64_e32 v[30:31], v[30:31], v[32:33]
	v_add_f64_e64 v[30:31], v[30:31], -v[26:27]
	s_delay_alu instid0(VALU_DEP_1) | instskip(NEXT) | instid1(VALU_DEP_1)
	v_fmac_f64_e32 v[30:31], 0xb97b839a252049c0, v[28:29]
	v_add_f64_e32 v[26:27], v[24:25], v[30:31]
	s_delay_alu instid0(VALU_DEP_1) | instskip(NEXT) | instid1(VALU_DEP_1)
	v_add_f64_e64 v[24:25], v[26:27], -v[24:25]
	v_add_f64_e64 v[24:25], v[30:31], -v[24:25]
.LBB91_12:                              ;   in Loop: Header=BB91_4 Depth=1
	s_or_b32 exec_lo, exec_lo, s2
	s_wait_loadcnt 0x0
	v_cmp_ngt_f64_e64 s2, 0x41d00000, |v[6:7]|
                                        ; implicit-def: $vgpr41
                                        ; implicit-def: $vgpr30_vgpr31
                                        ; implicit-def: $vgpr28_vgpr29
	s_and_saveexec_b32 s3, s2
	s_delay_alu instid0(SALU_CYCLE_1)
	s_xor_b32 s2, exec_lo, s3
	s_cbranch_execz .LBB91_14
; %bb.13:                               ;   in Loop: Header=BB91_4 Depth=1
	v_ldexp_f64 v[28:29], |v[6:7]|, 0xffffff80
	v_cmp_le_f64_e64 vcc_lo, 0x7b000000, |v[6:7]|
	v_trig_preop_f64 v[30:31], |v[6:7]|, 0
	v_and_b32_e32 v13, 0x7fffffff, v7
	v_trig_preop_f64 v[32:33], |v[6:7]|, 1
	v_trig_preop_f64 v[44:45], |v[6:7]|, 2
	s_delay_alu instid0(VALU_DEP_3) | instskip(NEXT) | instid1(VALU_DEP_1)
	v_dual_cndmask_b32 v29, v13, v29 :: v_dual_cndmask_b32 v28, v6, v28
	v_mul_f64_e32 v[34:35], v[30:31], v[28:29]
	s_delay_alu instid0(VALU_DEP_4) | instskip(NEXT) | instid1(VALU_DEP_4)
	v_mul_f64_e32 v[36:37], v[32:33], v[28:29]
	v_mul_f64_e32 v[50:51], v[44:45], v[28:29]
	s_delay_alu instid0(VALU_DEP_3) | instskip(NEXT) | instid1(VALU_DEP_3)
	v_fma_f64 v[30:31], v[30:31], v[28:29], -v[34:35]
	v_fma_f64 v[32:33], v[32:33], v[28:29], -v[36:37]
	s_delay_alu instid0(VALU_DEP_3) | instskip(NEXT) | instid1(VALU_DEP_3)
	v_fma_f64 v[28:29], v[44:45], v[28:29], -v[50:51]
	v_add_f64_e32 v[38:39], v[36:37], v[30:31]
	s_delay_alu instid0(VALU_DEP_1) | instskip(SKIP_1) | instid1(VALU_DEP_2)
	v_add_f64_e64 v[42:43], v[38:39], -v[36:37]
	v_add_f64_e32 v[48:49], v[34:35], v[38:39]
	v_add_f64_e64 v[46:47], v[38:39], -v[42:43]
	v_add_f64_e64 v[30:31], v[30:31], -v[42:43]
	s_delay_alu instid0(VALU_DEP_3) | instskip(SKIP_1) | instid1(VALU_DEP_4)
	v_ldexp_f64 v[42:43], v[48:49], -2
	v_add_f64_e64 v[34:35], v[48:49], -v[34:35]
	v_add_f64_e64 v[36:37], v[36:37], -v[46:47]
	v_add_f64_e32 v[46:47], v[50:51], v[32:33]
	s_delay_alu instid0(VALU_DEP_4) | instskip(NEXT) | instid1(VALU_DEP_3)
	v_cmp_neq_f64_e64 vcc_lo, 0x7ff00000, |v[42:43]|
	v_add_f64_e32 v[30:31], v[30:31], v[36:37]
	v_fract_f64_e32 v[36:37], v[42:43]
	s_delay_alu instid0(VALU_DEP_1) | instskip(NEXT) | instid1(VALU_DEP_1)
	v_ldexp_f64 v[36:37], v[36:37], 2
	v_dual_add_f64 v[34:35], v[38:39], -v[34:35] :: v_dual_cndmask_b32 v37, 0, v37, vcc_lo
	s_delay_alu instid0(VALU_DEP_2) | instskip(NEXT) | instid1(VALU_DEP_1)
	v_dual_add_f64 v[38:39], v[46:47], v[30:31] :: v_dual_cndmask_b32 v36, 0, v36, vcc_lo
	v_add_f64_e32 v[42:43], v[34:35], v[38:39]
	v_add_f64_e64 v[52:53], v[38:39], -v[46:47]
	s_delay_alu instid0(VALU_DEP_2) | instskip(NEXT) | instid1(VALU_DEP_2)
	v_add_f64_e32 v[48:49], v[42:43], v[36:37]
	v_add_f64_e64 v[58:59], v[38:39], -v[52:53]
	v_add_f64_e64 v[30:31], v[30:31], -v[52:53]
	;; [unrolled: 1-line block ×3, first 2 shown]
	s_delay_alu instid0(VALU_DEP_4) | instskip(SKIP_1) | instid1(VALU_DEP_3)
	v_cmp_gt_f64_e32 vcc_lo, 0, v[48:49]
	v_add_f64_e64 v[48:49], v[46:47], -v[50:51]
	v_add_f64_e64 v[34:35], v[38:39], -v[34:35]
	v_cndmask_b32_e64 v13, 0, 0x40100000, vcc_lo
	s_delay_alu instid0(VALU_DEP_3) | instskip(SKIP_2) | instid1(VALU_DEP_4)
	v_add_f64_e64 v[56:57], v[46:47], -v[48:49]
	v_add_f64_e64 v[32:33], v[32:33], -v[48:49]
	v_add_f64_e64 v[46:47], v[46:47], -v[58:59]
	v_add_f64_e32 v[36:37], v[36:37], v[12:13]
	s_delay_alu instid0(VALU_DEP_4) | instskip(NEXT) | instid1(VALU_DEP_3)
	v_add_f64_e64 v[48:49], v[50:51], -v[56:57]
	v_add_f64_e32 v[30:31], v[30:31], v[46:47]
	s_delay_alu instid0(VALU_DEP_3) | instskip(NEXT) | instid1(VALU_DEP_3)
	v_add_f64_e32 v[54:55], v[42:43], v[36:37]
	v_add_f64_e32 v[32:33], v[32:33], v[48:49]
	s_delay_alu instid0(VALU_DEP_2) | instskip(NEXT) | instid1(VALU_DEP_2)
	v_cvt_i32_f64_e32 v13, v[54:55]
	v_add_f64_e32 v[30:31], v[32:33], v[30:31]
	s_delay_alu instid0(VALU_DEP_2) | instskip(NEXT) | instid1(VALU_DEP_2)
	v_cvt_f64_i32_e32 v[52:53], v13
	v_add_f64_e32 v[28:29], v[28:29], v[30:31]
	s_delay_alu instid0(VALU_DEP_2) | instskip(NEXT) | instid1(VALU_DEP_2)
	v_add_f64_e64 v[36:37], v[36:37], -v[52:53]
	v_add_f64_e32 v[28:29], v[34:35], v[28:29]
	s_delay_alu instid0(VALU_DEP_2) | instskip(NEXT) | instid1(VALU_DEP_1)
	v_add_f64_e32 v[32:33], v[42:43], v[36:37]
	v_add_f64_e64 v[30:31], v[32:33], -v[36:37]
	v_cmp_le_f64_e32 vcc_lo, 0.5, v[32:33]
	s_delay_alu instid0(VALU_DEP_2) | instskip(SKIP_2) | instid1(VALU_DEP_3)
	v_add_f64_e64 v[30:31], v[42:43], -v[30:31]
	v_add_co_ci_u32_e64 v41, null, 0, v13, vcc_lo
	v_cndmask_b32_e64 v13, 0, 0x3ff00000, vcc_lo
	v_add_f64_e32 v[28:29], v[28:29], v[30:31]
	s_delay_alu instid0(VALU_DEP_2) | instskip(NEXT) | instid1(VALU_DEP_1)
	v_add_f64_e64 v[30:31], v[32:33], -v[12:13]
	v_add_f64_e32 v[32:33], v[30:31], v[28:29]
	s_delay_alu instid0(VALU_DEP_1) | instskip(SKIP_1) | instid1(VALU_DEP_2)
	v_mul_f64_e32 v[34:35], 0x3ff921fb54442d18, v[32:33]
	v_add_f64_e64 v[30:31], v[32:33], -v[30:31]
	v_fma_f64 v[36:37], v[32:33], s[20:21], -v[34:35]
	s_delay_alu instid0(VALU_DEP_2) | instskip(NEXT) | instid1(VALU_DEP_2)
	v_add_f64_e64 v[28:29], v[28:29], -v[30:31]
	v_fmac_f64_e32 v[36:37], 0x3c91a62633145c07, v[32:33]
	s_delay_alu instid0(VALU_DEP_1) | instskip(NEXT) | instid1(VALU_DEP_1)
	v_fmac_f64_e32 v[36:37], 0x3ff921fb54442d18, v[28:29]
	v_add_f64_e32 v[30:31], v[34:35], v[36:37]
	s_delay_alu instid0(VALU_DEP_1) | instskip(NEXT) | instid1(VALU_DEP_1)
	v_add_f64_e64 v[28:29], v[30:31], -v[34:35]
	v_add_f64_e64 v[28:29], v[36:37], -v[28:29]
.LBB91_14:                              ;   in Loop: Header=BB91_4 Depth=1
	s_and_not1_saveexec_b32 s2, s2
	s_cbranch_execz .LBB91_16
; %bb.15:                               ;   in Loop: Header=BB91_4 Depth=1
	v_mul_f64_e64 v[28:29], |v[6:7]|, s[22:23]
	s_delay_alu instid0(VALU_DEP_1) | instskip(NEXT) | instid1(VALU_DEP_1)
	v_rndne_f64_e32 v[32:33], v[28:29]
	v_fma_f64 v[28:29], v[32:33], s[24:25], |v[6:7]|
	v_mul_f64_e32 v[30:31], 0xbc91a62633145c00, v[32:33]
	v_cvt_i32_f64_e32 v41, v[32:33]
	s_delay_alu instid0(VALU_DEP_2) | instskip(NEXT) | instid1(VALU_DEP_1)
	v_add_f64_e32 v[34:35], v[28:29], v[30:31]
	v_add_f64_e64 v[36:37], v[28:29], -v[34:35]
	v_fmamk_f64 v[28:29], v[32:33], 0xbc91a62633145c00, v[28:29]
	s_delay_alu instid0(VALU_DEP_1) | instskip(NEXT) | instid1(VALU_DEP_3)
	v_add_f64_e64 v[34:35], v[34:35], -v[28:29]
	v_add_f64_e32 v[36:37], v[36:37], v[30:31]
	v_fmamk_f64 v[30:31], v[32:33], 0x3c91a62633145c00, v[30:31]
	s_delay_alu instid0(VALU_DEP_2) | instskip(NEXT) | instid1(VALU_DEP_1)
	v_add_f64_e32 v[34:35], v[34:35], v[36:37]
	v_add_f64_e64 v[34:35], v[34:35], -v[30:31]
	s_delay_alu instid0(VALU_DEP_1) | instskip(NEXT) | instid1(VALU_DEP_1)
	v_fmac_f64_e32 v[34:35], 0xb97b839a252049c0, v[32:33]
	v_add_f64_e32 v[30:31], v[28:29], v[34:35]
	s_delay_alu instid0(VALU_DEP_1) | instskip(NEXT) | instid1(VALU_DEP_1)
	v_add_f64_e64 v[28:29], v[30:31], -v[28:29]
	v_add_f64_e64 v[28:29], v[34:35], -v[28:29]
.LBB91_16:                              ;   in Loop: Header=BB91_4 Depth=1
	s_or_b32 exec_lo, exec_lo, s2
	v_cmp_ngt_f64_e64 s2, 0x41d00000, |v[8:9]|
                                        ; implicit-def: $vgpr42
                                        ; implicit-def: $vgpr34_vgpr35
                                        ; implicit-def: $vgpr32_vgpr33
	s_and_saveexec_b32 s3, s2
	s_delay_alu instid0(SALU_CYCLE_1)
	s_xor_b32 s2, exec_lo, s3
	s_cbranch_execz .LBB91_18
; %bb.17:                               ;   in Loop: Header=BB91_4 Depth=1
	v_ldexp_f64 v[32:33], |v[8:9]|, 0xffffff80
	v_cmp_le_f64_e64 vcc_lo, 0x7b000000, |v[8:9]|
	v_trig_preop_f64 v[34:35], |v[8:9]|, 0
	v_and_b32_e32 v13, 0x7fffffff, v9
	v_trig_preop_f64 v[36:37], |v[8:9]|, 1
	v_trig_preop_f64 v[48:49], |v[8:9]|, 2
	s_delay_alu instid0(VALU_DEP_3) | instskip(NEXT) | instid1(VALU_DEP_1)
	v_dual_cndmask_b32 v33, v13, v33 :: v_dual_cndmask_b32 v32, v8, v32
	v_mul_f64_e32 v[38:39], v[34:35], v[32:33]
	s_delay_alu instid0(VALU_DEP_4) | instskip(NEXT) | instid1(VALU_DEP_4)
	v_mul_f64_e32 v[42:43], v[36:37], v[32:33]
	v_mul_f64_e32 v[54:55], v[48:49], v[32:33]
	s_delay_alu instid0(VALU_DEP_3) | instskip(NEXT) | instid1(VALU_DEP_3)
	v_fma_f64 v[34:35], v[34:35], v[32:33], -v[38:39]
	v_fma_f64 v[36:37], v[36:37], v[32:33], -v[42:43]
	s_delay_alu instid0(VALU_DEP_3) | instskip(NEXT) | instid1(VALU_DEP_3)
	v_fma_f64 v[32:33], v[48:49], v[32:33], -v[54:55]
	v_add_f64_e32 v[44:45], v[42:43], v[34:35]
	s_delay_alu instid0(VALU_DEP_1) | instskip(SKIP_1) | instid1(VALU_DEP_2)
	v_add_f64_e64 v[46:47], v[44:45], -v[42:43]
	v_add_f64_e32 v[52:53], v[38:39], v[44:45]
	v_add_f64_e64 v[50:51], v[44:45], -v[46:47]
	v_add_f64_e64 v[34:35], v[34:35], -v[46:47]
	s_delay_alu instid0(VALU_DEP_3) | instskip(NEXT) | instid1(VALU_DEP_3)
	v_ldexp_f64 v[46:47], v[52:53], -2
	v_add_f64_e64 v[42:43], v[42:43], -v[50:51]
	v_add_f64_e32 v[50:51], v[54:55], v[36:37]
	s_delay_alu instid0(VALU_DEP_3) | instskip(NEXT) | instid1(VALU_DEP_3)
	v_cmp_neq_f64_e64 vcc_lo, 0x7ff00000, |v[46:47]|
	v_add_f64_e32 v[34:35], v[34:35], v[42:43]
	v_fract_f64_e32 v[42:43], v[46:47]
	s_delay_alu instid0(VALU_DEP_1) | instskip(NEXT) | instid1(VALU_DEP_1)
	v_ldexp_f64 v[42:43], v[42:43], 2
	v_cndmask_b32_e32 v43, 0, v43, vcc_lo
	v_add_f64_e64 v[38:39], v[52:53], -v[38:39]
	s_delay_alu instid0(VALU_DEP_3) | instskip(NEXT) | instid1(VALU_DEP_2)
	v_cndmask_b32_e32 v42, 0, v42, vcc_lo
	v_add_f64_e64 v[38:39], v[44:45], -v[38:39]
	v_add_f64_e32 v[44:45], v[50:51], v[34:35]
	s_delay_alu instid0(VALU_DEP_1) | instskip(SKIP_1) | instid1(VALU_DEP_2)
	v_add_f64_e32 v[46:47], v[38:39], v[44:45]
	v_add_f64_e64 v[56:57], v[44:45], -v[50:51]
	v_add_f64_e32 v[52:53], v[46:47], v[42:43]
	s_delay_alu instid0(VALU_DEP_2) | instskip(SKIP_2) | instid1(VALU_DEP_4)
	v_add_f64_e64 v[62:63], v[44:45], -v[56:57]
	v_add_f64_e64 v[34:35], v[34:35], -v[56:57]
	;; [unrolled: 1-line block ×3, first 2 shown]
	v_cmp_gt_f64_e32 vcc_lo, 0, v[52:53]
	v_add_f64_e64 v[52:53], v[50:51], -v[54:55]
	s_delay_alu instid0(VALU_DEP_3) | instskip(SKIP_1) | instid1(VALU_DEP_3)
	v_add_f64_e64 v[38:39], v[44:45], -v[38:39]
	v_cndmask_b32_e64 v13, 0, 0x40100000, vcc_lo
	v_add_f64_e64 v[60:61], v[50:51], -v[52:53]
	v_add_f64_e64 v[36:37], v[36:37], -v[52:53]
	;; [unrolled: 1-line block ×3, first 2 shown]
	s_delay_alu instid0(VALU_DEP_4) | instskip(NEXT) | instid1(VALU_DEP_4)
	v_add_f64_e32 v[42:43], v[42:43], v[12:13]
	v_add_f64_e64 v[52:53], v[54:55], -v[60:61]
	s_delay_alu instid0(VALU_DEP_3) | instskip(NEXT) | instid1(VALU_DEP_3)
	v_add_f64_e32 v[34:35], v[34:35], v[50:51]
	v_add_f64_e32 v[58:59], v[46:47], v[42:43]
	s_delay_alu instid0(VALU_DEP_3) | instskip(NEXT) | instid1(VALU_DEP_2)
	v_add_f64_e32 v[36:37], v[36:37], v[52:53]
	v_cvt_i32_f64_e32 v13, v[58:59]
	s_delay_alu instid0(VALU_DEP_2) | instskip(NEXT) | instid1(VALU_DEP_2)
	v_add_f64_e32 v[34:35], v[36:37], v[34:35]
	v_cvt_f64_i32_e32 v[56:57], v13
	s_delay_alu instid0(VALU_DEP_2) | instskip(NEXT) | instid1(VALU_DEP_2)
	v_add_f64_e32 v[32:33], v[32:33], v[34:35]
	v_add_f64_e64 v[42:43], v[42:43], -v[56:57]
	s_delay_alu instid0(VALU_DEP_2) | instskip(NEXT) | instid1(VALU_DEP_2)
	v_add_f64_e32 v[32:33], v[38:39], v[32:33]
	v_add_f64_e32 v[36:37], v[46:47], v[42:43]
	s_delay_alu instid0(VALU_DEP_1) | instskip(SKIP_1) | instid1(VALU_DEP_2)
	v_add_f64_e64 v[34:35], v[36:37], -v[42:43]
	v_cmp_le_f64_e32 vcc_lo, 0.5, v[36:37]
	v_add_f64_e64 v[34:35], v[46:47], -v[34:35]
	v_add_co_ci_u32_e64 v42, null, 0, v13, vcc_lo
	v_cndmask_b32_e64 v13, 0, 0x3ff00000, vcc_lo
	s_delay_alu instid0(VALU_DEP_3) | instskip(NEXT) | instid1(VALU_DEP_2)
	v_add_f64_e32 v[32:33], v[32:33], v[34:35]
	v_add_f64_e64 v[34:35], v[36:37], -v[12:13]
	s_delay_alu instid0(VALU_DEP_1) | instskip(NEXT) | instid1(VALU_DEP_1)
	v_add_f64_e32 v[36:37], v[34:35], v[32:33]
	v_mul_f64_e32 v[38:39], 0x3ff921fb54442d18, v[36:37]
	v_add_f64_e64 v[34:35], v[36:37], -v[34:35]
	s_delay_alu instid0(VALU_DEP_2) | instskip(NEXT) | instid1(VALU_DEP_2)
	v_fma_f64 v[44:45], v[36:37], s[20:21], -v[38:39]
	v_add_f64_e64 v[32:33], v[32:33], -v[34:35]
	s_delay_alu instid0(VALU_DEP_2) | instskip(NEXT) | instid1(VALU_DEP_1)
	v_fmac_f64_e32 v[44:45], 0x3c91a62633145c07, v[36:37]
	v_fmac_f64_e32 v[44:45], 0x3ff921fb54442d18, v[32:33]
	s_delay_alu instid0(VALU_DEP_1) | instskip(NEXT) | instid1(VALU_DEP_1)
	v_add_f64_e32 v[34:35], v[38:39], v[44:45]
	v_add_f64_e64 v[32:33], v[34:35], -v[38:39]
	s_delay_alu instid0(VALU_DEP_1)
	v_add_f64_e64 v[32:33], v[44:45], -v[32:33]
.LBB91_18:                              ;   in Loop: Header=BB91_4 Depth=1
	s_and_not1_saveexec_b32 s2, s2
	s_cbranch_execz .LBB91_3
; %bb.19:                               ;   in Loop: Header=BB91_4 Depth=1
	v_mul_f64_e64 v[32:33], |v[8:9]|, s[22:23]
	s_delay_alu instid0(VALU_DEP_1) | instskip(NEXT) | instid1(VALU_DEP_1)
	v_rndne_f64_e32 v[36:37], v[32:33]
	v_fma_f64 v[32:33], v[36:37], s[24:25], |v[8:9]|
	v_mul_f64_e32 v[34:35], 0xbc91a62633145c00, v[36:37]
	s_delay_alu instid0(VALU_DEP_1) | instskip(NEXT) | instid1(VALU_DEP_1)
	v_add_f64_e32 v[38:39], v[32:33], v[34:35]
	v_add_f64_e64 v[42:43], v[32:33], -v[38:39]
	v_fmamk_f64 v[32:33], v[36:37], 0xbc91a62633145c00, v[32:33]
	s_delay_alu instid0(VALU_DEP_1) | instskip(NEXT) | instid1(VALU_DEP_3)
	v_add_f64_e64 v[38:39], v[38:39], -v[32:33]
	v_add_f64_e32 v[42:43], v[42:43], v[34:35]
	v_fmamk_f64 v[34:35], v[36:37], 0x3c91a62633145c00, v[34:35]
	s_delay_alu instid0(VALU_DEP_2) | instskip(SKIP_1) | instid1(VALU_DEP_2)
	v_add_f64_e32 v[38:39], v[38:39], v[42:43]
	v_cvt_i32_f64_e32 v42, v[36:37]
	v_add_f64_e64 v[38:39], v[38:39], -v[34:35]
	s_delay_alu instid0(VALU_DEP_1) | instskip(NEXT) | instid1(VALU_DEP_1)
	v_fmac_f64_e32 v[38:39], 0xb97b839a252049c0, v[36:37]
	v_add_f64_e32 v[34:35], v[32:33], v[38:39]
	s_delay_alu instid0(VALU_DEP_1) | instskip(NEXT) | instid1(VALU_DEP_1)
	v_add_f64_e64 v[32:33], v[34:35], -v[32:33]
	v_add_f64_e64 v[32:33], v[38:39], -v[32:33]
	s_branch .LBB91_3
.LBB91_20:
	s_or_b32 exec_lo, exec_lo, s28
	s_mov_b32 s2, 0
.LBB91_21:
	s_delay_alu instid0(SALU_CYCLE_1)
	s_and_not1_b32 vcc_lo, exec_lo, s2
	s_cbranch_vccnz .LBB91_57
; %bb.22:
	v_cmp_lt_i64_e64 s2, s[16:17], 1
	s_and_b32 vcc_lo, exec_lo, s2
	s_cbranch_vccnz .LBB91_57
; %bb.23:
	s_load_b32 s0, s[0:1], 0xc5c
	v_min_i64 v[2:3], 0x10000, s[16:17]
	v_min_u64 v[6:7], 0x10000, s[16:17]
	v_dual_mov_b32 v4, 0 :: v_dual_lshlrev_b32 v12, 3, v0
	s_wait_xcnt 0x0
	s_mov_b32 s1, 0
	v_mov_b64_e32 v[30:31], 0xbf078809a9a29f71
	s_mov_b32 s17, s1
	v_dual_mov_b32 v13, v4 :: v_dual_mov_b32 v1, v4
	s_mov_b32 s3, s1
	s_mov_b32 s9, s1
	s_mov_b64 s[4:5], 0x3ff921fb54442d18
	s_delay_alu instid0(VALU_DEP_1) | instskip(SKIP_3) | instid1(SALU_CYCLE_1)
	v_add_nc_u64_e32 v[8:9], s[12:13], v[12:13]
	s_mov_b64 s[6:7], 0x3fe45f306dc9c883
                                        ; implicit-def: $vgpr32_vgpr33
                                        ; implicit-def: $vgpr32_vgpr33
	;; [unrolled: 1-line block ×12, first 2 shown]
	s_wait_kmcnt 0x0
	s_and_b32 s0, s0, 0xffff
	v_add_nc_u64_e32 v[10:11], s[0:1], v[0:1]
	v_mad_nc_u64_u32 v[24:25], s0, 24, v[12:13]
	s_lshl_b32 s16, s0, 4
	v_mov_b32_e32 v29, v4
	v_add_nc_u64_e32 v[20:21], s[16:17], v[12:13]
	s_mul_i32 s8, s0, 3
	s_lshl_b32 s2, s0, 1
	v_lshlrev_b32_e32 v28, 3, v10
	v_add_nc_u64_e32 v[12:13], s[14:15], v[12:13]
	v_add_nc_u64_e32 v[14:15], s[8:9], v[0:1]
	;; [unrolled: 1-line block ×9, first 2 shown]
	s_mov_b64 s[8:9], 0xbff921fb54442d18
	s_lshl_b32 s12, s0, 2
	s_mov_b32 s13, s1
	s_lshl_b32 s14, s0, 5
	s_mov_b32 s15, s1
	s_mov_b64 s[16:17], 0
	s_branch .LBB91_25
.LBB91_24:                              ;   in Loop: Header=BB91_25 Depth=1
	s_wait_xcnt 0x0
	s_or_b32 exec_lo, exec_lo, s1
	s_add_nc_u64 s[16:17], s[16:17], s[12:13]
	v_add_nc_u64_e32 v[8:9], s[14:15], v[8:9]
	v_cmp_ge_i64_e32 vcc_lo, s[16:17], v[2:3]
	v_add_nc_u64_e32 v[12:13], s[14:15], v[12:13]
	v_add_nc_u64_e32 v[22:23], s[14:15], v[22:23]
	;; [unrolled: 1-line block ×7, first 2 shown]
	s_cbranch_vccnz .LBB91_57
.LBB91_25:                              ; =>This Inner Loop Header: Depth=1
	v_add_nc_u64_e32 v[32:33], s[16:17], v[0:1]
	v_dual_mov_b32 v38, 0 :: v_dual_mov_b32 v39, 0
	s_delay_alu instid0(VALU_DEP_2)
	v_cmp_lt_u64_e64 s2, v[32:33], v[6:7]
	s_and_saveexec_b32 s0, s2
	s_cbranch_execz .LBB91_27
; %bb.26:                               ;   in Loop: Header=BB91_25 Depth=1
	v_add_nc_u64_e32 v[32:33], s[10:11], v[8:9]
	global_load_b64 v[38:39], v[32:33], off
.LBB91_27:                              ;   in Loop: Header=BB91_25 Depth=1
	s_wait_xcnt 0x0
	s_or_b32 exec_lo, exec_lo, s0
	v_add_nc_u64_e32 v[32:33], s[16:17], v[10:11]
	v_dual_mov_b32 v34, 0 :: v_dual_mov_b32 v36, 0
	v_mov_b32_e32 v37, 0
	s_delay_alu instid0(VALU_DEP_3)
	v_cmp_lt_u64_e64 s1, v[32:33], v[6:7]
	s_and_saveexec_b32 s0, s1
	s_cbranch_execz .LBB91_29
; %bb.28:                               ;   in Loop: Header=BB91_25 Depth=1
	v_add_nc_u64_e32 v[32:33], s[10:11], v[26:27]
	global_load_b64 v[36:37], v[32:33], off
.LBB91_29:                              ;   in Loop: Header=BB91_25 Depth=1
	s_wait_xcnt 0x0
	s_or_b32 exec_lo, exec_lo, s0
	v_add_nc_u64_e32 v[32:33], s[16:17], v[16:17]
	v_mov_b32_e32 v35, 0
	s_delay_alu instid0(VALU_DEP_2)
	v_cmp_lt_u64_e64 s0, v[32:33], v[6:7]
	s_and_saveexec_b32 s3, s0
	s_cbranch_execz .LBB91_31
; %bb.30:                               ;   in Loop: Header=BB91_25 Depth=1
	v_add_nc_u64_e32 v[32:33], s[10:11], v[18:19]
	global_load_b64 v[34:35], v[32:33], off
.LBB91_31:                              ;   in Loop: Header=BB91_25 Depth=1
	s_wait_xcnt 0x0
	s_or_b32 exec_lo, exec_lo, s3
	v_add_nc_u64_e32 v[32:33], s[16:17], v[14:15]
	s_delay_alu instid0(VALU_DEP_1)
	v_cmp_lt_u64_e32 vcc_lo, v[32:33], v[6:7]
	v_mov_b64_e32 v[32:33], 0
	s_and_saveexec_b32 s3, vcc_lo
	s_cbranch_execz .LBB91_33
; %bb.32:                               ;   in Loop: Header=BB91_25 Depth=1
	v_add_nc_u64_e32 v[32:33], s[10:11], v[22:23]
	global_load_b64 v[32:33], v[32:33], off
.LBB91_33:                              ;   in Loop: Header=BB91_25 Depth=1
	s_wait_xcnt 0x0
	s_or_b32 exec_lo, exec_lo, s3
	s_delay_alu instid0(SALU_CYCLE_1)
	s_mov_b32 s18, exec_lo
                                        ; implicit-def: $vgpr56
                                        ; implicit-def: $vgpr40_vgpr41
                                        ; implicit-def: $vgpr42_vgpr43
	s_wait_loadcnt 0x0
	v_cmpx_ngt_f64_e64 0x41d00000, |v[38:39]|
	s_xor_b32 s18, exec_lo, s18
	s_cbranch_execz .LBB91_35
; %bb.34:                               ;   in Loop: Header=BB91_25 Depth=1
	v_ldexp_f64 v[40:41], |v[38:39]|, 0xffffff80
	v_cmp_le_f64_e64 s3, 0x7b000000, |v[38:39]|
	v_trig_preop_f64 v[42:43], |v[38:39]|, 0
	v_and_b32_e32 v5, 0x7fffffff, v39
	v_trig_preop_f64 v[44:45], |v[38:39]|, 1
	v_trig_preop_f64 v[54:55], |v[38:39]|, 2
	s_delay_alu instid0(VALU_DEP_3) | instskip(NEXT) | instid1(VALU_DEP_1)
	v_dual_cndmask_b32 v41, v5, v41, s3 :: v_dual_cndmask_b32 v40, v38, v40, s3
	v_mul_f64_e32 v[46:47], v[42:43], v[40:41]
	s_delay_alu instid0(VALU_DEP_4) | instskip(NEXT) | instid1(VALU_DEP_4)
	v_mul_f64_e32 v[48:49], v[44:45], v[40:41]
	v_mul_f64_e32 v[60:61], v[54:55], v[40:41]
	s_delay_alu instid0(VALU_DEP_3) | instskip(NEXT) | instid1(VALU_DEP_3)
	v_fma_f64 v[42:43], v[42:43], v[40:41], -v[46:47]
	v_fma_f64 v[44:45], v[44:45], v[40:41], -v[48:49]
	s_delay_alu instid0(VALU_DEP_3) | instskip(NEXT) | instid1(VALU_DEP_3)
	v_fma_f64 v[40:41], v[54:55], v[40:41], -v[60:61]
	v_add_f64_e32 v[50:51], v[48:49], v[42:43]
	s_delay_alu instid0(VALU_DEP_1) | instskip(SKIP_1) | instid1(VALU_DEP_2)
	v_add_f64_e64 v[52:53], v[50:51], -v[48:49]
	v_add_f64_e32 v[58:59], v[46:47], v[50:51]
	v_add_f64_e64 v[56:57], v[50:51], -v[52:53]
	v_add_f64_e64 v[42:43], v[42:43], -v[52:53]
	s_delay_alu instid0(VALU_DEP_3) | instskip(NEXT) | instid1(VALU_DEP_3)
	v_ldexp_f64 v[52:53], v[58:59], -2
	v_add_f64_e64 v[48:49], v[48:49], -v[56:57]
	v_add_f64_e32 v[56:57], v[60:61], v[44:45]
	s_delay_alu instid0(VALU_DEP_3) | instskip(NEXT) | instid1(VALU_DEP_3)
	v_cmp_neq_f64_e64 s3, 0x7ff00000, |v[52:53]|
	v_add_f64_e32 v[42:43], v[42:43], v[48:49]
	v_fract_f64_e32 v[48:49], v[52:53]
	s_delay_alu instid0(VALU_DEP_1) | instskip(NEXT) | instid1(VALU_DEP_1)
	v_ldexp_f64 v[48:49], v[48:49], 2
	v_dual_add_f64 v[46:47], v[58:59], -v[46:47] :: v_dual_cndmask_b32 v48, 0, v48, s3
	s_delay_alu instid0(VALU_DEP_1) | instskip(SKIP_1) | instid1(VALU_DEP_1)
	v_dual_add_f64 v[46:47], v[50:51], -v[46:47] :: v_dual_cndmask_b32 v49, 0, v49, s3
	v_add_f64_e32 v[50:51], v[56:57], v[42:43]
	v_add_f64_e32 v[52:53], v[46:47], v[50:51]
	v_add_f64_e64 v[62:63], v[50:51], -v[56:57]
	s_delay_alu instid0(VALU_DEP_2) | instskip(NEXT) | instid1(VALU_DEP_2)
	v_add_f64_e32 v[58:59], v[52:53], v[48:49]
	v_add_f64_e64 v[68:69], v[50:51], -v[62:63]
	v_add_f64_e64 v[42:43], v[42:43], -v[62:63]
	v_add_f64_e64 v[46:47], v[52:53], -v[46:47]
	s_delay_alu instid0(VALU_DEP_4) | instskip(SKIP_1) | instid1(VALU_DEP_3)
	v_cmp_gt_f64_e64 s3, 0, v[58:59]
	v_add_f64_e64 v[58:59], v[56:57], -v[60:61]
	v_add_f64_e64 v[46:47], v[50:51], -v[46:47]
	s_delay_alu instid0(VALU_DEP_3) | instskip(NEXT) | instid1(VALU_DEP_3)
	v_cndmask_b32_e64 v5, 0, 0x40100000, s3
	v_add_f64_e64 v[66:67], v[56:57], -v[58:59]
	v_add_f64_e64 v[44:45], v[44:45], -v[58:59]
	;; [unrolled: 1-line block ×3, first 2 shown]
	s_delay_alu instid0(VALU_DEP_4) | instskip(NEXT) | instid1(VALU_DEP_4)
	v_add_f64_e32 v[48:49], v[48:49], v[4:5]
	v_add_f64_e64 v[58:59], v[60:61], -v[66:67]
	s_delay_alu instid0(VALU_DEP_3) | instskip(NEXT) | instid1(VALU_DEP_3)
	v_add_f64_e32 v[42:43], v[42:43], v[56:57]
	v_add_f64_e32 v[64:65], v[52:53], v[48:49]
	s_delay_alu instid0(VALU_DEP_3) | instskip(NEXT) | instid1(VALU_DEP_2)
	v_add_f64_e32 v[44:45], v[44:45], v[58:59]
	v_cvt_i32_f64_e32 v5, v[64:65]
	s_delay_alu instid0(VALU_DEP_2) | instskip(NEXT) | instid1(VALU_DEP_2)
	v_add_f64_e32 v[42:43], v[44:45], v[42:43]
	v_cvt_f64_i32_e32 v[62:63], v5
	s_delay_alu instid0(VALU_DEP_2) | instskip(NEXT) | instid1(VALU_DEP_2)
	v_add_f64_e32 v[40:41], v[40:41], v[42:43]
	v_add_f64_e64 v[48:49], v[48:49], -v[62:63]
	s_delay_alu instid0(VALU_DEP_2) | instskip(NEXT) | instid1(VALU_DEP_2)
	v_add_f64_e32 v[40:41], v[46:47], v[40:41]
	v_add_f64_e32 v[44:45], v[52:53], v[48:49]
	s_delay_alu instid0(VALU_DEP_1) | instskip(SKIP_1) | instid1(VALU_DEP_2)
	v_add_f64_e64 v[42:43], v[44:45], -v[48:49]
	v_cmp_le_f64_e64 s3, 0.5, v[44:45]
	v_add_f64_e64 v[42:43], v[52:53], -v[42:43]
	s_delay_alu instid0(VALU_DEP_2) | instskip(SKIP_1) | instid1(VALU_DEP_3)
	v_add_co_ci_u32_e64 v56, null, 0, v5, s3
	v_cndmask_b32_e64 v5, 0, 0x3ff00000, s3
	v_add_f64_e32 v[40:41], v[40:41], v[42:43]
	s_delay_alu instid0(VALU_DEP_2) | instskip(NEXT) | instid1(VALU_DEP_1)
	v_add_f64_e64 v[42:43], v[44:45], -v[4:5]
	v_add_f64_e32 v[44:45], v[42:43], v[40:41]
	s_delay_alu instid0(VALU_DEP_1) | instskip(SKIP_1) | instid1(VALU_DEP_2)
	v_mul_f64_e32 v[46:47], 0x3ff921fb54442d18, v[44:45]
	v_add_f64_e64 v[42:43], v[44:45], -v[42:43]
	v_fma_f64 v[48:49], v[44:45], s[4:5], -v[46:47]
	s_delay_alu instid0(VALU_DEP_2) | instskip(NEXT) | instid1(VALU_DEP_2)
	v_add_f64_e64 v[40:41], v[40:41], -v[42:43]
	v_fmac_f64_e32 v[48:49], 0x3c91a62633145c07, v[44:45]
	s_delay_alu instid0(VALU_DEP_1) | instskip(NEXT) | instid1(VALU_DEP_1)
	v_fmac_f64_e32 v[48:49], 0x3ff921fb54442d18, v[40:41]
	v_add_f64_e32 v[40:41], v[46:47], v[48:49]
	s_delay_alu instid0(VALU_DEP_1) | instskip(NEXT) | instid1(VALU_DEP_1)
	v_add_f64_e64 v[42:43], v[40:41], -v[46:47]
	v_add_f64_e64 v[42:43], v[48:49], -v[42:43]
.LBB91_35:                              ;   in Loop: Header=BB91_25 Depth=1
	s_and_not1_saveexec_b32 s3, s18
	s_cbranch_execz .LBB91_37
; %bb.36:                               ;   in Loop: Header=BB91_25 Depth=1
	v_mul_f64_e64 v[40:41], |v[38:39]|, s[6:7]
	s_delay_alu instid0(VALU_DEP_1) | instskip(NEXT) | instid1(VALU_DEP_1)
	v_rndne_f64_e32 v[44:45], v[40:41]
	v_fma_f64 v[40:41], v[44:45], s[8:9], |v[38:39]|
	v_mul_f64_e32 v[42:43], 0xbc91a62633145c00, v[44:45]
	v_cvt_i32_f64_e32 v56, v[44:45]
	s_delay_alu instid0(VALU_DEP_3) | instskip(NEXT) | instid1(VALU_DEP_3)
	v_fmamk_f64 v[50:51], v[44:45], 0xbc91a62633145c00, v[40:41]
	v_add_f64_e32 v[46:47], v[40:41], v[42:43]
	s_delay_alu instid0(VALU_DEP_1) | instskip(NEXT) | instid1(VALU_DEP_3)
	v_add_f64_e64 v[48:49], v[40:41], -v[46:47]
	v_add_f64_e64 v[40:41], v[46:47], -v[50:51]
	s_delay_alu instid0(VALU_DEP_2) | instskip(SKIP_1) | instid1(VALU_DEP_2)
	v_add_f64_e32 v[46:47], v[48:49], v[42:43]
	v_fmamk_f64 v[42:43], v[44:45], 0x3c91a62633145c00, v[42:43]
	v_add_f64_e32 v[40:41], v[40:41], v[46:47]
	s_delay_alu instid0(VALU_DEP_1) | instskip(NEXT) | instid1(VALU_DEP_1)
	v_add_f64_e64 v[42:43], v[40:41], -v[42:43]
	v_fmac_f64_e32 v[42:43], 0xb97b839a252049c0, v[44:45]
	s_delay_alu instid0(VALU_DEP_1) | instskip(NEXT) | instid1(VALU_DEP_1)
	v_add_f64_e32 v[40:41], v[50:51], v[42:43]
	v_add_f64_e64 v[46:47], v[40:41], -v[50:51]
	s_delay_alu instid0(VALU_DEP_1)
	v_add_f64_e64 v[42:43], v[42:43], -v[46:47]
.LBB91_37:                              ;   in Loop: Header=BB91_25 Depth=1
	s_or_b32 exec_lo, exec_lo, s3
	s_delay_alu instid0(SALU_CYCLE_1)
	s_mov_b32 s18, exec_lo
                                        ; implicit-def: $vgpr57
                                        ; implicit-def: $vgpr44_vgpr45
                                        ; implicit-def: $vgpr46_vgpr47
	v_cmpx_ngt_f64_e64 0x41d00000, |v[36:37]|
	s_xor_b32 s18, exec_lo, s18
	s_cbranch_execz .LBB91_39
; %bb.38:                               ;   in Loop: Header=BB91_25 Depth=1
	v_ldexp_f64 v[44:45], |v[36:37]|, 0xffffff80
	v_cmp_le_f64_e64 s3, 0x7b000000, |v[36:37]|
	v_trig_preop_f64 v[46:47], |v[36:37]|, 0
	v_and_b32_e32 v5, 0x7fffffff, v37
	v_trig_preop_f64 v[48:49], |v[36:37]|, 1
	v_trig_preop_f64 v[60:61], |v[36:37]|, 2
	s_delay_alu instid0(VALU_DEP_3) | instskip(NEXT) | instid1(VALU_DEP_1)
	v_dual_cndmask_b32 v45, v5, v45, s3 :: v_dual_cndmask_b32 v44, v36, v44, s3
	v_mul_f64_e32 v[50:51], v[46:47], v[44:45]
	s_delay_alu instid0(VALU_DEP_4) | instskip(NEXT) | instid1(VALU_DEP_4)
	v_mul_f64_e32 v[52:53], v[48:49], v[44:45]
	v_mul_f64_e32 v[66:67], v[60:61], v[44:45]
	s_delay_alu instid0(VALU_DEP_3) | instskip(NEXT) | instid1(VALU_DEP_3)
	v_fma_f64 v[46:47], v[46:47], v[44:45], -v[50:51]
	v_fma_f64 v[48:49], v[48:49], v[44:45], -v[52:53]
	s_delay_alu instid0(VALU_DEP_3) | instskip(NEXT) | instid1(VALU_DEP_3)
	v_fma_f64 v[44:45], v[60:61], v[44:45], -v[66:67]
	v_add_f64_e32 v[54:55], v[52:53], v[46:47]
	s_delay_alu instid0(VALU_DEP_1) | instskip(SKIP_1) | instid1(VALU_DEP_2)
	v_add_f64_e64 v[58:59], v[54:55], -v[52:53]
	v_add_f64_e32 v[64:65], v[50:51], v[54:55]
	v_add_f64_e64 v[62:63], v[54:55], -v[58:59]
	v_add_f64_e64 v[46:47], v[46:47], -v[58:59]
	s_delay_alu instid0(VALU_DEP_3) | instskip(SKIP_1) | instid1(VALU_DEP_4)
	v_ldexp_f64 v[58:59], v[64:65], -2
	v_add_f64_e64 v[50:51], v[64:65], -v[50:51]
	v_add_f64_e64 v[52:53], v[52:53], -v[62:63]
	v_add_f64_e32 v[62:63], v[66:67], v[48:49]
	s_delay_alu instid0(VALU_DEP_4) | instskip(NEXT) | instid1(VALU_DEP_3)
	v_cmp_neq_f64_e64 s3, 0x7ff00000, |v[58:59]|
	v_add_f64_e32 v[46:47], v[46:47], v[52:53]
	v_fract_f64_e32 v[52:53], v[58:59]
	s_delay_alu instid0(VALU_DEP_1) | instskip(NEXT) | instid1(VALU_DEP_1)
	v_ldexp_f64 v[52:53], v[52:53], 2
	v_dual_add_f64 v[50:51], v[54:55], -v[50:51] :: v_dual_cndmask_b32 v53, 0, v53, s3
	s_delay_alu instid0(VALU_DEP_2) | instskip(NEXT) | instid1(VALU_DEP_1)
	v_dual_add_f64 v[54:55], v[62:63], v[46:47] :: v_dual_cndmask_b32 v52, 0, v52, s3
	v_add_f64_e32 v[58:59], v[50:51], v[54:55]
	v_add_f64_e64 v[68:69], v[54:55], -v[62:63]
	s_delay_alu instid0(VALU_DEP_2) | instskip(NEXT) | instid1(VALU_DEP_2)
	v_add_f64_e32 v[64:65], v[58:59], v[52:53]
	v_add_f64_e64 v[74:75], v[54:55], -v[68:69]
	v_add_f64_e64 v[46:47], v[46:47], -v[68:69]
	;; [unrolled: 1-line block ×3, first 2 shown]
	s_delay_alu instid0(VALU_DEP_4) | instskip(SKIP_1) | instid1(VALU_DEP_3)
	v_cmp_gt_f64_e64 s3, 0, v[64:65]
	v_add_f64_e64 v[64:65], v[62:63], -v[66:67]
	v_add_f64_e64 v[50:51], v[54:55], -v[50:51]
	s_delay_alu instid0(VALU_DEP_3) | instskip(NEXT) | instid1(VALU_DEP_3)
	v_cndmask_b32_e64 v5, 0, 0x40100000, s3
	v_add_f64_e64 v[72:73], v[62:63], -v[64:65]
	v_add_f64_e64 v[48:49], v[48:49], -v[64:65]
	;; [unrolled: 1-line block ×3, first 2 shown]
	s_delay_alu instid0(VALU_DEP_4) | instskip(NEXT) | instid1(VALU_DEP_4)
	v_add_f64_e32 v[52:53], v[52:53], v[4:5]
	v_add_f64_e64 v[64:65], v[66:67], -v[72:73]
	s_delay_alu instid0(VALU_DEP_3) | instskip(NEXT) | instid1(VALU_DEP_3)
	v_add_f64_e32 v[46:47], v[46:47], v[62:63]
	v_add_f64_e32 v[70:71], v[58:59], v[52:53]
	s_delay_alu instid0(VALU_DEP_3) | instskip(NEXT) | instid1(VALU_DEP_2)
	v_add_f64_e32 v[48:49], v[48:49], v[64:65]
	v_cvt_i32_f64_e32 v5, v[70:71]
	s_delay_alu instid0(VALU_DEP_2) | instskip(NEXT) | instid1(VALU_DEP_2)
	v_add_f64_e32 v[46:47], v[48:49], v[46:47]
	v_cvt_f64_i32_e32 v[68:69], v5
	s_delay_alu instid0(VALU_DEP_2) | instskip(NEXT) | instid1(VALU_DEP_2)
	v_add_f64_e32 v[44:45], v[44:45], v[46:47]
	v_add_f64_e64 v[52:53], v[52:53], -v[68:69]
	s_delay_alu instid0(VALU_DEP_2) | instskip(NEXT) | instid1(VALU_DEP_2)
	v_add_f64_e32 v[44:45], v[50:51], v[44:45]
	v_add_f64_e32 v[48:49], v[58:59], v[52:53]
	s_delay_alu instid0(VALU_DEP_1) | instskip(SKIP_1) | instid1(VALU_DEP_2)
	v_add_f64_e64 v[46:47], v[48:49], -v[52:53]
	v_cmp_le_f64_e64 s3, 0.5, v[48:49]
	v_add_f64_e64 v[46:47], v[58:59], -v[46:47]
	s_delay_alu instid0(VALU_DEP_2) | instskip(SKIP_1) | instid1(VALU_DEP_3)
	v_add_co_ci_u32_e64 v57, null, 0, v5, s3
	v_cndmask_b32_e64 v5, 0, 0x3ff00000, s3
	v_add_f64_e32 v[44:45], v[44:45], v[46:47]
	s_delay_alu instid0(VALU_DEP_2) | instskip(NEXT) | instid1(VALU_DEP_1)
	v_add_f64_e64 v[46:47], v[48:49], -v[4:5]
	v_add_f64_e32 v[48:49], v[46:47], v[44:45]
	s_delay_alu instid0(VALU_DEP_1) | instskip(SKIP_1) | instid1(VALU_DEP_2)
	v_mul_f64_e32 v[50:51], 0x3ff921fb54442d18, v[48:49]
	v_add_f64_e64 v[46:47], v[48:49], -v[46:47]
	v_fma_f64 v[52:53], v[48:49], s[4:5], -v[50:51]
	s_delay_alu instid0(VALU_DEP_2) | instskip(NEXT) | instid1(VALU_DEP_2)
	v_add_f64_e64 v[44:45], v[44:45], -v[46:47]
	v_fmac_f64_e32 v[52:53], 0x3c91a62633145c07, v[48:49]
	s_delay_alu instid0(VALU_DEP_1) | instskip(NEXT) | instid1(VALU_DEP_1)
	v_fmac_f64_e32 v[52:53], 0x3ff921fb54442d18, v[44:45]
	v_add_f64_e32 v[44:45], v[50:51], v[52:53]
	s_delay_alu instid0(VALU_DEP_1) | instskip(NEXT) | instid1(VALU_DEP_1)
	v_add_f64_e64 v[46:47], v[44:45], -v[50:51]
	v_add_f64_e64 v[46:47], v[52:53], -v[46:47]
.LBB91_39:                              ;   in Loop: Header=BB91_25 Depth=1
	s_and_not1_saveexec_b32 s3, s18
	s_cbranch_execz .LBB91_41
; %bb.40:                               ;   in Loop: Header=BB91_25 Depth=1
	v_mul_f64_e64 v[44:45], |v[36:37]|, s[6:7]
	s_delay_alu instid0(VALU_DEP_1) | instskip(NEXT) | instid1(VALU_DEP_1)
	v_rndne_f64_e32 v[48:49], v[44:45]
	v_fma_f64 v[44:45], v[48:49], s[8:9], |v[36:37]|
	v_mul_f64_e32 v[46:47], 0xbc91a62633145c00, v[48:49]
	v_cvt_i32_f64_e32 v57, v[48:49]
	s_delay_alu instid0(VALU_DEP_3) | instskip(NEXT) | instid1(VALU_DEP_3)
	v_fmamk_f64 v[54:55], v[48:49], 0xbc91a62633145c00, v[44:45]
	v_add_f64_e32 v[50:51], v[44:45], v[46:47]
	s_delay_alu instid0(VALU_DEP_1) | instskip(NEXT) | instid1(VALU_DEP_3)
	v_add_f64_e64 v[52:53], v[44:45], -v[50:51]
	v_add_f64_e64 v[44:45], v[50:51], -v[54:55]
	s_delay_alu instid0(VALU_DEP_2) | instskip(SKIP_1) | instid1(VALU_DEP_2)
	v_add_f64_e32 v[50:51], v[52:53], v[46:47]
	v_fmamk_f64 v[46:47], v[48:49], 0x3c91a62633145c00, v[46:47]
	v_add_f64_e32 v[44:45], v[44:45], v[50:51]
	s_delay_alu instid0(VALU_DEP_1) | instskip(NEXT) | instid1(VALU_DEP_1)
	v_add_f64_e64 v[46:47], v[44:45], -v[46:47]
	v_fmac_f64_e32 v[46:47], 0xb97b839a252049c0, v[48:49]
	s_delay_alu instid0(VALU_DEP_1) | instskip(NEXT) | instid1(VALU_DEP_1)
	v_add_f64_e32 v[44:45], v[54:55], v[46:47]
	v_add_f64_e64 v[50:51], v[44:45], -v[54:55]
	s_delay_alu instid0(VALU_DEP_1)
	v_add_f64_e64 v[46:47], v[46:47], -v[50:51]
.LBB91_41:                              ;   in Loop: Header=BB91_25 Depth=1
	s_or_b32 exec_lo, exec_lo, s3
	s_delay_alu instid0(SALU_CYCLE_1)
	s_mov_b32 s18, exec_lo
                                        ; implicit-def: $vgpr58
                                        ; implicit-def: $vgpr48_vgpr49
                                        ; implicit-def: $vgpr50_vgpr51
	v_cmpx_ngt_f64_e64 0x41d00000, |v[34:35]|
	s_xor_b32 s18, exec_lo, s18
	s_cbranch_execz .LBB91_43
; %bb.42:                               ;   in Loop: Header=BB91_25 Depth=1
	v_ldexp_f64 v[48:49], |v[34:35]|, 0xffffff80
	v_cmp_le_f64_e64 s3, 0x7b000000, |v[34:35]|
	v_trig_preop_f64 v[50:51], |v[34:35]|, 0
	v_and_b32_e32 v5, 0x7fffffff, v35
	v_trig_preop_f64 v[52:53], |v[34:35]|, 1
	v_trig_preop_f64 v[64:65], |v[34:35]|, 2
	s_delay_alu instid0(VALU_DEP_3) | instskip(NEXT) | instid1(VALU_DEP_1)
	v_dual_cndmask_b32 v49, v5, v49, s3 :: v_dual_cndmask_b32 v48, v34, v48, s3
	v_mul_f64_e32 v[54:55], v[50:51], v[48:49]
	s_delay_alu instid0(VALU_DEP_4) | instskip(NEXT) | instid1(VALU_DEP_4)
	v_mul_f64_e32 v[58:59], v[52:53], v[48:49]
	v_mul_f64_e32 v[70:71], v[64:65], v[48:49]
	s_delay_alu instid0(VALU_DEP_3) | instskip(NEXT) | instid1(VALU_DEP_3)
	v_fma_f64 v[50:51], v[50:51], v[48:49], -v[54:55]
	v_fma_f64 v[52:53], v[52:53], v[48:49], -v[58:59]
	s_delay_alu instid0(VALU_DEP_3) | instskip(NEXT) | instid1(VALU_DEP_3)
	v_fma_f64 v[48:49], v[64:65], v[48:49], -v[70:71]
	v_add_f64_e32 v[60:61], v[58:59], v[50:51]
	s_delay_alu instid0(VALU_DEP_1) | instskip(SKIP_1) | instid1(VALU_DEP_2)
	v_add_f64_e64 v[62:63], v[60:61], -v[58:59]
	v_add_f64_e32 v[68:69], v[54:55], v[60:61]
	v_add_f64_e64 v[66:67], v[60:61], -v[62:63]
	v_add_f64_e64 v[50:51], v[50:51], -v[62:63]
	s_delay_alu instid0(VALU_DEP_3) | instskip(NEXT) | instid1(VALU_DEP_3)
	v_ldexp_f64 v[62:63], v[68:69], -2
	v_add_f64_e64 v[58:59], v[58:59], -v[66:67]
	v_add_f64_e32 v[66:67], v[70:71], v[52:53]
	s_delay_alu instid0(VALU_DEP_3) | instskip(NEXT) | instid1(VALU_DEP_3)
	v_cmp_neq_f64_e64 s3, 0x7ff00000, |v[62:63]|
	v_add_f64_e32 v[50:51], v[50:51], v[58:59]
	v_fract_f64_e32 v[58:59], v[62:63]
	s_delay_alu instid0(VALU_DEP_1) | instskip(NEXT) | instid1(VALU_DEP_1)
	v_ldexp_f64 v[58:59], v[58:59], 2
	v_cndmask_b32_e64 v59, 0, v59, s3
	v_add_f64_e64 v[54:55], v[68:69], -v[54:55]
	s_delay_alu instid0(VALU_DEP_3) | instskip(NEXT) | instid1(VALU_DEP_2)
	v_cndmask_b32_e64 v58, 0, v58, s3
	v_add_f64_e64 v[54:55], v[60:61], -v[54:55]
	v_add_f64_e32 v[60:61], v[66:67], v[50:51]
	s_delay_alu instid0(VALU_DEP_1) | instskip(SKIP_1) | instid1(VALU_DEP_2)
	v_add_f64_e32 v[62:63], v[54:55], v[60:61]
	v_add_f64_e64 v[72:73], v[60:61], -v[66:67]
	v_add_f64_e32 v[68:69], v[62:63], v[58:59]
	s_delay_alu instid0(VALU_DEP_2) | instskip(SKIP_2) | instid1(VALU_DEP_4)
	v_add_f64_e64 v[78:79], v[60:61], -v[72:73]
	v_add_f64_e64 v[50:51], v[50:51], -v[72:73]
	;; [unrolled: 1-line block ×3, first 2 shown]
	v_cmp_gt_f64_e64 s3, 0, v[68:69]
	v_add_f64_e64 v[68:69], v[66:67], -v[70:71]
	s_delay_alu instid0(VALU_DEP_3) | instskip(NEXT) | instid1(VALU_DEP_3)
	v_add_f64_e64 v[54:55], v[60:61], -v[54:55]
	v_cndmask_b32_e64 v5, 0, 0x40100000, s3
	s_delay_alu instid0(VALU_DEP_3) | instskip(SKIP_2) | instid1(VALU_DEP_4)
	v_add_f64_e64 v[76:77], v[66:67], -v[68:69]
	v_add_f64_e64 v[52:53], v[52:53], -v[68:69]
	v_add_f64_e64 v[66:67], v[66:67], -v[78:79]
	v_add_f64_e32 v[58:59], v[58:59], v[4:5]
	s_delay_alu instid0(VALU_DEP_4) | instskip(NEXT) | instid1(VALU_DEP_3)
	v_add_f64_e64 v[68:69], v[70:71], -v[76:77]
	v_add_f64_e32 v[50:51], v[50:51], v[66:67]
	s_delay_alu instid0(VALU_DEP_3) | instskip(NEXT) | instid1(VALU_DEP_3)
	v_add_f64_e32 v[74:75], v[62:63], v[58:59]
	v_add_f64_e32 v[52:53], v[52:53], v[68:69]
	s_delay_alu instid0(VALU_DEP_2) | instskip(NEXT) | instid1(VALU_DEP_2)
	v_cvt_i32_f64_e32 v5, v[74:75]
	v_add_f64_e32 v[50:51], v[52:53], v[50:51]
	s_delay_alu instid0(VALU_DEP_2) | instskip(NEXT) | instid1(VALU_DEP_2)
	v_cvt_f64_i32_e32 v[72:73], v5
	v_add_f64_e32 v[48:49], v[48:49], v[50:51]
	s_delay_alu instid0(VALU_DEP_2) | instskip(NEXT) | instid1(VALU_DEP_2)
	v_add_f64_e64 v[58:59], v[58:59], -v[72:73]
	v_add_f64_e32 v[48:49], v[54:55], v[48:49]
	s_delay_alu instid0(VALU_DEP_2) | instskip(NEXT) | instid1(VALU_DEP_1)
	v_add_f64_e32 v[52:53], v[62:63], v[58:59]
	v_add_f64_e64 v[50:51], v[52:53], -v[58:59]
	v_cmp_le_f64_e64 s3, 0.5, v[52:53]
	s_delay_alu instid0(VALU_DEP_2) | instskip(NEXT) | instid1(VALU_DEP_2)
	v_add_f64_e64 v[50:51], v[62:63], -v[50:51]
	v_add_co_ci_u32_e64 v58, null, 0, v5, s3
	v_cndmask_b32_e64 v5, 0, 0x3ff00000, s3
	s_delay_alu instid0(VALU_DEP_3) | instskip(NEXT) | instid1(VALU_DEP_2)
	v_add_f64_e32 v[48:49], v[48:49], v[50:51]
	v_add_f64_e64 v[50:51], v[52:53], -v[4:5]
	s_delay_alu instid0(VALU_DEP_1) | instskip(NEXT) | instid1(VALU_DEP_1)
	v_add_f64_e32 v[52:53], v[50:51], v[48:49]
	v_mul_f64_e32 v[54:55], 0x3ff921fb54442d18, v[52:53]
	v_add_f64_e64 v[50:51], v[52:53], -v[50:51]
	s_delay_alu instid0(VALU_DEP_2) | instskip(NEXT) | instid1(VALU_DEP_2)
	v_fma_f64 v[60:61], v[52:53], s[4:5], -v[54:55]
	v_add_f64_e64 v[48:49], v[48:49], -v[50:51]
	s_delay_alu instid0(VALU_DEP_2) | instskip(NEXT) | instid1(VALU_DEP_1)
	v_fmac_f64_e32 v[60:61], 0x3c91a62633145c07, v[52:53]
	v_fmac_f64_e32 v[60:61], 0x3ff921fb54442d18, v[48:49]
	s_delay_alu instid0(VALU_DEP_1) | instskip(NEXT) | instid1(VALU_DEP_1)
	v_add_f64_e32 v[48:49], v[54:55], v[60:61]
	v_add_f64_e64 v[50:51], v[48:49], -v[54:55]
	s_delay_alu instid0(VALU_DEP_1)
	v_add_f64_e64 v[50:51], v[60:61], -v[50:51]
.LBB91_43:                              ;   in Loop: Header=BB91_25 Depth=1
	s_and_not1_saveexec_b32 s3, s18
	s_cbranch_execz .LBB91_45
; %bb.44:                               ;   in Loop: Header=BB91_25 Depth=1
	v_mul_f64_e64 v[48:49], |v[34:35]|, s[6:7]
	s_delay_alu instid0(VALU_DEP_1) | instskip(NEXT) | instid1(VALU_DEP_1)
	v_rndne_f64_e32 v[52:53], v[48:49]
	v_fma_f64 v[48:49], v[52:53], s[8:9], |v[34:35]|
	v_mul_f64_e32 v[50:51], 0xbc91a62633145c00, v[52:53]
	s_delay_alu instid0(VALU_DEP_2) | instskip(NEXT) | instid1(VALU_DEP_2)
	v_fmamk_f64 v[60:61], v[52:53], 0xbc91a62633145c00, v[48:49]
	v_add_f64_e32 v[54:55], v[48:49], v[50:51]
	s_delay_alu instid0(VALU_DEP_1) | instskip(NEXT) | instid1(VALU_DEP_3)
	v_add_f64_e64 v[58:59], v[48:49], -v[54:55]
	v_add_f64_e64 v[48:49], v[54:55], -v[60:61]
	s_delay_alu instid0(VALU_DEP_2) | instskip(SKIP_2) | instid1(VALU_DEP_3)
	v_add_f64_e32 v[54:55], v[58:59], v[50:51]
	v_fmamk_f64 v[50:51], v[52:53], 0x3c91a62633145c00, v[50:51]
	v_cvt_i32_f64_e32 v58, v[52:53]
	v_add_f64_e32 v[48:49], v[48:49], v[54:55]
	s_delay_alu instid0(VALU_DEP_1) | instskip(NEXT) | instid1(VALU_DEP_1)
	v_add_f64_e64 v[50:51], v[48:49], -v[50:51]
	v_fmac_f64_e32 v[50:51], 0xb97b839a252049c0, v[52:53]
	s_delay_alu instid0(VALU_DEP_1) | instskip(NEXT) | instid1(VALU_DEP_1)
	v_add_f64_e32 v[48:49], v[60:61], v[50:51]
	v_add_f64_e64 v[54:55], v[48:49], -v[60:61]
	s_delay_alu instid0(VALU_DEP_1)
	v_add_f64_e64 v[50:51], v[50:51], -v[54:55]
.LBB91_45:                              ;   in Loop: Header=BB91_25 Depth=1
	s_or_b32 exec_lo, exec_lo, s3
	s_delay_alu instid0(SALU_CYCLE_1)
	s_mov_b32 s18, exec_lo
                                        ; implicit-def: $vgpr59
                                        ; implicit-def: $vgpr52_vgpr53
                                        ; implicit-def: $vgpr54_vgpr55
	v_cmpx_ngt_f64_e64 0x41d00000, |v[32:33]|
	s_xor_b32 s18, exec_lo, s18
	s_cbranch_execnz .LBB91_51
; %bb.46:                               ;   in Loop: Header=BB91_25 Depth=1
	s_and_not1_saveexec_b32 s3, s18
	s_cbranch_execnz .LBB91_52
.LBB91_47:                              ;   in Loop: Header=BB91_25 Depth=1
	s_or_b32 exec_lo, exec_lo, s3
	s_and_saveexec_b32 s3, s2
	s_delay_alu instid0(SALU_CYCLE_1)
	s_xor_b32 s18, exec_lo, s3
	s_cbranch_execnz .LBB91_53
.LBB91_48:                              ;   in Loop: Header=BB91_25 Depth=1
	s_or_b32 exec_lo, exec_lo, s18
	s_and_saveexec_b32 s3, s1
	s_cbranch_execnz .LBB91_54
.LBB91_49:                              ;   in Loop: Header=BB91_25 Depth=1
	s_or_b32 exec_lo, exec_lo, s3
	s_and_saveexec_b32 s2, s0
	s_cbranch_execnz .LBB91_55
.LBB91_50:                              ;   in Loop: Header=BB91_25 Depth=1
	s_or_b32 exec_lo, exec_lo, s2
	s_and_saveexec_b32 s1, vcc_lo
	s_cbranch_execz .LBB91_24
	s_branch .LBB91_56
.LBB91_51:                              ;   in Loop: Header=BB91_25 Depth=1
	v_cmp_le_f64_e64 s3, 0x7b000000, |v[32:33]|
	v_ldexp_f64 v[60:61], |v[32:33]|, 0xffffff80
	v_trig_preop_f64 v[52:53], |v[32:33]|, 0
	v_and_b32_e32 v5, 0x7fffffff, v33
	v_trig_preop_f64 v[54:55], |v[32:33]|, 1
	s_delay_alu instid0(VALU_DEP_2) | instskip(NEXT) | instid1(VALU_DEP_1)
	v_dual_cndmask_b32 v61, v5, v61, s3 :: v_dual_cndmask_b32 v60, v32, v60, s3
	v_mul_f64_e32 v[64:65], v[52:53], v[60:61]
	s_delay_alu instid0(VALU_DEP_3) | instskip(NEXT) | instid1(VALU_DEP_2)
	v_mul_f64_e32 v[62:63], v[54:55], v[60:61]
	v_fma_f64 v[52:53], v[52:53], v[60:61], -v[64:65]
	s_delay_alu instid0(VALU_DEP_2) | instskip(NEXT) | instid1(VALU_DEP_2)
	v_fma_f64 v[54:55], v[54:55], v[60:61], -v[62:63]
	v_add_f64_e32 v[66:67], v[62:63], v[52:53]
	s_delay_alu instid0(VALU_DEP_1) | instskip(SKIP_1) | instid1(VALU_DEP_2)
	v_add_f64_e64 v[74:75], v[66:67], -v[62:63]
	v_add_f64_e32 v[68:69], v[64:65], v[66:67]
	v_add_f64_e64 v[52:53], v[52:53], -v[74:75]
	v_add_f64_e64 v[74:75], v[66:67], -v[74:75]
	s_delay_alu instid0(VALU_DEP_3) | instskip(SKIP_1) | instid1(VALU_DEP_3)
	v_ldexp_f64 v[70:71], v[68:69], -2
	v_add_f64_e64 v[64:65], v[68:69], -v[64:65]
	v_add_f64_e64 v[74:75], v[62:63], -v[74:75]
	v_trig_preop_f64 v[62:63], |v[32:33]|, 2
	s_delay_alu instid0(VALU_DEP_4) | instskip(NEXT) | instid1(VALU_DEP_4)
	v_fract_f64_e32 v[72:73], v[70:71]
	v_add_f64_e64 v[64:65], v[66:67], -v[64:65]
	v_cmp_neq_f64_e64 s3, 0x7ff00000, |v[70:71]|
	v_add_f64_e32 v[52:53], v[52:53], v[74:75]
	v_mul_f64_e32 v[74:75], v[62:63], v[60:61]
	s_delay_alu instid0(VALU_DEP_1) | instskip(NEXT) | instid1(VALU_DEP_1)
	v_add_f64_e32 v[76:77], v[74:75], v[54:55]
	v_add_f64_e32 v[78:79], v[76:77], v[52:53]
	s_delay_alu instid0(VALU_DEP_1) | instskip(SKIP_1) | instid1(VALU_DEP_2)
	v_add_f64_e64 v[68:69], v[78:79], -v[76:77]
	v_add_f64_e32 v[66:67], v[64:65], v[78:79]
	v_add_f64_e64 v[52:53], v[52:53], -v[68:69]
	v_add_f64_e64 v[68:69], v[78:79], -v[68:69]
	s_delay_alu instid0(VALU_DEP_3) | instskip(NEXT) | instid1(VALU_DEP_2)
	v_add_f64_e64 v[64:65], v[66:67], -v[64:65]
	v_add_f64_e64 v[68:69], v[76:77], -v[68:69]
	s_delay_alu instid0(VALU_DEP_2) | instskip(NEXT) | instid1(VALU_DEP_2)
	v_add_f64_e64 v[64:65], v[78:79], -v[64:65]
	v_add_f64_e32 v[52:53], v[52:53], v[68:69]
	v_add_f64_e64 v[68:69], v[76:77], -v[74:75]
	s_delay_alu instid0(VALU_DEP_1) | instskip(SKIP_1) | instid1(VALU_DEP_1)
	v_add_f64_e64 v[54:55], v[54:55], -v[68:69]
	v_add_f64_e64 v[68:69], v[76:77], -v[68:69]
	;; [unrolled: 1-line block ×3, first 2 shown]
	s_delay_alu instid0(VALU_DEP_1) | instskip(NEXT) | instid1(VALU_DEP_1)
	v_add_f64_e32 v[54:55], v[54:55], v[68:69]
	v_add_f64_e32 v[52:53], v[54:55], v[52:53]
	v_fma_f64 v[54:55], v[62:63], v[60:61], -v[74:75]
	s_delay_alu instid0(VALU_DEP_1) | instskip(SKIP_1) | instid1(VALU_DEP_1)
	v_add_f64_e32 v[52:53], v[54:55], v[52:53]
	v_ldexp_f64 v[54:55], v[72:73], 2
	v_dual_add_f64 v[52:53], v[64:65], v[52:53] :: v_dual_cndmask_b32 v55, 0, v55, s3
	s_delay_alu instid0(VALU_DEP_2) | instskip(NEXT) | instid1(VALU_DEP_1)
	v_cndmask_b32_e64 v54, 0, v54, s3
	v_add_f64_e32 v[60:61], v[66:67], v[54:55]
	s_delay_alu instid0(VALU_DEP_1) | instskip(NEXT) | instid1(VALU_DEP_1)
	v_cmp_gt_f64_e64 s3, 0, v[60:61]
	v_cndmask_b32_e64 v5, 0, 0x40100000, s3
	s_delay_alu instid0(VALU_DEP_1) | instskip(NEXT) | instid1(VALU_DEP_1)
	v_add_f64_e32 v[54:55], v[54:55], v[4:5]
	v_add_f64_e32 v[60:61], v[66:67], v[54:55]
	s_delay_alu instid0(VALU_DEP_1) | instskip(NEXT) | instid1(VALU_DEP_1)
	v_cvt_i32_f64_e32 v5, v[60:61]
	v_cvt_f64_i32_e32 v[60:61], v5
	s_delay_alu instid0(VALU_DEP_1) | instskip(NEXT) | instid1(VALU_DEP_1)
	v_add_f64_e64 v[54:55], v[54:55], -v[60:61]
	v_add_f64_e32 v[60:61], v[66:67], v[54:55]
	s_delay_alu instid0(VALU_DEP_1) | instskip(SKIP_1) | instid1(VALU_DEP_2)
	v_add_f64_e64 v[54:55], v[60:61], -v[54:55]
	v_cmp_le_f64_e64 s3, 0.5, v[60:61]
	v_add_f64_e64 v[54:55], v[66:67], -v[54:55]
	s_delay_alu instid0(VALU_DEP_2) | instskip(SKIP_1) | instid1(VALU_DEP_3)
	v_add_co_ci_u32_e64 v59, null, 0, v5, s3
	v_cndmask_b32_e64 v5, 0, 0x3ff00000, s3
	v_add_f64_e32 v[52:53], v[52:53], v[54:55]
	s_delay_alu instid0(VALU_DEP_2) | instskip(NEXT) | instid1(VALU_DEP_1)
	v_add_f64_e64 v[54:55], v[60:61], -v[4:5]
	v_add_f64_e32 v[60:61], v[54:55], v[52:53]
	s_delay_alu instid0(VALU_DEP_1) | instskip(NEXT) | instid1(VALU_DEP_1)
	v_add_f64_e64 v[54:55], v[60:61], -v[54:55]
	v_add_f64_e64 v[52:53], v[52:53], -v[54:55]
	v_mul_f64_e32 v[54:55], 0x3ff921fb54442d18, v[60:61]
	s_delay_alu instid0(VALU_DEP_1) | instskip(NEXT) | instid1(VALU_DEP_1)
	v_fma_f64 v[62:63], v[60:61], s[4:5], -v[54:55]
	v_fmac_f64_e32 v[62:63], 0x3c91a62633145c07, v[60:61]
	s_delay_alu instid0(VALU_DEP_1) | instskip(NEXT) | instid1(VALU_DEP_1)
	v_fmac_f64_e32 v[62:63], 0x3ff921fb54442d18, v[52:53]
	v_add_f64_e32 v[52:53], v[54:55], v[62:63]
	s_delay_alu instid0(VALU_DEP_1) | instskip(NEXT) | instid1(VALU_DEP_1)
	v_add_f64_e64 v[54:55], v[52:53], -v[54:55]
	v_add_f64_e64 v[54:55], v[62:63], -v[54:55]
	s_and_not1_saveexec_b32 s3, s18
	s_cbranch_execz .LBB91_47
.LBB91_52:                              ;   in Loop: Header=BB91_25 Depth=1
	v_mul_f64_e64 v[52:53], |v[32:33]|, s[6:7]
	s_delay_alu instid0(VALU_DEP_1) | instskip(NEXT) | instid1(VALU_DEP_1)
	v_rndne_f64_e32 v[60:61], v[52:53]
	v_fma_f64 v[52:53], v[60:61], s[8:9], |v[32:33]|
	v_mul_f64_e32 v[54:55], 0xbc91a62633145c00, v[60:61]
	v_cvt_i32_f64_e32 v59, v[60:61]
	s_delay_alu instid0(VALU_DEP_3) | instskip(NEXT) | instid1(VALU_DEP_3)
	v_fmamk_f64 v[66:67], v[60:61], 0xbc91a62633145c00, v[52:53]
	v_add_f64_e32 v[62:63], v[52:53], v[54:55]
	s_delay_alu instid0(VALU_DEP_1) | instskip(NEXT) | instid1(VALU_DEP_3)
	v_add_f64_e64 v[64:65], v[52:53], -v[62:63]
	v_add_f64_e64 v[52:53], v[62:63], -v[66:67]
	s_delay_alu instid0(VALU_DEP_2) | instskip(SKIP_1) | instid1(VALU_DEP_2)
	v_add_f64_e32 v[62:63], v[64:65], v[54:55]
	v_fmamk_f64 v[54:55], v[60:61], 0x3c91a62633145c00, v[54:55]
	v_add_f64_e32 v[52:53], v[52:53], v[62:63]
	s_delay_alu instid0(VALU_DEP_1) | instskip(NEXT) | instid1(VALU_DEP_1)
	v_add_f64_e64 v[54:55], v[52:53], -v[54:55]
	v_fmac_f64_e32 v[54:55], 0xb97b839a252049c0, v[60:61]
	s_delay_alu instid0(VALU_DEP_1) | instskip(NEXT) | instid1(VALU_DEP_1)
	v_add_f64_e32 v[52:53], v[66:67], v[54:55]
	v_add_f64_e64 v[62:63], v[52:53], -v[66:67]
	s_delay_alu instid0(VALU_DEP_1) | instskip(SKIP_2) | instid1(SALU_CYCLE_1)
	v_add_f64_e64 v[54:55], v[54:55], -v[62:63]
	s_or_b32 exec_lo, exec_lo, s3
	s_and_saveexec_b32 s3, s2
	s_xor_b32 s18, exec_lo, s3
	s_cbranch_execz .LBB91_48
.LBB91_53:                              ;   in Loop: Header=BB91_25 Depth=1
	v_mul_f64_e32 v[60:61], v[40:41], v[40:41]
	v_dual_add_f64 v[62:63], v[42:43], v[42:43] :: v_dual_bitop2_b32 v5, 1, v56 bitop3:0x40
	v_cmp_class_f64_e64 s2, v[38:39], 0x1f8
	s_delay_alu instid0(VALU_DEP_2) | instskip(NEXT) | instid1(VALU_DEP_4)
	v_cmp_eq_u32_e64 s3, 0, v5
	v_fma_f64 v[64:65], v[40:41], v[40:41], -v[60:61]
	s_delay_alu instid0(VALU_DEP_1) | instskip(NEXT) | instid1(VALU_DEP_1)
	v_fmac_f64_e32 v[64:65], v[40:41], v[62:63]
	v_add_f64_e32 v[60:61], v[60:61], v[64:65]
	s_delay_alu instid0(VALU_DEP_1) | instskip(NEXT) | instid1(VALU_DEP_1)
	v_fmamk_f64 v[62:63], v[60:61], 0x3ef5e089c751c08c, v[30:31]
	v_fmaak_f64 v[62:63], v[60:61], v[62:63], 0x3f17746f90a8aae0
	s_delay_alu instid0(VALU_DEP_1) | instskip(NEXT) | instid1(VALU_DEP_1)
	v_fmaak_f64 v[62:63], v[60:61], v[62:63], 0xbefbb44da6fbf144
	v_fmaak_f64 v[62:63], v[60:61], v[62:63], 0x3f21e634a7943acf
	s_delay_alu instid0(VALU_DEP_1) | instskip(NEXT) | instid1(VALU_DEP_1)
	v_fmaak_f64 v[62:63], v[60:61], v[62:63], 0x3f2d250fdeb68feb
	;; [unrolled: 3-line block ×6, first 2 shown]
	v_mul_f64_e32 v[60:61], v[60:61], v[62:63]
	s_delay_alu instid0(VALU_DEP_1) | instskip(NEXT) | instid1(VALU_DEP_1)
	v_mul_f64_e32 v[62:63], v[40:41], v[60:61]
	v_add_f64_e32 v[64:65], v[40:41], v[62:63]
	v_fma_f64 v[60:61], v[40:41], v[60:61], -v[62:63]
	s_delay_alu instid0(VALU_DEP_2) | instskip(NEXT) | instid1(VALU_DEP_2)
	v_add_f64_e64 v[40:41], v[64:65], -v[40:41]
	v_add_f64_e32 v[42:43], v[42:43], v[60:61]
	s_delay_alu instid0(VALU_DEP_2) | instskip(NEXT) | instid1(VALU_DEP_1)
	v_add_f64_e64 v[40:41], v[62:63], -v[40:41]
	v_add_f64_e32 v[40:41], v[42:43], v[40:41]
	s_delay_alu instid0(VALU_DEP_1) | instskip(NEXT) | instid1(VALU_DEP_1)
	v_add_f64_e32 v[42:43], v[64:65], v[40:41]
	v_rcp_f64_e32 v[60:61], v[42:43]
	v_nop
	s_delay_alu instid0(TRANS32_DEP_1) | instskip(NEXT) | instid1(VALU_DEP_1)
	v_fma_f64 v[62:63], -v[42:43], v[60:61], 1.0
	v_fmac_f64_e32 v[60:61], v[62:63], v[60:61]
	s_delay_alu instid0(VALU_DEP_1) | instskip(NEXT) | instid1(VALU_DEP_1)
	v_fma_f64 v[62:63], -v[42:43], v[60:61], 1.0
	v_fmac_f64_e32 v[60:61], v[62:63], v[60:61]
	v_add_f64_e64 v[62:63], v[42:43], -v[64:65]
	s_delay_alu instid0(VALU_DEP_2) | instskip(NEXT) | instid1(VALU_DEP_2)
	v_mul_f64_e32 v[64:65], v[42:43], v[60:61]
	v_add_f64_e64 v[40:41], v[40:41], -v[62:63]
	s_delay_alu instid0(VALU_DEP_2) | instskip(NEXT) | instid1(VALU_DEP_1)
	v_fma_f64 v[62:63], v[60:61], v[42:43], -v[64:65]
	v_fmac_f64_e32 v[62:63], v[60:61], v[40:41]
	s_delay_alu instid0(VALU_DEP_1) | instskip(NEXT) | instid1(VALU_DEP_1)
	v_add_f64_e32 v[40:41], v[64:65], v[62:63]
	v_add_f64_e64 v[66:67], -v[40:41], 1.0
	v_add_f64_e64 v[64:65], v[40:41], -v[64:65]
	s_delay_alu instid0(VALU_DEP_2) | instskip(NEXT) | instid1(VALU_DEP_2)
	v_add_f64_e64 v[68:69], -v[66:67], 1.0
	v_add_f64_e64 v[62:63], v[64:65], -v[62:63]
	s_delay_alu instid0(VALU_DEP_2) | instskip(NEXT) | instid1(VALU_DEP_1)
	v_add_f64_e64 v[40:41], v[68:69], -v[40:41]
	v_add_f64_e32 v[40:41], v[62:63], v[40:41]
	s_delay_alu instid0(VALU_DEP_1) | instskip(NEXT) | instid1(VALU_DEP_1)
	v_add_f64_e32 v[40:41], v[66:67], v[40:41]
	v_mul_f64_e32 v[40:41], v[60:61], v[40:41]
	s_delay_alu instid0(VALU_DEP_1) | instskip(NEXT) | instid1(VALU_DEP_1)
	v_add_f64_e32 v[40:41], v[60:61], v[40:41]
	v_xor_b32_e32 v5, 0x80000000, v41
	s_delay_alu instid0(VALU_DEP_1) | instskip(NEXT) | instid1(VALU_DEP_1)
	v_dual_cndmask_b32 v40, v40, v42, s3 :: v_dual_cndmask_b32 v5, v5, v43, s3
	v_cndmask_b32_e64 v40, 0, v40, s2
	s_delay_alu instid0(VALU_DEP_2) | instskip(SKIP_1) | instid1(VALU_DEP_2)
	v_bitop3_b32 v5, v5, v39, 0x80000000 bitop3:0x78
	v_add_nc_u64_e32 v[38:39], s[10:11], v[12:13]
	v_cndmask_b32_e64 v41, 0x7ff80000, v5, s2
	global_store_b64 v[38:39], v[40:41], off
	s_wait_xcnt 0x0
	s_or_b32 exec_lo, exec_lo, s18
	s_and_saveexec_b32 s3, s1
	s_cbranch_execz .LBB91_49
.LBB91_54:                              ;   in Loop: Header=BB91_25 Depth=1
	v_mul_f64_e32 v[38:39], v[44:45], v[44:45]
	s_delay_alu instid0(VALU_DEP_4) | instskip(SKIP_1) | instid1(VALU_DEP_2)
	v_dual_add_f64 v[40:41], v[46:47], v[46:47] :: v_dual_bitop2_b32 v5, 1, v57 bitop3:0x40
	v_cmp_class_f64_e64 s2, v[36:37], 0x1f8
	v_cmp_eq_u32_e64 s1, 0, v5
	s_delay_alu instid0(VALU_DEP_4) | instskip(NEXT) | instid1(VALU_DEP_1)
	v_fma_f64 v[42:43], v[44:45], v[44:45], -v[38:39]
	v_fmac_f64_e32 v[42:43], v[44:45], v[40:41]
	s_delay_alu instid0(VALU_DEP_1) | instskip(NEXT) | instid1(VALU_DEP_1)
	v_add_f64_e32 v[38:39], v[38:39], v[42:43]
	v_fmamk_f64 v[40:41], v[38:39], 0x3ef5e089c751c08c, v[30:31]
	s_delay_alu instid0(VALU_DEP_1) | instskip(NEXT) | instid1(VALU_DEP_1)
	v_fmaak_f64 v[40:41], v[38:39], v[40:41], 0x3f17746f90a8aae0
	v_fmaak_f64 v[40:41], v[38:39], v[40:41], 0xbefbb44da6fbf144
	s_delay_alu instid0(VALU_DEP_1) | instskip(NEXT) | instid1(VALU_DEP_1)
	v_fmaak_f64 v[40:41], v[38:39], v[40:41], 0x3f21e634a7943acf
	v_fmaak_f64 v[40:41], v[38:39], v[40:41], 0x3f2d250fdeb68feb
	;; [unrolled: 3-line block ×6, first 2 shown]
	s_delay_alu instid0(VALU_DEP_1) | instskip(NEXT) | instid1(VALU_DEP_1)
	v_mul_f64_e32 v[38:39], v[38:39], v[40:41]
	v_mul_f64_e32 v[40:41], v[44:45], v[38:39]
	s_delay_alu instid0(VALU_DEP_1) | instskip(SKIP_1) | instid1(VALU_DEP_2)
	v_add_f64_e32 v[42:43], v[44:45], v[40:41]
	v_fma_f64 v[38:39], v[44:45], v[38:39], -v[40:41]
	v_add_f64_e64 v[44:45], v[42:43], -v[44:45]
	s_delay_alu instid0(VALU_DEP_2) | instskip(NEXT) | instid1(VALU_DEP_2)
	v_add_f64_e32 v[38:39], v[46:47], v[38:39]
	v_add_f64_e64 v[40:41], v[40:41], -v[44:45]
	s_delay_alu instid0(VALU_DEP_1) | instskip(NEXT) | instid1(VALU_DEP_1)
	v_add_f64_e32 v[38:39], v[38:39], v[40:41]
	v_add_f64_e32 v[40:41], v[42:43], v[38:39]
	s_delay_alu instid0(VALU_DEP_1) | instskip(SKIP_1) | instid1(VALU_DEP_1)
	v_rcp_f64_e32 v[44:45], v[40:41]
	v_add_f64_e64 v[42:43], v[40:41], -v[42:43]
	v_add_f64_e64 v[38:39], v[38:39], -v[42:43]
	s_delay_alu instid0(TRANS32_DEP_1) | instskip(NEXT) | instid1(VALU_DEP_1)
	v_fma_f64 v[46:47], -v[40:41], v[44:45], 1.0
	v_fmac_f64_e32 v[44:45], v[46:47], v[44:45]
	s_delay_alu instid0(VALU_DEP_1) | instskip(NEXT) | instid1(VALU_DEP_1)
	v_fma_f64 v[46:47], -v[40:41], v[44:45], 1.0
	v_fmac_f64_e32 v[44:45], v[46:47], v[44:45]
	s_delay_alu instid0(VALU_DEP_1) | instskip(NEXT) | instid1(VALU_DEP_1)
	v_mul_f64_e32 v[46:47], v[40:41], v[44:45]
	v_fma_f64 v[42:43], v[44:45], v[40:41], -v[46:47]
	s_delay_alu instid0(VALU_DEP_1) | instskip(NEXT) | instid1(VALU_DEP_1)
	v_fmac_f64_e32 v[42:43], v[44:45], v[38:39]
	v_add_f64_e32 v[38:39], v[46:47], v[42:43]
	s_delay_alu instid0(VALU_DEP_1) | instskip(SKIP_1) | instid1(VALU_DEP_2)
	v_add_f64_e64 v[60:61], -v[38:39], 1.0
	v_add_f64_e64 v[46:47], v[38:39], -v[46:47]
	v_add_f64_e64 v[62:63], -v[60:61], 1.0
	s_delay_alu instid0(VALU_DEP_2) | instskip(NEXT) | instid1(VALU_DEP_2)
	v_add_f64_e64 v[42:43], v[46:47], -v[42:43]
	v_add_f64_e64 v[38:39], v[62:63], -v[38:39]
	s_delay_alu instid0(VALU_DEP_1) | instskip(NEXT) | instid1(VALU_DEP_1)
	v_add_f64_e32 v[38:39], v[42:43], v[38:39]
	v_add_f64_e32 v[38:39], v[60:61], v[38:39]
	s_delay_alu instid0(VALU_DEP_1) | instskip(NEXT) | instid1(VALU_DEP_1)
	v_mul_f64_e32 v[38:39], v[44:45], v[38:39]
	v_add_f64_e32 v[38:39], v[44:45], v[38:39]
	s_delay_alu instid0(VALU_DEP_1) | instskip(NEXT) | instid1(VALU_DEP_1)
	v_xor_b32_e32 v36, 0x80000000, v39
	v_dual_cndmask_b32 v5, v38, v40, s1 :: v_dual_cndmask_b32 v36, v36, v41, s1
	s_delay_alu instid0(VALU_DEP_1) | instskip(NEXT) | instid1(VALU_DEP_2)
	v_cndmask_b32_e64 v38, 0, v5, s2
	v_bitop3_b32 v39, v36, v37, 0x80000000 bitop3:0x78
	v_add_nc_u64_e32 v[36:37], s[10:11], v[28:29]
	s_delay_alu instid0(VALU_DEP_2)
	v_cndmask_b32_e64 v39, 0x7ff80000, v39, s2
	global_store_b64 v[36:37], v[38:39], off
	s_wait_xcnt 0x0
	s_or_b32 exec_lo, exec_lo, s3
	s_and_saveexec_b32 s2, s0
	s_cbranch_execz .LBB91_50
.LBB91_55:                              ;   in Loop: Header=BB91_25 Depth=1
	v_dual_mul_f64 v[36:37], v[48:49], v[48:49] :: v_dual_bitop2_b32 v5, 1, v58 bitop3:0x40
	v_cmp_class_f64_e64 s1, v[34:35], 0x1f8
	s_delay_alu instid0(VALU_DEP_4) | instskip(NEXT) | instid1(VALU_DEP_3)
	v_add_f64_e32 v[38:39], v[50:51], v[50:51]
	v_cmp_eq_u32_e64 s0, 0, v5
	s_delay_alu instid0(VALU_DEP_4) | instskip(NEXT) | instid1(VALU_DEP_1)
	v_fma_f64 v[40:41], v[48:49], v[48:49], -v[36:37]
	v_fmac_f64_e32 v[40:41], v[48:49], v[38:39]
	s_delay_alu instid0(VALU_DEP_1) | instskip(NEXT) | instid1(VALU_DEP_1)
	v_add_f64_e32 v[36:37], v[36:37], v[40:41]
	v_fmamk_f64 v[38:39], v[36:37], 0x3ef5e089c751c08c, v[30:31]
	s_delay_alu instid0(VALU_DEP_1) | instskip(NEXT) | instid1(VALU_DEP_1)
	v_fmaak_f64 v[38:39], v[36:37], v[38:39], 0x3f17746f90a8aae0
	v_fmaak_f64 v[38:39], v[36:37], v[38:39], 0xbefbb44da6fbf144
	s_delay_alu instid0(VALU_DEP_1) | instskip(NEXT) | instid1(VALU_DEP_1)
	v_fmaak_f64 v[38:39], v[36:37], v[38:39], 0x3f21e634a7943acf
	v_fmaak_f64 v[38:39], v[36:37], v[38:39], 0x3f2d250fdeb68feb
	;; [unrolled: 3-line block ×6, first 2 shown]
	s_delay_alu instid0(VALU_DEP_1) | instskip(NEXT) | instid1(VALU_DEP_1)
	v_mul_f64_e32 v[36:37], v[36:37], v[38:39]
	v_mul_f64_e32 v[38:39], v[48:49], v[36:37]
	s_delay_alu instid0(VALU_DEP_1) | instskip(SKIP_1) | instid1(VALU_DEP_2)
	v_add_f64_e32 v[40:41], v[48:49], v[38:39]
	v_fma_f64 v[36:37], v[48:49], v[36:37], -v[38:39]
	v_add_f64_e64 v[42:43], v[40:41], -v[48:49]
	s_delay_alu instid0(VALU_DEP_2) | instskip(NEXT) | instid1(VALU_DEP_2)
	v_add_f64_e32 v[36:37], v[50:51], v[36:37]
	v_add_f64_e64 v[38:39], v[38:39], -v[42:43]
	s_delay_alu instid0(VALU_DEP_1) | instskip(NEXT) | instid1(VALU_DEP_1)
	v_add_f64_e32 v[36:37], v[36:37], v[38:39]
	v_add_f64_e32 v[38:39], v[40:41], v[36:37]
	s_delay_alu instid0(VALU_DEP_1) | instskip(SKIP_1) | instid1(VALU_DEP_1)
	v_rcp_f64_e32 v[42:43], v[38:39]
	v_add_f64_e64 v[40:41], v[38:39], -v[40:41]
	v_add_f64_e64 v[36:37], v[36:37], -v[40:41]
	s_delay_alu instid0(TRANS32_DEP_1) | instskip(NEXT) | instid1(VALU_DEP_1)
	v_fma_f64 v[44:45], -v[38:39], v[42:43], 1.0
	v_fmac_f64_e32 v[42:43], v[44:45], v[42:43]
	s_delay_alu instid0(VALU_DEP_1) | instskip(NEXT) | instid1(VALU_DEP_1)
	v_fma_f64 v[44:45], -v[38:39], v[42:43], 1.0
	v_fmac_f64_e32 v[42:43], v[44:45], v[42:43]
	s_delay_alu instid0(VALU_DEP_1) | instskip(NEXT) | instid1(VALU_DEP_1)
	v_mul_f64_e32 v[44:45], v[38:39], v[42:43]
	v_fma_f64 v[40:41], v[42:43], v[38:39], -v[44:45]
	s_delay_alu instid0(VALU_DEP_1) | instskip(NEXT) | instid1(VALU_DEP_1)
	v_fmac_f64_e32 v[40:41], v[42:43], v[36:37]
	v_add_f64_e32 v[36:37], v[44:45], v[40:41]
	s_delay_alu instid0(VALU_DEP_1) | instskip(SKIP_1) | instid1(VALU_DEP_2)
	v_add_f64_e64 v[46:47], -v[36:37], 1.0
	v_add_f64_e64 v[44:45], v[36:37], -v[44:45]
	v_add_f64_e64 v[48:49], -v[46:47], 1.0
	s_delay_alu instid0(VALU_DEP_2) | instskip(NEXT) | instid1(VALU_DEP_2)
	v_add_f64_e64 v[40:41], v[44:45], -v[40:41]
	v_add_f64_e64 v[36:37], v[48:49], -v[36:37]
	s_delay_alu instid0(VALU_DEP_1) | instskip(NEXT) | instid1(VALU_DEP_1)
	v_add_f64_e32 v[36:37], v[40:41], v[36:37]
	v_add_f64_e32 v[36:37], v[46:47], v[36:37]
	s_delay_alu instid0(VALU_DEP_1) | instskip(NEXT) | instid1(VALU_DEP_1)
	v_mul_f64_e32 v[36:37], v[42:43], v[36:37]
	v_add_f64_e32 v[36:37], v[42:43], v[36:37]
	s_delay_alu instid0(VALU_DEP_1) | instskip(NEXT) | instid1(VALU_DEP_1)
	v_xor_b32_e32 v34, 0x80000000, v37
	v_dual_cndmask_b32 v5, v36, v38, s0 :: v_dual_cndmask_b32 v34, v34, v39, s0
	s_delay_alu instid0(VALU_DEP_1) | instskip(NEXT) | instid1(VALU_DEP_2)
	v_cndmask_b32_e64 v36, 0, v5, s1
	v_bitop3_b32 v37, v34, v35, 0x80000000 bitop3:0x78
	v_add_nc_u64_e32 v[34:35], s[10:11], v[20:21]
	s_delay_alu instid0(VALU_DEP_2)
	v_cndmask_b32_e64 v37, 0x7ff80000, v37, s1
	global_store_b64 v[34:35], v[36:37], off
	s_wait_xcnt 0x0
	s_or_b32 exec_lo, exec_lo, s2
	s_and_saveexec_b32 s1, vcc_lo
	s_cbranch_execz .LBB91_24
.LBB91_56:                              ;   in Loop: Header=BB91_25 Depth=1
	v_dual_mul_f64 v[34:35], v[52:53], v[52:53] :: v_dual_bitop2_b32 v5, 1, v59 bitop3:0x40
	v_cmp_class_f64_e64 s0, v[32:33], 0x1f8
	s_delay_alu instid0(VALU_DEP_3) | instskip(NEXT) | instid1(VALU_DEP_3)
	v_add_f64_e32 v[36:37], v[54:55], v[54:55]
	v_cmp_eq_u32_e32 vcc_lo, 0, v5
	s_delay_alu instid0(VALU_DEP_4) | instskip(NEXT) | instid1(VALU_DEP_1)
	v_fma_f64 v[38:39], v[52:53], v[52:53], -v[34:35]
	v_fmac_f64_e32 v[38:39], v[52:53], v[36:37]
	s_delay_alu instid0(VALU_DEP_1) | instskip(NEXT) | instid1(VALU_DEP_1)
	v_add_f64_e32 v[34:35], v[34:35], v[38:39]
	v_fmamk_f64 v[36:37], v[34:35], 0x3ef5e089c751c08c, v[30:31]
	s_delay_alu instid0(VALU_DEP_1) | instskip(NEXT) | instid1(VALU_DEP_1)
	v_fmaak_f64 v[36:37], v[34:35], v[36:37], 0x3f17746f90a8aae0
	v_fmaak_f64 v[36:37], v[34:35], v[36:37], 0xbefbb44da6fbf144
	s_delay_alu instid0(VALU_DEP_1) | instskip(NEXT) | instid1(VALU_DEP_1)
	v_fmaak_f64 v[36:37], v[34:35], v[36:37], 0x3f21e634a7943acf
	v_fmaak_f64 v[36:37], v[34:35], v[36:37], 0x3f2d250fdeb68feb
	;; [unrolled: 3-line block ×6, first 2 shown]
	s_delay_alu instid0(VALU_DEP_1) | instskip(NEXT) | instid1(VALU_DEP_1)
	v_mul_f64_e32 v[34:35], v[34:35], v[36:37]
	v_mul_f64_e32 v[36:37], v[52:53], v[34:35]
	s_delay_alu instid0(VALU_DEP_1) | instskip(SKIP_1) | instid1(VALU_DEP_2)
	v_add_f64_e32 v[38:39], v[52:53], v[36:37]
	v_fma_f64 v[34:35], v[52:53], v[34:35], -v[36:37]
	v_add_f64_e64 v[40:41], v[38:39], -v[52:53]
	s_delay_alu instid0(VALU_DEP_2) | instskip(NEXT) | instid1(VALU_DEP_2)
	v_add_f64_e32 v[34:35], v[54:55], v[34:35]
	v_add_f64_e64 v[36:37], v[36:37], -v[40:41]
	s_delay_alu instid0(VALU_DEP_1) | instskip(NEXT) | instid1(VALU_DEP_1)
	v_add_f64_e32 v[34:35], v[34:35], v[36:37]
	v_add_f64_e32 v[36:37], v[38:39], v[34:35]
	s_delay_alu instid0(VALU_DEP_1) | instskip(SKIP_1) | instid1(VALU_DEP_1)
	v_rcp_f64_e32 v[40:41], v[36:37]
	v_add_f64_e64 v[38:39], v[36:37], -v[38:39]
	v_add_f64_e64 v[34:35], v[34:35], -v[38:39]
	s_delay_alu instid0(TRANS32_DEP_1) | instskip(NEXT) | instid1(VALU_DEP_1)
	v_fma_f64 v[42:43], -v[36:37], v[40:41], 1.0
	v_fmac_f64_e32 v[40:41], v[42:43], v[40:41]
	s_delay_alu instid0(VALU_DEP_1) | instskip(NEXT) | instid1(VALU_DEP_1)
	v_fma_f64 v[42:43], -v[36:37], v[40:41], 1.0
	v_fmac_f64_e32 v[40:41], v[42:43], v[40:41]
	s_delay_alu instid0(VALU_DEP_1) | instskip(NEXT) | instid1(VALU_DEP_1)
	v_mul_f64_e32 v[42:43], v[36:37], v[40:41]
	v_fma_f64 v[38:39], v[40:41], v[36:37], -v[42:43]
	s_delay_alu instid0(VALU_DEP_1) | instskip(NEXT) | instid1(VALU_DEP_1)
	v_fmac_f64_e32 v[38:39], v[40:41], v[34:35]
	v_add_f64_e32 v[34:35], v[42:43], v[38:39]
	s_delay_alu instid0(VALU_DEP_1) | instskip(SKIP_1) | instid1(VALU_DEP_2)
	v_add_f64_e64 v[44:45], -v[34:35], 1.0
	v_add_f64_e64 v[42:43], v[34:35], -v[42:43]
	v_add_f64_e64 v[46:47], -v[44:45], 1.0
	s_delay_alu instid0(VALU_DEP_2) | instskip(NEXT) | instid1(VALU_DEP_2)
	v_add_f64_e64 v[38:39], v[42:43], -v[38:39]
	v_add_f64_e64 v[34:35], v[46:47], -v[34:35]
	s_delay_alu instid0(VALU_DEP_1) | instskip(NEXT) | instid1(VALU_DEP_1)
	v_add_f64_e32 v[34:35], v[38:39], v[34:35]
	v_add_f64_e32 v[34:35], v[44:45], v[34:35]
	s_delay_alu instid0(VALU_DEP_1) | instskip(NEXT) | instid1(VALU_DEP_1)
	v_mul_f64_e32 v[34:35], v[40:41], v[34:35]
	v_add_f64_e32 v[34:35], v[40:41], v[34:35]
	s_delay_alu instid0(VALU_DEP_1) | instskip(NEXT) | instid1(VALU_DEP_1)
	v_xor_b32_e32 v32, 0x80000000, v35
	v_dual_cndmask_b32 v5, v34, v36 :: v_dual_cndmask_b32 v32, v32, v37
	s_delay_alu instid0(VALU_DEP_1) | instskip(NEXT) | instid1(VALU_DEP_2)
	v_cndmask_b32_e64 v34, 0, v5, s0
	v_bitop3_b32 v35, v32, v33, 0x80000000 bitop3:0x78
	v_add_nc_u64_e32 v[32:33], s[10:11], v[24:25]
	s_delay_alu instid0(VALU_DEP_2)
	v_cndmask_b32_e64 v35, 0x7ff80000, v35, s0
	global_store_b64 v[32:33], v[34:35], off
	s_branch .LBB91_24
.LBB91_57:
	s_sendmsg sendmsg(MSG_DEALLOC_VGPRS)
	s_endpgm
	.section	.rodata,"a",@progbits
	.p2align	6, 0x0
	.amdhsa_kernel _ZN2at6native12_GLOBAL__N_125multi_tensor_apply_kernelINS1_18TensorListMetadataILi2EEENS1_14UnaryOpFunctorIdLi2ELi1ELi1EEEJNS0_3TanIdEEEEEvT_T0_DpT1_
		.amdhsa_group_segment_fixed_size 0
		.amdhsa_private_segment_fixed_size 0
		.amdhsa_kernarg_size 3408
		.amdhsa_user_sgpr_count 2
		.amdhsa_user_sgpr_dispatch_ptr 0
		.amdhsa_user_sgpr_queue_ptr 0
		.amdhsa_user_sgpr_kernarg_segment_ptr 1
		.amdhsa_user_sgpr_dispatch_id 0
		.amdhsa_user_sgpr_kernarg_preload_length 0
		.amdhsa_user_sgpr_kernarg_preload_offset 0
		.amdhsa_user_sgpr_private_segment_size 0
		.amdhsa_wavefront_size32 1
		.amdhsa_uses_dynamic_stack 0
		.amdhsa_enable_private_segment 0
		.amdhsa_system_sgpr_workgroup_id_x 1
		.amdhsa_system_sgpr_workgroup_id_y 0
		.amdhsa_system_sgpr_workgroup_id_z 0
		.amdhsa_system_sgpr_workgroup_info 0
		.amdhsa_system_vgpr_workitem_id 0
		.amdhsa_next_free_vgpr 80
		.amdhsa_next_free_sgpr 30
		.amdhsa_named_barrier_count 0
		.amdhsa_reserve_vcc 1
		.amdhsa_float_round_mode_32 0
		.amdhsa_float_round_mode_16_64 0
		.amdhsa_float_denorm_mode_32 3
		.amdhsa_float_denorm_mode_16_64 3
		.amdhsa_fp16_overflow 0
		.amdhsa_memory_ordered 1
		.amdhsa_forward_progress 1
		.amdhsa_inst_pref_size 92
		.amdhsa_round_robin_scheduling 0
		.amdhsa_exception_fp_ieee_invalid_op 0
		.amdhsa_exception_fp_denorm_src 0
		.amdhsa_exception_fp_ieee_div_zero 0
		.amdhsa_exception_fp_ieee_overflow 0
		.amdhsa_exception_fp_ieee_underflow 0
		.amdhsa_exception_fp_ieee_inexact 0
		.amdhsa_exception_int_div_zero 0
	.end_amdhsa_kernel
	.section	.text._ZN2at6native12_GLOBAL__N_125multi_tensor_apply_kernelINS1_18TensorListMetadataILi2EEENS1_14UnaryOpFunctorIdLi2ELi1ELi1EEEJNS0_3TanIdEEEEEvT_T0_DpT1_,"axG",@progbits,_ZN2at6native12_GLOBAL__N_125multi_tensor_apply_kernelINS1_18TensorListMetadataILi2EEENS1_14UnaryOpFunctorIdLi2ELi1ELi1EEEJNS0_3TanIdEEEEEvT_T0_DpT1_,comdat
.Lfunc_end91:
	.size	_ZN2at6native12_GLOBAL__N_125multi_tensor_apply_kernelINS1_18TensorListMetadataILi2EEENS1_14UnaryOpFunctorIdLi2ELi1ELi1EEEJNS0_3TanIdEEEEEvT_T0_DpT1_, .Lfunc_end91-_ZN2at6native12_GLOBAL__N_125multi_tensor_apply_kernelINS1_18TensorListMetadataILi2EEENS1_14UnaryOpFunctorIdLi2ELi1ELi1EEEJNS0_3TanIdEEEEEvT_T0_DpT1_
                                        ; -- End function
	.set _ZN2at6native12_GLOBAL__N_125multi_tensor_apply_kernelINS1_18TensorListMetadataILi2EEENS1_14UnaryOpFunctorIdLi2ELi1ELi1EEEJNS0_3TanIdEEEEEvT_T0_DpT1_.num_vgpr, 80
	.set _ZN2at6native12_GLOBAL__N_125multi_tensor_apply_kernelINS1_18TensorListMetadataILi2EEENS1_14UnaryOpFunctorIdLi2ELi1ELi1EEEJNS0_3TanIdEEEEEvT_T0_DpT1_.num_agpr, 0
	.set _ZN2at6native12_GLOBAL__N_125multi_tensor_apply_kernelINS1_18TensorListMetadataILi2EEENS1_14UnaryOpFunctorIdLi2ELi1ELi1EEEJNS0_3TanIdEEEEEvT_T0_DpT1_.numbered_sgpr, 30
	.set _ZN2at6native12_GLOBAL__N_125multi_tensor_apply_kernelINS1_18TensorListMetadataILi2EEENS1_14UnaryOpFunctorIdLi2ELi1ELi1EEEJNS0_3TanIdEEEEEvT_T0_DpT1_.num_named_barrier, 0
	.set _ZN2at6native12_GLOBAL__N_125multi_tensor_apply_kernelINS1_18TensorListMetadataILi2EEENS1_14UnaryOpFunctorIdLi2ELi1ELi1EEEJNS0_3TanIdEEEEEvT_T0_DpT1_.private_seg_size, 0
	.set _ZN2at6native12_GLOBAL__N_125multi_tensor_apply_kernelINS1_18TensorListMetadataILi2EEENS1_14UnaryOpFunctorIdLi2ELi1ELi1EEEJNS0_3TanIdEEEEEvT_T0_DpT1_.uses_vcc, 1
	.set _ZN2at6native12_GLOBAL__N_125multi_tensor_apply_kernelINS1_18TensorListMetadataILi2EEENS1_14UnaryOpFunctorIdLi2ELi1ELi1EEEJNS0_3TanIdEEEEEvT_T0_DpT1_.uses_flat_scratch, 0
	.set _ZN2at6native12_GLOBAL__N_125multi_tensor_apply_kernelINS1_18TensorListMetadataILi2EEENS1_14UnaryOpFunctorIdLi2ELi1ELi1EEEJNS0_3TanIdEEEEEvT_T0_DpT1_.has_dyn_sized_stack, 0
	.set _ZN2at6native12_GLOBAL__N_125multi_tensor_apply_kernelINS1_18TensorListMetadataILi2EEENS1_14UnaryOpFunctorIdLi2ELi1ELi1EEEJNS0_3TanIdEEEEEvT_T0_DpT1_.has_recursion, 0
	.set _ZN2at6native12_GLOBAL__N_125multi_tensor_apply_kernelINS1_18TensorListMetadataILi2EEENS1_14UnaryOpFunctorIdLi2ELi1ELi1EEEJNS0_3TanIdEEEEEvT_T0_DpT1_.has_indirect_call, 0
	.section	.AMDGPU.csdata,"",@progbits
; Kernel info:
; codeLenInByte = 11676
; TotalNumSgprs: 32
; NumVgprs: 80
; ScratchSize: 0
; MemoryBound: 0
; FloatMode: 240
; IeeeMode: 1
; LDSByteSize: 0 bytes/workgroup (compile time only)
; SGPRBlocks: 0
; VGPRBlocks: 4
; NumSGPRsForWavesPerEU: 32
; NumVGPRsForWavesPerEU: 80
; NamedBarCnt: 0
; Occupancy: 12
; WaveLimiterHint : 0
; COMPUTE_PGM_RSRC2:SCRATCH_EN: 0
; COMPUTE_PGM_RSRC2:USER_SGPR: 2
; COMPUTE_PGM_RSRC2:TRAP_HANDLER: 0
; COMPUTE_PGM_RSRC2:TGID_X_EN: 1
; COMPUTE_PGM_RSRC2:TGID_Y_EN: 0
; COMPUTE_PGM_RSRC2:TGID_Z_EN: 0
; COMPUTE_PGM_RSRC2:TIDIG_COMP_CNT: 0
	.section	.text._ZN2at6native12_GLOBAL__N_125multi_tensor_apply_kernelINS1_18TensorListMetadataILi2EEENS1_14UnaryOpFunctorIfLi2ELi1ELi1EEEJNS0_3TanIfEEEEEvT_T0_DpT1_,"axG",@progbits,_ZN2at6native12_GLOBAL__N_125multi_tensor_apply_kernelINS1_18TensorListMetadataILi2EEENS1_14UnaryOpFunctorIfLi2ELi1ELi1EEEJNS0_3TanIfEEEEEvT_T0_DpT1_,comdat
	.globl	_ZN2at6native12_GLOBAL__N_125multi_tensor_apply_kernelINS1_18TensorListMetadataILi2EEENS1_14UnaryOpFunctorIfLi2ELi1ELi1EEEJNS0_3TanIfEEEEEvT_T0_DpT1_ ; -- Begin function _ZN2at6native12_GLOBAL__N_125multi_tensor_apply_kernelINS1_18TensorListMetadataILi2EEENS1_14UnaryOpFunctorIfLi2ELi1ELi1EEEJNS0_3TanIfEEEEEvT_T0_DpT1_
	.p2align	8
	.type	_ZN2at6native12_GLOBAL__N_125multi_tensor_apply_kernelINS1_18TensorListMetadataILi2EEENS1_14UnaryOpFunctorIfLi2ELi1ELi1EEEJNS0_3TanIfEEEEEvT_T0_DpT1_,@function
_ZN2at6native12_GLOBAL__N_125multi_tensor_apply_kernelINS1_18TensorListMetadataILi2EEENS1_14UnaryOpFunctorIfLi2ELi1ELi1EEEJNS0_3TanIfEEEEEvT_T0_DpT1_: ; @_ZN2at6native12_GLOBAL__N_125multi_tensor_apply_kernelINS1_18TensorListMetadataILi2EEENS1_14UnaryOpFunctorIfLi2ELi1ELi1EEEJNS0_3TanIfEEEEEvT_T0_DpT1_
; %bb.0:
	s_bfe_u32 s2, ttmp6, 0x4000c
	s_and_b32 s3, ttmp6, 15
	s_add_co_i32 s2, s2, 1
	s_getreg_b32 s4, hwreg(HW_REG_IB_STS2, 6, 4)
	s_mul_i32 s2, ttmp9, s2
	s_delay_alu instid0(SALU_CYCLE_1)
	s_add_co_i32 s3, s3, s2
	s_cmp_eq_u32 s4, 0
	s_cselect_b32 s2, ttmp9, s3
	s_mov_b32 s3, 0
	s_load_u8 s11, s[0:1], s2 offset:0x600
	s_add_nc_u64 s[4:5], s[0:1], s[2:3]
	s_mul_u64 s[6:7], s[2:3], 3
	s_mov_b32 s15, s3
	s_add_nc_u64 s[6:7], s[4:5], s[6:7]
	s_load_b32 s10, s[6:7], 0x740
	s_wait_kmcnt 0x0
	s_clause 0x2
	s_load_b64 s[4:5], s[0:1], s11 offset:0x0 scale_offset
	s_load_b64 s[8:9], s[0:1], s11 offset:0x200 scale_offset
	;; [unrolled: 1-line block ×3, first 2 shown]
	s_wait_xcnt 0x0
	s_ashr_i32 s11, s10, 31
	s_delay_alu instid0(SALU_CYCLE_1)
	s_lshl_b64 s[6:7], s[10:11], 18
	s_wait_kmcnt 0x0
	s_and_b64 s[18:19], s[8:9], 15
	s_add_nc_u64 s[16:17], s[4:5], s[6:7]
	s_and_b32 s14, s12, 3
	s_and_b32 s2, s16, 15
	s_or_b64 s[14:15], s[18:19], s[14:15]
	s_lshl_b64 s[10:11], s[10:11], 16
	s_or_b64 s[2:3], s[14:15], s[2:3]
	s_sub_nc_u64 s[10:11], s[12:13], s[10:11]
	s_cmp_eq_u64 s[2:3], 0
	s_mov_b32 s2, -1
	s_cbranch_scc0 .LBB92_21
; %bb.1:
	v_min_i64 v[6:7], 0x10000, s[10:11]
	v_dual_mov_b32 v9, 0 :: v_dual_lshlrev_b32 v8, 2, v0
	s_mov_b32 s18, exec_lo
	s_delay_alu instid0(VALU_DEP_1)
	v_cmpx_lt_i64_e64 v[8:9], v[6:7]
	s_cbranch_execz .LBB92_20
; %bb.2:
	s_load_b32 s2, s[0:1], 0xc5c
	v_dual_mov_b32 v1, v9 :: v_dual_lshlrev_b32 v8, 4, v0
	s_mov_b32 s13, 0
	s_mov_b32 s19, 0x7fffff
	s_mov_b64 s[14:15], 0xfe5163ab
	s_delay_alu instid0(VALU_DEP_1)
	v_mov_b64_e32 v[12:13], v[0:1]
	v_add_nc_u64_e32 v[10:11], s[6:7], v[8:9]
	s_mov_b32 s20, 0xbc8cedd3
	s_mov_b32 s21, 0x3c971480
	s_mov_b32 s17, s13
	s_mov_b32 s22, s13
	s_wait_kmcnt 0x0
	s_and_b32 s12, s2, 0xffff
	s_delay_alu instid0(SALU_CYCLE_1)
	s_lshl_b32 s16, s12, 4
	s_branch .LBB92_4
.LBB92_3:                               ;   in Loop: Header=BB92_4 Depth=1
	s_or_b32 exec_lo, exec_lo, s2
	v_dual_mul_f32 v24, v20, v20 :: v_dual_bitop2_b32 v22, 1, v22 bitop3:0x40
	v_dual_mul_f32 v25, v17, v17 :: v_dual_mul_f32 v26, v14, v14
	v_dual_mul_f32 v27, v8, v8 :: v_dual_bitop2_b32 v19, 1, v19 bitop3:0x40
	s_delay_alu instid0(VALU_DEP_2) | instskip(NEXT) | instid1(VALU_DEP_2)
	v_dual_fmaak_f32 v28, s21, v24, 0xbf039337 :: v_dual_fmaak_f32 v29, s21, v25, 0xbf039337
	v_dual_fmaak_f32 v30, s21, v26, 0xbf039337 :: v_dual_fmaak_f32 v31, s21, v27, 0xbf039337
	;; [unrolled: 1-line block ×3, first 2 shown]
	s_delay_alu instid0(VALU_DEP_3) | instskip(NEXT) | instid1(VALU_DEP_3)
	v_dual_fmaak_f32 v28, v24, v28, 0x3f93f425 :: v_dual_fmaak_f32 v29, v25, v29, 0x3f93f425
	v_dual_fmaak_f32 v30, v26, v30, 0x3f93f425 :: v_dual_fmaak_f32 v31, v27, v31, 0x3f93f425
	v_dual_fmaak_f32 v34, s20, v26, 0x3ec54587 :: v_dual_fmaak_f32 v35, s20, v27, 0x3ec54587
	s_delay_alu instid0(VALU_DEP_3) | instskip(NEXT) | instid1(VALU_DEP_3)
	v_rcp_f32_e32 v28, v28
	v_rcp_f32_e32 v29, v29
	s_delay_alu instid0(VALU_DEP_2) | instskip(SKIP_4) | instid1(TRANS32_DEP_3)
	v_rcp_f32_e32 v31, v31
	v_rcp_f32_e32 v30, v30
	v_and_b32_e32 v16, 1, v16
	v_cmp_eq_u32_e32 vcc_lo, 0, v22
	v_add_nc_u64_e32 v[12:13], s[12:13], v[12:13]
	v_dual_mul_f32 v28, v32, v28 :: v_dual_mul_f32 v29, v33, v29
	s_delay_alu instid0(TRANS32_DEP_1) | instskip(NEXT) | instid1(VALU_DEP_2)
	v_dual_mul_f32 v31, v35, v31 :: v_dual_mul_f32 v30, v34, v30
	v_dual_mul_f32 v24, v24, v28 :: v_dual_bitop2_b32 v23, 1, v23 bitop3:0x40
	s_delay_alu instid0(VALU_DEP_2) | instskip(NEXT) | instid1(VALU_DEP_3)
	v_dual_mul_f32 v25, v25, v29 :: v_dual_mul_f32 v27, v27, v31
	v_mul_f32_e32 v26, v26, v30
	v_cmp_class_f32_e64 s2, v5, 0x1f8
	s_delay_alu instid0(VALU_DEP_3) | instskip(NEXT) | instid1(VALU_DEP_3)
	v_dual_fma_f32 v28, v24, v20, v20 :: v_dual_fma_f32 v29, v25, v17, v17
	v_dual_fma_f32 v31, v27, v8, v8 :: v_dual_fma_f32 v30, v26, v14, v14
	s_delay_alu instid0(VALU_DEP_2) | instskip(NEXT) | instid1(VALU_DEP_2)
	v_rcp_f32_e32 v32, v28
	v_dual_sub_f32 v33, v28, v20 :: v_dual_sub_f32 v34, v29, v17
	v_rcp_f32_e32 v35, v29
	s_delay_alu instid0(VALU_DEP_2) | instskip(SKIP_1) | instid1(VALU_DEP_2)
	v_sub_f32_e32 v36, v30, v14
	v_rcp_f32_e32 v37, v30
	v_fma_f32 v20, v24, v20, -v33
	s_delay_alu instid0(TRANS32_DEP_3) | instskip(SKIP_1) | instid1(TRANS32_DEP_2)
	v_fma_f32 v24, v28, -v32, 1.0
	v_dual_sub_f32 v33, v31, v8 :: v_dual_fma_f32 v17, v25, v17, -v34
	v_fma_f32 v25, v29, -v35, 1.0
	v_rcp_f32_e32 v34, v31
	s_delay_alu instid0(VALU_DEP_3) | instskip(NEXT) | instid1(VALU_DEP_3)
	v_fma_f32 v20, v20, -v32, v24
	v_dual_fma_f32 v14, v26, v14, -v36 :: v_dual_fma_f32 v8, v27, v8, -v33
	v_fma_f32 v24, v30, -v37, 1.0
	s_delay_alu instid0(VALU_DEP_3) | instskip(NEXT) | instid1(TRANS32_DEP_1)
	v_dual_fma_f32 v17, v17, -v35, v25 :: v_dual_fma_f32 v20, v20, -v32, -v32
	v_fma_f32 v25, v31, -v34, 1.0
	s_delay_alu instid0(VALU_DEP_2) | instskip(NEXT) | instid1(VALU_DEP_3)
	v_dual_fma_f32 v17, v17, -v35, -v35 :: v_dual_fma_f32 v14, v14, -v37, v24
	v_cndmask_b32_e32 v20, v20, v28, vcc_lo
	v_cmp_eq_u32_e32 vcc_lo, 0, v19
	s_delay_alu instid0(VALU_DEP_4) | instskip(NEXT) | instid1(VALU_DEP_3)
	v_fma_f32 v8, v8, -v34, v25
	v_xor3_b32 v18, v18, v4, v20
	v_cndmask_b32_e32 v17, v17, v29, vcc_lo
	s_delay_alu instid0(VALU_DEP_3) | instskip(SKIP_1) | instid1(VALU_DEP_3)
	v_dual_fma_f32 v14, v14, -v37, -v37 :: v_dual_fma_f32 v8, v8, -v34, -v34
	v_cmp_eq_u32_e32 vcc_lo, 0, v16
	v_xor3_b32 v16, v15, v3, v17
	s_delay_alu instid0(VALU_DEP_3)
	v_cndmask_b32_e32 v14, v14, v30, vcc_lo
	v_cmp_class_f32_e64 vcc_lo, v4, 0x1f8
	v_cndmask_b32_e32 v4, 0x7fc00000, v18, vcc_lo
	v_cmp_eq_u32_e32 vcc_lo, 0, v23
	v_cndmask_b32_e32 v8, v8, v31, vcc_lo
	v_cmp_class_f32_e64 vcc_lo, v3, 0x1f8
	v_xor3_b32 v1, v1, v2, v14
	v_lshlrev_b64_e32 v[14:15], 2, v[12:13]
	v_cndmask_b32_e32 v3, 0x7fc00000, v16, vcc_lo
	v_cmp_class_f32_e64 vcc_lo, v2, 0x1f8
	s_delay_alu instid0(VALU_DEP_4) | instskip(SKIP_4) | instid1(VALU_DEP_4)
	v_cndmask_b32_e32 v2, 0x7fc00000, v1, vcc_lo
	v_xor3_b32 v1, v21, v5, v8
	v_cmp_ge_i64_e32 vcc_lo, v[14:15], v[6:7]
	v_add_nc_u64_e32 v[14:15], s[8:9], v[10:11]
	v_add_nc_u64_e32 v[10:11], s[16:17], v[10:11]
	v_cndmask_b32_e64 v5, 0x7fc00000, v1, s2
	s_or_b32 s22, vcc_lo, s22
	global_store_b128 v[14:15], v[2:5], off
	s_wait_xcnt 0x0
	s_and_not1_b32 exec_lo, exec_lo, s22
	s_cbranch_execz .LBB92_20
.LBB92_4:                               ; =>This Inner Loop Header: Depth=1
	v_add_nc_u64_e32 v[2:3], s[4:5], v[10:11]
                                        ; implicit-def: $vgpr16
                                        ; implicit-def: $vgpr14
	s_mov_b32 s3, exec_lo
	global_load_b128 v[2:5], v[2:3], off
	s_wait_loadcnt 0x0
	v_and_b32_e32 v1, 0x7fffffff, v2
	s_wait_xcnt 0x0
	v_cmpx_ngt_f32_e64 0x48000000, |v2|
	s_xor_b32 s23, exec_lo, s3
	s_cbranch_execz .LBB92_6
; %bb.5:                                ;   in Loop: Header=BB92_4 Depth=1
	v_and_or_b32 v8, v1, s19, 0x800000
	v_mov_b32_e32 v25, v9
	s_delay_alu instid0(VALU_DEP_2) | instskip(NEXT) | instid1(VALU_DEP_1)
	v_mul_u64_e32 v[14:15], s[14:15], v[8:9]
	v_dual_mov_b32 v17, v9 :: v_dual_mov_b32 v16, v15
	v_lshrrev_b32_e32 v15, 23, v1
	s_delay_alu instid0(VALU_DEP_2) | instskip(SKIP_1) | instid1(VALU_DEP_3)
	v_mad_nc_u64_u32 v[16:17], 0x3c439041, v8, v[16:17]
	v_mov_b32_e32 v19, v9
	v_add_nc_u32_e32 v15, 0xffffff88, v15
	s_delay_alu instid0(VALU_DEP_1) | instskip(NEXT) | instid1(VALU_DEP_4)
	v_cmp_lt_u32_e32 vcc_lo, 63, v15
	v_mov_b32_e32 v18, v17
	v_cndmask_b32_e64 v17, 0, 0xffffffc0, vcc_lo
	s_delay_alu instid0(VALU_DEP_2) | instskip(NEXT) | instid1(VALU_DEP_1)
	v_mad_nc_u64_u32 v[18:19], 0xdb629599, v8, v[18:19]
	v_dual_mov_b32 v21, v9 :: v_dual_mov_b32 v20, v19
	s_delay_alu instid0(VALU_DEP_2) | instskip(NEXT) | instid1(VALU_DEP_2)
	v_cndmask_b32_e32 v14, v18, v14, vcc_lo
	v_mad_nc_u64_u32 v[20:21], 0xf534ddc0, v8, v[20:21]
	s_delay_alu instid0(VALU_DEP_1) | instskip(NEXT) | instid1(VALU_DEP_1)
	v_dual_mov_b32 v23, v9 :: v_dual_mov_b32 v22, v21
	v_mad_nc_u64_u32 v[22:23], 0xfc2757d1, v8, v[22:23]
	s_delay_alu instid0(VALU_DEP_1) | instskip(NEXT) | instid1(VALU_DEP_1)
	v_mov_b32_e32 v24, v23
	v_mad_nc_u64_u32 v[24:25], 0x4e441529, v8, v[24:25]
	v_add_nc_u32_e32 v15, v17, v15
	v_mov_b32_e32 v27, v9
	s_delay_alu instid0(VALU_DEP_2) | instskip(NEXT) | instid1(VALU_DEP_4)
	v_cmp_lt_u32_e64 s2, 31, v15
	v_mov_b32_e32 v26, v25
	s_delay_alu instid0(VALU_DEP_2) | instskip(NEXT) | instid1(VALU_DEP_2)
	v_cndmask_b32_e64 v17, 0, 0xffffffe0, s2
	v_mad_nc_u64_u32 v[26:27], 0xa2f9836e, v8, v[26:27]
	s_delay_alu instid0(VALU_DEP_2) | instskip(NEXT) | instid1(VALU_DEP_2)
	v_dual_cndmask_b32 v17, v24, v20 :: v_dual_add_nc_u32 v8, v17, v15
	v_cndmask_b32_e32 v19, v26, v22, vcc_lo
	s_delay_alu instid0(VALU_DEP_2) | instskip(NEXT) | instid1(VALU_DEP_4)
	v_cmp_lt_u32_e64 s3, 31, v8
	v_dual_cndmask_b32 v21, v27, v24 :: v_dual_cndmask_b32 v22, v22, v18
	s_delay_alu instid0(VALU_DEP_2) | instskip(NEXT) | instid1(VALU_DEP_1)
	v_cndmask_b32_e64 v15, 0, 0xffffffe0, s3
	v_add_nc_u32_e32 v8, v15, v8
	v_dual_cndmask_b32 v15, v20, v16, vcc_lo :: v_dual_cndmask_b32 v16, v19, v17, s2
	s_delay_alu instid0(VALU_DEP_4) | instskip(NEXT) | instid1(VALU_DEP_3)
	v_cndmask_b32_e64 v19, v21, v19, s2
	v_dual_cndmask_b32 v17, v17, v22, s2 :: v_dual_sub_nc_u32 v20, 32, v8
	s_delay_alu instid0(VALU_DEP_3) | instskip(SKIP_1) | instid1(VALU_DEP_3)
	v_cndmask_b32_e64 v21, v22, v15, s2
	v_cmp_eq_u32_e32 vcc_lo, 0, v8
	v_dual_cndmask_b32 v19, v19, v16, s3 :: v_dual_cndmask_b32 v16, v16, v17, s3
	s_delay_alu instid0(VALU_DEP_1) | instskip(NEXT) | instid1(VALU_DEP_1)
	v_alignbit_b32 v22, v19, v16, v20
	v_dual_cndmask_b32 v17, v17, v21, s3 :: v_dual_cndmask_b32 v8, v22, v19, vcc_lo
	s_delay_alu instid0(VALU_DEP_1) | instskip(NEXT) | instid1(VALU_DEP_1)
	v_alignbit_b32 v18, v16, v17, v20
	v_dual_cndmask_b32 v14, v15, v14, s2 :: v_dual_cndmask_b32 v15, v18, v16, vcc_lo
	s_delay_alu instid0(VALU_DEP_3) | instskip(NEXT) | instid1(VALU_DEP_2)
	v_bfe_u32 v16, v8, 29, 1
	v_cndmask_b32_e64 v14, v21, v14, s3
	s_delay_alu instid0(VALU_DEP_3) | instskip(NEXT) | instid1(VALU_DEP_3)
	v_alignbit_b32 v18, v8, v15, 30
	v_sub_nc_u32_e32 v19, 0, v16
	s_delay_alu instid0(VALU_DEP_3) | instskip(NEXT) | instid1(VALU_DEP_1)
	v_alignbit_b32 v20, v17, v14, v20
	v_dual_cndmask_b32 v17, v20, v17, vcc_lo :: v_dual_bitop2_b32 v18, v18, v19 bitop3:0x14
	s_delay_alu instid0(VALU_DEP_1) | instskip(NEXT) | instid1(VALU_DEP_2)
	v_clz_i32_u32_e32 v20, v18
	v_alignbit_b32 v15, v15, v17, 30
	v_alignbit_b32 v14, v17, v14, 30
	s_delay_alu instid0(VALU_DEP_3) | instskip(NEXT) | instid1(VALU_DEP_3)
	v_min_u32_e32 v20, 32, v20
	v_xor_b32_e32 v15, v15, v19
	s_delay_alu instid0(VALU_DEP_3) | instskip(SKIP_1) | instid1(VALU_DEP_4)
	v_dual_lshrrev_b32 v19, 29, v8 :: v_dual_bitop2_b32 v14, v14, v19 bitop3:0x14
	v_lshrrev_b32_e32 v8, 30, v8
	v_dual_sub_nc_u32 v17, 31, v20 :: v_dual_lshlrev_b32 v21, 23, v20
	s_delay_alu instid0(VALU_DEP_2) | instskip(NEXT) | instid1(VALU_DEP_2)
	v_add_nc_u32_e32 v16, v16, v8
	v_alignbit_b32 v18, v18, v15, v17
	v_alignbit_b32 v14, v15, v14, v17
	v_lshlrev_b32_e32 v15, 31, v19
	s_delay_alu instid0(VALU_DEP_2) | instskip(NEXT) | instid1(VALU_DEP_2)
	v_alignbit_b32 v17, v18, v14, 9
	v_dual_lshrrev_b32 v18, 9, v18 :: v_dual_bitop2_b32 v19, 0.5, v15 bitop3:0x54
	v_or_b32_e32 v15, 0x33000000, v15
	s_delay_alu instid0(VALU_DEP_3) | instskip(NEXT) | instid1(VALU_DEP_3)
	v_clz_i32_u32_e32 v22, v17
	v_sub_nc_u32_e32 v19, v19, v21
	s_delay_alu instid0(VALU_DEP_2) | instskip(NEXT) | instid1(VALU_DEP_1)
	v_min_u32_e32 v21, 32, v22
	v_add_lshl_u32 v20, v21, v20, 23
	s_delay_alu instid0(VALU_DEP_3) | instskip(SKIP_1) | instid1(VALU_DEP_2)
	v_or_b32_e32 v18, v18, v19
	v_not_b32_e32 v19, v21
	v_dual_mul_f32 v22, 0x3fc90fda, v18 :: v_dual_sub_nc_u32 v15, v15, v20
	s_delay_alu instid0(VALU_DEP_2) | instskip(NEXT) | instid1(VALU_DEP_2)
	v_alignbit_b32 v14, v17, v14, v19
	v_fma_f32 v17, 0x3fc90fda, v18, -v22
	s_delay_alu instid0(VALU_DEP_2) | instskip(NEXT) | instid1(VALU_DEP_2)
	v_lshrrev_b32_e32 v14, 9, v14
	v_fmac_f32_e32 v17, 0x33a22168, v18
	s_delay_alu instid0(VALU_DEP_2) | instskip(NEXT) | instid1(VALU_DEP_1)
	v_or_b32_e32 v14, v15, v14
	v_fmac_f32_e32 v17, 0x3fc90fda, v14
	s_delay_alu instid0(VALU_DEP_1)
	v_add_f32_e32 v14, v22, v17
.LBB92_6:                               ;   in Loop: Header=BB92_4 Depth=1
	s_and_not1_saveexec_b32 s2, s23
; %bb.7:                                ;   in Loop: Header=BB92_4 Depth=1
	v_mul_f32_e64 v8, 0x3f22f983, |v2|
	s_delay_alu instid0(VALU_DEP_1) | instskip(NEXT) | instid1(VALU_DEP_1)
	v_rndne_f32_e32 v8, v8
	v_fma_f32 v14, 0xbfc90fda, v8, |v2|
	v_cvt_i32_f32_e32 v16, v8
	s_delay_alu instid0(VALU_DEP_2) | instskip(NEXT) | instid1(VALU_DEP_1)
	v_fmac_f32_e32 v14, 0xb3a22168, v8
	v_fmac_f32_e32 v14, 0xa7c234c4, v8
; %bb.8:                                ;   in Loop: Header=BB92_4 Depth=1
	s_or_b32 exec_lo, exec_lo, s2
	v_and_b32_e32 v15, 0x7fffffff, v3
                                        ; implicit-def: $vgpr19
                                        ; implicit-def: $vgpr17
	s_mov_b32 s3, exec_lo
	v_cmpx_ngt_f32_e64 0x48000000, |v3|
	s_xor_b32 s23, exec_lo, s3
	s_cbranch_execz .LBB92_10
; %bb.9:                                ;   in Loop: Header=BB92_4 Depth=1
	v_and_or_b32 v8, v15, s19, 0x800000
	v_dual_lshrrev_b32 v17, 23, v15 :: v_dual_mov_b32 v29, v9
	v_mov_b32_e32 v31, v9
	s_delay_alu instid0(VALU_DEP_3) | instskip(SKIP_1) | instid1(VALU_DEP_4)
	v_mul_u64_e32 v[18:19], s[14:15], v[8:9]
	v_mov_b32_e32 v21, v9
	v_add_nc_u32_e32 v17, 0xffffff88, v17
	s_delay_alu instid0(VALU_DEP_1) | instskip(NEXT) | instid1(VALU_DEP_4)
	v_cmp_lt_u32_e32 vcc_lo, 63, v17
	v_mov_b32_e32 v20, v19
	v_cndmask_b32_e64 v19, 0, 0xffffffc0, vcc_lo
	s_delay_alu instid0(VALU_DEP_2) | instskip(NEXT) | instid1(VALU_DEP_2)
	v_mad_nc_u64_u32 v[20:21], 0x3c439041, v8, v[20:21]
	v_dual_mov_b32 v23, v9 :: v_dual_add_nc_u32 v17, v19, v17
	s_delay_alu instid0(VALU_DEP_1) | instskip(NEXT) | instid1(VALU_DEP_3)
	v_cmp_lt_u32_e64 s2, 31, v17
	v_mov_b32_e32 v22, v21
	s_delay_alu instid0(VALU_DEP_2) | instskip(NEXT) | instid1(VALU_DEP_2)
	v_cndmask_b32_e64 v19, 0, 0xffffffe0, s2
	v_mad_nc_u64_u32 v[22:23], 0xdb629599, v8, v[22:23]
	s_delay_alu instid0(VALU_DEP_1) | instskip(NEXT) | instid1(VALU_DEP_2)
	v_dual_mov_b32 v25, v9 :: v_dual_mov_b32 v24, v23
	v_cndmask_b32_e32 v18, v22, v18, vcc_lo
	s_delay_alu instid0(VALU_DEP_2) | instskip(NEXT) | instid1(VALU_DEP_1)
	v_mad_nc_u64_u32 v[24:25], 0xf534ddc0, v8, v[24:25]
	v_dual_mov_b32 v27, v9 :: v_dual_mov_b32 v26, v25
	s_delay_alu instid0(VALU_DEP_1) | instskip(NEXT) | instid1(VALU_DEP_1)
	v_mad_nc_u64_u32 v[26:27], 0xfc2757d1, v8, v[26:27]
	v_dual_mov_b32 v28, v27 :: v_dual_cndmask_b32 v25, v26, v22
	s_delay_alu instid0(VALU_DEP_1) | instskip(NEXT) | instid1(VALU_DEP_1)
	v_mad_nc_u64_u32 v[28:29], 0x4e441529, v8, v[28:29]
	v_mov_b32_e32 v30, v29
	s_delay_alu instid0(VALU_DEP_1) | instskip(NEXT) | instid1(VALU_DEP_3)
	v_mad_nc_u64_u32 v[30:31], 0xa2f9836e, v8, v[30:31]
	v_dual_cndmask_b32 v19, v28, v24 :: v_dual_add_nc_u32 v8, v19, v17
	s_delay_alu instid0(VALU_DEP_1) | instskip(NEXT) | instid1(VALU_DEP_1)
	v_cmp_lt_u32_e64 s3, 31, v8
	v_cndmask_b32_e64 v17, 0, 0xffffffe0, s3
	s_delay_alu instid0(VALU_DEP_4) | instskip(NEXT) | instid1(VALU_DEP_2)
	v_dual_cndmask_b32 v21, v30, v26, vcc_lo :: v_dual_cndmask_b32 v23, v31, v28, vcc_lo
	v_add_nc_u32_e32 v8, v17, v8
	s_delay_alu instid0(VALU_DEP_2) | instskip(NEXT) | instid1(VALU_DEP_3)
	v_dual_cndmask_b32 v17, v24, v20, vcc_lo :: v_dual_cndmask_b32 v20, v21, v19, s2
	v_cndmask_b32_e64 v21, v23, v21, s2
	s_delay_alu instid0(VALU_DEP_3) | instskip(NEXT) | instid1(VALU_DEP_3)
	v_dual_cndmask_b32 v19, v19, v25, s2 :: v_dual_sub_nc_u32 v23, 32, v8
	v_cndmask_b32_e64 v24, v25, v17, s2
	v_cmp_eq_u32_e32 vcc_lo, 0, v8
	s_delay_alu instid0(VALU_DEP_3) | instskip(NEXT) | instid1(VALU_DEP_1)
	v_dual_cndmask_b32 v21, v21, v20, s3 :: v_dual_cndmask_b32 v20, v20, v19, s3
	v_alignbit_b32 v25, v21, v20, v23
	s_delay_alu instid0(VALU_DEP_1) | instskip(NEXT) | instid1(VALU_DEP_1)
	v_dual_cndmask_b32 v19, v19, v24, s3 :: v_dual_cndmask_b32 v8, v25, v21, vcc_lo
	v_alignbit_b32 v22, v20, v19, v23
	s_delay_alu instid0(VALU_DEP_1) | instskip(NEXT) | instid1(VALU_DEP_3)
	v_dual_cndmask_b32 v17, v17, v18, s2 :: v_dual_cndmask_b32 v18, v22, v20, vcc_lo
	v_bfe_u32 v20, v8, 29, 1
	s_delay_alu instid0(VALU_DEP_2) | instskip(NEXT) | instid1(VALU_DEP_3)
	v_cndmask_b32_e64 v17, v24, v17, s3
	v_alignbit_b32 v21, v8, v18, 30
	s_delay_alu instid0(VALU_DEP_3) | instskip(NEXT) | instid1(VALU_DEP_3)
	v_sub_nc_u32_e32 v22, 0, v20
	v_alignbit_b32 v23, v19, v17, v23
	s_delay_alu instid0(VALU_DEP_1) | instskip(NEXT) | instid1(VALU_DEP_1)
	v_dual_cndmask_b32 v19, v23, v19, vcc_lo :: v_dual_bitop2_b32 v21, v21, v22 bitop3:0x14
	v_clz_i32_u32_e32 v23, v21
	s_delay_alu instid0(VALU_DEP_2) | instskip(SKIP_1) | instid1(VALU_DEP_3)
	v_alignbit_b32 v18, v18, v19, 30
	v_alignbit_b32 v17, v19, v17, 30
	v_min_u32_e32 v23, 32, v23
	s_delay_alu instid0(VALU_DEP_3) | instskip(NEXT) | instid1(VALU_DEP_3)
	v_xor_b32_e32 v18, v18, v22
	v_dual_lshrrev_b32 v22, 29, v8 :: v_dual_bitop2_b32 v17, v17, v22 bitop3:0x14
	s_delay_alu instid0(VALU_DEP_3) | instskip(SKIP_1) | instid1(VALU_DEP_2)
	v_dual_lshrrev_b32 v8, 30, v8 :: v_dual_sub_nc_u32 v19, 31, v23
	v_lshlrev_b32_e32 v24, 23, v23
	v_alignbit_b32 v21, v21, v18, v19
	s_delay_alu instid0(VALU_DEP_4) | instskip(SKIP_1) | instid1(VALU_DEP_2)
	v_alignbit_b32 v17, v18, v17, v19
	v_lshlrev_b32_e32 v18, 31, v22
	v_alignbit_b32 v19, v21, v17, 9
	s_delay_alu instid0(VALU_DEP_2) | instskip(SKIP_1) | instid1(VALU_DEP_3)
	v_dual_lshrrev_b32 v21, 9, v21 :: v_dual_bitop2_b32 v22, 0.5, v18 bitop3:0x54
	v_or_b32_e32 v18, 0x33000000, v18
	v_clz_i32_u32_e32 v25, v19
	s_delay_alu instid0(VALU_DEP_3) | instskip(NEXT) | instid1(VALU_DEP_2)
	v_sub_nc_u32_e32 v22, v22, v24
	v_min_u32_e32 v24, 32, v25
	s_delay_alu instid0(VALU_DEP_1) | instskip(NEXT) | instid1(VALU_DEP_3)
	v_add_lshl_u32 v23, v24, v23, 23
	v_or_b32_e32 v21, v21, v22
	v_not_b32_e32 v22, v24
	s_delay_alu instid0(VALU_DEP_2) | instskip(NEXT) | instid1(VALU_DEP_2)
	v_dual_mul_f32 v25, 0x3fc90fda, v21 :: v_dual_sub_nc_u32 v18, v18, v23
	v_alignbit_b32 v17, v19, v17, v22
	s_delay_alu instid0(VALU_DEP_2) | instskip(NEXT) | instid1(VALU_DEP_2)
	v_fma_f32 v19, 0x3fc90fda, v21, -v25
	v_lshrrev_b32_e32 v17, 9, v17
	s_delay_alu instid0(VALU_DEP_2) | instskip(NEXT) | instid1(VALU_DEP_2)
	v_fmac_f32_e32 v19, 0x33a22168, v21
	v_or_b32_e32 v17, v18, v17
	s_delay_alu instid0(VALU_DEP_1) | instskip(NEXT) | instid1(VALU_DEP_1)
	v_fmac_f32_e32 v19, 0x3fc90fda, v17
	v_dual_add_f32 v17, v25, v19 :: v_dual_add_nc_u32 v19, v20, v8
.LBB92_10:                              ;   in Loop: Header=BB92_4 Depth=1
	s_and_not1_saveexec_b32 s2, s23
; %bb.11:                               ;   in Loop: Header=BB92_4 Depth=1
	v_mul_f32_e64 v8, 0x3f22f983, |v3|
	s_delay_alu instid0(VALU_DEP_1) | instskip(NEXT) | instid1(VALU_DEP_1)
	v_rndne_f32_e32 v8, v8
	v_fma_f32 v17, 0xbfc90fda, v8, |v3|
	v_cvt_i32_f32_e32 v19, v8
	s_delay_alu instid0(VALU_DEP_2) | instskip(NEXT) | instid1(VALU_DEP_1)
	v_fmac_f32_e32 v17, 0xb3a22168, v8
	v_fmac_f32_e32 v17, 0xa7c234c4, v8
; %bb.12:                               ;   in Loop: Header=BB92_4 Depth=1
	s_or_b32 exec_lo, exec_lo, s2
	v_and_b32_e32 v18, 0x7fffffff, v4
                                        ; implicit-def: $vgpr22
                                        ; implicit-def: $vgpr20
	s_mov_b32 s3, exec_lo
	v_cmpx_ngt_f32_e64 0x48000000, |v4|
	s_xor_b32 s23, exec_lo, s3
	s_cbranch_execz .LBB92_14
; %bb.13:                               ;   in Loop: Header=BB92_4 Depth=1
	v_and_or_b32 v8, v18, s19, 0x800000
	v_dual_mov_b32 v31, v9 :: v_dual_mov_b32 v33, v9
	s_delay_alu instid0(VALU_DEP_2) | instskip(NEXT) | instid1(VALU_DEP_1)
	v_mul_u64_e32 v[20:21], s[14:15], v[8:9]
	v_dual_mov_b32 v23, v9 :: v_dual_mov_b32 v22, v21
	v_lshrrev_b32_e32 v21, 23, v18
	s_delay_alu instid0(VALU_DEP_2) | instskip(SKIP_1) | instid1(VALU_DEP_3)
	v_mad_nc_u64_u32 v[22:23], 0x3c439041, v8, v[22:23]
	v_mov_b32_e32 v25, v9
	v_add_nc_u32_e32 v21, 0xffffff88, v21
	s_delay_alu instid0(VALU_DEP_1) | instskip(NEXT) | instid1(VALU_DEP_4)
	v_cmp_lt_u32_e32 vcc_lo, 63, v21
	v_mov_b32_e32 v24, v23
	v_cndmask_b32_e64 v23, 0, 0xffffffc0, vcc_lo
	s_delay_alu instid0(VALU_DEP_2) | instskip(NEXT) | instid1(VALU_DEP_2)
	v_mad_nc_u64_u32 v[24:25], 0xdb629599, v8, v[24:25]
	v_dual_mov_b32 v27, v9 :: v_dual_add_nc_u32 v21, v23, v21
	s_delay_alu instid0(VALU_DEP_1) | instskip(NEXT) | instid1(VALU_DEP_3)
	v_cmp_lt_u32_e64 s2, 31, v21
	v_mov_b32_e32 v26, v25
	s_delay_alu instid0(VALU_DEP_2) | instskip(SKIP_1) | instid1(VALU_DEP_3)
	v_cndmask_b32_e64 v23, 0, 0xffffffe0, s2
	v_cndmask_b32_e32 v20, v24, v20, vcc_lo
	v_mad_nc_u64_u32 v[26:27], 0xf534ddc0, v8, v[26:27]
	s_delay_alu instid0(VALU_DEP_1) | instskip(NEXT) | instid1(VALU_DEP_1)
	v_dual_mov_b32 v29, v9 :: v_dual_mov_b32 v28, v27
	v_mad_nc_u64_u32 v[28:29], 0xfc2757d1, v8, v[28:29]
	s_delay_alu instid0(VALU_DEP_1) | instskip(NEXT) | instid1(VALU_DEP_1)
	v_mov_b32_e32 v30, v29
	v_mad_nc_u64_u32 v[30:31], 0x4e441529, v8, v[30:31]
	s_delay_alu instid0(VALU_DEP_1) | instskip(NEXT) | instid1(VALU_DEP_1)
	v_mov_b32_e32 v32, v31
	v_mad_nc_u64_u32 v[32:33], 0xa2f9836e, v8, v[32:33]
	s_delay_alu instid0(VALU_DEP_3) | instskip(NEXT) | instid1(VALU_DEP_2)
	v_dual_cndmask_b32 v23, v30, v26 :: v_dual_add_nc_u32 v8, v23, v21
	v_cndmask_b32_e32 v25, v32, v28, vcc_lo
	s_delay_alu instid0(VALU_DEP_2) | instskip(NEXT) | instid1(VALU_DEP_4)
	v_cmp_lt_u32_e64 s3, 31, v8
	v_dual_cndmask_b32 v27, v33, v30 :: v_dual_cndmask_b32 v28, v28, v24
	s_delay_alu instid0(VALU_DEP_2) | instskip(NEXT) | instid1(VALU_DEP_1)
	v_cndmask_b32_e64 v21, 0, 0xffffffe0, s3
	v_dual_cndmask_b32 v21, v26, v22 :: v_dual_add_nc_u32 v8, v21, v8
	s_delay_alu instid0(VALU_DEP_3) | instskip(NEXT) | instid1(VALU_DEP_4)
	v_dual_cndmask_b32 v22, v25, v23, s2 :: v_dual_cndmask_b32 v25, v27, v25, s2
	v_cndmask_b32_e64 v23, v23, v28, s2
	s_delay_alu instid0(VALU_DEP_3) | instskip(SKIP_1) | instid1(VALU_DEP_3)
	v_dual_sub_nc_u32 v26, 32, v8 :: v_dual_cndmask_b32 v27, v28, v21, s2
	v_cmp_eq_u32_e32 vcc_lo, 0, v8
	v_dual_cndmask_b32 v25, v25, v22, s3 :: v_dual_cndmask_b32 v22, v22, v23, s3
	s_delay_alu instid0(VALU_DEP_1) | instskip(NEXT) | instid1(VALU_DEP_1)
	v_alignbit_b32 v28, v25, v22, v26
	v_dual_cndmask_b32 v23, v23, v27, s3 :: v_dual_cndmask_b32 v8, v28, v25, vcc_lo
	s_delay_alu instid0(VALU_DEP_1) | instskip(NEXT) | instid1(VALU_DEP_1)
	v_alignbit_b32 v24, v22, v23, v26
	v_dual_cndmask_b32 v20, v21, v20, s2 :: v_dual_cndmask_b32 v21, v24, v22, vcc_lo
	s_delay_alu instid0(VALU_DEP_3) | instskip(NEXT) | instid1(VALU_DEP_2)
	v_bfe_u32 v22, v8, 29, 1
	v_cndmask_b32_e64 v20, v27, v20, s3
	s_delay_alu instid0(VALU_DEP_3) | instskip(NEXT) | instid1(VALU_DEP_3)
	v_alignbit_b32 v24, v8, v21, 30
	v_sub_nc_u32_e32 v25, 0, v22
	s_delay_alu instid0(VALU_DEP_3) | instskip(NEXT) | instid1(VALU_DEP_1)
	v_alignbit_b32 v26, v23, v20, v26
	v_dual_cndmask_b32 v23, v26, v23, vcc_lo :: v_dual_bitop2_b32 v24, v24, v25 bitop3:0x14
	s_delay_alu instid0(VALU_DEP_1) | instskip(NEXT) | instid1(VALU_DEP_2)
	v_clz_i32_u32_e32 v26, v24
	v_alignbit_b32 v21, v21, v23, 30
	v_alignbit_b32 v20, v23, v20, 30
	s_delay_alu instid0(VALU_DEP_3) | instskip(NEXT) | instid1(VALU_DEP_3)
	v_min_u32_e32 v26, 32, v26
	v_xor_b32_e32 v21, v21, v25
	s_delay_alu instid0(VALU_DEP_3) | instskip(NEXT) | instid1(VALU_DEP_3)
	v_dual_lshrrev_b32 v25, 29, v8 :: v_dual_bitop2_b32 v20, v20, v25 bitop3:0x14
	v_dual_sub_nc_u32 v23, 31, v26 :: v_dual_lshlrev_b32 v27, 23, v26
	s_delay_alu instid0(VALU_DEP_1) | instskip(NEXT) | instid1(VALU_DEP_3)
	v_alignbit_b32 v24, v24, v21, v23
	v_alignbit_b32 v20, v21, v20, v23
	s_delay_alu instid0(VALU_DEP_4) | instskip(NEXT) | instid1(VALU_DEP_2)
	v_lshlrev_b32_e32 v21, 31, v25
	v_alignbit_b32 v23, v24, v20, 9
	s_delay_alu instid0(VALU_DEP_2) | instskip(SKIP_1) | instid1(VALU_DEP_3)
	v_dual_lshrrev_b32 v24, 9, v24 :: v_dual_bitop2_b32 v25, 0.5, v21 bitop3:0x54
	v_or_b32_e32 v21, 0x33000000, v21
	v_clz_i32_u32_e32 v28, v23
	s_delay_alu instid0(VALU_DEP_3) | instskip(NEXT) | instid1(VALU_DEP_2)
	v_sub_nc_u32_e32 v25, v25, v27
	v_min_u32_e32 v27, 32, v28
	s_delay_alu instid0(VALU_DEP_1) | instskip(NEXT) | instid1(VALU_DEP_3)
	v_add_lshl_u32 v26, v27, v26, 23
	v_or_b32_e32 v24, v24, v25
	v_not_b32_e32 v25, v27
	s_delay_alu instid0(VALU_DEP_2) | instskip(NEXT) | instid1(VALU_DEP_2)
	v_dual_mul_f32 v28, 0x3fc90fda, v24 :: v_dual_sub_nc_u32 v21, v21, v26
	v_alignbit_b32 v20, v23, v20, v25
	s_delay_alu instid0(VALU_DEP_2) | instskip(NEXT) | instid1(VALU_DEP_2)
	v_fma_f32 v23, 0x3fc90fda, v24, -v28
	v_lshrrev_b32_e32 v20, 9, v20
	s_delay_alu instid0(VALU_DEP_2) | instskip(NEXT) | instid1(VALU_DEP_2)
	v_fmac_f32_e32 v23, 0x33a22168, v24
	v_or_b32_e32 v20, v21, v20
	s_delay_alu instid0(VALU_DEP_1) | instskip(NEXT) | instid1(VALU_DEP_1)
	v_fmac_f32_e32 v23, 0x3fc90fda, v20
	v_dual_lshrrev_b32 v8, 30, v8 :: v_dual_add_f32 v20, v28, v23
	s_delay_alu instid0(VALU_DEP_1)
	v_add_nc_u32_e32 v22, v22, v8
.LBB92_14:                              ;   in Loop: Header=BB92_4 Depth=1
	s_and_not1_saveexec_b32 s2, s23
; %bb.15:                               ;   in Loop: Header=BB92_4 Depth=1
	v_mul_f32_e64 v8, 0x3f22f983, |v4|
	s_delay_alu instid0(VALU_DEP_1) | instskip(NEXT) | instid1(VALU_DEP_1)
	v_rndne_f32_e32 v8, v8
	v_fma_f32 v20, 0xbfc90fda, v8, |v4|
	v_cvt_i32_f32_e32 v22, v8
	s_delay_alu instid0(VALU_DEP_2) | instskip(NEXT) | instid1(VALU_DEP_1)
	v_fmac_f32_e32 v20, 0xb3a22168, v8
	v_fmac_f32_e32 v20, 0xa7c234c4, v8
; %bb.16:                               ;   in Loop: Header=BB92_4 Depth=1
	s_or_b32 exec_lo, exec_lo, s2
	v_and_b32_e32 v21, 0x7fffffff, v5
                                        ; implicit-def: $vgpr23
                                        ; implicit-def: $vgpr8
	s_mov_b32 s3, exec_lo
	v_cmpx_ngt_f32_e64 0x48000000, |v5|
	s_xor_b32 s23, exec_lo, s3
	s_cbranch_execz .LBB92_18
; %bb.17:                               ;   in Loop: Header=BB92_4 Depth=1
	v_and_or_b32 v8, v21, s19, 0x800000
	v_dual_lshrrev_b32 v23, 23, v21 :: v_dual_mov_b32 v35, v9
	s_delay_alu instid0(VALU_DEP_2) | instskip(SKIP_1) | instid1(VALU_DEP_3)
	v_mul_u64_e32 v[24:25], s[14:15], v[8:9]
	v_mov_b32_e32 v27, v9
	v_add_nc_u32_e32 v23, 0xffffff88, v23
	s_delay_alu instid0(VALU_DEP_1) | instskip(NEXT) | instid1(VALU_DEP_4)
	v_cmp_lt_u32_e32 vcc_lo, 63, v23
	v_mov_b32_e32 v26, v25
	v_cndmask_b32_e64 v25, 0, 0xffffffc0, vcc_lo
	s_delay_alu instid0(VALU_DEP_2) | instskip(NEXT) | instid1(VALU_DEP_1)
	v_mad_nc_u64_u32 v[26:27], 0x3c439041, v8, v[26:27]
	v_dual_mov_b32 v29, v9 :: v_dual_mov_b32 v28, v27
	s_delay_alu instid0(VALU_DEP_1) | instskip(NEXT) | instid1(VALU_DEP_1)
	v_mad_nc_u64_u32 v[28:29], 0xdb629599, v8, v[28:29]
	v_dual_mov_b32 v31, v9 :: v_dual_mov_b32 v30, v29
	s_delay_alu instid0(VALU_DEP_2) | instskip(NEXT) | instid1(VALU_DEP_2)
	v_cndmask_b32_e32 v24, v28, v24, vcc_lo
	v_mad_nc_u64_u32 v[30:31], 0xf534ddc0, v8, v[30:31]
	s_delay_alu instid0(VALU_DEP_1) | instskip(NEXT) | instid1(VALU_DEP_1)
	v_dual_mov_b32 v33, v9 :: v_dual_mov_b32 v32, v31
	v_mad_nc_u64_u32 v[32:33], 0xfc2757d1, v8, v[32:33]
	s_delay_alu instid0(VALU_DEP_1) | instskip(NEXT) | instid1(VALU_DEP_1)
	v_dual_mov_b32 v34, v33 :: v_dual_cndmask_b32 v31, v32, v28
	v_mad_nc_u64_u32 v[34:35], 0x4e441529, v8, v[34:35]
	v_add_nc_u32_e32 v23, v25, v23
	s_delay_alu instid0(VALU_DEP_2) | instskip(NEXT) | instid1(VALU_DEP_2)
	v_dual_mov_b32 v37, v9 :: v_dual_mov_b32 v36, v35
	v_cmp_lt_u32_e64 s2, 31, v23
	s_delay_alu instid0(VALU_DEP_2) | instskip(NEXT) | instid1(VALU_DEP_2)
	v_mad_nc_u64_u32 v[36:37], 0xa2f9836e, v8, v[36:37]
	v_cndmask_b32_e64 v25, 0, 0xffffffe0, s2
	s_delay_alu instid0(VALU_DEP_1) | instskip(NEXT) | instid1(VALU_DEP_3)
	v_dual_cndmask_b32 v25, v34, v30 :: v_dual_add_nc_u32 v8, v25, v23
	v_cndmask_b32_e32 v27, v36, v32, vcc_lo
	s_delay_alu instid0(VALU_DEP_2) | instskip(SKIP_1) | instid1(VALU_DEP_2)
	v_cmp_lt_u32_e64 s3, 31, v8
	v_cndmask_b32_e32 v29, v37, v34, vcc_lo
	v_cndmask_b32_e64 v23, 0, 0xffffffe0, s3
	s_delay_alu instid0(VALU_DEP_1) | instskip(NEXT) | instid1(VALU_DEP_3)
	v_dual_cndmask_b32 v23, v30, v26 :: v_dual_add_nc_u32 v8, v23, v8
	v_dual_cndmask_b32 v26, v27, v25, s2 :: v_dual_cndmask_b32 v27, v29, v27, s2
	s_delay_alu instid0(VALU_DEP_2) | instskip(NEXT) | instid1(VALU_DEP_3)
	v_dual_cndmask_b32 v25, v25, v31, s2 :: v_dual_sub_nc_u32 v29, 32, v8
	v_cndmask_b32_e64 v30, v31, v23, s2
	v_cmp_eq_u32_e32 vcc_lo, 0, v8
	s_delay_alu instid0(VALU_DEP_3) | instskip(NEXT) | instid1(VALU_DEP_1)
	v_dual_cndmask_b32 v27, v27, v26, s3 :: v_dual_cndmask_b32 v26, v26, v25, s3
	v_alignbit_b32 v31, v27, v26, v29
	s_delay_alu instid0(VALU_DEP_1) | instskip(NEXT) | instid1(VALU_DEP_1)
	v_dual_cndmask_b32 v25, v25, v30, s3 :: v_dual_cndmask_b32 v8, v31, v27, vcc_lo
	v_alignbit_b32 v28, v26, v25, v29
	s_delay_alu instid0(VALU_DEP_1) | instskip(NEXT) | instid1(VALU_DEP_3)
	v_dual_cndmask_b32 v23, v23, v24, s2 :: v_dual_cndmask_b32 v24, v28, v26, vcc_lo
	v_bfe_u32 v26, v8, 29, 1
	s_delay_alu instid0(VALU_DEP_2) | instskip(NEXT) | instid1(VALU_DEP_3)
	v_cndmask_b32_e64 v23, v30, v23, s3
	v_alignbit_b32 v27, v8, v24, 30
	s_delay_alu instid0(VALU_DEP_3) | instskip(NEXT) | instid1(VALU_DEP_3)
	v_sub_nc_u32_e32 v28, 0, v26
	v_alignbit_b32 v29, v25, v23, v29
	s_delay_alu instid0(VALU_DEP_1) | instskip(NEXT) | instid1(VALU_DEP_1)
	v_dual_cndmask_b32 v25, v29, v25, vcc_lo :: v_dual_bitop2_b32 v27, v27, v28 bitop3:0x14
	v_clz_i32_u32_e32 v29, v27
	s_delay_alu instid0(VALU_DEP_2) | instskip(SKIP_1) | instid1(VALU_DEP_3)
	v_alignbit_b32 v24, v24, v25, 30
	v_alignbit_b32 v23, v25, v23, 30
	v_min_u32_e32 v29, 32, v29
	s_delay_alu instid0(VALU_DEP_3) | instskip(NEXT) | instid1(VALU_DEP_3)
	v_xor_b32_e32 v24, v24, v28
	v_xor_b32_e32 v23, v23, v28
	s_delay_alu instid0(VALU_DEP_3) | instskip(SKIP_1) | instid1(VALU_DEP_1)
	v_dual_lshrrev_b32 v28, 29, v8 :: v_dual_lshlrev_b32 v30, 23, v29
	v_sub_nc_u32_e32 v25, 31, v29
	v_alignbit_b32 v27, v27, v24, v25
	s_delay_alu instid0(VALU_DEP_4) | instskip(NEXT) | instid1(VALU_DEP_4)
	v_alignbit_b32 v23, v24, v23, v25
	v_lshlrev_b32_e32 v24, 31, v28
	s_delay_alu instid0(VALU_DEP_2) | instskip(NEXT) | instid1(VALU_DEP_2)
	v_alignbit_b32 v25, v27, v23, 9
	v_dual_lshrrev_b32 v27, 9, v27 :: v_dual_bitop2_b32 v28, 0.5, v24 bitop3:0x54
	v_or_b32_e32 v24, 0x33000000, v24
	s_delay_alu instid0(VALU_DEP_3) | instskip(NEXT) | instid1(VALU_DEP_3)
	v_clz_i32_u32_e32 v31, v25
	v_sub_nc_u32_e32 v28, v28, v30
	s_delay_alu instid0(VALU_DEP_2) | instskip(NEXT) | instid1(VALU_DEP_1)
	v_min_u32_e32 v30, 32, v31
	v_add_lshl_u32 v29, v30, v29, 23
	s_delay_alu instid0(VALU_DEP_3) | instskip(SKIP_1) | instid1(VALU_DEP_2)
	v_or_b32_e32 v27, v27, v28
	v_not_b32_e32 v28, v30
	v_dual_mul_f32 v31, 0x3fc90fda, v27 :: v_dual_sub_nc_u32 v24, v24, v29
	s_delay_alu instid0(VALU_DEP_2) | instskip(NEXT) | instid1(VALU_DEP_2)
	v_alignbit_b32 v23, v25, v23, v28
	v_fma_f32 v25, 0x3fc90fda, v27, -v31
	s_delay_alu instid0(VALU_DEP_2) | instskip(NEXT) | instid1(VALU_DEP_2)
	v_lshrrev_b32_e32 v23, 9, v23
	v_fmac_f32_e32 v25, 0x33a22168, v27
	s_delay_alu instid0(VALU_DEP_2) | instskip(NEXT) | instid1(VALU_DEP_1)
	v_or_b32_e32 v23, v24, v23
	v_fmac_f32_e32 v25, 0x3fc90fda, v23
	s_delay_alu instid0(VALU_DEP_1) | instskip(NEXT) | instid1(VALU_DEP_1)
	v_dual_add_f32 v8, v31, v25 :: v_dual_lshrrev_b32 v23, 30, v8
	v_add_nc_u32_e32 v23, v26, v23
.LBB92_18:                              ;   in Loop: Header=BB92_4 Depth=1
	s_and_not1_saveexec_b32 s2, s23
	s_cbranch_execz .LBB92_3
; %bb.19:                               ;   in Loop: Header=BB92_4 Depth=1
	v_mul_f32_e64 v8, 0x3f22f983, |v5|
	s_delay_alu instid0(VALU_DEP_1) | instskip(NEXT) | instid1(VALU_DEP_1)
	v_rndne_f32_e32 v23, v8
	v_fma_f32 v8, 0xbfc90fda, v23, |v5|
	s_delay_alu instid0(VALU_DEP_1) | instskip(NEXT) | instid1(VALU_DEP_1)
	v_fmac_f32_e32 v8, 0xb3a22168, v23
	v_fmac_f32_e32 v8, 0xa7c234c4, v23
	v_cvt_i32_f32_e32 v23, v23
	s_branch .LBB92_3
.LBB92_20:
	s_or_b32 exec_lo, exec_lo, s18
	s_mov_b32 s2, 0
.LBB92_21:
	s_delay_alu instid0(SALU_CYCLE_1)
	s_and_not1_b32 vcc_lo, exec_lo, s2
	s_cbranch_vccnz .LBB92_57
; %bb.22:
	v_cmp_lt_i64_e64 s2, s[10:11], 1
	s_and_b32 vcc_lo, exec_lo, s2
	s_cbranch_vccnz .LBB92_57
; %bb.23:
	s_load_b32 s0, s[0:1], 0xc5c
	v_min_i64 v[2:3], 0x10000, s[10:11]
	v_min_u64 v[6:7], 0x10000, s[10:11]
	v_dual_mov_b32 v5, 0 :: v_dual_lshlrev_b32 v4, 2, v0
	s_mov_b32 s13, 0
	s_mov_b32 s16, 0x7fffff
	;; [unrolled: 1-line block ×3, first 2 shown]
	s_delay_alu instid0(VALU_DEP_1)
	v_mov_b32_e32 v1, v5
	v_add_nc_u64_e32 v[8:9], s[4:5], v[4:5]
	v_add_nc_u64_e32 v[10:11], s[8:9], v[4:5]
	s_wait_xcnt 0x0
	s_mov_b32 s1, s13
	s_mov_b32 s3, s13
	;; [unrolled: 1-line block ×5, first 2 shown]
	s_wait_kmcnt 0x0
	s_and_b32 s12, s0, 0xffff
	s_delay_alu instid0(SALU_CYCLE_1)
	v_add_nc_u64_e32 v[12:13], s[12:13], v[0:1]
	v_mad_nc_u64_u32 v[24:25], s12, 12, v[4:5]
	s_lshl_b32 s14, s12, 3
	s_lshl_b32 s0, s12, 1
	v_add_nc_u64_e32 v[20:21], s[14:15], v[4:5]
	s_mul_i32 s2, s12, 3
	s_lshl_b32 s10, s12, 2
	v_lshlrev_b32_e32 v4, 2, v12
	v_add_nc_u64_e32 v[14:15], s[2:3], v[0:1]
	v_add_nc_u64_e32 v[16:17], s[0:1], v[0:1]
	s_lshl_b32 s12, s12, 4
	v_add_nc_u64_e32 v[18:19], s[4:5], v[20:21]
	v_add_nc_u64_e32 v[20:21], s[8:9], v[20:21]
	v_add_nc_u64_e32 v[22:23], s[4:5], v[24:25]
	v_add_nc_u64_e32 v[24:25], s[8:9], v[24:25]
	v_add_nc_u64_e32 v[26:27], s[4:5], v[4:5]
	v_add_nc_u64_e32 v[28:29], s[8:9], v[4:5]
	s_mov_b64 s[8:9], 0xfe5163ab
	s_mov_b64 s[14:15], 0
	s_branch .LBB92_25
.LBB92_24:                              ;   in Loop: Header=BB92_25 Depth=1
	s_wait_xcnt 0x0
	s_or_b32 exec_lo, exec_lo, s0
	s_add_nc_u64 s[14:15], s[14:15], s[10:11]
	v_add_nc_u64_e32 v[8:9], s[12:13], v[8:9]
	v_cmp_ge_i64_e32 vcc_lo, s[14:15], v[2:3]
	v_add_nc_u64_e32 v[10:11], s[12:13], v[10:11]
	v_add_nc_u64_e32 v[22:23], s[12:13], v[22:23]
	;; [unrolled: 1-line block ×7, first 2 shown]
	s_cbranch_vccnz .LBB92_57
.LBB92_25:                              ; =>This Inner Loop Header: Depth=1
	v_add_nc_u64_e32 v[30:31], s[14:15], v[0:1]
	v_mov_b32_e32 v33, 0
	s_delay_alu instid0(VALU_DEP_2)
	v_cmp_lt_u64_e64 s2, v[30:31], v[6:7]
	s_and_saveexec_b32 s0, s2
	s_cbranch_execz .LBB92_27
; %bb.26:                               ;   in Loop: Header=BB92_25 Depth=1
	v_add_nc_u64_e32 v[30:31], s[6:7], v[8:9]
	global_load_b32 v33, v[30:31], off
.LBB92_27:                              ;   in Loop: Header=BB92_25 Depth=1
	s_wait_xcnt 0x0
	s_or_b32 exec_lo, exec_lo, s0
	v_add_nc_u64_e32 v[30:31], s[14:15], v[12:13]
	v_mov_b32_e32 v32, 0
	s_delay_alu instid0(VALU_DEP_2)
	v_cmp_lt_u64_e64 s1, v[30:31], v[6:7]
	v_mov_b32_e32 v31, 0
	s_and_saveexec_b32 s0, s1
	s_cbranch_execz .LBB92_29
; %bb.28:                               ;   in Loop: Header=BB92_25 Depth=1
	v_add_nc_u64_e32 v[34:35], s[6:7], v[26:27]
	global_load_b32 v32, v[34:35], off
.LBB92_29:                              ;   in Loop: Header=BB92_25 Depth=1
	s_wait_xcnt 0x0
	s_or_b32 exec_lo, exec_lo, s0
	v_add_nc_u64_e32 v[34:35], s[14:15], v[16:17]
	s_delay_alu instid0(VALU_DEP_1)
	v_cmp_lt_u64_e64 s0, v[34:35], v[6:7]
	s_and_saveexec_b32 s3, s0
	s_cbranch_execz .LBB92_31
; %bb.30:                               ;   in Loop: Header=BB92_25 Depth=1
	v_add_nc_u64_e32 v[30:31], s[6:7], v[18:19]
	global_load_b32 v31, v[30:31], off
.LBB92_31:                              ;   in Loop: Header=BB92_25 Depth=1
	s_wait_xcnt 0x0
	s_or_b32 exec_lo, exec_lo, s3
	v_add_nc_u64_e32 v[34:35], s[14:15], v[14:15]
	v_mov_b32_e32 v30, 0
	s_delay_alu instid0(VALU_DEP_2)
	v_cmp_lt_u64_e32 vcc_lo, v[34:35], v[6:7]
	s_and_saveexec_b32 s3, vcc_lo
	s_cbranch_execz .LBB92_33
; %bb.32:                               ;   in Loop: Header=BB92_25 Depth=1
	v_add_nc_u64_e32 v[34:35], s[6:7], v[22:23]
	global_load_b32 v30, v[34:35], off
.LBB92_33:                              ;   in Loop: Header=BB92_25 Depth=1
	s_wait_xcnt 0x0
	s_or_b32 exec_lo, exec_lo, s3
	s_wait_loadcnt 0x0
	v_and_b32_e32 v34, 0x7fffffff, v33
                                        ; implicit-def: $vgpr37
                                        ; implicit-def: $vgpr35
	s_mov_b32 s4, exec_lo
	v_cmpx_ngt_f32_e64 0x48000000, |v33|
	s_xor_b32 s19, exec_lo, s4
	s_cbranch_execz .LBB92_35
; %bb.34:                               ;   in Loop: Header=BB92_25 Depth=1
	v_and_or_b32 v4, v34, s16, 0x800000
	v_dual_lshrrev_b32 v35, 23, v34 :: v_dual_mov_b32 v47, v5
	s_delay_alu instid0(VALU_DEP_2) | instskip(SKIP_1) | instid1(VALU_DEP_3)
	v_mul_u64_e32 v[36:37], s[8:9], v[4:5]
	v_mov_b32_e32 v39, v5
	v_add_nc_u32_e32 v35, 0xffffff88, v35
	s_delay_alu instid0(VALU_DEP_1) | instskip(NEXT) | instid1(VALU_DEP_4)
	v_cmp_lt_u32_e64 s3, 63, v35
	v_mov_b32_e32 v38, v37
	s_delay_alu instid0(VALU_DEP_2) | instskip(NEXT) | instid1(VALU_DEP_2)
	v_cndmask_b32_e64 v37, 0, 0xffffffc0, s3
	v_mad_nc_u64_u32 v[38:39], 0x3c439041, v4, v[38:39]
	s_delay_alu instid0(VALU_DEP_1) | instskip(NEXT) | instid1(VALU_DEP_1)
	v_dual_mov_b32 v41, v5 :: v_dual_mov_b32 v40, v39
	v_mad_nc_u64_u32 v[40:41], 0xdb629599, v4, v[40:41]
	s_delay_alu instid0(VALU_DEP_1) | instskip(NEXT) | instid1(VALU_DEP_2)
	v_dual_mov_b32 v43, v5 :: v_dual_mov_b32 v42, v41
	v_cndmask_b32_e64 v36, v40, v36, s3
	s_delay_alu instid0(VALU_DEP_2) | instskip(NEXT) | instid1(VALU_DEP_1)
	v_mad_nc_u64_u32 v[42:43], 0xf534ddc0, v4, v[42:43]
	v_dual_mov_b32 v45, v5 :: v_dual_mov_b32 v44, v43
	s_delay_alu instid0(VALU_DEP_1) | instskip(NEXT) | instid1(VALU_DEP_1)
	v_mad_nc_u64_u32 v[44:45], 0xfc2757d1, v4, v[44:45]
	v_dual_mov_b32 v46, v45 :: v_dual_cndmask_b32 v43, v44, v40, s3
	s_delay_alu instid0(VALU_DEP_1) | instskip(SKIP_1) | instid1(VALU_DEP_2)
	v_mad_nc_u64_u32 v[46:47], 0x4e441529, v4, v[46:47]
	v_add_nc_u32_e32 v35, v37, v35
	v_dual_mov_b32 v49, v5 :: v_dual_mov_b32 v48, v47
	s_delay_alu instid0(VALU_DEP_2) | instskip(NEXT) | instid1(VALU_DEP_2)
	v_cmp_lt_u32_e64 s4, 31, v35
	v_mad_nc_u64_u32 v[48:49], 0xa2f9836e, v4, v[48:49]
	s_delay_alu instid0(VALU_DEP_2) | instskip(NEXT) | instid1(VALU_DEP_1)
	v_cndmask_b32_e64 v37, 0, 0xffffffe0, s4
	v_dual_add_nc_u32 v4, v37, v35 :: v_dual_cndmask_b32 v37, v46, v42, s3
	s_delay_alu instid0(VALU_DEP_3) | instskip(NEXT) | instid1(VALU_DEP_2)
	v_cndmask_b32_e64 v39, v48, v44, s3
	v_cmp_lt_u32_e64 s5, 31, v4
	v_cndmask_b32_e64 v41, v49, v46, s3
	s_delay_alu instid0(VALU_DEP_2) | instskip(NEXT) | instid1(VALU_DEP_1)
	v_cndmask_b32_e64 v35, 0, 0xffffffe0, s5
	v_dual_add_nc_u32 v4, v35, v4 :: v_dual_cndmask_b32 v35, v42, v38, s3
	s_delay_alu instid0(VALU_DEP_3) | instskip(NEXT) | instid1(VALU_DEP_2)
	v_dual_cndmask_b32 v38, v39, v37, s4 :: v_dual_cndmask_b32 v39, v41, v39, s4
	v_dual_cndmask_b32 v37, v37, v43, s4 :: v_dual_sub_nc_u32 v41, 32, v4
	s_delay_alu instid0(VALU_DEP_3) | instskip(SKIP_1) | instid1(VALU_DEP_3)
	v_cndmask_b32_e64 v42, v43, v35, s4
	v_cmp_eq_u32_e64 s3, 0, v4
	v_dual_cndmask_b32 v39, v39, v38, s5 :: v_dual_cndmask_b32 v38, v38, v37, s5
	s_delay_alu instid0(VALU_DEP_1) | instskip(NEXT) | instid1(VALU_DEP_1)
	v_alignbit_b32 v43, v39, v38, v41
	v_dual_cndmask_b32 v37, v37, v42, s5 :: v_dual_cndmask_b32 v4, v43, v39, s3
	s_delay_alu instid0(VALU_DEP_1) | instskip(NEXT) | instid1(VALU_DEP_1)
	v_alignbit_b32 v40, v38, v37, v41
	v_dual_cndmask_b32 v35, v35, v36, s4 :: v_dual_cndmask_b32 v36, v40, v38, s3
	s_delay_alu instid0(VALU_DEP_3) | instskip(NEXT) | instid1(VALU_DEP_2)
	v_bfe_u32 v38, v4, 29, 1
	v_cndmask_b32_e64 v35, v42, v35, s5
	s_delay_alu instid0(VALU_DEP_3) | instskip(NEXT) | instid1(VALU_DEP_3)
	v_alignbit_b32 v39, v4, v36, 30
	v_sub_nc_u32_e32 v40, 0, v38
	s_delay_alu instid0(VALU_DEP_3) | instskip(NEXT) | instid1(VALU_DEP_1)
	v_alignbit_b32 v41, v37, v35, v41
	v_dual_cndmask_b32 v37, v41, v37, s3 :: v_dual_bitop2_b32 v39, v39, v40 bitop3:0x14
	s_delay_alu instid0(VALU_DEP_1) | instskip(NEXT) | instid1(VALU_DEP_2)
	v_clz_i32_u32_e32 v41, v39
	v_alignbit_b32 v36, v36, v37, 30
	v_alignbit_b32 v35, v37, v35, 30
	s_delay_alu instid0(VALU_DEP_3) | instskip(NEXT) | instid1(VALU_DEP_3)
	v_min_u32_e32 v41, 32, v41
	v_xor_b32_e32 v36, v36, v40
	s_delay_alu instid0(VALU_DEP_3) | instskip(SKIP_1) | instid1(VALU_DEP_4)
	v_xor_b32_e32 v35, v35, v40
	v_dual_lshrrev_b32 v40, 29, v4 :: v_dual_lshrrev_b32 v4, 30, v4
	v_dual_sub_nc_u32 v37, 31, v41 :: v_dual_lshlrev_b32 v42, 23, v41
	s_delay_alu instid0(VALU_DEP_1) | instskip(NEXT) | instid1(VALU_DEP_4)
	v_alignbit_b32 v39, v39, v36, v37
	v_alignbit_b32 v35, v36, v35, v37
	s_delay_alu instid0(VALU_DEP_4) | instskip(NEXT) | instid1(VALU_DEP_2)
	v_lshlrev_b32_e32 v36, 31, v40
	v_alignbit_b32 v37, v39, v35, 9
	s_delay_alu instid0(VALU_DEP_2) | instskip(SKIP_1) | instid1(VALU_DEP_3)
	v_dual_lshrrev_b32 v39, 9, v39 :: v_dual_bitop2_b32 v40, 0.5, v36 bitop3:0x54
	v_or_b32_e32 v36, 0x33000000, v36
	v_clz_i32_u32_e32 v43, v37
	s_delay_alu instid0(VALU_DEP_3) | instskip(NEXT) | instid1(VALU_DEP_2)
	v_sub_nc_u32_e32 v40, v40, v42
	v_min_u32_e32 v42, 32, v43
	s_delay_alu instid0(VALU_DEP_1) | instskip(NEXT) | instid1(VALU_DEP_3)
	v_add_lshl_u32 v41, v42, v41, 23
	v_or_b32_e32 v39, v39, v40
	v_not_b32_e32 v40, v42
	s_delay_alu instid0(VALU_DEP_2) | instskip(NEXT) | instid1(VALU_DEP_2)
	v_dual_mul_f32 v43, 0x3fc90fda, v39 :: v_dual_sub_nc_u32 v36, v36, v41
	v_alignbit_b32 v35, v37, v35, v40
	s_delay_alu instid0(VALU_DEP_2) | instskip(NEXT) | instid1(VALU_DEP_2)
	v_fma_f32 v37, 0x3fc90fda, v39, -v43
	v_lshrrev_b32_e32 v35, 9, v35
	s_delay_alu instid0(VALU_DEP_2) | instskip(NEXT) | instid1(VALU_DEP_2)
	v_fmac_f32_e32 v37, 0x33a22168, v39
	v_or_b32_e32 v35, v36, v35
	s_delay_alu instid0(VALU_DEP_1) | instskip(NEXT) | instid1(VALU_DEP_1)
	v_fmac_f32_e32 v37, 0x3fc90fda, v35
	v_dual_add_f32 v35, v43, v37 :: v_dual_add_nc_u32 v37, v38, v4
.LBB92_35:                              ;   in Loop: Header=BB92_25 Depth=1
	s_and_not1_saveexec_b32 s3, s19
; %bb.36:                               ;   in Loop: Header=BB92_25 Depth=1
	v_mul_f32_e64 v4, 0x3f22f983, |v33|
	s_delay_alu instid0(VALU_DEP_1) | instskip(NEXT) | instid1(VALU_DEP_1)
	v_rndne_f32_e32 v4, v4
	v_fma_f32 v35, 0xbfc90fda, v4, |v33|
	v_cvt_i32_f32_e32 v37, v4
	s_delay_alu instid0(VALU_DEP_2) | instskip(NEXT) | instid1(VALU_DEP_1)
	v_fmac_f32_e32 v35, 0xb3a22168, v4
	v_fmac_f32_e32 v35, 0xa7c234c4, v4
; %bb.37:                               ;   in Loop: Header=BB92_25 Depth=1
	s_or_b32 exec_lo, exec_lo, s3
	v_and_b32_e32 v36, 0x7fffffff, v32
                                        ; implicit-def: $vgpr40
                                        ; implicit-def: $vgpr39
	s_mov_b32 s4, exec_lo
	v_cmpx_ngt_f32_e64 0x48000000, |v32|
	s_xor_b32 s19, exec_lo, s4
	s_cbranch_execz .LBB92_39
; %bb.38:                               ;   in Loop: Header=BB92_25 Depth=1
	v_and_or_b32 v4, v36, s16, 0x800000
	v_mov_b32_e32 v49, v5
	s_delay_alu instid0(VALU_DEP_2) | instskip(NEXT) | instid1(VALU_DEP_1)
	v_mul_u64_e32 v[38:39], s[8:9], v[4:5]
	v_dual_mov_b32 v41, v5 :: v_dual_mov_b32 v40, v39
	v_lshrrev_b32_e32 v39, 23, v36
	s_delay_alu instid0(VALU_DEP_2) | instskip(SKIP_1) | instid1(VALU_DEP_3)
	v_mad_nc_u64_u32 v[40:41], 0x3c439041, v4, v[40:41]
	v_mov_b32_e32 v43, v5
	v_add_nc_u32_e32 v39, 0xffffff88, v39
	s_delay_alu instid0(VALU_DEP_1) | instskip(NEXT) | instid1(VALU_DEP_4)
	v_cmp_lt_u32_e64 s3, 63, v39
	v_mov_b32_e32 v42, v41
	s_delay_alu instid0(VALU_DEP_2) | instskip(NEXT) | instid1(VALU_DEP_2)
	v_cndmask_b32_e64 v41, 0, 0xffffffc0, s3
	v_mad_nc_u64_u32 v[42:43], 0xdb629599, v4, v[42:43]
	s_delay_alu instid0(VALU_DEP_1) | instskip(NEXT) | instid1(VALU_DEP_2)
	v_dual_mov_b32 v45, v5 :: v_dual_mov_b32 v44, v43
	v_cndmask_b32_e64 v38, v42, v38, s3
	s_delay_alu instid0(VALU_DEP_2) | instskip(NEXT) | instid1(VALU_DEP_1)
	v_mad_nc_u64_u32 v[44:45], 0xf534ddc0, v4, v[44:45]
	v_dual_mov_b32 v47, v5 :: v_dual_mov_b32 v46, v45
	s_delay_alu instid0(VALU_DEP_1) | instskip(NEXT) | instid1(VALU_DEP_1)
	v_mad_nc_u64_u32 v[46:47], 0xfc2757d1, v4, v[46:47]
	v_mov_b32_e32 v48, v47
	s_delay_alu instid0(VALU_DEP_1) | instskip(SKIP_2) | instid1(VALU_DEP_2)
	v_mad_nc_u64_u32 v[48:49], 0x4e441529, v4, v[48:49]
	v_add_nc_u32_e32 v39, v41, v39
	v_mov_b32_e32 v51, v5
	v_cmp_lt_u32_e64 s4, 31, v39
	s_delay_alu instid0(VALU_DEP_4) | instskip(NEXT) | instid1(VALU_DEP_2)
	v_mov_b32_e32 v50, v49
	v_cndmask_b32_e64 v41, 0, 0xffffffe0, s4
	s_delay_alu instid0(VALU_DEP_2) | instskip(NEXT) | instid1(VALU_DEP_2)
	v_mad_nc_u64_u32 v[50:51], 0xa2f9836e, v4, v[50:51]
	v_dual_add_nc_u32 v4, v41, v39 :: v_dual_cndmask_b32 v41, v48, v44, s3
	s_delay_alu instid0(VALU_DEP_2) | instskip(NEXT) | instid1(VALU_DEP_2)
	v_cndmask_b32_e64 v43, v50, v46, s3
	v_cmp_lt_u32_e64 s5, 31, v4
	s_delay_alu instid0(VALU_DEP_4) | instskip(NEXT) | instid1(VALU_DEP_2)
	v_dual_cndmask_b32 v45, v51, v48, s3 :: v_dual_cndmask_b32 v46, v46, v42, s3
	v_cndmask_b32_e64 v39, 0, 0xffffffe0, s5
	s_delay_alu instid0(VALU_DEP_1) | instskip(SKIP_1) | instid1(VALU_DEP_4)
	v_add_nc_u32_e32 v4, v39, v4
	v_dual_cndmask_b32 v39, v44, v40, s3 :: v_dual_cndmask_b32 v40, v43, v41, s4
	v_cndmask_b32_e64 v43, v45, v43, s4
	s_delay_alu instid0(VALU_DEP_3) | instskip(NEXT) | instid1(VALU_DEP_3)
	v_dual_cndmask_b32 v41, v41, v46, s4 :: v_dual_sub_nc_u32 v44, 32, v4
	v_cndmask_b32_e64 v45, v46, v39, s4
	v_cmp_eq_u32_e64 s3, 0, v4
	s_delay_alu instid0(VALU_DEP_3) | instskip(NEXT) | instid1(VALU_DEP_1)
	v_dual_cndmask_b32 v43, v43, v40, s5 :: v_dual_cndmask_b32 v40, v40, v41, s5
	v_alignbit_b32 v46, v43, v40, v44
	s_delay_alu instid0(VALU_DEP_1) | instskip(NEXT) | instid1(VALU_DEP_1)
	v_dual_cndmask_b32 v41, v41, v45, s5 :: v_dual_cndmask_b32 v4, v46, v43, s3
	v_alignbit_b32 v42, v40, v41, v44
	s_delay_alu instid0(VALU_DEP_1) | instskip(NEXT) | instid1(VALU_DEP_3)
	v_dual_cndmask_b32 v38, v39, v38, s4 :: v_dual_cndmask_b32 v39, v42, v40, s3
	v_bfe_u32 v40, v4, 29, 1
	s_delay_alu instid0(VALU_DEP_2) | instskip(NEXT) | instid1(VALU_DEP_3)
	v_cndmask_b32_e64 v38, v45, v38, s5
	v_alignbit_b32 v42, v4, v39, 30
	s_delay_alu instid0(VALU_DEP_3) | instskip(NEXT) | instid1(VALU_DEP_3)
	v_sub_nc_u32_e32 v43, 0, v40
	v_alignbit_b32 v44, v41, v38, v44
	s_delay_alu instid0(VALU_DEP_1) | instskip(NEXT) | instid1(VALU_DEP_1)
	v_dual_cndmask_b32 v41, v44, v41, s3 :: v_dual_bitop2_b32 v42, v42, v43 bitop3:0x14
	v_clz_i32_u32_e32 v44, v42
	s_delay_alu instid0(VALU_DEP_2) | instskip(SKIP_1) | instid1(VALU_DEP_3)
	v_alignbit_b32 v39, v39, v41, 30
	v_alignbit_b32 v38, v41, v38, 30
	v_min_u32_e32 v44, 32, v44
	s_delay_alu instid0(VALU_DEP_3) | instskip(NEXT) | instid1(VALU_DEP_3)
	v_xor_b32_e32 v39, v39, v43
	v_dual_lshrrev_b32 v43, 29, v4 :: v_dual_bitop2_b32 v38, v38, v43 bitop3:0x14
	v_lshrrev_b32_e32 v4, 30, v4
	s_delay_alu instid0(VALU_DEP_4) | instskip(NEXT) | instid1(VALU_DEP_2)
	v_dual_sub_nc_u32 v41, 31, v44 :: v_dual_lshlrev_b32 v45, 23, v44
	v_add_nc_u32_e32 v40, v40, v4
	s_delay_alu instid0(VALU_DEP_2) | instskip(SKIP_2) | instid1(VALU_DEP_2)
	v_alignbit_b32 v42, v42, v39, v41
	v_alignbit_b32 v38, v39, v38, v41
	v_lshlrev_b32_e32 v39, 31, v43
	v_alignbit_b32 v41, v42, v38, 9
	s_delay_alu instid0(VALU_DEP_2) | instskip(SKIP_1) | instid1(VALU_DEP_3)
	v_dual_lshrrev_b32 v42, 9, v42 :: v_dual_bitop2_b32 v43, 0.5, v39 bitop3:0x54
	v_or_b32_e32 v39, 0x33000000, v39
	v_clz_i32_u32_e32 v46, v41
	s_delay_alu instid0(VALU_DEP_3) | instskip(NEXT) | instid1(VALU_DEP_2)
	v_sub_nc_u32_e32 v43, v43, v45
	v_min_u32_e32 v45, 32, v46
	s_delay_alu instid0(VALU_DEP_1) | instskip(NEXT) | instid1(VALU_DEP_3)
	v_add_lshl_u32 v44, v45, v44, 23
	v_or_b32_e32 v42, v42, v43
	v_not_b32_e32 v43, v45
	s_delay_alu instid0(VALU_DEP_2) | instskip(NEXT) | instid1(VALU_DEP_2)
	v_dual_mul_f32 v46, 0x3fc90fda, v42 :: v_dual_sub_nc_u32 v39, v39, v44
	v_alignbit_b32 v38, v41, v38, v43
	s_delay_alu instid0(VALU_DEP_2) | instskip(NEXT) | instid1(VALU_DEP_2)
	v_fma_f32 v41, 0x3fc90fda, v42, -v46
	v_lshrrev_b32_e32 v38, 9, v38
	s_delay_alu instid0(VALU_DEP_2) | instskip(NEXT) | instid1(VALU_DEP_2)
	v_fmac_f32_e32 v41, 0x33a22168, v42
	v_or_b32_e32 v38, v39, v38
	s_delay_alu instid0(VALU_DEP_1) | instskip(NEXT) | instid1(VALU_DEP_1)
	v_fmac_f32_e32 v41, 0x3fc90fda, v38
	v_add_f32_e32 v39, v46, v41
.LBB92_39:                              ;   in Loop: Header=BB92_25 Depth=1
	s_and_not1_saveexec_b32 s3, s19
; %bb.40:                               ;   in Loop: Header=BB92_25 Depth=1
	v_mul_f32_e64 v4, 0x3f22f983, |v32|
	s_delay_alu instid0(VALU_DEP_1) | instskip(NEXT) | instid1(VALU_DEP_1)
	v_rndne_f32_e32 v4, v4
	v_fma_f32 v39, 0xbfc90fda, v4, |v32|
	v_cvt_i32_f32_e32 v40, v4
	s_delay_alu instid0(VALU_DEP_2) | instskip(NEXT) | instid1(VALU_DEP_1)
	v_fmac_f32_e32 v39, 0xb3a22168, v4
	v_fmac_f32_e32 v39, 0xa7c234c4, v4
; %bb.41:                               ;   in Loop: Header=BB92_25 Depth=1
	s_or_b32 exec_lo, exec_lo, s3
	v_and_b32_e32 v38, 0x7fffffff, v31
                                        ; implicit-def: $vgpr43
                                        ; implicit-def: $vgpr42
	s_mov_b32 s4, exec_lo
	v_cmpx_ngt_f32_e64 0x48000000, |v31|
	s_xor_b32 s19, exec_lo, s4
	s_cbranch_execz .LBB92_43
; %bb.42:                               ;   in Loop: Header=BB92_25 Depth=1
	v_and_or_b32 v4, v38, s16, 0x800000
	v_dual_lshrrev_b32 v41, 23, v38 :: v_dual_mov_b32 v53, v5
	v_mov_b32_e32 v55, v5
	s_delay_alu instid0(VALU_DEP_3) | instskip(SKIP_1) | instid1(VALU_DEP_4)
	v_mul_u64_e32 v[42:43], s[8:9], v[4:5]
	v_mov_b32_e32 v45, v5
	v_add_nc_u32_e32 v41, 0xffffff88, v41
	s_delay_alu instid0(VALU_DEP_1) | instskip(NEXT) | instid1(VALU_DEP_4)
	v_cmp_lt_u32_e64 s3, 63, v41
	v_mov_b32_e32 v44, v43
	s_delay_alu instid0(VALU_DEP_2) | instskip(NEXT) | instid1(VALU_DEP_2)
	v_cndmask_b32_e64 v43, 0, 0xffffffc0, s3
	v_mad_nc_u64_u32 v[44:45], 0x3c439041, v4, v[44:45]
	s_delay_alu instid0(VALU_DEP_2) | instskip(NEXT) | instid1(VALU_DEP_1)
	v_dual_mov_b32 v47, v5 :: v_dual_add_nc_u32 v41, v43, v41
	v_cmp_lt_u32_e64 s4, 31, v41
	s_delay_alu instid0(VALU_DEP_3) | instskip(NEXT) | instid1(VALU_DEP_2)
	v_mov_b32_e32 v46, v45
	v_cndmask_b32_e64 v43, 0, 0xffffffe0, s4
	s_delay_alu instid0(VALU_DEP_2) | instskip(NEXT) | instid1(VALU_DEP_1)
	v_mad_nc_u64_u32 v[46:47], 0xdb629599, v4, v[46:47]
	v_dual_mov_b32 v49, v5 :: v_dual_mov_b32 v48, v47
	s_delay_alu instid0(VALU_DEP_2) | instskip(NEXT) | instid1(VALU_DEP_2)
	v_cndmask_b32_e64 v42, v46, v42, s3
	v_mad_nc_u64_u32 v[48:49], 0xf534ddc0, v4, v[48:49]
	s_delay_alu instid0(VALU_DEP_1) | instskip(NEXT) | instid1(VALU_DEP_1)
	v_dual_mov_b32 v51, v5 :: v_dual_mov_b32 v50, v49
	v_mad_nc_u64_u32 v[50:51], 0xfc2757d1, v4, v[50:51]
	s_delay_alu instid0(VALU_DEP_1) | instskip(NEXT) | instid1(VALU_DEP_1)
	v_dual_mov_b32 v52, v51 :: v_dual_cndmask_b32 v49, v50, v46, s3
	v_mad_nc_u64_u32 v[52:53], 0x4e441529, v4, v[52:53]
	s_delay_alu instid0(VALU_DEP_1) | instskip(NEXT) | instid1(VALU_DEP_1)
	v_mov_b32_e32 v54, v53
	v_mad_nc_u64_u32 v[54:55], 0xa2f9836e, v4, v[54:55]
	s_delay_alu instid0(VALU_DEP_3) | instskip(NEXT) | instid1(VALU_DEP_1)
	v_dual_add_nc_u32 v4, v43, v41 :: v_dual_cndmask_b32 v43, v52, v48, s3
	v_cmp_lt_u32_e64 s5, 31, v4
	s_delay_alu instid0(VALU_DEP_1) | instskip(NEXT) | instid1(VALU_DEP_4)
	v_cndmask_b32_e64 v41, 0, 0xffffffe0, s5
	v_dual_cndmask_b32 v45, v54, v50, s3 :: v_dual_cndmask_b32 v47, v55, v52, s3
	s_delay_alu instid0(VALU_DEP_2) | instskip(NEXT) | instid1(VALU_DEP_2)
	v_add_nc_u32_e32 v4, v41, v4
	v_dual_cndmask_b32 v41, v48, v44, s3 :: v_dual_cndmask_b32 v44, v45, v43, s4
	s_delay_alu instid0(VALU_DEP_3) | instskip(NEXT) | instid1(VALU_DEP_3)
	v_cndmask_b32_e64 v45, v47, v45, s4
	v_dual_cndmask_b32 v43, v43, v49, s4 :: v_dual_sub_nc_u32 v47, 32, v4
	s_delay_alu instid0(VALU_DEP_3) | instskip(SKIP_1) | instid1(VALU_DEP_3)
	v_cndmask_b32_e64 v48, v49, v41, s4
	v_cmp_eq_u32_e64 s3, 0, v4
	v_dual_cndmask_b32 v45, v45, v44, s5 :: v_dual_cndmask_b32 v44, v44, v43, s5
	s_delay_alu instid0(VALU_DEP_1) | instskip(NEXT) | instid1(VALU_DEP_1)
	v_alignbit_b32 v49, v45, v44, v47
	v_dual_cndmask_b32 v43, v43, v48, s5 :: v_dual_cndmask_b32 v4, v49, v45, s3
	s_delay_alu instid0(VALU_DEP_1) | instskip(NEXT) | instid1(VALU_DEP_1)
	v_alignbit_b32 v46, v44, v43, v47
	v_dual_cndmask_b32 v41, v41, v42, s4 :: v_dual_cndmask_b32 v42, v46, v44, s3
	s_delay_alu instid0(VALU_DEP_3) | instskip(NEXT) | instid1(VALU_DEP_2)
	v_bfe_u32 v44, v4, 29, 1
	v_cndmask_b32_e64 v41, v48, v41, s5
	s_delay_alu instid0(VALU_DEP_3) | instskip(NEXT) | instid1(VALU_DEP_3)
	v_alignbit_b32 v45, v4, v42, 30
	v_sub_nc_u32_e32 v46, 0, v44
	s_delay_alu instid0(VALU_DEP_3) | instskip(NEXT) | instid1(VALU_DEP_1)
	v_alignbit_b32 v47, v43, v41, v47
	v_dual_cndmask_b32 v43, v47, v43, s3 :: v_dual_bitop2_b32 v45, v45, v46 bitop3:0x14
	s_delay_alu instid0(VALU_DEP_1) | instskip(NEXT) | instid1(VALU_DEP_2)
	v_clz_i32_u32_e32 v47, v45
	v_alignbit_b32 v42, v42, v43, 30
	v_alignbit_b32 v41, v43, v41, 30
	s_delay_alu instid0(VALU_DEP_3) | instskip(NEXT) | instid1(VALU_DEP_3)
	v_min_u32_e32 v47, 32, v47
	v_xor_b32_e32 v42, v42, v46
	s_delay_alu instid0(VALU_DEP_3) | instskip(NEXT) | instid1(VALU_DEP_3)
	v_dual_lshrrev_b32 v46, 29, v4 :: v_dual_bitop2_b32 v41, v41, v46 bitop3:0x14
	v_dual_lshrrev_b32 v4, 30, v4 :: v_dual_sub_nc_u32 v43, 31, v47
	v_lshlrev_b32_e32 v48, 23, v47
	s_delay_alu instid0(VALU_DEP_2) | instskip(NEXT) | instid1(VALU_DEP_4)
	v_alignbit_b32 v45, v45, v42, v43
	v_alignbit_b32 v41, v42, v41, v43
	v_lshlrev_b32_e32 v42, 31, v46
	s_delay_alu instid0(VALU_DEP_2) | instskip(NEXT) | instid1(VALU_DEP_2)
	v_alignbit_b32 v43, v45, v41, 9
	v_dual_lshrrev_b32 v45, 9, v45 :: v_dual_bitop2_b32 v46, 0.5, v42 bitop3:0x54
	v_or_b32_e32 v42, 0x33000000, v42
	s_delay_alu instid0(VALU_DEP_3) | instskip(NEXT) | instid1(VALU_DEP_3)
	v_clz_i32_u32_e32 v49, v43
	v_sub_nc_u32_e32 v46, v46, v48
	s_delay_alu instid0(VALU_DEP_2) | instskip(NEXT) | instid1(VALU_DEP_1)
	v_min_u32_e32 v48, 32, v49
	v_add_lshl_u32 v47, v48, v47, 23
	s_delay_alu instid0(VALU_DEP_3) | instskip(SKIP_1) | instid1(VALU_DEP_2)
	v_or_b32_e32 v45, v45, v46
	v_not_b32_e32 v46, v48
	v_dual_mul_f32 v49, 0x3fc90fda, v45 :: v_dual_sub_nc_u32 v42, v42, v47
	s_delay_alu instid0(VALU_DEP_2) | instskip(NEXT) | instid1(VALU_DEP_2)
	v_alignbit_b32 v41, v43, v41, v46
	v_fma_f32 v43, 0x3fc90fda, v45, -v49
	s_delay_alu instid0(VALU_DEP_2) | instskip(NEXT) | instid1(VALU_DEP_2)
	v_lshrrev_b32_e32 v41, 9, v41
	v_fmac_f32_e32 v43, 0x33a22168, v45
	s_delay_alu instid0(VALU_DEP_2) | instskip(NEXT) | instid1(VALU_DEP_1)
	v_or_b32_e32 v41, v42, v41
	v_fmac_f32_e32 v43, 0x3fc90fda, v41
	s_delay_alu instid0(VALU_DEP_1)
	v_dual_add_f32 v42, v49, v43 :: v_dual_add_nc_u32 v43, v44, v4
.LBB92_43:                              ;   in Loop: Header=BB92_25 Depth=1
	s_and_not1_saveexec_b32 s3, s19
; %bb.44:                               ;   in Loop: Header=BB92_25 Depth=1
	v_mul_f32_e64 v4, 0x3f22f983, |v31|
	s_delay_alu instid0(VALU_DEP_1) | instskip(NEXT) | instid1(VALU_DEP_1)
	v_rndne_f32_e32 v4, v4
	v_fma_f32 v42, 0xbfc90fda, v4, |v31|
	v_cvt_i32_f32_e32 v43, v4
	s_delay_alu instid0(VALU_DEP_2) | instskip(NEXT) | instid1(VALU_DEP_1)
	v_fmac_f32_e32 v42, 0xb3a22168, v4
	v_fmac_f32_e32 v42, 0xa7c234c4, v4
; %bb.45:                               ;   in Loop: Header=BB92_25 Depth=1
	s_or_b32 exec_lo, exec_lo, s3
	v_and_b32_e32 v41, 0x7fffffff, v30
                                        ; implicit-def: $vgpr44
                                        ; implicit-def: $vgpr4
	s_mov_b32 s4, exec_lo
	v_cmpx_ngt_f32_e64 0x48000000, |v30|
	s_xor_b32 s19, exec_lo, s4
	s_cbranch_execnz .LBB92_51
; %bb.46:                               ;   in Loop: Header=BB92_25 Depth=1
	s_and_not1_saveexec_b32 s3, s19
	s_cbranch_execnz .LBB92_52
.LBB92_47:                              ;   in Loop: Header=BB92_25 Depth=1
	s_or_b32 exec_lo, exec_lo, s3
	s_and_saveexec_b32 s3, s2
	s_delay_alu instid0(SALU_CYCLE_1)
	s_xor_b32 s3, exec_lo, s3
	s_cbranch_execnz .LBB92_53
.LBB92_48:                              ;   in Loop: Header=BB92_25 Depth=1
	s_or_b32 exec_lo, exec_lo, s3
	s_and_saveexec_b32 s2, s1
	s_cbranch_execnz .LBB92_54
.LBB92_49:                              ;   in Loop: Header=BB92_25 Depth=1
	s_or_b32 exec_lo, exec_lo, s2
	s_and_saveexec_b32 s1, s0
	s_cbranch_execnz .LBB92_55
.LBB92_50:                              ;   in Loop: Header=BB92_25 Depth=1
	s_or_b32 exec_lo, exec_lo, s1
	s_and_saveexec_b32 s0, vcc_lo
	s_cbranch_execz .LBB92_24
	s_branch .LBB92_56
.LBB92_51:                              ;   in Loop: Header=BB92_25 Depth=1
	v_and_or_b32 v4, v41, s16, 0x800000
	v_dual_mov_b32 v55, v5 :: v_dual_mov_b32 v57, v5
	s_delay_alu instid0(VALU_DEP_2) | instskip(NEXT) | instid1(VALU_DEP_1)
	v_mul_u64_e32 v[44:45], s[8:9], v[4:5]
	v_dual_mov_b32 v47, v5 :: v_dual_mov_b32 v46, v45
	v_lshrrev_b32_e32 v45, 23, v41
	s_delay_alu instid0(VALU_DEP_2) | instskip(SKIP_1) | instid1(VALU_DEP_3)
	v_mad_nc_u64_u32 v[46:47], 0x3c439041, v4, v[46:47]
	v_mov_b32_e32 v49, v5
	v_add_nc_u32_e32 v45, 0xffffff88, v45
	s_delay_alu instid0(VALU_DEP_1) | instskip(NEXT) | instid1(VALU_DEP_4)
	v_cmp_lt_u32_e64 s3, 63, v45
	v_mov_b32_e32 v48, v47
	s_delay_alu instid0(VALU_DEP_2) | instskip(NEXT) | instid1(VALU_DEP_2)
	v_cndmask_b32_e64 v47, 0, 0xffffffc0, s3
	v_mad_nc_u64_u32 v[48:49], 0xdb629599, v4, v[48:49]
	s_delay_alu instid0(VALU_DEP_2) | instskip(NEXT) | instid1(VALU_DEP_1)
	v_dual_mov_b32 v51, v5 :: v_dual_add_nc_u32 v45, v47, v45
	v_cmp_lt_u32_e64 s4, 31, v45
	s_delay_alu instid0(VALU_DEP_3) | instskip(NEXT) | instid1(VALU_DEP_2)
	v_mov_b32_e32 v50, v49
	v_cndmask_b32_e64 v47, 0, 0xffffffe0, s4
	v_cndmask_b32_e64 v44, v48, v44, s3
	s_delay_alu instid0(VALU_DEP_3) | instskip(NEXT) | instid1(VALU_DEP_1)
	v_mad_nc_u64_u32 v[50:51], 0xf534ddc0, v4, v[50:51]
	v_dual_mov_b32 v53, v5 :: v_dual_mov_b32 v52, v51
	s_delay_alu instid0(VALU_DEP_1) | instskip(NEXT) | instid1(VALU_DEP_1)
	v_mad_nc_u64_u32 v[52:53], 0xfc2757d1, v4, v[52:53]
	v_mov_b32_e32 v54, v53
	s_delay_alu instid0(VALU_DEP_1) | instskip(NEXT) | instid1(VALU_DEP_1)
	v_mad_nc_u64_u32 v[54:55], 0x4e441529, v4, v[54:55]
	v_mov_b32_e32 v56, v55
	s_delay_alu instid0(VALU_DEP_1) | instskip(NEXT) | instid1(VALU_DEP_3)
	v_mad_nc_u64_u32 v[56:57], 0xa2f9836e, v4, v[56:57]
	v_dual_add_nc_u32 v4, v47, v45 :: v_dual_cndmask_b32 v47, v54, v50, s3
	s_delay_alu instid0(VALU_DEP_2) | instskip(NEXT) | instid1(VALU_DEP_2)
	v_cndmask_b32_e64 v49, v56, v52, s3
	v_cmp_lt_u32_e64 s5, 31, v4
	s_delay_alu instid0(VALU_DEP_4) | instskip(NEXT) | instid1(VALU_DEP_2)
	v_dual_cndmask_b32 v51, v57, v54, s3 :: v_dual_cndmask_b32 v52, v52, v48, s3
	v_cndmask_b32_e64 v45, 0, 0xffffffe0, s5
	s_delay_alu instid0(VALU_DEP_1) | instskip(NEXT) | instid1(VALU_DEP_3)
	v_dual_add_nc_u32 v4, v45, v4 :: v_dual_cndmask_b32 v45, v50, v46, s3
	v_dual_cndmask_b32 v46, v49, v47, s4 :: v_dual_cndmask_b32 v49, v51, v49, s4
	s_delay_alu instid0(VALU_DEP_4) | instskip(NEXT) | instid1(VALU_DEP_3)
	v_cndmask_b32_e64 v47, v47, v52, s4
	v_dual_sub_nc_u32 v50, 32, v4 :: v_dual_cndmask_b32 v51, v52, v45, s4
	v_cmp_eq_u32_e64 s3, 0, v4
	s_delay_alu instid0(VALU_DEP_3) | instskip(NEXT) | instid1(VALU_DEP_1)
	v_dual_cndmask_b32 v49, v49, v46, s5 :: v_dual_cndmask_b32 v46, v46, v47, s5
	v_alignbit_b32 v52, v49, v46, v50
	s_delay_alu instid0(VALU_DEP_1) | instskip(NEXT) | instid1(VALU_DEP_1)
	v_dual_cndmask_b32 v47, v47, v51, s5 :: v_dual_cndmask_b32 v4, v52, v49, s3
	v_alignbit_b32 v48, v46, v47, v50
	s_delay_alu instid0(VALU_DEP_1) | instskip(NEXT) | instid1(VALU_DEP_3)
	v_dual_cndmask_b32 v44, v45, v44, s4 :: v_dual_cndmask_b32 v45, v48, v46, s3
	v_bfe_u32 v46, v4, 29, 1
	s_delay_alu instid0(VALU_DEP_2) | instskip(NEXT) | instid1(VALU_DEP_3)
	v_cndmask_b32_e64 v44, v51, v44, s5
	v_alignbit_b32 v48, v4, v45, 30
	s_delay_alu instid0(VALU_DEP_3) | instskip(NEXT) | instid1(VALU_DEP_3)
	v_sub_nc_u32_e32 v49, 0, v46
	v_alignbit_b32 v50, v47, v44, v50
	s_delay_alu instid0(VALU_DEP_1) | instskip(NEXT) | instid1(VALU_DEP_1)
	v_dual_cndmask_b32 v47, v50, v47, s3 :: v_dual_bitop2_b32 v48, v48, v49 bitop3:0x14
	v_clz_i32_u32_e32 v50, v48
	s_delay_alu instid0(VALU_DEP_2) | instskip(SKIP_1) | instid1(VALU_DEP_3)
	v_alignbit_b32 v45, v45, v47, 30
	v_alignbit_b32 v44, v47, v44, 30
	v_min_u32_e32 v50, 32, v50
	s_delay_alu instid0(VALU_DEP_3) | instskip(NEXT) | instid1(VALU_DEP_3)
	v_xor_b32_e32 v45, v45, v49
	v_dual_lshrrev_b32 v49, 29, v4 :: v_dual_bitop2_b32 v44, v44, v49 bitop3:0x14
	s_delay_alu instid0(VALU_DEP_3) | instskip(NEXT) | instid1(VALU_DEP_1)
	v_dual_sub_nc_u32 v47, 31, v50 :: v_dual_lshlrev_b32 v51, 23, v50
	v_alignbit_b32 v48, v48, v45, v47
	s_delay_alu instid0(VALU_DEP_3) | instskip(NEXT) | instid1(VALU_DEP_4)
	v_alignbit_b32 v44, v45, v44, v47
	v_lshlrev_b32_e32 v45, 31, v49
	s_delay_alu instid0(VALU_DEP_2) | instskip(NEXT) | instid1(VALU_DEP_2)
	v_alignbit_b32 v47, v48, v44, 9
	v_dual_lshrrev_b32 v48, 9, v48 :: v_dual_bitop2_b32 v49, 0.5, v45 bitop3:0x54
	v_or_b32_e32 v45, 0x33000000, v45
	s_delay_alu instid0(VALU_DEP_3) | instskip(NEXT) | instid1(VALU_DEP_3)
	v_clz_i32_u32_e32 v52, v47
	v_sub_nc_u32_e32 v49, v49, v51
	s_delay_alu instid0(VALU_DEP_2) | instskip(NEXT) | instid1(VALU_DEP_1)
	v_min_u32_e32 v51, 32, v52
	v_add_lshl_u32 v50, v51, v50, 23
	s_delay_alu instid0(VALU_DEP_3) | instskip(SKIP_1) | instid1(VALU_DEP_2)
	v_or_b32_e32 v48, v48, v49
	v_not_b32_e32 v49, v51
	v_dual_mul_f32 v52, 0x3fc90fda, v48 :: v_dual_sub_nc_u32 v45, v45, v50
	s_delay_alu instid0(VALU_DEP_2) | instskip(NEXT) | instid1(VALU_DEP_2)
	v_alignbit_b32 v44, v47, v44, v49
	v_fma_f32 v47, 0x3fc90fda, v48, -v52
	s_delay_alu instid0(VALU_DEP_2) | instskip(NEXT) | instid1(VALU_DEP_2)
	v_lshrrev_b32_e32 v44, 9, v44
	v_fmac_f32_e32 v47, 0x33a22168, v48
	s_delay_alu instid0(VALU_DEP_2) | instskip(NEXT) | instid1(VALU_DEP_1)
	v_or_b32_e32 v44, v45, v44
	v_fmac_f32_e32 v47, 0x3fc90fda, v44
	v_lshrrev_b32_e32 v44, 30, v4
	s_delay_alu instid0(VALU_DEP_1)
	v_dual_add_nc_u32 v44, v46, v44 :: v_dual_add_f32 v4, v52, v47
	s_and_not1_saveexec_b32 s3, s19
	s_cbranch_execz .LBB92_47
.LBB92_52:                              ;   in Loop: Header=BB92_25 Depth=1
	v_mul_f32_e64 v4, 0x3f22f983, |v30|
	s_delay_alu instid0(VALU_DEP_1) | instskip(NEXT) | instid1(VALU_DEP_1)
	v_rndne_f32_e32 v44, v4
	v_fma_f32 v4, 0xbfc90fda, v44, |v30|
	s_delay_alu instid0(VALU_DEP_1) | instskip(NEXT) | instid1(VALU_DEP_1)
	v_fmac_f32_e32 v4, 0xb3a22168, v44
	v_fmac_f32_e32 v4, 0xa7c234c4, v44
	v_cvt_i32_f32_e32 v44, v44
	s_or_b32 exec_lo, exec_lo, s3
	s_and_saveexec_b32 s3, s2
	s_delay_alu instid0(SALU_CYCLE_1)
	s_xor_b32 s3, exec_lo, s3
	s_cbranch_execz .LBB92_48
.LBB92_53:                              ;   in Loop: Header=BB92_25 Depth=1
	v_dual_mul_f32 v45, v35, v35 :: v_dual_bitop2_b32 v37, 1, v37 bitop3:0x40
	s_delay_alu instid0(VALU_DEP_1) | instskip(SKIP_1) | instid1(VALU_DEP_3)
	v_fmaak_f32 v46, s18, v45, 0xbf039337
	v_fmaak_f32 v47, s17, v45, 0x3ec54587
	v_cmp_eq_u32_e64 s2, 0, v37
	s_delay_alu instid0(VALU_DEP_3) | instskip(NEXT) | instid1(VALU_DEP_1)
	v_fmaak_f32 v46, v45, v46, 0x3f93f425
	v_rcp_f32_e32 v46, v46
	v_nop
	s_delay_alu instid0(TRANS32_DEP_1) | instskip(NEXT) | instid1(VALU_DEP_1)
	v_mul_f32_e32 v46, v47, v46
	v_mul_f32_e32 v45, v45, v46
	s_delay_alu instid0(VALU_DEP_1) | instskip(NEXT) | instid1(VALU_DEP_1)
	v_fma_f32 v46, v45, v35, v35
	v_rcp_f32_e32 v47, v46
	v_sub_f32_e32 v48, v46, v35
	s_delay_alu instid0(VALU_DEP_1) | instskip(NEXT) | instid1(TRANS32_DEP_1)
	v_fma_f32 v35, v45, v35, -v48
	v_fma_f32 v45, v46, -v47, 1.0
	s_delay_alu instid0(VALU_DEP_1) | instskip(NEXT) | instid1(VALU_DEP_1)
	v_fma_f32 v35, v35, -v47, v45
	v_fma_f32 v35, v35, -v47, -v47
	s_delay_alu instid0(VALU_DEP_1) | instskip(SKIP_1) | instid1(VALU_DEP_2)
	v_cndmask_b32_e64 v35, v35, v46, s2
	v_cmp_class_f32_e64 s2, v33, 0x1f8
	v_xor3_b32 v37, v34, v33, v35
	v_add_nc_u64_e32 v[34:35], s[6:7], v[10:11]
	s_delay_alu instid0(VALU_DEP_2)
	v_cndmask_b32_e64 v33, 0x7fc00000, v37, s2
	global_store_b32 v[34:35], v33, off
	s_wait_xcnt 0x0
	s_or_b32 exec_lo, exec_lo, s3
	s_and_saveexec_b32 s2, s1
	s_cbranch_execz .LBB92_49
.LBB92_54:                              ;   in Loop: Header=BB92_25 Depth=1
	v_mul_f32_e32 v33, v39, v39
	s_delay_alu instid0(VALU_DEP_1) | instskip(SKIP_1) | instid1(VALU_DEP_2)
	v_fmaak_f32 v34, s18, v33, 0xbf039337
	v_fmaak_f32 v35, s17, v33, 0x3ec54587
	;; [unrolled: 1-line block ×3, first 2 shown]
	s_delay_alu instid0(VALU_DEP_1) | instskip(SKIP_1) | instid1(TRANS32_DEP_1)
	v_rcp_f32_e32 v34, v34
	v_nop
	v_mul_f32_e32 v34, v35, v34
	s_delay_alu instid0(VALU_DEP_1) | instskip(NEXT) | instid1(VALU_DEP_1)
	v_mul_f32_e32 v33, v33, v34
	v_fma_f32 v34, v33, v39, v39
	s_delay_alu instid0(VALU_DEP_1) | instskip(SKIP_1) | instid1(VALU_DEP_1)
	v_rcp_f32_e32 v35, v34
	v_sub_f32_e32 v37, v34, v39
	v_fma_f32 v33, v33, v39, -v37
	s_delay_alu instid0(TRANS32_DEP_1) | instskip(NEXT) | instid1(VALU_DEP_1)
	v_fma_f32 v37, v34, -v35, 1.0
	v_dual_fma_f32 v33, v33, -v35, v37 :: v_dual_bitop2_b32 v37, 1, v40 bitop3:0x40
	s_delay_alu instid0(VALU_DEP_1) | instskip(NEXT) | instid1(VALU_DEP_2)
	v_fma_f32 v33, v33, -v35, -v35
	v_cmp_eq_u32_e64 s1, 0, v37
	s_delay_alu instid0(VALU_DEP_1) | instskip(SKIP_2) | instid1(VALU_DEP_3)
	v_cndmask_b32_e64 v33, v33, v34, s1
	v_cmp_class_f32_e64 s1, v32, 0x1f8
	v_add_nc_u64_e32 v[34:35], s[6:7], v[28:29]
	v_xor3_b32 v33, v36, v32, v33
	s_delay_alu instid0(VALU_DEP_1)
	v_cndmask_b32_e64 v32, 0x7fc00000, v33, s1
	global_store_b32 v[34:35], v32, off
	s_wait_xcnt 0x0
	s_or_b32 exec_lo, exec_lo, s2
	s_and_saveexec_b32 s1, s0
	s_cbranch_execz .LBB92_50
.LBB92_55:                              ;   in Loop: Header=BB92_25 Depth=1
	v_mul_f32_e32 v32, v42, v42
	s_delay_alu instid0(VALU_DEP_1) | instskip(SKIP_1) | instid1(VALU_DEP_2)
	v_fmaak_f32 v33, s18, v32, 0xbf039337
	v_fmaak_f32 v34, s17, v32, 0x3ec54587
	;; [unrolled: 1-line block ×3, first 2 shown]
	s_delay_alu instid0(VALU_DEP_1) | instskip(SKIP_1) | instid1(TRANS32_DEP_1)
	v_rcp_f32_e32 v33, v33
	v_nop
	v_mul_f32_e32 v33, v34, v33
	s_delay_alu instid0(VALU_DEP_1) | instskip(NEXT) | instid1(VALU_DEP_1)
	v_mul_f32_e32 v32, v32, v33
	v_fma_f32 v33, v32, v42, v42
	s_delay_alu instid0(VALU_DEP_1) | instskip(SKIP_1) | instid1(VALU_DEP_1)
	v_rcp_f32_e32 v34, v33
	v_sub_f32_e32 v35, v33, v42
	v_fma_f32 v32, v32, v42, -v35
	s_delay_alu instid0(TRANS32_DEP_1) | instskip(NEXT) | instid1(VALU_DEP_1)
	v_fma_f32 v35, v33, -v34, 1.0
	v_dual_fma_f32 v32, v32, -v34, v35 :: v_dual_bitop2_b32 v35, 1, v43 bitop3:0x40
	s_delay_alu instid0(VALU_DEP_1) | instskip(NEXT) | instid1(VALU_DEP_2)
	v_fma_f32 v32, v32, -v34, -v34
	v_cmp_eq_u32_e64 s0, 0, v35
	s_delay_alu instid0(VALU_DEP_1) | instskip(SKIP_1) | instid1(VALU_DEP_2)
	v_cndmask_b32_e64 v32, v32, v33, s0
	v_cmp_class_f32_e64 s0, v31, 0x1f8
	v_xor3_b32 v34, v38, v31, v32
	v_add_nc_u64_e32 v[32:33], s[6:7], v[20:21]
	s_delay_alu instid0(VALU_DEP_2)
	v_cndmask_b32_e64 v31, 0x7fc00000, v34, s0
	global_store_b32 v[32:33], v31, off
	s_wait_xcnt 0x0
	s_or_b32 exec_lo, exec_lo, s1
	s_and_saveexec_b32 s0, vcc_lo
	s_cbranch_execz .LBB92_24
.LBB92_56:                              ;   in Loop: Header=BB92_25 Depth=1
	v_mul_f32_e32 v31, v4, v4
	s_delay_alu instid0(VALU_DEP_1) | instskip(SKIP_1) | instid1(VALU_DEP_2)
	v_fmaak_f32 v32, s18, v31, 0xbf039337
	v_fmaak_f32 v33, s17, v31, 0x3ec54587
	;; [unrolled: 1-line block ×3, first 2 shown]
	s_delay_alu instid0(VALU_DEP_1) | instskip(SKIP_1) | instid1(TRANS32_DEP_1)
	v_rcp_f32_e32 v32, v32
	v_nop
	v_mul_f32_e32 v32, v33, v32
	s_delay_alu instid0(VALU_DEP_1) | instskip(NEXT) | instid1(VALU_DEP_1)
	v_mul_f32_e32 v31, v31, v32
	v_fma_f32 v32, v31, v4, v4
	s_delay_alu instid0(VALU_DEP_1) | instskip(NEXT) | instid1(VALU_DEP_1)
	v_sub_f32_e32 v34, v32, v4
	v_fma_f32 v4, v31, v4, -v34
	v_rcp_f32_e32 v33, v32
	v_nop
	s_delay_alu instid0(TRANS32_DEP_1) | instskip(NEXT) | instid1(VALU_DEP_1)
	v_fma_f32 v31, v32, -v33, 1.0
	v_dual_fma_f32 v4, v4, -v33, v31 :: v_dual_bitop2_b32 v31, 1, v44 bitop3:0x40
	s_delay_alu instid0(VALU_DEP_1) | instskip(NEXT) | instid1(VALU_DEP_2)
	v_fma_f32 v4, v4, -v33, -v33
	v_cmp_eq_u32_e32 vcc_lo, 0, v31
	s_delay_alu instid0(VALU_DEP_2) | instskip(SKIP_2) | instid1(VALU_DEP_3)
	v_cndmask_b32_e32 v4, v4, v32, vcc_lo
	v_cmp_class_f32_e64 vcc_lo, v30, 0x1f8
	v_add_nc_u64_e32 v[32:33], s[6:7], v[24:25]
	v_xor3_b32 v4, v41, v30, v4
	s_delay_alu instid0(VALU_DEP_1)
	v_cndmask_b32_e32 v4, 0x7fc00000, v4, vcc_lo
	global_store_b32 v[32:33], v4, off
	s_branch .LBB92_24
.LBB92_57:
	s_endpgm
	.section	.rodata,"a",@progbits
	.p2align	6, 0x0
	.amdhsa_kernel _ZN2at6native12_GLOBAL__N_125multi_tensor_apply_kernelINS1_18TensorListMetadataILi2EEENS1_14UnaryOpFunctorIfLi2ELi1ELi1EEEJNS0_3TanIfEEEEEvT_T0_DpT1_
		.amdhsa_group_segment_fixed_size 0
		.amdhsa_private_segment_fixed_size 0
		.amdhsa_kernarg_size 3408
		.amdhsa_user_sgpr_count 2
		.amdhsa_user_sgpr_dispatch_ptr 0
		.amdhsa_user_sgpr_queue_ptr 0
		.amdhsa_user_sgpr_kernarg_segment_ptr 1
		.amdhsa_user_sgpr_dispatch_id 0
		.amdhsa_user_sgpr_kernarg_preload_length 0
		.amdhsa_user_sgpr_kernarg_preload_offset 0
		.amdhsa_user_sgpr_private_segment_size 0
		.amdhsa_wavefront_size32 1
		.amdhsa_uses_dynamic_stack 0
		.amdhsa_enable_private_segment 0
		.amdhsa_system_sgpr_workgroup_id_x 1
		.amdhsa_system_sgpr_workgroup_id_y 0
		.amdhsa_system_sgpr_workgroup_id_z 0
		.amdhsa_system_sgpr_workgroup_info 0
		.amdhsa_system_vgpr_workitem_id 0
		.amdhsa_next_free_vgpr 58
		.amdhsa_next_free_sgpr 24
		.amdhsa_named_barrier_count 0
		.amdhsa_reserve_vcc 1
		.amdhsa_float_round_mode_32 0
		.amdhsa_float_round_mode_16_64 0
		.amdhsa_float_denorm_mode_32 3
		.amdhsa_float_denorm_mode_16_64 3
		.amdhsa_fp16_overflow 0
		.amdhsa_memory_ordered 1
		.amdhsa_forward_progress 1
		.amdhsa_inst_pref_size 70
		.amdhsa_round_robin_scheduling 0
		.amdhsa_exception_fp_ieee_invalid_op 0
		.amdhsa_exception_fp_denorm_src 0
		.amdhsa_exception_fp_ieee_div_zero 0
		.amdhsa_exception_fp_ieee_overflow 0
		.amdhsa_exception_fp_ieee_underflow 0
		.amdhsa_exception_fp_ieee_inexact 0
		.amdhsa_exception_int_div_zero 0
	.end_amdhsa_kernel
	.section	.text._ZN2at6native12_GLOBAL__N_125multi_tensor_apply_kernelINS1_18TensorListMetadataILi2EEENS1_14UnaryOpFunctorIfLi2ELi1ELi1EEEJNS0_3TanIfEEEEEvT_T0_DpT1_,"axG",@progbits,_ZN2at6native12_GLOBAL__N_125multi_tensor_apply_kernelINS1_18TensorListMetadataILi2EEENS1_14UnaryOpFunctorIfLi2ELi1ELi1EEEJNS0_3TanIfEEEEEvT_T0_DpT1_,comdat
.Lfunc_end92:
	.size	_ZN2at6native12_GLOBAL__N_125multi_tensor_apply_kernelINS1_18TensorListMetadataILi2EEENS1_14UnaryOpFunctorIfLi2ELi1ELi1EEEJNS0_3TanIfEEEEEvT_T0_DpT1_, .Lfunc_end92-_ZN2at6native12_GLOBAL__N_125multi_tensor_apply_kernelINS1_18TensorListMetadataILi2EEENS1_14UnaryOpFunctorIfLi2ELi1ELi1EEEJNS0_3TanIfEEEEEvT_T0_DpT1_
                                        ; -- End function
	.set _ZN2at6native12_GLOBAL__N_125multi_tensor_apply_kernelINS1_18TensorListMetadataILi2EEENS1_14UnaryOpFunctorIfLi2ELi1ELi1EEEJNS0_3TanIfEEEEEvT_T0_DpT1_.num_vgpr, 58
	.set _ZN2at6native12_GLOBAL__N_125multi_tensor_apply_kernelINS1_18TensorListMetadataILi2EEENS1_14UnaryOpFunctorIfLi2ELi1ELi1EEEJNS0_3TanIfEEEEEvT_T0_DpT1_.num_agpr, 0
	.set _ZN2at6native12_GLOBAL__N_125multi_tensor_apply_kernelINS1_18TensorListMetadataILi2EEENS1_14UnaryOpFunctorIfLi2ELi1ELi1EEEJNS0_3TanIfEEEEEvT_T0_DpT1_.numbered_sgpr, 24
	.set _ZN2at6native12_GLOBAL__N_125multi_tensor_apply_kernelINS1_18TensorListMetadataILi2EEENS1_14UnaryOpFunctorIfLi2ELi1ELi1EEEJNS0_3TanIfEEEEEvT_T0_DpT1_.num_named_barrier, 0
	.set _ZN2at6native12_GLOBAL__N_125multi_tensor_apply_kernelINS1_18TensorListMetadataILi2EEENS1_14UnaryOpFunctorIfLi2ELi1ELi1EEEJNS0_3TanIfEEEEEvT_T0_DpT1_.private_seg_size, 0
	.set _ZN2at6native12_GLOBAL__N_125multi_tensor_apply_kernelINS1_18TensorListMetadataILi2EEENS1_14UnaryOpFunctorIfLi2ELi1ELi1EEEJNS0_3TanIfEEEEEvT_T0_DpT1_.uses_vcc, 1
	.set _ZN2at6native12_GLOBAL__N_125multi_tensor_apply_kernelINS1_18TensorListMetadataILi2EEENS1_14UnaryOpFunctorIfLi2ELi1ELi1EEEJNS0_3TanIfEEEEEvT_T0_DpT1_.uses_flat_scratch, 0
	.set _ZN2at6native12_GLOBAL__N_125multi_tensor_apply_kernelINS1_18TensorListMetadataILi2EEENS1_14UnaryOpFunctorIfLi2ELi1ELi1EEEJNS0_3TanIfEEEEEvT_T0_DpT1_.has_dyn_sized_stack, 0
	.set _ZN2at6native12_GLOBAL__N_125multi_tensor_apply_kernelINS1_18TensorListMetadataILi2EEENS1_14UnaryOpFunctorIfLi2ELi1ELi1EEEJNS0_3TanIfEEEEEvT_T0_DpT1_.has_recursion, 0
	.set _ZN2at6native12_GLOBAL__N_125multi_tensor_apply_kernelINS1_18TensorListMetadataILi2EEENS1_14UnaryOpFunctorIfLi2ELi1ELi1EEEJNS0_3TanIfEEEEEvT_T0_DpT1_.has_indirect_call, 0
	.section	.AMDGPU.csdata,"",@progbits
; Kernel info:
; codeLenInByte = 8880
; TotalNumSgprs: 26
; NumVgprs: 58
; ScratchSize: 0
; MemoryBound: 0
; FloatMode: 240
; IeeeMode: 1
; LDSByteSize: 0 bytes/workgroup (compile time only)
; SGPRBlocks: 0
; VGPRBlocks: 3
; NumSGPRsForWavesPerEU: 26
; NumVGPRsForWavesPerEU: 58
; NamedBarCnt: 0
; Occupancy: 16
; WaveLimiterHint : 0
; COMPUTE_PGM_RSRC2:SCRATCH_EN: 0
; COMPUTE_PGM_RSRC2:USER_SGPR: 2
; COMPUTE_PGM_RSRC2:TRAP_HANDLER: 0
; COMPUTE_PGM_RSRC2:TGID_X_EN: 1
; COMPUTE_PGM_RSRC2:TGID_Y_EN: 0
; COMPUTE_PGM_RSRC2:TGID_Z_EN: 0
; COMPUTE_PGM_RSRC2:TIDIG_COMP_CNT: 0
	.section	.text._ZN2at6native12_GLOBAL__N_125multi_tensor_apply_kernelINS1_18TensorListMetadataILi2EEENS1_14UnaryOpFunctorIN3c107complexIdEELi2ELi1ELi1EEEJNS0_3TanIS8_EEEEEvT_T0_DpT1_,"axG",@progbits,_ZN2at6native12_GLOBAL__N_125multi_tensor_apply_kernelINS1_18TensorListMetadataILi2EEENS1_14UnaryOpFunctorIN3c107complexIdEELi2ELi1ELi1EEEJNS0_3TanIS8_EEEEEvT_T0_DpT1_,comdat
	.globl	_ZN2at6native12_GLOBAL__N_125multi_tensor_apply_kernelINS1_18TensorListMetadataILi2EEENS1_14UnaryOpFunctorIN3c107complexIdEELi2ELi1ELi1EEEJNS0_3TanIS8_EEEEEvT_T0_DpT1_ ; -- Begin function _ZN2at6native12_GLOBAL__N_125multi_tensor_apply_kernelINS1_18TensorListMetadataILi2EEENS1_14UnaryOpFunctorIN3c107complexIdEELi2ELi1ELi1EEEJNS0_3TanIS8_EEEEEvT_T0_DpT1_
	.p2align	8
	.type	_ZN2at6native12_GLOBAL__N_125multi_tensor_apply_kernelINS1_18TensorListMetadataILi2EEENS1_14UnaryOpFunctorIN3c107complexIdEELi2ELi1ELi1EEEJNS0_3TanIS8_EEEEEvT_T0_DpT1_,@function
_ZN2at6native12_GLOBAL__N_125multi_tensor_apply_kernelINS1_18TensorListMetadataILi2EEENS1_14UnaryOpFunctorIN3c107complexIdEELi2ELi1ELi1EEEJNS0_3TanIS8_EEEEEvT_T0_DpT1_: ; @_ZN2at6native12_GLOBAL__N_125multi_tensor_apply_kernelINS1_18TensorListMetadataILi2EEENS1_14UnaryOpFunctorIN3c107complexIdEELi2ELi1ELi1EEEJNS0_3TanIS8_EEEEEvT_T0_DpT1_
; %bb.0:
	s_bfe_u32 s2, ttmp6, 0x4000c
	s_and_b32 s3, ttmp6, 15
	s_add_co_i32 s2, s2, 1
	s_getreg_b32 s4, hwreg(HW_REG_IB_STS2, 6, 4)
	s_mul_i32 s2, ttmp9, s2
	s_delay_alu instid0(SALU_CYCLE_1)
	s_add_co_i32 s3, s3, s2
	s_cmp_eq_u32 s4, 0
	s_cselect_b32 s2, ttmp9, s3
	s_mov_b32 s3, 0
	s_load_u8 s11, s[0:1], s2 offset:0x600
	s_add_nc_u64 s[4:5], s[0:1], s[2:3]
	s_mul_u64 s[6:7], s[2:3], 3
	s_delay_alu instid0(SALU_CYCLE_1)
	s_add_nc_u64 s[4:5], s[4:5], s[6:7]
	s_load_b32 s10, s[4:5], 0x740
	s_wait_kmcnt 0x0
	s_clause 0x2
	s_load_b64 s[6:7], s[0:1], s11 offset:0x0 scale_offset
	s_load_b64 s[8:9], s[0:1], s11 offset:0x200 scale_offset
	;; [unrolled: 1-line block ×3, first 2 shown]
	s_wait_xcnt 0x0
	s_ashr_i32 s11, s10, 31
	s_delay_alu instid0(SALU_CYCLE_1)
	s_lshl_b64 s[4:5], s[10:11], 20
	s_lshl_b64 s[10:11], s[10:11], 16
	s_wait_kmcnt 0x0
	s_add_nc_u64 s[8:9], s[8:9], s[4:5]
	s_add_nc_u64 s[6:7], s[6:7], s[4:5]
	s_and_b32 s4, s12, 3
	s_and_b64 s[14:15], s[8:9], 63
	s_mov_b32 s5, s3
	s_and_b32 s2, s6, 63
	s_or_b64 s[4:5], s[14:15], s[4:5]
	s_delay_alu instid0(SALU_CYCLE_1)
	s_or_b64 s[2:3], s[4:5], s[2:3]
	s_sub_nc_u64 s[4:5], s[12:13], s[10:11]
	s_cmp_eq_u64 s[2:3], 0
	s_mov_b32 s2, -1
	s_cbranch_scc0 .LBB93_157
; %bb.1:
	v_min_i64 v[22:23], 0x10000, s[4:5]
	v_dual_mov_b32 v24, 0 :: v_dual_lshlrev_b32 v2, 2, v0
	s_mov_b32 s30, exec_lo
	s_delay_alu instid0(VALU_DEP_1) | instskip(NEXT) | instid1(VALU_DEP_1)
	v_mov_b32_e32 v3, v24
	v_cmpx_lt_i64_e64 v[2:3], v[22:23]
	s_cbranch_execz .LBB93_156
; %bb.2:
	s_load_b32 s2, s[0:1], 0xc5c
	v_dual_mov_b32 v1, v24 :: v_dual_lshlrev_b32 v26, 6, v0
	v_mov_b64_e32 v[28:29], 0xbf078809a9a29f71
	v_mov_b64_e32 v[30:31], 0x3e928af3fca7ab0c
	;; [unrolled: 1-line block ×5, first 2 shown]
	v_mov_b32_e32 v27, v24
	s_mov_b32 s11, 0
	s_mov_b64 s[12:13], 0x3ff921fb54442d18
	s_mov_b64 s[14:15], 0x3fe45f306dc9c883
	;; [unrolled: 1-line block ×5, first 2 shown]
	s_mov_b32 s23, s11
	s_mov_b64 s[24:25], 0xbff71547652b82fe
	s_mov_b32 s31, 0x3ff00000
	s_mov_b32 s33, s11
	s_mov_b64 s[26:27], s[6:7]
	s_wait_kmcnt 0x0
	s_and_b32 s10, s2, 0xffff
	s_mov_b64 s[28:29], s[8:9]
	s_lshl_b32 s22, s10, 6
                                        ; implicit-def: $vgpr2_vgpr3
                                        ; implicit-def: $vgpr2_vgpr3
                                        ; implicit-def: $vgpr2_vgpr3
                                        ; implicit-def: $vgpr2_vgpr3
                                        ; implicit-def: $vgpr2_vgpr3
                                        ; implicit-def: $vgpr2_vgpr3
                                        ; implicit-def: $vgpr2_vgpr3
                                        ; implicit-def: $vgpr2_vgpr3
                                        ; implicit-def: $vgpr2_vgpr3
                                        ; implicit-def: $vgpr2_vgpr3
                                        ; implicit-def: $vgpr2_vgpr3
                                        ; implicit-def: $vgpr2_vgpr3
                                        ; implicit-def: $vgpr2_vgpr3
                                        ; implicit-def: $vgpr2_vgpr3
                                        ; implicit-def: $vgpr2_vgpr3
                                        ; implicit-def: $vgpr2_vgpr3
                                        ; implicit-def: $vgpr2_vgpr3
                                        ; implicit-def: $vgpr2_vgpr3
                                        ; implicit-def: $vgpr2_vgpr3
                                        ; implicit-def: $vgpr2_vgpr3
                                        ; implicit-def: $vgpr2_vgpr3
                                        ; implicit-def: $vgpr2_vgpr3
                                        ; implicit-def: $vgpr2_vgpr3
                                        ; implicit-def: $vgpr2_vgpr3
                                        ; implicit-def: $vgpr2_vgpr3
                                        ; implicit-def: $vgpr2_vgpr3
                                        ; implicit-def: $vgpr2_vgpr3
	s_branch .LBB93_7
.LBB93_3:                               ;   in Loop: Header=BB93_7 Depth=1
	s_or_b32 exec_lo, exec_lo, s2
	v_mul_f64_e32 v[38:39], v[4:5], v[4:5]
	v_dual_mul_f64 v[40:41], v[46:47], v[46:47] :: v_dual_bitop2_b32 v25, 1, v1 bitop3:0x40
	s_delay_alu instid0(VALU_DEP_3) | instskip(NEXT) | instid1(VALU_DEP_4)
	v_mul_f64_e32 v[56:57], 0.5, v[10:11]
	v_mul_f64_e32 v[64:65], 0.5, v[48:49]
	v_cmp_class_f64_e64 s2, v[2:3], 0x1f8
	v_and_b32_e32 v2, 1, v53
	v_cmp_eq_u32_e32 vcc_lo, 0, v25
	v_lshlrev_b32_e32 v1, 30, v1
	s_delay_alu instid0(VALU_DEP_3) | instskip(NEXT) | instid1(VALU_DEP_2)
	v_cmp_eq_u32_e64 s3, 0, v2
	v_dual_lshlrev_b32 v2, 30, v53 :: v_dual_bitop2_b32 v1, v1, v3 bitop3:0x14
	v_mul_f64_e32 v[42:43], 0.5, v[38:39]
	v_mul_f64_e32 v[44:45], 0.5, v[40:41]
	v_mul_f64_e64 v[58:59], v[4:5], -v[38:39]
	v_fmamk_f64 v[62:63], v[38:39], 0x3de5e0b2f9a43bb8, v[34:35]
	v_mul_f64_e64 v[66:67], v[46:47], -v[40:41]
	v_fmamk_f64 v[68:69], v[40:41], 0x3de5e0b2f9a43bb8, v[34:35]
	s_delay_alu instid0(VALU_DEP_3) | instskip(NEXT) | instid1(VALU_DEP_2)
	v_fmaak_f64 v[62:63], v[38:39], v[62:63], 0x3ec71de3796cde01
	v_fmaak_f64 v[68:69], v[40:41], v[68:69], 0x3ec71de3796cde01
	s_delay_alu instid0(VALU_DEP_2) | instskip(NEXT) | instid1(VALU_DEP_1)
	v_fmaak_f64 v[62:63], v[38:39], v[62:63], 0xbf2a01a019e83e5c
	v_fmaak_f64 v[62:63], v[38:39], v[62:63], 0x3f81111111110bb3
	v_add_f64_e64 v[50:51], -v[42:43], 1.0
	v_add_f64_e64 v[54:55], -v[44:45], 1.0
	s_delay_alu instid0(VALU_DEP_3) | instskip(SKIP_1) | instid1(VALU_DEP_4)
	v_fmac_f64_e32 v[56:57], v[58:59], v[62:63]
	v_mul_f64_e32 v[62:63], v[38:39], v[38:39]
	v_add_f64_e64 v[60:61], -v[50:51], 1.0
	s_delay_alu instid0(VALU_DEP_4) | instskip(NEXT) | instid1(VALU_DEP_4)
	v_add_f64_e64 v[70:71], -v[54:55], 1.0
	v_fma_f64 v[56:57], v[38:39], v[56:57], -v[10:11]
	s_delay_alu instid0(VALU_DEP_3) | instskip(SKIP_1) | instid1(VALU_DEP_4)
	v_add_f64_e64 v[42:43], v[60:61], -v[42:43]
	v_fmaak_f64 v[60:61], v[40:41], v[68:69], 0xbf2a01a019e83e5c
	v_add_f64_e64 v[44:45], v[70:71], -v[44:45]
	v_mul_f64_e32 v[68:69], v[40:41], v[40:41]
	v_fmac_f64_e32 v[56:57], 0xbfc5555555555555, v[58:59]
	s_delay_alu instid0(VALU_DEP_4) | instskip(NEXT) | instid1(VALU_DEP_1)
	v_fmaak_f64 v[60:61], v[40:41], v[60:61], 0x3f81111111110bb3
	v_fmac_f64_e32 v[64:65], v[66:67], v[60:61]
	v_fmamk_f64 v[60:61], v[38:39], 0xbda907db46cc5e42, v[32:33]
	v_fma_f64 v[10:11], v[4:5], -v[10:11], v[42:43]
	s_delay_alu instid0(VALU_DEP_2) | instskip(SKIP_2) | instid1(VALU_DEP_3)
	v_fmaak_f64 v[42:43], v[38:39], v[60:61], 0xbe927e4fa17f65f6
	v_fma_f64 v[44:45], v[46:47], -v[48:49], v[44:45]
	v_add_f64_e64 v[4:5], v[4:5], -v[56:57]
	v_fmaak_f64 v[42:43], v[38:39], v[42:43], 0x3efa01a019f4ec90
	v_fma_f64 v[60:61], v[40:41], v[64:65], -v[48:49]
	s_delay_alu instid0(VALU_DEP_2) | instskip(SKIP_1) | instid1(VALU_DEP_2)
	v_fmaak_f64 v[42:43], v[38:39], v[42:43], 0xbf56c16c16c16967
	v_fmamk_f64 v[64:65], v[40:41], 0xbda907db46cc5e42, v[32:33]
	v_fmaak_f64 v[38:39], v[38:39], v[42:43], 0x3fa5555555555555
	s_delay_alu instid0(VALU_DEP_2) | instskip(NEXT) | instid1(VALU_DEP_2)
	v_fmaak_f64 v[42:43], v[40:41], v[64:65], 0xbe927e4fa17f65f6
	v_fmac_f64_e32 v[10:11], v[62:63], v[38:39]
	s_delay_alu instid0(VALU_DEP_2) | instskip(NEXT) | instid1(VALU_DEP_1)
	v_fmaak_f64 v[38:39], v[40:41], v[42:43], 0x3efa01a019f4ec90
	v_fmaak_f64 v[38:39], v[40:41], v[38:39], 0xbf56c16c16c16967
	s_delay_alu instid0(VALU_DEP_1) | instskip(SKIP_1) | instid1(VALU_DEP_2)
	v_fmaak_f64 v[38:39], v[40:41], v[38:39], 0x3fa5555555555555
	v_fmac_f64_e32 v[60:61], 0xbfc5555555555555, v[66:67]
	v_fmac_f64_e32 v[44:45], v[68:69], v[38:39]
	v_add_f64_e32 v[10:11], v[50:51], v[10:11]
	s_delay_alu instid0(VALU_DEP_3) | instskip(NEXT) | instid1(VALU_DEP_3)
	v_add_f64_e64 v[38:39], v[46:47], -v[60:61]
	v_add_f64_e32 v[40:41], v[54:55], v[44:45]
	s_delay_alu instid0(VALU_DEP_3) | instskip(NEXT) | instid1(VALU_DEP_1)
	v_dual_cndmask_b32 v4, v10, v4 :: v_dual_cndmask_b32 v3, v11, v5
	v_bitop3_b32 v1, v3, v1, 0x80000000 bitop3:0x78
	s_delay_alu instid0(VALU_DEP_1) | instskip(SKIP_1) | instid1(VALU_DEP_1)
	v_cndmask_b32_e64 v3, 0x7ff80000, v1, s2
	v_xor_b32_e32 v10, 0x80000000, v39
	v_cndmask_b32_e64 v10, v10, v41, s3
	v_cndmask_b32_e64 v5, v38, v40, s3
	s_delay_alu instid0(VALU_DEP_2) | instskip(NEXT) | instid1(VALU_DEP_2)
	v_bitop3_b32 v10, v10, v2, 0x80000000 bitop3:0x78
	v_dual_cndmask_b32 v2, 0, v4, s2 :: v_dual_cndmask_b32 v4, 0, v5, s2
	s_delay_alu instid0(VALU_DEP_2) | instskip(NEXT) | instid1(VALU_DEP_1)
	v_cndmask_b32_e64 v5, 0x7ff80000, v10, s2
	v_mul_f64_e32 v[2:3], v[2:3], v[4:5]
.LBB93_4:                               ;   in Loop: Header=BB93_7 Depth=1
	s_or_b32 exec_lo, exec_lo, s36
	s_delay_alu instid0(VALU_DEP_1) | instskip(SKIP_1) | instid1(VALU_DEP_2)
	v_bfi_b32 v25, 0x7fffffff, 0, v3
	v_add_nc_u32_e32 v13, -2.0, v13
	v_mov_b64_e32 v[10:11], v[24:25]
.LBB93_5:                               ;   in Loop: Header=BB93_7 Depth=1
	s_or_b32 exec_lo, exec_lo, s35
.LBB93_6:                               ;   in Loop: Header=BB93_7 Depth=1
	s_delay_alu instid0(SALU_CYCLE_1)
	s_or_b32 exec_lo, exec_lo, s34
	v_add_nc_u64_e32 v[36:37], s[10:11], v[36:37]
	v_add_nc_u64_e32 v[4:5], s[28:29], v[26:27]
	v_xor_b32_e32 v9, 0x80000000, v9
	v_xor_b32_e32 v21, 0x80000000, v21
	;; [unrolled: 1-line block ×4, first 2 shown]
	s_add_nc_u64 s[28:29], s[28:29], s[22:23]
	v_lshlrev_b64_e32 v[2:3], 2, v[36:37]
	s_add_nc_u64 s[26:27], s[26:27], s[22:23]
	s_clause 0x3
	global_store_b128 v[4:5], v[6:9], off
	global_store_b128 v[4:5], v[14:17], off offset:16
	global_store_b128 v[4:5], v[18:21], off offset:32
	;; [unrolled: 1-line block ×3, first 2 shown]
	v_cmp_ge_i64_e32 vcc_lo, v[2:3], v[22:23]
	s_or_b32 s33, vcc_lo, s33
	s_wait_xcnt 0x0
	s_and_not1_b32 exec_lo, exec_lo, s33
	s_cbranch_execz .LBB93_156
.LBB93_7:                               ; =>This Inner Loop Header: Depth=1
	v_add_nc_u64_e32 v[6:7], s[26:27], v[26:27]
	s_mov_b32 s2, exec_lo
	s_clause 0x3
	global_load_b128 v[14:17], v[6:7], off
	global_load_b128 v[18:21], v[6:7], off offset:16
	global_load_b128 v[2:5], v[6:7], off offset:48
	;; [unrolled: 1-line block ×3, first 2 shown]
	s_wait_loadcnt 0x3
	s_wait_xcnt 0x0
	v_xor_b32_e32 v9, 0x80000000, v17
	v_mov_b32_e32 v8, v16
	s_delay_alu instid0(VALU_DEP_2) | instskip(NEXT) | instid1(VALU_DEP_1)
	v_and_b32_e32 v1, 0x7fffffff, v9
	v_cmpx_gt_u32_e32 0x7ff00000, v1
	s_xor_b32 s3, exec_lo, s2
	s_cbranch_execz .LBB93_29
; %bb.8:                                ;   in Loop: Header=BB93_7 Depth=1
	v_cmp_class_f64_e64 s2, v[14:15], 0x1f8
                                        ; implicit-def: $vgpr6_vgpr7
	s_and_saveexec_b32 s34, s2
	s_delay_alu instid0(SALU_CYCLE_1)
	s_xor_b32 s34, exec_lo, s34
	s_cbranch_execz .LBB93_26
; %bb.9:                                ;   in Loop: Header=BB93_7 Depth=1
                                        ; implicit-def: $vgpr6_vgpr7
	s_mov_b32 s2, exec_lo
	v_cmpx_gt_u32_e32 0x40360000, v1
	s_xor_b32 s35, exec_lo, s2
	s_cbranch_execz .LBB93_15
; %bb.10:                               ;   in Loop: Header=BB93_7 Depth=1
	v_cmp_ngt_f64_e64 s2, 0x41d00000, |v[14:15]|
                                        ; implicit-def: $vgpr1
                                        ; implicit-def: $vgpr6_vgpr7
                                        ; implicit-def: $vgpr8_vgpr9
	s_and_saveexec_b32 s36, s2
	s_delay_alu instid0(SALU_CYCLE_1)
	s_xor_b32 s2, exec_lo, s36
	s_cbranch_execz .LBB93_12
; %bb.11:                               ;   in Loop: Header=BB93_7 Depth=1
	v_ldexp_f64 v[6:7], |v[14:15]|, 0xffffff80
	v_cmp_le_f64_e64 vcc_lo, 0x7b000000, |v[14:15]|
	v_trig_preop_f64 v[8:9], |v[14:15]|, 0
	v_and_b32_e32 v1, 0x7fffffff, v15
	v_trig_preop_f64 v[38:39], |v[14:15]|, 1
	v_trig_preop_f64 v[48:49], |v[14:15]|, 2
	s_delay_alu instid0(VALU_DEP_3) | instskip(NEXT) | instid1(VALU_DEP_1)
	v_dual_cndmask_b32 v7, v1, v7 :: v_dual_cndmask_b32 v6, v14, v6
	v_mul_f64_e32 v[40:41], v[8:9], v[6:7]
	s_delay_alu instid0(VALU_DEP_4) | instskip(NEXT) | instid1(VALU_DEP_4)
	v_mul_f64_e32 v[42:43], v[38:39], v[6:7]
	v_mul_f64_e32 v[54:55], v[48:49], v[6:7]
	s_delay_alu instid0(VALU_DEP_3) | instskip(NEXT) | instid1(VALU_DEP_3)
	v_fma_f64 v[8:9], v[8:9], v[6:7], -v[40:41]
	v_fma_f64 v[38:39], v[38:39], v[6:7], -v[42:43]
	s_delay_alu instid0(VALU_DEP_3) | instskip(NEXT) | instid1(VALU_DEP_3)
	v_fma_f64 v[6:7], v[48:49], v[6:7], -v[54:55]
	v_add_f64_e32 v[44:45], v[42:43], v[8:9]
	s_delay_alu instid0(VALU_DEP_1) | instskip(SKIP_1) | instid1(VALU_DEP_2)
	v_add_f64_e64 v[46:47], v[44:45], -v[42:43]
	v_add_f64_e32 v[52:53], v[40:41], v[44:45]
	v_add_f64_e64 v[50:51], v[44:45], -v[46:47]
	v_add_f64_e64 v[8:9], v[8:9], -v[46:47]
	s_delay_alu instid0(VALU_DEP_3) | instskip(NEXT) | instid1(VALU_DEP_3)
	v_ldexp_f64 v[46:47], v[52:53], -2
	v_add_f64_e64 v[42:43], v[42:43], -v[50:51]
	v_add_f64_e32 v[50:51], v[54:55], v[38:39]
	s_delay_alu instid0(VALU_DEP_3) | instskip(NEXT) | instid1(VALU_DEP_3)
	v_cmp_neq_f64_e64 vcc_lo, 0x7ff00000, |v[46:47]|
	v_add_f64_e32 v[8:9], v[8:9], v[42:43]
	v_fract_f64_e32 v[42:43], v[46:47]
	s_delay_alu instid0(VALU_DEP_1) | instskip(NEXT) | instid1(VALU_DEP_1)
	v_ldexp_f64 v[42:43], v[42:43], 2
	v_dual_add_f64 v[40:41], v[52:53], -v[40:41] :: v_dual_cndmask_b32 v42, 0, v42, vcc_lo
	s_delay_alu instid0(VALU_DEP_1) | instskip(SKIP_1) | instid1(VALU_DEP_1)
	v_dual_add_f64 v[40:41], v[44:45], -v[40:41] :: v_dual_cndmask_b32 v43, 0, v43, vcc_lo
	v_add_f64_e32 v[44:45], v[50:51], v[8:9]
	v_add_f64_e32 v[46:47], v[40:41], v[44:45]
	v_add_f64_e64 v[56:57], v[44:45], -v[50:51]
	s_delay_alu instid0(VALU_DEP_2) | instskip(NEXT) | instid1(VALU_DEP_2)
	v_add_f64_e32 v[52:53], v[46:47], v[42:43]
	v_add_f64_e64 v[62:63], v[44:45], -v[56:57]
	v_add_f64_e64 v[8:9], v[8:9], -v[56:57]
	;; [unrolled: 1-line block ×3, first 2 shown]
	s_delay_alu instid0(VALU_DEP_4) | instskip(SKIP_1) | instid1(VALU_DEP_3)
	v_cmp_gt_f64_e32 vcc_lo, 0, v[52:53]
	v_add_f64_e64 v[52:53], v[50:51], -v[54:55]
	v_add_f64_e64 v[40:41], v[44:45], -v[40:41]
	v_cndmask_b32_e64 v25, 0, 0x40100000, vcc_lo
	s_delay_alu instid0(VALU_DEP_3) | instskip(SKIP_2) | instid1(VALU_DEP_4)
	v_add_f64_e64 v[60:61], v[50:51], -v[52:53]
	v_add_f64_e64 v[38:39], v[38:39], -v[52:53]
	;; [unrolled: 1-line block ×3, first 2 shown]
	v_add_f64_e32 v[42:43], v[42:43], v[24:25]
	s_delay_alu instid0(VALU_DEP_4) | instskip(NEXT) | instid1(VALU_DEP_3)
	v_add_f64_e64 v[52:53], v[54:55], -v[60:61]
	v_add_f64_e32 v[8:9], v[8:9], v[50:51]
	s_delay_alu instid0(VALU_DEP_3) | instskip(NEXT) | instid1(VALU_DEP_3)
	v_add_f64_e32 v[58:59], v[46:47], v[42:43]
	v_add_f64_e32 v[38:39], v[38:39], v[52:53]
	s_delay_alu instid0(VALU_DEP_2) | instskip(NEXT) | instid1(VALU_DEP_2)
	v_cvt_i32_f64_e32 v1, v[58:59]
	v_add_f64_e32 v[8:9], v[38:39], v[8:9]
	s_delay_alu instid0(VALU_DEP_2) | instskip(NEXT) | instid1(VALU_DEP_2)
	v_cvt_f64_i32_e32 v[56:57], v1
	v_add_f64_e32 v[6:7], v[6:7], v[8:9]
	s_delay_alu instid0(VALU_DEP_2) | instskip(NEXT) | instid1(VALU_DEP_2)
	v_add_f64_e64 v[42:43], v[42:43], -v[56:57]
	v_add_f64_e32 v[6:7], v[40:41], v[6:7]
	s_delay_alu instid0(VALU_DEP_2) | instskip(NEXT) | instid1(VALU_DEP_1)
	v_add_f64_e32 v[38:39], v[46:47], v[42:43]
	v_add_f64_e64 v[8:9], v[38:39], -v[42:43]
	v_cmp_le_f64_e32 vcc_lo, 0.5, v[38:39]
	s_delay_alu instid0(VALU_DEP_2) | instskip(SKIP_2) | instid1(VALU_DEP_3)
	v_add_f64_e64 v[8:9], v[46:47], -v[8:9]
	v_cndmask_b32_e64 v25, 0, 0x3ff00000, vcc_lo
	v_add_co_ci_u32_e64 v1, null, 0, v1, vcc_lo
	v_add_f64_e32 v[6:7], v[6:7], v[8:9]
	s_delay_alu instid0(VALU_DEP_3) | instskip(NEXT) | instid1(VALU_DEP_1)
	v_add_f64_e64 v[8:9], v[38:39], -v[24:25]
	v_add_f64_e32 v[38:39], v[8:9], v[6:7]
	s_delay_alu instid0(VALU_DEP_1) | instskip(SKIP_1) | instid1(VALU_DEP_2)
	v_mul_f64_e32 v[40:41], 0x3ff921fb54442d18, v[38:39]
	v_add_f64_e64 v[8:9], v[38:39], -v[8:9]
	v_fma_f64 v[42:43], v[38:39], s[12:13], -v[40:41]
	s_delay_alu instid0(VALU_DEP_2) | instskip(NEXT) | instid1(VALU_DEP_2)
	v_add_f64_e64 v[6:7], v[6:7], -v[8:9]
	v_fmac_f64_e32 v[42:43], 0x3c91a62633145c07, v[38:39]
	s_delay_alu instid0(VALU_DEP_1) | instskip(NEXT) | instid1(VALU_DEP_1)
	v_fmac_f64_e32 v[42:43], 0x3ff921fb54442d18, v[6:7]
	v_add_f64_e32 v[6:7], v[40:41], v[42:43]
	s_delay_alu instid0(VALU_DEP_1) | instskip(NEXT) | instid1(VALU_DEP_1)
	v_add_f64_e64 v[8:9], v[6:7], -v[40:41]
	v_add_f64_e64 v[8:9], v[42:43], -v[8:9]
.LBB93_12:                              ;   in Loop: Header=BB93_7 Depth=1
	s_and_not1_saveexec_b32 s2, s2
	s_cbranch_execz .LBB93_14
; %bb.13:                               ;   in Loop: Header=BB93_7 Depth=1
	v_mul_f64_e64 v[6:7], |v[14:15]|, s[14:15]
	s_delay_alu instid0(VALU_DEP_1) | instskip(NEXT) | instid1(VALU_DEP_1)
	v_rndne_f64_e32 v[38:39], v[6:7]
	v_fma_f64 v[6:7], v[38:39], s[16:17], |v[14:15]|
	v_mul_f64_e32 v[8:9], 0xbc91a62633145c00, v[38:39]
	v_cvt_i32_f64_e32 v1, v[38:39]
	s_delay_alu instid0(VALU_DEP_3) | instskip(NEXT) | instid1(VALU_DEP_3)
	v_fmamk_f64 v[44:45], v[38:39], 0xbc91a62633145c00, v[6:7]
	v_add_f64_e32 v[40:41], v[6:7], v[8:9]
	s_delay_alu instid0(VALU_DEP_1) | instskip(NEXT) | instid1(VALU_DEP_3)
	v_add_f64_e64 v[42:43], v[6:7], -v[40:41]
	v_add_f64_e64 v[6:7], v[40:41], -v[44:45]
	s_delay_alu instid0(VALU_DEP_2) | instskip(SKIP_1) | instid1(VALU_DEP_2)
	v_add_f64_e32 v[40:41], v[42:43], v[8:9]
	v_fmamk_f64 v[8:9], v[38:39], 0x3c91a62633145c00, v[8:9]
	v_add_f64_e32 v[6:7], v[6:7], v[40:41]
	s_delay_alu instid0(VALU_DEP_1) | instskip(NEXT) | instid1(VALU_DEP_1)
	v_add_f64_e64 v[8:9], v[6:7], -v[8:9]
	v_fmac_f64_e32 v[8:9], 0xb97b839a252049c0, v[38:39]
	s_delay_alu instid0(VALU_DEP_1) | instskip(NEXT) | instid1(VALU_DEP_1)
	v_add_f64_e32 v[6:7], v[44:45], v[8:9]
	v_add_f64_e64 v[40:41], v[6:7], -v[44:45]
	s_delay_alu instid0(VALU_DEP_1)
	v_add_f64_e64 v[8:9], v[8:9], -v[40:41]
.LBB93_14:                              ;   in Loop: Header=BB93_7 Depth=1
	s_or_b32 exec_lo, exec_lo, s2
	v_add_f64_e64 v[38:39], |v[16:17]|, s[18:19]
	v_cmp_nge_f64_e64 vcc_lo, |v[16:17]|, s[20:21]
	v_dual_mul_f64 v[56:57], v[6:7], v[6:7] :: v_dual_bitop2_b32 v1, 1, v1 bitop3:0x40
	s_delay_alu instid0(VALU_DEP_4) | instskip(NEXT) | instid1(VALU_DEP_2)
	v_add_f64_e32 v[58:59], v[8:9], v[8:9]
	v_cmp_eq_u32_e64 s2, 0, v1
	v_add_f64_e64 v[40:41], v[38:39], -|v[16:17]|
	s_delay_alu instid0(VALU_DEP_4) | instskip(NEXT) | instid1(VALU_DEP_2)
	v_fma_f64 v[60:61], v[6:7], v[6:7], -v[56:57]
	v_add_f64_e64 v[42:43], v[40:41], -v[38:39]
	v_add_f64_e32 v[40:41], 0x3fe62e42fefa39ef, v[40:41]
	s_delay_alu instid0(VALU_DEP_3) | instskip(NEXT) | instid1(VALU_DEP_3)
	v_fmac_f64_e32 v[60:61], v[6:7], v[58:59]
	v_add_f64_e64 v[42:43], |v[16:17]|, v[42:43]
	s_delay_alu instid0(VALU_DEP_2) | instskip(NEXT) | instid1(VALU_DEP_2)
	v_add_f64_e32 v[56:57], v[56:57], v[60:61]
	v_add_f64_e64 v[40:41], v[42:43], -v[40:41]
	s_delay_alu instid0(VALU_DEP_2) | instskip(NEXT) | instid1(VALU_DEP_1)
	v_fmamk_f64 v[60:61], v[56:57], 0x3ef5e089c751c08c, v[28:29]
	v_fmaak_f64 v[60:61], v[56:57], v[60:61], 0x3f17746f90a8aae0
	s_delay_alu instid0(VALU_DEP_1) | instskip(NEXT) | instid1(VALU_DEP_4)
	v_fmaak_f64 v[60:61], v[56:57], v[60:61], 0xbefbb44da6fbf144
	v_add_f64_e32 v[40:41], 0xbc7abc9e3b39803f, v[40:41]
	s_delay_alu instid0(VALU_DEP_1) | instskip(NEXT) | instid1(VALU_DEP_1)
	v_add_f64_e32 v[42:43], v[38:39], v[40:41]
	v_mul_f64_e32 v[44:45], 0x3ff71547652b82fe, v[42:43]
	v_add_f64_e64 v[38:39], v[38:39], -v[42:43]
	s_delay_alu instid0(VALU_DEP_2) | instskip(NEXT) | instid1(VALU_DEP_2)
	v_rndne_f64_e32 v[44:45], v[44:45]
	v_add_f64_e32 v[38:39], v[40:41], v[38:39]
	s_delay_alu instid0(VALU_DEP_2) | instskip(SKIP_2) | instid1(VALU_DEP_3)
	v_fmac_f64_e32 v[42:43], 0xbfe62e42fefa3000, v[44:45]
	v_mul_f64_e32 v[40:41], 0xbd53de6af278e000, v[44:45]
	v_cvt_i32_f64_e32 v14, v[44:45]
	v_add_f64_e32 v[46:47], v[38:39], v[42:43]
	s_delay_alu instid0(VALU_DEP_1) | instskip(SKIP_1) | instid1(VALU_DEP_2)
	v_add_f64_e32 v[48:49], v[46:47], v[40:41]
	v_add_f64_e64 v[42:43], v[42:43], -v[46:47]
	v_add_f64_e64 v[46:47], v[46:47], -v[48:49]
	s_delay_alu instid0(VALU_DEP_2) | instskip(NEXT) | instid1(VALU_DEP_2)
	v_add_f64_e32 v[38:39], v[38:39], v[42:43]
	v_add_f64_e32 v[40:41], v[46:47], v[40:41]
	s_delay_alu instid0(VALU_DEP_1) | instskip(SKIP_1) | instid1(VALU_DEP_2)
	v_add_f64_e32 v[38:39], v[38:39], v[40:41]
	v_mul_f64_e32 v[40:41], 0xbac9cc01f97b57a0, v[44:45]
	v_add_f64_e32 v[42:43], v[48:49], v[38:39]
	s_delay_alu instid0(VALU_DEP_1) | instskip(SKIP_1) | instid1(VALU_DEP_2)
	v_add_f64_e32 v[46:47], v[42:43], v[40:41]
	v_add_f64_e64 v[48:49], v[48:49], -v[42:43]
	v_add_f64_e64 v[42:43], v[42:43], -v[46:47]
	s_delay_alu instid0(VALU_DEP_2) | instskip(NEXT) | instid1(VALU_DEP_2)
	v_add_f64_e32 v[38:39], v[38:39], v[48:49]
	v_add_f64_e32 v[40:41], v[42:43], v[40:41]
	s_delay_alu instid0(VALU_DEP_1) | instskip(NEXT) | instid1(VALU_DEP_1)
	v_add_f64_e32 v[38:39], v[38:39], v[40:41]
	v_add_f64_e32 v[40:41], v[46:47], v[38:39]
	s_delay_alu instid0(VALU_DEP_1) | instskip(SKIP_1) | instid1(VALU_DEP_2)
	v_add_f64_e64 v[42:43], v[46:47], -v[40:41]
	v_mul_f64_e32 v[46:47], v[40:41], v[40:41]
	v_add_f64_e32 v[38:39], v[38:39], v[42:43]
	s_delay_alu instid0(VALU_DEP_2) | instskip(NEXT) | instid1(VALU_DEP_2)
	v_fma_f64 v[42:43], v[40:41], v[40:41], -v[46:47]
	v_add_f64_e32 v[48:49], v[38:39], v[38:39]
	s_delay_alu instid0(VALU_DEP_1) | instskip(SKIP_1) | instid1(VALU_DEP_1)
	v_fmac_f64_e32 v[42:43], v[40:41], v[48:49]
	v_fmamk_f64 v[48:49], v[40:41], 0x3e5ade156a5dcb37, v[30:31]
	v_fmaak_f64 v[48:49], v[40:41], v[48:49], 0x3ec71dee623fde64
	s_delay_alu instid0(VALU_DEP_1) | instskip(NEXT) | instid1(VALU_DEP_1)
	v_fmaak_f64 v[48:49], v[40:41], v[48:49], 0x3efa01997c89e6b0
	v_fmaak_f64 v[48:49], v[40:41], v[48:49], 0x3f2a01a014761f6e
	s_delay_alu instid0(VALU_DEP_1) | instskip(SKIP_1) | instid1(VALU_DEP_2)
	v_fmaak_f64 v[48:49], v[40:41], v[48:49], 0x3f56c16c1852b7b0
	v_add_f64_e32 v[50:51], v[46:47], v[42:43]
	v_fmaak_f64 v[48:49], v[40:41], v[48:49], 0x3f81111111122322
	s_delay_alu instid0(VALU_DEP_1) | instskip(NEXT) | instid1(VALU_DEP_1)
	v_fmaak_f64 v[48:49], v[40:41], v[48:49], 0x3fa55555555502a1
	v_fmaak_f64 v[48:49], v[40:41], v[48:49], 0x3fc5555555555511
	s_delay_alu instid0(VALU_DEP_1) | instskip(SKIP_1) | instid1(VALU_DEP_2)
	v_fmaak_f64 v[48:49], v[40:41], v[48:49], 0x3fe000000000000b
	v_add_f64_e64 v[46:47], v[50:51], -v[46:47]
	v_mul_f64_e32 v[52:53], v[50:51], v[48:49]
	s_delay_alu instid0(VALU_DEP_2) | instskip(NEXT) | instid1(VALU_DEP_2)
	v_add_f64_e64 v[42:43], v[42:43], -v[46:47]
	v_fma_f64 v[46:47], v[50:51], v[48:49], -v[52:53]
	s_delay_alu instid0(VALU_DEP_1) | instskip(NEXT) | instid1(VALU_DEP_1)
	v_fmac_f64_e32 v[46:47], v[42:43], v[48:49]
	v_add_f64_e32 v[42:43], v[52:53], v[46:47]
	s_delay_alu instid0(VALU_DEP_1) | instskip(SKIP_1) | instid1(VALU_DEP_2)
	v_add_f64_e32 v[48:49], v[40:41], v[42:43]
	v_add_f64_e64 v[50:51], v[42:43], -v[52:53]
	v_add_f64_e64 v[40:41], v[48:49], -v[40:41]
	s_delay_alu instid0(VALU_DEP_2) | instskip(NEXT) | instid1(VALU_DEP_2)
	v_add_f64_e64 v[46:47], v[46:47], -v[50:51]
	v_add_f64_e64 v[40:41], v[42:43], -v[40:41]
	s_delay_alu instid0(VALU_DEP_2) | instskip(NEXT) | instid1(VALU_DEP_1)
	v_add_f64_e32 v[38:39], v[38:39], v[46:47]
	v_add_f64_e32 v[38:39], v[38:39], v[40:41]
	s_delay_alu instid0(VALU_DEP_1) | instskip(NEXT) | instid1(VALU_DEP_1)
	v_add_f64_e32 v[40:41], v[48:49], v[38:39]
	v_add_f64_e32 v[42:43], 1.0, v[40:41]
	v_add_f64_e64 v[46:47], v[40:41], -v[48:49]
	s_delay_alu instid0(VALU_DEP_2) | instskip(NEXT) | instid1(VALU_DEP_2)
	v_add_f64_e32 v[48:49], -1.0, v[42:43]
	v_add_f64_e64 v[38:39], v[38:39], -v[46:47]
	s_delay_alu instid0(VALU_DEP_2) | instskip(NEXT) | instid1(VALU_DEP_1)
	v_add_f64_e64 v[40:41], v[40:41], -v[48:49]
	v_add_f64_e32 v[38:39], v[38:39], v[40:41]
	s_delay_alu instid0(VALU_DEP_1) | instskip(NEXT) | instid1(VALU_DEP_1)
	v_add_f64_e32 v[40:41], v[42:43], v[38:39]
	v_ldexp_f64 v[44:45], v[40:41], v14
	v_add_f64_e64 v[40:41], v[40:41], -v[42:43]
	s_delay_alu instid0(VALU_DEP_2) | instskip(NEXT) | instid1(VALU_DEP_1)
	v_rcp_f64_e32 v[46:47], v[44:45]
	v_add_f64_e64 v[38:39], v[38:39], -v[40:41]
	s_delay_alu instid0(VALU_DEP_1) | instskip(NEXT) | instid1(TRANS32_DEP_1)
	v_ldexp_f64 v[38:39], v[38:39], v14
	v_fma_f64 v[48:49], -v[44:45], v[46:47], 1.0
	s_delay_alu instid0(VALU_DEP_1) | instskip(NEXT) | instid1(VALU_DEP_1)
	v_fmac_f64_e32 v[46:47], v[48:49], v[46:47]
	v_fma_f64 v[48:49], -v[44:45], v[46:47], 1.0
	s_delay_alu instid0(VALU_DEP_1) | instskip(NEXT) | instid1(VALU_DEP_1)
	v_fmac_f64_e32 v[46:47], v[48:49], v[46:47]
	v_mul_f64_e32 v[40:41], v[44:45], v[46:47]
	s_delay_alu instid0(VALU_DEP_1) | instskip(NEXT) | instid1(VALU_DEP_1)
	v_fma_f64 v[42:43], v[46:47], v[44:45], -v[40:41]
	v_fmac_f64_e32 v[42:43], v[46:47], v[38:39]
	s_delay_alu instid0(VALU_DEP_1) | instskip(NEXT) | instid1(VALU_DEP_1)
	v_add_f64_e32 v[48:49], v[40:41], v[42:43]
	v_add_f64_e64 v[50:51], -v[48:49], 1.0
	v_add_f64_e64 v[40:41], v[48:49], -v[40:41]
	s_delay_alu instid0(VALU_DEP_2) | instskip(NEXT) | instid1(VALU_DEP_2)
	v_add_f64_e64 v[52:53], -v[50:51], 1.0
	v_add_f64_e64 v[40:41], v[40:41], -v[42:43]
	s_delay_alu instid0(VALU_DEP_2) | instskip(NEXT) | instid1(VALU_DEP_1)
	v_add_f64_e64 v[42:43], v[52:53], -v[48:49]
	v_add_f64_e32 v[40:41], v[40:41], v[42:43]
	s_delay_alu instid0(VALU_DEP_1) | instskip(NEXT) | instid1(VALU_DEP_1)
	v_add_f64_e32 v[42:43], v[50:51], v[40:41]
	v_mul_f64_e32 v[48:49], v[46:47], v[42:43]
	v_add_f64_e64 v[50:51], v[50:51], -v[42:43]
	s_delay_alu instid0(VALU_DEP_2) | instskip(NEXT) | instid1(VALU_DEP_2)
	v_mul_f64_e32 v[52:53], v[44:45], v[48:49]
	v_add_f64_e32 v[40:41], v[40:41], v[50:51]
	s_delay_alu instid0(VALU_DEP_2) | instskip(NEXT) | instid1(VALU_DEP_1)
	v_fma_f64 v[54:55], v[48:49], v[44:45], -v[52:53]
	v_fmac_f64_e32 v[54:55], v[48:49], v[38:39]
	s_delay_alu instid0(VALU_DEP_1) | instskip(NEXT) | instid1(VALU_DEP_1)
	v_add_f64_e32 v[62:63], v[52:53], v[54:55]
	v_add_f64_e64 v[58:59], v[42:43], -v[62:63]
	v_add_f64_e64 v[50:51], v[62:63], -v[52:53]
	v_fmaak_f64 v[52:53], v[56:57], v[60:61], 0x3f21e634a7943acf
	s_delay_alu instid0(VALU_DEP_1) | instskip(NEXT) | instid1(VALU_DEP_1)
	v_fmaak_f64 v[52:53], v[56:57], v[52:53], 0x3f2d250fdeb68feb
	v_fmaak_f64 v[52:53], v[56:57], v[52:53], 0x3f437fd9b58c4d95
	s_delay_alu instid0(VALU_DEP_1) | instskip(NEXT) | instid1(VALU_DEP_1)
	v_fmaak_f64 v[52:53], v[56:57], v[52:53], 0x3f57d5af15120e2c
	v_fmaak_f64 v[52:53], v[56:57], v[52:53], 0x3f6d6d93e09491df
	v_add_f64_e64 v[42:43], v[42:43], -v[58:59]
	v_add_f64_e64 v[50:51], v[50:51], -v[54:55]
	s_delay_alu instid0(VALU_DEP_2) | instskip(NEXT) | instid1(VALU_DEP_1)
	v_add_f64_e64 v[42:43], v[42:43], -v[62:63]
	v_add_f64_e32 v[40:41], v[40:41], v[42:43]
	v_fmaak_f64 v[42:43], v[56:57], v[52:53], 0x3f8226e12033784d
	v_add_f64_e32 v[52:53], v[46:47], v[48:49]
	s_delay_alu instid0(VALU_DEP_2) | instskip(NEXT) | instid1(VALU_DEP_1)
	v_fmaak_f64 v[42:43], v[56:57], v[42:43], 0x3f9664f49ac36ae2
	v_fmaak_f64 v[42:43], v[56:57], v[42:43], 0x3faba1ba1b451c21
	s_delay_alu instid0(VALU_DEP_1) | instskip(NEXT) | instid1(VALU_DEP_1)
	v_fmaak_f64 v[42:43], v[56:57], v[42:43], 0x3fc11111111185b7
	v_fmaak_f64 v[42:43], v[56:57], v[42:43], 0x3fd55555555554ee
	v_add_f64_e32 v[40:41], v[50:51], v[40:41]
	v_add_f64_e64 v[50:51], v[52:53], -v[46:47]
	s_delay_alu instid0(VALU_DEP_3) | instskip(NEXT) | instid1(VALU_DEP_3)
	v_mul_f64_e32 v[42:43], v[56:57], v[42:43]
	v_add_f64_e32 v[40:41], v[58:59], v[40:41]
	s_delay_alu instid0(VALU_DEP_3) | instskip(NEXT) | instid1(VALU_DEP_3)
	v_add_f64_e64 v[48:49], v[48:49], -v[50:51]
	v_mul_f64_e32 v[54:55], v[6:7], v[42:43]
	s_delay_alu instid0(VALU_DEP_3) | instskip(NEXT) | instid1(VALU_DEP_2)
	v_mul_f64_e32 v[40:41], v[46:47], v[40:41]
	v_add_f64_e32 v[46:47], v[6:7], v[54:55]
	v_fma_f64 v[42:43], v[6:7], v[42:43], -v[54:55]
	s_delay_alu instid0(VALU_DEP_3) | instskip(NEXT) | instid1(VALU_DEP_3)
	v_add_f64_e32 v[40:41], v[48:49], v[40:41]
	v_add_f64_e64 v[6:7], v[46:47], -v[6:7]
	s_delay_alu instid0(VALU_DEP_3) | instskip(NEXT) | instid1(VALU_DEP_3)
	v_add_f64_e32 v[8:9], v[8:9], v[42:43]
	v_add_f64_e32 v[48:49], v[52:53], v[40:41]
	s_delay_alu instid0(VALU_DEP_3) | instskip(NEXT) | instid1(VALU_DEP_2)
	v_add_f64_e64 v[6:7], v[54:55], -v[6:7]
	v_ldexp_f64 v[42:43], v[48:49], -2
	v_add_f64_e64 v[48:49], v[48:49], -v[52:53]
	s_delay_alu instid0(VALU_DEP_3) | instskip(NEXT) | instid1(VALU_DEP_3)
	v_add_f64_e32 v[6:7], v[8:9], v[6:7]
	v_add_f64_e64 v[8:9], v[44:45], -v[42:43]
	s_delay_alu instid0(VALU_DEP_3) | instskip(NEXT) | instid1(VALU_DEP_3)
	v_add_f64_e64 v[40:41], v[40:41], -v[48:49]
	v_add_f64_e32 v[50:51], v[46:47], v[6:7]
	s_delay_alu instid0(VALU_DEP_3) | instskip(NEXT) | instid1(VALU_DEP_3)
	v_add_f64_e64 v[44:45], v[44:45], -v[8:9]
	v_ldexp_f64 v[40:41], v[40:41], -2
	s_delay_alu instid0(VALU_DEP_3) | instskip(NEXT) | instid1(VALU_DEP_2)
	v_rcp_f64_e32 v[52:53], v[50:51]
	v_add_f64_e64 v[42:43], v[44:45], -v[42:43]
	s_delay_alu instid0(TRANS32_DEP_1) | instskip(NEXT) | instid1(VALU_DEP_2)
	v_fma_f64 v[44:45], -v[50:51], v[52:53], 1.0
	v_add_f64_e32 v[38:39], v[38:39], v[42:43]
	s_delay_alu instid0(VALU_DEP_2) | instskip(NEXT) | instid1(VALU_DEP_2)
	v_fmac_f64_e32 v[52:53], v[44:45], v[52:53]
	v_add_f64_e64 v[38:39], v[38:39], -v[40:41]
	s_delay_alu instid0(VALU_DEP_2) | instskip(NEXT) | instid1(VALU_DEP_2)
	v_fma_f64 v[40:41], -v[50:51], v[52:53], 1.0
	v_add_f64_e32 v[8:9], v[8:9], v[38:39]
	s_delay_alu instid0(VALU_DEP_2) | instskip(SKIP_1) | instid1(VALU_DEP_3)
	v_fmac_f64_e32 v[52:53], v[40:41], v[52:53]
	v_and_b32_e32 v40, 0x7fffffff, v17
	v_cndmask_b32_e32 v14, 0x7ff00000, v9, vcc_lo
	s_delay_alu instid0(VALU_DEP_4)
	v_cndmask_b32_e32 v25, 0, v8, vcc_lo
	v_cmp_gt_f64_e64 vcc_lo, 0x3e400000, |v[16:17]|
	v_xor_b32_e32 v17, 0x80000000, v17
	v_add_f64_e64 v[8:9], v[50:51], -v[46:47]
	v_mul_f64_e32 v[38:39], v[50:51], v[52:53]
	v_cndmask_b32_e32 v14, v14, v40, vcc_lo
	v_cndmask_b32_e32 v16, v25, v16, vcc_lo
	s_delay_alu instid0(VALU_DEP_4) | instskip(NEXT) | instid1(VALU_DEP_3)
	v_add_f64_e64 v[6:7], v[6:7], -v[8:9]
	v_bfi_b32 v17, 0x7fffffff, v14, v17
	v_fma_f64 v[8:9], v[52:53], v[50:51], -v[38:39]
	s_delay_alu instid0(VALU_DEP_2) | instskip(NEXT) | instid1(VALU_DEP_2)
	v_fma_f64 v[40:41], v[16:17], v[16:17], 1.0
	v_fmac_f64_e32 v[8:9], v[52:53], v[6:7]
	s_delay_alu instid0(VALU_DEP_2) | instskip(SKIP_1) | instid1(VALU_DEP_1)
	v_cmp_gt_f64_e32 vcc_lo, 0x10000000, v[40:41]
	v_cndmask_b32_e64 v14, 0, 0x100, vcc_lo
	v_ldexp_f64 v[6:7], v[40:41], v14
	s_delay_alu instid0(VALU_DEP_4) | instskip(NEXT) | instid1(VALU_DEP_2)
	v_add_f64_e32 v[40:41], v[38:39], v[8:9]
	v_rsq_f64_e32 v[42:43], v[6:7]
	s_delay_alu instid0(VALU_DEP_1) | instskip(SKIP_1) | instid1(VALU_DEP_2)
	v_add_f64_e64 v[44:45], -v[40:41], 1.0
	v_add_f64_e64 v[38:39], v[40:41], -v[38:39]
	v_add_f64_e64 v[48:49], -v[44:45], 1.0
	s_delay_alu instid0(VALU_DEP_2) | instskip(NEXT) | instid1(TRANS32_DEP_1)
	v_add_f64_e64 v[8:9], v[38:39], -v[8:9]
	v_mul_f64_e32 v[46:47], v[6:7], v[42:43]
	v_mul_f64_e32 v[42:43], 0.5, v[42:43]
	s_delay_alu instid0(VALU_DEP_4) | instskip(NEXT) | instid1(VALU_DEP_2)
	v_add_f64_e64 v[38:39], v[48:49], -v[40:41]
	v_fma_f64 v[54:55], -v[42:43], v[46:47], 0.5
	s_delay_alu instid0(VALU_DEP_2) | instskip(NEXT) | instid1(VALU_DEP_2)
	v_add_f64_e32 v[8:9], v[8:9], v[38:39]
	v_fmac_f64_e32 v[46:47], v[46:47], v[54:55]
	v_fmac_f64_e32 v[42:43], v[42:43], v[54:55]
	s_delay_alu instid0(VALU_DEP_3) | instskip(NEXT) | instid1(VALU_DEP_3)
	v_add_f64_e32 v[8:9], v[44:45], v[8:9]
	v_fma_f64 v[38:39], -v[46:47], v[46:47], v[6:7]
	s_delay_alu instid0(VALU_DEP_2) | instskip(NEXT) | instid1(VALU_DEP_2)
	v_mul_f64_e32 v[8:9], v[52:53], v[8:9]
	v_fmac_f64_e32 v[46:47], v[38:39], v[42:43]
	s_delay_alu instid0(VALU_DEP_2) | instskip(NEXT) | instid1(VALU_DEP_2)
	v_add_f64_e32 v[8:9], v[52:53], v[8:9]
	v_fma_f64 v[38:39], -v[46:47], v[46:47], v[6:7]
	s_delay_alu instid0(VALU_DEP_2) | instskip(NEXT) | instid1(VALU_DEP_3)
	v_xor_b32_e32 v9, 0x80000000, v9
	v_cndmask_b32_e64 v14, v8, v50, s2
	v_cndmask_b32_e64 v8, 0, 0xffffff80, vcc_lo
	v_cmp_class_f64_e64 vcc_lo, v[6:7], 0x260
	s_delay_alu instid0(VALU_DEP_4) | instskip(SKIP_1) | instid1(VALU_DEP_2)
	v_cndmask_b32_e64 v1, v9, v51, s2
	v_fmac_f64_e32 v[46:47], v[38:39], v[42:43]
	v_bitop3_b32 v15, v1, v15, 0x80000000 bitop3:0x78
	s_delay_alu instid0(VALU_DEP_1) | instskip(NEXT) | instid1(VALU_DEP_3)
	v_fma_f64 v[38:39], v[14:15], v[14:15], 1.0
	v_ldexp_f64 v[8:9], v[46:47], v8
	s_delay_alu instid0(VALU_DEP_1) | instskip(NEXT) | instid1(VALU_DEP_3)
	v_dual_cndmask_b32 v7, v9, v7 :: v_dual_cndmask_b32 v6, v8, v6
	v_mul_f64_e32 v[8:9], v[16:17], v[38:39]
	s_delay_alu instid0(VALU_DEP_2) | instskip(NEXT) | instid1(VALU_DEP_2)
	v_mul_f64_e32 v[6:7], v[6:7], v[38:39]
	v_fma_f64 v[38:39], v[16:17], v[8:9], 1.0
	s_delay_alu instid0(VALU_DEP_2) | instskip(NEXT) | instid1(VALU_DEP_2)
	v_mul_f64_e32 v[6:7], v[16:17], v[6:7]
	v_div_scale_f64 v[16:17], null, v[38:39], v[38:39], v[14:15]
	s_delay_alu instid0(VALU_DEP_2) | instskip(SKIP_1) | instid1(VALU_DEP_3)
	v_div_scale_f64 v[8:9], null, v[38:39], v[38:39], v[6:7]
	v_div_scale_f64 v[48:49], vcc_lo, v[6:7], v[38:39], v[6:7]
	v_rcp_f64_e32 v[42:43], v[16:17]
	s_delay_alu instid0(VALU_DEP_2) | instskip(NEXT) | instid1(TRANS32_DEP_2)
	v_rcp_f64_e32 v[40:41], v[8:9]
	v_fma_f64 v[46:47], -v[16:17], v[42:43], 1.0
	s_delay_alu instid0(TRANS32_DEP_1) | instskip(NEXT) | instid1(VALU_DEP_2)
	v_fma_f64 v[44:45], -v[8:9], v[40:41], 1.0
	v_fmac_f64_e32 v[42:43], v[42:43], v[46:47]
	s_delay_alu instid0(VALU_DEP_2) | instskip(NEXT) | instid1(VALU_DEP_2)
	v_fmac_f64_e32 v[40:41], v[40:41], v[44:45]
	v_fma_f64 v[46:47], -v[16:17], v[42:43], 1.0
	s_delay_alu instid0(VALU_DEP_2) | instskip(NEXT) | instid1(VALU_DEP_2)
	v_fma_f64 v[44:45], -v[8:9], v[40:41], 1.0
	v_fmac_f64_e32 v[42:43], v[42:43], v[46:47]
	s_delay_alu instid0(VALU_DEP_2) | instskip(SKIP_1) | instid1(VALU_DEP_2)
	v_fmac_f64_e32 v[40:41], v[40:41], v[44:45]
	v_div_scale_f64 v[44:45], s2, v[14:15], v[38:39], v[14:15]
	v_mul_f64_e32 v[46:47], v[48:49], v[40:41]
	s_delay_alu instid0(VALU_DEP_2) | instskip(NEXT) | instid1(VALU_DEP_2)
	v_mul_f64_e32 v[50:51], v[44:45], v[42:43]
	v_fma_f64 v[8:9], -v[8:9], v[46:47], v[48:49]
	s_delay_alu instid0(VALU_DEP_2) | instskip(NEXT) | instid1(VALU_DEP_2)
	v_fma_f64 v[16:17], -v[16:17], v[50:51], v[44:45]
	v_div_fmas_f64 v[8:9], v[8:9], v[40:41], v[46:47]
	s_mov_b32 vcc_lo, s2
	s_delay_alu instid0(VALU_DEP_2) | instskip(NEXT) | instid1(VALU_DEP_2)
	v_div_fmas_f64 v[16:17], v[16:17], v[42:43], v[50:51]
	v_div_fixup_f64 v[8:9], v[8:9], v[38:39], v[6:7]
	s_delay_alu instid0(VALU_DEP_2)
	v_div_fixup_f64 v[6:7], v[16:17], v[38:39], v[14:15]
                                        ; implicit-def: $vgpr14_vgpr15
.LBB93_15:                              ;   in Loop: Header=BB93_7 Depth=1
	s_and_not1_saveexec_b32 s2, s35
	s_cbranch_execz .LBB93_18
; %bb.16:                               ;   in Loop: Header=BB93_7 Depth=1
	v_cmp_ngt_f64_e64 s35, 0x41d00000, |v[14:15]|
                                        ; implicit-def: $vgpr1
                                        ; implicit-def: $vgpr6_vgpr7
                                        ; implicit-def: $vgpr8_vgpr9
	s_and_saveexec_b32 s36, s35
	s_delay_alu instid0(SALU_CYCLE_1)
	s_xor_b32 s36, exec_lo, s36
	s_cbranch_execz .LBB93_19
; %bb.17:                               ;   in Loop: Header=BB93_7 Depth=1
	v_ldexp_f64 v[6:7], |v[14:15]|, 0xffffff80
	v_cmp_le_f64_e64 vcc_lo, 0x7b000000, |v[14:15]|
	v_trig_preop_f64 v[8:9], |v[14:15]|, 0
	v_and_b32_e32 v1, 0x7fffffff, v15
	v_trig_preop_f64 v[38:39], |v[14:15]|, 1
	v_trig_preop_f64 v[48:49], |v[14:15]|, 2
	s_delay_alu instid0(VALU_DEP_3) | instskip(NEXT) | instid1(VALU_DEP_1)
	v_dual_cndmask_b32 v7, v1, v7 :: v_dual_cndmask_b32 v6, v14, v6
	v_mul_f64_e32 v[40:41], v[8:9], v[6:7]
	s_delay_alu instid0(VALU_DEP_4) | instskip(NEXT) | instid1(VALU_DEP_4)
	v_mul_f64_e32 v[42:43], v[38:39], v[6:7]
	v_mul_f64_e32 v[54:55], v[48:49], v[6:7]
	s_delay_alu instid0(VALU_DEP_3) | instskip(NEXT) | instid1(VALU_DEP_3)
	v_fma_f64 v[8:9], v[8:9], v[6:7], -v[40:41]
	v_fma_f64 v[38:39], v[38:39], v[6:7], -v[42:43]
	s_delay_alu instid0(VALU_DEP_3) | instskip(NEXT) | instid1(VALU_DEP_3)
	v_fma_f64 v[6:7], v[48:49], v[6:7], -v[54:55]
	v_add_f64_e32 v[44:45], v[42:43], v[8:9]
	s_delay_alu instid0(VALU_DEP_1) | instskip(SKIP_1) | instid1(VALU_DEP_2)
	v_add_f64_e64 v[46:47], v[44:45], -v[42:43]
	v_add_f64_e32 v[52:53], v[40:41], v[44:45]
	v_add_f64_e64 v[50:51], v[44:45], -v[46:47]
	v_add_f64_e64 v[8:9], v[8:9], -v[46:47]
	s_delay_alu instid0(VALU_DEP_3) | instskip(NEXT) | instid1(VALU_DEP_3)
	v_ldexp_f64 v[46:47], v[52:53], -2
	v_add_f64_e64 v[42:43], v[42:43], -v[50:51]
	v_add_f64_e32 v[50:51], v[54:55], v[38:39]
	s_delay_alu instid0(VALU_DEP_3) | instskip(NEXT) | instid1(VALU_DEP_3)
	v_cmp_neq_f64_e64 vcc_lo, 0x7ff00000, |v[46:47]|
	v_add_f64_e32 v[8:9], v[8:9], v[42:43]
	v_fract_f64_e32 v[42:43], v[46:47]
	s_delay_alu instid0(VALU_DEP_1) | instskip(NEXT) | instid1(VALU_DEP_1)
	v_ldexp_f64 v[42:43], v[42:43], 2
	v_dual_add_f64 v[40:41], v[52:53], -v[40:41] :: v_dual_cndmask_b32 v42, 0, v42, vcc_lo
	s_delay_alu instid0(VALU_DEP_1) | instskip(SKIP_1) | instid1(VALU_DEP_1)
	v_dual_add_f64 v[40:41], v[44:45], -v[40:41] :: v_dual_cndmask_b32 v43, 0, v43, vcc_lo
	v_add_f64_e32 v[44:45], v[50:51], v[8:9]
	v_add_f64_e32 v[46:47], v[40:41], v[44:45]
	v_add_f64_e64 v[56:57], v[44:45], -v[50:51]
	s_delay_alu instid0(VALU_DEP_2) | instskip(NEXT) | instid1(VALU_DEP_2)
	v_add_f64_e32 v[52:53], v[46:47], v[42:43]
	v_add_f64_e64 v[62:63], v[44:45], -v[56:57]
	v_add_f64_e64 v[8:9], v[8:9], -v[56:57]
	;; [unrolled: 1-line block ×3, first 2 shown]
	s_delay_alu instid0(VALU_DEP_4) | instskip(SKIP_1) | instid1(VALU_DEP_3)
	v_cmp_gt_f64_e32 vcc_lo, 0, v[52:53]
	v_add_f64_e64 v[52:53], v[50:51], -v[54:55]
	v_add_f64_e64 v[40:41], v[44:45], -v[40:41]
	v_cndmask_b32_e64 v25, 0, 0x40100000, vcc_lo
	s_delay_alu instid0(VALU_DEP_3) | instskip(SKIP_2) | instid1(VALU_DEP_4)
	v_add_f64_e64 v[60:61], v[50:51], -v[52:53]
	v_add_f64_e64 v[38:39], v[38:39], -v[52:53]
	;; [unrolled: 1-line block ×3, first 2 shown]
	v_add_f64_e32 v[42:43], v[42:43], v[24:25]
	s_delay_alu instid0(VALU_DEP_4) | instskip(NEXT) | instid1(VALU_DEP_3)
	v_add_f64_e64 v[52:53], v[54:55], -v[60:61]
	v_add_f64_e32 v[8:9], v[8:9], v[50:51]
	s_delay_alu instid0(VALU_DEP_3) | instskip(NEXT) | instid1(VALU_DEP_3)
	v_add_f64_e32 v[58:59], v[46:47], v[42:43]
	v_add_f64_e32 v[38:39], v[38:39], v[52:53]
	s_delay_alu instid0(VALU_DEP_2) | instskip(NEXT) | instid1(VALU_DEP_2)
	v_cvt_i32_f64_e32 v1, v[58:59]
	v_add_f64_e32 v[8:9], v[38:39], v[8:9]
	s_delay_alu instid0(VALU_DEP_2) | instskip(NEXT) | instid1(VALU_DEP_2)
	v_cvt_f64_i32_e32 v[56:57], v1
	v_add_f64_e32 v[6:7], v[6:7], v[8:9]
	s_delay_alu instid0(VALU_DEP_2) | instskip(NEXT) | instid1(VALU_DEP_2)
	v_add_f64_e64 v[42:43], v[42:43], -v[56:57]
	v_add_f64_e32 v[6:7], v[40:41], v[6:7]
	s_delay_alu instid0(VALU_DEP_2) | instskip(NEXT) | instid1(VALU_DEP_1)
	v_add_f64_e32 v[38:39], v[46:47], v[42:43]
	v_add_f64_e64 v[8:9], v[38:39], -v[42:43]
	v_cmp_le_f64_e32 vcc_lo, 0.5, v[38:39]
	s_delay_alu instid0(VALU_DEP_2) | instskip(SKIP_2) | instid1(VALU_DEP_3)
	v_add_f64_e64 v[8:9], v[46:47], -v[8:9]
	v_cndmask_b32_e64 v25, 0, 0x3ff00000, vcc_lo
	v_add_co_ci_u32_e64 v1, null, 0, v1, vcc_lo
	v_add_f64_e32 v[6:7], v[6:7], v[8:9]
	s_delay_alu instid0(VALU_DEP_3) | instskip(NEXT) | instid1(VALU_DEP_1)
	v_add_f64_e64 v[8:9], v[38:39], -v[24:25]
	v_add_f64_e32 v[38:39], v[8:9], v[6:7]
	s_delay_alu instid0(VALU_DEP_1) | instskip(SKIP_1) | instid1(VALU_DEP_2)
	v_mul_f64_e32 v[40:41], 0x3ff921fb54442d18, v[38:39]
	v_add_f64_e64 v[8:9], v[38:39], -v[8:9]
	v_fma_f64 v[42:43], v[38:39], s[12:13], -v[40:41]
	s_delay_alu instid0(VALU_DEP_2) | instskip(NEXT) | instid1(VALU_DEP_2)
	v_add_f64_e64 v[6:7], v[6:7], -v[8:9]
	v_fmac_f64_e32 v[42:43], 0x3c91a62633145c07, v[38:39]
	s_delay_alu instid0(VALU_DEP_1) | instskip(NEXT) | instid1(VALU_DEP_1)
	v_fmac_f64_e32 v[42:43], 0x3ff921fb54442d18, v[6:7]
	v_add_f64_e32 v[6:7], v[40:41], v[42:43]
	s_delay_alu instid0(VALU_DEP_1) | instskip(NEXT) | instid1(VALU_DEP_1)
	v_add_f64_e64 v[8:9], v[6:7], -v[40:41]
	v_add_f64_e64 v[8:9], v[42:43], -v[8:9]
	s_and_not1_saveexec_b32 s36, s36
	s_cbranch_execz .LBB93_21
	s_branch .LBB93_20
.LBB93_18:                              ;   in Loop: Header=BB93_7 Depth=1
	s_or_b32 exec_lo, exec_lo, s2
                                        ; implicit-def: $vgpr14_vgpr15
	s_and_not1_saveexec_b32 s2, s34
	s_cbranch_execnz .LBB93_27
	s_branch .LBB93_28
.LBB93_19:                              ;   in Loop: Header=BB93_7 Depth=1
	s_and_not1_saveexec_b32 s36, s36
	s_cbranch_execz .LBB93_21
.LBB93_20:                              ;   in Loop: Header=BB93_7 Depth=1
	v_mul_f64_e64 v[6:7], |v[14:15]|, s[14:15]
	s_delay_alu instid0(VALU_DEP_1) | instskip(NEXT) | instid1(VALU_DEP_1)
	v_rndne_f64_e32 v[38:39], v[6:7]
	v_fma_f64 v[6:7], v[38:39], s[16:17], |v[14:15]|
	v_mul_f64_e32 v[8:9], 0xbc91a62633145c00, v[38:39]
	v_cvt_i32_f64_e32 v1, v[38:39]
	s_delay_alu instid0(VALU_DEP_3) | instskip(NEXT) | instid1(VALU_DEP_3)
	v_fmamk_f64 v[44:45], v[38:39], 0xbc91a62633145c00, v[6:7]
	v_add_f64_e32 v[40:41], v[6:7], v[8:9]
	s_delay_alu instid0(VALU_DEP_1) | instskip(NEXT) | instid1(VALU_DEP_3)
	v_add_f64_e64 v[42:43], v[6:7], -v[40:41]
	v_add_f64_e64 v[6:7], v[40:41], -v[44:45]
	s_delay_alu instid0(VALU_DEP_2) | instskip(SKIP_1) | instid1(VALU_DEP_2)
	v_add_f64_e32 v[40:41], v[42:43], v[8:9]
	v_fmamk_f64 v[8:9], v[38:39], 0x3c91a62633145c00, v[8:9]
	v_add_f64_e32 v[6:7], v[6:7], v[40:41]
	s_delay_alu instid0(VALU_DEP_1) | instskip(NEXT) | instid1(VALU_DEP_1)
	v_add_f64_e64 v[8:9], v[6:7], -v[8:9]
	v_fmac_f64_e32 v[8:9], 0xb97b839a252049c0, v[38:39]
	s_delay_alu instid0(VALU_DEP_1) | instskip(NEXT) | instid1(VALU_DEP_1)
	v_add_f64_e32 v[6:7], v[44:45], v[8:9]
	v_add_f64_e64 v[40:41], v[6:7], -v[44:45]
	s_delay_alu instid0(VALU_DEP_1)
	v_add_f64_e64 v[8:9], v[8:9], -v[40:41]
.LBB93_21:                              ;   in Loop: Header=BB93_7 Depth=1
	s_or_b32 exec_lo, exec_lo, s36
                                        ; implicit-def: $vgpr42
                                        ; implicit-def: $vgpr38_vgpr39
                                        ; implicit-def: $vgpr40_vgpr41
	s_and_saveexec_b32 s36, s35
	s_delay_alu instid0(SALU_CYCLE_1)
	s_xor_b32 s35, exec_lo, s36
	s_cbranch_execz .LBB93_23
; %bb.22:                               ;   in Loop: Header=BB93_7 Depth=1
	v_ldexp_f64 v[38:39], |v[14:15]|, 0xffffff80
	v_cmp_le_f64_e64 vcc_lo, 0x7b000000, |v[14:15]|
	v_trig_preop_f64 v[40:41], |v[14:15]|, 0
	v_and_b32_e32 v25, 0x7fffffff, v15
	v_trig_preop_f64 v[42:43], |v[14:15]|, 1
	v_trig_preop_f64 v[52:53], |v[14:15]|, 2
	s_delay_alu instid0(VALU_DEP_3) | instskip(NEXT) | instid1(VALU_DEP_1)
	v_dual_cndmask_b32 v39, v25, v39 :: v_dual_cndmask_b32 v38, v14, v38
	v_mul_f64_e32 v[44:45], v[40:41], v[38:39]
	s_delay_alu instid0(VALU_DEP_4) | instskip(NEXT) | instid1(VALU_DEP_4)
	v_mul_f64_e32 v[46:47], v[42:43], v[38:39]
	v_mul_f64_e32 v[58:59], v[52:53], v[38:39]
	s_delay_alu instid0(VALU_DEP_3) | instskip(NEXT) | instid1(VALU_DEP_3)
	v_fma_f64 v[40:41], v[40:41], v[38:39], -v[44:45]
	v_fma_f64 v[42:43], v[42:43], v[38:39], -v[46:47]
	s_delay_alu instid0(VALU_DEP_3) | instskip(NEXT) | instid1(VALU_DEP_3)
	v_fma_f64 v[38:39], v[52:53], v[38:39], -v[58:59]
	v_add_f64_e32 v[48:49], v[46:47], v[40:41]
	s_delay_alu instid0(VALU_DEP_1) | instskip(SKIP_1) | instid1(VALU_DEP_2)
	v_add_f64_e64 v[50:51], v[48:49], -v[46:47]
	v_add_f64_e32 v[56:57], v[44:45], v[48:49]
	v_add_f64_e64 v[54:55], v[48:49], -v[50:51]
	v_add_f64_e64 v[40:41], v[40:41], -v[50:51]
	s_delay_alu instid0(VALU_DEP_3) | instskip(NEXT) | instid1(VALU_DEP_3)
	v_ldexp_f64 v[50:51], v[56:57], -2
	v_add_f64_e64 v[46:47], v[46:47], -v[54:55]
	v_add_f64_e32 v[54:55], v[58:59], v[42:43]
	s_delay_alu instid0(VALU_DEP_3) | instskip(NEXT) | instid1(VALU_DEP_3)
	v_cmp_neq_f64_e64 vcc_lo, 0x7ff00000, |v[50:51]|
	v_add_f64_e32 v[40:41], v[40:41], v[46:47]
	v_fract_f64_e32 v[46:47], v[50:51]
	s_delay_alu instid0(VALU_DEP_1) | instskip(NEXT) | instid1(VALU_DEP_1)
	v_ldexp_f64 v[46:47], v[46:47], 2
	v_dual_add_f64 v[44:45], v[56:57], -v[44:45] :: v_dual_cndmask_b32 v46, 0, v46, vcc_lo
	s_delay_alu instid0(VALU_DEP_1) | instskip(SKIP_1) | instid1(VALU_DEP_1)
	v_dual_add_f64 v[44:45], v[48:49], -v[44:45] :: v_dual_cndmask_b32 v47, 0, v47, vcc_lo
	v_add_f64_e32 v[48:49], v[54:55], v[40:41]
	v_add_f64_e32 v[50:51], v[44:45], v[48:49]
	v_add_f64_e64 v[60:61], v[48:49], -v[54:55]
	s_delay_alu instid0(VALU_DEP_2) | instskip(NEXT) | instid1(VALU_DEP_2)
	v_add_f64_e32 v[56:57], v[50:51], v[46:47]
	v_add_f64_e64 v[66:67], v[48:49], -v[60:61]
	v_add_f64_e64 v[40:41], v[40:41], -v[60:61]
	;; [unrolled: 1-line block ×3, first 2 shown]
	s_delay_alu instid0(VALU_DEP_4) | instskip(SKIP_2) | instid1(VALU_DEP_2)
	v_cmp_gt_f64_e32 vcc_lo, 0, v[56:57]
	v_add_f64_e64 v[56:57], v[54:55], -v[58:59]
	v_cndmask_b32_e64 v25, 0, 0x40100000, vcc_lo
	v_add_f64_e64 v[64:65], v[54:55], -v[56:57]
	v_add_f64_e64 v[42:43], v[42:43], -v[56:57]
	;; [unrolled: 1-line block ×3, first 2 shown]
	s_delay_alu instid0(VALU_DEP_4) | instskip(NEXT) | instid1(VALU_DEP_4)
	v_add_f64_e32 v[46:47], v[46:47], v[24:25]
	v_add_f64_e64 v[56:57], v[58:59], -v[64:65]
	s_delay_alu instid0(VALU_DEP_3) | instskip(NEXT) | instid1(VALU_DEP_3)
	v_add_f64_e32 v[40:41], v[40:41], v[54:55]
	v_add_f64_e32 v[62:63], v[50:51], v[46:47]
	s_delay_alu instid0(VALU_DEP_3) | instskip(NEXT) | instid1(VALU_DEP_2)
	v_add_f64_e32 v[42:43], v[42:43], v[56:57]
	v_cvt_i32_f64_e32 v25, v[62:63]
	s_delay_alu instid0(VALU_DEP_2) | instskip(SKIP_1) | instid1(VALU_DEP_3)
	v_add_f64_e32 v[40:41], v[42:43], v[40:41]
	v_add_f64_e64 v[42:43], v[48:49], -v[44:45]
	v_cvt_f64_i32_e32 v[60:61], v25
	s_delay_alu instid0(VALU_DEP_3) | instskip(NEXT) | instid1(VALU_DEP_2)
	v_add_f64_e32 v[38:39], v[38:39], v[40:41]
	v_add_f64_e64 v[46:47], v[46:47], -v[60:61]
	s_delay_alu instid0(VALU_DEP_2) | instskip(NEXT) | instid1(VALU_DEP_2)
	v_add_f64_e32 v[38:39], v[42:43], v[38:39]
	v_add_f64_e32 v[52:53], v[50:51], v[46:47]
	s_delay_alu instid0(VALU_DEP_1) | instskip(SKIP_1) | instid1(VALU_DEP_2)
	v_add_f64_e64 v[40:41], v[52:53], -v[46:47]
	v_cmp_le_f64_e32 vcc_lo, 0.5, v[52:53]
	v_add_f64_e64 v[40:41], v[50:51], -v[40:41]
	v_add_co_ci_u32_e64 v42, null, 0, v25, vcc_lo
	v_cndmask_b32_e64 v25, 0, 0x3ff00000, vcc_lo
	s_delay_alu instid0(VALU_DEP_3) | instskip(NEXT) | instid1(VALU_DEP_2)
	v_add_f64_e32 v[38:39], v[38:39], v[40:41]
	v_add_f64_e64 v[40:41], v[52:53], -v[24:25]
	s_delay_alu instid0(VALU_DEP_1) | instskip(NEXT) | instid1(VALU_DEP_1)
	v_add_f64_e32 v[44:45], v[40:41], v[38:39]
	v_mul_f64_e32 v[46:47], 0x3ff921fb54442d18, v[44:45]
	v_add_f64_e64 v[40:41], v[44:45], -v[40:41]
	s_delay_alu instid0(VALU_DEP_2) | instskip(NEXT) | instid1(VALU_DEP_2)
	v_fma_f64 v[48:49], v[44:45], s[12:13], -v[46:47]
	v_add_f64_e64 v[38:39], v[38:39], -v[40:41]
	s_delay_alu instid0(VALU_DEP_2) | instskip(NEXT) | instid1(VALU_DEP_1)
	v_fmac_f64_e32 v[48:49], 0x3c91a62633145c07, v[44:45]
	v_fmac_f64_e32 v[48:49], 0x3ff921fb54442d18, v[38:39]
	s_delay_alu instid0(VALU_DEP_1) | instskip(NEXT) | instid1(VALU_DEP_1)
	v_add_f64_e32 v[38:39], v[46:47], v[48:49]
	v_add_f64_e64 v[40:41], v[38:39], -v[46:47]
	s_delay_alu instid0(VALU_DEP_1)
	v_add_f64_e64 v[40:41], v[48:49], -v[40:41]
	s_and_not1_saveexec_b32 s35, s35
	s_cbranch_execnz .LBB93_24
	s_branch .LBB93_25
.LBB93_23:                              ;   in Loop: Header=BB93_7 Depth=1
	s_and_not1_saveexec_b32 s35, s35
	s_cbranch_execz .LBB93_25
.LBB93_24:                              ;   in Loop: Header=BB93_7 Depth=1
	v_mul_f64_e64 v[38:39], |v[14:15]|, s[14:15]
	s_delay_alu instid0(VALU_DEP_1) | instskip(NEXT) | instid1(VALU_DEP_1)
	v_rndne_f64_e32 v[42:43], v[38:39]
	v_fma_f64 v[38:39], v[42:43], s[16:17], |v[14:15]|
	v_mul_f64_e32 v[40:41], 0xbc91a62633145c00, v[42:43]
	s_delay_alu instid0(VALU_DEP_2) | instskip(NEXT) | instid1(VALU_DEP_2)
	v_fmamk_f64 v[48:49], v[42:43], 0xbc91a62633145c00, v[38:39]
	v_add_f64_e32 v[44:45], v[38:39], v[40:41]
	s_delay_alu instid0(VALU_DEP_1) | instskip(NEXT) | instid1(VALU_DEP_3)
	v_add_f64_e64 v[46:47], v[38:39], -v[44:45]
	v_add_f64_e64 v[38:39], v[44:45], -v[48:49]
	s_delay_alu instid0(VALU_DEP_2) | instskip(SKIP_1) | instid1(VALU_DEP_2)
	v_add_f64_e32 v[44:45], v[46:47], v[40:41]
	v_fmamk_f64 v[40:41], v[42:43], 0x3c91a62633145c00, v[40:41]
	v_add_f64_e32 v[38:39], v[38:39], v[44:45]
	s_delay_alu instid0(VALU_DEP_1) | instskip(NEXT) | instid1(VALU_DEP_1)
	v_add_f64_e64 v[40:41], v[38:39], -v[40:41]
	v_fmac_f64_e32 v[40:41], 0xb97b839a252049c0, v[42:43]
	v_cvt_i32_f64_e32 v42, v[42:43]
	s_delay_alu instid0(VALU_DEP_2) | instskip(NEXT) | instid1(VALU_DEP_1)
	v_add_f64_e32 v[38:39], v[48:49], v[40:41]
	v_add_f64_e64 v[44:45], v[38:39], -v[48:49]
	s_delay_alu instid0(VALU_DEP_1)
	v_add_f64_e64 v[40:41], v[40:41], -v[44:45]
.LBB93_25:                              ;   in Loop: Header=BB93_7 Depth=1
	s_or_b32 exec_lo, exec_lo, s35
	v_dual_mul_f64 v[44:45], v[6:7], v[6:7] :: v_dual_bitop2_b32 v14, 1, v1 bitop3:0x40
	v_dual_mul_f64 v[46:47], v[38:39], v[38:39] :: v_dual_lshlrev_b32 v1, 30, v1
	s_delay_alu instid0(VALU_DEP_3) | instskip(SKIP_1) | instid1(VALU_DEP_4)
	v_mul_f64_e32 v[68:69], 0.5, v[40:41]
	v_mul_f64_e64 v[50:51], |v[16:17]|, s[24:25]
	v_cmp_eq_u32_e32 vcc_lo, 0, v14
	s_delay_alu instid0(VALU_DEP_4)
	v_dual_mul_f64 v[56:57], 0.5, v[8:9] :: v_dual_bitop2_b32 v1, v1, v15 bitop3:0x14
	v_mul_f64_e64 v[58:59], v[6:7], -v[44:45]
	v_mul_f64_e32 v[48:49], 0.5, v[44:45]
	v_fmamk_f64 v[64:65], v[44:45], 0x3de5e0b2f9a43bb8, v[34:35]
	v_mul_f64_e64 v[70:71], v[38:39], -v[46:47]
	v_fmamk_f64 v[72:73], v[46:47], 0x3de5e0b2f9a43bb8, v[34:35]
	v_rndne_f64_e32 v[50:51], v[50:51]
	s_delay_alu instid0(VALU_DEP_4) | instskip(NEXT) | instid1(VALU_DEP_1)
	v_fmaak_f64 v[64:65], v[44:45], v[64:65], 0x3ec71de3796cde01
	v_fmaak_f64 v[64:65], v[44:45], v[64:65], 0xbf2a01a019e83e5c
	s_delay_alu instid0(VALU_DEP_1) | instskip(NEXT) | instid1(VALU_DEP_1)
	v_fmaak_f64 v[64:65], v[44:45], v[64:65], 0x3f81111111110bb3
	v_fmac_f64_e32 v[56:57], v[58:59], v[64:65]
	v_add_f64_e64 v[54:55], -v[48:49], 1.0
	v_fma_f64 v[66:67], v[50:51], s[18:19], -|v[16:17]|
	v_cvt_i32_f64_e32 v15, v[50:51]
	s_delay_alu instid0(VALU_DEP_4) | instskip(NEXT) | instid1(VALU_DEP_4)
	v_fma_f64 v[56:57], v[44:45], v[56:57], -v[8:9]
	v_add_f64_e64 v[62:63], -v[54:55], 1.0
	s_delay_alu instid0(VALU_DEP_4) | instskip(NEXT) | instid1(VALU_DEP_3)
	v_fmac_f64_e32 v[66:67], 0xbc7abc9e3b39803f, v[50:51]
	v_fmac_f64_e32 v[56:57], 0xbfc5555555555555, v[58:59]
	s_delay_alu instid0(VALU_DEP_3) | instskip(SKIP_2) | instid1(VALU_DEP_2)
	v_add_f64_e64 v[48:49], v[62:63], -v[48:49]
	v_fmaak_f64 v[62:63], v[46:47], v[72:73], 0x3ec71de3796cde01
	v_fmamk_f64 v[72:73], v[44:45], 0xbda907db46cc5e42, v[32:33]
	v_fmaak_f64 v[62:63], v[46:47], v[62:63], 0xbf2a01a019e83e5c
	s_delay_alu instid0(VALU_DEP_1) | instskip(NEXT) | instid1(VALU_DEP_1)
	v_fmaak_f64 v[62:63], v[46:47], v[62:63], 0x3f81111111110bb3
	v_fmac_f64_e32 v[68:69], v[70:71], v[62:63]
	v_mul_f64_e32 v[62:63], v[44:45], v[44:45]
	v_fma_f64 v[8:9], v[6:7], -v[8:9], v[48:49]
	v_fmaak_f64 v[48:49], v[44:45], v[72:73], 0xbe927e4fa17f65f6
	v_add_f64_e64 v[6:7], v[6:7], -v[56:57]
	s_delay_alu instid0(VALU_DEP_2) | instskip(NEXT) | instid1(VALU_DEP_1)
	v_fmaak_f64 v[48:49], v[44:45], v[48:49], 0x3efa01a019f4ec90
	v_fmaak_f64 v[48:49], v[44:45], v[48:49], 0xbf56c16c16c16967
	s_delay_alu instid0(VALU_DEP_1) | instskip(NEXT) | instid1(VALU_DEP_1)
	v_fmaak_f64 v[44:45], v[44:45], v[48:49], 0x3fa5555555555555
	v_fmac_f64_e32 v[8:9], v[62:63], v[44:45]
	s_delay_alu instid0(VALU_DEP_1) | instskip(NEXT) | instid1(VALU_DEP_1)
	v_add_f64_e32 v[8:9], v[54:55], v[8:9]
	v_dual_cndmask_b32 v7, v9, v7 :: v_dual_cndmask_b32 v6, v8, v6
	s_delay_alu instid0(VALU_DEP_1) | instskip(SKIP_1) | instid1(VALU_DEP_1)
	v_bitop3_b32 v7, v7, v1, 0x80000000 bitop3:0x78
	v_and_b32_e32 v1, 1, v42
	v_cmp_eq_u32_e32 vcc_lo, 0, v1
	v_mul_f64_e32 v[52:53], 0.5, v[46:47]
	s_delay_alu instid0(VALU_DEP_1) | instskip(NEXT) | instid1(VALU_DEP_1)
	v_add_f64_e64 v[60:61], -v[52:53], 1.0
	v_add_f64_e64 v[64:65], -v[60:61], 1.0
	s_delay_alu instid0(VALU_DEP_1) | instskip(SKIP_1) | instid1(VALU_DEP_1)
	v_add_f64_e64 v[52:53], v[64:65], -v[52:53]
	v_fmamk_f64 v[64:65], v[66:67], 0x3e5ade156a5dcb37, v[30:31]
	v_fmaak_f64 v[64:65], v[66:67], v[64:65], 0x3ec71dee623fde64
	s_delay_alu instid0(VALU_DEP_1) | instskip(NEXT) | instid1(VALU_DEP_1)
	v_fmaak_f64 v[64:65], v[66:67], v[64:65], 0x3efa01997c89e6b0
	v_fmaak_f64 v[48:49], v[66:67], v[64:65], 0x3f2a01a014761f6e
	v_fma_f64 v[64:65], v[46:47], v[68:69], -v[40:41]
	v_fmamk_f64 v[68:69], v[46:47], 0xbda907db46cc5e42, v[32:33]
	s_delay_alu instid0(VALU_DEP_3) | instskip(NEXT) | instid1(VALU_DEP_2)
	v_fmaak_f64 v[44:45], v[66:67], v[48:49], 0x3f56c16c1852b7b0
	v_fmaak_f64 v[48:49], v[46:47], v[68:69], 0xbe927e4fa17f65f6
	v_fma_f64 v[40:41], v[38:39], -v[40:41], v[52:53]
	s_delay_alu instid0(VALU_DEP_3) | instskip(NEXT) | instid1(VALU_DEP_3)
	v_fmaak_f64 v[44:45], v[66:67], v[44:45], 0x3f81111111122322
	v_fmaak_f64 v[48:49], v[46:47], v[48:49], 0x3efa01a019f4ec90
	s_delay_alu instid0(VALU_DEP_2) | instskip(NEXT) | instid1(VALU_DEP_2)
	v_fmaak_f64 v[44:45], v[66:67], v[44:45], 0x3fa55555555502a1
	v_fmaak_f64 v[48:49], v[46:47], v[48:49], 0xbf56c16c16c16967
	s_delay_alu instid0(VALU_DEP_2) | instskip(SKIP_1) | instid1(VALU_DEP_2)
	v_fmaak_f64 v[44:45], v[66:67], v[44:45], 0x3fc5555555555511
	v_fmac_f64_e32 v[64:65], 0xbfc5555555555555, v[70:71]
	v_fmaak_f64 v[44:45], v[66:67], v[44:45], 0x3fe000000000000b
	s_delay_alu instid0(VALU_DEP_1) | instskip(NEXT) | instid1(VALU_DEP_3)
	v_fma_f64 v[44:45], v[66:67], v[44:45], 1.0
	v_add_f64_e64 v[38:39], v[38:39], -v[64:65]
	s_delay_alu instid0(VALU_DEP_2) | instskip(NEXT) | instid1(VALU_DEP_2)
	v_fma_f64 v[8:9], v[66:67], v[44:45], 1.0
	v_xor_b32_e32 v25, 0x80000000, v39
	s_delay_alu instid0(VALU_DEP_2) | instskip(SKIP_2) | instid1(VALU_DEP_1)
	v_ldexp_f64 v[8:9], v[8:9], v15
	v_mul_f64_e32 v[72:73], v[46:47], v[46:47]
	v_fmaak_f64 v[46:47], v[46:47], v[48:49], 0x3fa5555555555555
	v_fmac_f64_e32 v[40:41], v[72:73], v[46:47]
	s_delay_alu instid0(VALU_DEP_1) | instskip(NEXT) | instid1(VALU_DEP_1)
	v_add_f64_e32 v[40:41], v[60:61], v[40:41]
	v_dual_cndmask_b32 v14, v38, v40 :: v_dual_cndmask_b32 v1, v25, v41
	v_cmp_nlt_f64_e64 vcc_lo, 0x4090cc00, |v[16:17]|
	v_mul_f64_e32 v[6:7], 4.0, v[6:7]
	v_lshlrev_b32_e32 v25, 30, v42
	s_delay_alu instid0(VALU_DEP_1) | instskip(SKIP_1) | instid1(VALU_DEP_1)
	v_bitop3_b32 v15, v1, v25, 0x80000000 bitop3:0x78
	v_xor_b32_e32 v1, 0x80000000, v17
	v_bfi_b32 v25, 0x7fffffff, s31, v1
	s_delay_alu instid0(VALU_DEP_3) | instskip(SKIP_1) | instid1(VALU_DEP_1)
	v_dual_mul_f64 v[6:7], v[6:7], v[14:15] :: v_dual_cndmask_b32 v8, 0, v8, vcc_lo
	v_cndmask_b32_e32 v9, 0, v9, vcc_lo
	v_mul_f64_e32 v[6:7], v[8:9], v[6:7]
	s_delay_alu instid0(VALU_DEP_1)
	v_mul_f64_e32 v[6:7], v[8:9], v[6:7]
	v_mov_b64_e32 v[8:9], v[24:25]
	s_or_b32 exec_lo, exec_lo, s2
                                        ; implicit-def: $vgpr14_vgpr15
.LBB93_26:                              ;   in Loop: Header=BB93_7 Depth=1
	s_and_not1_saveexec_b32 s2, s34
	s_cbranch_execz .LBB93_28
.LBB93_27:                              ;   in Loop: Header=BB93_7 Depth=1
	v_add_f64_e64 v[6:7], v[14:15], -v[14:15]
	s_delay_alu instid0(VALU_DEP_1)
	v_mov_b64_e32 v[8:9], v[6:7]
.LBB93_28:                              ;   in Loop: Header=BB93_7 Depth=1
	s_or_b32 exec_lo, exec_lo, s2
                                        ; implicit-def: $vgpr14_vgpr15
.LBB93_29:                              ;   in Loop: Header=BB93_7 Depth=1
	s_and_not1_saveexec_b32 s34, s3
	s_cbranch_execz .LBB93_45
; %bb.30:                               ;   in Loop: Header=BB93_7 Depth=1
	s_delay_alu instid0(VALU_DEP_1) | instskip(SKIP_1) | instid1(VALU_DEP_1)
	v_and_or_b32 v1, 0xfffff, v9, v8
	s_mov_b32 s2, exec_lo
	v_cmpx_ne_u32_e32 0, v1
	s_xor_b32 s2, exec_lo, s2
	s_cbranch_execz .LBB93_32
; %bb.31:                               ;   in Loop: Header=BB93_7 Depth=1
	v_mul_f64_e64 v[6:7], v[14:15], -v[16:17]
	v_cmp_eq_f64_e32 vcc_lo, 0, v[14:15]
	s_delay_alu instid0(VALU_DEP_2)
	v_dual_cndmask_b32 v7, v7, v15 :: v_dual_cndmask_b32 v6, v6, v14
                                        ; implicit-def: $vgpr14_vgpr15
.LBB93_32:                              ;   in Loop: Header=BB93_7 Depth=1
	s_and_not1_saveexec_b32 s35, s2
	s_cbranch_execz .LBB93_44
; %bb.33:                               ;   in Loop: Header=BB93_7 Depth=1
	s_mov_b32 s36, exec_lo
	v_cmpx_neq_f64_e64 0x7ff00000, |v[14:15]|
	s_cbranch_execz .LBB93_43
; %bb.34:                               ;   in Loop: Header=BB93_7 Depth=1
	v_cmp_ngt_f64_e64 s2, 0x41d00000, |v[14:15]|
	v_trig_preop_f64 v[42:43], |v[14:15]|, 0
	v_trig_preop_f64 v[40:41], |v[14:15]|, 1
	v_ldexp_f64 v[44:45], |v[14:15]|, 0xffffff80
	v_trig_preop_f64 v[38:39], |v[14:15]|, 2
	v_and_b32_e32 v52, 0x7fffffff, v15
                                        ; implicit-def: $vgpr1
                                        ; implicit-def: $vgpr6_vgpr7
                                        ; implicit-def: $vgpr16_vgpr17
	s_and_saveexec_b32 s3, s2
	s_delay_alu instid0(SALU_CYCLE_1)
	s_xor_b32 s3, exec_lo, s3
	s_cbranch_execz .LBB93_36
; %bb.35:                               ;   in Loop: Header=BB93_7 Depth=1
	v_cmp_le_f64_e64 vcc_lo, 0x7b000000, |v[14:15]|
	s_delay_alu instid0(VALU_DEP_4) | instskip(NEXT) | instid1(VALU_DEP_1)
	v_dual_cndmask_b32 v7, v52, v45 :: v_dual_cndmask_b32 v6, v14, v44
	v_mul_f64_e32 v[16:17], v[42:43], v[6:7]
	v_mul_f64_e32 v[46:47], v[40:41], v[6:7]
	;; [unrolled: 1-line block ×3, first 2 shown]
	s_delay_alu instid0(VALU_DEP_3) | instskip(NEXT) | instid1(VALU_DEP_3)
	v_fma_f64 v[48:49], v[42:43], v[6:7], -v[16:17]
	v_fma_f64 v[62:63], v[40:41], v[6:7], -v[46:47]
	s_delay_alu instid0(VALU_DEP_3) | instskip(NEXT) | instid1(VALU_DEP_3)
	v_fma_f64 v[6:7], v[38:39], v[6:7], -v[60:61]
	v_add_f64_e32 v[50:51], v[46:47], v[48:49]
	s_delay_alu instid0(VALU_DEP_1) | instskip(SKIP_1) | instid1(VALU_DEP_2)
	v_add_f64_e64 v[54:55], v[50:51], -v[46:47]
	v_add_f64_e32 v[58:59], v[16:17], v[50:51]
	v_add_f64_e64 v[56:57], v[50:51], -v[54:55]
	v_add_f64_e64 v[48:49], v[48:49], -v[54:55]
	s_delay_alu instid0(VALU_DEP_3) | instskip(NEXT) | instid1(VALU_DEP_3)
	v_ldexp_f64 v[54:55], v[58:59], -2
	v_add_f64_e64 v[46:47], v[46:47], -v[56:57]
	v_add_f64_e32 v[56:57], v[60:61], v[62:63]
	s_delay_alu instid0(VALU_DEP_3) | instskip(NEXT) | instid1(VALU_DEP_3)
	v_cmp_neq_f64_e64 vcc_lo, 0x7ff00000, |v[54:55]|
	v_add_f64_e32 v[46:47], v[48:49], v[46:47]
	v_fract_f64_e32 v[48:49], v[54:55]
	s_delay_alu instid0(VALU_DEP_1) | instskip(NEXT) | instid1(VALU_DEP_1)
	v_ldexp_f64 v[48:49], v[48:49], 2
	v_cndmask_b32_e32 v49, 0, v49, vcc_lo
	v_add_f64_e64 v[16:17], v[58:59], -v[16:17]
	s_delay_alu instid0(VALU_DEP_3) | instskip(NEXT) | instid1(VALU_DEP_2)
	v_cndmask_b32_e32 v48, 0, v48, vcc_lo
	v_add_f64_e64 v[16:17], v[50:51], -v[16:17]
	v_add_f64_e32 v[50:51], v[56:57], v[46:47]
	s_delay_alu instid0(VALU_DEP_1) | instskip(SKIP_1) | instid1(VALU_DEP_2)
	v_add_f64_e32 v[54:55], v[16:17], v[50:51]
	v_add_f64_e64 v[64:65], v[50:51], -v[56:57]
	v_add_f64_e32 v[58:59], v[54:55], v[48:49]
	s_delay_alu instid0(VALU_DEP_2) | instskip(SKIP_2) | instid1(VALU_DEP_4)
	v_add_f64_e64 v[70:71], v[50:51], -v[64:65]
	v_add_f64_e64 v[46:47], v[46:47], -v[64:65]
	;; [unrolled: 1-line block ×3, first 2 shown]
	v_cmp_gt_f64_e32 vcc_lo, 0, v[58:59]
	v_add_f64_e64 v[58:59], v[56:57], -v[60:61]
	s_delay_alu instid0(VALU_DEP_3) | instskip(SKIP_1) | instid1(VALU_DEP_3)
	v_add_f64_e64 v[16:17], v[50:51], -v[16:17]
	v_cndmask_b32_e64 v25, 0, 0x40100000, vcc_lo
	v_add_f64_e64 v[68:69], v[56:57], -v[58:59]
	v_add_f64_e64 v[58:59], v[62:63], -v[58:59]
	;; [unrolled: 1-line block ×3, first 2 shown]
	s_delay_alu instid0(VALU_DEP_4) | instskip(NEXT) | instid1(VALU_DEP_4)
	v_add_f64_e32 v[48:49], v[48:49], v[24:25]
	v_add_f64_e64 v[62:63], v[60:61], -v[68:69]
	s_delay_alu instid0(VALU_DEP_3) | instskip(NEXT) | instid1(VALU_DEP_3)
	v_add_f64_e32 v[46:47], v[46:47], v[56:57]
	v_add_f64_e32 v[66:67], v[54:55], v[48:49]
	s_delay_alu instid0(VALU_DEP_3) | instskip(NEXT) | instid1(VALU_DEP_2)
	v_add_f64_e32 v[58:59], v[58:59], v[62:63]
	v_cvt_i32_f64_e32 v1, v[66:67]
	s_delay_alu instid0(VALU_DEP_2) | instskip(NEXT) | instid1(VALU_DEP_2)
	v_add_f64_e32 v[46:47], v[58:59], v[46:47]
	v_cvt_f64_i32_e32 v[64:65], v1
	s_delay_alu instid0(VALU_DEP_2) | instskip(NEXT) | instid1(VALU_DEP_2)
	v_add_f64_e32 v[6:7], v[6:7], v[46:47]
	v_add_f64_e64 v[48:49], v[48:49], -v[64:65]
	s_delay_alu instid0(VALU_DEP_2) | instskip(NEXT) | instid1(VALU_DEP_2)
	v_add_f64_e32 v[6:7], v[16:17], v[6:7]
	v_add_f64_e32 v[56:57], v[54:55], v[48:49]
	s_delay_alu instid0(VALU_DEP_1) | instskip(SKIP_1) | instid1(VALU_DEP_2)
	v_add_f64_e64 v[46:47], v[56:57], -v[48:49]
	v_cmp_le_f64_e32 vcc_lo, 0.5, v[56:57]
	v_add_f64_e64 v[16:17], v[54:55], -v[46:47]
	v_cndmask_b32_e64 v25, 0, 0x3ff00000, vcc_lo
	v_add_co_ci_u32_e64 v1, null, 0, v1, vcc_lo
	s_delay_alu instid0(VALU_DEP_3) | instskip(NEXT) | instid1(VALU_DEP_3)
	v_add_f64_e32 v[6:7], v[6:7], v[16:17]
	v_add_f64_e64 v[16:17], v[56:57], -v[24:25]
	s_delay_alu instid0(VALU_DEP_1) | instskip(NEXT) | instid1(VALU_DEP_1)
	v_add_f64_e32 v[46:47], v[16:17], v[6:7]
	v_mul_f64_e32 v[48:49], 0x3ff921fb54442d18, v[46:47]
	v_add_f64_e64 v[16:17], v[46:47], -v[16:17]
	s_delay_alu instid0(VALU_DEP_2) | instskip(NEXT) | instid1(VALU_DEP_2)
	v_fma_f64 v[50:51], v[46:47], s[12:13], -v[48:49]
	v_add_f64_e64 v[6:7], v[6:7], -v[16:17]
	s_delay_alu instid0(VALU_DEP_2) | instskip(NEXT) | instid1(VALU_DEP_1)
	v_fmac_f64_e32 v[50:51], 0x3c91a62633145c07, v[46:47]
	v_fmac_f64_e32 v[50:51], 0x3ff921fb54442d18, v[6:7]
	s_delay_alu instid0(VALU_DEP_1) | instskip(NEXT) | instid1(VALU_DEP_1)
	v_add_f64_e32 v[6:7], v[48:49], v[50:51]
	v_add_f64_e64 v[16:17], v[6:7], -v[48:49]
	s_delay_alu instid0(VALU_DEP_1)
	v_add_f64_e64 v[16:17], v[50:51], -v[16:17]
.LBB93_36:                              ;   in Loop: Header=BB93_7 Depth=1
	s_or_saveexec_b32 s3, s3
	v_mul_f64_e64 v[46:47], |v[14:15]|, s[14:15]
	s_delay_alu instid0(VALU_DEP_1)
	v_rndne_f64_e32 v[50:51], v[46:47]
	s_xor_b32 exec_lo, exec_lo, s3
	s_cbranch_execz .LBB93_38
; %bb.37:                               ;   in Loop: Header=BB93_7 Depth=1
	s_delay_alu instid0(VALU_DEP_1) | instskip(SKIP_2) | instid1(VALU_DEP_3)
	v_fma_f64 v[6:7], v[50:51], s[16:17], |v[14:15]|
	v_mul_f64_e32 v[16:17], 0xbc91a62633145c00, v[50:51]
	v_cvt_i32_f64_e32 v1, v[50:51]
	v_fmamk_f64 v[54:55], v[50:51], 0xbc91a62633145c00, v[6:7]
	s_delay_alu instid0(VALU_DEP_3) | instskip(NEXT) | instid1(VALU_DEP_1)
	v_add_f64_e32 v[46:47], v[6:7], v[16:17]
	v_add_f64_e64 v[48:49], v[6:7], -v[46:47]
	s_delay_alu instid0(VALU_DEP_3) | instskip(NEXT) | instid1(VALU_DEP_2)
	v_add_f64_e64 v[6:7], v[46:47], -v[54:55]
	v_add_f64_e32 v[46:47], v[48:49], v[16:17]
	v_fmamk_f64 v[16:17], v[50:51], 0x3c91a62633145c00, v[16:17]
	s_delay_alu instid0(VALU_DEP_2) | instskip(NEXT) | instid1(VALU_DEP_1)
	v_add_f64_e32 v[6:7], v[6:7], v[46:47]
	v_add_f64_e64 v[16:17], v[6:7], -v[16:17]
	s_delay_alu instid0(VALU_DEP_1) | instskip(NEXT) | instid1(VALU_DEP_1)
	v_fmac_f64_e32 v[16:17], 0xb97b839a252049c0, v[50:51]
	v_add_f64_e32 v[6:7], v[54:55], v[16:17]
	s_delay_alu instid0(VALU_DEP_1) | instskip(NEXT) | instid1(VALU_DEP_1)
	v_add_f64_e64 v[46:47], v[6:7], -v[54:55]
	v_add_f64_e64 v[16:17], v[16:17], -v[46:47]
.LBB93_38:                              ;   in Loop: Header=BB93_7 Depth=1
	s_or_b32 exec_lo, exec_lo, s3
                                        ; implicit-def: $vgpr53
                                        ; implicit-def: $vgpr46_vgpr47
                                        ; implicit-def: $vgpr48_vgpr49
	s_and_saveexec_b32 s3, s2
	s_delay_alu instid0(SALU_CYCLE_1)
	s_xor_b32 s2, exec_lo, s3
	s_cbranch_execz .LBB93_40
; %bb.39:                               ;   in Loop: Header=BB93_7 Depth=1
	v_cmp_le_f64_e64 vcc_lo, 0x7b000000, |v[14:15]|
	v_dual_cndmask_b32 v45, v52, v45 :: v_dual_cndmask_b32 v44, v14, v44
	s_delay_alu instid0(VALU_DEP_1) | instskip(SKIP_2) | instid1(VALU_DEP_3)
	v_mul_f64_e32 v[46:47], v[42:43], v[44:45]
	v_mul_f64_e32 v[48:49], v[40:41], v[44:45]
	;; [unrolled: 1-line block ×3, first 2 shown]
	v_fma_f64 v[42:43], v[42:43], v[44:45], -v[46:47]
	s_delay_alu instid0(VALU_DEP_3) | instskip(NEXT) | instid1(VALU_DEP_3)
	v_fma_f64 v[40:41], v[40:41], v[44:45], -v[48:49]
	v_fma_f64 v[38:39], v[38:39], v[44:45], -v[58:59]
	s_delay_alu instid0(VALU_DEP_3) | instskip(NEXT) | instid1(VALU_DEP_1)
	v_add_f64_e32 v[50:51], v[48:49], v[42:43]
	v_add_f64_e64 v[52:53], v[50:51], -v[48:49]
	v_add_f64_e32 v[56:57], v[46:47], v[50:51]
	s_delay_alu instid0(VALU_DEP_2) | instskip(SKIP_1) | instid1(VALU_DEP_3)
	v_add_f64_e64 v[54:55], v[50:51], -v[52:53]
	v_add_f64_e64 v[42:43], v[42:43], -v[52:53]
	v_ldexp_f64 v[52:53], v[56:57], -2
	s_delay_alu instid0(VALU_DEP_3) | instskip(SKIP_1) | instid1(VALU_DEP_3)
	v_add_f64_e64 v[48:49], v[48:49], -v[54:55]
	v_add_f64_e32 v[54:55], v[58:59], v[40:41]
	v_cmp_neq_f64_e64 vcc_lo, 0x7ff00000, |v[52:53]|
	s_delay_alu instid0(VALU_DEP_3) | instskip(SKIP_1) | instid1(VALU_DEP_1)
	v_add_f64_e32 v[42:43], v[42:43], v[48:49]
	v_fract_f64_e32 v[48:49], v[52:53]
	v_ldexp_f64 v[48:49], v[48:49], 2
	s_delay_alu instid0(VALU_DEP_1) | instskip(NEXT) | instid1(VALU_DEP_1)
	v_dual_add_f64 v[46:47], v[56:57], -v[46:47] :: v_dual_cndmask_b32 v48, 0, v48, vcc_lo
	v_dual_add_f64 v[46:47], v[50:51], -v[46:47] :: v_dual_cndmask_b32 v49, 0, v49, vcc_lo
	v_add_f64_e32 v[50:51], v[54:55], v[42:43]
	s_delay_alu instid0(VALU_DEP_1) | instskip(SKIP_1) | instid1(VALU_DEP_2)
	v_add_f64_e32 v[52:53], v[46:47], v[50:51]
	v_add_f64_e64 v[60:61], v[50:51], -v[54:55]
	v_add_f64_e32 v[56:57], v[52:53], v[48:49]
	s_delay_alu instid0(VALU_DEP_2) | instskip(SKIP_2) | instid1(VALU_DEP_4)
	v_add_f64_e64 v[66:67], v[50:51], -v[60:61]
	v_add_f64_e64 v[42:43], v[42:43], -v[60:61]
	;; [unrolled: 1-line block ×3, first 2 shown]
	v_cmp_gt_f64_e32 vcc_lo, 0, v[56:57]
	v_add_f64_e64 v[56:57], v[54:55], -v[58:59]
	s_delay_alu instid0(VALU_DEP_3) | instskip(SKIP_1) | instid1(VALU_DEP_3)
	v_add_f64_e64 v[44:45], v[50:51], -v[44:45]
                                        ; implicit-def: $vgpr50_vgpr51
	v_cndmask_b32_e64 v25, 0, 0x40100000, vcc_lo
	v_add_f64_e64 v[64:65], v[54:55], -v[56:57]
	v_add_f64_e64 v[40:41], v[40:41], -v[56:57]
	;; [unrolled: 1-line block ×3, first 2 shown]
	s_delay_alu instid0(VALU_DEP_4) | instskip(NEXT) | instid1(VALU_DEP_4)
	v_add_f64_e32 v[48:49], v[48:49], v[24:25]
	v_add_f64_e64 v[56:57], v[58:59], -v[64:65]
	s_delay_alu instid0(VALU_DEP_3) | instskip(NEXT) | instid1(VALU_DEP_3)
	v_add_f64_e32 v[42:43], v[42:43], v[54:55]
	v_add_f64_e32 v[62:63], v[52:53], v[48:49]
	s_delay_alu instid0(VALU_DEP_3) | instskip(NEXT) | instid1(VALU_DEP_2)
	v_add_f64_e32 v[40:41], v[40:41], v[56:57]
	v_cvt_i32_f64_e32 v25, v[62:63]
	s_delay_alu instid0(VALU_DEP_2) | instskip(NEXT) | instid1(VALU_DEP_2)
	v_add_f64_e32 v[40:41], v[40:41], v[42:43]
	v_cvt_f64_i32_e32 v[60:61], v25
	s_delay_alu instid0(VALU_DEP_2) | instskip(NEXT) | instid1(VALU_DEP_2)
	v_add_f64_e32 v[38:39], v[38:39], v[40:41]
	v_add_f64_e64 v[48:49], v[48:49], -v[60:61]
	s_delay_alu instid0(VALU_DEP_2) | instskip(NEXT) | instid1(VALU_DEP_2)
	v_add_f64_e32 v[38:39], v[44:45], v[38:39]
	v_add_f64_e32 v[42:43], v[52:53], v[48:49]
	s_delay_alu instid0(VALU_DEP_1) | instskip(SKIP_1) | instid1(VALU_DEP_2)
	v_add_f64_e64 v[40:41], v[42:43], -v[48:49]
	v_cmp_le_f64_e32 vcc_lo, 0.5, v[42:43]
	v_add_f64_e64 v[40:41], v[52:53], -v[40:41]
	v_add_co_ci_u32_e64 v53, null, 0, v25, vcc_lo
	v_cndmask_b32_e64 v25, 0, 0x3ff00000, vcc_lo
	s_delay_alu instid0(VALU_DEP_3) | instskip(NEXT) | instid1(VALU_DEP_2)
	v_add_f64_e32 v[38:39], v[38:39], v[40:41]
	v_add_f64_e64 v[40:41], v[42:43], -v[24:25]
	s_delay_alu instid0(VALU_DEP_1) | instskip(NEXT) | instid1(VALU_DEP_1)
	v_add_f64_e32 v[42:43], v[40:41], v[38:39]
	v_mul_f64_e32 v[44:45], 0x3ff921fb54442d18, v[42:43]
	v_add_f64_e64 v[40:41], v[42:43], -v[40:41]
	s_delay_alu instid0(VALU_DEP_2) | instskip(NEXT) | instid1(VALU_DEP_2)
	v_fma_f64 v[48:49], v[42:43], s[12:13], -v[44:45]
	v_add_f64_e64 v[38:39], v[38:39], -v[40:41]
	s_delay_alu instid0(VALU_DEP_2) | instskip(NEXT) | instid1(VALU_DEP_1)
	v_fmac_f64_e32 v[48:49], 0x3c91a62633145c07, v[42:43]
	v_fmac_f64_e32 v[48:49], 0x3ff921fb54442d18, v[38:39]
	s_delay_alu instid0(VALU_DEP_1) | instskip(NEXT) | instid1(VALU_DEP_1)
	v_add_f64_e32 v[46:47], v[44:45], v[48:49]
	v_add_f64_e64 v[38:39], v[46:47], -v[44:45]
	s_delay_alu instid0(VALU_DEP_1)
	v_add_f64_e64 v[48:49], v[48:49], -v[38:39]
	s_and_not1_saveexec_b32 s2, s2
	s_cbranch_execnz .LBB93_41
	s_branch .LBB93_42
.LBB93_40:                              ;   in Loop: Header=BB93_7 Depth=1
	s_and_not1_saveexec_b32 s2, s2
	s_cbranch_execz .LBB93_42
.LBB93_41:                              ;   in Loop: Header=BB93_7 Depth=1
	s_delay_alu instid0(VALU_DEP_1) | instskip(SKIP_2) | instid1(VALU_DEP_2)
	v_fma_f64 v[38:39], v[50:51], s[16:17], |v[14:15]|
	v_mul_f64_e32 v[40:41], 0xbc91a62633145c00, v[50:51]
	v_cvt_i32_f64_e32 v53, v[50:51]
	v_add_f64_e32 v[42:43], v[38:39], v[40:41]
	s_delay_alu instid0(VALU_DEP_1) | instskip(SKIP_1) | instid1(VALU_DEP_1)
	v_add_f64_e64 v[44:45], v[38:39], -v[42:43]
	v_fmamk_f64 v[38:39], v[50:51], 0xbc91a62633145c00, v[38:39]
	v_add_f64_e64 v[42:43], v[42:43], -v[38:39]
	s_delay_alu instid0(VALU_DEP_3) | instskip(SKIP_1) | instid1(VALU_DEP_2)
	v_add_f64_e32 v[44:45], v[44:45], v[40:41]
	v_fmamk_f64 v[40:41], v[50:51], 0x3c91a62633145c00, v[40:41]
	v_add_f64_e32 v[42:43], v[42:43], v[44:45]
	s_delay_alu instid0(VALU_DEP_1) | instskip(NEXT) | instid1(VALU_DEP_1)
	v_add_f64_e64 v[40:41], v[42:43], -v[40:41]
	v_fmac_f64_e32 v[40:41], 0xb97b839a252049c0, v[50:51]
	s_delay_alu instid0(VALU_DEP_1) | instskip(NEXT) | instid1(VALU_DEP_1)
	v_add_f64_e32 v[46:47], v[38:39], v[40:41]
	v_add_f64_e64 v[38:39], v[46:47], -v[38:39]
	s_delay_alu instid0(VALU_DEP_1)
	v_add_f64_e64 v[48:49], v[40:41], -v[38:39]
.LBB93_42:                              ;   in Loop: Header=BB93_7 Depth=1
	s_or_b32 exec_lo, exec_lo, s2
	v_dual_mul_f64 v[38:39], v[6:7], v[6:7] :: v_dual_bitop2_b32 v25, 1, v1 bitop3:0x40
	v_mul_f64_e32 v[40:41], v[46:47], v[46:47]
	v_cmp_class_f64_e64 s2, v[14:15], 0x1f8
	v_and_b32_e32 v14, 1, v53
	v_lshlrev_b32_e32 v1, 30, v1
	v_mul_f64_e32 v[56:57], 0.5, v[16:17]
	v_cmp_eq_u32_e32 vcc_lo, 0, v25
	s_delay_alu instid0(VALU_DEP_4) | instskip(NEXT) | instid1(VALU_DEP_4)
	v_cmp_eq_u32_e64 s3, 0, v14
	v_dual_lshlrev_b32 v14, 30, v53 :: v_dual_bitop2_b32 v1, v1, v15 bitop3:0x14
	v_mul_f64_e32 v[42:43], 0.5, v[38:39]
	v_mul_f64_e64 v[58:59], v[6:7], -v[38:39]
	v_fmamk_f64 v[62:63], v[38:39], 0x3de5e0b2f9a43bb8, v[34:35]
	v_mul_f64_e64 v[66:67], v[46:47], -v[40:41]
	v_fmamk_f64 v[68:69], v[40:41], 0x3de5e0b2f9a43bb8, v[34:35]
	s_delay_alu instid0(VALU_DEP_3) | instskip(NEXT) | instid1(VALU_DEP_2)
	v_fmaak_f64 v[62:63], v[38:39], v[62:63], 0x3ec71de3796cde01
	v_fmaak_f64 v[68:69], v[40:41], v[68:69], 0x3ec71de3796cde01
	s_delay_alu instid0(VALU_DEP_2) | instskip(NEXT) | instid1(VALU_DEP_1)
	v_fmaak_f64 v[62:63], v[38:39], v[62:63], 0xbf2a01a019e83e5c
	v_fmaak_f64 v[62:63], v[38:39], v[62:63], 0x3f81111111110bb3
	v_add_f64_e64 v[50:51], -v[42:43], 1.0
	s_delay_alu instid0(VALU_DEP_2) | instskip(SKIP_1) | instid1(VALU_DEP_3)
	v_fmac_f64_e32 v[56:57], v[58:59], v[62:63]
	v_mul_f64_e32 v[62:63], v[38:39], v[38:39]
	v_add_f64_e64 v[60:61], -v[50:51], 1.0
	s_delay_alu instid0(VALU_DEP_3) | instskip(NEXT) | instid1(VALU_DEP_2)
	v_fma_f64 v[56:57], v[38:39], v[56:57], -v[16:17]
	v_add_f64_e64 v[42:43], v[60:61], -v[42:43]
	s_delay_alu instid0(VALU_DEP_2) | instskip(SKIP_2) | instid1(VALU_DEP_2)
	v_fmac_f64_e32 v[56:57], 0xbfc5555555555555, v[58:59]
	v_fmaak_f64 v[60:61], v[40:41], v[68:69], 0xbf2a01a019e83e5c
	v_mul_f64_e32 v[68:69], v[40:41], v[40:41]
	v_fmaak_f64 v[60:61], v[40:41], v[60:61], 0x3f81111111110bb3
	v_fma_f64 v[16:17], v[6:7], -v[16:17], v[42:43]
	v_add_f64_e64 v[6:7], v[6:7], -v[56:57]
	v_mul_f64_e32 v[64:65], 0.5, v[48:49]
	s_delay_alu instid0(VALU_DEP_1) | instskip(SKIP_1) | instid1(VALU_DEP_1)
	v_fmac_f64_e32 v[64:65], v[66:67], v[60:61]
	v_fmamk_f64 v[60:61], v[38:39], 0xbda907db46cc5e42, v[32:33]
	v_fmaak_f64 v[42:43], v[38:39], v[60:61], 0xbe927e4fa17f65f6
	s_delay_alu instid0(VALU_DEP_1) | instskip(NEXT) | instid1(VALU_DEP_1)
	v_fmaak_f64 v[42:43], v[38:39], v[42:43], 0x3efa01a019f4ec90
	v_fmaak_f64 v[42:43], v[38:39], v[42:43], 0xbf56c16c16c16967
	s_delay_alu instid0(VALU_DEP_1) | instskip(SKIP_2) | instid1(VALU_DEP_3)
	v_fmaak_f64 v[38:39], v[38:39], v[42:43], 0x3fa5555555555555
	v_fma_f64 v[60:61], v[40:41], v[64:65], -v[48:49]
	v_fmamk_f64 v[64:65], v[40:41], 0xbda907db46cc5e42, v[32:33]
	v_fmac_f64_e32 v[16:17], v[62:63], v[38:39]
	s_delay_alu instid0(VALU_DEP_2) | instskip(NEXT) | instid1(VALU_DEP_1)
	v_fmaak_f64 v[42:43], v[40:41], v[64:65], 0xbe927e4fa17f65f6
	v_fmaak_f64 v[38:39], v[40:41], v[42:43], 0x3efa01a019f4ec90
	s_delay_alu instid0(VALU_DEP_1) | instskip(NEXT) | instid1(VALU_DEP_1)
	v_fmaak_f64 v[38:39], v[40:41], v[38:39], 0xbf56c16c16c16967
	v_fmaak_f64 v[38:39], v[40:41], v[38:39], 0x3fa5555555555555
	v_add_f64_e32 v[16:17], v[50:51], v[16:17]
	s_delay_alu instid0(VALU_DEP_1) | instskip(NEXT) | instid1(VALU_DEP_1)
	v_dual_mul_f64 v[44:45], 0.5, v[40:41] :: v_dual_cndmask_b32 v6, v16, v6, vcc_lo
	v_add_f64_e64 v[54:55], -v[44:45], 1.0
	s_delay_alu instid0(VALU_DEP_2) | instskip(SKIP_1) | instid1(VALU_DEP_2)
	v_dual_cndmask_b32 v7, v17, v7, vcc_lo :: v_dual_cndmask_b32 v6, 0, v6, s2
	v_fmac_f64_e32 v[60:61], 0xbfc5555555555555, v[66:67]
	v_bitop3_b32 v1, v7, v1, 0x80000000 bitop3:0x78
	s_delay_alu instid0(VALU_DEP_1) | instskip(SKIP_1) | instid1(VALU_DEP_1)
	v_cndmask_b32_e64 v7, 0x7ff80000, v1, s2
	v_add_f64_e64 v[70:71], -v[54:55], 1.0
	v_add_f64_e64 v[44:45], v[70:71], -v[44:45]
	s_delay_alu instid0(VALU_DEP_1) | instskip(NEXT) | instid1(VALU_DEP_1)
	v_fma_f64 v[44:45], v[46:47], -v[48:49], v[44:45]
	v_fmac_f64_e32 v[44:45], v[68:69], v[38:39]
	v_add_f64_e64 v[38:39], v[46:47], -v[60:61]
	s_delay_alu instid0(VALU_DEP_2) | instskip(NEXT) | instid1(VALU_DEP_2)
	v_add_f64_e32 v[40:41], v[54:55], v[44:45]
	v_xor_b32_e32 v16, 0x80000000, v39
	s_delay_alu instid0(VALU_DEP_1) | instskip(NEXT) | instid1(VALU_DEP_1)
	v_dual_cndmask_b32 v16, v16, v41, s3 :: v_dual_cndmask_b32 v15, v38, v40, s3
	v_bitop3_b32 v16, v16, v14, 0x80000000 bitop3:0x78
	s_delay_alu instid0(VALU_DEP_2) | instskip(NEXT) | instid1(VALU_DEP_2)
	v_cndmask_b32_e64 v14, 0, v15, s2
	v_cndmask_b32_e64 v15, 0x7ff80000, v16, s2
	s_delay_alu instid0(VALU_DEP_1)
	v_mul_f64_e32 v[14:15], v[6:7], v[14:15]
.LBB93_43:                              ;   in Loop: Header=BB93_7 Depth=1
	s_or_b32 exec_lo, exec_lo, s36
	s_delay_alu instid0(VALU_DEP_1) | instskip(SKIP_1) | instid1(VALU_DEP_2)
	v_bfi_b32 v25, 0x7fffffff, 0, v15
	v_add_nc_u32_e32 v9, -2.0, v9
	v_mov_b64_e32 v[6:7], v[24:25]
.LBB93_44:                              ;   in Loop: Header=BB93_7 Depth=1
	s_or_b32 exec_lo, exec_lo, s35
.LBB93_45:                              ;   in Loop: Header=BB93_7 Depth=1
	s_delay_alu instid0(SALU_CYCLE_1) | instskip(SKIP_4) | instid1(VALU_DEP_2)
	s_or_b32 exec_lo, exec_lo, s34
	s_wait_loadcnt 0x2
	v_xor_b32_e32 v17, 0x80000000, v21
	v_mov_b32_e32 v16, v20
	s_mov_b32 s2, exec_lo
	v_and_b32_e32 v1, 0x7fffffff, v17
	s_delay_alu instid0(VALU_DEP_1)
	v_cmpx_gt_u32_e32 0x7ff00000, v1
	s_xor_b32 s3, exec_lo, s2
	s_cbranch_execz .LBB93_67
; %bb.46:                               ;   in Loop: Header=BB93_7 Depth=1
	v_cmp_class_f64_e64 s2, v[18:19], 0x1f8
                                        ; implicit-def: $vgpr14_vgpr15
	s_and_saveexec_b32 s34, s2
	s_delay_alu instid0(SALU_CYCLE_1)
	s_xor_b32 s34, exec_lo, s34
	s_cbranch_execz .LBB93_64
; %bb.47:                               ;   in Loop: Header=BB93_7 Depth=1
                                        ; implicit-def: $vgpr14_vgpr15
	s_mov_b32 s2, exec_lo
	v_cmpx_gt_u32_e32 0x40360000, v1
	s_xor_b32 s35, exec_lo, s2
	s_cbranch_execz .LBB93_53
; %bb.48:                               ;   in Loop: Header=BB93_7 Depth=1
	v_cmp_ngt_f64_e64 s2, 0x41d00000, |v[18:19]|
                                        ; implicit-def: $vgpr1
                                        ; implicit-def: $vgpr14_vgpr15
                                        ; implicit-def: $vgpr16_vgpr17
	s_and_saveexec_b32 s36, s2
	s_delay_alu instid0(SALU_CYCLE_1)
	s_xor_b32 s2, exec_lo, s36
	s_cbranch_execz .LBB93_50
; %bb.49:                               ;   in Loop: Header=BB93_7 Depth=1
	v_ldexp_f64 v[14:15], |v[18:19]|, 0xffffff80
	v_cmp_le_f64_e64 vcc_lo, 0x7b000000, |v[18:19]|
	v_trig_preop_f64 v[16:17], |v[18:19]|, 0
	v_and_b32_e32 v1, 0x7fffffff, v19
	v_trig_preop_f64 v[38:39], |v[18:19]|, 1
	v_trig_preop_f64 v[48:49], |v[18:19]|, 2
	s_delay_alu instid0(VALU_DEP_3) | instskip(NEXT) | instid1(VALU_DEP_1)
	v_dual_cndmask_b32 v15, v1, v15 :: v_dual_cndmask_b32 v14, v18, v14
	v_mul_f64_e32 v[40:41], v[16:17], v[14:15]
	s_delay_alu instid0(VALU_DEP_4) | instskip(NEXT) | instid1(VALU_DEP_4)
	v_mul_f64_e32 v[42:43], v[38:39], v[14:15]
	v_mul_f64_e32 v[54:55], v[48:49], v[14:15]
	s_delay_alu instid0(VALU_DEP_3) | instskip(NEXT) | instid1(VALU_DEP_3)
	v_fma_f64 v[16:17], v[16:17], v[14:15], -v[40:41]
	v_fma_f64 v[38:39], v[38:39], v[14:15], -v[42:43]
	s_delay_alu instid0(VALU_DEP_3) | instskip(NEXT) | instid1(VALU_DEP_3)
	v_fma_f64 v[14:15], v[48:49], v[14:15], -v[54:55]
	v_add_f64_e32 v[44:45], v[42:43], v[16:17]
	s_delay_alu instid0(VALU_DEP_1) | instskip(SKIP_1) | instid1(VALU_DEP_2)
	v_add_f64_e64 v[46:47], v[44:45], -v[42:43]
	v_add_f64_e32 v[52:53], v[40:41], v[44:45]
	v_add_f64_e64 v[50:51], v[44:45], -v[46:47]
	v_add_f64_e64 v[16:17], v[16:17], -v[46:47]
	s_delay_alu instid0(VALU_DEP_3) | instskip(NEXT) | instid1(VALU_DEP_3)
	v_ldexp_f64 v[46:47], v[52:53], -2
	v_add_f64_e64 v[42:43], v[42:43], -v[50:51]
	v_add_f64_e32 v[50:51], v[54:55], v[38:39]
	s_delay_alu instid0(VALU_DEP_3) | instskip(NEXT) | instid1(VALU_DEP_3)
	v_cmp_neq_f64_e64 vcc_lo, 0x7ff00000, |v[46:47]|
	v_add_f64_e32 v[16:17], v[16:17], v[42:43]
	v_fract_f64_e32 v[42:43], v[46:47]
	s_delay_alu instid0(VALU_DEP_1) | instskip(NEXT) | instid1(VALU_DEP_1)
	v_ldexp_f64 v[42:43], v[42:43], 2
	v_dual_add_f64 v[40:41], v[52:53], -v[40:41] :: v_dual_cndmask_b32 v42, 0, v42, vcc_lo
	s_delay_alu instid0(VALU_DEP_1) | instskip(SKIP_1) | instid1(VALU_DEP_1)
	v_dual_add_f64 v[40:41], v[44:45], -v[40:41] :: v_dual_cndmask_b32 v43, 0, v43, vcc_lo
	v_add_f64_e32 v[44:45], v[50:51], v[16:17]
	v_add_f64_e32 v[46:47], v[40:41], v[44:45]
	v_add_f64_e64 v[56:57], v[44:45], -v[50:51]
	s_delay_alu instid0(VALU_DEP_2) | instskip(NEXT) | instid1(VALU_DEP_2)
	v_add_f64_e32 v[52:53], v[46:47], v[42:43]
	v_add_f64_e64 v[62:63], v[44:45], -v[56:57]
	v_add_f64_e64 v[16:17], v[16:17], -v[56:57]
	;; [unrolled: 1-line block ×3, first 2 shown]
	s_delay_alu instid0(VALU_DEP_4) | instskip(SKIP_1) | instid1(VALU_DEP_3)
	v_cmp_gt_f64_e32 vcc_lo, 0, v[52:53]
	v_add_f64_e64 v[52:53], v[50:51], -v[54:55]
	v_add_f64_e64 v[40:41], v[44:45], -v[40:41]
	v_cndmask_b32_e64 v25, 0, 0x40100000, vcc_lo
	s_delay_alu instid0(VALU_DEP_3) | instskip(SKIP_2) | instid1(VALU_DEP_4)
	v_add_f64_e64 v[60:61], v[50:51], -v[52:53]
	v_add_f64_e64 v[38:39], v[38:39], -v[52:53]
	;; [unrolled: 1-line block ×3, first 2 shown]
	v_add_f64_e32 v[42:43], v[42:43], v[24:25]
	s_delay_alu instid0(VALU_DEP_4) | instskip(NEXT) | instid1(VALU_DEP_3)
	v_add_f64_e64 v[52:53], v[54:55], -v[60:61]
	v_add_f64_e32 v[16:17], v[16:17], v[50:51]
	s_delay_alu instid0(VALU_DEP_3) | instskip(NEXT) | instid1(VALU_DEP_3)
	v_add_f64_e32 v[58:59], v[46:47], v[42:43]
	v_add_f64_e32 v[38:39], v[38:39], v[52:53]
	s_delay_alu instid0(VALU_DEP_2) | instskip(NEXT) | instid1(VALU_DEP_2)
	v_cvt_i32_f64_e32 v1, v[58:59]
	v_add_f64_e32 v[16:17], v[38:39], v[16:17]
	s_delay_alu instid0(VALU_DEP_2) | instskip(NEXT) | instid1(VALU_DEP_2)
	v_cvt_f64_i32_e32 v[56:57], v1
	v_add_f64_e32 v[14:15], v[14:15], v[16:17]
	s_delay_alu instid0(VALU_DEP_2) | instskip(NEXT) | instid1(VALU_DEP_2)
	v_add_f64_e64 v[42:43], v[42:43], -v[56:57]
	v_add_f64_e32 v[14:15], v[40:41], v[14:15]
	s_delay_alu instid0(VALU_DEP_2) | instskip(NEXT) | instid1(VALU_DEP_1)
	v_add_f64_e32 v[38:39], v[46:47], v[42:43]
	v_add_f64_e64 v[16:17], v[38:39], -v[42:43]
	v_cmp_le_f64_e32 vcc_lo, 0.5, v[38:39]
	s_delay_alu instid0(VALU_DEP_2) | instskip(SKIP_2) | instid1(VALU_DEP_3)
	v_add_f64_e64 v[16:17], v[46:47], -v[16:17]
	v_cndmask_b32_e64 v25, 0, 0x3ff00000, vcc_lo
	v_add_co_ci_u32_e64 v1, null, 0, v1, vcc_lo
	v_add_f64_e32 v[14:15], v[14:15], v[16:17]
	s_delay_alu instid0(VALU_DEP_3) | instskip(NEXT) | instid1(VALU_DEP_1)
	v_add_f64_e64 v[16:17], v[38:39], -v[24:25]
	v_add_f64_e32 v[38:39], v[16:17], v[14:15]
	s_delay_alu instid0(VALU_DEP_1) | instskip(SKIP_1) | instid1(VALU_DEP_2)
	v_mul_f64_e32 v[40:41], 0x3ff921fb54442d18, v[38:39]
	v_add_f64_e64 v[16:17], v[38:39], -v[16:17]
	v_fma_f64 v[42:43], v[38:39], s[12:13], -v[40:41]
	s_delay_alu instid0(VALU_DEP_2) | instskip(NEXT) | instid1(VALU_DEP_2)
	v_add_f64_e64 v[14:15], v[14:15], -v[16:17]
	v_fmac_f64_e32 v[42:43], 0x3c91a62633145c07, v[38:39]
	s_delay_alu instid0(VALU_DEP_1) | instskip(NEXT) | instid1(VALU_DEP_1)
	v_fmac_f64_e32 v[42:43], 0x3ff921fb54442d18, v[14:15]
	v_add_f64_e32 v[14:15], v[40:41], v[42:43]
	s_delay_alu instid0(VALU_DEP_1) | instskip(NEXT) | instid1(VALU_DEP_1)
	v_add_f64_e64 v[16:17], v[14:15], -v[40:41]
	v_add_f64_e64 v[16:17], v[42:43], -v[16:17]
.LBB93_50:                              ;   in Loop: Header=BB93_7 Depth=1
	s_and_not1_saveexec_b32 s2, s2
	s_cbranch_execz .LBB93_52
; %bb.51:                               ;   in Loop: Header=BB93_7 Depth=1
	v_mul_f64_e64 v[14:15], |v[18:19]|, s[14:15]
	s_delay_alu instid0(VALU_DEP_1) | instskip(NEXT) | instid1(VALU_DEP_1)
	v_rndne_f64_e32 v[38:39], v[14:15]
	v_fma_f64 v[14:15], v[38:39], s[16:17], |v[18:19]|
	v_mul_f64_e32 v[16:17], 0xbc91a62633145c00, v[38:39]
	v_cvt_i32_f64_e32 v1, v[38:39]
	s_delay_alu instid0(VALU_DEP_3) | instskip(NEXT) | instid1(VALU_DEP_3)
	v_fmamk_f64 v[44:45], v[38:39], 0xbc91a62633145c00, v[14:15]
	v_add_f64_e32 v[40:41], v[14:15], v[16:17]
	s_delay_alu instid0(VALU_DEP_1) | instskip(NEXT) | instid1(VALU_DEP_3)
	v_add_f64_e64 v[42:43], v[14:15], -v[40:41]
	v_add_f64_e64 v[14:15], v[40:41], -v[44:45]
	s_delay_alu instid0(VALU_DEP_2) | instskip(SKIP_1) | instid1(VALU_DEP_2)
	v_add_f64_e32 v[40:41], v[42:43], v[16:17]
	v_fmamk_f64 v[16:17], v[38:39], 0x3c91a62633145c00, v[16:17]
	v_add_f64_e32 v[14:15], v[14:15], v[40:41]
	s_delay_alu instid0(VALU_DEP_1) | instskip(NEXT) | instid1(VALU_DEP_1)
	v_add_f64_e64 v[16:17], v[14:15], -v[16:17]
	v_fmac_f64_e32 v[16:17], 0xb97b839a252049c0, v[38:39]
	s_delay_alu instid0(VALU_DEP_1) | instskip(NEXT) | instid1(VALU_DEP_1)
	v_add_f64_e32 v[14:15], v[44:45], v[16:17]
	v_add_f64_e64 v[40:41], v[14:15], -v[44:45]
	s_delay_alu instid0(VALU_DEP_1)
	v_add_f64_e64 v[16:17], v[16:17], -v[40:41]
.LBB93_52:                              ;   in Loop: Header=BB93_7 Depth=1
	s_or_b32 exec_lo, exec_lo, s2
	v_add_f64_e64 v[38:39], |v[20:21]|, s[18:19]
	v_cmp_nge_f64_e64 vcc_lo, |v[20:21]|, s[20:21]
	v_dual_mul_f64 v[56:57], v[14:15], v[14:15] :: v_dual_bitop2_b32 v1, 1, v1 bitop3:0x40
	s_delay_alu instid0(VALU_DEP_4) | instskip(NEXT) | instid1(VALU_DEP_2)
	v_add_f64_e32 v[58:59], v[16:17], v[16:17]
	v_cmp_eq_u32_e64 s2, 0, v1
	v_add_f64_e64 v[40:41], v[38:39], -|v[20:21]|
	s_delay_alu instid0(VALU_DEP_4) | instskip(NEXT) | instid1(VALU_DEP_2)
	v_fma_f64 v[60:61], v[14:15], v[14:15], -v[56:57]
	v_add_f64_e64 v[42:43], v[40:41], -v[38:39]
	v_add_f64_e32 v[40:41], 0x3fe62e42fefa39ef, v[40:41]
	s_delay_alu instid0(VALU_DEP_3) | instskip(NEXT) | instid1(VALU_DEP_3)
	v_fmac_f64_e32 v[60:61], v[14:15], v[58:59]
	v_add_f64_e64 v[42:43], |v[20:21]|, v[42:43]
	s_delay_alu instid0(VALU_DEP_2) | instskip(NEXT) | instid1(VALU_DEP_2)
	v_add_f64_e32 v[56:57], v[56:57], v[60:61]
	v_add_f64_e64 v[40:41], v[42:43], -v[40:41]
	s_delay_alu instid0(VALU_DEP_2) | instskip(NEXT) | instid1(VALU_DEP_1)
	v_fmamk_f64 v[60:61], v[56:57], 0x3ef5e089c751c08c, v[28:29]
	v_fmaak_f64 v[60:61], v[56:57], v[60:61], 0x3f17746f90a8aae0
	s_delay_alu instid0(VALU_DEP_1) | instskip(NEXT) | instid1(VALU_DEP_4)
	v_fmaak_f64 v[60:61], v[56:57], v[60:61], 0xbefbb44da6fbf144
	v_add_f64_e32 v[40:41], 0xbc7abc9e3b39803f, v[40:41]
	s_delay_alu instid0(VALU_DEP_1) | instskip(NEXT) | instid1(VALU_DEP_1)
	v_add_f64_e32 v[42:43], v[38:39], v[40:41]
	v_mul_f64_e32 v[44:45], 0x3ff71547652b82fe, v[42:43]
	v_add_f64_e64 v[38:39], v[38:39], -v[42:43]
	s_delay_alu instid0(VALU_DEP_2) | instskip(NEXT) | instid1(VALU_DEP_2)
	v_rndne_f64_e32 v[44:45], v[44:45]
	v_add_f64_e32 v[38:39], v[40:41], v[38:39]
	s_delay_alu instid0(VALU_DEP_2) | instskip(SKIP_2) | instid1(VALU_DEP_3)
	v_fmac_f64_e32 v[42:43], 0xbfe62e42fefa3000, v[44:45]
	v_mul_f64_e32 v[40:41], 0xbd53de6af278e000, v[44:45]
	v_cvt_i32_f64_e32 v18, v[44:45]
	v_add_f64_e32 v[46:47], v[38:39], v[42:43]
	s_delay_alu instid0(VALU_DEP_1) | instskip(SKIP_1) | instid1(VALU_DEP_2)
	v_add_f64_e32 v[48:49], v[46:47], v[40:41]
	v_add_f64_e64 v[42:43], v[42:43], -v[46:47]
	v_add_f64_e64 v[46:47], v[46:47], -v[48:49]
	s_delay_alu instid0(VALU_DEP_2) | instskip(NEXT) | instid1(VALU_DEP_2)
	v_add_f64_e32 v[38:39], v[38:39], v[42:43]
	v_add_f64_e32 v[40:41], v[46:47], v[40:41]
	s_delay_alu instid0(VALU_DEP_1) | instskip(SKIP_1) | instid1(VALU_DEP_2)
	v_add_f64_e32 v[38:39], v[38:39], v[40:41]
	v_mul_f64_e32 v[40:41], 0xbac9cc01f97b57a0, v[44:45]
	v_add_f64_e32 v[42:43], v[48:49], v[38:39]
	s_delay_alu instid0(VALU_DEP_1) | instskip(SKIP_1) | instid1(VALU_DEP_2)
	v_add_f64_e32 v[46:47], v[42:43], v[40:41]
	v_add_f64_e64 v[48:49], v[48:49], -v[42:43]
	v_add_f64_e64 v[42:43], v[42:43], -v[46:47]
	s_delay_alu instid0(VALU_DEP_2) | instskip(NEXT) | instid1(VALU_DEP_2)
	v_add_f64_e32 v[38:39], v[38:39], v[48:49]
	v_add_f64_e32 v[40:41], v[42:43], v[40:41]
	s_delay_alu instid0(VALU_DEP_1) | instskip(NEXT) | instid1(VALU_DEP_1)
	v_add_f64_e32 v[38:39], v[38:39], v[40:41]
	v_add_f64_e32 v[40:41], v[46:47], v[38:39]
	s_delay_alu instid0(VALU_DEP_1) | instskip(SKIP_1) | instid1(VALU_DEP_2)
	v_add_f64_e64 v[42:43], v[46:47], -v[40:41]
	v_mul_f64_e32 v[46:47], v[40:41], v[40:41]
	v_add_f64_e32 v[38:39], v[38:39], v[42:43]
	s_delay_alu instid0(VALU_DEP_2) | instskip(NEXT) | instid1(VALU_DEP_2)
	v_fma_f64 v[42:43], v[40:41], v[40:41], -v[46:47]
	v_add_f64_e32 v[48:49], v[38:39], v[38:39]
	s_delay_alu instid0(VALU_DEP_1) | instskip(SKIP_1) | instid1(VALU_DEP_1)
	v_fmac_f64_e32 v[42:43], v[40:41], v[48:49]
	v_fmamk_f64 v[48:49], v[40:41], 0x3e5ade156a5dcb37, v[30:31]
	v_fmaak_f64 v[48:49], v[40:41], v[48:49], 0x3ec71dee623fde64
	s_delay_alu instid0(VALU_DEP_1) | instskip(NEXT) | instid1(VALU_DEP_1)
	v_fmaak_f64 v[48:49], v[40:41], v[48:49], 0x3efa01997c89e6b0
	v_fmaak_f64 v[48:49], v[40:41], v[48:49], 0x3f2a01a014761f6e
	s_delay_alu instid0(VALU_DEP_1) | instskip(SKIP_1) | instid1(VALU_DEP_2)
	v_fmaak_f64 v[48:49], v[40:41], v[48:49], 0x3f56c16c1852b7b0
	v_add_f64_e32 v[50:51], v[46:47], v[42:43]
	v_fmaak_f64 v[48:49], v[40:41], v[48:49], 0x3f81111111122322
	s_delay_alu instid0(VALU_DEP_1) | instskip(NEXT) | instid1(VALU_DEP_1)
	v_fmaak_f64 v[48:49], v[40:41], v[48:49], 0x3fa55555555502a1
	v_fmaak_f64 v[48:49], v[40:41], v[48:49], 0x3fc5555555555511
	s_delay_alu instid0(VALU_DEP_1) | instskip(SKIP_1) | instid1(VALU_DEP_2)
	v_fmaak_f64 v[48:49], v[40:41], v[48:49], 0x3fe000000000000b
	v_add_f64_e64 v[46:47], v[50:51], -v[46:47]
	v_mul_f64_e32 v[52:53], v[50:51], v[48:49]
	s_delay_alu instid0(VALU_DEP_2) | instskip(NEXT) | instid1(VALU_DEP_2)
	v_add_f64_e64 v[42:43], v[42:43], -v[46:47]
	v_fma_f64 v[46:47], v[50:51], v[48:49], -v[52:53]
	s_delay_alu instid0(VALU_DEP_1) | instskip(NEXT) | instid1(VALU_DEP_1)
	v_fmac_f64_e32 v[46:47], v[42:43], v[48:49]
	v_add_f64_e32 v[42:43], v[52:53], v[46:47]
	s_delay_alu instid0(VALU_DEP_1) | instskip(SKIP_1) | instid1(VALU_DEP_2)
	v_add_f64_e32 v[48:49], v[40:41], v[42:43]
	v_add_f64_e64 v[50:51], v[42:43], -v[52:53]
	v_add_f64_e64 v[40:41], v[48:49], -v[40:41]
	s_delay_alu instid0(VALU_DEP_2) | instskip(NEXT) | instid1(VALU_DEP_2)
	v_add_f64_e64 v[46:47], v[46:47], -v[50:51]
	v_add_f64_e64 v[40:41], v[42:43], -v[40:41]
	s_delay_alu instid0(VALU_DEP_2) | instskip(NEXT) | instid1(VALU_DEP_1)
	v_add_f64_e32 v[38:39], v[38:39], v[46:47]
	v_add_f64_e32 v[38:39], v[38:39], v[40:41]
	s_delay_alu instid0(VALU_DEP_1) | instskip(NEXT) | instid1(VALU_DEP_1)
	v_add_f64_e32 v[40:41], v[48:49], v[38:39]
	v_add_f64_e32 v[42:43], 1.0, v[40:41]
	v_add_f64_e64 v[46:47], v[40:41], -v[48:49]
	s_delay_alu instid0(VALU_DEP_2) | instskip(NEXT) | instid1(VALU_DEP_2)
	v_add_f64_e32 v[48:49], -1.0, v[42:43]
	v_add_f64_e64 v[38:39], v[38:39], -v[46:47]
	s_delay_alu instid0(VALU_DEP_2) | instskip(NEXT) | instid1(VALU_DEP_1)
	v_add_f64_e64 v[40:41], v[40:41], -v[48:49]
	v_add_f64_e32 v[38:39], v[38:39], v[40:41]
	s_delay_alu instid0(VALU_DEP_1) | instskip(NEXT) | instid1(VALU_DEP_1)
	v_add_f64_e32 v[40:41], v[42:43], v[38:39]
	v_ldexp_f64 v[44:45], v[40:41], v18
	v_add_f64_e64 v[40:41], v[40:41], -v[42:43]
	s_delay_alu instid0(VALU_DEP_2) | instskip(NEXT) | instid1(VALU_DEP_1)
	v_rcp_f64_e32 v[46:47], v[44:45]
	v_add_f64_e64 v[38:39], v[38:39], -v[40:41]
	s_delay_alu instid0(VALU_DEP_1) | instskip(NEXT) | instid1(TRANS32_DEP_1)
	v_ldexp_f64 v[38:39], v[38:39], v18
	v_fma_f64 v[48:49], -v[44:45], v[46:47], 1.0
	s_delay_alu instid0(VALU_DEP_1) | instskip(NEXT) | instid1(VALU_DEP_1)
	v_fmac_f64_e32 v[46:47], v[48:49], v[46:47]
	v_fma_f64 v[48:49], -v[44:45], v[46:47], 1.0
	s_delay_alu instid0(VALU_DEP_1) | instskip(NEXT) | instid1(VALU_DEP_1)
	v_fmac_f64_e32 v[46:47], v[48:49], v[46:47]
	v_mul_f64_e32 v[40:41], v[44:45], v[46:47]
	s_delay_alu instid0(VALU_DEP_1) | instskip(NEXT) | instid1(VALU_DEP_1)
	v_fma_f64 v[42:43], v[46:47], v[44:45], -v[40:41]
	v_fmac_f64_e32 v[42:43], v[46:47], v[38:39]
	s_delay_alu instid0(VALU_DEP_1) | instskip(NEXT) | instid1(VALU_DEP_1)
	v_add_f64_e32 v[48:49], v[40:41], v[42:43]
	v_add_f64_e64 v[50:51], -v[48:49], 1.0
	v_add_f64_e64 v[40:41], v[48:49], -v[40:41]
	s_delay_alu instid0(VALU_DEP_2) | instskip(NEXT) | instid1(VALU_DEP_2)
	v_add_f64_e64 v[52:53], -v[50:51], 1.0
	v_add_f64_e64 v[40:41], v[40:41], -v[42:43]
	s_delay_alu instid0(VALU_DEP_2) | instskip(NEXT) | instid1(VALU_DEP_1)
	v_add_f64_e64 v[42:43], v[52:53], -v[48:49]
	v_add_f64_e32 v[40:41], v[40:41], v[42:43]
	s_delay_alu instid0(VALU_DEP_1) | instskip(NEXT) | instid1(VALU_DEP_1)
	v_add_f64_e32 v[42:43], v[50:51], v[40:41]
	v_mul_f64_e32 v[48:49], v[46:47], v[42:43]
	v_add_f64_e64 v[50:51], v[50:51], -v[42:43]
	s_delay_alu instid0(VALU_DEP_2) | instskip(NEXT) | instid1(VALU_DEP_2)
	v_mul_f64_e32 v[52:53], v[44:45], v[48:49]
	v_add_f64_e32 v[40:41], v[40:41], v[50:51]
	s_delay_alu instid0(VALU_DEP_2) | instskip(NEXT) | instid1(VALU_DEP_1)
	v_fma_f64 v[54:55], v[48:49], v[44:45], -v[52:53]
	v_fmac_f64_e32 v[54:55], v[48:49], v[38:39]
	s_delay_alu instid0(VALU_DEP_1) | instskip(NEXT) | instid1(VALU_DEP_1)
	v_add_f64_e32 v[62:63], v[52:53], v[54:55]
	v_add_f64_e64 v[58:59], v[42:43], -v[62:63]
	v_add_f64_e64 v[50:51], v[62:63], -v[52:53]
	v_fmaak_f64 v[52:53], v[56:57], v[60:61], 0x3f21e634a7943acf
	s_delay_alu instid0(VALU_DEP_1) | instskip(NEXT) | instid1(VALU_DEP_1)
	v_fmaak_f64 v[52:53], v[56:57], v[52:53], 0x3f2d250fdeb68feb
	v_fmaak_f64 v[52:53], v[56:57], v[52:53], 0x3f437fd9b58c4d95
	s_delay_alu instid0(VALU_DEP_1) | instskip(NEXT) | instid1(VALU_DEP_1)
	v_fmaak_f64 v[52:53], v[56:57], v[52:53], 0x3f57d5af15120e2c
	v_fmaak_f64 v[52:53], v[56:57], v[52:53], 0x3f6d6d93e09491df
	v_add_f64_e64 v[42:43], v[42:43], -v[58:59]
	v_add_f64_e64 v[50:51], v[50:51], -v[54:55]
	s_delay_alu instid0(VALU_DEP_2) | instskip(NEXT) | instid1(VALU_DEP_1)
	v_add_f64_e64 v[42:43], v[42:43], -v[62:63]
	v_add_f64_e32 v[40:41], v[40:41], v[42:43]
	v_fmaak_f64 v[42:43], v[56:57], v[52:53], 0x3f8226e12033784d
	v_add_f64_e32 v[52:53], v[46:47], v[48:49]
	s_delay_alu instid0(VALU_DEP_2) | instskip(NEXT) | instid1(VALU_DEP_1)
	v_fmaak_f64 v[42:43], v[56:57], v[42:43], 0x3f9664f49ac36ae2
	v_fmaak_f64 v[42:43], v[56:57], v[42:43], 0x3faba1ba1b451c21
	s_delay_alu instid0(VALU_DEP_1) | instskip(NEXT) | instid1(VALU_DEP_1)
	v_fmaak_f64 v[42:43], v[56:57], v[42:43], 0x3fc11111111185b7
	v_fmaak_f64 v[42:43], v[56:57], v[42:43], 0x3fd55555555554ee
	v_add_f64_e32 v[40:41], v[50:51], v[40:41]
	v_add_f64_e64 v[50:51], v[52:53], -v[46:47]
	s_delay_alu instid0(VALU_DEP_3) | instskip(NEXT) | instid1(VALU_DEP_3)
	v_mul_f64_e32 v[42:43], v[56:57], v[42:43]
	v_add_f64_e32 v[40:41], v[58:59], v[40:41]
	s_delay_alu instid0(VALU_DEP_3) | instskip(NEXT) | instid1(VALU_DEP_3)
	v_add_f64_e64 v[48:49], v[48:49], -v[50:51]
	v_mul_f64_e32 v[54:55], v[14:15], v[42:43]
	s_delay_alu instid0(VALU_DEP_3) | instskip(NEXT) | instid1(VALU_DEP_2)
	v_mul_f64_e32 v[40:41], v[46:47], v[40:41]
	v_add_f64_e32 v[46:47], v[14:15], v[54:55]
	v_fma_f64 v[42:43], v[14:15], v[42:43], -v[54:55]
	s_delay_alu instid0(VALU_DEP_3) | instskip(NEXT) | instid1(VALU_DEP_3)
	v_add_f64_e32 v[40:41], v[48:49], v[40:41]
	v_add_f64_e64 v[14:15], v[46:47], -v[14:15]
	s_delay_alu instid0(VALU_DEP_3) | instskip(NEXT) | instid1(VALU_DEP_3)
	v_add_f64_e32 v[16:17], v[16:17], v[42:43]
	v_add_f64_e32 v[48:49], v[52:53], v[40:41]
	s_delay_alu instid0(VALU_DEP_3) | instskip(NEXT) | instid1(VALU_DEP_2)
	v_add_f64_e64 v[14:15], v[54:55], -v[14:15]
	v_ldexp_f64 v[42:43], v[48:49], -2
	v_add_f64_e64 v[48:49], v[48:49], -v[52:53]
	s_delay_alu instid0(VALU_DEP_3) | instskip(NEXT) | instid1(VALU_DEP_3)
	v_add_f64_e32 v[14:15], v[16:17], v[14:15]
	v_add_f64_e64 v[16:17], v[44:45], -v[42:43]
	s_delay_alu instid0(VALU_DEP_3) | instskip(NEXT) | instid1(VALU_DEP_3)
	v_add_f64_e64 v[40:41], v[40:41], -v[48:49]
	v_add_f64_e32 v[50:51], v[46:47], v[14:15]
	s_delay_alu instid0(VALU_DEP_3) | instskip(NEXT) | instid1(VALU_DEP_3)
	v_add_f64_e64 v[44:45], v[44:45], -v[16:17]
	v_ldexp_f64 v[40:41], v[40:41], -2
	s_delay_alu instid0(VALU_DEP_3) | instskip(NEXT) | instid1(VALU_DEP_2)
	v_rcp_f64_e32 v[52:53], v[50:51]
	v_add_f64_e64 v[42:43], v[44:45], -v[42:43]
	s_delay_alu instid0(TRANS32_DEP_1) | instskip(NEXT) | instid1(VALU_DEP_2)
	v_fma_f64 v[44:45], -v[50:51], v[52:53], 1.0
	v_add_f64_e32 v[38:39], v[38:39], v[42:43]
	s_delay_alu instid0(VALU_DEP_2) | instskip(NEXT) | instid1(VALU_DEP_2)
	v_fmac_f64_e32 v[52:53], v[44:45], v[52:53]
	v_add_f64_e64 v[38:39], v[38:39], -v[40:41]
	s_delay_alu instid0(VALU_DEP_2) | instskip(NEXT) | instid1(VALU_DEP_2)
	v_fma_f64 v[40:41], -v[50:51], v[52:53], 1.0
	v_add_f64_e32 v[16:17], v[16:17], v[38:39]
	s_delay_alu instid0(VALU_DEP_2) | instskip(SKIP_1) | instid1(VALU_DEP_3)
	v_fmac_f64_e32 v[52:53], v[40:41], v[52:53]
	v_and_b32_e32 v40, 0x7fffffff, v21
	v_cndmask_b32_e32 v18, 0x7ff00000, v17, vcc_lo
	s_delay_alu instid0(VALU_DEP_4)
	v_cndmask_b32_e32 v25, 0, v16, vcc_lo
	v_cmp_gt_f64_e64 vcc_lo, 0x3e400000, |v[20:21]|
	v_xor_b32_e32 v21, 0x80000000, v21
	v_add_f64_e64 v[16:17], v[50:51], -v[46:47]
	v_mul_f64_e32 v[38:39], v[50:51], v[52:53]
	v_cndmask_b32_e32 v18, v18, v40, vcc_lo
	v_cndmask_b32_e32 v20, v25, v20, vcc_lo
	s_delay_alu instid0(VALU_DEP_4) | instskip(NEXT) | instid1(VALU_DEP_3)
	v_add_f64_e64 v[14:15], v[14:15], -v[16:17]
	v_bfi_b32 v21, 0x7fffffff, v18, v21
	v_fma_f64 v[16:17], v[52:53], v[50:51], -v[38:39]
	s_delay_alu instid0(VALU_DEP_2) | instskip(NEXT) | instid1(VALU_DEP_2)
	v_fma_f64 v[40:41], v[20:21], v[20:21], 1.0
	v_fmac_f64_e32 v[16:17], v[52:53], v[14:15]
	s_delay_alu instid0(VALU_DEP_2) | instskip(SKIP_1) | instid1(VALU_DEP_1)
	v_cmp_gt_f64_e32 vcc_lo, 0x10000000, v[40:41]
	v_cndmask_b32_e64 v18, 0, 0x100, vcc_lo
	v_ldexp_f64 v[14:15], v[40:41], v18
	s_delay_alu instid0(VALU_DEP_4) | instskip(NEXT) | instid1(VALU_DEP_2)
	v_add_f64_e32 v[40:41], v[38:39], v[16:17]
	v_rsq_f64_e32 v[42:43], v[14:15]
	s_delay_alu instid0(VALU_DEP_1) | instskip(SKIP_1) | instid1(VALU_DEP_2)
	v_add_f64_e64 v[44:45], -v[40:41], 1.0
	v_add_f64_e64 v[38:39], v[40:41], -v[38:39]
	v_add_f64_e64 v[48:49], -v[44:45], 1.0
	s_delay_alu instid0(VALU_DEP_2) | instskip(NEXT) | instid1(TRANS32_DEP_1)
	v_add_f64_e64 v[16:17], v[38:39], -v[16:17]
	v_mul_f64_e32 v[46:47], v[14:15], v[42:43]
	v_mul_f64_e32 v[42:43], 0.5, v[42:43]
	s_delay_alu instid0(VALU_DEP_4) | instskip(NEXT) | instid1(VALU_DEP_2)
	v_add_f64_e64 v[38:39], v[48:49], -v[40:41]
	v_fma_f64 v[54:55], -v[42:43], v[46:47], 0.5
	s_delay_alu instid0(VALU_DEP_2) | instskip(NEXT) | instid1(VALU_DEP_2)
	v_add_f64_e32 v[16:17], v[16:17], v[38:39]
	v_fmac_f64_e32 v[46:47], v[46:47], v[54:55]
	v_fmac_f64_e32 v[42:43], v[42:43], v[54:55]
	s_delay_alu instid0(VALU_DEP_3) | instskip(NEXT) | instid1(VALU_DEP_3)
	v_add_f64_e32 v[16:17], v[44:45], v[16:17]
	v_fma_f64 v[38:39], -v[46:47], v[46:47], v[14:15]
	s_delay_alu instid0(VALU_DEP_2) | instskip(NEXT) | instid1(VALU_DEP_2)
	v_mul_f64_e32 v[16:17], v[52:53], v[16:17]
	v_fmac_f64_e32 v[46:47], v[38:39], v[42:43]
	s_delay_alu instid0(VALU_DEP_2) | instskip(NEXT) | instid1(VALU_DEP_2)
	v_add_f64_e32 v[16:17], v[52:53], v[16:17]
	v_fma_f64 v[38:39], -v[46:47], v[46:47], v[14:15]
	s_delay_alu instid0(VALU_DEP_2) | instskip(NEXT) | instid1(VALU_DEP_3)
	v_xor_b32_e32 v17, 0x80000000, v17
	v_cndmask_b32_e64 v18, v16, v50, s2
	v_cndmask_b32_e64 v16, 0, 0xffffff80, vcc_lo
	v_cmp_class_f64_e64 vcc_lo, v[14:15], 0x260
	s_delay_alu instid0(VALU_DEP_4) | instskip(SKIP_1) | instid1(VALU_DEP_2)
	v_cndmask_b32_e64 v1, v17, v51, s2
	v_fmac_f64_e32 v[46:47], v[38:39], v[42:43]
	v_bitop3_b32 v19, v1, v19, 0x80000000 bitop3:0x78
	s_delay_alu instid0(VALU_DEP_1) | instskip(NEXT) | instid1(VALU_DEP_3)
	v_fma_f64 v[38:39], v[18:19], v[18:19], 1.0
	v_ldexp_f64 v[16:17], v[46:47], v16
	s_delay_alu instid0(VALU_DEP_1) | instskip(NEXT) | instid1(VALU_DEP_3)
	v_dual_cndmask_b32 v15, v17, v15 :: v_dual_cndmask_b32 v14, v16, v14
	v_mul_f64_e32 v[16:17], v[20:21], v[38:39]
	s_delay_alu instid0(VALU_DEP_2) | instskip(NEXT) | instid1(VALU_DEP_2)
	v_mul_f64_e32 v[14:15], v[14:15], v[38:39]
	v_fma_f64 v[38:39], v[20:21], v[16:17], 1.0
	s_delay_alu instid0(VALU_DEP_2) | instskip(NEXT) | instid1(VALU_DEP_2)
	v_mul_f64_e32 v[14:15], v[20:21], v[14:15]
	v_div_scale_f64 v[20:21], null, v[38:39], v[38:39], v[18:19]
	s_delay_alu instid0(VALU_DEP_2) | instskip(SKIP_1) | instid1(VALU_DEP_3)
	v_div_scale_f64 v[16:17], null, v[38:39], v[38:39], v[14:15]
	v_div_scale_f64 v[48:49], vcc_lo, v[14:15], v[38:39], v[14:15]
	v_rcp_f64_e32 v[42:43], v[20:21]
	s_delay_alu instid0(VALU_DEP_2) | instskip(NEXT) | instid1(TRANS32_DEP_2)
	v_rcp_f64_e32 v[40:41], v[16:17]
	v_fma_f64 v[46:47], -v[20:21], v[42:43], 1.0
	s_delay_alu instid0(TRANS32_DEP_1) | instskip(NEXT) | instid1(VALU_DEP_2)
	v_fma_f64 v[44:45], -v[16:17], v[40:41], 1.0
	v_fmac_f64_e32 v[42:43], v[42:43], v[46:47]
	s_delay_alu instid0(VALU_DEP_2) | instskip(NEXT) | instid1(VALU_DEP_2)
	v_fmac_f64_e32 v[40:41], v[40:41], v[44:45]
	v_fma_f64 v[46:47], -v[20:21], v[42:43], 1.0
	s_delay_alu instid0(VALU_DEP_2) | instskip(NEXT) | instid1(VALU_DEP_2)
	v_fma_f64 v[44:45], -v[16:17], v[40:41], 1.0
	v_fmac_f64_e32 v[42:43], v[42:43], v[46:47]
	s_delay_alu instid0(VALU_DEP_2) | instskip(SKIP_1) | instid1(VALU_DEP_2)
	v_fmac_f64_e32 v[40:41], v[40:41], v[44:45]
	v_div_scale_f64 v[44:45], s2, v[18:19], v[38:39], v[18:19]
	v_mul_f64_e32 v[46:47], v[48:49], v[40:41]
	s_delay_alu instid0(VALU_DEP_2) | instskip(NEXT) | instid1(VALU_DEP_2)
	v_mul_f64_e32 v[50:51], v[44:45], v[42:43]
	v_fma_f64 v[16:17], -v[16:17], v[46:47], v[48:49]
	s_delay_alu instid0(VALU_DEP_2) | instskip(NEXT) | instid1(VALU_DEP_2)
	v_fma_f64 v[20:21], -v[20:21], v[50:51], v[44:45]
	v_div_fmas_f64 v[16:17], v[16:17], v[40:41], v[46:47]
	s_mov_b32 vcc_lo, s2
	s_delay_alu instid0(VALU_DEP_2) | instskip(NEXT) | instid1(VALU_DEP_2)
	v_div_fmas_f64 v[20:21], v[20:21], v[42:43], v[50:51]
	v_div_fixup_f64 v[16:17], v[16:17], v[38:39], v[14:15]
	s_delay_alu instid0(VALU_DEP_2)
	v_div_fixup_f64 v[14:15], v[20:21], v[38:39], v[18:19]
                                        ; implicit-def: $vgpr18_vgpr19
.LBB93_53:                              ;   in Loop: Header=BB93_7 Depth=1
	s_and_not1_saveexec_b32 s2, s35
	s_cbranch_execz .LBB93_63
; %bb.54:                               ;   in Loop: Header=BB93_7 Depth=1
	v_cmp_ngt_f64_e64 s35, 0x41d00000, |v[18:19]|
                                        ; implicit-def: $vgpr1
                                        ; implicit-def: $vgpr14_vgpr15
                                        ; implicit-def: $vgpr16_vgpr17
	s_and_saveexec_b32 s36, s35
	s_delay_alu instid0(SALU_CYCLE_1)
	s_xor_b32 s36, exec_lo, s36
	s_cbranch_execz .LBB93_56
; %bb.55:                               ;   in Loop: Header=BB93_7 Depth=1
	v_ldexp_f64 v[14:15], |v[18:19]|, 0xffffff80
	v_cmp_le_f64_e64 vcc_lo, 0x7b000000, |v[18:19]|
	v_trig_preop_f64 v[16:17], |v[18:19]|, 0
	v_and_b32_e32 v1, 0x7fffffff, v19
	v_trig_preop_f64 v[38:39], |v[18:19]|, 1
	v_trig_preop_f64 v[48:49], |v[18:19]|, 2
	s_delay_alu instid0(VALU_DEP_3) | instskip(NEXT) | instid1(VALU_DEP_1)
	v_dual_cndmask_b32 v15, v1, v15 :: v_dual_cndmask_b32 v14, v18, v14
	v_mul_f64_e32 v[40:41], v[16:17], v[14:15]
	s_delay_alu instid0(VALU_DEP_4) | instskip(NEXT) | instid1(VALU_DEP_4)
	v_mul_f64_e32 v[42:43], v[38:39], v[14:15]
	v_mul_f64_e32 v[54:55], v[48:49], v[14:15]
	s_delay_alu instid0(VALU_DEP_3) | instskip(NEXT) | instid1(VALU_DEP_3)
	v_fma_f64 v[16:17], v[16:17], v[14:15], -v[40:41]
	v_fma_f64 v[38:39], v[38:39], v[14:15], -v[42:43]
	s_delay_alu instid0(VALU_DEP_3) | instskip(NEXT) | instid1(VALU_DEP_3)
	v_fma_f64 v[14:15], v[48:49], v[14:15], -v[54:55]
	v_add_f64_e32 v[44:45], v[42:43], v[16:17]
	s_delay_alu instid0(VALU_DEP_1) | instskip(SKIP_1) | instid1(VALU_DEP_2)
	v_add_f64_e64 v[46:47], v[44:45], -v[42:43]
	v_add_f64_e32 v[52:53], v[40:41], v[44:45]
	v_add_f64_e64 v[50:51], v[44:45], -v[46:47]
	v_add_f64_e64 v[16:17], v[16:17], -v[46:47]
	s_delay_alu instid0(VALU_DEP_3) | instskip(NEXT) | instid1(VALU_DEP_3)
	v_ldexp_f64 v[46:47], v[52:53], -2
	v_add_f64_e64 v[42:43], v[42:43], -v[50:51]
	v_add_f64_e32 v[50:51], v[54:55], v[38:39]
	s_delay_alu instid0(VALU_DEP_3) | instskip(NEXT) | instid1(VALU_DEP_3)
	v_cmp_neq_f64_e64 vcc_lo, 0x7ff00000, |v[46:47]|
	v_add_f64_e32 v[16:17], v[16:17], v[42:43]
	v_fract_f64_e32 v[42:43], v[46:47]
	s_delay_alu instid0(VALU_DEP_1) | instskip(NEXT) | instid1(VALU_DEP_1)
	v_ldexp_f64 v[42:43], v[42:43], 2
	v_dual_add_f64 v[40:41], v[52:53], -v[40:41] :: v_dual_cndmask_b32 v42, 0, v42, vcc_lo
	s_delay_alu instid0(VALU_DEP_1) | instskip(SKIP_1) | instid1(VALU_DEP_1)
	v_dual_add_f64 v[40:41], v[44:45], -v[40:41] :: v_dual_cndmask_b32 v43, 0, v43, vcc_lo
	v_add_f64_e32 v[44:45], v[50:51], v[16:17]
	v_add_f64_e32 v[46:47], v[40:41], v[44:45]
	v_add_f64_e64 v[56:57], v[44:45], -v[50:51]
	s_delay_alu instid0(VALU_DEP_2) | instskip(NEXT) | instid1(VALU_DEP_2)
	v_add_f64_e32 v[52:53], v[46:47], v[42:43]
	v_add_f64_e64 v[62:63], v[44:45], -v[56:57]
	v_add_f64_e64 v[16:17], v[16:17], -v[56:57]
	;; [unrolled: 1-line block ×3, first 2 shown]
	s_delay_alu instid0(VALU_DEP_4) | instskip(SKIP_1) | instid1(VALU_DEP_3)
	v_cmp_gt_f64_e32 vcc_lo, 0, v[52:53]
	v_add_f64_e64 v[52:53], v[50:51], -v[54:55]
	v_add_f64_e64 v[40:41], v[44:45], -v[40:41]
	v_cndmask_b32_e64 v25, 0, 0x40100000, vcc_lo
	s_delay_alu instid0(VALU_DEP_3) | instskip(SKIP_2) | instid1(VALU_DEP_4)
	v_add_f64_e64 v[60:61], v[50:51], -v[52:53]
	v_add_f64_e64 v[38:39], v[38:39], -v[52:53]
	;; [unrolled: 1-line block ×3, first 2 shown]
	v_add_f64_e32 v[42:43], v[42:43], v[24:25]
	s_delay_alu instid0(VALU_DEP_4) | instskip(NEXT) | instid1(VALU_DEP_3)
	v_add_f64_e64 v[52:53], v[54:55], -v[60:61]
	v_add_f64_e32 v[16:17], v[16:17], v[50:51]
	s_delay_alu instid0(VALU_DEP_3) | instskip(NEXT) | instid1(VALU_DEP_3)
	v_add_f64_e32 v[58:59], v[46:47], v[42:43]
	v_add_f64_e32 v[38:39], v[38:39], v[52:53]
	s_delay_alu instid0(VALU_DEP_2) | instskip(NEXT) | instid1(VALU_DEP_2)
	v_cvt_i32_f64_e32 v1, v[58:59]
	v_add_f64_e32 v[16:17], v[38:39], v[16:17]
	s_delay_alu instid0(VALU_DEP_2) | instskip(NEXT) | instid1(VALU_DEP_2)
	v_cvt_f64_i32_e32 v[56:57], v1
	v_add_f64_e32 v[14:15], v[14:15], v[16:17]
	s_delay_alu instid0(VALU_DEP_2) | instskip(NEXT) | instid1(VALU_DEP_2)
	v_add_f64_e64 v[42:43], v[42:43], -v[56:57]
	v_add_f64_e32 v[14:15], v[40:41], v[14:15]
	s_delay_alu instid0(VALU_DEP_2) | instskip(NEXT) | instid1(VALU_DEP_1)
	v_add_f64_e32 v[38:39], v[46:47], v[42:43]
	v_add_f64_e64 v[16:17], v[38:39], -v[42:43]
	v_cmp_le_f64_e32 vcc_lo, 0.5, v[38:39]
	s_delay_alu instid0(VALU_DEP_2) | instskip(SKIP_2) | instid1(VALU_DEP_3)
	v_add_f64_e64 v[16:17], v[46:47], -v[16:17]
	v_cndmask_b32_e64 v25, 0, 0x3ff00000, vcc_lo
	v_add_co_ci_u32_e64 v1, null, 0, v1, vcc_lo
	v_add_f64_e32 v[14:15], v[14:15], v[16:17]
	s_delay_alu instid0(VALU_DEP_3) | instskip(NEXT) | instid1(VALU_DEP_1)
	v_add_f64_e64 v[16:17], v[38:39], -v[24:25]
	v_add_f64_e32 v[38:39], v[16:17], v[14:15]
	s_delay_alu instid0(VALU_DEP_1) | instskip(SKIP_1) | instid1(VALU_DEP_2)
	v_mul_f64_e32 v[40:41], 0x3ff921fb54442d18, v[38:39]
	v_add_f64_e64 v[16:17], v[38:39], -v[16:17]
	v_fma_f64 v[42:43], v[38:39], s[12:13], -v[40:41]
	s_delay_alu instid0(VALU_DEP_2) | instskip(NEXT) | instid1(VALU_DEP_2)
	v_add_f64_e64 v[14:15], v[14:15], -v[16:17]
	v_fmac_f64_e32 v[42:43], 0x3c91a62633145c07, v[38:39]
	s_delay_alu instid0(VALU_DEP_1) | instskip(NEXT) | instid1(VALU_DEP_1)
	v_fmac_f64_e32 v[42:43], 0x3ff921fb54442d18, v[14:15]
	v_add_f64_e32 v[14:15], v[40:41], v[42:43]
	s_delay_alu instid0(VALU_DEP_1) | instskip(NEXT) | instid1(VALU_DEP_1)
	v_add_f64_e64 v[16:17], v[14:15], -v[40:41]
	v_add_f64_e64 v[16:17], v[42:43], -v[16:17]
	s_and_not1_saveexec_b32 s36, s36
	s_cbranch_execz .LBB93_58
	s_branch .LBB93_57
.LBB93_56:                              ;   in Loop: Header=BB93_7 Depth=1
	s_and_not1_saveexec_b32 s36, s36
	s_cbranch_execz .LBB93_58
.LBB93_57:                              ;   in Loop: Header=BB93_7 Depth=1
	v_mul_f64_e64 v[14:15], |v[18:19]|, s[14:15]
	s_delay_alu instid0(VALU_DEP_1) | instskip(NEXT) | instid1(VALU_DEP_1)
	v_rndne_f64_e32 v[38:39], v[14:15]
	v_fma_f64 v[14:15], v[38:39], s[16:17], |v[18:19]|
	v_mul_f64_e32 v[16:17], 0xbc91a62633145c00, v[38:39]
	v_cvt_i32_f64_e32 v1, v[38:39]
	s_delay_alu instid0(VALU_DEP_3) | instskip(NEXT) | instid1(VALU_DEP_3)
	v_fmamk_f64 v[44:45], v[38:39], 0xbc91a62633145c00, v[14:15]
	v_add_f64_e32 v[40:41], v[14:15], v[16:17]
	s_delay_alu instid0(VALU_DEP_1) | instskip(NEXT) | instid1(VALU_DEP_3)
	v_add_f64_e64 v[42:43], v[14:15], -v[40:41]
	v_add_f64_e64 v[14:15], v[40:41], -v[44:45]
	s_delay_alu instid0(VALU_DEP_2) | instskip(SKIP_1) | instid1(VALU_DEP_2)
	v_add_f64_e32 v[40:41], v[42:43], v[16:17]
	v_fmamk_f64 v[16:17], v[38:39], 0x3c91a62633145c00, v[16:17]
	v_add_f64_e32 v[14:15], v[14:15], v[40:41]
	s_delay_alu instid0(VALU_DEP_1) | instskip(NEXT) | instid1(VALU_DEP_1)
	v_add_f64_e64 v[16:17], v[14:15], -v[16:17]
	v_fmac_f64_e32 v[16:17], 0xb97b839a252049c0, v[38:39]
	s_delay_alu instid0(VALU_DEP_1) | instskip(NEXT) | instid1(VALU_DEP_1)
	v_add_f64_e32 v[14:15], v[44:45], v[16:17]
	v_add_f64_e64 v[40:41], v[14:15], -v[44:45]
	s_delay_alu instid0(VALU_DEP_1)
	v_add_f64_e64 v[16:17], v[16:17], -v[40:41]
.LBB93_58:                              ;   in Loop: Header=BB93_7 Depth=1
	s_or_b32 exec_lo, exec_lo, s36
                                        ; implicit-def: $vgpr42
                                        ; implicit-def: $vgpr38_vgpr39
                                        ; implicit-def: $vgpr40_vgpr41
	s_and_saveexec_b32 s36, s35
	s_delay_alu instid0(SALU_CYCLE_1)
	s_xor_b32 s35, exec_lo, s36
	s_cbranch_execz .LBB93_60
; %bb.59:                               ;   in Loop: Header=BB93_7 Depth=1
	v_ldexp_f64 v[38:39], |v[18:19]|, 0xffffff80
	v_cmp_le_f64_e64 vcc_lo, 0x7b000000, |v[18:19]|
	v_trig_preop_f64 v[40:41], |v[18:19]|, 0
	v_and_b32_e32 v25, 0x7fffffff, v19
	v_trig_preop_f64 v[42:43], |v[18:19]|, 1
	v_trig_preop_f64 v[52:53], |v[18:19]|, 2
	s_delay_alu instid0(VALU_DEP_3) | instskip(NEXT) | instid1(VALU_DEP_1)
	v_dual_cndmask_b32 v39, v25, v39 :: v_dual_cndmask_b32 v38, v18, v38
	v_mul_f64_e32 v[44:45], v[40:41], v[38:39]
	s_delay_alu instid0(VALU_DEP_4) | instskip(NEXT) | instid1(VALU_DEP_4)
	v_mul_f64_e32 v[46:47], v[42:43], v[38:39]
	v_mul_f64_e32 v[58:59], v[52:53], v[38:39]
	s_delay_alu instid0(VALU_DEP_3) | instskip(NEXT) | instid1(VALU_DEP_3)
	v_fma_f64 v[40:41], v[40:41], v[38:39], -v[44:45]
	v_fma_f64 v[42:43], v[42:43], v[38:39], -v[46:47]
	s_delay_alu instid0(VALU_DEP_3) | instskip(NEXT) | instid1(VALU_DEP_3)
	v_fma_f64 v[38:39], v[52:53], v[38:39], -v[58:59]
	v_add_f64_e32 v[48:49], v[46:47], v[40:41]
	s_delay_alu instid0(VALU_DEP_1) | instskip(SKIP_1) | instid1(VALU_DEP_2)
	v_add_f64_e64 v[50:51], v[48:49], -v[46:47]
	v_add_f64_e32 v[56:57], v[44:45], v[48:49]
	v_add_f64_e64 v[54:55], v[48:49], -v[50:51]
	v_add_f64_e64 v[40:41], v[40:41], -v[50:51]
	s_delay_alu instid0(VALU_DEP_3) | instskip(NEXT) | instid1(VALU_DEP_3)
	v_ldexp_f64 v[50:51], v[56:57], -2
	v_add_f64_e64 v[46:47], v[46:47], -v[54:55]
	v_add_f64_e32 v[54:55], v[58:59], v[42:43]
	s_delay_alu instid0(VALU_DEP_3) | instskip(NEXT) | instid1(VALU_DEP_3)
	v_cmp_neq_f64_e64 vcc_lo, 0x7ff00000, |v[50:51]|
	v_add_f64_e32 v[40:41], v[40:41], v[46:47]
	v_fract_f64_e32 v[46:47], v[50:51]
	s_delay_alu instid0(VALU_DEP_1) | instskip(NEXT) | instid1(VALU_DEP_1)
	v_ldexp_f64 v[46:47], v[46:47], 2
	v_dual_add_f64 v[44:45], v[56:57], -v[44:45] :: v_dual_cndmask_b32 v46, 0, v46, vcc_lo
	s_delay_alu instid0(VALU_DEP_1) | instskip(SKIP_1) | instid1(VALU_DEP_1)
	v_dual_add_f64 v[44:45], v[48:49], -v[44:45] :: v_dual_cndmask_b32 v47, 0, v47, vcc_lo
	v_add_f64_e32 v[48:49], v[54:55], v[40:41]
	v_add_f64_e32 v[50:51], v[44:45], v[48:49]
	v_add_f64_e64 v[60:61], v[48:49], -v[54:55]
	s_delay_alu instid0(VALU_DEP_2) | instskip(NEXT) | instid1(VALU_DEP_2)
	v_add_f64_e32 v[56:57], v[50:51], v[46:47]
	v_add_f64_e64 v[66:67], v[48:49], -v[60:61]
	v_add_f64_e64 v[40:41], v[40:41], -v[60:61]
	;; [unrolled: 1-line block ×3, first 2 shown]
	s_delay_alu instid0(VALU_DEP_4) | instskip(SKIP_2) | instid1(VALU_DEP_2)
	v_cmp_gt_f64_e32 vcc_lo, 0, v[56:57]
	v_add_f64_e64 v[56:57], v[54:55], -v[58:59]
	v_cndmask_b32_e64 v25, 0, 0x40100000, vcc_lo
	v_add_f64_e64 v[64:65], v[54:55], -v[56:57]
	v_add_f64_e64 v[42:43], v[42:43], -v[56:57]
	;; [unrolled: 1-line block ×3, first 2 shown]
	s_delay_alu instid0(VALU_DEP_4) | instskip(NEXT) | instid1(VALU_DEP_4)
	v_add_f64_e32 v[46:47], v[46:47], v[24:25]
	v_add_f64_e64 v[56:57], v[58:59], -v[64:65]
	s_delay_alu instid0(VALU_DEP_3) | instskip(NEXT) | instid1(VALU_DEP_3)
	v_add_f64_e32 v[40:41], v[40:41], v[54:55]
	v_add_f64_e32 v[62:63], v[50:51], v[46:47]
	s_delay_alu instid0(VALU_DEP_3) | instskip(NEXT) | instid1(VALU_DEP_2)
	v_add_f64_e32 v[42:43], v[42:43], v[56:57]
	v_cvt_i32_f64_e32 v25, v[62:63]
	s_delay_alu instid0(VALU_DEP_2) | instskip(SKIP_1) | instid1(VALU_DEP_3)
	v_add_f64_e32 v[40:41], v[42:43], v[40:41]
	v_add_f64_e64 v[42:43], v[48:49], -v[44:45]
	v_cvt_f64_i32_e32 v[60:61], v25
	s_delay_alu instid0(VALU_DEP_3) | instskip(NEXT) | instid1(VALU_DEP_2)
	v_add_f64_e32 v[38:39], v[38:39], v[40:41]
	v_add_f64_e64 v[46:47], v[46:47], -v[60:61]
	s_delay_alu instid0(VALU_DEP_2) | instskip(NEXT) | instid1(VALU_DEP_2)
	v_add_f64_e32 v[38:39], v[42:43], v[38:39]
	v_add_f64_e32 v[52:53], v[50:51], v[46:47]
	s_delay_alu instid0(VALU_DEP_1) | instskip(SKIP_1) | instid1(VALU_DEP_2)
	v_add_f64_e64 v[40:41], v[52:53], -v[46:47]
	v_cmp_le_f64_e32 vcc_lo, 0.5, v[52:53]
	v_add_f64_e64 v[40:41], v[50:51], -v[40:41]
	v_add_co_ci_u32_e64 v42, null, 0, v25, vcc_lo
	v_cndmask_b32_e64 v25, 0, 0x3ff00000, vcc_lo
	s_delay_alu instid0(VALU_DEP_3) | instskip(NEXT) | instid1(VALU_DEP_2)
	v_add_f64_e32 v[38:39], v[38:39], v[40:41]
	v_add_f64_e64 v[40:41], v[52:53], -v[24:25]
	s_delay_alu instid0(VALU_DEP_1) | instskip(NEXT) | instid1(VALU_DEP_1)
	v_add_f64_e32 v[44:45], v[40:41], v[38:39]
	v_mul_f64_e32 v[46:47], 0x3ff921fb54442d18, v[44:45]
	v_add_f64_e64 v[40:41], v[44:45], -v[40:41]
	s_delay_alu instid0(VALU_DEP_2) | instskip(NEXT) | instid1(VALU_DEP_2)
	v_fma_f64 v[48:49], v[44:45], s[12:13], -v[46:47]
	v_add_f64_e64 v[38:39], v[38:39], -v[40:41]
	s_delay_alu instid0(VALU_DEP_2) | instskip(NEXT) | instid1(VALU_DEP_1)
	v_fmac_f64_e32 v[48:49], 0x3c91a62633145c07, v[44:45]
	v_fmac_f64_e32 v[48:49], 0x3ff921fb54442d18, v[38:39]
	s_delay_alu instid0(VALU_DEP_1) | instskip(NEXT) | instid1(VALU_DEP_1)
	v_add_f64_e32 v[38:39], v[46:47], v[48:49]
	v_add_f64_e64 v[40:41], v[38:39], -v[46:47]
	s_delay_alu instid0(VALU_DEP_1)
	v_add_f64_e64 v[40:41], v[48:49], -v[40:41]
	s_and_not1_saveexec_b32 s35, s35
	s_cbranch_execnz .LBB93_61
	s_branch .LBB93_62
.LBB93_60:                              ;   in Loop: Header=BB93_7 Depth=1
	s_and_not1_saveexec_b32 s35, s35
	s_cbranch_execz .LBB93_62
.LBB93_61:                              ;   in Loop: Header=BB93_7 Depth=1
	v_mul_f64_e64 v[38:39], |v[18:19]|, s[14:15]
	s_delay_alu instid0(VALU_DEP_1) | instskip(NEXT) | instid1(VALU_DEP_1)
	v_rndne_f64_e32 v[42:43], v[38:39]
	v_fma_f64 v[38:39], v[42:43], s[16:17], |v[18:19]|
	v_mul_f64_e32 v[40:41], 0xbc91a62633145c00, v[42:43]
	s_delay_alu instid0(VALU_DEP_2) | instskip(NEXT) | instid1(VALU_DEP_2)
	v_fmamk_f64 v[48:49], v[42:43], 0xbc91a62633145c00, v[38:39]
	v_add_f64_e32 v[44:45], v[38:39], v[40:41]
	s_delay_alu instid0(VALU_DEP_1) | instskip(NEXT) | instid1(VALU_DEP_3)
	v_add_f64_e64 v[46:47], v[38:39], -v[44:45]
	v_add_f64_e64 v[38:39], v[44:45], -v[48:49]
	s_delay_alu instid0(VALU_DEP_2) | instskip(SKIP_1) | instid1(VALU_DEP_2)
	v_add_f64_e32 v[44:45], v[46:47], v[40:41]
	v_fmamk_f64 v[40:41], v[42:43], 0x3c91a62633145c00, v[40:41]
	v_add_f64_e32 v[38:39], v[38:39], v[44:45]
	s_delay_alu instid0(VALU_DEP_1) | instskip(NEXT) | instid1(VALU_DEP_1)
	v_add_f64_e64 v[40:41], v[38:39], -v[40:41]
	v_fmac_f64_e32 v[40:41], 0xb97b839a252049c0, v[42:43]
	v_cvt_i32_f64_e32 v42, v[42:43]
	s_delay_alu instid0(VALU_DEP_2) | instskip(NEXT) | instid1(VALU_DEP_1)
	v_add_f64_e32 v[38:39], v[48:49], v[40:41]
	v_add_f64_e64 v[44:45], v[38:39], -v[48:49]
	s_delay_alu instid0(VALU_DEP_1)
	v_add_f64_e64 v[40:41], v[40:41], -v[44:45]
.LBB93_62:                              ;   in Loop: Header=BB93_7 Depth=1
	s_or_b32 exec_lo, exec_lo, s35
	v_dual_mul_f64 v[44:45], v[14:15], v[14:15] :: v_dual_bitop2_b32 v18, 1, v1 bitop3:0x40
	v_dual_mul_f64 v[46:47], v[38:39], v[38:39] :: v_dual_lshlrev_b32 v1, 30, v1
	s_delay_alu instid0(VALU_DEP_3) | instskip(SKIP_1) | instid1(VALU_DEP_4)
	v_mul_f64_e32 v[68:69], 0.5, v[40:41]
	v_mul_f64_e64 v[50:51], |v[20:21]|, s[24:25]
	v_cmp_eq_u32_e32 vcc_lo, 0, v18
	s_delay_alu instid0(VALU_DEP_4)
	v_dual_mul_f64 v[56:57], 0.5, v[16:17] :: v_dual_bitop2_b32 v1, v1, v19 bitop3:0x14
	v_mul_f64_e64 v[58:59], v[14:15], -v[44:45]
	v_mul_f64_e32 v[48:49], 0.5, v[44:45]
	v_fmamk_f64 v[64:65], v[44:45], 0x3de5e0b2f9a43bb8, v[34:35]
	v_mul_f64_e64 v[70:71], v[38:39], -v[46:47]
	v_fmamk_f64 v[72:73], v[46:47], 0x3de5e0b2f9a43bb8, v[34:35]
	v_rndne_f64_e32 v[50:51], v[50:51]
	s_delay_alu instid0(VALU_DEP_4) | instskip(NEXT) | instid1(VALU_DEP_1)
	v_fmaak_f64 v[64:65], v[44:45], v[64:65], 0x3ec71de3796cde01
	v_fmaak_f64 v[64:65], v[44:45], v[64:65], 0xbf2a01a019e83e5c
	s_delay_alu instid0(VALU_DEP_1) | instskip(NEXT) | instid1(VALU_DEP_1)
	v_fmaak_f64 v[64:65], v[44:45], v[64:65], 0x3f81111111110bb3
	v_fmac_f64_e32 v[56:57], v[58:59], v[64:65]
	v_add_f64_e64 v[54:55], -v[48:49], 1.0
	v_fma_f64 v[66:67], v[50:51], s[18:19], -|v[20:21]|
	v_cvt_i32_f64_e32 v19, v[50:51]
	s_delay_alu instid0(VALU_DEP_4) | instskip(NEXT) | instid1(VALU_DEP_4)
	v_fma_f64 v[56:57], v[44:45], v[56:57], -v[16:17]
	v_add_f64_e64 v[62:63], -v[54:55], 1.0
	s_delay_alu instid0(VALU_DEP_4) | instskip(NEXT) | instid1(VALU_DEP_3)
	v_fmac_f64_e32 v[66:67], 0xbc7abc9e3b39803f, v[50:51]
	v_fmac_f64_e32 v[56:57], 0xbfc5555555555555, v[58:59]
	s_delay_alu instid0(VALU_DEP_3) | instskip(SKIP_2) | instid1(VALU_DEP_2)
	v_add_f64_e64 v[48:49], v[62:63], -v[48:49]
	v_fmaak_f64 v[62:63], v[46:47], v[72:73], 0x3ec71de3796cde01
	v_fmamk_f64 v[72:73], v[44:45], 0xbda907db46cc5e42, v[32:33]
	v_fmaak_f64 v[62:63], v[46:47], v[62:63], 0xbf2a01a019e83e5c
	s_delay_alu instid0(VALU_DEP_1) | instskip(NEXT) | instid1(VALU_DEP_1)
	v_fmaak_f64 v[62:63], v[46:47], v[62:63], 0x3f81111111110bb3
	v_fmac_f64_e32 v[68:69], v[70:71], v[62:63]
	v_mul_f64_e32 v[62:63], v[44:45], v[44:45]
	v_fma_f64 v[16:17], v[14:15], -v[16:17], v[48:49]
	v_fmaak_f64 v[48:49], v[44:45], v[72:73], 0xbe927e4fa17f65f6
	v_add_f64_e64 v[14:15], v[14:15], -v[56:57]
	s_delay_alu instid0(VALU_DEP_2) | instskip(NEXT) | instid1(VALU_DEP_1)
	v_fmaak_f64 v[48:49], v[44:45], v[48:49], 0x3efa01a019f4ec90
	v_fmaak_f64 v[48:49], v[44:45], v[48:49], 0xbf56c16c16c16967
	s_delay_alu instid0(VALU_DEP_1) | instskip(NEXT) | instid1(VALU_DEP_1)
	v_fmaak_f64 v[44:45], v[44:45], v[48:49], 0x3fa5555555555555
	v_fmac_f64_e32 v[16:17], v[62:63], v[44:45]
	s_delay_alu instid0(VALU_DEP_1) | instskip(NEXT) | instid1(VALU_DEP_1)
	v_add_f64_e32 v[16:17], v[54:55], v[16:17]
	v_dual_cndmask_b32 v15, v17, v15 :: v_dual_cndmask_b32 v14, v16, v14
	s_delay_alu instid0(VALU_DEP_1) | instskip(SKIP_1) | instid1(VALU_DEP_1)
	v_bitop3_b32 v15, v15, v1, 0x80000000 bitop3:0x78
	v_and_b32_e32 v1, 1, v42
	v_cmp_eq_u32_e32 vcc_lo, 0, v1
	v_mul_f64_e32 v[52:53], 0.5, v[46:47]
	s_delay_alu instid0(VALU_DEP_1) | instskip(NEXT) | instid1(VALU_DEP_1)
	v_add_f64_e64 v[60:61], -v[52:53], 1.0
	v_add_f64_e64 v[64:65], -v[60:61], 1.0
	s_delay_alu instid0(VALU_DEP_1) | instskip(SKIP_1) | instid1(VALU_DEP_1)
	v_add_f64_e64 v[52:53], v[64:65], -v[52:53]
	v_fmamk_f64 v[64:65], v[66:67], 0x3e5ade156a5dcb37, v[30:31]
	v_fmaak_f64 v[64:65], v[66:67], v[64:65], 0x3ec71dee623fde64
	s_delay_alu instid0(VALU_DEP_1) | instskip(NEXT) | instid1(VALU_DEP_1)
	v_fmaak_f64 v[64:65], v[66:67], v[64:65], 0x3efa01997c89e6b0
	v_fmaak_f64 v[48:49], v[66:67], v[64:65], 0x3f2a01a014761f6e
	v_fma_f64 v[64:65], v[46:47], v[68:69], -v[40:41]
	v_fmamk_f64 v[68:69], v[46:47], 0xbda907db46cc5e42, v[32:33]
	s_delay_alu instid0(VALU_DEP_3) | instskip(NEXT) | instid1(VALU_DEP_2)
	v_fmaak_f64 v[44:45], v[66:67], v[48:49], 0x3f56c16c1852b7b0
	v_fmaak_f64 v[48:49], v[46:47], v[68:69], 0xbe927e4fa17f65f6
	v_fma_f64 v[40:41], v[38:39], -v[40:41], v[52:53]
	s_delay_alu instid0(VALU_DEP_3) | instskip(NEXT) | instid1(VALU_DEP_3)
	v_fmaak_f64 v[44:45], v[66:67], v[44:45], 0x3f81111111122322
	v_fmaak_f64 v[48:49], v[46:47], v[48:49], 0x3efa01a019f4ec90
	s_delay_alu instid0(VALU_DEP_2) | instskip(NEXT) | instid1(VALU_DEP_2)
	v_fmaak_f64 v[44:45], v[66:67], v[44:45], 0x3fa55555555502a1
	v_fmaak_f64 v[48:49], v[46:47], v[48:49], 0xbf56c16c16c16967
	s_delay_alu instid0(VALU_DEP_2) | instskip(SKIP_1) | instid1(VALU_DEP_2)
	v_fmaak_f64 v[44:45], v[66:67], v[44:45], 0x3fc5555555555511
	v_fmac_f64_e32 v[64:65], 0xbfc5555555555555, v[70:71]
	v_fmaak_f64 v[44:45], v[66:67], v[44:45], 0x3fe000000000000b
	s_delay_alu instid0(VALU_DEP_1) | instskip(NEXT) | instid1(VALU_DEP_3)
	v_fma_f64 v[44:45], v[66:67], v[44:45], 1.0
	v_add_f64_e64 v[38:39], v[38:39], -v[64:65]
	s_delay_alu instid0(VALU_DEP_2) | instskip(NEXT) | instid1(VALU_DEP_2)
	v_fma_f64 v[16:17], v[66:67], v[44:45], 1.0
	v_xor_b32_e32 v25, 0x80000000, v39
	s_delay_alu instid0(VALU_DEP_2) | instskip(SKIP_2) | instid1(VALU_DEP_1)
	v_ldexp_f64 v[16:17], v[16:17], v19
	v_mul_f64_e32 v[72:73], v[46:47], v[46:47]
	v_fmaak_f64 v[46:47], v[46:47], v[48:49], 0x3fa5555555555555
	v_fmac_f64_e32 v[40:41], v[72:73], v[46:47]
	s_delay_alu instid0(VALU_DEP_1) | instskip(NEXT) | instid1(VALU_DEP_1)
	v_add_f64_e32 v[40:41], v[60:61], v[40:41]
	v_dual_cndmask_b32 v18, v38, v40 :: v_dual_cndmask_b32 v1, v25, v41
	v_cmp_nlt_f64_e64 vcc_lo, 0x4090cc00, |v[20:21]|
	v_mul_f64_e32 v[14:15], 4.0, v[14:15]
	v_lshlrev_b32_e32 v25, 30, v42
	s_delay_alu instid0(VALU_DEP_1) | instskip(SKIP_1) | instid1(VALU_DEP_1)
	v_bitop3_b32 v19, v1, v25, 0x80000000 bitop3:0x78
	v_xor_b32_e32 v1, 0x80000000, v21
	v_bfi_b32 v25, 0x7fffffff, s31, v1
	s_delay_alu instid0(VALU_DEP_3) | instskip(SKIP_1) | instid1(VALU_DEP_1)
	v_dual_mul_f64 v[14:15], v[14:15], v[18:19] :: v_dual_cndmask_b32 v16, 0, v16, vcc_lo
	v_cndmask_b32_e32 v17, 0, v17, vcc_lo
	v_mul_f64_e32 v[14:15], v[16:17], v[14:15]
	s_delay_alu instid0(VALU_DEP_1)
	v_mul_f64_e32 v[14:15], v[16:17], v[14:15]
	v_mov_b64_e32 v[16:17], v[24:25]
.LBB93_63:                              ;   in Loop: Header=BB93_7 Depth=1
	s_or_b32 exec_lo, exec_lo, s2
                                        ; implicit-def: $vgpr18_vgpr19
.LBB93_64:                              ;   in Loop: Header=BB93_7 Depth=1
	s_and_not1_saveexec_b32 s2, s34
	s_cbranch_execz .LBB93_66
; %bb.65:                               ;   in Loop: Header=BB93_7 Depth=1
	v_add_f64_e64 v[14:15], v[18:19], -v[18:19]
	s_delay_alu instid0(VALU_DEP_1)
	v_mov_b64_e32 v[16:17], v[14:15]
.LBB93_66:                              ;   in Loop: Header=BB93_7 Depth=1
	s_or_b32 exec_lo, exec_lo, s2
                                        ; implicit-def: $vgpr18_vgpr19
.LBB93_67:                              ;   in Loop: Header=BB93_7 Depth=1
	s_and_not1_saveexec_b32 s34, s3
	s_cbranch_execz .LBB93_83
; %bb.68:                               ;   in Loop: Header=BB93_7 Depth=1
	s_delay_alu instid0(VALU_DEP_1) | instskip(SKIP_1) | instid1(VALU_DEP_1)
	v_and_or_b32 v1, 0xfffff, v17, v16
	s_mov_b32 s2, exec_lo
	v_cmpx_ne_u32_e32 0, v1
	s_xor_b32 s2, exec_lo, s2
	s_cbranch_execz .LBB93_70
; %bb.69:                               ;   in Loop: Header=BB93_7 Depth=1
	v_mul_f64_e64 v[14:15], v[18:19], -v[20:21]
	v_cmp_eq_f64_e32 vcc_lo, 0, v[18:19]
	s_delay_alu instid0(VALU_DEP_2)
	v_dual_cndmask_b32 v15, v15, v19 :: v_dual_cndmask_b32 v14, v14, v18
                                        ; implicit-def: $vgpr18_vgpr19
.LBB93_70:                              ;   in Loop: Header=BB93_7 Depth=1
	s_and_not1_saveexec_b32 s35, s2
	s_cbranch_execz .LBB93_82
; %bb.71:                               ;   in Loop: Header=BB93_7 Depth=1
	s_mov_b32 s36, exec_lo
	v_cmpx_neq_f64_e64 0x7ff00000, |v[18:19]|
	s_cbranch_execz .LBB93_81
; %bb.72:                               ;   in Loop: Header=BB93_7 Depth=1
	v_cmp_ngt_f64_e64 s2, 0x41d00000, |v[18:19]|
	v_trig_preop_f64 v[42:43], |v[18:19]|, 0
	v_trig_preop_f64 v[40:41], |v[18:19]|, 1
	v_ldexp_f64 v[44:45], |v[18:19]|, 0xffffff80
	v_trig_preop_f64 v[38:39], |v[18:19]|, 2
	v_and_b32_e32 v52, 0x7fffffff, v19
                                        ; implicit-def: $vgpr1
                                        ; implicit-def: $vgpr14_vgpr15
                                        ; implicit-def: $vgpr20_vgpr21
	s_and_saveexec_b32 s3, s2
	s_delay_alu instid0(SALU_CYCLE_1)
	s_xor_b32 s3, exec_lo, s3
	s_cbranch_execz .LBB93_74
; %bb.73:                               ;   in Loop: Header=BB93_7 Depth=1
	v_cmp_le_f64_e64 vcc_lo, 0x7b000000, |v[18:19]|
	s_delay_alu instid0(VALU_DEP_4) | instskip(NEXT) | instid1(VALU_DEP_1)
	v_dual_cndmask_b32 v15, v52, v45 :: v_dual_cndmask_b32 v14, v18, v44
	v_mul_f64_e32 v[20:21], v[42:43], v[14:15]
	v_mul_f64_e32 v[46:47], v[40:41], v[14:15]
	;; [unrolled: 1-line block ×3, first 2 shown]
	s_delay_alu instid0(VALU_DEP_3) | instskip(NEXT) | instid1(VALU_DEP_3)
	v_fma_f64 v[48:49], v[42:43], v[14:15], -v[20:21]
	v_fma_f64 v[62:63], v[40:41], v[14:15], -v[46:47]
	s_delay_alu instid0(VALU_DEP_3) | instskip(NEXT) | instid1(VALU_DEP_3)
	v_fma_f64 v[14:15], v[38:39], v[14:15], -v[60:61]
	v_add_f64_e32 v[50:51], v[46:47], v[48:49]
	s_delay_alu instid0(VALU_DEP_1) | instskip(SKIP_1) | instid1(VALU_DEP_2)
	v_add_f64_e64 v[54:55], v[50:51], -v[46:47]
	v_add_f64_e32 v[58:59], v[20:21], v[50:51]
	v_add_f64_e64 v[56:57], v[50:51], -v[54:55]
	v_add_f64_e64 v[48:49], v[48:49], -v[54:55]
	s_delay_alu instid0(VALU_DEP_3) | instskip(NEXT) | instid1(VALU_DEP_3)
	v_ldexp_f64 v[54:55], v[58:59], -2
	v_add_f64_e64 v[46:47], v[46:47], -v[56:57]
	v_add_f64_e32 v[56:57], v[60:61], v[62:63]
	s_delay_alu instid0(VALU_DEP_3) | instskip(NEXT) | instid1(VALU_DEP_3)
	v_cmp_neq_f64_e64 vcc_lo, 0x7ff00000, |v[54:55]|
	v_add_f64_e32 v[46:47], v[48:49], v[46:47]
	v_fract_f64_e32 v[48:49], v[54:55]
	s_delay_alu instid0(VALU_DEP_1) | instskip(NEXT) | instid1(VALU_DEP_1)
	v_ldexp_f64 v[48:49], v[48:49], 2
	v_cndmask_b32_e32 v49, 0, v49, vcc_lo
	v_add_f64_e64 v[20:21], v[58:59], -v[20:21]
	s_delay_alu instid0(VALU_DEP_3) | instskip(NEXT) | instid1(VALU_DEP_2)
	v_cndmask_b32_e32 v48, 0, v48, vcc_lo
	v_add_f64_e64 v[20:21], v[50:51], -v[20:21]
	v_add_f64_e32 v[50:51], v[56:57], v[46:47]
	s_delay_alu instid0(VALU_DEP_1) | instskip(SKIP_1) | instid1(VALU_DEP_2)
	v_add_f64_e32 v[54:55], v[20:21], v[50:51]
	v_add_f64_e64 v[64:65], v[50:51], -v[56:57]
	v_add_f64_e32 v[58:59], v[54:55], v[48:49]
	s_delay_alu instid0(VALU_DEP_2) | instskip(SKIP_2) | instid1(VALU_DEP_4)
	v_add_f64_e64 v[70:71], v[50:51], -v[64:65]
	v_add_f64_e64 v[46:47], v[46:47], -v[64:65]
	;; [unrolled: 1-line block ×3, first 2 shown]
	v_cmp_gt_f64_e32 vcc_lo, 0, v[58:59]
	v_add_f64_e64 v[58:59], v[56:57], -v[60:61]
	s_delay_alu instid0(VALU_DEP_3) | instskip(SKIP_1) | instid1(VALU_DEP_3)
	v_add_f64_e64 v[20:21], v[50:51], -v[20:21]
	v_cndmask_b32_e64 v25, 0, 0x40100000, vcc_lo
	v_add_f64_e64 v[68:69], v[56:57], -v[58:59]
	v_add_f64_e64 v[58:59], v[62:63], -v[58:59]
	;; [unrolled: 1-line block ×3, first 2 shown]
	s_delay_alu instid0(VALU_DEP_4) | instskip(NEXT) | instid1(VALU_DEP_4)
	v_add_f64_e32 v[48:49], v[48:49], v[24:25]
	v_add_f64_e64 v[62:63], v[60:61], -v[68:69]
	s_delay_alu instid0(VALU_DEP_3) | instskip(NEXT) | instid1(VALU_DEP_3)
	v_add_f64_e32 v[46:47], v[46:47], v[56:57]
	v_add_f64_e32 v[66:67], v[54:55], v[48:49]
	s_delay_alu instid0(VALU_DEP_3) | instskip(NEXT) | instid1(VALU_DEP_2)
	v_add_f64_e32 v[58:59], v[58:59], v[62:63]
	v_cvt_i32_f64_e32 v1, v[66:67]
	s_delay_alu instid0(VALU_DEP_2) | instskip(NEXT) | instid1(VALU_DEP_2)
	v_add_f64_e32 v[46:47], v[58:59], v[46:47]
	v_cvt_f64_i32_e32 v[64:65], v1
	s_delay_alu instid0(VALU_DEP_2) | instskip(NEXT) | instid1(VALU_DEP_2)
	v_add_f64_e32 v[14:15], v[14:15], v[46:47]
	v_add_f64_e64 v[48:49], v[48:49], -v[64:65]
	s_delay_alu instid0(VALU_DEP_2) | instskip(NEXT) | instid1(VALU_DEP_2)
	v_add_f64_e32 v[14:15], v[20:21], v[14:15]
	v_add_f64_e32 v[56:57], v[54:55], v[48:49]
	s_delay_alu instid0(VALU_DEP_1) | instskip(SKIP_1) | instid1(VALU_DEP_2)
	v_add_f64_e64 v[46:47], v[56:57], -v[48:49]
	v_cmp_le_f64_e32 vcc_lo, 0.5, v[56:57]
	v_add_f64_e64 v[20:21], v[54:55], -v[46:47]
	v_cndmask_b32_e64 v25, 0, 0x3ff00000, vcc_lo
	v_add_co_ci_u32_e64 v1, null, 0, v1, vcc_lo
	s_delay_alu instid0(VALU_DEP_3) | instskip(NEXT) | instid1(VALU_DEP_3)
	v_add_f64_e32 v[14:15], v[14:15], v[20:21]
	v_add_f64_e64 v[20:21], v[56:57], -v[24:25]
	s_delay_alu instid0(VALU_DEP_1) | instskip(NEXT) | instid1(VALU_DEP_1)
	v_add_f64_e32 v[46:47], v[20:21], v[14:15]
	v_mul_f64_e32 v[48:49], 0x3ff921fb54442d18, v[46:47]
	v_add_f64_e64 v[20:21], v[46:47], -v[20:21]
	s_delay_alu instid0(VALU_DEP_2) | instskip(NEXT) | instid1(VALU_DEP_2)
	v_fma_f64 v[50:51], v[46:47], s[12:13], -v[48:49]
	v_add_f64_e64 v[14:15], v[14:15], -v[20:21]
	s_delay_alu instid0(VALU_DEP_2) | instskip(NEXT) | instid1(VALU_DEP_1)
	v_fmac_f64_e32 v[50:51], 0x3c91a62633145c07, v[46:47]
	v_fmac_f64_e32 v[50:51], 0x3ff921fb54442d18, v[14:15]
	s_delay_alu instid0(VALU_DEP_1) | instskip(NEXT) | instid1(VALU_DEP_1)
	v_add_f64_e32 v[14:15], v[48:49], v[50:51]
	v_add_f64_e64 v[20:21], v[14:15], -v[48:49]
	s_delay_alu instid0(VALU_DEP_1)
	v_add_f64_e64 v[20:21], v[50:51], -v[20:21]
.LBB93_74:                              ;   in Loop: Header=BB93_7 Depth=1
	s_or_saveexec_b32 s3, s3
	v_mul_f64_e64 v[46:47], |v[18:19]|, s[14:15]
	s_delay_alu instid0(VALU_DEP_1)
	v_rndne_f64_e32 v[50:51], v[46:47]
	s_xor_b32 exec_lo, exec_lo, s3
	s_cbranch_execz .LBB93_76
; %bb.75:                               ;   in Loop: Header=BB93_7 Depth=1
	s_delay_alu instid0(VALU_DEP_1) | instskip(SKIP_2) | instid1(VALU_DEP_3)
	v_fma_f64 v[14:15], v[50:51], s[16:17], |v[18:19]|
	v_mul_f64_e32 v[20:21], 0xbc91a62633145c00, v[50:51]
	v_cvt_i32_f64_e32 v1, v[50:51]
	v_fmamk_f64 v[54:55], v[50:51], 0xbc91a62633145c00, v[14:15]
	s_delay_alu instid0(VALU_DEP_3) | instskip(NEXT) | instid1(VALU_DEP_1)
	v_add_f64_e32 v[46:47], v[14:15], v[20:21]
	v_add_f64_e64 v[48:49], v[14:15], -v[46:47]
	s_delay_alu instid0(VALU_DEP_3) | instskip(NEXT) | instid1(VALU_DEP_2)
	v_add_f64_e64 v[14:15], v[46:47], -v[54:55]
	v_add_f64_e32 v[46:47], v[48:49], v[20:21]
	v_fmamk_f64 v[20:21], v[50:51], 0x3c91a62633145c00, v[20:21]
	s_delay_alu instid0(VALU_DEP_2) | instskip(NEXT) | instid1(VALU_DEP_1)
	v_add_f64_e32 v[14:15], v[14:15], v[46:47]
	v_add_f64_e64 v[20:21], v[14:15], -v[20:21]
	s_delay_alu instid0(VALU_DEP_1) | instskip(NEXT) | instid1(VALU_DEP_1)
	v_fmac_f64_e32 v[20:21], 0xb97b839a252049c0, v[50:51]
	v_add_f64_e32 v[14:15], v[54:55], v[20:21]
	s_delay_alu instid0(VALU_DEP_1) | instskip(NEXT) | instid1(VALU_DEP_1)
	v_add_f64_e64 v[46:47], v[14:15], -v[54:55]
	v_add_f64_e64 v[20:21], v[20:21], -v[46:47]
.LBB93_76:                              ;   in Loop: Header=BB93_7 Depth=1
	s_or_b32 exec_lo, exec_lo, s3
                                        ; implicit-def: $vgpr53
                                        ; implicit-def: $vgpr46_vgpr47
                                        ; implicit-def: $vgpr48_vgpr49
	s_and_saveexec_b32 s3, s2
	s_delay_alu instid0(SALU_CYCLE_1)
	s_xor_b32 s2, exec_lo, s3
	s_cbranch_execz .LBB93_78
; %bb.77:                               ;   in Loop: Header=BB93_7 Depth=1
	v_cmp_le_f64_e64 vcc_lo, 0x7b000000, |v[18:19]|
	v_dual_cndmask_b32 v45, v52, v45 :: v_dual_cndmask_b32 v44, v18, v44
	s_delay_alu instid0(VALU_DEP_1) | instskip(SKIP_2) | instid1(VALU_DEP_3)
	v_mul_f64_e32 v[46:47], v[42:43], v[44:45]
	v_mul_f64_e32 v[48:49], v[40:41], v[44:45]
	;; [unrolled: 1-line block ×3, first 2 shown]
	v_fma_f64 v[42:43], v[42:43], v[44:45], -v[46:47]
	s_delay_alu instid0(VALU_DEP_3) | instskip(NEXT) | instid1(VALU_DEP_3)
	v_fma_f64 v[40:41], v[40:41], v[44:45], -v[48:49]
	v_fma_f64 v[38:39], v[38:39], v[44:45], -v[58:59]
	s_delay_alu instid0(VALU_DEP_3) | instskip(NEXT) | instid1(VALU_DEP_1)
	v_add_f64_e32 v[50:51], v[48:49], v[42:43]
	v_add_f64_e64 v[52:53], v[50:51], -v[48:49]
	v_add_f64_e32 v[56:57], v[46:47], v[50:51]
	s_delay_alu instid0(VALU_DEP_2) | instskip(SKIP_1) | instid1(VALU_DEP_3)
	v_add_f64_e64 v[54:55], v[50:51], -v[52:53]
	v_add_f64_e64 v[42:43], v[42:43], -v[52:53]
	v_ldexp_f64 v[52:53], v[56:57], -2
	s_delay_alu instid0(VALU_DEP_3) | instskip(SKIP_1) | instid1(VALU_DEP_3)
	v_add_f64_e64 v[48:49], v[48:49], -v[54:55]
	v_add_f64_e32 v[54:55], v[58:59], v[40:41]
	v_cmp_neq_f64_e64 vcc_lo, 0x7ff00000, |v[52:53]|
	s_delay_alu instid0(VALU_DEP_3) | instskip(SKIP_1) | instid1(VALU_DEP_1)
	v_add_f64_e32 v[42:43], v[42:43], v[48:49]
	v_fract_f64_e32 v[48:49], v[52:53]
	v_ldexp_f64 v[48:49], v[48:49], 2
	s_delay_alu instid0(VALU_DEP_1) | instskip(NEXT) | instid1(VALU_DEP_1)
	v_dual_add_f64 v[46:47], v[56:57], -v[46:47] :: v_dual_cndmask_b32 v48, 0, v48, vcc_lo
	v_dual_add_f64 v[46:47], v[50:51], -v[46:47] :: v_dual_cndmask_b32 v49, 0, v49, vcc_lo
	v_add_f64_e32 v[50:51], v[54:55], v[42:43]
	s_delay_alu instid0(VALU_DEP_1) | instskip(SKIP_1) | instid1(VALU_DEP_2)
	v_add_f64_e32 v[52:53], v[46:47], v[50:51]
	v_add_f64_e64 v[60:61], v[50:51], -v[54:55]
	v_add_f64_e32 v[56:57], v[52:53], v[48:49]
	s_delay_alu instid0(VALU_DEP_2) | instskip(SKIP_2) | instid1(VALU_DEP_4)
	v_add_f64_e64 v[66:67], v[50:51], -v[60:61]
	v_add_f64_e64 v[42:43], v[42:43], -v[60:61]
	;; [unrolled: 1-line block ×3, first 2 shown]
	v_cmp_gt_f64_e32 vcc_lo, 0, v[56:57]
	v_add_f64_e64 v[56:57], v[54:55], -v[58:59]
	s_delay_alu instid0(VALU_DEP_3) | instskip(SKIP_1) | instid1(VALU_DEP_3)
	v_add_f64_e64 v[44:45], v[50:51], -v[44:45]
                                        ; implicit-def: $vgpr50_vgpr51
	v_cndmask_b32_e64 v25, 0, 0x40100000, vcc_lo
	v_add_f64_e64 v[64:65], v[54:55], -v[56:57]
	v_add_f64_e64 v[40:41], v[40:41], -v[56:57]
	;; [unrolled: 1-line block ×3, first 2 shown]
	s_delay_alu instid0(VALU_DEP_4) | instskip(NEXT) | instid1(VALU_DEP_4)
	v_add_f64_e32 v[48:49], v[48:49], v[24:25]
	v_add_f64_e64 v[56:57], v[58:59], -v[64:65]
	s_delay_alu instid0(VALU_DEP_3) | instskip(NEXT) | instid1(VALU_DEP_3)
	v_add_f64_e32 v[42:43], v[42:43], v[54:55]
	v_add_f64_e32 v[62:63], v[52:53], v[48:49]
	s_delay_alu instid0(VALU_DEP_3) | instskip(NEXT) | instid1(VALU_DEP_2)
	v_add_f64_e32 v[40:41], v[40:41], v[56:57]
	v_cvt_i32_f64_e32 v25, v[62:63]
	s_delay_alu instid0(VALU_DEP_2) | instskip(NEXT) | instid1(VALU_DEP_2)
	v_add_f64_e32 v[40:41], v[40:41], v[42:43]
	v_cvt_f64_i32_e32 v[60:61], v25
	s_delay_alu instid0(VALU_DEP_2) | instskip(NEXT) | instid1(VALU_DEP_2)
	v_add_f64_e32 v[38:39], v[38:39], v[40:41]
	v_add_f64_e64 v[48:49], v[48:49], -v[60:61]
	s_delay_alu instid0(VALU_DEP_2) | instskip(NEXT) | instid1(VALU_DEP_2)
	v_add_f64_e32 v[38:39], v[44:45], v[38:39]
	v_add_f64_e32 v[42:43], v[52:53], v[48:49]
	s_delay_alu instid0(VALU_DEP_1) | instskip(SKIP_1) | instid1(VALU_DEP_2)
	v_add_f64_e64 v[40:41], v[42:43], -v[48:49]
	v_cmp_le_f64_e32 vcc_lo, 0.5, v[42:43]
	v_add_f64_e64 v[40:41], v[52:53], -v[40:41]
	v_add_co_ci_u32_e64 v53, null, 0, v25, vcc_lo
	v_cndmask_b32_e64 v25, 0, 0x3ff00000, vcc_lo
	s_delay_alu instid0(VALU_DEP_3) | instskip(NEXT) | instid1(VALU_DEP_2)
	v_add_f64_e32 v[38:39], v[38:39], v[40:41]
	v_add_f64_e64 v[40:41], v[42:43], -v[24:25]
	s_delay_alu instid0(VALU_DEP_1) | instskip(NEXT) | instid1(VALU_DEP_1)
	v_add_f64_e32 v[42:43], v[40:41], v[38:39]
	v_mul_f64_e32 v[44:45], 0x3ff921fb54442d18, v[42:43]
	v_add_f64_e64 v[40:41], v[42:43], -v[40:41]
	s_delay_alu instid0(VALU_DEP_2) | instskip(NEXT) | instid1(VALU_DEP_2)
	v_fma_f64 v[48:49], v[42:43], s[12:13], -v[44:45]
	v_add_f64_e64 v[38:39], v[38:39], -v[40:41]
	s_delay_alu instid0(VALU_DEP_2) | instskip(NEXT) | instid1(VALU_DEP_1)
	v_fmac_f64_e32 v[48:49], 0x3c91a62633145c07, v[42:43]
	v_fmac_f64_e32 v[48:49], 0x3ff921fb54442d18, v[38:39]
	s_delay_alu instid0(VALU_DEP_1) | instskip(NEXT) | instid1(VALU_DEP_1)
	v_add_f64_e32 v[46:47], v[44:45], v[48:49]
	v_add_f64_e64 v[38:39], v[46:47], -v[44:45]
	s_delay_alu instid0(VALU_DEP_1)
	v_add_f64_e64 v[48:49], v[48:49], -v[38:39]
	s_and_not1_saveexec_b32 s2, s2
	s_cbranch_execnz .LBB93_79
	s_branch .LBB93_80
.LBB93_78:                              ;   in Loop: Header=BB93_7 Depth=1
	s_and_not1_saveexec_b32 s2, s2
	s_cbranch_execz .LBB93_80
.LBB93_79:                              ;   in Loop: Header=BB93_7 Depth=1
	s_delay_alu instid0(VALU_DEP_1) | instskip(SKIP_2) | instid1(VALU_DEP_2)
	v_fma_f64 v[38:39], v[50:51], s[16:17], |v[18:19]|
	v_mul_f64_e32 v[40:41], 0xbc91a62633145c00, v[50:51]
	v_cvt_i32_f64_e32 v53, v[50:51]
	v_add_f64_e32 v[42:43], v[38:39], v[40:41]
	s_delay_alu instid0(VALU_DEP_1) | instskip(SKIP_1) | instid1(VALU_DEP_1)
	v_add_f64_e64 v[44:45], v[38:39], -v[42:43]
	v_fmamk_f64 v[38:39], v[50:51], 0xbc91a62633145c00, v[38:39]
	v_add_f64_e64 v[42:43], v[42:43], -v[38:39]
	s_delay_alu instid0(VALU_DEP_3) | instskip(SKIP_1) | instid1(VALU_DEP_2)
	v_add_f64_e32 v[44:45], v[44:45], v[40:41]
	v_fmamk_f64 v[40:41], v[50:51], 0x3c91a62633145c00, v[40:41]
	v_add_f64_e32 v[42:43], v[42:43], v[44:45]
	s_delay_alu instid0(VALU_DEP_1) | instskip(NEXT) | instid1(VALU_DEP_1)
	v_add_f64_e64 v[40:41], v[42:43], -v[40:41]
	v_fmac_f64_e32 v[40:41], 0xb97b839a252049c0, v[50:51]
	s_delay_alu instid0(VALU_DEP_1) | instskip(NEXT) | instid1(VALU_DEP_1)
	v_add_f64_e32 v[46:47], v[38:39], v[40:41]
	v_add_f64_e64 v[38:39], v[46:47], -v[38:39]
	s_delay_alu instid0(VALU_DEP_1)
	v_add_f64_e64 v[48:49], v[40:41], -v[38:39]
.LBB93_80:                              ;   in Loop: Header=BB93_7 Depth=1
	s_or_b32 exec_lo, exec_lo, s2
	v_dual_mul_f64 v[38:39], v[14:15], v[14:15] :: v_dual_bitop2_b32 v25, 1, v1 bitop3:0x40
	v_mul_f64_e32 v[40:41], v[46:47], v[46:47]
	v_cmp_class_f64_e64 s2, v[18:19], 0x1f8
	v_and_b32_e32 v18, 1, v53
	v_lshlrev_b32_e32 v1, 30, v1
	v_mul_f64_e32 v[56:57], 0.5, v[20:21]
	v_cmp_eq_u32_e32 vcc_lo, 0, v25
	s_delay_alu instid0(VALU_DEP_4) | instskip(NEXT) | instid1(VALU_DEP_4)
	v_cmp_eq_u32_e64 s3, 0, v18
	v_dual_lshlrev_b32 v18, 30, v53 :: v_dual_bitop2_b32 v1, v1, v19 bitop3:0x14
	v_mul_f64_e32 v[42:43], 0.5, v[38:39]
	v_mul_f64_e64 v[58:59], v[14:15], -v[38:39]
	v_fmamk_f64 v[62:63], v[38:39], 0x3de5e0b2f9a43bb8, v[34:35]
	v_mul_f64_e64 v[66:67], v[46:47], -v[40:41]
	v_fmamk_f64 v[68:69], v[40:41], 0x3de5e0b2f9a43bb8, v[34:35]
	s_delay_alu instid0(VALU_DEP_3) | instskip(NEXT) | instid1(VALU_DEP_2)
	v_fmaak_f64 v[62:63], v[38:39], v[62:63], 0x3ec71de3796cde01
	v_fmaak_f64 v[68:69], v[40:41], v[68:69], 0x3ec71de3796cde01
	s_delay_alu instid0(VALU_DEP_2) | instskip(NEXT) | instid1(VALU_DEP_1)
	v_fmaak_f64 v[62:63], v[38:39], v[62:63], 0xbf2a01a019e83e5c
	v_fmaak_f64 v[62:63], v[38:39], v[62:63], 0x3f81111111110bb3
	v_add_f64_e64 v[50:51], -v[42:43], 1.0
	s_delay_alu instid0(VALU_DEP_2) | instskip(SKIP_1) | instid1(VALU_DEP_3)
	v_fmac_f64_e32 v[56:57], v[58:59], v[62:63]
	v_mul_f64_e32 v[62:63], v[38:39], v[38:39]
	v_add_f64_e64 v[60:61], -v[50:51], 1.0
	s_delay_alu instid0(VALU_DEP_3) | instskip(NEXT) | instid1(VALU_DEP_2)
	v_fma_f64 v[56:57], v[38:39], v[56:57], -v[20:21]
	v_add_f64_e64 v[42:43], v[60:61], -v[42:43]
	s_delay_alu instid0(VALU_DEP_2) | instskip(SKIP_2) | instid1(VALU_DEP_2)
	v_fmac_f64_e32 v[56:57], 0xbfc5555555555555, v[58:59]
	v_fmaak_f64 v[60:61], v[40:41], v[68:69], 0xbf2a01a019e83e5c
	v_mul_f64_e32 v[68:69], v[40:41], v[40:41]
	v_fmaak_f64 v[60:61], v[40:41], v[60:61], 0x3f81111111110bb3
	v_fma_f64 v[20:21], v[14:15], -v[20:21], v[42:43]
	v_add_f64_e64 v[14:15], v[14:15], -v[56:57]
	v_mul_f64_e32 v[64:65], 0.5, v[48:49]
	s_delay_alu instid0(VALU_DEP_1) | instskip(SKIP_1) | instid1(VALU_DEP_1)
	v_fmac_f64_e32 v[64:65], v[66:67], v[60:61]
	v_fmamk_f64 v[60:61], v[38:39], 0xbda907db46cc5e42, v[32:33]
	v_fmaak_f64 v[42:43], v[38:39], v[60:61], 0xbe927e4fa17f65f6
	s_delay_alu instid0(VALU_DEP_1) | instskip(NEXT) | instid1(VALU_DEP_1)
	v_fmaak_f64 v[42:43], v[38:39], v[42:43], 0x3efa01a019f4ec90
	v_fmaak_f64 v[42:43], v[38:39], v[42:43], 0xbf56c16c16c16967
	s_delay_alu instid0(VALU_DEP_1) | instskip(SKIP_2) | instid1(VALU_DEP_3)
	v_fmaak_f64 v[38:39], v[38:39], v[42:43], 0x3fa5555555555555
	v_fma_f64 v[60:61], v[40:41], v[64:65], -v[48:49]
	v_fmamk_f64 v[64:65], v[40:41], 0xbda907db46cc5e42, v[32:33]
	v_fmac_f64_e32 v[20:21], v[62:63], v[38:39]
	s_delay_alu instid0(VALU_DEP_2) | instskip(NEXT) | instid1(VALU_DEP_1)
	v_fmaak_f64 v[42:43], v[40:41], v[64:65], 0xbe927e4fa17f65f6
	v_fmaak_f64 v[38:39], v[40:41], v[42:43], 0x3efa01a019f4ec90
	s_delay_alu instid0(VALU_DEP_1) | instskip(NEXT) | instid1(VALU_DEP_1)
	v_fmaak_f64 v[38:39], v[40:41], v[38:39], 0xbf56c16c16c16967
	v_fmaak_f64 v[38:39], v[40:41], v[38:39], 0x3fa5555555555555
	v_add_f64_e32 v[20:21], v[50:51], v[20:21]
	s_delay_alu instid0(VALU_DEP_1) | instskip(NEXT) | instid1(VALU_DEP_1)
	v_dual_mul_f64 v[44:45], 0.5, v[40:41] :: v_dual_cndmask_b32 v14, v20, v14, vcc_lo
	v_add_f64_e64 v[54:55], -v[44:45], 1.0
	s_delay_alu instid0(VALU_DEP_2) | instskip(SKIP_1) | instid1(VALU_DEP_2)
	v_dual_cndmask_b32 v15, v21, v15, vcc_lo :: v_dual_cndmask_b32 v14, 0, v14, s2
	v_fmac_f64_e32 v[60:61], 0xbfc5555555555555, v[66:67]
	v_bitop3_b32 v1, v15, v1, 0x80000000 bitop3:0x78
	s_delay_alu instid0(VALU_DEP_1) | instskip(SKIP_1) | instid1(VALU_DEP_1)
	v_cndmask_b32_e64 v15, 0x7ff80000, v1, s2
	v_add_f64_e64 v[70:71], -v[54:55], 1.0
	v_add_f64_e64 v[44:45], v[70:71], -v[44:45]
	s_delay_alu instid0(VALU_DEP_1) | instskip(NEXT) | instid1(VALU_DEP_1)
	v_fma_f64 v[44:45], v[46:47], -v[48:49], v[44:45]
	v_fmac_f64_e32 v[44:45], v[68:69], v[38:39]
	v_add_f64_e64 v[38:39], v[46:47], -v[60:61]
	s_delay_alu instid0(VALU_DEP_2) | instskip(NEXT) | instid1(VALU_DEP_2)
	v_add_f64_e32 v[40:41], v[54:55], v[44:45]
	v_xor_b32_e32 v20, 0x80000000, v39
	s_delay_alu instid0(VALU_DEP_1) | instskip(NEXT) | instid1(VALU_DEP_1)
	v_dual_cndmask_b32 v20, v20, v41, s3 :: v_dual_cndmask_b32 v19, v38, v40, s3
	v_bitop3_b32 v20, v20, v18, 0x80000000 bitop3:0x78
	s_delay_alu instid0(VALU_DEP_2) | instskip(NEXT) | instid1(VALU_DEP_2)
	v_cndmask_b32_e64 v18, 0, v19, s2
	v_cndmask_b32_e64 v19, 0x7ff80000, v20, s2
	s_delay_alu instid0(VALU_DEP_1)
	v_mul_f64_e32 v[18:19], v[14:15], v[18:19]
.LBB93_81:                              ;   in Loop: Header=BB93_7 Depth=1
	s_or_b32 exec_lo, exec_lo, s36
	s_delay_alu instid0(VALU_DEP_1) | instskip(SKIP_1) | instid1(VALU_DEP_2)
	v_bfi_b32 v25, 0x7fffffff, 0, v19
	v_add_nc_u32_e32 v17, -2.0, v17
	v_mov_b64_e32 v[14:15], v[24:25]
.LBB93_82:                              ;   in Loop: Header=BB93_7 Depth=1
	s_or_b32 exec_lo, exec_lo, s35
.LBB93_83:                              ;   in Loop: Header=BB93_7 Depth=1
	s_delay_alu instid0(SALU_CYCLE_1) | instskip(SKIP_4) | instid1(VALU_DEP_2)
	s_or_b32 exec_lo, exec_lo, s34
	s_wait_loadcnt 0x0
	v_xor_b32_e32 v21, 0x80000000, v13
	v_mov_b32_e32 v20, v12
	s_mov_b32 s2, exec_lo
	v_and_b32_e32 v1, 0x7fffffff, v21
	s_delay_alu instid0(VALU_DEP_1)
	v_cmpx_gt_u32_e32 0x7ff00000, v1
	s_xor_b32 s3, exec_lo, s2
	s_cbranch_execz .LBB93_105
; %bb.84:                               ;   in Loop: Header=BB93_7 Depth=1
	v_cmp_class_f64_e64 s2, v[10:11], 0x1f8
                                        ; implicit-def: $vgpr18_vgpr19
	s_and_saveexec_b32 s34, s2
	s_delay_alu instid0(SALU_CYCLE_1)
	s_xor_b32 s34, exec_lo, s34
	s_cbranch_execz .LBB93_102
; %bb.85:                               ;   in Loop: Header=BB93_7 Depth=1
                                        ; implicit-def: $vgpr18_vgpr19
	s_mov_b32 s2, exec_lo
	v_cmpx_gt_u32_e32 0x40360000, v1
	s_xor_b32 s35, exec_lo, s2
	s_cbranch_execz .LBB93_91
; %bb.86:                               ;   in Loop: Header=BB93_7 Depth=1
	v_cmp_ngt_f64_e64 s2, 0x41d00000, |v[10:11]|
                                        ; implicit-def: $vgpr1
                                        ; implicit-def: $vgpr18_vgpr19
                                        ; implicit-def: $vgpr20_vgpr21
	s_and_saveexec_b32 s36, s2
	s_delay_alu instid0(SALU_CYCLE_1)
	s_xor_b32 s2, exec_lo, s36
	s_cbranch_execz .LBB93_88
; %bb.87:                               ;   in Loop: Header=BB93_7 Depth=1
	v_ldexp_f64 v[18:19], |v[10:11]|, 0xffffff80
	v_cmp_le_f64_e64 vcc_lo, 0x7b000000, |v[10:11]|
	v_trig_preop_f64 v[20:21], |v[10:11]|, 0
	v_and_b32_e32 v1, 0x7fffffff, v11
	v_trig_preop_f64 v[38:39], |v[10:11]|, 1
	v_trig_preop_f64 v[48:49], |v[10:11]|, 2
	s_delay_alu instid0(VALU_DEP_3) | instskip(NEXT) | instid1(VALU_DEP_1)
	v_dual_cndmask_b32 v19, v1, v19 :: v_dual_cndmask_b32 v18, v10, v18
	v_mul_f64_e32 v[40:41], v[20:21], v[18:19]
	s_delay_alu instid0(VALU_DEP_4) | instskip(NEXT) | instid1(VALU_DEP_4)
	v_mul_f64_e32 v[42:43], v[38:39], v[18:19]
	v_mul_f64_e32 v[54:55], v[48:49], v[18:19]
	s_delay_alu instid0(VALU_DEP_3) | instskip(NEXT) | instid1(VALU_DEP_3)
	v_fma_f64 v[20:21], v[20:21], v[18:19], -v[40:41]
	v_fma_f64 v[38:39], v[38:39], v[18:19], -v[42:43]
	s_delay_alu instid0(VALU_DEP_3) | instskip(NEXT) | instid1(VALU_DEP_3)
	v_fma_f64 v[18:19], v[48:49], v[18:19], -v[54:55]
	v_add_f64_e32 v[44:45], v[42:43], v[20:21]
	s_delay_alu instid0(VALU_DEP_1) | instskip(SKIP_1) | instid1(VALU_DEP_2)
	v_add_f64_e64 v[46:47], v[44:45], -v[42:43]
	v_add_f64_e32 v[52:53], v[40:41], v[44:45]
	v_add_f64_e64 v[50:51], v[44:45], -v[46:47]
	v_add_f64_e64 v[20:21], v[20:21], -v[46:47]
	s_delay_alu instid0(VALU_DEP_3) | instskip(NEXT) | instid1(VALU_DEP_3)
	v_ldexp_f64 v[46:47], v[52:53], -2
	v_add_f64_e64 v[42:43], v[42:43], -v[50:51]
	v_add_f64_e32 v[50:51], v[54:55], v[38:39]
	s_delay_alu instid0(VALU_DEP_3) | instskip(NEXT) | instid1(VALU_DEP_3)
	v_cmp_neq_f64_e64 vcc_lo, 0x7ff00000, |v[46:47]|
	v_add_f64_e32 v[20:21], v[20:21], v[42:43]
	v_fract_f64_e32 v[42:43], v[46:47]
	s_delay_alu instid0(VALU_DEP_1) | instskip(NEXT) | instid1(VALU_DEP_1)
	v_ldexp_f64 v[42:43], v[42:43], 2
	v_dual_add_f64 v[40:41], v[52:53], -v[40:41] :: v_dual_cndmask_b32 v42, 0, v42, vcc_lo
	s_delay_alu instid0(VALU_DEP_1) | instskip(SKIP_1) | instid1(VALU_DEP_1)
	v_dual_add_f64 v[40:41], v[44:45], -v[40:41] :: v_dual_cndmask_b32 v43, 0, v43, vcc_lo
	v_add_f64_e32 v[44:45], v[50:51], v[20:21]
	v_add_f64_e32 v[46:47], v[40:41], v[44:45]
	v_add_f64_e64 v[56:57], v[44:45], -v[50:51]
	s_delay_alu instid0(VALU_DEP_2) | instskip(NEXT) | instid1(VALU_DEP_2)
	v_add_f64_e32 v[52:53], v[46:47], v[42:43]
	v_add_f64_e64 v[62:63], v[44:45], -v[56:57]
	v_add_f64_e64 v[20:21], v[20:21], -v[56:57]
	;; [unrolled: 1-line block ×3, first 2 shown]
	s_delay_alu instid0(VALU_DEP_4) | instskip(SKIP_1) | instid1(VALU_DEP_3)
	v_cmp_gt_f64_e32 vcc_lo, 0, v[52:53]
	v_add_f64_e64 v[52:53], v[50:51], -v[54:55]
	v_add_f64_e64 v[40:41], v[44:45], -v[40:41]
	v_cndmask_b32_e64 v25, 0, 0x40100000, vcc_lo
	s_delay_alu instid0(VALU_DEP_3) | instskip(SKIP_2) | instid1(VALU_DEP_4)
	v_add_f64_e64 v[60:61], v[50:51], -v[52:53]
	v_add_f64_e64 v[38:39], v[38:39], -v[52:53]
	;; [unrolled: 1-line block ×3, first 2 shown]
	v_add_f64_e32 v[42:43], v[42:43], v[24:25]
	s_delay_alu instid0(VALU_DEP_4) | instskip(NEXT) | instid1(VALU_DEP_3)
	v_add_f64_e64 v[52:53], v[54:55], -v[60:61]
	v_add_f64_e32 v[20:21], v[20:21], v[50:51]
	s_delay_alu instid0(VALU_DEP_3) | instskip(NEXT) | instid1(VALU_DEP_3)
	v_add_f64_e32 v[58:59], v[46:47], v[42:43]
	v_add_f64_e32 v[38:39], v[38:39], v[52:53]
	s_delay_alu instid0(VALU_DEP_2) | instskip(NEXT) | instid1(VALU_DEP_2)
	v_cvt_i32_f64_e32 v1, v[58:59]
	v_add_f64_e32 v[20:21], v[38:39], v[20:21]
	s_delay_alu instid0(VALU_DEP_2) | instskip(NEXT) | instid1(VALU_DEP_2)
	v_cvt_f64_i32_e32 v[56:57], v1
	v_add_f64_e32 v[18:19], v[18:19], v[20:21]
	s_delay_alu instid0(VALU_DEP_2) | instskip(NEXT) | instid1(VALU_DEP_2)
	v_add_f64_e64 v[42:43], v[42:43], -v[56:57]
	v_add_f64_e32 v[18:19], v[40:41], v[18:19]
	s_delay_alu instid0(VALU_DEP_2) | instskip(NEXT) | instid1(VALU_DEP_1)
	v_add_f64_e32 v[38:39], v[46:47], v[42:43]
	v_add_f64_e64 v[20:21], v[38:39], -v[42:43]
	v_cmp_le_f64_e32 vcc_lo, 0.5, v[38:39]
	s_delay_alu instid0(VALU_DEP_2) | instskip(SKIP_2) | instid1(VALU_DEP_3)
	v_add_f64_e64 v[20:21], v[46:47], -v[20:21]
	v_cndmask_b32_e64 v25, 0, 0x3ff00000, vcc_lo
	v_add_co_ci_u32_e64 v1, null, 0, v1, vcc_lo
	v_add_f64_e32 v[18:19], v[18:19], v[20:21]
	s_delay_alu instid0(VALU_DEP_3) | instskip(NEXT) | instid1(VALU_DEP_1)
	v_add_f64_e64 v[20:21], v[38:39], -v[24:25]
	v_add_f64_e32 v[38:39], v[20:21], v[18:19]
	s_delay_alu instid0(VALU_DEP_1) | instskip(SKIP_1) | instid1(VALU_DEP_2)
	v_mul_f64_e32 v[40:41], 0x3ff921fb54442d18, v[38:39]
	v_add_f64_e64 v[20:21], v[38:39], -v[20:21]
	v_fma_f64 v[42:43], v[38:39], s[12:13], -v[40:41]
	s_delay_alu instid0(VALU_DEP_2) | instskip(NEXT) | instid1(VALU_DEP_2)
	v_add_f64_e64 v[18:19], v[18:19], -v[20:21]
	v_fmac_f64_e32 v[42:43], 0x3c91a62633145c07, v[38:39]
	s_delay_alu instid0(VALU_DEP_1) | instskip(NEXT) | instid1(VALU_DEP_1)
	v_fmac_f64_e32 v[42:43], 0x3ff921fb54442d18, v[18:19]
	v_add_f64_e32 v[18:19], v[40:41], v[42:43]
	s_delay_alu instid0(VALU_DEP_1) | instskip(NEXT) | instid1(VALU_DEP_1)
	v_add_f64_e64 v[20:21], v[18:19], -v[40:41]
	v_add_f64_e64 v[20:21], v[42:43], -v[20:21]
.LBB93_88:                              ;   in Loop: Header=BB93_7 Depth=1
	s_and_not1_saveexec_b32 s2, s2
	s_cbranch_execz .LBB93_90
; %bb.89:                               ;   in Loop: Header=BB93_7 Depth=1
	v_mul_f64_e64 v[18:19], |v[10:11]|, s[14:15]
	s_delay_alu instid0(VALU_DEP_1) | instskip(NEXT) | instid1(VALU_DEP_1)
	v_rndne_f64_e32 v[38:39], v[18:19]
	v_fma_f64 v[18:19], v[38:39], s[16:17], |v[10:11]|
	v_mul_f64_e32 v[20:21], 0xbc91a62633145c00, v[38:39]
	v_cvt_i32_f64_e32 v1, v[38:39]
	s_delay_alu instid0(VALU_DEP_3) | instskip(NEXT) | instid1(VALU_DEP_3)
	v_fmamk_f64 v[44:45], v[38:39], 0xbc91a62633145c00, v[18:19]
	v_add_f64_e32 v[40:41], v[18:19], v[20:21]
	s_delay_alu instid0(VALU_DEP_1) | instskip(NEXT) | instid1(VALU_DEP_3)
	v_add_f64_e64 v[42:43], v[18:19], -v[40:41]
	v_add_f64_e64 v[18:19], v[40:41], -v[44:45]
	s_delay_alu instid0(VALU_DEP_2) | instskip(SKIP_1) | instid1(VALU_DEP_2)
	v_add_f64_e32 v[40:41], v[42:43], v[20:21]
	v_fmamk_f64 v[20:21], v[38:39], 0x3c91a62633145c00, v[20:21]
	v_add_f64_e32 v[18:19], v[18:19], v[40:41]
	s_delay_alu instid0(VALU_DEP_1) | instskip(NEXT) | instid1(VALU_DEP_1)
	v_add_f64_e64 v[20:21], v[18:19], -v[20:21]
	v_fmac_f64_e32 v[20:21], 0xb97b839a252049c0, v[38:39]
	s_delay_alu instid0(VALU_DEP_1) | instskip(NEXT) | instid1(VALU_DEP_1)
	v_add_f64_e32 v[18:19], v[44:45], v[20:21]
	v_add_f64_e64 v[40:41], v[18:19], -v[44:45]
	s_delay_alu instid0(VALU_DEP_1)
	v_add_f64_e64 v[20:21], v[20:21], -v[40:41]
.LBB93_90:                              ;   in Loop: Header=BB93_7 Depth=1
	s_or_b32 exec_lo, exec_lo, s2
	v_add_f64_e64 v[38:39], |v[12:13]|, s[18:19]
	v_cmp_nge_f64_e64 vcc_lo, |v[12:13]|, s[20:21]
	v_dual_mul_f64 v[56:57], v[18:19], v[18:19] :: v_dual_bitop2_b32 v1, 1, v1 bitop3:0x40
	s_delay_alu instid0(VALU_DEP_4) | instskip(NEXT) | instid1(VALU_DEP_2)
	v_add_f64_e32 v[58:59], v[20:21], v[20:21]
	v_cmp_eq_u32_e64 s2, 0, v1
	v_add_f64_e64 v[40:41], v[38:39], -|v[12:13]|
	s_delay_alu instid0(VALU_DEP_4) | instskip(NEXT) | instid1(VALU_DEP_2)
	v_fma_f64 v[60:61], v[18:19], v[18:19], -v[56:57]
	v_add_f64_e64 v[42:43], v[40:41], -v[38:39]
	v_add_f64_e32 v[40:41], 0x3fe62e42fefa39ef, v[40:41]
	s_delay_alu instid0(VALU_DEP_3) | instskip(NEXT) | instid1(VALU_DEP_3)
	v_fmac_f64_e32 v[60:61], v[18:19], v[58:59]
	v_add_f64_e64 v[42:43], |v[12:13]|, v[42:43]
	s_delay_alu instid0(VALU_DEP_2) | instskip(NEXT) | instid1(VALU_DEP_2)
	v_add_f64_e32 v[56:57], v[56:57], v[60:61]
	v_add_f64_e64 v[40:41], v[42:43], -v[40:41]
	s_delay_alu instid0(VALU_DEP_2) | instskip(NEXT) | instid1(VALU_DEP_1)
	v_fmamk_f64 v[60:61], v[56:57], 0x3ef5e089c751c08c, v[28:29]
	v_fmaak_f64 v[60:61], v[56:57], v[60:61], 0x3f17746f90a8aae0
	s_delay_alu instid0(VALU_DEP_1) | instskip(NEXT) | instid1(VALU_DEP_4)
	v_fmaak_f64 v[60:61], v[56:57], v[60:61], 0xbefbb44da6fbf144
	v_add_f64_e32 v[40:41], 0xbc7abc9e3b39803f, v[40:41]
	s_delay_alu instid0(VALU_DEP_1) | instskip(NEXT) | instid1(VALU_DEP_1)
	v_add_f64_e32 v[42:43], v[38:39], v[40:41]
	v_mul_f64_e32 v[44:45], 0x3ff71547652b82fe, v[42:43]
	v_add_f64_e64 v[38:39], v[38:39], -v[42:43]
	s_delay_alu instid0(VALU_DEP_2) | instskip(NEXT) | instid1(VALU_DEP_2)
	v_rndne_f64_e32 v[44:45], v[44:45]
	v_add_f64_e32 v[38:39], v[40:41], v[38:39]
	s_delay_alu instid0(VALU_DEP_2) | instskip(SKIP_2) | instid1(VALU_DEP_3)
	v_fmac_f64_e32 v[42:43], 0xbfe62e42fefa3000, v[44:45]
	v_mul_f64_e32 v[40:41], 0xbd53de6af278e000, v[44:45]
	v_cvt_i32_f64_e32 v10, v[44:45]
	v_add_f64_e32 v[46:47], v[38:39], v[42:43]
	s_delay_alu instid0(VALU_DEP_1) | instskip(SKIP_1) | instid1(VALU_DEP_2)
	v_add_f64_e32 v[48:49], v[46:47], v[40:41]
	v_add_f64_e64 v[42:43], v[42:43], -v[46:47]
	v_add_f64_e64 v[46:47], v[46:47], -v[48:49]
	s_delay_alu instid0(VALU_DEP_2) | instskip(NEXT) | instid1(VALU_DEP_2)
	v_add_f64_e32 v[38:39], v[38:39], v[42:43]
	v_add_f64_e32 v[40:41], v[46:47], v[40:41]
	s_delay_alu instid0(VALU_DEP_1) | instskip(SKIP_1) | instid1(VALU_DEP_2)
	v_add_f64_e32 v[38:39], v[38:39], v[40:41]
	v_mul_f64_e32 v[40:41], 0xbac9cc01f97b57a0, v[44:45]
	v_add_f64_e32 v[42:43], v[48:49], v[38:39]
	s_delay_alu instid0(VALU_DEP_1) | instskip(SKIP_1) | instid1(VALU_DEP_2)
	v_add_f64_e32 v[46:47], v[42:43], v[40:41]
	v_add_f64_e64 v[48:49], v[48:49], -v[42:43]
	v_add_f64_e64 v[42:43], v[42:43], -v[46:47]
	s_delay_alu instid0(VALU_DEP_2) | instskip(NEXT) | instid1(VALU_DEP_2)
	v_add_f64_e32 v[38:39], v[38:39], v[48:49]
	v_add_f64_e32 v[40:41], v[42:43], v[40:41]
	s_delay_alu instid0(VALU_DEP_1) | instskip(NEXT) | instid1(VALU_DEP_1)
	v_add_f64_e32 v[38:39], v[38:39], v[40:41]
	v_add_f64_e32 v[40:41], v[46:47], v[38:39]
	s_delay_alu instid0(VALU_DEP_1) | instskip(SKIP_1) | instid1(VALU_DEP_2)
	v_add_f64_e64 v[42:43], v[46:47], -v[40:41]
	v_mul_f64_e32 v[46:47], v[40:41], v[40:41]
	v_add_f64_e32 v[38:39], v[38:39], v[42:43]
	s_delay_alu instid0(VALU_DEP_2) | instskip(NEXT) | instid1(VALU_DEP_2)
	v_fma_f64 v[42:43], v[40:41], v[40:41], -v[46:47]
	v_add_f64_e32 v[48:49], v[38:39], v[38:39]
	s_delay_alu instid0(VALU_DEP_1) | instskip(SKIP_1) | instid1(VALU_DEP_1)
	v_fmac_f64_e32 v[42:43], v[40:41], v[48:49]
	v_fmamk_f64 v[48:49], v[40:41], 0x3e5ade156a5dcb37, v[30:31]
	v_fmaak_f64 v[48:49], v[40:41], v[48:49], 0x3ec71dee623fde64
	s_delay_alu instid0(VALU_DEP_1) | instskip(NEXT) | instid1(VALU_DEP_1)
	v_fmaak_f64 v[48:49], v[40:41], v[48:49], 0x3efa01997c89e6b0
	v_fmaak_f64 v[48:49], v[40:41], v[48:49], 0x3f2a01a014761f6e
	s_delay_alu instid0(VALU_DEP_1) | instskip(SKIP_1) | instid1(VALU_DEP_2)
	v_fmaak_f64 v[48:49], v[40:41], v[48:49], 0x3f56c16c1852b7b0
	v_add_f64_e32 v[50:51], v[46:47], v[42:43]
	v_fmaak_f64 v[48:49], v[40:41], v[48:49], 0x3f81111111122322
	s_delay_alu instid0(VALU_DEP_1) | instskip(NEXT) | instid1(VALU_DEP_1)
	v_fmaak_f64 v[48:49], v[40:41], v[48:49], 0x3fa55555555502a1
	v_fmaak_f64 v[48:49], v[40:41], v[48:49], 0x3fc5555555555511
	s_delay_alu instid0(VALU_DEP_1) | instskip(SKIP_1) | instid1(VALU_DEP_2)
	v_fmaak_f64 v[48:49], v[40:41], v[48:49], 0x3fe000000000000b
	v_add_f64_e64 v[46:47], v[50:51], -v[46:47]
	v_mul_f64_e32 v[52:53], v[50:51], v[48:49]
	s_delay_alu instid0(VALU_DEP_2) | instskip(NEXT) | instid1(VALU_DEP_2)
	v_add_f64_e64 v[42:43], v[42:43], -v[46:47]
	v_fma_f64 v[46:47], v[50:51], v[48:49], -v[52:53]
	s_delay_alu instid0(VALU_DEP_1) | instskip(NEXT) | instid1(VALU_DEP_1)
	v_fmac_f64_e32 v[46:47], v[42:43], v[48:49]
	v_add_f64_e32 v[42:43], v[52:53], v[46:47]
	s_delay_alu instid0(VALU_DEP_1) | instskip(SKIP_1) | instid1(VALU_DEP_2)
	v_add_f64_e32 v[48:49], v[40:41], v[42:43]
	v_add_f64_e64 v[50:51], v[42:43], -v[52:53]
	v_add_f64_e64 v[40:41], v[48:49], -v[40:41]
	s_delay_alu instid0(VALU_DEP_2) | instskip(NEXT) | instid1(VALU_DEP_2)
	v_add_f64_e64 v[46:47], v[46:47], -v[50:51]
	v_add_f64_e64 v[40:41], v[42:43], -v[40:41]
	s_delay_alu instid0(VALU_DEP_2) | instskip(NEXT) | instid1(VALU_DEP_1)
	v_add_f64_e32 v[38:39], v[38:39], v[46:47]
	v_add_f64_e32 v[38:39], v[38:39], v[40:41]
	s_delay_alu instid0(VALU_DEP_1) | instskip(NEXT) | instid1(VALU_DEP_1)
	v_add_f64_e32 v[40:41], v[48:49], v[38:39]
	v_add_f64_e32 v[42:43], 1.0, v[40:41]
	v_add_f64_e64 v[46:47], v[40:41], -v[48:49]
	s_delay_alu instid0(VALU_DEP_2) | instskip(NEXT) | instid1(VALU_DEP_2)
	v_add_f64_e32 v[48:49], -1.0, v[42:43]
	v_add_f64_e64 v[38:39], v[38:39], -v[46:47]
	s_delay_alu instid0(VALU_DEP_2) | instskip(NEXT) | instid1(VALU_DEP_1)
	v_add_f64_e64 v[40:41], v[40:41], -v[48:49]
	v_add_f64_e32 v[38:39], v[38:39], v[40:41]
	s_delay_alu instid0(VALU_DEP_1) | instskip(NEXT) | instid1(VALU_DEP_1)
	v_add_f64_e32 v[40:41], v[42:43], v[38:39]
	v_ldexp_f64 v[44:45], v[40:41], v10
	v_add_f64_e64 v[40:41], v[40:41], -v[42:43]
	s_delay_alu instid0(VALU_DEP_2) | instskip(NEXT) | instid1(VALU_DEP_1)
	v_rcp_f64_e32 v[46:47], v[44:45]
	v_add_f64_e64 v[38:39], v[38:39], -v[40:41]
	s_delay_alu instid0(VALU_DEP_1) | instskip(NEXT) | instid1(TRANS32_DEP_1)
	v_ldexp_f64 v[38:39], v[38:39], v10
	v_fma_f64 v[48:49], -v[44:45], v[46:47], 1.0
	s_delay_alu instid0(VALU_DEP_1) | instskip(NEXT) | instid1(VALU_DEP_1)
	v_fmac_f64_e32 v[46:47], v[48:49], v[46:47]
	v_fma_f64 v[48:49], -v[44:45], v[46:47], 1.0
	s_delay_alu instid0(VALU_DEP_1) | instskip(NEXT) | instid1(VALU_DEP_1)
	v_fmac_f64_e32 v[46:47], v[48:49], v[46:47]
	v_mul_f64_e32 v[40:41], v[44:45], v[46:47]
	s_delay_alu instid0(VALU_DEP_1) | instskip(NEXT) | instid1(VALU_DEP_1)
	v_fma_f64 v[42:43], v[46:47], v[44:45], -v[40:41]
	v_fmac_f64_e32 v[42:43], v[46:47], v[38:39]
	s_delay_alu instid0(VALU_DEP_1) | instskip(NEXT) | instid1(VALU_DEP_1)
	v_add_f64_e32 v[48:49], v[40:41], v[42:43]
	v_add_f64_e64 v[50:51], -v[48:49], 1.0
	v_add_f64_e64 v[40:41], v[48:49], -v[40:41]
	s_delay_alu instid0(VALU_DEP_2) | instskip(NEXT) | instid1(VALU_DEP_2)
	v_add_f64_e64 v[52:53], -v[50:51], 1.0
	v_add_f64_e64 v[40:41], v[40:41], -v[42:43]
	s_delay_alu instid0(VALU_DEP_2) | instskip(NEXT) | instid1(VALU_DEP_1)
	v_add_f64_e64 v[42:43], v[52:53], -v[48:49]
	v_add_f64_e32 v[40:41], v[40:41], v[42:43]
	s_delay_alu instid0(VALU_DEP_1) | instskip(NEXT) | instid1(VALU_DEP_1)
	v_add_f64_e32 v[42:43], v[50:51], v[40:41]
	v_mul_f64_e32 v[48:49], v[46:47], v[42:43]
	v_add_f64_e64 v[50:51], v[50:51], -v[42:43]
	s_delay_alu instid0(VALU_DEP_2) | instskip(NEXT) | instid1(VALU_DEP_2)
	v_mul_f64_e32 v[52:53], v[44:45], v[48:49]
	v_add_f64_e32 v[40:41], v[40:41], v[50:51]
	s_delay_alu instid0(VALU_DEP_2) | instskip(NEXT) | instid1(VALU_DEP_1)
	v_fma_f64 v[54:55], v[48:49], v[44:45], -v[52:53]
	v_fmac_f64_e32 v[54:55], v[48:49], v[38:39]
	s_delay_alu instid0(VALU_DEP_1) | instskip(NEXT) | instid1(VALU_DEP_1)
	v_add_f64_e32 v[62:63], v[52:53], v[54:55]
	v_add_f64_e64 v[58:59], v[42:43], -v[62:63]
	v_add_f64_e64 v[50:51], v[62:63], -v[52:53]
	v_fmaak_f64 v[52:53], v[56:57], v[60:61], 0x3f21e634a7943acf
	s_delay_alu instid0(VALU_DEP_1) | instskip(NEXT) | instid1(VALU_DEP_1)
	v_fmaak_f64 v[52:53], v[56:57], v[52:53], 0x3f2d250fdeb68feb
	v_fmaak_f64 v[52:53], v[56:57], v[52:53], 0x3f437fd9b58c4d95
	s_delay_alu instid0(VALU_DEP_1) | instskip(NEXT) | instid1(VALU_DEP_1)
	v_fmaak_f64 v[52:53], v[56:57], v[52:53], 0x3f57d5af15120e2c
	v_fmaak_f64 v[52:53], v[56:57], v[52:53], 0x3f6d6d93e09491df
	v_add_f64_e64 v[42:43], v[42:43], -v[58:59]
	v_add_f64_e64 v[50:51], v[50:51], -v[54:55]
	s_delay_alu instid0(VALU_DEP_2) | instskip(NEXT) | instid1(VALU_DEP_1)
	v_add_f64_e64 v[42:43], v[42:43], -v[62:63]
	v_add_f64_e32 v[40:41], v[40:41], v[42:43]
	v_fmaak_f64 v[42:43], v[56:57], v[52:53], 0x3f8226e12033784d
	v_add_f64_e32 v[52:53], v[46:47], v[48:49]
	s_delay_alu instid0(VALU_DEP_2) | instskip(NEXT) | instid1(VALU_DEP_1)
	v_fmaak_f64 v[42:43], v[56:57], v[42:43], 0x3f9664f49ac36ae2
	v_fmaak_f64 v[42:43], v[56:57], v[42:43], 0x3faba1ba1b451c21
	s_delay_alu instid0(VALU_DEP_1) | instskip(NEXT) | instid1(VALU_DEP_1)
	v_fmaak_f64 v[42:43], v[56:57], v[42:43], 0x3fc11111111185b7
	v_fmaak_f64 v[42:43], v[56:57], v[42:43], 0x3fd55555555554ee
	v_add_f64_e32 v[40:41], v[50:51], v[40:41]
	v_add_f64_e64 v[50:51], v[52:53], -v[46:47]
	s_delay_alu instid0(VALU_DEP_3) | instskip(NEXT) | instid1(VALU_DEP_3)
	v_mul_f64_e32 v[42:43], v[56:57], v[42:43]
	v_add_f64_e32 v[40:41], v[58:59], v[40:41]
	s_delay_alu instid0(VALU_DEP_3) | instskip(NEXT) | instid1(VALU_DEP_3)
	v_add_f64_e64 v[48:49], v[48:49], -v[50:51]
	v_mul_f64_e32 v[54:55], v[18:19], v[42:43]
	s_delay_alu instid0(VALU_DEP_3) | instskip(NEXT) | instid1(VALU_DEP_2)
	v_mul_f64_e32 v[40:41], v[46:47], v[40:41]
	v_add_f64_e32 v[46:47], v[18:19], v[54:55]
	v_fma_f64 v[42:43], v[18:19], v[42:43], -v[54:55]
	s_delay_alu instid0(VALU_DEP_3) | instskip(NEXT) | instid1(VALU_DEP_3)
	v_add_f64_e32 v[40:41], v[48:49], v[40:41]
	v_add_f64_e64 v[18:19], v[46:47], -v[18:19]
	s_delay_alu instid0(VALU_DEP_3) | instskip(NEXT) | instid1(VALU_DEP_3)
	v_add_f64_e32 v[20:21], v[20:21], v[42:43]
	v_add_f64_e32 v[48:49], v[52:53], v[40:41]
	s_delay_alu instid0(VALU_DEP_3) | instskip(NEXT) | instid1(VALU_DEP_2)
	v_add_f64_e64 v[18:19], v[54:55], -v[18:19]
	v_ldexp_f64 v[42:43], v[48:49], -2
	v_add_f64_e64 v[48:49], v[48:49], -v[52:53]
	s_delay_alu instid0(VALU_DEP_3) | instskip(NEXT) | instid1(VALU_DEP_3)
	v_add_f64_e32 v[18:19], v[20:21], v[18:19]
	v_add_f64_e64 v[20:21], v[44:45], -v[42:43]
	s_delay_alu instid0(VALU_DEP_3) | instskip(NEXT) | instid1(VALU_DEP_3)
	v_add_f64_e64 v[40:41], v[40:41], -v[48:49]
	v_add_f64_e32 v[50:51], v[46:47], v[18:19]
	s_delay_alu instid0(VALU_DEP_3) | instskip(NEXT) | instid1(VALU_DEP_3)
	v_add_f64_e64 v[44:45], v[44:45], -v[20:21]
	v_ldexp_f64 v[40:41], v[40:41], -2
	s_delay_alu instid0(VALU_DEP_3) | instskip(NEXT) | instid1(VALU_DEP_2)
	v_rcp_f64_e32 v[52:53], v[50:51]
	v_add_f64_e64 v[42:43], v[44:45], -v[42:43]
	s_delay_alu instid0(TRANS32_DEP_1) | instskip(NEXT) | instid1(VALU_DEP_2)
	v_fma_f64 v[44:45], -v[50:51], v[52:53], 1.0
	v_add_f64_e32 v[38:39], v[38:39], v[42:43]
	s_delay_alu instid0(VALU_DEP_2) | instskip(NEXT) | instid1(VALU_DEP_2)
	v_fmac_f64_e32 v[52:53], v[44:45], v[52:53]
	v_add_f64_e64 v[38:39], v[38:39], -v[40:41]
	s_delay_alu instid0(VALU_DEP_2) | instskip(NEXT) | instid1(VALU_DEP_2)
	v_fma_f64 v[40:41], -v[50:51], v[52:53], 1.0
	v_add_f64_e32 v[20:21], v[20:21], v[38:39]
	s_delay_alu instid0(VALU_DEP_2) | instskip(SKIP_1) | instid1(VALU_DEP_3)
	v_fmac_f64_e32 v[52:53], v[40:41], v[52:53]
	v_and_b32_e32 v40, 0x7fffffff, v13
	v_cndmask_b32_e32 v10, 0x7ff00000, v21, vcc_lo
	s_delay_alu instid0(VALU_DEP_4)
	v_cndmask_b32_e32 v25, 0, v20, vcc_lo
	v_cmp_gt_f64_e64 vcc_lo, 0x3e400000, |v[12:13]|
	v_xor_b32_e32 v13, 0x80000000, v13
	v_add_f64_e64 v[20:21], v[50:51], -v[46:47]
	v_mul_f64_e32 v[38:39], v[50:51], v[52:53]
	v_cndmask_b32_e32 v10, v10, v40, vcc_lo
	v_cndmask_b32_e32 v12, v25, v12, vcc_lo
	s_delay_alu instid0(VALU_DEP_4) | instskip(NEXT) | instid1(VALU_DEP_3)
	v_add_f64_e64 v[18:19], v[18:19], -v[20:21]
	v_bfi_b32 v13, 0x7fffffff, v10, v13
	v_fma_f64 v[20:21], v[52:53], v[50:51], -v[38:39]
	s_delay_alu instid0(VALU_DEP_2) | instskip(NEXT) | instid1(VALU_DEP_2)
	v_fma_f64 v[40:41], v[12:13], v[12:13], 1.0
	v_fmac_f64_e32 v[20:21], v[52:53], v[18:19]
	s_delay_alu instid0(VALU_DEP_2) | instskip(SKIP_1) | instid1(VALU_DEP_1)
	v_cmp_gt_f64_e32 vcc_lo, 0x10000000, v[40:41]
	v_cndmask_b32_e64 v10, 0, 0x100, vcc_lo
	v_ldexp_f64 v[18:19], v[40:41], v10
	s_delay_alu instid0(VALU_DEP_4) | instskip(NEXT) | instid1(VALU_DEP_2)
	v_add_f64_e32 v[40:41], v[38:39], v[20:21]
	v_rsq_f64_e32 v[42:43], v[18:19]
	s_delay_alu instid0(VALU_DEP_1) | instskip(SKIP_1) | instid1(VALU_DEP_2)
	v_add_f64_e64 v[44:45], -v[40:41], 1.0
	v_add_f64_e64 v[38:39], v[40:41], -v[38:39]
	v_add_f64_e64 v[48:49], -v[44:45], 1.0
	s_delay_alu instid0(VALU_DEP_2) | instskip(NEXT) | instid1(TRANS32_DEP_1)
	v_add_f64_e64 v[20:21], v[38:39], -v[20:21]
	v_mul_f64_e32 v[46:47], v[18:19], v[42:43]
	v_mul_f64_e32 v[42:43], 0.5, v[42:43]
	s_delay_alu instid0(VALU_DEP_4) | instskip(NEXT) | instid1(VALU_DEP_2)
	v_add_f64_e64 v[38:39], v[48:49], -v[40:41]
	v_fma_f64 v[54:55], -v[42:43], v[46:47], 0.5
	s_delay_alu instid0(VALU_DEP_2) | instskip(NEXT) | instid1(VALU_DEP_2)
	v_add_f64_e32 v[20:21], v[20:21], v[38:39]
	v_fmac_f64_e32 v[46:47], v[46:47], v[54:55]
	v_fmac_f64_e32 v[42:43], v[42:43], v[54:55]
	s_delay_alu instid0(VALU_DEP_3) | instskip(NEXT) | instid1(VALU_DEP_3)
	v_add_f64_e32 v[20:21], v[44:45], v[20:21]
	v_fma_f64 v[38:39], -v[46:47], v[46:47], v[18:19]
	s_delay_alu instid0(VALU_DEP_2) | instskip(NEXT) | instid1(VALU_DEP_2)
	v_mul_f64_e32 v[20:21], v[52:53], v[20:21]
	v_fmac_f64_e32 v[46:47], v[38:39], v[42:43]
	s_delay_alu instid0(VALU_DEP_2) | instskip(NEXT) | instid1(VALU_DEP_2)
	v_add_f64_e32 v[20:21], v[52:53], v[20:21]
	v_fma_f64 v[38:39], -v[46:47], v[46:47], v[18:19]
	s_delay_alu instid0(VALU_DEP_2) | instskip(NEXT) | instid1(VALU_DEP_3)
	v_xor_b32_e32 v21, 0x80000000, v21
	v_cndmask_b32_e64 v10, v20, v50, s2
	v_cndmask_b32_e64 v20, 0, 0xffffff80, vcc_lo
	v_cmp_class_f64_e64 vcc_lo, v[18:19], 0x260
	s_delay_alu instid0(VALU_DEP_4) | instskip(SKIP_1) | instid1(VALU_DEP_2)
	v_cndmask_b32_e64 v1, v21, v51, s2
	v_fmac_f64_e32 v[46:47], v[38:39], v[42:43]
	v_bitop3_b32 v11, v1, v11, 0x80000000 bitop3:0x78
	s_delay_alu instid0(VALU_DEP_1) | instskip(NEXT) | instid1(VALU_DEP_3)
	v_fma_f64 v[38:39], v[10:11], v[10:11], 1.0
	v_ldexp_f64 v[20:21], v[46:47], v20
	s_delay_alu instid0(VALU_DEP_1) | instskip(NEXT) | instid1(VALU_DEP_3)
	v_dual_cndmask_b32 v19, v21, v19 :: v_dual_cndmask_b32 v18, v20, v18
	v_mul_f64_e32 v[20:21], v[12:13], v[38:39]
	s_delay_alu instid0(VALU_DEP_2) | instskip(NEXT) | instid1(VALU_DEP_2)
	v_mul_f64_e32 v[18:19], v[18:19], v[38:39]
	v_fma_f64 v[38:39], v[12:13], v[20:21], 1.0
	s_delay_alu instid0(VALU_DEP_2) | instskip(NEXT) | instid1(VALU_DEP_2)
	v_mul_f64_e32 v[12:13], v[12:13], v[18:19]
	v_div_scale_f64 v[20:21], null, v[38:39], v[38:39], v[10:11]
	s_delay_alu instid0(VALU_DEP_2) | instskip(SKIP_1) | instid1(VALU_DEP_3)
	v_div_scale_f64 v[18:19], null, v[38:39], v[38:39], v[12:13]
	v_div_scale_f64 v[48:49], vcc_lo, v[12:13], v[38:39], v[12:13]
	v_rcp_f64_e32 v[42:43], v[20:21]
	s_delay_alu instid0(VALU_DEP_2) | instskip(NEXT) | instid1(TRANS32_DEP_2)
	v_rcp_f64_e32 v[40:41], v[18:19]
	v_fma_f64 v[46:47], -v[20:21], v[42:43], 1.0
	s_delay_alu instid0(TRANS32_DEP_1) | instskip(NEXT) | instid1(VALU_DEP_2)
	v_fma_f64 v[44:45], -v[18:19], v[40:41], 1.0
	v_fmac_f64_e32 v[42:43], v[42:43], v[46:47]
	s_delay_alu instid0(VALU_DEP_2) | instskip(NEXT) | instid1(VALU_DEP_2)
	v_fmac_f64_e32 v[40:41], v[40:41], v[44:45]
	v_fma_f64 v[46:47], -v[20:21], v[42:43], 1.0
	s_delay_alu instid0(VALU_DEP_2) | instskip(NEXT) | instid1(VALU_DEP_2)
	v_fma_f64 v[44:45], -v[18:19], v[40:41], 1.0
	v_fmac_f64_e32 v[42:43], v[42:43], v[46:47]
	s_delay_alu instid0(VALU_DEP_2) | instskip(SKIP_1) | instid1(VALU_DEP_2)
	v_fmac_f64_e32 v[40:41], v[40:41], v[44:45]
	v_div_scale_f64 v[44:45], s2, v[10:11], v[38:39], v[10:11]
	v_mul_f64_e32 v[46:47], v[48:49], v[40:41]
	s_delay_alu instid0(VALU_DEP_2) | instskip(NEXT) | instid1(VALU_DEP_2)
	v_mul_f64_e32 v[50:51], v[44:45], v[42:43]
	v_fma_f64 v[18:19], -v[18:19], v[46:47], v[48:49]
	s_delay_alu instid0(VALU_DEP_2) | instskip(NEXT) | instid1(VALU_DEP_2)
	v_fma_f64 v[20:21], -v[20:21], v[50:51], v[44:45]
	v_div_fmas_f64 v[18:19], v[18:19], v[40:41], v[46:47]
	s_mov_b32 vcc_lo, s2
	s_delay_alu instid0(VALU_DEP_2) | instskip(NEXT) | instid1(VALU_DEP_2)
	v_div_fmas_f64 v[40:41], v[20:21], v[42:43], v[50:51]
	v_div_fixup_f64 v[20:21], v[18:19], v[38:39], v[12:13]
	s_delay_alu instid0(VALU_DEP_2)
	v_div_fixup_f64 v[18:19], v[40:41], v[38:39], v[10:11]
                                        ; implicit-def: $vgpr10_vgpr11
.LBB93_91:                              ;   in Loop: Header=BB93_7 Depth=1
	s_and_not1_saveexec_b32 s2, s35
	s_cbranch_execz .LBB93_101
; %bb.92:                               ;   in Loop: Header=BB93_7 Depth=1
	v_cmp_ngt_f64_e64 s35, 0x41d00000, |v[10:11]|
                                        ; implicit-def: $vgpr1
                                        ; implicit-def: $vgpr18_vgpr19
                                        ; implicit-def: $vgpr20_vgpr21
	s_and_saveexec_b32 s36, s35
	s_delay_alu instid0(SALU_CYCLE_1)
	s_xor_b32 s36, exec_lo, s36
	s_cbranch_execz .LBB93_94
; %bb.93:                               ;   in Loop: Header=BB93_7 Depth=1
	v_ldexp_f64 v[18:19], |v[10:11]|, 0xffffff80
	v_cmp_le_f64_e64 vcc_lo, 0x7b000000, |v[10:11]|
	v_trig_preop_f64 v[20:21], |v[10:11]|, 0
	v_and_b32_e32 v1, 0x7fffffff, v11
	v_trig_preop_f64 v[38:39], |v[10:11]|, 1
	v_trig_preop_f64 v[48:49], |v[10:11]|, 2
	s_delay_alu instid0(VALU_DEP_3) | instskip(NEXT) | instid1(VALU_DEP_1)
	v_dual_cndmask_b32 v19, v1, v19 :: v_dual_cndmask_b32 v18, v10, v18
	v_mul_f64_e32 v[40:41], v[20:21], v[18:19]
	s_delay_alu instid0(VALU_DEP_4) | instskip(NEXT) | instid1(VALU_DEP_4)
	v_mul_f64_e32 v[42:43], v[38:39], v[18:19]
	v_mul_f64_e32 v[54:55], v[48:49], v[18:19]
	s_delay_alu instid0(VALU_DEP_3) | instskip(NEXT) | instid1(VALU_DEP_3)
	v_fma_f64 v[20:21], v[20:21], v[18:19], -v[40:41]
	v_fma_f64 v[38:39], v[38:39], v[18:19], -v[42:43]
	s_delay_alu instid0(VALU_DEP_3) | instskip(NEXT) | instid1(VALU_DEP_3)
	v_fma_f64 v[18:19], v[48:49], v[18:19], -v[54:55]
	v_add_f64_e32 v[44:45], v[42:43], v[20:21]
	s_delay_alu instid0(VALU_DEP_1) | instskip(SKIP_1) | instid1(VALU_DEP_2)
	v_add_f64_e64 v[46:47], v[44:45], -v[42:43]
	v_add_f64_e32 v[52:53], v[40:41], v[44:45]
	v_add_f64_e64 v[50:51], v[44:45], -v[46:47]
	v_add_f64_e64 v[20:21], v[20:21], -v[46:47]
	s_delay_alu instid0(VALU_DEP_3) | instskip(NEXT) | instid1(VALU_DEP_3)
	v_ldexp_f64 v[46:47], v[52:53], -2
	v_add_f64_e64 v[42:43], v[42:43], -v[50:51]
	v_add_f64_e32 v[50:51], v[54:55], v[38:39]
	s_delay_alu instid0(VALU_DEP_3) | instskip(NEXT) | instid1(VALU_DEP_3)
	v_cmp_neq_f64_e64 vcc_lo, 0x7ff00000, |v[46:47]|
	v_add_f64_e32 v[20:21], v[20:21], v[42:43]
	v_fract_f64_e32 v[42:43], v[46:47]
	s_delay_alu instid0(VALU_DEP_1) | instskip(NEXT) | instid1(VALU_DEP_1)
	v_ldexp_f64 v[42:43], v[42:43], 2
	v_dual_add_f64 v[40:41], v[52:53], -v[40:41] :: v_dual_cndmask_b32 v42, 0, v42, vcc_lo
	s_delay_alu instid0(VALU_DEP_1) | instskip(SKIP_1) | instid1(VALU_DEP_1)
	v_dual_add_f64 v[40:41], v[44:45], -v[40:41] :: v_dual_cndmask_b32 v43, 0, v43, vcc_lo
	v_add_f64_e32 v[44:45], v[50:51], v[20:21]
	v_add_f64_e32 v[46:47], v[40:41], v[44:45]
	v_add_f64_e64 v[56:57], v[44:45], -v[50:51]
	s_delay_alu instid0(VALU_DEP_2) | instskip(NEXT) | instid1(VALU_DEP_2)
	v_add_f64_e32 v[52:53], v[46:47], v[42:43]
	v_add_f64_e64 v[62:63], v[44:45], -v[56:57]
	v_add_f64_e64 v[20:21], v[20:21], -v[56:57]
	v_add_f64_e64 v[40:41], v[46:47], -v[40:41]
	s_delay_alu instid0(VALU_DEP_4) | instskip(SKIP_1) | instid1(VALU_DEP_3)
	v_cmp_gt_f64_e32 vcc_lo, 0, v[52:53]
	v_add_f64_e64 v[52:53], v[50:51], -v[54:55]
	v_add_f64_e64 v[40:41], v[44:45], -v[40:41]
	v_cndmask_b32_e64 v25, 0, 0x40100000, vcc_lo
	s_delay_alu instid0(VALU_DEP_3) | instskip(SKIP_2) | instid1(VALU_DEP_4)
	v_add_f64_e64 v[60:61], v[50:51], -v[52:53]
	v_add_f64_e64 v[38:39], v[38:39], -v[52:53]
	;; [unrolled: 1-line block ×3, first 2 shown]
	v_add_f64_e32 v[42:43], v[42:43], v[24:25]
	s_delay_alu instid0(VALU_DEP_4) | instskip(NEXT) | instid1(VALU_DEP_3)
	v_add_f64_e64 v[52:53], v[54:55], -v[60:61]
	v_add_f64_e32 v[20:21], v[20:21], v[50:51]
	s_delay_alu instid0(VALU_DEP_3) | instskip(NEXT) | instid1(VALU_DEP_3)
	v_add_f64_e32 v[58:59], v[46:47], v[42:43]
	v_add_f64_e32 v[38:39], v[38:39], v[52:53]
	s_delay_alu instid0(VALU_DEP_2) | instskip(NEXT) | instid1(VALU_DEP_2)
	v_cvt_i32_f64_e32 v1, v[58:59]
	v_add_f64_e32 v[20:21], v[38:39], v[20:21]
	s_delay_alu instid0(VALU_DEP_2) | instskip(NEXT) | instid1(VALU_DEP_2)
	v_cvt_f64_i32_e32 v[56:57], v1
	v_add_f64_e32 v[18:19], v[18:19], v[20:21]
	s_delay_alu instid0(VALU_DEP_2) | instskip(NEXT) | instid1(VALU_DEP_2)
	v_add_f64_e64 v[42:43], v[42:43], -v[56:57]
	v_add_f64_e32 v[18:19], v[40:41], v[18:19]
	s_delay_alu instid0(VALU_DEP_2) | instskip(NEXT) | instid1(VALU_DEP_1)
	v_add_f64_e32 v[38:39], v[46:47], v[42:43]
	v_add_f64_e64 v[20:21], v[38:39], -v[42:43]
	v_cmp_le_f64_e32 vcc_lo, 0.5, v[38:39]
	s_delay_alu instid0(VALU_DEP_2) | instskip(SKIP_2) | instid1(VALU_DEP_3)
	v_add_f64_e64 v[20:21], v[46:47], -v[20:21]
	v_cndmask_b32_e64 v25, 0, 0x3ff00000, vcc_lo
	v_add_co_ci_u32_e64 v1, null, 0, v1, vcc_lo
	v_add_f64_e32 v[18:19], v[18:19], v[20:21]
	s_delay_alu instid0(VALU_DEP_3) | instskip(NEXT) | instid1(VALU_DEP_1)
	v_add_f64_e64 v[20:21], v[38:39], -v[24:25]
	v_add_f64_e32 v[38:39], v[20:21], v[18:19]
	s_delay_alu instid0(VALU_DEP_1) | instskip(SKIP_1) | instid1(VALU_DEP_2)
	v_mul_f64_e32 v[40:41], 0x3ff921fb54442d18, v[38:39]
	v_add_f64_e64 v[20:21], v[38:39], -v[20:21]
	v_fma_f64 v[42:43], v[38:39], s[12:13], -v[40:41]
	s_delay_alu instid0(VALU_DEP_2) | instskip(NEXT) | instid1(VALU_DEP_2)
	v_add_f64_e64 v[18:19], v[18:19], -v[20:21]
	v_fmac_f64_e32 v[42:43], 0x3c91a62633145c07, v[38:39]
	s_delay_alu instid0(VALU_DEP_1) | instskip(NEXT) | instid1(VALU_DEP_1)
	v_fmac_f64_e32 v[42:43], 0x3ff921fb54442d18, v[18:19]
	v_add_f64_e32 v[18:19], v[40:41], v[42:43]
	s_delay_alu instid0(VALU_DEP_1) | instskip(NEXT) | instid1(VALU_DEP_1)
	v_add_f64_e64 v[20:21], v[18:19], -v[40:41]
	v_add_f64_e64 v[20:21], v[42:43], -v[20:21]
	s_and_not1_saveexec_b32 s36, s36
	s_cbranch_execz .LBB93_96
	s_branch .LBB93_95
.LBB93_94:                              ;   in Loop: Header=BB93_7 Depth=1
	s_and_not1_saveexec_b32 s36, s36
	s_cbranch_execz .LBB93_96
.LBB93_95:                              ;   in Loop: Header=BB93_7 Depth=1
	v_mul_f64_e64 v[18:19], |v[10:11]|, s[14:15]
	s_delay_alu instid0(VALU_DEP_1) | instskip(NEXT) | instid1(VALU_DEP_1)
	v_rndne_f64_e32 v[38:39], v[18:19]
	v_fma_f64 v[18:19], v[38:39], s[16:17], |v[10:11]|
	v_mul_f64_e32 v[20:21], 0xbc91a62633145c00, v[38:39]
	v_cvt_i32_f64_e32 v1, v[38:39]
	s_delay_alu instid0(VALU_DEP_3) | instskip(NEXT) | instid1(VALU_DEP_3)
	v_fmamk_f64 v[44:45], v[38:39], 0xbc91a62633145c00, v[18:19]
	v_add_f64_e32 v[40:41], v[18:19], v[20:21]
	s_delay_alu instid0(VALU_DEP_1) | instskip(NEXT) | instid1(VALU_DEP_3)
	v_add_f64_e64 v[42:43], v[18:19], -v[40:41]
	v_add_f64_e64 v[18:19], v[40:41], -v[44:45]
	s_delay_alu instid0(VALU_DEP_2) | instskip(SKIP_1) | instid1(VALU_DEP_2)
	v_add_f64_e32 v[40:41], v[42:43], v[20:21]
	v_fmamk_f64 v[20:21], v[38:39], 0x3c91a62633145c00, v[20:21]
	v_add_f64_e32 v[18:19], v[18:19], v[40:41]
	s_delay_alu instid0(VALU_DEP_1) | instskip(NEXT) | instid1(VALU_DEP_1)
	v_add_f64_e64 v[20:21], v[18:19], -v[20:21]
	v_fmac_f64_e32 v[20:21], 0xb97b839a252049c0, v[38:39]
	s_delay_alu instid0(VALU_DEP_1) | instskip(NEXT) | instid1(VALU_DEP_1)
	v_add_f64_e32 v[18:19], v[44:45], v[20:21]
	v_add_f64_e64 v[40:41], v[18:19], -v[44:45]
	s_delay_alu instid0(VALU_DEP_1)
	v_add_f64_e64 v[20:21], v[20:21], -v[40:41]
.LBB93_96:                              ;   in Loop: Header=BB93_7 Depth=1
	s_or_b32 exec_lo, exec_lo, s36
                                        ; implicit-def: $vgpr42
                                        ; implicit-def: $vgpr38_vgpr39
                                        ; implicit-def: $vgpr40_vgpr41
	s_and_saveexec_b32 s36, s35
	s_delay_alu instid0(SALU_CYCLE_1)
	s_xor_b32 s35, exec_lo, s36
	s_cbranch_execz .LBB93_98
; %bb.97:                               ;   in Loop: Header=BB93_7 Depth=1
	v_ldexp_f64 v[38:39], |v[10:11]|, 0xffffff80
	v_cmp_le_f64_e64 vcc_lo, 0x7b000000, |v[10:11]|
	v_trig_preop_f64 v[40:41], |v[10:11]|, 0
	v_and_b32_e32 v25, 0x7fffffff, v11
	v_trig_preop_f64 v[42:43], |v[10:11]|, 1
	v_trig_preop_f64 v[52:53], |v[10:11]|, 2
	s_delay_alu instid0(VALU_DEP_3) | instskip(NEXT) | instid1(VALU_DEP_1)
	v_dual_cndmask_b32 v39, v25, v39 :: v_dual_cndmask_b32 v38, v10, v38
	v_mul_f64_e32 v[44:45], v[40:41], v[38:39]
	s_delay_alu instid0(VALU_DEP_4) | instskip(NEXT) | instid1(VALU_DEP_4)
	v_mul_f64_e32 v[46:47], v[42:43], v[38:39]
	v_mul_f64_e32 v[58:59], v[52:53], v[38:39]
	s_delay_alu instid0(VALU_DEP_3) | instskip(NEXT) | instid1(VALU_DEP_3)
	v_fma_f64 v[40:41], v[40:41], v[38:39], -v[44:45]
	v_fma_f64 v[42:43], v[42:43], v[38:39], -v[46:47]
	s_delay_alu instid0(VALU_DEP_3) | instskip(NEXT) | instid1(VALU_DEP_3)
	v_fma_f64 v[38:39], v[52:53], v[38:39], -v[58:59]
	v_add_f64_e32 v[48:49], v[46:47], v[40:41]
	s_delay_alu instid0(VALU_DEP_1) | instskip(SKIP_1) | instid1(VALU_DEP_2)
	v_add_f64_e64 v[50:51], v[48:49], -v[46:47]
	v_add_f64_e32 v[56:57], v[44:45], v[48:49]
	v_add_f64_e64 v[54:55], v[48:49], -v[50:51]
	v_add_f64_e64 v[40:41], v[40:41], -v[50:51]
	s_delay_alu instid0(VALU_DEP_3) | instskip(NEXT) | instid1(VALU_DEP_3)
	v_ldexp_f64 v[50:51], v[56:57], -2
	v_add_f64_e64 v[46:47], v[46:47], -v[54:55]
	v_add_f64_e32 v[54:55], v[58:59], v[42:43]
	s_delay_alu instid0(VALU_DEP_3) | instskip(NEXT) | instid1(VALU_DEP_3)
	v_cmp_neq_f64_e64 vcc_lo, 0x7ff00000, |v[50:51]|
	v_add_f64_e32 v[40:41], v[40:41], v[46:47]
	v_fract_f64_e32 v[46:47], v[50:51]
	s_delay_alu instid0(VALU_DEP_1) | instskip(NEXT) | instid1(VALU_DEP_1)
	v_ldexp_f64 v[46:47], v[46:47], 2
	v_dual_add_f64 v[44:45], v[56:57], -v[44:45] :: v_dual_cndmask_b32 v46, 0, v46, vcc_lo
	s_delay_alu instid0(VALU_DEP_1) | instskip(SKIP_1) | instid1(VALU_DEP_1)
	v_dual_add_f64 v[44:45], v[48:49], -v[44:45] :: v_dual_cndmask_b32 v47, 0, v47, vcc_lo
	v_add_f64_e32 v[48:49], v[54:55], v[40:41]
	v_add_f64_e32 v[50:51], v[44:45], v[48:49]
	v_add_f64_e64 v[60:61], v[48:49], -v[54:55]
	s_delay_alu instid0(VALU_DEP_2) | instskip(NEXT) | instid1(VALU_DEP_2)
	v_add_f64_e32 v[56:57], v[50:51], v[46:47]
	v_add_f64_e64 v[66:67], v[48:49], -v[60:61]
	v_add_f64_e64 v[40:41], v[40:41], -v[60:61]
	;; [unrolled: 1-line block ×3, first 2 shown]
	s_delay_alu instid0(VALU_DEP_4) | instskip(SKIP_2) | instid1(VALU_DEP_2)
	v_cmp_gt_f64_e32 vcc_lo, 0, v[56:57]
	v_add_f64_e64 v[56:57], v[54:55], -v[58:59]
	v_cndmask_b32_e64 v25, 0, 0x40100000, vcc_lo
	v_add_f64_e64 v[64:65], v[54:55], -v[56:57]
	v_add_f64_e64 v[42:43], v[42:43], -v[56:57]
	;; [unrolled: 1-line block ×3, first 2 shown]
	s_delay_alu instid0(VALU_DEP_4) | instskip(NEXT) | instid1(VALU_DEP_4)
	v_add_f64_e32 v[46:47], v[46:47], v[24:25]
	v_add_f64_e64 v[56:57], v[58:59], -v[64:65]
	s_delay_alu instid0(VALU_DEP_3) | instskip(NEXT) | instid1(VALU_DEP_3)
	v_add_f64_e32 v[40:41], v[40:41], v[54:55]
	v_add_f64_e32 v[62:63], v[50:51], v[46:47]
	s_delay_alu instid0(VALU_DEP_3) | instskip(NEXT) | instid1(VALU_DEP_2)
	v_add_f64_e32 v[42:43], v[42:43], v[56:57]
	v_cvt_i32_f64_e32 v25, v[62:63]
	s_delay_alu instid0(VALU_DEP_2) | instskip(SKIP_1) | instid1(VALU_DEP_3)
	v_add_f64_e32 v[40:41], v[42:43], v[40:41]
	v_add_f64_e64 v[42:43], v[48:49], -v[44:45]
	v_cvt_f64_i32_e32 v[60:61], v25
	s_delay_alu instid0(VALU_DEP_3) | instskip(NEXT) | instid1(VALU_DEP_2)
	v_add_f64_e32 v[38:39], v[38:39], v[40:41]
	v_add_f64_e64 v[46:47], v[46:47], -v[60:61]
	s_delay_alu instid0(VALU_DEP_2) | instskip(NEXT) | instid1(VALU_DEP_2)
	v_add_f64_e32 v[38:39], v[42:43], v[38:39]
	v_add_f64_e32 v[52:53], v[50:51], v[46:47]
	s_delay_alu instid0(VALU_DEP_1) | instskip(SKIP_1) | instid1(VALU_DEP_2)
	v_add_f64_e64 v[40:41], v[52:53], -v[46:47]
	v_cmp_le_f64_e32 vcc_lo, 0.5, v[52:53]
	v_add_f64_e64 v[40:41], v[50:51], -v[40:41]
	v_add_co_ci_u32_e64 v42, null, 0, v25, vcc_lo
	v_cndmask_b32_e64 v25, 0, 0x3ff00000, vcc_lo
	s_delay_alu instid0(VALU_DEP_3) | instskip(NEXT) | instid1(VALU_DEP_2)
	v_add_f64_e32 v[38:39], v[38:39], v[40:41]
	v_add_f64_e64 v[40:41], v[52:53], -v[24:25]
	s_delay_alu instid0(VALU_DEP_1) | instskip(NEXT) | instid1(VALU_DEP_1)
	v_add_f64_e32 v[44:45], v[40:41], v[38:39]
	v_mul_f64_e32 v[46:47], 0x3ff921fb54442d18, v[44:45]
	v_add_f64_e64 v[40:41], v[44:45], -v[40:41]
	s_delay_alu instid0(VALU_DEP_2) | instskip(NEXT) | instid1(VALU_DEP_2)
	v_fma_f64 v[48:49], v[44:45], s[12:13], -v[46:47]
	v_add_f64_e64 v[38:39], v[38:39], -v[40:41]
	s_delay_alu instid0(VALU_DEP_2) | instskip(NEXT) | instid1(VALU_DEP_1)
	v_fmac_f64_e32 v[48:49], 0x3c91a62633145c07, v[44:45]
	v_fmac_f64_e32 v[48:49], 0x3ff921fb54442d18, v[38:39]
	s_delay_alu instid0(VALU_DEP_1) | instskip(NEXT) | instid1(VALU_DEP_1)
	v_add_f64_e32 v[38:39], v[46:47], v[48:49]
	v_add_f64_e64 v[40:41], v[38:39], -v[46:47]
	s_delay_alu instid0(VALU_DEP_1)
	v_add_f64_e64 v[40:41], v[48:49], -v[40:41]
	s_and_not1_saveexec_b32 s35, s35
	s_cbranch_execnz .LBB93_99
	s_branch .LBB93_100
.LBB93_98:                              ;   in Loop: Header=BB93_7 Depth=1
	s_and_not1_saveexec_b32 s35, s35
	s_cbranch_execz .LBB93_100
.LBB93_99:                              ;   in Loop: Header=BB93_7 Depth=1
	v_mul_f64_e64 v[38:39], |v[10:11]|, s[14:15]
	s_delay_alu instid0(VALU_DEP_1) | instskip(NEXT) | instid1(VALU_DEP_1)
	v_rndne_f64_e32 v[42:43], v[38:39]
	v_fma_f64 v[38:39], v[42:43], s[16:17], |v[10:11]|
	v_mul_f64_e32 v[40:41], 0xbc91a62633145c00, v[42:43]
	s_delay_alu instid0(VALU_DEP_2) | instskip(NEXT) | instid1(VALU_DEP_2)
	v_fmamk_f64 v[48:49], v[42:43], 0xbc91a62633145c00, v[38:39]
	v_add_f64_e32 v[44:45], v[38:39], v[40:41]
	s_delay_alu instid0(VALU_DEP_1) | instskip(NEXT) | instid1(VALU_DEP_3)
	v_add_f64_e64 v[46:47], v[38:39], -v[44:45]
	v_add_f64_e64 v[38:39], v[44:45], -v[48:49]
	s_delay_alu instid0(VALU_DEP_2) | instskip(SKIP_1) | instid1(VALU_DEP_2)
	v_add_f64_e32 v[44:45], v[46:47], v[40:41]
	v_fmamk_f64 v[40:41], v[42:43], 0x3c91a62633145c00, v[40:41]
	v_add_f64_e32 v[38:39], v[38:39], v[44:45]
	s_delay_alu instid0(VALU_DEP_1) | instskip(NEXT) | instid1(VALU_DEP_1)
	v_add_f64_e64 v[40:41], v[38:39], -v[40:41]
	v_fmac_f64_e32 v[40:41], 0xb97b839a252049c0, v[42:43]
	v_cvt_i32_f64_e32 v42, v[42:43]
	s_delay_alu instid0(VALU_DEP_2) | instskip(NEXT) | instid1(VALU_DEP_1)
	v_add_f64_e32 v[38:39], v[48:49], v[40:41]
	v_add_f64_e64 v[44:45], v[38:39], -v[48:49]
	s_delay_alu instid0(VALU_DEP_1)
	v_add_f64_e64 v[40:41], v[40:41], -v[44:45]
.LBB93_100:                             ;   in Loop: Header=BB93_7 Depth=1
	s_or_b32 exec_lo, exec_lo, s35
	v_dual_mul_f64 v[44:45], v[18:19], v[18:19] :: v_dual_bitop2_b32 v10, 1, v1 bitop3:0x40
	v_dual_mul_f64 v[46:47], v[38:39], v[38:39] :: v_dual_lshlrev_b32 v1, 30, v1
	s_delay_alu instid0(VALU_DEP_3) | instskip(SKIP_1) | instid1(VALU_DEP_4)
	v_mul_f64_e32 v[68:69], 0.5, v[40:41]
	v_mul_f64_e64 v[50:51], |v[12:13]|, s[24:25]
	v_cmp_eq_u32_e32 vcc_lo, 0, v10
	s_delay_alu instid0(VALU_DEP_4)
	v_dual_mul_f64 v[56:57], 0.5, v[20:21] :: v_dual_bitop2_b32 v1, v1, v11 bitop3:0x14
	v_mul_f64_e64 v[58:59], v[18:19], -v[44:45]
	v_mul_f64_e32 v[48:49], 0.5, v[44:45]
	v_fmamk_f64 v[64:65], v[44:45], 0x3de5e0b2f9a43bb8, v[34:35]
	v_mul_f64_e64 v[70:71], v[38:39], -v[46:47]
	v_fmamk_f64 v[72:73], v[46:47], 0x3de5e0b2f9a43bb8, v[34:35]
	v_rndne_f64_e32 v[50:51], v[50:51]
	s_delay_alu instid0(VALU_DEP_4) | instskip(NEXT) | instid1(VALU_DEP_1)
	v_fmaak_f64 v[64:65], v[44:45], v[64:65], 0x3ec71de3796cde01
	v_fmaak_f64 v[64:65], v[44:45], v[64:65], 0xbf2a01a019e83e5c
	s_delay_alu instid0(VALU_DEP_1) | instskip(NEXT) | instid1(VALU_DEP_1)
	v_fmaak_f64 v[64:65], v[44:45], v[64:65], 0x3f81111111110bb3
	v_fmac_f64_e32 v[56:57], v[58:59], v[64:65]
	v_add_f64_e64 v[54:55], -v[48:49], 1.0
	v_fma_f64 v[66:67], v[50:51], s[18:19], -|v[12:13]|
	s_delay_alu instid0(VALU_DEP_3) | instskip(NEXT) | instid1(VALU_DEP_3)
	v_fma_f64 v[56:57], v[44:45], v[56:57], -v[20:21]
	v_add_f64_e64 v[62:63], -v[54:55], 1.0
	s_delay_alu instid0(VALU_DEP_3) | instskip(NEXT) | instid1(VALU_DEP_3)
	v_fmac_f64_e32 v[66:67], 0xbc7abc9e3b39803f, v[50:51]
	v_fmac_f64_e32 v[56:57], 0xbfc5555555555555, v[58:59]
	s_delay_alu instid0(VALU_DEP_3) | instskip(SKIP_2) | instid1(VALU_DEP_2)
	v_add_f64_e64 v[48:49], v[62:63], -v[48:49]
	v_fmaak_f64 v[62:63], v[46:47], v[72:73], 0x3ec71de3796cde01
	v_fmamk_f64 v[72:73], v[44:45], 0xbda907db46cc5e42, v[32:33]
	v_fmaak_f64 v[62:63], v[46:47], v[62:63], 0xbf2a01a019e83e5c
	s_delay_alu instid0(VALU_DEP_1) | instskip(NEXT) | instid1(VALU_DEP_1)
	v_fmaak_f64 v[62:63], v[46:47], v[62:63], 0x3f81111111110bb3
	v_fmac_f64_e32 v[68:69], v[70:71], v[62:63]
	v_mul_f64_e32 v[62:63], v[44:45], v[44:45]
	v_fma_f64 v[20:21], v[18:19], -v[20:21], v[48:49]
	v_fmaak_f64 v[48:49], v[44:45], v[72:73], 0xbe927e4fa17f65f6
	v_add_f64_e64 v[18:19], v[18:19], -v[56:57]
	v_mul_f64_e32 v[72:73], v[46:47], v[46:47]
	s_delay_alu instid0(VALU_DEP_3) | instskip(NEXT) | instid1(VALU_DEP_1)
	v_fmaak_f64 v[48:49], v[44:45], v[48:49], 0x3efa01a019f4ec90
	v_fmaak_f64 v[48:49], v[44:45], v[48:49], 0xbf56c16c16c16967
	s_delay_alu instid0(VALU_DEP_1) | instskip(NEXT) | instid1(VALU_DEP_1)
	v_fmaak_f64 v[44:45], v[44:45], v[48:49], 0x3fa5555555555555
	v_fmac_f64_e32 v[20:21], v[62:63], v[44:45]
	s_delay_alu instid0(VALU_DEP_1) | instskip(NEXT) | instid1(VALU_DEP_1)
	v_add_f64_e32 v[20:21], v[54:55], v[20:21]
	v_dual_cndmask_b32 v10, v20, v18, vcc_lo :: v_dual_cndmask_b32 v20, v21, v19, vcc_lo
	v_cvt_i32_f64_e32 v21, v[50:51]
	s_delay_alu instid0(VALU_DEP_2) | instskip(SKIP_1) | instid1(VALU_DEP_2)
	v_bitop3_b32 v11, v20, v1, 0x80000000 bitop3:0x78
	v_and_b32_e32 v1, 1, v42
	v_mul_f64_e32 v[10:11], 4.0, v[10:11]
	s_delay_alu instid0(VALU_DEP_2) | instskip(SKIP_1) | instid1(VALU_DEP_1)
	v_cmp_eq_u32_e32 vcc_lo, 0, v1
	v_mul_f64_e32 v[52:53], 0.5, v[46:47]
	v_add_f64_e64 v[60:61], -v[52:53], 1.0
	s_delay_alu instid0(VALU_DEP_1) | instskip(NEXT) | instid1(VALU_DEP_1)
	v_add_f64_e64 v[64:65], -v[60:61], 1.0
	v_add_f64_e64 v[52:53], v[64:65], -v[52:53]
	v_fmamk_f64 v[64:65], v[66:67], 0x3e5ade156a5dcb37, v[30:31]
	s_delay_alu instid0(VALU_DEP_1) | instskip(NEXT) | instid1(VALU_DEP_1)
	v_fmaak_f64 v[64:65], v[66:67], v[64:65], 0x3ec71dee623fde64
	v_fmaak_f64 v[64:65], v[66:67], v[64:65], 0x3efa01997c89e6b0
	s_delay_alu instid0(VALU_DEP_1) | instskip(SKIP_2) | instid1(VALU_DEP_3)
	v_fmaak_f64 v[48:49], v[66:67], v[64:65], 0x3f2a01a014761f6e
	v_fma_f64 v[64:65], v[46:47], v[68:69], -v[40:41]
	v_fmamk_f64 v[68:69], v[46:47], 0xbda907db46cc5e42, v[32:33]
	v_fmaak_f64 v[44:45], v[66:67], v[48:49], 0x3f56c16c1852b7b0
	s_delay_alu instid0(VALU_DEP_2) | instskip(SKIP_1) | instid1(VALU_DEP_3)
	v_fmaak_f64 v[48:49], v[46:47], v[68:69], 0xbe927e4fa17f65f6
	v_fma_f64 v[40:41], v[38:39], -v[40:41], v[52:53]
	v_fmaak_f64 v[44:45], v[66:67], v[44:45], 0x3f81111111122322
	s_delay_alu instid0(VALU_DEP_3) | instskip(NEXT) | instid1(VALU_DEP_2)
	v_fmaak_f64 v[48:49], v[46:47], v[48:49], 0x3efa01a019f4ec90
	v_fmaak_f64 v[44:45], v[66:67], v[44:45], 0x3fa55555555502a1
	s_delay_alu instid0(VALU_DEP_2) | instskip(NEXT) | instid1(VALU_DEP_2)
	v_fmaak_f64 v[48:49], v[46:47], v[48:49], 0xbf56c16c16c16967
	v_fmaak_f64 v[44:45], v[66:67], v[44:45], 0x3fc5555555555511
	s_delay_alu instid0(VALU_DEP_2) | instskip(SKIP_1) | instid1(VALU_DEP_3)
	v_fmaak_f64 v[46:47], v[46:47], v[48:49], 0x3fa5555555555555
	v_fmac_f64_e32 v[64:65], 0xbfc5555555555555, v[70:71]
	v_fmaak_f64 v[44:45], v[66:67], v[44:45], 0x3fe000000000000b
	s_delay_alu instid0(VALU_DEP_1) | instskip(NEXT) | instid1(VALU_DEP_4)
	v_fma_f64 v[44:45], v[66:67], v[44:45], 1.0
	v_fmac_f64_e32 v[40:41], v[72:73], v[46:47]
	s_delay_alu instid0(VALU_DEP_4) | instskip(NEXT) | instid1(VALU_DEP_3)
	v_add_f64_e64 v[38:39], v[38:39], -v[64:65]
	v_fma_f64 v[18:19], v[66:67], v[44:45], 1.0
	s_delay_alu instid0(VALU_DEP_3) | instskip(NEXT) | instid1(VALU_DEP_3)
	v_add_f64_e32 v[40:41], v[60:61], v[40:41]
	v_xor_b32_e32 v25, 0x80000000, v39
	s_delay_alu instid0(VALU_DEP_3) | instskip(NEXT) | instid1(VALU_DEP_2)
	v_ldexp_f64 v[18:19], v[18:19], v21
	v_dual_cndmask_b32 v1, v25, v41, vcc_lo :: v_dual_lshlrev_b32 v25, 30, v42
	s_delay_alu instid0(VALU_DEP_4) | instskip(SKIP_1) | instid1(VALU_DEP_3)
	v_cndmask_b32_e32 v20, v38, v40, vcc_lo
	v_cmp_nlt_f64_e64 vcc_lo, 0x4090cc00, |v[12:13]|
	v_bitop3_b32 v21, v1, v25, 0x80000000 bitop3:0x78
	v_xor_b32_e32 v1, 0x80000000, v13
	s_delay_alu instid0(VALU_DEP_2) | instskip(NEXT) | instid1(VALU_DEP_2)
	v_mul_f64_e32 v[10:11], v[10:11], v[20:21]
	v_bfi_b32 v25, 0x7fffffff, s31, v1
	s_delay_alu instid0(VALU_DEP_1) | instskip(SKIP_1) | instid1(VALU_DEP_1)
	v_mov_b64_e32 v[20:21], v[24:25]
	v_dual_cndmask_b32 v19, 0, v19 :: v_dual_cndmask_b32 v18, 0, v18
	v_mul_f64_e32 v[10:11], v[18:19], v[10:11]
	s_delay_alu instid0(VALU_DEP_1)
	v_mul_f64_e32 v[18:19], v[18:19], v[10:11]
.LBB93_101:                             ;   in Loop: Header=BB93_7 Depth=1
	s_or_b32 exec_lo, exec_lo, s2
                                        ; implicit-def: $vgpr10_vgpr11
.LBB93_102:                             ;   in Loop: Header=BB93_7 Depth=1
	s_and_not1_saveexec_b32 s2, s34
	s_cbranch_execz .LBB93_104
; %bb.103:                              ;   in Loop: Header=BB93_7 Depth=1
	v_add_f64_e64 v[18:19], v[10:11], -v[10:11]
	s_delay_alu instid0(VALU_DEP_1)
	v_mov_b64_e32 v[20:21], v[18:19]
.LBB93_104:                             ;   in Loop: Header=BB93_7 Depth=1
	s_or_b32 exec_lo, exec_lo, s2
                                        ; implicit-def: $vgpr10_vgpr11
.LBB93_105:                             ;   in Loop: Header=BB93_7 Depth=1
	s_and_not1_saveexec_b32 s34, s3
	s_cbranch_execz .LBB93_121
; %bb.106:                              ;   in Loop: Header=BB93_7 Depth=1
	s_delay_alu instid0(VALU_DEP_1) | instskip(SKIP_1) | instid1(VALU_DEP_1)
	v_and_or_b32 v1, 0xfffff, v21, v20
	s_mov_b32 s2, exec_lo
	v_cmpx_ne_u32_e32 0, v1
	s_xor_b32 s2, exec_lo, s2
	s_cbranch_execz .LBB93_108
; %bb.107:                              ;   in Loop: Header=BB93_7 Depth=1
	v_mul_f64_e64 v[12:13], v[10:11], -v[12:13]
	v_cmp_eq_f64_e32 vcc_lo, 0, v[10:11]
	s_delay_alu instid0(VALU_DEP_2)
	v_dual_cndmask_b32 v19, v13, v11 :: v_dual_cndmask_b32 v18, v12, v10
                                        ; implicit-def: $vgpr10_vgpr11
.LBB93_108:                             ;   in Loop: Header=BB93_7 Depth=1
	s_and_not1_saveexec_b32 s35, s2
	s_cbranch_execz .LBB93_120
; %bb.109:                              ;   in Loop: Header=BB93_7 Depth=1
	s_mov_b32 s36, exec_lo
	v_cmpx_neq_f64_e64 0x7ff00000, |v[10:11]|
	s_cbranch_execz .LBB93_119
; %bb.110:                              ;   in Loop: Header=BB93_7 Depth=1
	v_cmp_ngt_f64_e64 s2, 0x41d00000, |v[10:11]|
	v_trig_preop_f64 v[42:43], |v[10:11]|, 0
	v_trig_preop_f64 v[40:41], |v[10:11]|, 1
	v_ldexp_f64 v[44:45], |v[10:11]|, 0xffffff80
	v_trig_preop_f64 v[38:39], |v[10:11]|, 2
	v_and_b32_e32 v52, 0x7fffffff, v11
                                        ; implicit-def: $vgpr1
                                        ; implicit-def: $vgpr12_vgpr13
                                        ; implicit-def: $vgpr18_vgpr19
	s_and_saveexec_b32 s3, s2
	s_delay_alu instid0(SALU_CYCLE_1)
	s_xor_b32 s3, exec_lo, s3
	s_cbranch_execz .LBB93_112
; %bb.111:                              ;   in Loop: Header=BB93_7 Depth=1
	v_cmp_le_f64_e64 vcc_lo, 0x7b000000, |v[10:11]|
	s_delay_alu instid0(VALU_DEP_4) | instskip(NEXT) | instid1(VALU_DEP_1)
	v_dual_cndmask_b32 v13, v52, v45 :: v_dual_cndmask_b32 v12, v10, v44
	v_mul_f64_e32 v[18:19], v[42:43], v[12:13]
	v_mul_f64_e32 v[46:47], v[40:41], v[12:13]
	;; [unrolled: 1-line block ×3, first 2 shown]
	s_delay_alu instid0(VALU_DEP_3) | instskip(NEXT) | instid1(VALU_DEP_3)
	v_fma_f64 v[48:49], v[42:43], v[12:13], -v[18:19]
	v_fma_f64 v[62:63], v[40:41], v[12:13], -v[46:47]
	s_delay_alu instid0(VALU_DEP_3) | instskip(NEXT) | instid1(VALU_DEP_3)
	v_fma_f64 v[12:13], v[38:39], v[12:13], -v[60:61]
	v_add_f64_e32 v[50:51], v[46:47], v[48:49]
	s_delay_alu instid0(VALU_DEP_1) | instskip(SKIP_1) | instid1(VALU_DEP_2)
	v_add_f64_e64 v[54:55], v[50:51], -v[46:47]
	v_add_f64_e32 v[58:59], v[18:19], v[50:51]
	v_add_f64_e64 v[56:57], v[50:51], -v[54:55]
	v_add_f64_e64 v[48:49], v[48:49], -v[54:55]
	s_delay_alu instid0(VALU_DEP_3) | instskip(SKIP_1) | instid1(VALU_DEP_4)
	v_ldexp_f64 v[54:55], v[58:59], -2
	v_add_f64_e64 v[18:19], v[58:59], -v[18:19]
	v_add_f64_e64 v[46:47], v[46:47], -v[56:57]
	v_add_f64_e32 v[56:57], v[60:61], v[62:63]
	s_delay_alu instid0(VALU_DEP_4) | instskip(NEXT) | instid1(VALU_DEP_4)
	v_cmp_neq_f64_e64 vcc_lo, 0x7ff00000, |v[54:55]|
	v_add_f64_e64 v[18:19], v[50:51], -v[18:19]
	s_delay_alu instid0(VALU_DEP_4) | instskip(SKIP_1) | instid1(VALU_DEP_2)
	v_add_f64_e32 v[46:47], v[48:49], v[46:47]
	v_fract_f64_e32 v[48:49], v[54:55]
	v_add_f64_e32 v[50:51], v[56:57], v[46:47]
	s_delay_alu instid0(VALU_DEP_2) | instskip(NEXT) | instid1(VALU_DEP_1)
	v_ldexp_f64 v[48:49], v[48:49], 2
	v_dual_add_f64 v[54:55], v[18:19], v[50:51] :: v_dual_cndmask_b32 v49, 0, v49, vcc_lo
	s_delay_alu instid0(VALU_DEP_2) | instskip(SKIP_1) | instid1(VALU_DEP_2)
	v_cndmask_b32_e32 v48, 0, v48, vcc_lo
	v_add_f64_e64 v[64:65], v[50:51], -v[56:57]
	v_add_f64_e32 v[58:59], v[54:55], v[48:49]
	v_add_f64_e64 v[18:19], v[54:55], -v[18:19]
	s_delay_alu instid0(VALU_DEP_3) | instskip(SKIP_1) | instid1(VALU_DEP_4)
	v_add_f64_e64 v[70:71], v[50:51], -v[64:65]
	v_add_f64_e64 v[46:47], v[46:47], -v[64:65]
	v_cmp_gt_f64_e32 vcc_lo, 0, v[58:59]
	v_add_f64_e64 v[58:59], v[56:57], -v[60:61]
	v_add_f64_e64 v[18:19], v[50:51], -v[18:19]
	v_cndmask_b32_e64 v25, 0, 0x40100000, vcc_lo
	s_delay_alu instid0(VALU_DEP_3) | instskip(SKIP_2) | instid1(VALU_DEP_4)
	v_add_f64_e64 v[68:69], v[56:57], -v[58:59]
	v_add_f64_e64 v[58:59], v[62:63], -v[58:59]
	;; [unrolled: 1-line block ×3, first 2 shown]
	v_add_f64_e32 v[48:49], v[48:49], v[24:25]
	s_delay_alu instid0(VALU_DEP_4) | instskip(NEXT) | instid1(VALU_DEP_3)
	v_add_f64_e64 v[62:63], v[60:61], -v[68:69]
	v_add_f64_e32 v[46:47], v[46:47], v[56:57]
	s_delay_alu instid0(VALU_DEP_3) | instskip(NEXT) | instid1(VALU_DEP_3)
	v_add_f64_e32 v[66:67], v[54:55], v[48:49]
	v_add_f64_e32 v[58:59], v[58:59], v[62:63]
	s_delay_alu instid0(VALU_DEP_2) | instskip(NEXT) | instid1(VALU_DEP_2)
	v_cvt_i32_f64_e32 v1, v[66:67]
	v_add_f64_e32 v[46:47], v[58:59], v[46:47]
	s_delay_alu instid0(VALU_DEP_2) | instskip(NEXT) | instid1(VALU_DEP_2)
	v_cvt_f64_i32_e32 v[64:65], v1
	v_add_f64_e32 v[12:13], v[12:13], v[46:47]
	s_delay_alu instid0(VALU_DEP_2) | instskip(NEXT) | instid1(VALU_DEP_2)
	v_add_f64_e64 v[48:49], v[48:49], -v[64:65]
	v_add_f64_e32 v[12:13], v[18:19], v[12:13]
	s_delay_alu instid0(VALU_DEP_2) | instskip(NEXT) | instid1(VALU_DEP_1)
	v_add_f64_e32 v[56:57], v[54:55], v[48:49]
	v_add_f64_e64 v[46:47], v[56:57], -v[48:49]
	v_cmp_le_f64_e32 vcc_lo, 0.5, v[56:57]
	s_delay_alu instid0(VALU_DEP_2) | instskip(SKIP_2) | instid1(VALU_DEP_3)
	v_add_f64_e64 v[18:19], v[54:55], -v[46:47]
	v_cndmask_b32_e64 v25, 0, 0x3ff00000, vcc_lo
	v_add_co_ci_u32_e64 v1, null, 0, v1, vcc_lo
	v_add_f64_e32 v[12:13], v[12:13], v[18:19]
	s_delay_alu instid0(VALU_DEP_3) | instskip(NEXT) | instid1(VALU_DEP_1)
	v_add_f64_e64 v[18:19], v[56:57], -v[24:25]
	v_add_f64_e32 v[46:47], v[18:19], v[12:13]
	s_delay_alu instid0(VALU_DEP_1) | instskip(SKIP_1) | instid1(VALU_DEP_2)
	v_mul_f64_e32 v[48:49], 0x3ff921fb54442d18, v[46:47]
	v_add_f64_e64 v[18:19], v[46:47], -v[18:19]
	v_fma_f64 v[50:51], v[46:47], s[12:13], -v[48:49]
	s_delay_alu instid0(VALU_DEP_2) | instskip(NEXT) | instid1(VALU_DEP_2)
	v_add_f64_e64 v[12:13], v[12:13], -v[18:19]
	v_fmac_f64_e32 v[50:51], 0x3c91a62633145c07, v[46:47]
	s_delay_alu instid0(VALU_DEP_1) | instskip(NEXT) | instid1(VALU_DEP_1)
	v_fmac_f64_e32 v[50:51], 0x3ff921fb54442d18, v[12:13]
	v_add_f64_e32 v[12:13], v[48:49], v[50:51]
	s_delay_alu instid0(VALU_DEP_1) | instskip(NEXT) | instid1(VALU_DEP_1)
	v_add_f64_e64 v[18:19], v[12:13], -v[48:49]
	v_add_f64_e64 v[18:19], v[50:51], -v[18:19]
.LBB93_112:                             ;   in Loop: Header=BB93_7 Depth=1
	s_or_saveexec_b32 s3, s3
	v_mul_f64_e64 v[46:47], |v[10:11]|, s[14:15]
	s_delay_alu instid0(VALU_DEP_1)
	v_rndne_f64_e32 v[50:51], v[46:47]
	s_xor_b32 exec_lo, exec_lo, s3
	s_cbranch_execz .LBB93_114
; %bb.113:                              ;   in Loop: Header=BB93_7 Depth=1
	s_delay_alu instid0(VALU_DEP_1) | instskip(SKIP_2) | instid1(VALU_DEP_3)
	v_fma_f64 v[12:13], v[50:51], s[16:17], |v[10:11]|
	v_mul_f64_e32 v[18:19], 0xbc91a62633145c00, v[50:51]
	v_cvt_i32_f64_e32 v1, v[50:51]
	v_fmamk_f64 v[54:55], v[50:51], 0xbc91a62633145c00, v[12:13]
	s_delay_alu instid0(VALU_DEP_3) | instskip(NEXT) | instid1(VALU_DEP_1)
	v_add_f64_e32 v[46:47], v[12:13], v[18:19]
	v_add_f64_e64 v[48:49], v[12:13], -v[46:47]
	s_delay_alu instid0(VALU_DEP_3) | instskip(NEXT) | instid1(VALU_DEP_2)
	v_add_f64_e64 v[12:13], v[46:47], -v[54:55]
	v_add_f64_e32 v[46:47], v[48:49], v[18:19]
	v_fmamk_f64 v[18:19], v[50:51], 0x3c91a62633145c00, v[18:19]
	s_delay_alu instid0(VALU_DEP_2) | instskip(NEXT) | instid1(VALU_DEP_1)
	v_add_f64_e32 v[12:13], v[12:13], v[46:47]
	v_add_f64_e64 v[18:19], v[12:13], -v[18:19]
	s_delay_alu instid0(VALU_DEP_1) | instskip(NEXT) | instid1(VALU_DEP_1)
	v_fmac_f64_e32 v[18:19], 0xb97b839a252049c0, v[50:51]
	v_add_f64_e32 v[12:13], v[54:55], v[18:19]
	s_delay_alu instid0(VALU_DEP_1) | instskip(NEXT) | instid1(VALU_DEP_1)
	v_add_f64_e64 v[46:47], v[12:13], -v[54:55]
	v_add_f64_e64 v[18:19], v[18:19], -v[46:47]
.LBB93_114:                             ;   in Loop: Header=BB93_7 Depth=1
	s_or_b32 exec_lo, exec_lo, s3
                                        ; implicit-def: $vgpr53
                                        ; implicit-def: $vgpr46_vgpr47
                                        ; implicit-def: $vgpr48_vgpr49
	s_and_saveexec_b32 s3, s2
	s_delay_alu instid0(SALU_CYCLE_1)
	s_xor_b32 s2, exec_lo, s3
	s_cbranch_execz .LBB93_116
; %bb.115:                              ;   in Loop: Header=BB93_7 Depth=1
	v_cmp_le_f64_e64 vcc_lo, 0x7b000000, |v[10:11]|
	v_dual_cndmask_b32 v45, v52, v45 :: v_dual_cndmask_b32 v44, v10, v44
	s_delay_alu instid0(VALU_DEP_1) | instskip(SKIP_2) | instid1(VALU_DEP_3)
	v_mul_f64_e32 v[46:47], v[42:43], v[44:45]
	v_mul_f64_e32 v[48:49], v[40:41], v[44:45]
	;; [unrolled: 1-line block ×3, first 2 shown]
	v_fma_f64 v[42:43], v[42:43], v[44:45], -v[46:47]
	s_delay_alu instid0(VALU_DEP_3) | instskip(NEXT) | instid1(VALU_DEP_3)
	v_fma_f64 v[40:41], v[40:41], v[44:45], -v[48:49]
	v_fma_f64 v[38:39], v[38:39], v[44:45], -v[58:59]
	s_delay_alu instid0(VALU_DEP_3) | instskip(NEXT) | instid1(VALU_DEP_1)
	v_add_f64_e32 v[50:51], v[48:49], v[42:43]
	v_add_f64_e64 v[52:53], v[50:51], -v[48:49]
	v_add_f64_e32 v[56:57], v[46:47], v[50:51]
	s_delay_alu instid0(VALU_DEP_2) | instskip(SKIP_1) | instid1(VALU_DEP_3)
	v_add_f64_e64 v[54:55], v[50:51], -v[52:53]
	v_add_f64_e64 v[42:43], v[42:43], -v[52:53]
	v_ldexp_f64 v[52:53], v[56:57], -2
	s_delay_alu instid0(VALU_DEP_3) | instskip(SKIP_1) | instid1(VALU_DEP_3)
	v_add_f64_e64 v[48:49], v[48:49], -v[54:55]
	v_add_f64_e32 v[54:55], v[58:59], v[40:41]
	v_cmp_neq_f64_e64 vcc_lo, 0x7ff00000, |v[52:53]|
	s_delay_alu instid0(VALU_DEP_3) | instskip(SKIP_1) | instid1(VALU_DEP_1)
	v_add_f64_e32 v[42:43], v[42:43], v[48:49]
	v_fract_f64_e32 v[48:49], v[52:53]
	v_ldexp_f64 v[48:49], v[48:49], 2
	s_delay_alu instid0(VALU_DEP_1) | instskip(NEXT) | instid1(VALU_DEP_1)
	v_dual_add_f64 v[46:47], v[56:57], -v[46:47] :: v_dual_cndmask_b32 v48, 0, v48, vcc_lo
	v_dual_add_f64 v[46:47], v[50:51], -v[46:47] :: v_dual_cndmask_b32 v49, 0, v49, vcc_lo
	v_add_f64_e32 v[50:51], v[54:55], v[42:43]
	s_delay_alu instid0(VALU_DEP_1) | instskip(SKIP_1) | instid1(VALU_DEP_2)
	v_add_f64_e32 v[52:53], v[46:47], v[50:51]
	v_add_f64_e64 v[60:61], v[50:51], -v[54:55]
	v_add_f64_e32 v[56:57], v[52:53], v[48:49]
	s_delay_alu instid0(VALU_DEP_2) | instskip(SKIP_2) | instid1(VALU_DEP_4)
	v_add_f64_e64 v[66:67], v[50:51], -v[60:61]
	v_add_f64_e64 v[42:43], v[42:43], -v[60:61]
	;; [unrolled: 1-line block ×3, first 2 shown]
	v_cmp_gt_f64_e32 vcc_lo, 0, v[56:57]
	v_add_f64_e64 v[56:57], v[54:55], -v[58:59]
	s_delay_alu instid0(VALU_DEP_3) | instskip(SKIP_1) | instid1(VALU_DEP_3)
	v_add_f64_e64 v[44:45], v[50:51], -v[44:45]
                                        ; implicit-def: $vgpr50_vgpr51
	v_cndmask_b32_e64 v25, 0, 0x40100000, vcc_lo
	v_add_f64_e64 v[64:65], v[54:55], -v[56:57]
	v_add_f64_e64 v[40:41], v[40:41], -v[56:57]
	;; [unrolled: 1-line block ×3, first 2 shown]
	s_delay_alu instid0(VALU_DEP_4) | instskip(NEXT) | instid1(VALU_DEP_4)
	v_add_f64_e32 v[48:49], v[48:49], v[24:25]
	v_add_f64_e64 v[56:57], v[58:59], -v[64:65]
	s_delay_alu instid0(VALU_DEP_3) | instskip(NEXT) | instid1(VALU_DEP_3)
	v_add_f64_e32 v[42:43], v[42:43], v[54:55]
	v_add_f64_e32 v[62:63], v[52:53], v[48:49]
	s_delay_alu instid0(VALU_DEP_3) | instskip(NEXT) | instid1(VALU_DEP_2)
	v_add_f64_e32 v[40:41], v[40:41], v[56:57]
	v_cvt_i32_f64_e32 v25, v[62:63]
	s_delay_alu instid0(VALU_DEP_2) | instskip(NEXT) | instid1(VALU_DEP_2)
	v_add_f64_e32 v[40:41], v[40:41], v[42:43]
	v_cvt_f64_i32_e32 v[60:61], v25
	s_delay_alu instid0(VALU_DEP_2) | instskip(NEXT) | instid1(VALU_DEP_2)
	v_add_f64_e32 v[38:39], v[38:39], v[40:41]
	v_add_f64_e64 v[48:49], v[48:49], -v[60:61]
	s_delay_alu instid0(VALU_DEP_2) | instskip(NEXT) | instid1(VALU_DEP_2)
	v_add_f64_e32 v[38:39], v[44:45], v[38:39]
	v_add_f64_e32 v[42:43], v[52:53], v[48:49]
	s_delay_alu instid0(VALU_DEP_1) | instskip(SKIP_1) | instid1(VALU_DEP_2)
	v_add_f64_e64 v[40:41], v[42:43], -v[48:49]
	v_cmp_le_f64_e32 vcc_lo, 0.5, v[42:43]
	v_add_f64_e64 v[40:41], v[52:53], -v[40:41]
	v_add_co_ci_u32_e64 v53, null, 0, v25, vcc_lo
	v_cndmask_b32_e64 v25, 0, 0x3ff00000, vcc_lo
	s_delay_alu instid0(VALU_DEP_3) | instskip(NEXT) | instid1(VALU_DEP_2)
	v_add_f64_e32 v[38:39], v[38:39], v[40:41]
	v_add_f64_e64 v[40:41], v[42:43], -v[24:25]
	s_delay_alu instid0(VALU_DEP_1) | instskip(NEXT) | instid1(VALU_DEP_1)
	v_add_f64_e32 v[42:43], v[40:41], v[38:39]
	v_mul_f64_e32 v[44:45], 0x3ff921fb54442d18, v[42:43]
	v_add_f64_e64 v[40:41], v[42:43], -v[40:41]
	s_delay_alu instid0(VALU_DEP_2) | instskip(NEXT) | instid1(VALU_DEP_2)
	v_fma_f64 v[48:49], v[42:43], s[12:13], -v[44:45]
	v_add_f64_e64 v[38:39], v[38:39], -v[40:41]
	s_delay_alu instid0(VALU_DEP_2) | instskip(NEXT) | instid1(VALU_DEP_1)
	v_fmac_f64_e32 v[48:49], 0x3c91a62633145c07, v[42:43]
	v_fmac_f64_e32 v[48:49], 0x3ff921fb54442d18, v[38:39]
	s_delay_alu instid0(VALU_DEP_1) | instskip(NEXT) | instid1(VALU_DEP_1)
	v_add_f64_e32 v[46:47], v[44:45], v[48:49]
	v_add_f64_e64 v[38:39], v[46:47], -v[44:45]
	s_delay_alu instid0(VALU_DEP_1)
	v_add_f64_e64 v[48:49], v[48:49], -v[38:39]
	s_and_not1_saveexec_b32 s2, s2
	s_cbranch_execnz .LBB93_117
	s_branch .LBB93_118
.LBB93_116:                             ;   in Loop: Header=BB93_7 Depth=1
	s_and_not1_saveexec_b32 s2, s2
	s_cbranch_execz .LBB93_118
.LBB93_117:                             ;   in Loop: Header=BB93_7 Depth=1
	s_delay_alu instid0(VALU_DEP_1) | instskip(SKIP_2) | instid1(VALU_DEP_2)
	v_fma_f64 v[38:39], v[50:51], s[16:17], |v[10:11]|
	v_mul_f64_e32 v[40:41], 0xbc91a62633145c00, v[50:51]
	v_cvt_i32_f64_e32 v53, v[50:51]
	v_add_f64_e32 v[42:43], v[38:39], v[40:41]
	s_delay_alu instid0(VALU_DEP_1) | instskip(SKIP_1) | instid1(VALU_DEP_1)
	v_add_f64_e64 v[44:45], v[38:39], -v[42:43]
	v_fmamk_f64 v[38:39], v[50:51], 0xbc91a62633145c00, v[38:39]
	v_add_f64_e64 v[42:43], v[42:43], -v[38:39]
	s_delay_alu instid0(VALU_DEP_3) | instskip(SKIP_1) | instid1(VALU_DEP_2)
	v_add_f64_e32 v[44:45], v[44:45], v[40:41]
	v_fmamk_f64 v[40:41], v[50:51], 0x3c91a62633145c00, v[40:41]
	v_add_f64_e32 v[42:43], v[42:43], v[44:45]
	s_delay_alu instid0(VALU_DEP_1) | instskip(NEXT) | instid1(VALU_DEP_1)
	v_add_f64_e64 v[40:41], v[42:43], -v[40:41]
	v_fmac_f64_e32 v[40:41], 0xb97b839a252049c0, v[50:51]
	s_delay_alu instid0(VALU_DEP_1) | instskip(NEXT) | instid1(VALU_DEP_1)
	v_add_f64_e32 v[46:47], v[38:39], v[40:41]
	v_add_f64_e64 v[38:39], v[46:47], -v[38:39]
	s_delay_alu instid0(VALU_DEP_1)
	v_add_f64_e64 v[48:49], v[40:41], -v[38:39]
.LBB93_118:                             ;   in Loop: Header=BB93_7 Depth=1
	s_or_b32 exec_lo, exec_lo, s2
	v_mul_f64_e32 v[38:39], v[12:13], v[12:13]
	v_dual_mul_f64 v[40:41], v[46:47], v[46:47] :: v_dual_bitop2_b32 v25, 1, v1 bitop3:0x40
	s_delay_alu instid0(VALU_DEP_3) | instskip(NEXT) | instid1(VALU_DEP_4)
	v_mul_f64_e32 v[56:57], 0.5, v[18:19]
	v_mul_f64_e32 v[64:65], 0.5, v[48:49]
	v_cmp_class_f64_e64 s2, v[10:11], 0x1f8
	v_and_b32_e32 v10, 1, v53
	v_cmp_eq_u32_e32 vcc_lo, 0, v25
	v_lshlrev_b32_e32 v1, 30, v1
	s_delay_alu instid0(VALU_DEP_3) | instskip(NEXT) | instid1(VALU_DEP_2)
	v_cmp_eq_u32_e64 s3, 0, v10
	v_dual_lshlrev_b32 v10, 30, v53 :: v_dual_bitop2_b32 v1, v1, v11 bitop3:0x14
	v_mul_f64_e32 v[42:43], 0.5, v[38:39]
	v_mul_f64_e32 v[44:45], 0.5, v[40:41]
	v_mul_f64_e64 v[58:59], v[12:13], -v[38:39]
	v_fmamk_f64 v[62:63], v[38:39], 0x3de5e0b2f9a43bb8, v[34:35]
	v_mul_f64_e64 v[66:67], v[46:47], -v[40:41]
	v_fmamk_f64 v[68:69], v[40:41], 0x3de5e0b2f9a43bb8, v[34:35]
	s_delay_alu instid0(VALU_DEP_3) | instskip(NEXT) | instid1(VALU_DEP_2)
	v_fmaak_f64 v[62:63], v[38:39], v[62:63], 0x3ec71de3796cde01
	v_fmaak_f64 v[68:69], v[40:41], v[68:69], 0x3ec71de3796cde01
	s_delay_alu instid0(VALU_DEP_2) | instskip(NEXT) | instid1(VALU_DEP_1)
	v_fmaak_f64 v[62:63], v[38:39], v[62:63], 0xbf2a01a019e83e5c
	v_fmaak_f64 v[62:63], v[38:39], v[62:63], 0x3f81111111110bb3
	v_add_f64_e64 v[50:51], -v[42:43], 1.0
	v_add_f64_e64 v[54:55], -v[44:45], 1.0
	s_delay_alu instid0(VALU_DEP_3) | instskip(SKIP_1) | instid1(VALU_DEP_4)
	v_fmac_f64_e32 v[56:57], v[58:59], v[62:63]
	v_mul_f64_e32 v[62:63], v[38:39], v[38:39]
	v_add_f64_e64 v[60:61], -v[50:51], 1.0
	s_delay_alu instid0(VALU_DEP_4) | instskip(NEXT) | instid1(VALU_DEP_4)
	v_add_f64_e64 v[70:71], -v[54:55], 1.0
	v_fma_f64 v[56:57], v[38:39], v[56:57], -v[18:19]
	s_delay_alu instid0(VALU_DEP_3) | instskip(SKIP_1) | instid1(VALU_DEP_4)
	v_add_f64_e64 v[42:43], v[60:61], -v[42:43]
	v_fmaak_f64 v[60:61], v[40:41], v[68:69], 0xbf2a01a019e83e5c
	v_add_f64_e64 v[44:45], v[70:71], -v[44:45]
	v_mul_f64_e32 v[68:69], v[40:41], v[40:41]
	v_fmac_f64_e32 v[56:57], 0xbfc5555555555555, v[58:59]
	s_delay_alu instid0(VALU_DEP_4) | instskip(NEXT) | instid1(VALU_DEP_1)
	v_fmaak_f64 v[60:61], v[40:41], v[60:61], 0x3f81111111110bb3
	v_fmac_f64_e32 v[64:65], v[66:67], v[60:61]
	v_fmamk_f64 v[60:61], v[38:39], 0xbda907db46cc5e42, v[32:33]
	v_fma_f64 v[18:19], v[12:13], -v[18:19], v[42:43]
	s_delay_alu instid0(VALU_DEP_2) | instskip(SKIP_2) | instid1(VALU_DEP_3)
	v_fmaak_f64 v[42:43], v[38:39], v[60:61], 0xbe927e4fa17f65f6
	v_fma_f64 v[44:45], v[46:47], -v[48:49], v[44:45]
	v_add_f64_e64 v[12:13], v[12:13], -v[56:57]
	v_fmaak_f64 v[42:43], v[38:39], v[42:43], 0x3efa01a019f4ec90
	v_fma_f64 v[60:61], v[40:41], v[64:65], -v[48:49]
	s_delay_alu instid0(VALU_DEP_2) | instskip(SKIP_1) | instid1(VALU_DEP_2)
	v_fmaak_f64 v[42:43], v[38:39], v[42:43], 0xbf56c16c16c16967
	v_fmamk_f64 v[64:65], v[40:41], 0xbda907db46cc5e42, v[32:33]
	v_fmaak_f64 v[38:39], v[38:39], v[42:43], 0x3fa5555555555555
	s_delay_alu instid0(VALU_DEP_2) | instskip(NEXT) | instid1(VALU_DEP_2)
	v_fmaak_f64 v[42:43], v[40:41], v[64:65], 0xbe927e4fa17f65f6
	v_fmac_f64_e32 v[18:19], v[62:63], v[38:39]
	s_delay_alu instid0(VALU_DEP_2) | instskip(NEXT) | instid1(VALU_DEP_1)
	v_fmaak_f64 v[38:39], v[40:41], v[42:43], 0x3efa01a019f4ec90
	v_fmaak_f64 v[38:39], v[40:41], v[38:39], 0xbf56c16c16c16967
	s_delay_alu instid0(VALU_DEP_1) | instskip(SKIP_1) | instid1(VALU_DEP_2)
	v_fmaak_f64 v[38:39], v[40:41], v[38:39], 0x3fa5555555555555
	v_fmac_f64_e32 v[60:61], 0xbfc5555555555555, v[66:67]
	v_fmac_f64_e32 v[44:45], v[68:69], v[38:39]
	v_add_f64_e32 v[18:19], v[50:51], v[18:19]
	s_delay_alu instid0(VALU_DEP_3) | instskip(NEXT) | instid1(VALU_DEP_3)
	v_add_f64_e64 v[38:39], v[46:47], -v[60:61]
	v_add_f64_e32 v[40:41], v[54:55], v[44:45]
	s_delay_alu instid0(VALU_DEP_3) | instskip(NEXT) | instid1(VALU_DEP_1)
	v_dual_cndmask_b32 v12, v18, v12 :: v_dual_cndmask_b32 v11, v19, v13
	v_bitop3_b32 v1, v11, v1, 0x80000000 bitop3:0x78
	s_delay_alu instid0(VALU_DEP_1) | instskip(SKIP_1) | instid1(VALU_DEP_1)
	v_cndmask_b32_e64 v11, 0x7ff80000, v1, s2
	v_xor_b32_e32 v18, 0x80000000, v39
	v_cndmask_b32_e64 v18, v18, v41, s3
	v_cndmask_b32_e64 v13, v38, v40, s3
	s_delay_alu instid0(VALU_DEP_2) | instskip(NEXT) | instid1(VALU_DEP_2)
	v_bitop3_b32 v18, v18, v10, 0x80000000 bitop3:0x78
	v_dual_cndmask_b32 v10, 0, v12, s2 :: v_dual_cndmask_b32 v12, 0, v13, s2
	s_delay_alu instid0(VALU_DEP_2) | instskip(NEXT) | instid1(VALU_DEP_1)
	v_cndmask_b32_e64 v13, 0x7ff80000, v18, s2
	v_mul_f64_e32 v[10:11], v[10:11], v[12:13]
.LBB93_119:                             ;   in Loop: Header=BB93_7 Depth=1
	s_or_b32 exec_lo, exec_lo, s36
	s_delay_alu instid0(VALU_DEP_1) | instskip(SKIP_1) | instid1(VALU_DEP_2)
	v_bfi_b32 v25, 0x7fffffff, 0, v11
	v_add_nc_u32_e32 v21, -2.0, v21
	v_mov_b64_e32 v[18:19], v[24:25]
.LBB93_120:                             ;   in Loop: Header=BB93_7 Depth=1
	s_or_b32 exec_lo, exec_lo, s35
.LBB93_121:                             ;   in Loop: Header=BB93_7 Depth=1
	s_delay_alu instid0(SALU_CYCLE_1) | instskip(SKIP_3) | instid1(VALU_DEP_2)
	s_or_b32 exec_lo, exec_lo, s34
	v_xor_b32_e32 v13, 0x80000000, v5
	v_mov_b32_e32 v12, v4
	s_mov_b32 s2, exec_lo
	v_and_b32_e32 v1, 0x7fffffff, v13
	s_delay_alu instid0(VALU_DEP_1)
	v_cmpx_gt_u32_e32 0x7ff00000, v1
	s_xor_b32 s3, exec_lo, s2
	s_cbranch_execz .LBB93_143
; %bb.122:                              ;   in Loop: Header=BB93_7 Depth=1
	v_cmp_class_f64_e64 s2, v[2:3], 0x1f8
                                        ; implicit-def: $vgpr10_vgpr11
	s_and_saveexec_b32 s34, s2
	s_delay_alu instid0(SALU_CYCLE_1)
	s_xor_b32 s34, exec_lo, s34
	s_cbranch_execz .LBB93_140
; %bb.123:                              ;   in Loop: Header=BB93_7 Depth=1
                                        ; implicit-def: $vgpr10_vgpr11
	s_mov_b32 s2, exec_lo
	v_cmpx_gt_u32_e32 0x40360000, v1
	s_xor_b32 s35, exec_lo, s2
	s_cbranch_execz .LBB93_129
; %bb.124:                              ;   in Loop: Header=BB93_7 Depth=1
	v_cmp_ngt_f64_e64 s2, 0x41d00000, |v[2:3]|
                                        ; implicit-def: $vgpr1
                                        ; implicit-def: $vgpr10_vgpr11
                                        ; implicit-def: $vgpr12_vgpr13
	s_and_saveexec_b32 s36, s2
	s_delay_alu instid0(SALU_CYCLE_1)
	s_xor_b32 s2, exec_lo, s36
	s_cbranch_execz .LBB93_126
; %bb.125:                              ;   in Loop: Header=BB93_7 Depth=1
	v_ldexp_f64 v[10:11], |v[2:3]|, 0xffffff80
	v_cmp_le_f64_e64 vcc_lo, 0x7b000000, |v[2:3]|
	v_trig_preop_f64 v[12:13], |v[2:3]|, 0
	v_and_b32_e32 v1, 0x7fffffff, v3
	v_trig_preop_f64 v[38:39], |v[2:3]|, 1
	v_trig_preop_f64 v[48:49], |v[2:3]|, 2
	s_delay_alu instid0(VALU_DEP_3) | instskip(NEXT) | instid1(VALU_DEP_1)
	v_dual_cndmask_b32 v11, v1, v11 :: v_dual_cndmask_b32 v10, v2, v10
	v_mul_f64_e32 v[40:41], v[12:13], v[10:11]
	s_delay_alu instid0(VALU_DEP_4) | instskip(NEXT) | instid1(VALU_DEP_4)
	v_mul_f64_e32 v[42:43], v[38:39], v[10:11]
	v_mul_f64_e32 v[54:55], v[48:49], v[10:11]
	s_delay_alu instid0(VALU_DEP_3) | instskip(NEXT) | instid1(VALU_DEP_3)
	v_fma_f64 v[12:13], v[12:13], v[10:11], -v[40:41]
	v_fma_f64 v[38:39], v[38:39], v[10:11], -v[42:43]
	s_delay_alu instid0(VALU_DEP_3) | instskip(NEXT) | instid1(VALU_DEP_3)
	v_fma_f64 v[10:11], v[48:49], v[10:11], -v[54:55]
	v_add_f64_e32 v[44:45], v[42:43], v[12:13]
	s_delay_alu instid0(VALU_DEP_1) | instskip(SKIP_1) | instid1(VALU_DEP_2)
	v_add_f64_e64 v[46:47], v[44:45], -v[42:43]
	v_add_f64_e32 v[52:53], v[40:41], v[44:45]
	v_add_f64_e64 v[50:51], v[44:45], -v[46:47]
	v_add_f64_e64 v[12:13], v[12:13], -v[46:47]
	s_delay_alu instid0(VALU_DEP_3) | instskip(NEXT) | instid1(VALU_DEP_3)
	v_ldexp_f64 v[46:47], v[52:53], -2
	v_add_f64_e64 v[42:43], v[42:43], -v[50:51]
	v_add_f64_e32 v[50:51], v[54:55], v[38:39]
	s_delay_alu instid0(VALU_DEP_3) | instskip(NEXT) | instid1(VALU_DEP_3)
	v_cmp_neq_f64_e64 vcc_lo, 0x7ff00000, |v[46:47]|
	v_add_f64_e32 v[12:13], v[12:13], v[42:43]
	v_fract_f64_e32 v[42:43], v[46:47]
	s_delay_alu instid0(VALU_DEP_1) | instskip(NEXT) | instid1(VALU_DEP_1)
	v_ldexp_f64 v[42:43], v[42:43], 2
	v_dual_add_f64 v[40:41], v[52:53], -v[40:41] :: v_dual_cndmask_b32 v42, 0, v42, vcc_lo
	s_delay_alu instid0(VALU_DEP_1) | instskip(SKIP_1) | instid1(VALU_DEP_1)
	v_dual_add_f64 v[40:41], v[44:45], -v[40:41] :: v_dual_cndmask_b32 v43, 0, v43, vcc_lo
	v_add_f64_e32 v[44:45], v[50:51], v[12:13]
	v_add_f64_e32 v[46:47], v[40:41], v[44:45]
	v_add_f64_e64 v[56:57], v[44:45], -v[50:51]
	s_delay_alu instid0(VALU_DEP_2) | instskip(NEXT) | instid1(VALU_DEP_2)
	v_add_f64_e32 v[52:53], v[46:47], v[42:43]
	v_add_f64_e64 v[62:63], v[44:45], -v[56:57]
	v_add_f64_e64 v[12:13], v[12:13], -v[56:57]
	;; [unrolled: 1-line block ×3, first 2 shown]
	s_delay_alu instid0(VALU_DEP_4) | instskip(SKIP_1) | instid1(VALU_DEP_3)
	v_cmp_gt_f64_e32 vcc_lo, 0, v[52:53]
	v_add_f64_e64 v[52:53], v[50:51], -v[54:55]
	v_add_f64_e64 v[40:41], v[44:45], -v[40:41]
	v_cndmask_b32_e64 v25, 0, 0x40100000, vcc_lo
	s_delay_alu instid0(VALU_DEP_3) | instskip(SKIP_2) | instid1(VALU_DEP_4)
	v_add_f64_e64 v[60:61], v[50:51], -v[52:53]
	v_add_f64_e64 v[38:39], v[38:39], -v[52:53]
	;; [unrolled: 1-line block ×3, first 2 shown]
	v_add_f64_e32 v[42:43], v[42:43], v[24:25]
	s_delay_alu instid0(VALU_DEP_4) | instskip(NEXT) | instid1(VALU_DEP_3)
	v_add_f64_e64 v[52:53], v[54:55], -v[60:61]
	v_add_f64_e32 v[12:13], v[12:13], v[50:51]
	s_delay_alu instid0(VALU_DEP_3) | instskip(NEXT) | instid1(VALU_DEP_3)
	v_add_f64_e32 v[58:59], v[46:47], v[42:43]
	v_add_f64_e32 v[38:39], v[38:39], v[52:53]
	s_delay_alu instid0(VALU_DEP_2) | instskip(NEXT) | instid1(VALU_DEP_2)
	v_cvt_i32_f64_e32 v1, v[58:59]
	v_add_f64_e32 v[12:13], v[38:39], v[12:13]
	s_delay_alu instid0(VALU_DEP_2) | instskip(NEXT) | instid1(VALU_DEP_2)
	v_cvt_f64_i32_e32 v[56:57], v1
	v_add_f64_e32 v[10:11], v[10:11], v[12:13]
	s_delay_alu instid0(VALU_DEP_2) | instskip(NEXT) | instid1(VALU_DEP_2)
	v_add_f64_e64 v[42:43], v[42:43], -v[56:57]
	v_add_f64_e32 v[10:11], v[40:41], v[10:11]
	s_delay_alu instid0(VALU_DEP_2) | instskip(NEXT) | instid1(VALU_DEP_1)
	v_add_f64_e32 v[38:39], v[46:47], v[42:43]
	v_add_f64_e64 v[12:13], v[38:39], -v[42:43]
	v_cmp_le_f64_e32 vcc_lo, 0.5, v[38:39]
	s_delay_alu instid0(VALU_DEP_2) | instskip(SKIP_2) | instid1(VALU_DEP_3)
	v_add_f64_e64 v[12:13], v[46:47], -v[12:13]
	v_cndmask_b32_e64 v25, 0, 0x3ff00000, vcc_lo
	v_add_co_ci_u32_e64 v1, null, 0, v1, vcc_lo
	v_add_f64_e32 v[10:11], v[10:11], v[12:13]
	s_delay_alu instid0(VALU_DEP_3) | instskip(NEXT) | instid1(VALU_DEP_1)
	v_add_f64_e64 v[12:13], v[38:39], -v[24:25]
	v_add_f64_e32 v[38:39], v[12:13], v[10:11]
	s_delay_alu instid0(VALU_DEP_1) | instskip(SKIP_1) | instid1(VALU_DEP_2)
	v_mul_f64_e32 v[40:41], 0x3ff921fb54442d18, v[38:39]
	v_add_f64_e64 v[12:13], v[38:39], -v[12:13]
	v_fma_f64 v[42:43], v[38:39], s[12:13], -v[40:41]
	s_delay_alu instid0(VALU_DEP_2) | instskip(NEXT) | instid1(VALU_DEP_2)
	v_add_f64_e64 v[10:11], v[10:11], -v[12:13]
	v_fmac_f64_e32 v[42:43], 0x3c91a62633145c07, v[38:39]
	s_delay_alu instid0(VALU_DEP_1) | instskip(NEXT) | instid1(VALU_DEP_1)
	v_fmac_f64_e32 v[42:43], 0x3ff921fb54442d18, v[10:11]
	v_add_f64_e32 v[10:11], v[40:41], v[42:43]
	s_delay_alu instid0(VALU_DEP_1) | instskip(NEXT) | instid1(VALU_DEP_1)
	v_add_f64_e64 v[12:13], v[10:11], -v[40:41]
	v_add_f64_e64 v[12:13], v[42:43], -v[12:13]
.LBB93_126:                             ;   in Loop: Header=BB93_7 Depth=1
	s_and_not1_saveexec_b32 s2, s2
	s_cbranch_execz .LBB93_128
; %bb.127:                              ;   in Loop: Header=BB93_7 Depth=1
	v_mul_f64_e64 v[10:11], |v[2:3]|, s[14:15]
	s_delay_alu instid0(VALU_DEP_1) | instskip(NEXT) | instid1(VALU_DEP_1)
	v_rndne_f64_e32 v[38:39], v[10:11]
	v_fma_f64 v[10:11], v[38:39], s[16:17], |v[2:3]|
	v_mul_f64_e32 v[12:13], 0xbc91a62633145c00, v[38:39]
	v_cvt_i32_f64_e32 v1, v[38:39]
	s_delay_alu instid0(VALU_DEP_3) | instskip(NEXT) | instid1(VALU_DEP_3)
	v_fmamk_f64 v[44:45], v[38:39], 0xbc91a62633145c00, v[10:11]
	v_add_f64_e32 v[40:41], v[10:11], v[12:13]
	s_delay_alu instid0(VALU_DEP_1) | instskip(NEXT) | instid1(VALU_DEP_3)
	v_add_f64_e64 v[42:43], v[10:11], -v[40:41]
	v_add_f64_e64 v[10:11], v[40:41], -v[44:45]
	s_delay_alu instid0(VALU_DEP_2) | instskip(SKIP_1) | instid1(VALU_DEP_2)
	v_add_f64_e32 v[40:41], v[42:43], v[12:13]
	v_fmamk_f64 v[12:13], v[38:39], 0x3c91a62633145c00, v[12:13]
	v_add_f64_e32 v[10:11], v[10:11], v[40:41]
	s_delay_alu instid0(VALU_DEP_1) | instskip(NEXT) | instid1(VALU_DEP_1)
	v_add_f64_e64 v[12:13], v[10:11], -v[12:13]
	v_fmac_f64_e32 v[12:13], 0xb97b839a252049c0, v[38:39]
	s_delay_alu instid0(VALU_DEP_1) | instskip(NEXT) | instid1(VALU_DEP_1)
	v_add_f64_e32 v[10:11], v[44:45], v[12:13]
	v_add_f64_e64 v[40:41], v[10:11], -v[44:45]
	s_delay_alu instid0(VALU_DEP_1)
	v_add_f64_e64 v[12:13], v[12:13], -v[40:41]
.LBB93_128:                             ;   in Loop: Header=BB93_7 Depth=1
	s_or_b32 exec_lo, exec_lo, s2
	v_add_f64_e64 v[38:39], |v[4:5]|, s[18:19]
	v_cmp_nge_f64_e64 vcc_lo, |v[4:5]|, s[20:21]
	v_dual_mul_f64 v[56:57], v[10:11], v[10:11] :: v_dual_bitop2_b32 v1, 1, v1 bitop3:0x40
	s_delay_alu instid0(VALU_DEP_4) | instskip(NEXT) | instid1(VALU_DEP_2)
	v_add_f64_e32 v[58:59], v[12:13], v[12:13]
	v_cmp_eq_u32_e64 s2, 0, v1
	v_add_f64_e64 v[40:41], v[38:39], -|v[4:5]|
	s_delay_alu instid0(VALU_DEP_4) | instskip(NEXT) | instid1(VALU_DEP_2)
	v_fma_f64 v[60:61], v[10:11], v[10:11], -v[56:57]
	v_add_f64_e64 v[42:43], v[40:41], -v[38:39]
	v_add_f64_e32 v[40:41], 0x3fe62e42fefa39ef, v[40:41]
	s_delay_alu instid0(VALU_DEP_3) | instskip(NEXT) | instid1(VALU_DEP_3)
	v_fmac_f64_e32 v[60:61], v[10:11], v[58:59]
	v_add_f64_e64 v[42:43], |v[4:5]|, v[42:43]
	s_delay_alu instid0(VALU_DEP_2) | instskip(NEXT) | instid1(VALU_DEP_2)
	v_add_f64_e32 v[56:57], v[56:57], v[60:61]
	v_add_f64_e64 v[40:41], v[42:43], -v[40:41]
	s_delay_alu instid0(VALU_DEP_2) | instskip(NEXT) | instid1(VALU_DEP_1)
	v_fmamk_f64 v[60:61], v[56:57], 0x3ef5e089c751c08c, v[28:29]
	v_fmaak_f64 v[60:61], v[56:57], v[60:61], 0x3f17746f90a8aae0
	s_delay_alu instid0(VALU_DEP_1) | instskip(NEXT) | instid1(VALU_DEP_4)
	v_fmaak_f64 v[60:61], v[56:57], v[60:61], 0xbefbb44da6fbf144
	v_add_f64_e32 v[40:41], 0xbc7abc9e3b39803f, v[40:41]
	s_delay_alu instid0(VALU_DEP_1) | instskip(NEXT) | instid1(VALU_DEP_1)
	v_add_f64_e32 v[42:43], v[38:39], v[40:41]
	v_mul_f64_e32 v[44:45], 0x3ff71547652b82fe, v[42:43]
	v_add_f64_e64 v[38:39], v[38:39], -v[42:43]
	s_delay_alu instid0(VALU_DEP_2) | instskip(NEXT) | instid1(VALU_DEP_2)
	v_rndne_f64_e32 v[44:45], v[44:45]
	v_add_f64_e32 v[38:39], v[40:41], v[38:39]
	s_delay_alu instid0(VALU_DEP_2) | instskip(SKIP_2) | instid1(VALU_DEP_3)
	v_fmac_f64_e32 v[42:43], 0xbfe62e42fefa3000, v[44:45]
	v_mul_f64_e32 v[40:41], 0xbd53de6af278e000, v[44:45]
	v_cvt_i32_f64_e32 v2, v[44:45]
	v_add_f64_e32 v[46:47], v[38:39], v[42:43]
	s_delay_alu instid0(VALU_DEP_1) | instskip(SKIP_1) | instid1(VALU_DEP_2)
	v_add_f64_e32 v[48:49], v[46:47], v[40:41]
	v_add_f64_e64 v[42:43], v[42:43], -v[46:47]
	v_add_f64_e64 v[46:47], v[46:47], -v[48:49]
	s_delay_alu instid0(VALU_DEP_2) | instskip(NEXT) | instid1(VALU_DEP_2)
	v_add_f64_e32 v[38:39], v[38:39], v[42:43]
	v_add_f64_e32 v[40:41], v[46:47], v[40:41]
	s_delay_alu instid0(VALU_DEP_1) | instskip(SKIP_1) | instid1(VALU_DEP_2)
	v_add_f64_e32 v[38:39], v[38:39], v[40:41]
	v_mul_f64_e32 v[40:41], 0xbac9cc01f97b57a0, v[44:45]
	v_add_f64_e32 v[42:43], v[48:49], v[38:39]
	s_delay_alu instid0(VALU_DEP_1) | instskip(SKIP_1) | instid1(VALU_DEP_2)
	v_add_f64_e32 v[46:47], v[42:43], v[40:41]
	v_add_f64_e64 v[48:49], v[48:49], -v[42:43]
	v_add_f64_e64 v[42:43], v[42:43], -v[46:47]
	s_delay_alu instid0(VALU_DEP_2) | instskip(NEXT) | instid1(VALU_DEP_2)
	v_add_f64_e32 v[38:39], v[38:39], v[48:49]
	v_add_f64_e32 v[40:41], v[42:43], v[40:41]
	s_delay_alu instid0(VALU_DEP_1) | instskip(NEXT) | instid1(VALU_DEP_1)
	v_add_f64_e32 v[38:39], v[38:39], v[40:41]
	v_add_f64_e32 v[40:41], v[46:47], v[38:39]
	s_delay_alu instid0(VALU_DEP_1) | instskip(SKIP_1) | instid1(VALU_DEP_2)
	v_add_f64_e64 v[42:43], v[46:47], -v[40:41]
	v_mul_f64_e32 v[46:47], v[40:41], v[40:41]
	v_add_f64_e32 v[38:39], v[38:39], v[42:43]
	s_delay_alu instid0(VALU_DEP_2) | instskip(NEXT) | instid1(VALU_DEP_2)
	v_fma_f64 v[42:43], v[40:41], v[40:41], -v[46:47]
	v_add_f64_e32 v[48:49], v[38:39], v[38:39]
	s_delay_alu instid0(VALU_DEP_1) | instskip(SKIP_1) | instid1(VALU_DEP_1)
	v_fmac_f64_e32 v[42:43], v[40:41], v[48:49]
	v_fmamk_f64 v[48:49], v[40:41], 0x3e5ade156a5dcb37, v[30:31]
	v_fmaak_f64 v[48:49], v[40:41], v[48:49], 0x3ec71dee623fde64
	s_delay_alu instid0(VALU_DEP_1) | instskip(NEXT) | instid1(VALU_DEP_1)
	v_fmaak_f64 v[48:49], v[40:41], v[48:49], 0x3efa01997c89e6b0
	v_fmaak_f64 v[48:49], v[40:41], v[48:49], 0x3f2a01a014761f6e
	s_delay_alu instid0(VALU_DEP_1) | instskip(SKIP_1) | instid1(VALU_DEP_2)
	v_fmaak_f64 v[48:49], v[40:41], v[48:49], 0x3f56c16c1852b7b0
	v_add_f64_e32 v[50:51], v[46:47], v[42:43]
	v_fmaak_f64 v[48:49], v[40:41], v[48:49], 0x3f81111111122322
	s_delay_alu instid0(VALU_DEP_1) | instskip(NEXT) | instid1(VALU_DEP_1)
	v_fmaak_f64 v[48:49], v[40:41], v[48:49], 0x3fa55555555502a1
	v_fmaak_f64 v[48:49], v[40:41], v[48:49], 0x3fc5555555555511
	s_delay_alu instid0(VALU_DEP_1) | instskip(SKIP_1) | instid1(VALU_DEP_2)
	v_fmaak_f64 v[48:49], v[40:41], v[48:49], 0x3fe000000000000b
	v_add_f64_e64 v[46:47], v[50:51], -v[46:47]
	v_mul_f64_e32 v[52:53], v[50:51], v[48:49]
	s_delay_alu instid0(VALU_DEP_2) | instskip(NEXT) | instid1(VALU_DEP_2)
	v_add_f64_e64 v[42:43], v[42:43], -v[46:47]
	v_fma_f64 v[46:47], v[50:51], v[48:49], -v[52:53]
	s_delay_alu instid0(VALU_DEP_1) | instskip(NEXT) | instid1(VALU_DEP_1)
	v_fmac_f64_e32 v[46:47], v[42:43], v[48:49]
	v_add_f64_e32 v[42:43], v[52:53], v[46:47]
	s_delay_alu instid0(VALU_DEP_1) | instskip(SKIP_1) | instid1(VALU_DEP_2)
	v_add_f64_e32 v[48:49], v[40:41], v[42:43]
	v_add_f64_e64 v[50:51], v[42:43], -v[52:53]
	v_add_f64_e64 v[40:41], v[48:49], -v[40:41]
	s_delay_alu instid0(VALU_DEP_2) | instskip(NEXT) | instid1(VALU_DEP_2)
	v_add_f64_e64 v[46:47], v[46:47], -v[50:51]
	v_add_f64_e64 v[40:41], v[42:43], -v[40:41]
	s_delay_alu instid0(VALU_DEP_2) | instskip(NEXT) | instid1(VALU_DEP_1)
	v_add_f64_e32 v[38:39], v[38:39], v[46:47]
	v_add_f64_e32 v[38:39], v[38:39], v[40:41]
	s_delay_alu instid0(VALU_DEP_1) | instskip(NEXT) | instid1(VALU_DEP_1)
	v_add_f64_e32 v[40:41], v[48:49], v[38:39]
	v_add_f64_e32 v[42:43], 1.0, v[40:41]
	v_add_f64_e64 v[46:47], v[40:41], -v[48:49]
	s_delay_alu instid0(VALU_DEP_2) | instskip(NEXT) | instid1(VALU_DEP_2)
	v_add_f64_e32 v[48:49], -1.0, v[42:43]
	v_add_f64_e64 v[38:39], v[38:39], -v[46:47]
	s_delay_alu instid0(VALU_DEP_2) | instskip(NEXT) | instid1(VALU_DEP_1)
	v_add_f64_e64 v[40:41], v[40:41], -v[48:49]
	v_add_f64_e32 v[38:39], v[38:39], v[40:41]
	s_delay_alu instid0(VALU_DEP_1) | instskip(NEXT) | instid1(VALU_DEP_1)
	v_add_f64_e32 v[40:41], v[42:43], v[38:39]
	v_ldexp_f64 v[44:45], v[40:41], v2
	v_add_f64_e64 v[40:41], v[40:41], -v[42:43]
	s_delay_alu instid0(VALU_DEP_2) | instskip(NEXT) | instid1(VALU_DEP_1)
	v_rcp_f64_e32 v[46:47], v[44:45]
	v_add_f64_e64 v[38:39], v[38:39], -v[40:41]
	s_delay_alu instid0(VALU_DEP_1) | instskip(NEXT) | instid1(TRANS32_DEP_1)
	v_ldexp_f64 v[38:39], v[38:39], v2
	v_fma_f64 v[48:49], -v[44:45], v[46:47], 1.0
	s_delay_alu instid0(VALU_DEP_1) | instskip(NEXT) | instid1(VALU_DEP_1)
	v_fmac_f64_e32 v[46:47], v[48:49], v[46:47]
	v_fma_f64 v[48:49], -v[44:45], v[46:47], 1.0
	s_delay_alu instid0(VALU_DEP_1) | instskip(NEXT) | instid1(VALU_DEP_1)
	v_fmac_f64_e32 v[46:47], v[48:49], v[46:47]
	v_mul_f64_e32 v[40:41], v[44:45], v[46:47]
	s_delay_alu instid0(VALU_DEP_1) | instskip(NEXT) | instid1(VALU_DEP_1)
	v_fma_f64 v[42:43], v[46:47], v[44:45], -v[40:41]
	v_fmac_f64_e32 v[42:43], v[46:47], v[38:39]
	s_delay_alu instid0(VALU_DEP_1) | instskip(NEXT) | instid1(VALU_DEP_1)
	v_add_f64_e32 v[48:49], v[40:41], v[42:43]
	v_add_f64_e64 v[50:51], -v[48:49], 1.0
	v_add_f64_e64 v[40:41], v[48:49], -v[40:41]
	s_delay_alu instid0(VALU_DEP_2) | instskip(NEXT) | instid1(VALU_DEP_2)
	v_add_f64_e64 v[52:53], -v[50:51], 1.0
	v_add_f64_e64 v[40:41], v[40:41], -v[42:43]
	s_delay_alu instid0(VALU_DEP_2) | instskip(NEXT) | instid1(VALU_DEP_1)
	v_add_f64_e64 v[42:43], v[52:53], -v[48:49]
	v_add_f64_e32 v[40:41], v[40:41], v[42:43]
	s_delay_alu instid0(VALU_DEP_1) | instskip(NEXT) | instid1(VALU_DEP_1)
	v_add_f64_e32 v[42:43], v[50:51], v[40:41]
	v_mul_f64_e32 v[48:49], v[46:47], v[42:43]
	v_add_f64_e64 v[50:51], v[50:51], -v[42:43]
	s_delay_alu instid0(VALU_DEP_2) | instskip(NEXT) | instid1(VALU_DEP_2)
	v_mul_f64_e32 v[52:53], v[44:45], v[48:49]
	v_add_f64_e32 v[40:41], v[40:41], v[50:51]
	s_delay_alu instid0(VALU_DEP_2) | instskip(NEXT) | instid1(VALU_DEP_1)
	v_fma_f64 v[54:55], v[48:49], v[44:45], -v[52:53]
	v_fmac_f64_e32 v[54:55], v[48:49], v[38:39]
	s_delay_alu instid0(VALU_DEP_1) | instskip(NEXT) | instid1(VALU_DEP_1)
	v_add_f64_e32 v[62:63], v[52:53], v[54:55]
	v_add_f64_e64 v[58:59], v[42:43], -v[62:63]
	v_add_f64_e64 v[50:51], v[62:63], -v[52:53]
	v_fmaak_f64 v[52:53], v[56:57], v[60:61], 0x3f21e634a7943acf
	s_delay_alu instid0(VALU_DEP_1) | instskip(NEXT) | instid1(VALU_DEP_1)
	v_fmaak_f64 v[52:53], v[56:57], v[52:53], 0x3f2d250fdeb68feb
	v_fmaak_f64 v[52:53], v[56:57], v[52:53], 0x3f437fd9b58c4d95
	s_delay_alu instid0(VALU_DEP_1) | instskip(NEXT) | instid1(VALU_DEP_1)
	v_fmaak_f64 v[52:53], v[56:57], v[52:53], 0x3f57d5af15120e2c
	v_fmaak_f64 v[52:53], v[56:57], v[52:53], 0x3f6d6d93e09491df
	v_add_f64_e64 v[42:43], v[42:43], -v[58:59]
	v_add_f64_e64 v[50:51], v[50:51], -v[54:55]
	s_delay_alu instid0(VALU_DEP_2) | instskip(NEXT) | instid1(VALU_DEP_1)
	v_add_f64_e64 v[42:43], v[42:43], -v[62:63]
	v_add_f64_e32 v[40:41], v[40:41], v[42:43]
	v_fmaak_f64 v[42:43], v[56:57], v[52:53], 0x3f8226e12033784d
	v_add_f64_e32 v[52:53], v[46:47], v[48:49]
	s_delay_alu instid0(VALU_DEP_2) | instskip(NEXT) | instid1(VALU_DEP_1)
	v_fmaak_f64 v[42:43], v[56:57], v[42:43], 0x3f9664f49ac36ae2
	v_fmaak_f64 v[42:43], v[56:57], v[42:43], 0x3faba1ba1b451c21
	s_delay_alu instid0(VALU_DEP_1) | instskip(NEXT) | instid1(VALU_DEP_1)
	v_fmaak_f64 v[42:43], v[56:57], v[42:43], 0x3fc11111111185b7
	v_fmaak_f64 v[42:43], v[56:57], v[42:43], 0x3fd55555555554ee
	v_add_f64_e32 v[40:41], v[50:51], v[40:41]
	v_add_f64_e64 v[50:51], v[52:53], -v[46:47]
	s_delay_alu instid0(VALU_DEP_3) | instskip(NEXT) | instid1(VALU_DEP_3)
	v_mul_f64_e32 v[42:43], v[56:57], v[42:43]
	v_add_f64_e32 v[40:41], v[58:59], v[40:41]
	s_delay_alu instid0(VALU_DEP_3) | instskip(NEXT) | instid1(VALU_DEP_3)
	v_add_f64_e64 v[48:49], v[48:49], -v[50:51]
	v_mul_f64_e32 v[54:55], v[10:11], v[42:43]
	s_delay_alu instid0(VALU_DEP_3) | instskip(NEXT) | instid1(VALU_DEP_2)
	v_mul_f64_e32 v[40:41], v[46:47], v[40:41]
	v_add_f64_e32 v[46:47], v[10:11], v[54:55]
	v_fma_f64 v[42:43], v[10:11], v[42:43], -v[54:55]
	s_delay_alu instid0(VALU_DEP_3) | instskip(NEXT) | instid1(VALU_DEP_3)
	v_add_f64_e32 v[40:41], v[48:49], v[40:41]
	v_add_f64_e64 v[10:11], v[46:47], -v[10:11]
	s_delay_alu instid0(VALU_DEP_3) | instskip(NEXT) | instid1(VALU_DEP_3)
	v_add_f64_e32 v[12:13], v[12:13], v[42:43]
	v_add_f64_e32 v[48:49], v[52:53], v[40:41]
	s_delay_alu instid0(VALU_DEP_3) | instskip(NEXT) | instid1(VALU_DEP_2)
	v_add_f64_e64 v[10:11], v[54:55], -v[10:11]
	v_ldexp_f64 v[42:43], v[48:49], -2
	v_add_f64_e64 v[48:49], v[48:49], -v[52:53]
	s_delay_alu instid0(VALU_DEP_3) | instskip(NEXT) | instid1(VALU_DEP_3)
	v_add_f64_e32 v[10:11], v[12:13], v[10:11]
	v_add_f64_e64 v[12:13], v[44:45], -v[42:43]
	s_delay_alu instid0(VALU_DEP_3) | instskip(NEXT) | instid1(VALU_DEP_3)
	v_add_f64_e64 v[40:41], v[40:41], -v[48:49]
	v_add_f64_e32 v[50:51], v[46:47], v[10:11]
	s_delay_alu instid0(VALU_DEP_3) | instskip(NEXT) | instid1(VALU_DEP_3)
	v_add_f64_e64 v[44:45], v[44:45], -v[12:13]
	v_ldexp_f64 v[40:41], v[40:41], -2
	s_delay_alu instid0(VALU_DEP_3) | instskip(NEXT) | instid1(VALU_DEP_2)
	v_rcp_f64_e32 v[52:53], v[50:51]
	v_add_f64_e64 v[42:43], v[44:45], -v[42:43]
	s_delay_alu instid0(TRANS32_DEP_1) | instskip(NEXT) | instid1(VALU_DEP_2)
	v_fma_f64 v[44:45], -v[50:51], v[52:53], 1.0
	v_add_f64_e32 v[38:39], v[38:39], v[42:43]
	s_delay_alu instid0(VALU_DEP_2) | instskip(NEXT) | instid1(VALU_DEP_2)
	v_fmac_f64_e32 v[52:53], v[44:45], v[52:53]
	v_add_f64_e64 v[38:39], v[38:39], -v[40:41]
	s_delay_alu instid0(VALU_DEP_2) | instskip(NEXT) | instid1(VALU_DEP_2)
	v_fma_f64 v[40:41], -v[50:51], v[52:53], 1.0
	v_add_f64_e32 v[12:13], v[12:13], v[38:39]
	s_delay_alu instid0(VALU_DEP_2) | instskip(SKIP_1) | instid1(VALU_DEP_3)
	v_fmac_f64_e32 v[52:53], v[40:41], v[52:53]
	v_and_b32_e32 v40, 0x7fffffff, v5
	v_cndmask_b32_e32 v2, 0x7ff00000, v13, vcc_lo
	s_delay_alu instid0(VALU_DEP_4)
	v_cndmask_b32_e32 v25, 0, v12, vcc_lo
	v_cmp_gt_f64_e64 vcc_lo, 0x3e400000, |v[4:5]|
	v_xor_b32_e32 v5, 0x80000000, v5
	v_add_f64_e64 v[12:13], v[50:51], -v[46:47]
	v_mul_f64_e32 v[38:39], v[50:51], v[52:53]
	v_cndmask_b32_e32 v2, v2, v40, vcc_lo
	v_cndmask_b32_e32 v4, v25, v4, vcc_lo
	s_delay_alu instid0(VALU_DEP_4) | instskip(NEXT) | instid1(VALU_DEP_3)
	v_add_f64_e64 v[10:11], v[10:11], -v[12:13]
	v_bfi_b32 v5, 0x7fffffff, v2, v5
	v_fma_f64 v[12:13], v[52:53], v[50:51], -v[38:39]
	s_delay_alu instid0(VALU_DEP_2) | instskip(NEXT) | instid1(VALU_DEP_2)
	v_fma_f64 v[40:41], v[4:5], v[4:5], 1.0
	v_fmac_f64_e32 v[12:13], v[52:53], v[10:11]
	s_delay_alu instid0(VALU_DEP_2) | instskip(SKIP_1) | instid1(VALU_DEP_1)
	v_cmp_gt_f64_e32 vcc_lo, 0x10000000, v[40:41]
	v_cndmask_b32_e64 v2, 0, 0x100, vcc_lo
	v_ldexp_f64 v[10:11], v[40:41], v2
	s_delay_alu instid0(VALU_DEP_4) | instskip(NEXT) | instid1(VALU_DEP_2)
	v_add_f64_e32 v[40:41], v[38:39], v[12:13]
	v_rsq_f64_e32 v[42:43], v[10:11]
	s_delay_alu instid0(VALU_DEP_1) | instskip(SKIP_1) | instid1(VALU_DEP_2)
	v_add_f64_e64 v[44:45], -v[40:41], 1.0
	v_add_f64_e64 v[38:39], v[40:41], -v[38:39]
	v_add_f64_e64 v[48:49], -v[44:45], 1.0
	s_delay_alu instid0(VALU_DEP_2) | instskip(NEXT) | instid1(TRANS32_DEP_1)
	v_add_f64_e64 v[12:13], v[38:39], -v[12:13]
	v_mul_f64_e32 v[46:47], v[10:11], v[42:43]
	v_mul_f64_e32 v[42:43], 0.5, v[42:43]
	s_delay_alu instid0(VALU_DEP_4) | instskip(NEXT) | instid1(VALU_DEP_2)
	v_add_f64_e64 v[38:39], v[48:49], -v[40:41]
	v_fma_f64 v[54:55], -v[42:43], v[46:47], 0.5
	s_delay_alu instid0(VALU_DEP_2) | instskip(NEXT) | instid1(VALU_DEP_2)
	v_add_f64_e32 v[12:13], v[12:13], v[38:39]
	v_fmac_f64_e32 v[46:47], v[46:47], v[54:55]
	v_fmac_f64_e32 v[42:43], v[42:43], v[54:55]
	s_delay_alu instid0(VALU_DEP_3) | instskip(NEXT) | instid1(VALU_DEP_3)
	v_add_f64_e32 v[12:13], v[44:45], v[12:13]
	v_fma_f64 v[38:39], -v[46:47], v[46:47], v[10:11]
	s_delay_alu instid0(VALU_DEP_2) | instskip(NEXT) | instid1(VALU_DEP_2)
	v_mul_f64_e32 v[12:13], v[52:53], v[12:13]
	v_fmac_f64_e32 v[46:47], v[38:39], v[42:43]
	s_delay_alu instid0(VALU_DEP_2) | instskip(NEXT) | instid1(VALU_DEP_2)
	v_add_f64_e32 v[12:13], v[52:53], v[12:13]
	v_fma_f64 v[38:39], -v[46:47], v[46:47], v[10:11]
	s_delay_alu instid0(VALU_DEP_2) | instskip(NEXT) | instid1(VALU_DEP_3)
	v_xor_b32_e32 v13, 0x80000000, v13
	v_cndmask_b32_e64 v2, v12, v50, s2
	v_cndmask_b32_e64 v12, 0, 0xffffff80, vcc_lo
	v_cmp_class_f64_e64 vcc_lo, v[10:11], 0x260
	s_delay_alu instid0(VALU_DEP_4) | instskip(SKIP_1) | instid1(VALU_DEP_2)
	v_cndmask_b32_e64 v1, v13, v51, s2
	v_fmac_f64_e32 v[46:47], v[38:39], v[42:43]
	v_bitop3_b32 v3, v1, v3, 0x80000000 bitop3:0x78
	s_delay_alu instid0(VALU_DEP_1) | instskip(NEXT) | instid1(VALU_DEP_3)
	v_fma_f64 v[38:39], v[2:3], v[2:3], 1.0
	v_ldexp_f64 v[12:13], v[46:47], v12
	s_delay_alu instid0(VALU_DEP_1) | instskip(NEXT) | instid1(VALU_DEP_3)
	v_dual_cndmask_b32 v11, v13, v11 :: v_dual_cndmask_b32 v10, v12, v10
	v_mul_f64_e32 v[12:13], v[4:5], v[38:39]
	s_delay_alu instid0(VALU_DEP_2) | instskip(NEXT) | instid1(VALU_DEP_2)
	v_mul_f64_e32 v[10:11], v[10:11], v[38:39]
	v_fma_f64 v[38:39], v[4:5], v[12:13], 1.0
	s_delay_alu instid0(VALU_DEP_2) | instskip(NEXT) | instid1(VALU_DEP_2)
	v_mul_f64_e32 v[4:5], v[4:5], v[10:11]
	v_div_scale_f64 v[12:13], null, v[38:39], v[38:39], v[2:3]
	s_delay_alu instid0(VALU_DEP_2) | instskip(SKIP_1) | instid1(VALU_DEP_3)
	v_div_scale_f64 v[10:11], null, v[38:39], v[38:39], v[4:5]
	v_div_scale_f64 v[48:49], vcc_lo, v[4:5], v[38:39], v[4:5]
	v_rcp_f64_e32 v[42:43], v[12:13]
	s_delay_alu instid0(VALU_DEP_2) | instskip(NEXT) | instid1(TRANS32_DEP_2)
	v_rcp_f64_e32 v[40:41], v[10:11]
	v_fma_f64 v[46:47], -v[12:13], v[42:43], 1.0
	s_delay_alu instid0(TRANS32_DEP_1) | instskip(NEXT) | instid1(VALU_DEP_2)
	v_fma_f64 v[44:45], -v[10:11], v[40:41], 1.0
	v_fmac_f64_e32 v[42:43], v[42:43], v[46:47]
	s_delay_alu instid0(VALU_DEP_2) | instskip(NEXT) | instid1(VALU_DEP_2)
	v_fmac_f64_e32 v[40:41], v[40:41], v[44:45]
	v_fma_f64 v[46:47], -v[12:13], v[42:43], 1.0
	s_delay_alu instid0(VALU_DEP_2) | instskip(NEXT) | instid1(VALU_DEP_2)
	v_fma_f64 v[44:45], -v[10:11], v[40:41], 1.0
	v_fmac_f64_e32 v[42:43], v[42:43], v[46:47]
	s_delay_alu instid0(VALU_DEP_2) | instskip(SKIP_1) | instid1(VALU_DEP_2)
	v_fmac_f64_e32 v[40:41], v[40:41], v[44:45]
	v_div_scale_f64 v[44:45], s2, v[2:3], v[38:39], v[2:3]
	v_mul_f64_e32 v[46:47], v[48:49], v[40:41]
	s_delay_alu instid0(VALU_DEP_2) | instskip(NEXT) | instid1(VALU_DEP_2)
	v_mul_f64_e32 v[50:51], v[44:45], v[42:43]
	v_fma_f64 v[10:11], -v[10:11], v[46:47], v[48:49]
	s_delay_alu instid0(VALU_DEP_2) | instskip(NEXT) | instid1(VALU_DEP_2)
	v_fma_f64 v[12:13], -v[12:13], v[50:51], v[44:45]
	v_div_fmas_f64 v[10:11], v[10:11], v[40:41], v[46:47]
	s_mov_b32 vcc_lo, s2
	s_delay_alu instid0(VALU_DEP_2) | instskip(NEXT) | instid1(VALU_DEP_2)
	v_div_fmas_f64 v[40:41], v[12:13], v[42:43], v[50:51]
	v_div_fixup_f64 v[12:13], v[10:11], v[38:39], v[4:5]
	s_delay_alu instid0(VALU_DEP_2)
	v_div_fixup_f64 v[10:11], v[40:41], v[38:39], v[2:3]
                                        ; implicit-def: $vgpr2_vgpr3
.LBB93_129:                             ;   in Loop: Header=BB93_7 Depth=1
	s_and_not1_saveexec_b32 s2, s35
	s_cbranch_execz .LBB93_139
; %bb.130:                              ;   in Loop: Header=BB93_7 Depth=1
	v_cmp_ngt_f64_e64 s35, 0x41d00000, |v[2:3]|
                                        ; implicit-def: $vgpr1
                                        ; implicit-def: $vgpr10_vgpr11
                                        ; implicit-def: $vgpr12_vgpr13
	s_and_saveexec_b32 s36, s35
	s_delay_alu instid0(SALU_CYCLE_1)
	s_xor_b32 s36, exec_lo, s36
	s_cbranch_execz .LBB93_132
; %bb.131:                              ;   in Loop: Header=BB93_7 Depth=1
	v_ldexp_f64 v[10:11], |v[2:3]|, 0xffffff80
	v_cmp_le_f64_e64 vcc_lo, 0x7b000000, |v[2:3]|
	v_trig_preop_f64 v[12:13], |v[2:3]|, 0
	v_and_b32_e32 v1, 0x7fffffff, v3
	v_trig_preop_f64 v[38:39], |v[2:3]|, 1
	v_trig_preop_f64 v[48:49], |v[2:3]|, 2
	s_delay_alu instid0(VALU_DEP_3) | instskip(NEXT) | instid1(VALU_DEP_1)
	v_dual_cndmask_b32 v11, v1, v11 :: v_dual_cndmask_b32 v10, v2, v10
	v_mul_f64_e32 v[40:41], v[12:13], v[10:11]
	s_delay_alu instid0(VALU_DEP_4) | instskip(NEXT) | instid1(VALU_DEP_4)
	v_mul_f64_e32 v[42:43], v[38:39], v[10:11]
	v_mul_f64_e32 v[54:55], v[48:49], v[10:11]
	s_delay_alu instid0(VALU_DEP_3) | instskip(NEXT) | instid1(VALU_DEP_3)
	v_fma_f64 v[12:13], v[12:13], v[10:11], -v[40:41]
	v_fma_f64 v[38:39], v[38:39], v[10:11], -v[42:43]
	s_delay_alu instid0(VALU_DEP_3) | instskip(NEXT) | instid1(VALU_DEP_3)
	v_fma_f64 v[10:11], v[48:49], v[10:11], -v[54:55]
	v_add_f64_e32 v[44:45], v[42:43], v[12:13]
	s_delay_alu instid0(VALU_DEP_1) | instskip(SKIP_1) | instid1(VALU_DEP_2)
	v_add_f64_e64 v[46:47], v[44:45], -v[42:43]
	v_add_f64_e32 v[52:53], v[40:41], v[44:45]
	v_add_f64_e64 v[50:51], v[44:45], -v[46:47]
	v_add_f64_e64 v[12:13], v[12:13], -v[46:47]
	s_delay_alu instid0(VALU_DEP_3) | instskip(NEXT) | instid1(VALU_DEP_3)
	v_ldexp_f64 v[46:47], v[52:53], -2
	v_add_f64_e64 v[42:43], v[42:43], -v[50:51]
	v_add_f64_e32 v[50:51], v[54:55], v[38:39]
	s_delay_alu instid0(VALU_DEP_3) | instskip(NEXT) | instid1(VALU_DEP_3)
	v_cmp_neq_f64_e64 vcc_lo, 0x7ff00000, |v[46:47]|
	v_add_f64_e32 v[12:13], v[12:13], v[42:43]
	v_fract_f64_e32 v[42:43], v[46:47]
	s_delay_alu instid0(VALU_DEP_1) | instskip(NEXT) | instid1(VALU_DEP_1)
	v_ldexp_f64 v[42:43], v[42:43], 2
	v_dual_add_f64 v[40:41], v[52:53], -v[40:41] :: v_dual_cndmask_b32 v42, 0, v42, vcc_lo
	s_delay_alu instid0(VALU_DEP_1) | instskip(SKIP_1) | instid1(VALU_DEP_1)
	v_dual_add_f64 v[40:41], v[44:45], -v[40:41] :: v_dual_cndmask_b32 v43, 0, v43, vcc_lo
	v_add_f64_e32 v[44:45], v[50:51], v[12:13]
	v_add_f64_e32 v[46:47], v[40:41], v[44:45]
	v_add_f64_e64 v[56:57], v[44:45], -v[50:51]
	s_delay_alu instid0(VALU_DEP_2) | instskip(NEXT) | instid1(VALU_DEP_2)
	v_add_f64_e32 v[52:53], v[46:47], v[42:43]
	v_add_f64_e64 v[62:63], v[44:45], -v[56:57]
	v_add_f64_e64 v[12:13], v[12:13], -v[56:57]
	;; [unrolled: 1-line block ×3, first 2 shown]
	s_delay_alu instid0(VALU_DEP_4) | instskip(SKIP_1) | instid1(VALU_DEP_3)
	v_cmp_gt_f64_e32 vcc_lo, 0, v[52:53]
	v_add_f64_e64 v[52:53], v[50:51], -v[54:55]
	v_add_f64_e64 v[40:41], v[44:45], -v[40:41]
	v_cndmask_b32_e64 v25, 0, 0x40100000, vcc_lo
	s_delay_alu instid0(VALU_DEP_3) | instskip(SKIP_2) | instid1(VALU_DEP_4)
	v_add_f64_e64 v[60:61], v[50:51], -v[52:53]
	v_add_f64_e64 v[38:39], v[38:39], -v[52:53]
	;; [unrolled: 1-line block ×3, first 2 shown]
	v_add_f64_e32 v[42:43], v[42:43], v[24:25]
	s_delay_alu instid0(VALU_DEP_4) | instskip(NEXT) | instid1(VALU_DEP_3)
	v_add_f64_e64 v[52:53], v[54:55], -v[60:61]
	v_add_f64_e32 v[12:13], v[12:13], v[50:51]
	s_delay_alu instid0(VALU_DEP_3) | instskip(NEXT) | instid1(VALU_DEP_3)
	v_add_f64_e32 v[58:59], v[46:47], v[42:43]
	v_add_f64_e32 v[38:39], v[38:39], v[52:53]
	s_delay_alu instid0(VALU_DEP_2) | instskip(NEXT) | instid1(VALU_DEP_2)
	v_cvt_i32_f64_e32 v1, v[58:59]
	v_add_f64_e32 v[12:13], v[38:39], v[12:13]
	s_delay_alu instid0(VALU_DEP_2) | instskip(NEXT) | instid1(VALU_DEP_2)
	v_cvt_f64_i32_e32 v[56:57], v1
	v_add_f64_e32 v[10:11], v[10:11], v[12:13]
	s_delay_alu instid0(VALU_DEP_2) | instskip(NEXT) | instid1(VALU_DEP_2)
	v_add_f64_e64 v[42:43], v[42:43], -v[56:57]
	v_add_f64_e32 v[10:11], v[40:41], v[10:11]
	s_delay_alu instid0(VALU_DEP_2) | instskip(NEXT) | instid1(VALU_DEP_1)
	v_add_f64_e32 v[38:39], v[46:47], v[42:43]
	v_add_f64_e64 v[12:13], v[38:39], -v[42:43]
	v_cmp_le_f64_e32 vcc_lo, 0.5, v[38:39]
	s_delay_alu instid0(VALU_DEP_2) | instskip(SKIP_2) | instid1(VALU_DEP_3)
	v_add_f64_e64 v[12:13], v[46:47], -v[12:13]
	v_cndmask_b32_e64 v25, 0, 0x3ff00000, vcc_lo
	v_add_co_ci_u32_e64 v1, null, 0, v1, vcc_lo
	v_add_f64_e32 v[10:11], v[10:11], v[12:13]
	s_delay_alu instid0(VALU_DEP_3) | instskip(NEXT) | instid1(VALU_DEP_1)
	v_add_f64_e64 v[12:13], v[38:39], -v[24:25]
	v_add_f64_e32 v[38:39], v[12:13], v[10:11]
	s_delay_alu instid0(VALU_DEP_1) | instskip(SKIP_1) | instid1(VALU_DEP_2)
	v_mul_f64_e32 v[40:41], 0x3ff921fb54442d18, v[38:39]
	v_add_f64_e64 v[12:13], v[38:39], -v[12:13]
	v_fma_f64 v[42:43], v[38:39], s[12:13], -v[40:41]
	s_delay_alu instid0(VALU_DEP_2) | instskip(NEXT) | instid1(VALU_DEP_2)
	v_add_f64_e64 v[10:11], v[10:11], -v[12:13]
	v_fmac_f64_e32 v[42:43], 0x3c91a62633145c07, v[38:39]
	s_delay_alu instid0(VALU_DEP_1) | instskip(NEXT) | instid1(VALU_DEP_1)
	v_fmac_f64_e32 v[42:43], 0x3ff921fb54442d18, v[10:11]
	v_add_f64_e32 v[10:11], v[40:41], v[42:43]
	s_delay_alu instid0(VALU_DEP_1) | instskip(NEXT) | instid1(VALU_DEP_1)
	v_add_f64_e64 v[12:13], v[10:11], -v[40:41]
	v_add_f64_e64 v[12:13], v[42:43], -v[12:13]
	s_and_not1_saveexec_b32 s36, s36
	s_cbranch_execz .LBB93_134
	s_branch .LBB93_133
.LBB93_132:                             ;   in Loop: Header=BB93_7 Depth=1
	s_and_not1_saveexec_b32 s36, s36
	s_cbranch_execz .LBB93_134
.LBB93_133:                             ;   in Loop: Header=BB93_7 Depth=1
	v_mul_f64_e64 v[10:11], |v[2:3]|, s[14:15]
	s_delay_alu instid0(VALU_DEP_1) | instskip(NEXT) | instid1(VALU_DEP_1)
	v_rndne_f64_e32 v[38:39], v[10:11]
	v_fma_f64 v[10:11], v[38:39], s[16:17], |v[2:3]|
	v_mul_f64_e32 v[12:13], 0xbc91a62633145c00, v[38:39]
	v_cvt_i32_f64_e32 v1, v[38:39]
	s_delay_alu instid0(VALU_DEP_3) | instskip(NEXT) | instid1(VALU_DEP_3)
	v_fmamk_f64 v[44:45], v[38:39], 0xbc91a62633145c00, v[10:11]
	v_add_f64_e32 v[40:41], v[10:11], v[12:13]
	s_delay_alu instid0(VALU_DEP_1) | instskip(NEXT) | instid1(VALU_DEP_3)
	v_add_f64_e64 v[42:43], v[10:11], -v[40:41]
	v_add_f64_e64 v[10:11], v[40:41], -v[44:45]
	s_delay_alu instid0(VALU_DEP_2) | instskip(SKIP_1) | instid1(VALU_DEP_2)
	v_add_f64_e32 v[40:41], v[42:43], v[12:13]
	v_fmamk_f64 v[12:13], v[38:39], 0x3c91a62633145c00, v[12:13]
	v_add_f64_e32 v[10:11], v[10:11], v[40:41]
	s_delay_alu instid0(VALU_DEP_1) | instskip(NEXT) | instid1(VALU_DEP_1)
	v_add_f64_e64 v[12:13], v[10:11], -v[12:13]
	v_fmac_f64_e32 v[12:13], 0xb97b839a252049c0, v[38:39]
	s_delay_alu instid0(VALU_DEP_1) | instskip(NEXT) | instid1(VALU_DEP_1)
	v_add_f64_e32 v[10:11], v[44:45], v[12:13]
	v_add_f64_e64 v[40:41], v[10:11], -v[44:45]
	s_delay_alu instid0(VALU_DEP_1)
	v_add_f64_e64 v[12:13], v[12:13], -v[40:41]
.LBB93_134:                             ;   in Loop: Header=BB93_7 Depth=1
	s_or_b32 exec_lo, exec_lo, s36
                                        ; implicit-def: $vgpr42
                                        ; implicit-def: $vgpr38_vgpr39
                                        ; implicit-def: $vgpr40_vgpr41
	s_and_saveexec_b32 s36, s35
	s_delay_alu instid0(SALU_CYCLE_1)
	s_xor_b32 s35, exec_lo, s36
	s_cbranch_execz .LBB93_136
; %bb.135:                              ;   in Loop: Header=BB93_7 Depth=1
	v_ldexp_f64 v[38:39], |v[2:3]|, 0xffffff80
	v_cmp_le_f64_e64 vcc_lo, 0x7b000000, |v[2:3]|
	v_trig_preop_f64 v[40:41], |v[2:3]|, 0
	v_and_b32_e32 v25, 0x7fffffff, v3
	v_trig_preop_f64 v[42:43], |v[2:3]|, 1
	v_trig_preop_f64 v[52:53], |v[2:3]|, 2
	s_delay_alu instid0(VALU_DEP_3) | instskip(NEXT) | instid1(VALU_DEP_1)
	v_dual_cndmask_b32 v39, v25, v39 :: v_dual_cndmask_b32 v38, v2, v38
	v_mul_f64_e32 v[44:45], v[40:41], v[38:39]
	s_delay_alu instid0(VALU_DEP_4) | instskip(NEXT) | instid1(VALU_DEP_4)
	v_mul_f64_e32 v[46:47], v[42:43], v[38:39]
	v_mul_f64_e32 v[58:59], v[52:53], v[38:39]
	s_delay_alu instid0(VALU_DEP_3) | instskip(NEXT) | instid1(VALU_DEP_3)
	v_fma_f64 v[40:41], v[40:41], v[38:39], -v[44:45]
	v_fma_f64 v[42:43], v[42:43], v[38:39], -v[46:47]
	s_delay_alu instid0(VALU_DEP_3) | instskip(NEXT) | instid1(VALU_DEP_3)
	v_fma_f64 v[38:39], v[52:53], v[38:39], -v[58:59]
	v_add_f64_e32 v[48:49], v[46:47], v[40:41]
	s_delay_alu instid0(VALU_DEP_1) | instskip(SKIP_1) | instid1(VALU_DEP_2)
	v_add_f64_e64 v[50:51], v[48:49], -v[46:47]
	v_add_f64_e32 v[56:57], v[44:45], v[48:49]
	v_add_f64_e64 v[54:55], v[48:49], -v[50:51]
	v_add_f64_e64 v[40:41], v[40:41], -v[50:51]
	s_delay_alu instid0(VALU_DEP_3) | instskip(NEXT) | instid1(VALU_DEP_3)
	v_ldexp_f64 v[50:51], v[56:57], -2
	v_add_f64_e64 v[46:47], v[46:47], -v[54:55]
	v_add_f64_e32 v[54:55], v[58:59], v[42:43]
	s_delay_alu instid0(VALU_DEP_3) | instskip(NEXT) | instid1(VALU_DEP_3)
	v_cmp_neq_f64_e64 vcc_lo, 0x7ff00000, |v[50:51]|
	v_add_f64_e32 v[40:41], v[40:41], v[46:47]
	v_fract_f64_e32 v[46:47], v[50:51]
	s_delay_alu instid0(VALU_DEP_1) | instskip(NEXT) | instid1(VALU_DEP_1)
	v_ldexp_f64 v[46:47], v[46:47], 2
	v_dual_add_f64 v[44:45], v[56:57], -v[44:45] :: v_dual_cndmask_b32 v46, 0, v46, vcc_lo
	s_delay_alu instid0(VALU_DEP_1) | instskip(SKIP_1) | instid1(VALU_DEP_1)
	v_dual_add_f64 v[44:45], v[48:49], -v[44:45] :: v_dual_cndmask_b32 v47, 0, v47, vcc_lo
	v_add_f64_e32 v[48:49], v[54:55], v[40:41]
	v_add_f64_e32 v[50:51], v[44:45], v[48:49]
	v_add_f64_e64 v[60:61], v[48:49], -v[54:55]
	s_delay_alu instid0(VALU_DEP_2) | instskip(NEXT) | instid1(VALU_DEP_2)
	v_add_f64_e32 v[56:57], v[50:51], v[46:47]
	v_add_f64_e64 v[66:67], v[48:49], -v[60:61]
	v_add_f64_e64 v[40:41], v[40:41], -v[60:61]
	;; [unrolled: 1-line block ×3, first 2 shown]
	s_delay_alu instid0(VALU_DEP_4) | instskip(SKIP_2) | instid1(VALU_DEP_2)
	v_cmp_gt_f64_e32 vcc_lo, 0, v[56:57]
	v_add_f64_e64 v[56:57], v[54:55], -v[58:59]
	v_cndmask_b32_e64 v25, 0, 0x40100000, vcc_lo
	v_add_f64_e64 v[64:65], v[54:55], -v[56:57]
	v_add_f64_e64 v[42:43], v[42:43], -v[56:57]
	;; [unrolled: 1-line block ×3, first 2 shown]
	s_delay_alu instid0(VALU_DEP_4) | instskip(NEXT) | instid1(VALU_DEP_4)
	v_add_f64_e32 v[46:47], v[46:47], v[24:25]
	v_add_f64_e64 v[56:57], v[58:59], -v[64:65]
	s_delay_alu instid0(VALU_DEP_3) | instskip(NEXT) | instid1(VALU_DEP_3)
	v_add_f64_e32 v[40:41], v[40:41], v[54:55]
	v_add_f64_e32 v[62:63], v[50:51], v[46:47]
	s_delay_alu instid0(VALU_DEP_3) | instskip(NEXT) | instid1(VALU_DEP_2)
	v_add_f64_e32 v[42:43], v[42:43], v[56:57]
	v_cvt_i32_f64_e32 v25, v[62:63]
	s_delay_alu instid0(VALU_DEP_2) | instskip(SKIP_1) | instid1(VALU_DEP_3)
	v_add_f64_e32 v[40:41], v[42:43], v[40:41]
	v_add_f64_e64 v[42:43], v[48:49], -v[44:45]
	v_cvt_f64_i32_e32 v[60:61], v25
	s_delay_alu instid0(VALU_DEP_3) | instskip(NEXT) | instid1(VALU_DEP_2)
	v_add_f64_e32 v[38:39], v[38:39], v[40:41]
	v_add_f64_e64 v[46:47], v[46:47], -v[60:61]
	s_delay_alu instid0(VALU_DEP_2) | instskip(NEXT) | instid1(VALU_DEP_2)
	v_add_f64_e32 v[38:39], v[42:43], v[38:39]
	v_add_f64_e32 v[52:53], v[50:51], v[46:47]
	s_delay_alu instid0(VALU_DEP_1) | instskip(SKIP_1) | instid1(VALU_DEP_2)
	v_add_f64_e64 v[40:41], v[52:53], -v[46:47]
	v_cmp_le_f64_e32 vcc_lo, 0.5, v[52:53]
	v_add_f64_e64 v[40:41], v[50:51], -v[40:41]
	v_add_co_ci_u32_e64 v42, null, 0, v25, vcc_lo
	v_cndmask_b32_e64 v25, 0, 0x3ff00000, vcc_lo
	s_delay_alu instid0(VALU_DEP_3) | instskip(NEXT) | instid1(VALU_DEP_2)
	v_add_f64_e32 v[38:39], v[38:39], v[40:41]
	v_add_f64_e64 v[40:41], v[52:53], -v[24:25]
	s_delay_alu instid0(VALU_DEP_1) | instskip(NEXT) | instid1(VALU_DEP_1)
	v_add_f64_e32 v[44:45], v[40:41], v[38:39]
	v_mul_f64_e32 v[46:47], 0x3ff921fb54442d18, v[44:45]
	v_add_f64_e64 v[40:41], v[44:45], -v[40:41]
	s_delay_alu instid0(VALU_DEP_2) | instskip(NEXT) | instid1(VALU_DEP_2)
	v_fma_f64 v[48:49], v[44:45], s[12:13], -v[46:47]
	v_add_f64_e64 v[38:39], v[38:39], -v[40:41]
	s_delay_alu instid0(VALU_DEP_2) | instskip(NEXT) | instid1(VALU_DEP_1)
	v_fmac_f64_e32 v[48:49], 0x3c91a62633145c07, v[44:45]
	v_fmac_f64_e32 v[48:49], 0x3ff921fb54442d18, v[38:39]
	s_delay_alu instid0(VALU_DEP_1) | instskip(NEXT) | instid1(VALU_DEP_1)
	v_add_f64_e32 v[38:39], v[46:47], v[48:49]
	v_add_f64_e64 v[40:41], v[38:39], -v[46:47]
	s_delay_alu instid0(VALU_DEP_1)
	v_add_f64_e64 v[40:41], v[48:49], -v[40:41]
	s_and_not1_saveexec_b32 s35, s35
	s_cbranch_execnz .LBB93_137
	s_branch .LBB93_138
.LBB93_136:                             ;   in Loop: Header=BB93_7 Depth=1
	s_and_not1_saveexec_b32 s35, s35
	s_cbranch_execz .LBB93_138
.LBB93_137:                             ;   in Loop: Header=BB93_7 Depth=1
	v_mul_f64_e64 v[38:39], |v[2:3]|, s[14:15]
	s_delay_alu instid0(VALU_DEP_1) | instskip(NEXT) | instid1(VALU_DEP_1)
	v_rndne_f64_e32 v[42:43], v[38:39]
	v_fma_f64 v[38:39], v[42:43], s[16:17], |v[2:3]|
	v_mul_f64_e32 v[40:41], 0xbc91a62633145c00, v[42:43]
	s_delay_alu instid0(VALU_DEP_2) | instskip(NEXT) | instid1(VALU_DEP_2)
	v_fmamk_f64 v[48:49], v[42:43], 0xbc91a62633145c00, v[38:39]
	v_add_f64_e32 v[44:45], v[38:39], v[40:41]
	s_delay_alu instid0(VALU_DEP_1) | instskip(NEXT) | instid1(VALU_DEP_3)
	v_add_f64_e64 v[46:47], v[38:39], -v[44:45]
	v_add_f64_e64 v[38:39], v[44:45], -v[48:49]
	s_delay_alu instid0(VALU_DEP_2) | instskip(SKIP_1) | instid1(VALU_DEP_2)
	v_add_f64_e32 v[44:45], v[46:47], v[40:41]
	v_fmamk_f64 v[40:41], v[42:43], 0x3c91a62633145c00, v[40:41]
	v_add_f64_e32 v[38:39], v[38:39], v[44:45]
	s_delay_alu instid0(VALU_DEP_1) | instskip(NEXT) | instid1(VALU_DEP_1)
	v_add_f64_e64 v[40:41], v[38:39], -v[40:41]
	v_fmac_f64_e32 v[40:41], 0xb97b839a252049c0, v[42:43]
	v_cvt_i32_f64_e32 v42, v[42:43]
	s_delay_alu instid0(VALU_DEP_2) | instskip(NEXT) | instid1(VALU_DEP_1)
	v_add_f64_e32 v[38:39], v[48:49], v[40:41]
	v_add_f64_e64 v[44:45], v[38:39], -v[48:49]
	s_delay_alu instid0(VALU_DEP_1)
	v_add_f64_e64 v[40:41], v[40:41], -v[44:45]
.LBB93_138:                             ;   in Loop: Header=BB93_7 Depth=1
	s_or_b32 exec_lo, exec_lo, s35
	v_dual_mul_f64 v[44:45], v[10:11], v[10:11] :: v_dual_bitop2_b32 v2, 1, v1 bitop3:0x40
	v_dual_mul_f64 v[46:47], v[38:39], v[38:39] :: v_dual_lshlrev_b32 v1, 30, v1
	s_delay_alu instid0(VALU_DEP_3) | instskip(SKIP_1) | instid1(VALU_DEP_4)
	v_mul_f64_e32 v[68:69], 0.5, v[40:41]
	v_mul_f64_e64 v[50:51], |v[4:5]|, s[24:25]
	v_cmp_eq_u32_e32 vcc_lo, 0, v2
	s_delay_alu instid0(VALU_DEP_4)
	v_dual_mul_f64 v[56:57], 0.5, v[12:13] :: v_dual_bitop2_b32 v1, v1, v3 bitop3:0x14
	v_mul_f64_e64 v[58:59], v[10:11], -v[44:45]
	v_mul_f64_e32 v[48:49], 0.5, v[44:45]
	v_fmamk_f64 v[64:65], v[44:45], 0x3de5e0b2f9a43bb8, v[34:35]
	v_mul_f64_e64 v[70:71], v[38:39], -v[46:47]
	v_fmamk_f64 v[72:73], v[46:47], 0x3de5e0b2f9a43bb8, v[34:35]
	v_rndne_f64_e32 v[50:51], v[50:51]
	s_delay_alu instid0(VALU_DEP_4) | instskip(NEXT) | instid1(VALU_DEP_1)
	v_fmaak_f64 v[64:65], v[44:45], v[64:65], 0x3ec71de3796cde01
	v_fmaak_f64 v[64:65], v[44:45], v[64:65], 0xbf2a01a019e83e5c
	s_delay_alu instid0(VALU_DEP_1) | instskip(NEXT) | instid1(VALU_DEP_1)
	v_fmaak_f64 v[64:65], v[44:45], v[64:65], 0x3f81111111110bb3
	v_fmac_f64_e32 v[56:57], v[58:59], v[64:65]
	v_add_f64_e64 v[54:55], -v[48:49], 1.0
	v_fma_f64 v[66:67], v[50:51], s[18:19], -|v[4:5]|
	s_delay_alu instid0(VALU_DEP_3) | instskip(NEXT) | instid1(VALU_DEP_3)
	v_fma_f64 v[56:57], v[44:45], v[56:57], -v[12:13]
	v_add_f64_e64 v[62:63], -v[54:55], 1.0
	s_delay_alu instid0(VALU_DEP_3) | instskip(NEXT) | instid1(VALU_DEP_3)
	v_fmac_f64_e32 v[66:67], 0xbc7abc9e3b39803f, v[50:51]
	v_fmac_f64_e32 v[56:57], 0xbfc5555555555555, v[58:59]
	s_delay_alu instid0(VALU_DEP_3) | instskip(SKIP_2) | instid1(VALU_DEP_2)
	v_add_f64_e64 v[48:49], v[62:63], -v[48:49]
	v_fmaak_f64 v[62:63], v[46:47], v[72:73], 0x3ec71de3796cde01
	v_fmamk_f64 v[72:73], v[44:45], 0xbda907db46cc5e42, v[32:33]
	v_fmaak_f64 v[62:63], v[46:47], v[62:63], 0xbf2a01a019e83e5c
	s_delay_alu instid0(VALU_DEP_1) | instskip(NEXT) | instid1(VALU_DEP_1)
	v_fmaak_f64 v[62:63], v[46:47], v[62:63], 0x3f81111111110bb3
	v_fmac_f64_e32 v[68:69], v[70:71], v[62:63]
	v_mul_f64_e32 v[62:63], v[44:45], v[44:45]
	v_fma_f64 v[12:13], v[10:11], -v[12:13], v[48:49]
	v_fmaak_f64 v[48:49], v[44:45], v[72:73], 0xbe927e4fa17f65f6
	v_add_f64_e64 v[10:11], v[10:11], -v[56:57]
	v_mul_f64_e32 v[72:73], v[46:47], v[46:47]
	s_delay_alu instid0(VALU_DEP_3) | instskip(NEXT) | instid1(VALU_DEP_1)
	v_fmaak_f64 v[48:49], v[44:45], v[48:49], 0x3efa01a019f4ec90
	v_fmaak_f64 v[48:49], v[44:45], v[48:49], 0xbf56c16c16c16967
	s_delay_alu instid0(VALU_DEP_1) | instskip(NEXT) | instid1(VALU_DEP_1)
	v_fmaak_f64 v[44:45], v[44:45], v[48:49], 0x3fa5555555555555
	v_fmac_f64_e32 v[12:13], v[62:63], v[44:45]
	s_delay_alu instid0(VALU_DEP_1) | instskip(NEXT) | instid1(VALU_DEP_1)
	v_add_f64_e32 v[12:13], v[54:55], v[12:13]
	v_dual_cndmask_b32 v2, v12, v10, vcc_lo :: v_dual_cndmask_b32 v12, v13, v11, vcc_lo
	v_cvt_i32_f64_e32 v13, v[50:51]
	s_delay_alu instid0(VALU_DEP_2) | instskip(SKIP_1) | instid1(VALU_DEP_2)
	v_bitop3_b32 v3, v12, v1, 0x80000000 bitop3:0x78
	v_and_b32_e32 v1, 1, v42
	v_mul_f64_e32 v[2:3], 4.0, v[2:3]
	s_delay_alu instid0(VALU_DEP_2) | instskip(SKIP_1) | instid1(VALU_DEP_1)
	v_cmp_eq_u32_e32 vcc_lo, 0, v1
	v_mul_f64_e32 v[52:53], 0.5, v[46:47]
	v_add_f64_e64 v[60:61], -v[52:53], 1.0
	s_delay_alu instid0(VALU_DEP_1) | instskip(NEXT) | instid1(VALU_DEP_1)
	v_add_f64_e64 v[64:65], -v[60:61], 1.0
	v_add_f64_e64 v[52:53], v[64:65], -v[52:53]
	v_fmamk_f64 v[64:65], v[66:67], 0x3e5ade156a5dcb37, v[30:31]
	s_delay_alu instid0(VALU_DEP_1) | instskip(NEXT) | instid1(VALU_DEP_1)
	v_fmaak_f64 v[64:65], v[66:67], v[64:65], 0x3ec71dee623fde64
	v_fmaak_f64 v[64:65], v[66:67], v[64:65], 0x3efa01997c89e6b0
	s_delay_alu instid0(VALU_DEP_1) | instskip(SKIP_2) | instid1(VALU_DEP_3)
	v_fmaak_f64 v[48:49], v[66:67], v[64:65], 0x3f2a01a014761f6e
	v_fma_f64 v[64:65], v[46:47], v[68:69], -v[40:41]
	v_fmamk_f64 v[68:69], v[46:47], 0xbda907db46cc5e42, v[32:33]
	v_fmaak_f64 v[44:45], v[66:67], v[48:49], 0x3f56c16c1852b7b0
	s_delay_alu instid0(VALU_DEP_2) | instskip(SKIP_1) | instid1(VALU_DEP_3)
	v_fmaak_f64 v[48:49], v[46:47], v[68:69], 0xbe927e4fa17f65f6
	v_fma_f64 v[40:41], v[38:39], -v[40:41], v[52:53]
	v_fmaak_f64 v[44:45], v[66:67], v[44:45], 0x3f81111111122322
	s_delay_alu instid0(VALU_DEP_3) | instskip(NEXT) | instid1(VALU_DEP_2)
	v_fmaak_f64 v[48:49], v[46:47], v[48:49], 0x3efa01a019f4ec90
	v_fmaak_f64 v[44:45], v[66:67], v[44:45], 0x3fa55555555502a1
	s_delay_alu instid0(VALU_DEP_2) | instskip(NEXT) | instid1(VALU_DEP_2)
	v_fmaak_f64 v[48:49], v[46:47], v[48:49], 0xbf56c16c16c16967
	v_fmaak_f64 v[44:45], v[66:67], v[44:45], 0x3fc5555555555511
	s_delay_alu instid0(VALU_DEP_2) | instskip(SKIP_1) | instid1(VALU_DEP_3)
	v_fmaak_f64 v[46:47], v[46:47], v[48:49], 0x3fa5555555555555
	v_fmac_f64_e32 v[64:65], 0xbfc5555555555555, v[70:71]
	v_fmaak_f64 v[44:45], v[66:67], v[44:45], 0x3fe000000000000b
	s_delay_alu instid0(VALU_DEP_1) | instskip(NEXT) | instid1(VALU_DEP_4)
	v_fma_f64 v[44:45], v[66:67], v[44:45], 1.0
	v_fmac_f64_e32 v[40:41], v[72:73], v[46:47]
	s_delay_alu instid0(VALU_DEP_4) | instskip(NEXT) | instid1(VALU_DEP_3)
	v_add_f64_e64 v[38:39], v[38:39], -v[64:65]
	v_fma_f64 v[10:11], v[66:67], v[44:45], 1.0
	s_delay_alu instid0(VALU_DEP_3) | instskip(NEXT) | instid1(VALU_DEP_3)
	v_add_f64_e32 v[40:41], v[60:61], v[40:41]
	v_xor_b32_e32 v25, 0x80000000, v39
	s_delay_alu instid0(VALU_DEP_3) | instskip(NEXT) | instid1(VALU_DEP_2)
	v_ldexp_f64 v[10:11], v[10:11], v13
	v_dual_cndmask_b32 v1, v25, v41, vcc_lo :: v_dual_lshlrev_b32 v25, 30, v42
	s_delay_alu instid0(VALU_DEP_4) | instskip(SKIP_1) | instid1(VALU_DEP_3)
	v_cndmask_b32_e32 v12, v38, v40, vcc_lo
	v_cmp_nlt_f64_e64 vcc_lo, 0x4090cc00, |v[4:5]|
	v_bitop3_b32 v13, v1, v25, 0x80000000 bitop3:0x78
	v_xor_b32_e32 v1, 0x80000000, v5
	s_delay_alu instid0(VALU_DEP_2) | instskip(NEXT) | instid1(VALU_DEP_2)
	v_mul_f64_e32 v[2:3], v[2:3], v[12:13]
	v_bfi_b32 v25, 0x7fffffff, s31, v1
	s_delay_alu instid0(VALU_DEP_1) | instskip(SKIP_1) | instid1(VALU_DEP_1)
	v_mov_b64_e32 v[12:13], v[24:25]
	v_dual_cndmask_b32 v11, 0, v11 :: v_dual_cndmask_b32 v10, 0, v10
	v_mul_f64_e32 v[2:3], v[10:11], v[2:3]
	s_delay_alu instid0(VALU_DEP_1)
	v_mul_f64_e32 v[10:11], v[10:11], v[2:3]
.LBB93_139:                             ;   in Loop: Header=BB93_7 Depth=1
	s_or_b32 exec_lo, exec_lo, s2
                                        ; implicit-def: $vgpr2_vgpr3
.LBB93_140:                             ;   in Loop: Header=BB93_7 Depth=1
	s_and_not1_saveexec_b32 s2, s34
	s_cbranch_execz .LBB93_142
; %bb.141:                              ;   in Loop: Header=BB93_7 Depth=1
	v_add_f64_e64 v[10:11], v[2:3], -v[2:3]
	s_delay_alu instid0(VALU_DEP_1)
	v_mov_b64_e32 v[12:13], v[10:11]
.LBB93_142:                             ;   in Loop: Header=BB93_7 Depth=1
	s_or_b32 exec_lo, exec_lo, s2
                                        ; implicit-def: $vgpr2_vgpr3
.LBB93_143:                             ;   in Loop: Header=BB93_7 Depth=1
	s_and_not1_saveexec_b32 s34, s3
	s_cbranch_execz .LBB93_6
; %bb.144:                              ;   in Loop: Header=BB93_7 Depth=1
	s_delay_alu instid0(VALU_DEP_1) | instskip(SKIP_1) | instid1(VALU_DEP_1)
	v_and_or_b32 v1, 0xfffff, v13, v12
	s_mov_b32 s2, exec_lo
	v_cmpx_ne_u32_e32 0, v1
	s_xor_b32 s2, exec_lo, s2
	s_cbranch_execz .LBB93_146
; %bb.145:                              ;   in Loop: Header=BB93_7 Depth=1
	v_mul_f64_e64 v[4:5], v[2:3], -v[4:5]
	v_cmp_eq_f64_e32 vcc_lo, 0, v[2:3]
	s_delay_alu instid0(VALU_DEP_2)
	v_dual_cndmask_b32 v11, v5, v3 :: v_dual_cndmask_b32 v10, v4, v2
                                        ; implicit-def: $vgpr2_vgpr3
.LBB93_146:                             ;   in Loop: Header=BB93_7 Depth=1
	s_and_not1_saveexec_b32 s35, s2
	s_cbranch_execz .LBB93_5
; %bb.147:                              ;   in Loop: Header=BB93_7 Depth=1
	s_mov_b32 s36, exec_lo
	v_cmpx_neq_f64_e64 0x7ff00000, |v[2:3]|
	s_cbranch_execz .LBB93_4
; %bb.148:                              ;   in Loop: Header=BB93_7 Depth=1
	v_cmp_ngt_f64_e64 s2, 0x41d00000, |v[2:3]|
	v_trig_preop_f64 v[42:43], |v[2:3]|, 0
	v_trig_preop_f64 v[40:41], |v[2:3]|, 1
	v_ldexp_f64 v[44:45], |v[2:3]|, 0xffffff80
	v_trig_preop_f64 v[38:39], |v[2:3]|, 2
	v_and_b32_e32 v52, 0x7fffffff, v3
                                        ; implicit-def: $vgpr1
                                        ; implicit-def: $vgpr4_vgpr5
                                        ; implicit-def: $vgpr10_vgpr11
	s_and_saveexec_b32 s3, s2
	s_delay_alu instid0(SALU_CYCLE_1)
	s_xor_b32 s3, exec_lo, s3
	s_cbranch_execz .LBB93_150
; %bb.149:                              ;   in Loop: Header=BB93_7 Depth=1
	v_cmp_le_f64_e64 vcc_lo, 0x7b000000, |v[2:3]|
	s_delay_alu instid0(VALU_DEP_4) | instskip(NEXT) | instid1(VALU_DEP_1)
	v_dual_cndmask_b32 v5, v52, v45 :: v_dual_cndmask_b32 v4, v2, v44
	v_mul_f64_e32 v[10:11], v[42:43], v[4:5]
	v_mul_f64_e32 v[46:47], v[40:41], v[4:5]
	;; [unrolled: 1-line block ×3, first 2 shown]
	s_delay_alu instid0(VALU_DEP_3) | instskip(NEXT) | instid1(VALU_DEP_3)
	v_fma_f64 v[48:49], v[42:43], v[4:5], -v[10:11]
	v_fma_f64 v[62:63], v[40:41], v[4:5], -v[46:47]
	s_delay_alu instid0(VALU_DEP_3) | instskip(NEXT) | instid1(VALU_DEP_3)
	v_fma_f64 v[4:5], v[38:39], v[4:5], -v[60:61]
	v_add_f64_e32 v[50:51], v[46:47], v[48:49]
	s_delay_alu instid0(VALU_DEP_1) | instskip(SKIP_1) | instid1(VALU_DEP_2)
	v_add_f64_e64 v[54:55], v[50:51], -v[46:47]
	v_add_f64_e32 v[58:59], v[10:11], v[50:51]
	v_add_f64_e64 v[56:57], v[50:51], -v[54:55]
	v_add_f64_e64 v[48:49], v[48:49], -v[54:55]
	s_delay_alu instid0(VALU_DEP_3) | instskip(SKIP_1) | instid1(VALU_DEP_4)
	v_ldexp_f64 v[54:55], v[58:59], -2
	v_add_f64_e64 v[10:11], v[58:59], -v[10:11]
	v_add_f64_e64 v[46:47], v[46:47], -v[56:57]
	v_add_f64_e32 v[56:57], v[60:61], v[62:63]
	s_delay_alu instid0(VALU_DEP_4) | instskip(NEXT) | instid1(VALU_DEP_4)
	v_cmp_neq_f64_e64 vcc_lo, 0x7ff00000, |v[54:55]|
	v_add_f64_e64 v[10:11], v[50:51], -v[10:11]
	s_delay_alu instid0(VALU_DEP_4) | instskip(SKIP_1) | instid1(VALU_DEP_2)
	v_add_f64_e32 v[46:47], v[48:49], v[46:47]
	v_fract_f64_e32 v[48:49], v[54:55]
	v_add_f64_e32 v[50:51], v[56:57], v[46:47]
	s_delay_alu instid0(VALU_DEP_2) | instskip(NEXT) | instid1(VALU_DEP_1)
	v_ldexp_f64 v[48:49], v[48:49], 2
	v_dual_add_f64 v[54:55], v[10:11], v[50:51] :: v_dual_cndmask_b32 v49, 0, v49, vcc_lo
	s_delay_alu instid0(VALU_DEP_2) | instskip(SKIP_1) | instid1(VALU_DEP_2)
	v_cndmask_b32_e32 v48, 0, v48, vcc_lo
	v_add_f64_e64 v[64:65], v[50:51], -v[56:57]
	v_add_f64_e32 v[58:59], v[54:55], v[48:49]
	v_add_f64_e64 v[10:11], v[54:55], -v[10:11]
	s_delay_alu instid0(VALU_DEP_3) | instskip(SKIP_1) | instid1(VALU_DEP_4)
	v_add_f64_e64 v[70:71], v[50:51], -v[64:65]
	v_add_f64_e64 v[46:47], v[46:47], -v[64:65]
	v_cmp_gt_f64_e32 vcc_lo, 0, v[58:59]
	v_add_f64_e64 v[58:59], v[56:57], -v[60:61]
	v_add_f64_e64 v[10:11], v[50:51], -v[10:11]
	v_cndmask_b32_e64 v25, 0, 0x40100000, vcc_lo
	s_delay_alu instid0(VALU_DEP_3) | instskip(SKIP_2) | instid1(VALU_DEP_4)
	v_add_f64_e64 v[68:69], v[56:57], -v[58:59]
	v_add_f64_e64 v[58:59], v[62:63], -v[58:59]
	;; [unrolled: 1-line block ×3, first 2 shown]
	v_add_f64_e32 v[48:49], v[48:49], v[24:25]
	s_delay_alu instid0(VALU_DEP_4) | instskip(NEXT) | instid1(VALU_DEP_3)
	v_add_f64_e64 v[62:63], v[60:61], -v[68:69]
	v_add_f64_e32 v[46:47], v[46:47], v[56:57]
	s_delay_alu instid0(VALU_DEP_3) | instskip(NEXT) | instid1(VALU_DEP_3)
	v_add_f64_e32 v[66:67], v[54:55], v[48:49]
	v_add_f64_e32 v[58:59], v[58:59], v[62:63]
	s_delay_alu instid0(VALU_DEP_2) | instskip(NEXT) | instid1(VALU_DEP_2)
	v_cvt_i32_f64_e32 v1, v[66:67]
	v_add_f64_e32 v[46:47], v[58:59], v[46:47]
	s_delay_alu instid0(VALU_DEP_2) | instskip(NEXT) | instid1(VALU_DEP_2)
	v_cvt_f64_i32_e32 v[64:65], v1
	v_add_f64_e32 v[4:5], v[4:5], v[46:47]
	s_delay_alu instid0(VALU_DEP_2) | instskip(NEXT) | instid1(VALU_DEP_2)
	v_add_f64_e64 v[48:49], v[48:49], -v[64:65]
	v_add_f64_e32 v[4:5], v[10:11], v[4:5]
	s_delay_alu instid0(VALU_DEP_2) | instskip(NEXT) | instid1(VALU_DEP_1)
	v_add_f64_e32 v[56:57], v[54:55], v[48:49]
	v_add_f64_e64 v[46:47], v[56:57], -v[48:49]
	v_cmp_le_f64_e32 vcc_lo, 0.5, v[56:57]
	s_delay_alu instid0(VALU_DEP_2) | instskip(SKIP_2) | instid1(VALU_DEP_3)
	v_add_f64_e64 v[10:11], v[54:55], -v[46:47]
	v_cndmask_b32_e64 v25, 0, 0x3ff00000, vcc_lo
	v_add_co_ci_u32_e64 v1, null, 0, v1, vcc_lo
	v_add_f64_e32 v[4:5], v[4:5], v[10:11]
	s_delay_alu instid0(VALU_DEP_3) | instskip(NEXT) | instid1(VALU_DEP_1)
	v_add_f64_e64 v[10:11], v[56:57], -v[24:25]
	v_add_f64_e32 v[46:47], v[10:11], v[4:5]
	s_delay_alu instid0(VALU_DEP_1) | instskip(SKIP_1) | instid1(VALU_DEP_2)
	v_mul_f64_e32 v[48:49], 0x3ff921fb54442d18, v[46:47]
	v_add_f64_e64 v[10:11], v[46:47], -v[10:11]
	v_fma_f64 v[50:51], v[46:47], s[12:13], -v[48:49]
	s_delay_alu instid0(VALU_DEP_2) | instskip(NEXT) | instid1(VALU_DEP_2)
	v_add_f64_e64 v[4:5], v[4:5], -v[10:11]
	v_fmac_f64_e32 v[50:51], 0x3c91a62633145c07, v[46:47]
	s_delay_alu instid0(VALU_DEP_1) | instskip(NEXT) | instid1(VALU_DEP_1)
	v_fmac_f64_e32 v[50:51], 0x3ff921fb54442d18, v[4:5]
	v_add_f64_e32 v[4:5], v[48:49], v[50:51]
	s_delay_alu instid0(VALU_DEP_1) | instskip(NEXT) | instid1(VALU_DEP_1)
	v_add_f64_e64 v[10:11], v[4:5], -v[48:49]
	v_add_f64_e64 v[10:11], v[50:51], -v[10:11]
.LBB93_150:                             ;   in Loop: Header=BB93_7 Depth=1
	s_or_saveexec_b32 s3, s3
	v_mul_f64_e64 v[46:47], |v[2:3]|, s[14:15]
	s_delay_alu instid0(VALU_DEP_1)
	v_rndne_f64_e32 v[50:51], v[46:47]
	s_xor_b32 exec_lo, exec_lo, s3
	s_cbranch_execz .LBB93_152
; %bb.151:                              ;   in Loop: Header=BB93_7 Depth=1
	s_delay_alu instid0(VALU_DEP_1) | instskip(SKIP_2) | instid1(VALU_DEP_3)
	v_fma_f64 v[4:5], v[50:51], s[16:17], |v[2:3]|
	v_mul_f64_e32 v[10:11], 0xbc91a62633145c00, v[50:51]
	v_cvt_i32_f64_e32 v1, v[50:51]
	v_fmamk_f64 v[54:55], v[50:51], 0xbc91a62633145c00, v[4:5]
	s_delay_alu instid0(VALU_DEP_3) | instskip(NEXT) | instid1(VALU_DEP_1)
	v_add_f64_e32 v[46:47], v[4:5], v[10:11]
	v_add_f64_e64 v[48:49], v[4:5], -v[46:47]
	s_delay_alu instid0(VALU_DEP_3) | instskip(NEXT) | instid1(VALU_DEP_2)
	v_add_f64_e64 v[4:5], v[46:47], -v[54:55]
	v_add_f64_e32 v[46:47], v[48:49], v[10:11]
	v_fmamk_f64 v[10:11], v[50:51], 0x3c91a62633145c00, v[10:11]
	s_delay_alu instid0(VALU_DEP_2) | instskip(NEXT) | instid1(VALU_DEP_1)
	v_add_f64_e32 v[4:5], v[4:5], v[46:47]
	v_add_f64_e64 v[10:11], v[4:5], -v[10:11]
	s_delay_alu instid0(VALU_DEP_1) | instskip(NEXT) | instid1(VALU_DEP_1)
	v_fmac_f64_e32 v[10:11], 0xb97b839a252049c0, v[50:51]
	v_add_f64_e32 v[4:5], v[54:55], v[10:11]
	s_delay_alu instid0(VALU_DEP_1) | instskip(NEXT) | instid1(VALU_DEP_1)
	v_add_f64_e64 v[46:47], v[4:5], -v[54:55]
	v_add_f64_e64 v[10:11], v[10:11], -v[46:47]
.LBB93_152:                             ;   in Loop: Header=BB93_7 Depth=1
	s_or_b32 exec_lo, exec_lo, s3
                                        ; implicit-def: $vgpr53
                                        ; implicit-def: $vgpr46_vgpr47
                                        ; implicit-def: $vgpr48_vgpr49
	s_and_saveexec_b32 s3, s2
	s_delay_alu instid0(SALU_CYCLE_1)
	s_xor_b32 s2, exec_lo, s3
	s_cbranch_execz .LBB93_154
; %bb.153:                              ;   in Loop: Header=BB93_7 Depth=1
	v_cmp_le_f64_e64 vcc_lo, 0x7b000000, |v[2:3]|
	v_dual_cndmask_b32 v45, v52, v45 :: v_dual_cndmask_b32 v44, v2, v44
	s_delay_alu instid0(VALU_DEP_1) | instskip(SKIP_2) | instid1(VALU_DEP_3)
	v_mul_f64_e32 v[46:47], v[42:43], v[44:45]
	v_mul_f64_e32 v[48:49], v[40:41], v[44:45]
	;; [unrolled: 1-line block ×3, first 2 shown]
	v_fma_f64 v[42:43], v[42:43], v[44:45], -v[46:47]
	s_delay_alu instid0(VALU_DEP_3) | instskip(NEXT) | instid1(VALU_DEP_3)
	v_fma_f64 v[40:41], v[40:41], v[44:45], -v[48:49]
	v_fma_f64 v[38:39], v[38:39], v[44:45], -v[58:59]
	s_delay_alu instid0(VALU_DEP_3) | instskip(NEXT) | instid1(VALU_DEP_1)
	v_add_f64_e32 v[50:51], v[48:49], v[42:43]
	v_add_f64_e64 v[52:53], v[50:51], -v[48:49]
	v_add_f64_e32 v[56:57], v[46:47], v[50:51]
	s_delay_alu instid0(VALU_DEP_2) | instskip(SKIP_1) | instid1(VALU_DEP_3)
	v_add_f64_e64 v[54:55], v[50:51], -v[52:53]
	v_add_f64_e64 v[42:43], v[42:43], -v[52:53]
	v_ldexp_f64 v[52:53], v[56:57], -2
	s_delay_alu instid0(VALU_DEP_3) | instskip(SKIP_1) | instid1(VALU_DEP_3)
	v_add_f64_e64 v[48:49], v[48:49], -v[54:55]
	v_add_f64_e32 v[54:55], v[58:59], v[40:41]
	v_cmp_neq_f64_e64 vcc_lo, 0x7ff00000, |v[52:53]|
	s_delay_alu instid0(VALU_DEP_3) | instskip(SKIP_1) | instid1(VALU_DEP_1)
	v_add_f64_e32 v[42:43], v[42:43], v[48:49]
	v_fract_f64_e32 v[48:49], v[52:53]
	v_ldexp_f64 v[48:49], v[48:49], 2
	s_delay_alu instid0(VALU_DEP_1) | instskip(NEXT) | instid1(VALU_DEP_1)
	v_dual_add_f64 v[46:47], v[56:57], -v[46:47] :: v_dual_cndmask_b32 v48, 0, v48, vcc_lo
	v_dual_add_f64 v[46:47], v[50:51], -v[46:47] :: v_dual_cndmask_b32 v49, 0, v49, vcc_lo
	v_add_f64_e32 v[50:51], v[54:55], v[42:43]
	s_delay_alu instid0(VALU_DEP_1) | instskip(SKIP_1) | instid1(VALU_DEP_2)
	v_add_f64_e32 v[52:53], v[46:47], v[50:51]
	v_add_f64_e64 v[60:61], v[50:51], -v[54:55]
	v_add_f64_e32 v[56:57], v[52:53], v[48:49]
	s_delay_alu instid0(VALU_DEP_2) | instskip(SKIP_2) | instid1(VALU_DEP_4)
	v_add_f64_e64 v[66:67], v[50:51], -v[60:61]
	v_add_f64_e64 v[42:43], v[42:43], -v[60:61]
	;; [unrolled: 1-line block ×3, first 2 shown]
	v_cmp_gt_f64_e32 vcc_lo, 0, v[56:57]
	v_add_f64_e64 v[56:57], v[54:55], -v[58:59]
	s_delay_alu instid0(VALU_DEP_3) | instskip(SKIP_1) | instid1(VALU_DEP_3)
	v_add_f64_e64 v[44:45], v[50:51], -v[44:45]
                                        ; implicit-def: $vgpr50_vgpr51
	v_cndmask_b32_e64 v25, 0, 0x40100000, vcc_lo
	v_add_f64_e64 v[64:65], v[54:55], -v[56:57]
	v_add_f64_e64 v[40:41], v[40:41], -v[56:57]
	;; [unrolled: 1-line block ×3, first 2 shown]
	s_delay_alu instid0(VALU_DEP_4) | instskip(NEXT) | instid1(VALU_DEP_4)
	v_add_f64_e32 v[48:49], v[48:49], v[24:25]
	v_add_f64_e64 v[56:57], v[58:59], -v[64:65]
	s_delay_alu instid0(VALU_DEP_3) | instskip(NEXT) | instid1(VALU_DEP_3)
	v_add_f64_e32 v[42:43], v[42:43], v[54:55]
	v_add_f64_e32 v[62:63], v[52:53], v[48:49]
	s_delay_alu instid0(VALU_DEP_3) | instskip(NEXT) | instid1(VALU_DEP_2)
	v_add_f64_e32 v[40:41], v[40:41], v[56:57]
	v_cvt_i32_f64_e32 v25, v[62:63]
	s_delay_alu instid0(VALU_DEP_2) | instskip(NEXT) | instid1(VALU_DEP_2)
	v_add_f64_e32 v[40:41], v[40:41], v[42:43]
	v_cvt_f64_i32_e32 v[60:61], v25
	s_delay_alu instid0(VALU_DEP_2) | instskip(NEXT) | instid1(VALU_DEP_2)
	v_add_f64_e32 v[38:39], v[38:39], v[40:41]
	v_add_f64_e64 v[48:49], v[48:49], -v[60:61]
	s_delay_alu instid0(VALU_DEP_2) | instskip(NEXT) | instid1(VALU_DEP_2)
	v_add_f64_e32 v[38:39], v[44:45], v[38:39]
	v_add_f64_e32 v[42:43], v[52:53], v[48:49]
	s_delay_alu instid0(VALU_DEP_1) | instskip(SKIP_1) | instid1(VALU_DEP_2)
	v_add_f64_e64 v[40:41], v[42:43], -v[48:49]
	v_cmp_le_f64_e32 vcc_lo, 0.5, v[42:43]
	v_add_f64_e64 v[40:41], v[52:53], -v[40:41]
	v_add_co_ci_u32_e64 v53, null, 0, v25, vcc_lo
	v_cndmask_b32_e64 v25, 0, 0x3ff00000, vcc_lo
	s_delay_alu instid0(VALU_DEP_3) | instskip(NEXT) | instid1(VALU_DEP_2)
	v_add_f64_e32 v[38:39], v[38:39], v[40:41]
	v_add_f64_e64 v[40:41], v[42:43], -v[24:25]
	s_delay_alu instid0(VALU_DEP_1) | instskip(NEXT) | instid1(VALU_DEP_1)
	v_add_f64_e32 v[42:43], v[40:41], v[38:39]
	v_mul_f64_e32 v[44:45], 0x3ff921fb54442d18, v[42:43]
	v_add_f64_e64 v[40:41], v[42:43], -v[40:41]
	s_delay_alu instid0(VALU_DEP_2) | instskip(NEXT) | instid1(VALU_DEP_2)
	v_fma_f64 v[48:49], v[42:43], s[12:13], -v[44:45]
	v_add_f64_e64 v[38:39], v[38:39], -v[40:41]
	s_delay_alu instid0(VALU_DEP_2) | instskip(NEXT) | instid1(VALU_DEP_1)
	v_fmac_f64_e32 v[48:49], 0x3c91a62633145c07, v[42:43]
	v_fmac_f64_e32 v[48:49], 0x3ff921fb54442d18, v[38:39]
	s_delay_alu instid0(VALU_DEP_1) | instskip(NEXT) | instid1(VALU_DEP_1)
	v_add_f64_e32 v[46:47], v[44:45], v[48:49]
	v_add_f64_e64 v[38:39], v[46:47], -v[44:45]
	s_delay_alu instid0(VALU_DEP_1)
	v_add_f64_e64 v[48:49], v[48:49], -v[38:39]
	s_and_not1_saveexec_b32 s2, s2
	s_cbranch_execz .LBB93_3
	s_branch .LBB93_155
.LBB93_154:                             ;   in Loop: Header=BB93_7 Depth=1
	s_and_not1_saveexec_b32 s2, s2
	s_cbranch_execz .LBB93_3
.LBB93_155:                             ;   in Loop: Header=BB93_7 Depth=1
	s_delay_alu instid0(VALU_DEP_1) | instskip(SKIP_2) | instid1(VALU_DEP_2)
	v_fma_f64 v[38:39], v[50:51], s[16:17], |v[2:3]|
	v_mul_f64_e32 v[40:41], 0xbc91a62633145c00, v[50:51]
	v_cvt_i32_f64_e32 v53, v[50:51]
	v_add_f64_e32 v[42:43], v[38:39], v[40:41]
	s_delay_alu instid0(VALU_DEP_1) | instskip(SKIP_1) | instid1(VALU_DEP_1)
	v_add_f64_e64 v[44:45], v[38:39], -v[42:43]
	v_fmamk_f64 v[38:39], v[50:51], 0xbc91a62633145c00, v[38:39]
	v_add_f64_e64 v[42:43], v[42:43], -v[38:39]
	s_delay_alu instid0(VALU_DEP_3) | instskip(SKIP_1) | instid1(VALU_DEP_2)
	v_add_f64_e32 v[44:45], v[44:45], v[40:41]
	v_fmamk_f64 v[40:41], v[50:51], 0x3c91a62633145c00, v[40:41]
	v_add_f64_e32 v[42:43], v[42:43], v[44:45]
	s_delay_alu instid0(VALU_DEP_1) | instskip(NEXT) | instid1(VALU_DEP_1)
	v_add_f64_e64 v[40:41], v[42:43], -v[40:41]
	v_fmac_f64_e32 v[40:41], 0xb97b839a252049c0, v[50:51]
	s_delay_alu instid0(VALU_DEP_1) | instskip(NEXT) | instid1(VALU_DEP_1)
	v_add_f64_e32 v[46:47], v[38:39], v[40:41]
	v_add_f64_e64 v[38:39], v[46:47], -v[38:39]
	s_delay_alu instid0(VALU_DEP_1)
	v_add_f64_e64 v[48:49], v[40:41], -v[38:39]
	s_branch .LBB93_3
.LBB93_156:
	s_or_b32 exec_lo, exec_lo, s30
	s_mov_b32 s2, 0
.LBB93_157:
	s_delay_alu instid0(SALU_CYCLE_1)
	s_and_not1_b32 vcc_lo, exec_lo, s2
	s_cbranch_vccnz .LBB93_329
; %bb.158:
	v_cmp_lt_i64_e64 s2, s[4:5], 1
	s_and_b32 vcc_lo, exec_lo, s2
	s_cbranch_vccnz .LBB93_329
; %bb.159:
	v_min_i64 v[22:23], 0x10000, s[4:5]
	v_min_u64 v[24:25], 0x10000, s[4:5]
	s_load_b32 s0, s[0:1], 0xc5c
	v_mov_b32_e32 v26, 0
	v_mov_b64_e32 v[28:29], 0xbf078809a9a29f71
	v_mov_b64_e32 v[30:31], 0x3e928af3fca7ab0c
	;; [unrolled: 1-line block ×4, first 2 shown]
	v_mov_b32_e32 v1, v26
	s_mov_b32 s11, 0
	s_mov_b64 s[12:13], 0x3ff921fb54442d18
	s_mov_b64 s[14:15], 0x3fe45f306dc9c883
	s_mov_b64 s[16:17], 0xbff921fb54442d18
	s_mov_b64 s[18:19], 0xbfe62e42fefa39ef
	s_mov_b64 s[20:21], 0x408633ce8fb9f87e
	s_mov_b32 s23, s11
	s_mov_b64 s[26:27], 0xbff71547652b82fe
	s_mov_b32 s25, s11
	s_mov_b32 s29, s11
	s_mov_b64 s[30:31], 0
	s_mov_b32 s33, 0x3ff00000
                                        ; implicit-def: $vgpr2_vgpr3
                                        ; implicit-def: $vgpr2_vgpr3
	;; [unrolled: 1-line block ×27, first 2 shown]
	s_wait_kmcnt 0x0
	s_and_b32 s10, s0, 0xffff
	s_delay_alu instid0(SALU_CYCLE_1)
	s_lshl_b32 s22, s10, 1
	s_mul_i32 s24, s10, 3
	s_lshl_b32 s28, s10, 2
	s_branch .LBB93_161
.LBB93_160:                             ;   in Loop: Header=BB93_161 Depth=1
	s_wait_xcnt 0x0
	s_or_b32 exec_lo, exec_lo, s0
	s_add_nc_u64 s[30:31], s[30:31], s[28:29]
	s_delay_alu instid0(SALU_CYCLE_1)
	v_cmp_ge_i64_e32 vcc_lo, s[30:31], v[22:23]
	s_cbranch_vccnz .LBB93_329
.LBB93_161:                             ; =>This Inner Loop Header: Depth=1
	v_add_nc_u64_e32 v[36:37], s[30:31], v[0:1]
	v_mov_b64_e32 v[20:21], 0
	v_mov_b64_e32 v[12:13], 0
	;; [unrolled: 1-line block ×3, first 2 shown]
	s_delay_alu instid0(VALU_DEP_4)
	v_cmp_lt_u64_e64 s0, v[36:37], v[24:25]
	s_and_saveexec_b32 s1, s0
	s_cbranch_execz .LBB93_163
; %bb.162:                              ;   in Loop: Header=BB93_161 Depth=1
	v_lshl_add_u64 v[2:3], v[36:37], 4, s[6:7]
	global_load_b128 v[10:13], v[2:3], off
.LBB93_163:                             ;   in Loop: Header=BB93_161 Depth=1
	s_wait_xcnt 0x0
	s_or_b32 exec_lo, exec_lo, s1
	v_add_nc_u64_e32 v[38:39], s[10:11], v[36:37]
	v_mov_b64_e32 v[18:19], 0
	s_delay_alu instid0(VALU_DEP_2)
	v_cmp_lt_u64_e64 s1, v[38:39], v[24:25]
	s_and_saveexec_b32 s2, s1
	s_cbranch_execz .LBB93_165
; %bb.164:                              ;   in Loop: Header=BB93_161 Depth=1
	v_lshl_add_u64 v[2:3], v[38:39], 4, s[6:7]
	global_load_b128 v[18:21], v[2:3], off
.LBB93_165:                             ;   in Loop: Header=BB93_161 Depth=1
	s_wait_xcnt 0x0
	s_or_b32 exec_lo, exec_lo, s2
	v_add_nc_u64_e32 v[40:41], s[22:23], v[36:37]
	v_mov_b64_e32 v[4:5], 0
	v_mov_b64_e32 v[16:17], 0
	;; [unrolled: 1-line block ×3, first 2 shown]
	s_delay_alu instid0(VALU_DEP_4)
	v_cmp_lt_u64_e64 s2, v[40:41], v[24:25]
	s_and_saveexec_b32 s3, s2
	s_cbranch_execz .LBB93_167
; %bb.166:                              ;   in Loop: Header=BB93_161 Depth=1
	v_lshl_add_u64 v[2:3], v[40:41], 4, s[6:7]
	global_load_b128 v[14:17], v[2:3], off
.LBB93_167:                             ;   in Loop: Header=BB93_161 Depth=1
	s_wait_xcnt 0x0
	s_or_b32 exec_lo, exec_lo, s3
	v_add_nc_u64_e32 v[42:43], s[24:25], v[36:37]
	v_mov_b64_e32 v[2:3], 0
	s_delay_alu instid0(VALU_DEP_2)
	v_cmp_lt_u64_e64 s3, v[42:43], v[24:25]
	s_and_saveexec_b32 s4, s3
	s_cbranch_execz .LBB93_169
; %bb.168:                              ;   in Loop: Header=BB93_161 Depth=1
	v_lshl_add_u64 v[2:3], v[42:43], 4, s[6:7]
	global_load_b128 v[2:5], v[2:3], off
.LBB93_169:                             ;   in Loop: Header=BB93_161 Depth=1
	s_wait_xcnt 0x0
	s_or_b32 exec_lo, exec_lo, s4
	s_wait_loadcnt 0x0
	v_xor_b32_e32 v9, 0x80000000, v13
	v_mov_b32_e32 v8, v12
	s_mov_b32 s4, exec_lo
	s_delay_alu instid0(VALU_DEP_2) | instskip(NEXT) | instid1(VALU_DEP_1)
	v_and_b32_e32 v6, 0x7fffffff, v9
	v_cmpx_gt_u32_e32 0x7ff00000, v6
	s_xor_b32 s5, exec_lo, s4
	s_cbranch_execz .LBB93_190
; %bb.170:                              ;   in Loop: Header=BB93_161 Depth=1
	v_cmp_class_f64_e64 s4, v[10:11], 0x1f8
	s_and_saveexec_b32 s34, s4
	s_delay_alu instid0(SALU_CYCLE_1)
	s_xor_b32 s34, exec_lo, s34
	s_cbranch_execz .LBB93_187
; %bb.171:                              ;   in Loop: Header=BB93_161 Depth=1
	s_mov_b32 s4, exec_lo
	v_cmpx_gt_u32_e32 0x40360000, v6
	s_xor_b32 s35, exec_lo, s4
	s_cbranch_execz .LBB93_177
; %bb.172:                              ;   in Loop: Header=BB93_161 Depth=1
	v_cmp_ngt_f64_e64 s4, 0x41d00000, |v[10:11]|
                                        ; implicit-def: $vgpr8
                                        ; implicit-def: $vgpr6_vgpr7
                                        ; implicit-def: $vgpr44_vgpr45
	s_and_saveexec_b32 s36, s4
	s_delay_alu instid0(SALU_CYCLE_1)
	s_xor_b32 s4, exec_lo, s36
	s_cbranch_execz .LBB93_174
; %bb.173:                              ;   in Loop: Header=BB93_161 Depth=1
	v_ldexp_f64 v[6:7], |v[10:11]|, 0xffffff80
	v_cmp_le_f64_e64 vcc_lo, 0x7b000000, |v[10:11]|
	v_trig_preop_f64 v[44:45], |v[10:11]|, 0
	v_and_b32_e32 v8, 0x7fffffff, v11
	v_trig_preop_f64 v[46:47], |v[10:11]|, 1
	v_trig_preop_f64 v[56:57], |v[10:11]|, 2
	s_delay_alu instid0(VALU_DEP_3) | instskip(NEXT) | instid1(VALU_DEP_1)
	v_dual_cndmask_b32 v7, v8, v7 :: v_dual_cndmask_b32 v6, v10, v6
	v_mul_f64_e32 v[48:49], v[44:45], v[6:7]
	s_delay_alu instid0(VALU_DEP_4) | instskip(NEXT) | instid1(VALU_DEP_4)
	v_mul_f64_e32 v[50:51], v[46:47], v[6:7]
	v_mul_f64_e32 v[62:63], v[56:57], v[6:7]
	s_delay_alu instid0(VALU_DEP_3) | instskip(NEXT) | instid1(VALU_DEP_3)
	v_fma_f64 v[44:45], v[44:45], v[6:7], -v[48:49]
	v_fma_f64 v[46:47], v[46:47], v[6:7], -v[50:51]
	s_delay_alu instid0(VALU_DEP_3) | instskip(NEXT) | instid1(VALU_DEP_3)
	v_fma_f64 v[6:7], v[56:57], v[6:7], -v[62:63]
	v_add_f64_e32 v[52:53], v[50:51], v[44:45]
	s_delay_alu instid0(VALU_DEP_1) | instskip(SKIP_1) | instid1(VALU_DEP_2)
	v_add_f64_e64 v[54:55], v[52:53], -v[50:51]
	v_add_f64_e32 v[60:61], v[48:49], v[52:53]
	v_add_f64_e64 v[58:59], v[52:53], -v[54:55]
	v_add_f64_e64 v[44:45], v[44:45], -v[54:55]
	s_delay_alu instid0(VALU_DEP_3) | instskip(NEXT) | instid1(VALU_DEP_3)
	v_ldexp_f64 v[54:55], v[60:61], -2
	v_add_f64_e64 v[50:51], v[50:51], -v[58:59]
	v_add_f64_e32 v[58:59], v[62:63], v[46:47]
	s_delay_alu instid0(VALU_DEP_3) | instskip(NEXT) | instid1(VALU_DEP_3)
	v_cmp_neq_f64_e64 vcc_lo, 0x7ff00000, |v[54:55]|
	v_add_f64_e32 v[44:45], v[44:45], v[50:51]
	v_fract_f64_e32 v[50:51], v[54:55]
	s_delay_alu instid0(VALU_DEP_1) | instskip(NEXT) | instid1(VALU_DEP_1)
	v_ldexp_f64 v[50:51], v[50:51], 2
	v_dual_add_f64 v[48:49], v[60:61], -v[48:49] :: v_dual_cndmask_b32 v50, 0, v50, vcc_lo
	s_delay_alu instid0(VALU_DEP_1) | instskip(SKIP_1) | instid1(VALU_DEP_1)
	v_dual_add_f64 v[48:49], v[52:53], -v[48:49] :: v_dual_cndmask_b32 v51, 0, v51, vcc_lo
	v_add_f64_e32 v[52:53], v[58:59], v[44:45]
	v_add_f64_e32 v[54:55], v[48:49], v[52:53]
	v_add_f64_e64 v[64:65], v[52:53], -v[58:59]
	s_delay_alu instid0(VALU_DEP_2) | instskip(NEXT) | instid1(VALU_DEP_2)
	v_add_f64_e32 v[60:61], v[54:55], v[50:51]
	v_add_f64_e64 v[70:71], v[52:53], -v[64:65]
	v_add_f64_e64 v[44:45], v[44:45], -v[64:65]
	;; [unrolled: 1-line block ×3, first 2 shown]
	s_delay_alu instid0(VALU_DEP_4) | instskip(SKIP_1) | instid1(VALU_DEP_3)
	v_cmp_gt_f64_e32 vcc_lo, 0, v[60:61]
	v_add_f64_e64 v[60:61], v[58:59], -v[62:63]
	v_add_f64_e64 v[48:49], v[52:53], -v[48:49]
	v_cndmask_b32_e64 v27, 0, 0x40100000, vcc_lo
	s_delay_alu instid0(VALU_DEP_3) | instskip(SKIP_2) | instid1(VALU_DEP_4)
	v_add_f64_e64 v[68:69], v[58:59], -v[60:61]
	v_add_f64_e64 v[46:47], v[46:47], -v[60:61]
	;; [unrolled: 1-line block ×3, first 2 shown]
	v_add_f64_e32 v[50:51], v[50:51], v[26:27]
	s_delay_alu instid0(VALU_DEP_4) | instskip(NEXT) | instid1(VALU_DEP_3)
	v_add_f64_e64 v[60:61], v[62:63], -v[68:69]
	v_add_f64_e32 v[44:45], v[44:45], v[58:59]
	s_delay_alu instid0(VALU_DEP_3) | instskip(NEXT) | instid1(VALU_DEP_3)
	v_add_f64_e32 v[66:67], v[54:55], v[50:51]
	v_add_f64_e32 v[46:47], v[46:47], v[60:61]
	s_delay_alu instid0(VALU_DEP_2) | instskip(NEXT) | instid1(VALU_DEP_2)
	v_cvt_i32_f64_e32 v8, v[66:67]
	v_add_f64_e32 v[44:45], v[46:47], v[44:45]
	s_delay_alu instid0(VALU_DEP_2) | instskip(NEXT) | instid1(VALU_DEP_2)
	v_cvt_f64_i32_e32 v[64:65], v8
	v_add_f64_e32 v[6:7], v[6:7], v[44:45]
	s_delay_alu instid0(VALU_DEP_2) | instskip(NEXT) | instid1(VALU_DEP_2)
	v_add_f64_e64 v[50:51], v[50:51], -v[64:65]
	v_add_f64_e32 v[6:7], v[48:49], v[6:7]
	s_delay_alu instid0(VALU_DEP_2) | instskip(NEXT) | instid1(VALU_DEP_1)
	v_add_f64_e32 v[46:47], v[54:55], v[50:51]
	v_add_f64_e64 v[44:45], v[46:47], -v[50:51]
	v_cmp_le_f64_e32 vcc_lo, 0.5, v[46:47]
	s_delay_alu instid0(VALU_DEP_2) | instskip(SKIP_2) | instid1(VALU_DEP_3)
	v_add_f64_e64 v[44:45], v[54:55], -v[44:45]
	v_cndmask_b32_e64 v27, 0, 0x3ff00000, vcc_lo
	v_add_co_ci_u32_e64 v8, null, 0, v8, vcc_lo
	v_add_f64_e32 v[6:7], v[6:7], v[44:45]
	s_delay_alu instid0(VALU_DEP_3) | instskip(NEXT) | instid1(VALU_DEP_1)
	v_add_f64_e64 v[44:45], v[46:47], -v[26:27]
	v_add_f64_e32 v[46:47], v[44:45], v[6:7]
	s_delay_alu instid0(VALU_DEP_1) | instskip(SKIP_1) | instid1(VALU_DEP_2)
	v_mul_f64_e32 v[48:49], 0x3ff921fb54442d18, v[46:47]
	v_add_f64_e64 v[44:45], v[46:47], -v[44:45]
	v_fma_f64 v[50:51], v[46:47], s[12:13], -v[48:49]
	s_delay_alu instid0(VALU_DEP_2) | instskip(NEXT) | instid1(VALU_DEP_2)
	v_add_f64_e64 v[6:7], v[6:7], -v[44:45]
	v_fmac_f64_e32 v[50:51], 0x3c91a62633145c07, v[46:47]
	s_delay_alu instid0(VALU_DEP_1) | instskip(NEXT) | instid1(VALU_DEP_1)
	v_fmac_f64_e32 v[50:51], 0x3ff921fb54442d18, v[6:7]
	v_add_f64_e32 v[6:7], v[48:49], v[50:51]
	s_delay_alu instid0(VALU_DEP_1) | instskip(NEXT) | instid1(VALU_DEP_1)
	v_add_f64_e64 v[44:45], v[6:7], -v[48:49]
	v_add_f64_e64 v[44:45], v[50:51], -v[44:45]
.LBB93_174:                             ;   in Loop: Header=BB93_161 Depth=1
	s_and_not1_saveexec_b32 s4, s4
	s_cbranch_execz .LBB93_176
; %bb.175:                              ;   in Loop: Header=BB93_161 Depth=1
	v_mul_f64_e64 v[6:7], |v[10:11]|, s[14:15]
	s_delay_alu instid0(VALU_DEP_1) | instskip(NEXT) | instid1(VALU_DEP_1)
	v_rndne_f64_e32 v[46:47], v[6:7]
	v_fma_f64 v[6:7], v[46:47], s[16:17], |v[10:11]|
	v_mul_f64_e32 v[44:45], 0xbc91a62633145c00, v[46:47]
	v_cvt_i32_f64_e32 v8, v[46:47]
	s_delay_alu instid0(VALU_DEP_3) | instskip(NEXT) | instid1(VALU_DEP_3)
	v_fmamk_f64 v[52:53], v[46:47], 0xbc91a62633145c00, v[6:7]
	v_add_f64_e32 v[48:49], v[6:7], v[44:45]
	s_delay_alu instid0(VALU_DEP_1) | instskip(NEXT) | instid1(VALU_DEP_3)
	v_add_f64_e64 v[50:51], v[6:7], -v[48:49]
	v_add_f64_e64 v[6:7], v[48:49], -v[52:53]
	s_delay_alu instid0(VALU_DEP_2) | instskip(SKIP_1) | instid1(VALU_DEP_2)
	v_add_f64_e32 v[48:49], v[50:51], v[44:45]
	v_fmamk_f64 v[44:45], v[46:47], 0x3c91a62633145c00, v[44:45]
	v_add_f64_e32 v[6:7], v[6:7], v[48:49]
	s_delay_alu instid0(VALU_DEP_1) | instskip(NEXT) | instid1(VALU_DEP_1)
	v_add_f64_e64 v[44:45], v[6:7], -v[44:45]
	v_fmac_f64_e32 v[44:45], 0xb97b839a252049c0, v[46:47]
	s_delay_alu instid0(VALU_DEP_1) | instskip(NEXT) | instid1(VALU_DEP_1)
	v_add_f64_e32 v[6:7], v[52:53], v[44:45]
	v_add_f64_e64 v[48:49], v[6:7], -v[52:53]
	s_delay_alu instid0(VALU_DEP_1)
	v_add_f64_e64 v[44:45], v[44:45], -v[48:49]
.LBB93_176:                             ;   in Loop: Header=BB93_161 Depth=1
	s_or_b32 exec_lo, exec_lo, s4
	v_add_f64_e64 v[46:47], |v[12:13]|, s[18:19]
	v_cmp_nge_f64_e64 vcc_lo, |v[12:13]|, s[20:21]
	v_dual_mul_f64 v[64:65], v[6:7], v[6:7] :: v_dual_bitop2_b32 v8, 1, v8 bitop3:0x40
	s_delay_alu instid0(VALU_DEP_4) | instskip(NEXT) | instid1(VALU_DEP_2)
	v_add_f64_e32 v[66:67], v[44:45], v[44:45]
	v_cmp_eq_u32_e64 s4, 0, v8
	v_add_f64_e64 v[48:49], v[46:47], -|v[12:13]|
	s_delay_alu instid0(VALU_DEP_4) | instskip(NEXT) | instid1(VALU_DEP_2)
	v_fma_f64 v[68:69], v[6:7], v[6:7], -v[64:65]
	v_add_f64_e64 v[50:51], v[48:49], -v[46:47]
	v_add_f64_e32 v[48:49], 0x3fe62e42fefa39ef, v[48:49]
	s_delay_alu instid0(VALU_DEP_3) | instskip(NEXT) | instid1(VALU_DEP_3)
	v_fmac_f64_e32 v[68:69], v[6:7], v[66:67]
	v_add_f64_e64 v[50:51], |v[12:13]|, v[50:51]
	s_delay_alu instid0(VALU_DEP_2) | instskip(NEXT) | instid1(VALU_DEP_2)
	v_add_f64_e32 v[64:65], v[64:65], v[68:69]
	v_add_f64_e64 v[48:49], v[50:51], -v[48:49]
	s_delay_alu instid0(VALU_DEP_2) | instskip(NEXT) | instid1(VALU_DEP_1)
	v_fmamk_f64 v[68:69], v[64:65], 0x3ef5e089c751c08c, v[28:29]
	v_fmaak_f64 v[68:69], v[64:65], v[68:69], 0x3f17746f90a8aae0
	s_delay_alu instid0(VALU_DEP_1) | instskip(NEXT) | instid1(VALU_DEP_4)
	v_fmaak_f64 v[68:69], v[64:65], v[68:69], 0xbefbb44da6fbf144
	v_add_f64_e32 v[48:49], 0xbc7abc9e3b39803f, v[48:49]
	s_delay_alu instid0(VALU_DEP_1) | instskip(NEXT) | instid1(VALU_DEP_1)
	v_add_f64_e32 v[50:51], v[46:47], v[48:49]
	v_mul_f64_e32 v[52:53], 0x3ff71547652b82fe, v[50:51]
	v_add_f64_e64 v[46:47], v[46:47], -v[50:51]
	s_delay_alu instid0(VALU_DEP_2) | instskip(NEXT) | instid1(VALU_DEP_2)
	v_rndne_f64_e32 v[52:53], v[52:53]
	v_add_f64_e32 v[46:47], v[48:49], v[46:47]
	s_delay_alu instid0(VALU_DEP_2) | instskip(SKIP_2) | instid1(VALU_DEP_3)
	v_fmac_f64_e32 v[50:51], 0xbfe62e42fefa3000, v[52:53]
	v_mul_f64_e32 v[48:49], 0xbd53de6af278e000, v[52:53]
	v_cvt_i32_f64_e32 v10, v[52:53]
	v_add_f64_e32 v[54:55], v[46:47], v[50:51]
	s_delay_alu instid0(VALU_DEP_1) | instskip(SKIP_1) | instid1(VALU_DEP_2)
	v_add_f64_e32 v[56:57], v[54:55], v[48:49]
	v_add_f64_e64 v[50:51], v[50:51], -v[54:55]
	v_add_f64_e64 v[54:55], v[54:55], -v[56:57]
	s_delay_alu instid0(VALU_DEP_2) | instskip(NEXT) | instid1(VALU_DEP_2)
	v_add_f64_e32 v[46:47], v[46:47], v[50:51]
	v_add_f64_e32 v[48:49], v[54:55], v[48:49]
	s_delay_alu instid0(VALU_DEP_1) | instskip(SKIP_1) | instid1(VALU_DEP_2)
	v_add_f64_e32 v[46:47], v[46:47], v[48:49]
	v_mul_f64_e32 v[48:49], 0xbac9cc01f97b57a0, v[52:53]
	v_add_f64_e32 v[50:51], v[56:57], v[46:47]
	s_delay_alu instid0(VALU_DEP_1) | instskip(SKIP_1) | instid1(VALU_DEP_2)
	v_add_f64_e32 v[54:55], v[50:51], v[48:49]
	v_add_f64_e64 v[56:57], v[56:57], -v[50:51]
	v_add_f64_e64 v[50:51], v[50:51], -v[54:55]
	s_delay_alu instid0(VALU_DEP_2) | instskip(NEXT) | instid1(VALU_DEP_2)
	v_add_f64_e32 v[46:47], v[46:47], v[56:57]
	v_add_f64_e32 v[48:49], v[50:51], v[48:49]
	s_delay_alu instid0(VALU_DEP_1) | instskip(NEXT) | instid1(VALU_DEP_1)
	v_add_f64_e32 v[46:47], v[46:47], v[48:49]
	v_add_f64_e32 v[48:49], v[54:55], v[46:47]
	s_delay_alu instid0(VALU_DEP_1) | instskip(SKIP_1) | instid1(VALU_DEP_2)
	v_add_f64_e64 v[50:51], v[54:55], -v[48:49]
	v_mul_f64_e32 v[54:55], v[48:49], v[48:49]
	v_add_f64_e32 v[46:47], v[46:47], v[50:51]
	s_delay_alu instid0(VALU_DEP_2) | instskip(NEXT) | instid1(VALU_DEP_2)
	v_fma_f64 v[50:51], v[48:49], v[48:49], -v[54:55]
	v_add_f64_e32 v[56:57], v[46:47], v[46:47]
	s_delay_alu instid0(VALU_DEP_1) | instskip(SKIP_1) | instid1(VALU_DEP_1)
	v_fmac_f64_e32 v[50:51], v[48:49], v[56:57]
	v_fmamk_f64 v[56:57], v[48:49], 0x3e5ade156a5dcb37, v[30:31]
	v_fmaak_f64 v[56:57], v[48:49], v[56:57], 0x3ec71dee623fde64
	s_delay_alu instid0(VALU_DEP_1) | instskip(NEXT) | instid1(VALU_DEP_1)
	v_fmaak_f64 v[56:57], v[48:49], v[56:57], 0x3efa01997c89e6b0
	v_fmaak_f64 v[56:57], v[48:49], v[56:57], 0x3f2a01a014761f6e
	s_delay_alu instid0(VALU_DEP_1) | instskip(SKIP_1) | instid1(VALU_DEP_2)
	v_fmaak_f64 v[56:57], v[48:49], v[56:57], 0x3f56c16c1852b7b0
	v_add_f64_e32 v[58:59], v[54:55], v[50:51]
	v_fmaak_f64 v[56:57], v[48:49], v[56:57], 0x3f81111111122322
	s_delay_alu instid0(VALU_DEP_1) | instskip(NEXT) | instid1(VALU_DEP_1)
	v_fmaak_f64 v[56:57], v[48:49], v[56:57], 0x3fa55555555502a1
	v_fmaak_f64 v[56:57], v[48:49], v[56:57], 0x3fc5555555555511
	s_delay_alu instid0(VALU_DEP_1) | instskip(SKIP_1) | instid1(VALU_DEP_2)
	v_fmaak_f64 v[56:57], v[48:49], v[56:57], 0x3fe000000000000b
	v_add_f64_e64 v[54:55], v[58:59], -v[54:55]
	v_mul_f64_e32 v[60:61], v[58:59], v[56:57]
	s_delay_alu instid0(VALU_DEP_2) | instskip(NEXT) | instid1(VALU_DEP_2)
	v_add_f64_e64 v[50:51], v[50:51], -v[54:55]
	v_fma_f64 v[54:55], v[58:59], v[56:57], -v[60:61]
	s_delay_alu instid0(VALU_DEP_1) | instskip(NEXT) | instid1(VALU_DEP_1)
	v_fmac_f64_e32 v[54:55], v[50:51], v[56:57]
	v_add_f64_e32 v[50:51], v[60:61], v[54:55]
	s_delay_alu instid0(VALU_DEP_1) | instskip(SKIP_1) | instid1(VALU_DEP_2)
	v_add_f64_e32 v[56:57], v[48:49], v[50:51]
	v_add_f64_e64 v[58:59], v[50:51], -v[60:61]
	v_add_f64_e64 v[48:49], v[56:57], -v[48:49]
	s_delay_alu instid0(VALU_DEP_2) | instskip(NEXT) | instid1(VALU_DEP_2)
	v_add_f64_e64 v[54:55], v[54:55], -v[58:59]
	v_add_f64_e64 v[48:49], v[50:51], -v[48:49]
	s_delay_alu instid0(VALU_DEP_2) | instskip(NEXT) | instid1(VALU_DEP_1)
	v_add_f64_e32 v[46:47], v[46:47], v[54:55]
	v_add_f64_e32 v[46:47], v[46:47], v[48:49]
	s_delay_alu instid0(VALU_DEP_1) | instskip(NEXT) | instid1(VALU_DEP_1)
	v_add_f64_e32 v[48:49], v[56:57], v[46:47]
	v_add_f64_e32 v[50:51], 1.0, v[48:49]
	v_add_f64_e64 v[54:55], v[48:49], -v[56:57]
	s_delay_alu instid0(VALU_DEP_2) | instskip(NEXT) | instid1(VALU_DEP_2)
	v_add_f64_e32 v[56:57], -1.0, v[50:51]
	v_add_f64_e64 v[46:47], v[46:47], -v[54:55]
	s_delay_alu instid0(VALU_DEP_2) | instskip(NEXT) | instid1(VALU_DEP_1)
	v_add_f64_e64 v[48:49], v[48:49], -v[56:57]
	v_add_f64_e32 v[46:47], v[46:47], v[48:49]
	s_delay_alu instid0(VALU_DEP_1) | instskip(NEXT) | instid1(VALU_DEP_1)
	v_add_f64_e32 v[48:49], v[50:51], v[46:47]
	v_ldexp_f64 v[52:53], v[48:49], v10
	v_add_f64_e64 v[48:49], v[48:49], -v[50:51]
	s_delay_alu instid0(VALU_DEP_2) | instskip(NEXT) | instid1(VALU_DEP_1)
	v_rcp_f64_e32 v[54:55], v[52:53]
	v_add_f64_e64 v[46:47], v[46:47], -v[48:49]
	s_delay_alu instid0(VALU_DEP_1) | instskip(NEXT) | instid1(TRANS32_DEP_1)
	v_ldexp_f64 v[46:47], v[46:47], v10
	v_fma_f64 v[56:57], -v[52:53], v[54:55], 1.0
	s_delay_alu instid0(VALU_DEP_1) | instskip(NEXT) | instid1(VALU_DEP_1)
	v_fmac_f64_e32 v[54:55], v[56:57], v[54:55]
	v_fma_f64 v[56:57], -v[52:53], v[54:55], 1.0
	s_delay_alu instid0(VALU_DEP_1) | instskip(NEXT) | instid1(VALU_DEP_1)
	v_fmac_f64_e32 v[54:55], v[56:57], v[54:55]
	v_mul_f64_e32 v[48:49], v[52:53], v[54:55]
	s_delay_alu instid0(VALU_DEP_1) | instskip(NEXT) | instid1(VALU_DEP_1)
	v_fma_f64 v[50:51], v[54:55], v[52:53], -v[48:49]
	v_fmac_f64_e32 v[50:51], v[54:55], v[46:47]
	s_delay_alu instid0(VALU_DEP_1) | instskip(NEXT) | instid1(VALU_DEP_1)
	v_add_f64_e32 v[56:57], v[48:49], v[50:51]
	v_add_f64_e64 v[58:59], -v[56:57], 1.0
	v_add_f64_e64 v[48:49], v[56:57], -v[48:49]
	s_delay_alu instid0(VALU_DEP_2) | instskip(NEXT) | instid1(VALU_DEP_2)
	v_add_f64_e64 v[60:61], -v[58:59], 1.0
	v_add_f64_e64 v[48:49], v[48:49], -v[50:51]
	s_delay_alu instid0(VALU_DEP_2) | instskip(NEXT) | instid1(VALU_DEP_1)
	v_add_f64_e64 v[50:51], v[60:61], -v[56:57]
	v_add_f64_e32 v[48:49], v[48:49], v[50:51]
	s_delay_alu instid0(VALU_DEP_1) | instskip(NEXT) | instid1(VALU_DEP_1)
	v_add_f64_e32 v[50:51], v[58:59], v[48:49]
	v_mul_f64_e32 v[56:57], v[54:55], v[50:51]
	v_add_f64_e64 v[58:59], v[58:59], -v[50:51]
	s_delay_alu instid0(VALU_DEP_2) | instskip(NEXT) | instid1(VALU_DEP_2)
	v_mul_f64_e32 v[60:61], v[52:53], v[56:57]
	v_add_f64_e32 v[48:49], v[48:49], v[58:59]
	s_delay_alu instid0(VALU_DEP_2) | instskip(NEXT) | instid1(VALU_DEP_1)
	v_fma_f64 v[62:63], v[56:57], v[52:53], -v[60:61]
	v_fmac_f64_e32 v[62:63], v[56:57], v[46:47]
	s_delay_alu instid0(VALU_DEP_1) | instskip(NEXT) | instid1(VALU_DEP_1)
	v_add_f64_e32 v[70:71], v[60:61], v[62:63]
	v_add_f64_e64 v[66:67], v[50:51], -v[70:71]
	v_add_f64_e64 v[58:59], v[70:71], -v[60:61]
	v_fmaak_f64 v[60:61], v[64:65], v[68:69], 0x3f21e634a7943acf
	s_delay_alu instid0(VALU_DEP_1) | instskip(NEXT) | instid1(VALU_DEP_1)
	v_fmaak_f64 v[60:61], v[64:65], v[60:61], 0x3f2d250fdeb68feb
	v_fmaak_f64 v[60:61], v[64:65], v[60:61], 0x3f437fd9b58c4d95
	s_delay_alu instid0(VALU_DEP_1) | instskip(NEXT) | instid1(VALU_DEP_1)
	v_fmaak_f64 v[60:61], v[64:65], v[60:61], 0x3f57d5af15120e2c
	v_fmaak_f64 v[60:61], v[64:65], v[60:61], 0x3f6d6d93e09491df
	v_add_f64_e64 v[50:51], v[50:51], -v[66:67]
	v_add_f64_e64 v[58:59], v[58:59], -v[62:63]
	s_delay_alu instid0(VALU_DEP_2) | instskip(NEXT) | instid1(VALU_DEP_1)
	v_add_f64_e64 v[50:51], v[50:51], -v[70:71]
	v_add_f64_e32 v[48:49], v[48:49], v[50:51]
	v_fmaak_f64 v[50:51], v[64:65], v[60:61], 0x3f8226e12033784d
	v_add_f64_e32 v[60:61], v[54:55], v[56:57]
	s_delay_alu instid0(VALU_DEP_2) | instskip(NEXT) | instid1(VALU_DEP_1)
	v_fmaak_f64 v[50:51], v[64:65], v[50:51], 0x3f9664f49ac36ae2
	v_fmaak_f64 v[50:51], v[64:65], v[50:51], 0x3faba1ba1b451c21
	s_delay_alu instid0(VALU_DEP_1) | instskip(NEXT) | instid1(VALU_DEP_1)
	v_fmaak_f64 v[50:51], v[64:65], v[50:51], 0x3fc11111111185b7
	v_fmaak_f64 v[50:51], v[64:65], v[50:51], 0x3fd55555555554ee
	v_add_f64_e32 v[48:49], v[58:59], v[48:49]
	v_add_f64_e64 v[58:59], v[60:61], -v[54:55]
	s_delay_alu instid0(VALU_DEP_3) | instskip(NEXT) | instid1(VALU_DEP_3)
	v_mul_f64_e32 v[50:51], v[64:65], v[50:51]
	v_add_f64_e32 v[48:49], v[66:67], v[48:49]
	s_delay_alu instid0(VALU_DEP_3) | instskip(NEXT) | instid1(VALU_DEP_3)
	v_add_f64_e64 v[56:57], v[56:57], -v[58:59]
	v_mul_f64_e32 v[62:63], v[6:7], v[50:51]
	s_delay_alu instid0(VALU_DEP_3) | instskip(NEXT) | instid1(VALU_DEP_2)
	v_mul_f64_e32 v[48:49], v[54:55], v[48:49]
	v_add_f64_e32 v[54:55], v[6:7], v[62:63]
	v_fma_f64 v[50:51], v[6:7], v[50:51], -v[62:63]
	s_delay_alu instid0(VALU_DEP_3) | instskip(NEXT) | instid1(VALU_DEP_3)
	v_add_f64_e32 v[48:49], v[56:57], v[48:49]
	v_add_f64_e64 v[6:7], v[54:55], -v[6:7]
	s_delay_alu instid0(VALU_DEP_3) | instskip(NEXT) | instid1(VALU_DEP_3)
	v_add_f64_e32 v[44:45], v[44:45], v[50:51]
	v_add_f64_e32 v[56:57], v[60:61], v[48:49]
	s_delay_alu instid0(VALU_DEP_3) | instskip(NEXT) | instid1(VALU_DEP_2)
	v_add_f64_e64 v[6:7], v[62:63], -v[6:7]
	v_ldexp_f64 v[50:51], v[56:57], -2
	v_add_f64_e64 v[56:57], v[56:57], -v[60:61]
	s_delay_alu instid0(VALU_DEP_3) | instskip(NEXT) | instid1(VALU_DEP_3)
	v_add_f64_e32 v[6:7], v[44:45], v[6:7]
	v_add_f64_e64 v[44:45], v[52:53], -v[50:51]
	s_delay_alu instid0(VALU_DEP_3) | instskip(NEXT) | instid1(VALU_DEP_3)
	v_add_f64_e64 v[48:49], v[48:49], -v[56:57]
	v_add_f64_e32 v[58:59], v[54:55], v[6:7]
	s_delay_alu instid0(VALU_DEP_3) | instskip(NEXT) | instid1(VALU_DEP_3)
	v_add_f64_e64 v[52:53], v[52:53], -v[44:45]
	v_ldexp_f64 v[48:49], v[48:49], -2
	s_delay_alu instid0(VALU_DEP_3) | instskip(NEXT) | instid1(VALU_DEP_2)
	v_rcp_f64_e32 v[60:61], v[58:59]
	v_add_f64_e64 v[50:51], v[52:53], -v[50:51]
	s_delay_alu instid0(TRANS32_DEP_1) | instskip(NEXT) | instid1(VALU_DEP_2)
	v_fma_f64 v[52:53], -v[58:59], v[60:61], 1.0
	v_add_f64_e32 v[46:47], v[46:47], v[50:51]
	s_delay_alu instid0(VALU_DEP_2) | instskip(NEXT) | instid1(VALU_DEP_2)
	v_fmac_f64_e32 v[60:61], v[52:53], v[60:61]
	v_add_f64_e64 v[46:47], v[46:47], -v[48:49]
	s_delay_alu instid0(VALU_DEP_2) | instskip(NEXT) | instid1(VALU_DEP_2)
	v_fma_f64 v[48:49], -v[58:59], v[60:61], 1.0
	v_add_f64_e32 v[44:45], v[44:45], v[46:47]
	s_delay_alu instid0(VALU_DEP_2) | instskip(NEXT) | instid1(VALU_DEP_2)
	v_fmac_f64_e32 v[60:61], v[48:49], v[60:61]
	v_cndmask_b32_e32 v10, 0x7ff00000, v45, vcc_lo
	s_delay_alu instid0(VALU_DEP_3) | instskip(SKIP_4) | instid1(VALU_DEP_3)
	v_cndmask_b32_e32 v27, 0, v44, vcc_lo
	v_cmp_gt_f64_e64 vcc_lo, 0x3e400000, |v[12:13]|
	v_and_b32_e32 v13, 0x7fffffff, v13
	v_add_f64_e64 v[44:45], v[58:59], -v[54:55]
	v_mul_f64_e32 v[46:47], v[58:59], v[60:61]
	v_dual_cndmask_b32 v10, v10, v13, vcc_lo :: v_dual_cndmask_b32 v12, v27, v12, vcc_lo
	s_delay_alu instid0(VALU_DEP_3) | instskip(NEXT) | instid1(VALU_DEP_2)
	v_add_f64_e64 v[6:7], v[6:7], -v[44:45]
	v_bfi_b32 v13, 0x7fffffff, v10, v9
	s_delay_alu instid0(VALU_DEP_4) | instskip(NEXT) | instid1(VALU_DEP_2)
	v_fma_f64 v[44:45], v[60:61], v[58:59], -v[46:47]
	v_fma_f64 v[48:49], v[12:13], v[12:13], 1.0
	s_delay_alu instid0(VALU_DEP_2) | instskip(NEXT) | instid1(VALU_DEP_2)
	v_fmac_f64_e32 v[44:45], v[60:61], v[6:7]
	v_cmp_gt_f64_e32 vcc_lo, 0x10000000, v[48:49]
	v_cndmask_b32_e64 v9, 0, 0x100, vcc_lo
	s_delay_alu instid0(VALU_DEP_1) | instskip(NEXT) | instid1(VALU_DEP_4)
	v_ldexp_f64 v[6:7], v[48:49], v9
	v_add_f64_e32 v[48:49], v[46:47], v[44:45]
	s_delay_alu instid0(VALU_DEP_2) | instskip(NEXT) | instid1(VALU_DEP_1)
	v_rsq_f64_e32 v[50:51], v[6:7]
	v_add_f64_e64 v[52:53], -v[48:49], 1.0
	v_add_f64_e64 v[46:47], v[48:49], -v[46:47]
	s_delay_alu instid0(VALU_DEP_2) | instskip(NEXT) | instid1(VALU_DEP_2)
	v_add_f64_e64 v[56:57], -v[52:53], 1.0
	v_add_f64_e64 v[44:45], v[46:47], -v[44:45]
	s_delay_alu instid0(TRANS32_DEP_1) | instskip(SKIP_1) | instid1(VALU_DEP_4)
	v_mul_f64_e32 v[54:55], v[6:7], v[50:51]
	v_mul_f64_e32 v[50:51], 0.5, v[50:51]
	v_add_f64_e64 v[46:47], v[56:57], -v[48:49]
	s_delay_alu instid0(VALU_DEP_2) | instskip(NEXT) | instid1(VALU_DEP_2)
	v_fma_f64 v[62:63], -v[50:51], v[54:55], 0.5
	v_add_f64_e32 v[44:45], v[44:45], v[46:47]
	s_delay_alu instid0(VALU_DEP_2) | instskip(SKIP_1) | instid1(VALU_DEP_3)
	v_fmac_f64_e32 v[54:55], v[54:55], v[62:63]
	v_fmac_f64_e32 v[50:51], v[50:51], v[62:63]
	v_add_f64_e32 v[44:45], v[52:53], v[44:45]
	s_delay_alu instid0(VALU_DEP_3) | instskip(NEXT) | instid1(VALU_DEP_2)
	v_fma_f64 v[46:47], -v[54:55], v[54:55], v[6:7]
	v_mul_f64_e32 v[44:45], v[60:61], v[44:45]
	s_delay_alu instid0(VALU_DEP_2) | instskip(NEXT) | instid1(VALU_DEP_2)
	v_fmac_f64_e32 v[54:55], v[46:47], v[50:51]
	v_add_f64_e32 v[44:45], v[60:61], v[44:45]
	s_delay_alu instid0(VALU_DEP_2) | instskip(NEXT) | instid1(VALU_DEP_2)
	v_fma_f64 v[46:47], -v[54:55], v[54:55], v[6:7]
	v_xor_b32_e32 v9, 0x80000000, v45
	s_delay_alu instid0(VALU_DEP_1) | instskip(NEXT) | instid1(VALU_DEP_3)
	v_dual_cndmask_b32 v10, v44, v58, s4 :: v_dual_cndmask_b32 v8, v9, v59, s4
	v_fmac_f64_e32 v[54:55], v[46:47], v[50:51]
	v_cndmask_b32_e64 v9, 0, 0xffffff80, vcc_lo
	v_cmp_class_f64_e64 vcc_lo, v[6:7], 0x260
	s_delay_alu instid0(VALU_DEP_4) | instskip(NEXT) | instid1(VALU_DEP_1)
	v_bitop3_b32 v11, v8, v11, 0x80000000 bitop3:0x78
	v_fma_f64 v[44:45], v[10:11], v[10:11], 1.0
	s_delay_alu instid0(VALU_DEP_4) | instskip(NEXT) | instid1(VALU_DEP_1)
	v_ldexp_f64 v[8:9], v[54:55], v9
	v_dual_cndmask_b32 v7, v9, v7 :: v_dual_cndmask_b32 v6, v8, v6
	s_delay_alu instid0(VALU_DEP_3) | instskip(NEXT) | instid1(VALU_DEP_2)
	v_mul_f64_e32 v[8:9], v[12:13], v[44:45]
	v_mul_f64_e32 v[6:7], v[6:7], v[44:45]
	s_delay_alu instid0(VALU_DEP_2) | instskip(NEXT) | instid1(VALU_DEP_2)
	v_fma_f64 v[44:45], v[12:13], v[8:9], 1.0
	v_mul_f64_e32 v[6:7], v[12:13], v[6:7]
	s_delay_alu instid0(VALU_DEP_2) | instskip(NEXT) | instid1(VALU_DEP_2)
	v_div_scale_f64 v[12:13], null, v[44:45], v[44:45], v[10:11]
	v_div_scale_f64 v[8:9], null, v[44:45], v[44:45], v[6:7]
	v_div_scale_f64 v[54:55], vcc_lo, v[6:7], v[44:45], v[6:7]
	s_delay_alu instid0(VALU_DEP_3) | instskip(NEXT) | instid1(VALU_DEP_2)
	v_rcp_f64_e32 v[48:49], v[12:13]
	v_rcp_f64_e32 v[46:47], v[8:9]
	s_delay_alu instid0(TRANS32_DEP_2) | instskip(NEXT) | instid1(TRANS32_DEP_1)
	v_fma_f64 v[52:53], -v[12:13], v[48:49], 1.0
	v_fma_f64 v[50:51], -v[8:9], v[46:47], 1.0
	s_delay_alu instid0(VALU_DEP_2) | instskip(NEXT) | instid1(VALU_DEP_2)
	v_fmac_f64_e32 v[48:49], v[48:49], v[52:53]
	v_fmac_f64_e32 v[46:47], v[46:47], v[50:51]
	s_delay_alu instid0(VALU_DEP_2) | instskip(NEXT) | instid1(VALU_DEP_2)
	v_fma_f64 v[52:53], -v[12:13], v[48:49], 1.0
	v_fma_f64 v[50:51], -v[8:9], v[46:47], 1.0
	s_delay_alu instid0(VALU_DEP_2) | instskip(NEXT) | instid1(VALU_DEP_2)
	v_fmac_f64_e32 v[48:49], v[48:49], v[52:53]
	v_fmac_f64_e32 v[46:47], v[46:47], v[50:51]
	v_div_scale_f64 v[50:51], s4, v[10:11], v[44:45], v[10:11]
	s_delay_alu instid0(VALU_DEP_2) | instskip(NEXT) | instid1(VALU_DEP_2)
	v_mul_f64_e32 v[52:53], v[54:55], v[46:47]
	v_mul_f64_e32 v[56:57], v[50:51], v[48:49]
	s_delay_alu instid0(VALU_DEP_2) | instskip(NEXT) | instid1(VALU_DEP_2)
	v_fma_f64 v[8:9], -v[8:9], v[52:53], v[54:55]
	v_fma_f64 v[12:13], -v[12:13], v[56:57], v[50:51]
	s_delay_alu instid0(VALU_DEP_2) | instskip(SKIP_1) | instid1(VALU_DEP_2)
	v_div_fmas_f64 v[8:9], v[8:9], v[46:47], v[52:53]
	s_mov_b32 vcc_lo, s4
	v_div_fmas_f64 v[12:13], v[12:13], v[48:49], v[56:57]
	s_delay_alu instid0(VALU_DEP_2) | instskip(NEXT) | instid1(VALU_DEP_2)
	v_div_fixup_f64 v[8:9], v[8:9], v[44:45], v[6:7]
	v_div_fixup_f64 v[6:7], v[12:13], v[44:45], v[10:11]
                                        ; implicit-def: $vgpr10_vgpr11
.LBB93_177:                             ;   in Loop: Header=BB93_161 Depth=1
	s_and_not1_saveexec_b32 s4, s35
	s_cbranch_execz .LBB93_197
; %bb.178:                              ;   in Loop: Header=BB93_161 Depth=1
	v_cmp_ngt_f64_e64 s35, 0x41d00000, |v[10:11]|
                                        ; implicit-def: $vgpr8
                                        ; implicit-def: $vgpr6_vgpr7
                                        ; implicit-def: $vgpr44_vgpr45
	s_and_saveexec_b32 s36, s35
	s_delay_alu instid0(SALU_CYCLE_1)
	s_xor_b32 s36, exec_lo, s36
	s_cbranch_execz .LBB93_180
; %bb.179:                              ;   in Loop: Header=BB93_161 Depth=1
	v_ldexp_f64 v[6:7], |v[10:11]|, 0xffffff80
	v_cmp_le_f64_e64 vcc_lo, 0x7b000000, |v[10:11]|
	v_trig_preop_f64 v[44:45], |v[10:11]|, 0
	v_and_b32_e32 v8, 0x7fffffff, v11
	v_trig_preop_f64 v[46:47], |v[10:11]|, 1
	v_trig_preop_f64 v[56:57], |v[10:11]|, 2
	s_delay_alu instid0(VALU_DEP_3) | instskip(NEXT) | instid1(VALU_DEP_1)
	v_dual_cndmask_b32 v7, v8, v7 :: v_dual_cndmask_b32 v6, v10, v6
	v_mul_f64_e32 v[48:49], v[44:45], v[6:7]
	s_delay_alu instid0(VALU_DEP_4) | instskip(NEXT) | instid1(VALU_DEP_4)
	v_mul_f64_e32 v[50:51], v[46:47], v[6:7]
	v_mul_f64_e32 v[62:63], v[56:57], v[6:7]
	s_delay_alu instid0(VALU_DEP_3) | instskip(NEXT) | instid1(VALU_DEP_3)
	v_fma_f64 v[44:45], v[44:45], v[6:7], -v[48:49]
	v_fma_f64 v[46:47], v[46:47], v[6:7], -v[50:51]
	s_delay_alu instid0(VALU_DEP_3) | instskip(NEXT) | instid1(VALU_DEP_3)
	v_fma_f64 v[6:7], v[56:57], v[6:7], -v[62:63]
	v_add_f64_e32 v[52:53], v[50:51], v[44:45]
	s_delay_alu instid0(VALU_DEP_1) | instskip(SKIP_1) | instid1(VALU_DEP_2)
	v_add_f64_e64 v[54:55], v[52:53], -v[50:51]
	v_add_f64_e32 v[60:61], v[48:49], v[52:53]
	v_add_f64_e64 v[58:59], v[52:53], -v[54:55]
	v_add_f64_e64 v[44:45], v[44:45], -v[54:55]
	s_delay_alu instid0(VALU_DEP_3) | instskip(NEXT) | instid1(VALU_DEP_3)
	v_ldexp_f64 v[54:55], v[60:61], -2
	v_add_f64_e64 v[50:51], v[50:51], -v[58:59]
	v_add_f64_e32 v[58:59], v[62:63], v[46:47]
	s_delay_alu instid0(VALU_DEP_3) | instskip(NEXT) | instid1(VALU_DEP_3)
	v_cmp_neq_f64_e64 vcc_lo, 0x7ff00000, |v[54:55]|
	v_add_f64_e32 v[44:45], v[44:45], v[50:51]
	v_fract_f64_e32 v[50:51], v[54:55]
	s_delay_alu instid0(VALU_DEP_1) | instskip(NEXT) | instid1(VALU_DEP_1)
	v_ldexp_f64 v[50:51], v[50:51], 2
	v_dual_add_f64 v[48:49], v[60:61], -v[48:49] :: v_dual_cndmask_b32 v50, 0, v50, vcc_lo
	s_delay_alu instid0(VALU_DEP_1) | instskip(SKIP_1) | instid1(VALU_DEP_1)
	v_dual_add_f64 v[48:49], v[52:53], -v[48:49] :: v_dual_cndmask_b32 v51, 0, v51, vcc_lo
	v_add_f64_e32 v[52:53], v[58:59], v[44:45]
	v_add_f64_e32 v[54:55], v[48:49], v[52:53]
	v_add_f64_e64 v[64:65], v[52:53], -v[58:59]
	s_delay_alu instid0(VALU_DEP_2) | instskip(NEXT) | instid1(VALU_DEP_2)
	v_add_f64_e32 v[60:61], v[54:55], v[50:51]
	v_add_f64_e64 v[70:71], v[52:53], -v[64:65]
	v_add_f64_e64 v[44:45], v[44:45], -v[64:65]
	;; [unrolled: 1-line block ×3, first 2 shown]
	s_delay_alu instid0(VALU_DEP_4) | instskip(SKIP_1) | instid1(VALU_DEP_3)
	v_cmp_gt_f64_e32 vcc_lo, 0, v[60:61]
	v_add_f64_e64 v[60:61], v[58:59], -v[62:63]
	v_add_f64_e64 v[48:49], v[52:53], -v[48:49]
	v_cndmask_b32_e64 v27, 0, 0x40100000, vcc_lo
	s_delay_alu instid0(VALU_DEP_3) | instskip(SKIP_2) | instid1(VALU_DEP_4)
	v_add_f64_e64 v[68:69], v[58:59], -v[60:61]
	v_add_f64_e64 v[46:47], v[46:47], -v[60:61]
	v_add_f64_e64 v[58:59], v[58:59], -v[70:71]
	v_add_f64_e32 v[50:51], v[50:51], v[26:27]
	s_delay_alu instid0(VALU_DEP_4) | instskip(NEXT) | instid1(VALU_DEP_3)
	v_add_f64_e64 v[60:61], v[62:63], -v[68:69]
	v_add_f64_e32 v[44:45], v[44:45], v[58:59]
	s_delay_alu instid0(VALU_DEP_3) | instskip(NEXT) | instid1(VALU_DEP_3)
	v_add_f64_e32 v[66:67], v[54:55], v[50:51]
	v_add_f64_e32 v[46:47], v[46:47], v[60:61]
	s_delay_alu instid0(VALU_DEP_2) | instskip(NEXT) | instid1(VALU_DEP_2)
	v_cvt_i32_f64_e32 v8, v[66:67]
	v_add_f64_e32 v[44:45], v[46:47], v[44:45]
	s_delay_alu instid0(VALU_DEP_2) | instskip(NEXT) | instid1(VALU_DEP_2)
	v_cvt_f64_i32_e32 v[64:65], v8
	v_add_f64_e32 v[6:7], v[6:7], v[44:45]
	s_delay_alu instid0(VALU_DEP_2) | instskip(NEXT) | instid1(VALU_DEP_2)
	v_add_f64_e64 v[50:51], v[50:51], -v[64:65]
	v_add_f64_e32 v[6:7], v[48:49], v[6:7]
	s_delay_alu instid0(VALU_DEP_2) | instskip(NEXT) | instid1(VALU_DEP_1)
	v_add_f64_e32 v[46:47], v[54:55], v[50:51]
	v_add_f64_e64 v[44:45], v[46:47], -v[50:51]
	v_cmp_le_f64_e32 vcc_lo, 0.5, v[46:47]
	s_delay_alu instid0(VALU_DEP_2) | instskip(SKIP_2) | instid1(VALU_DEP_3)
	v_add_f64_e64 v[44:45], v[54:55], -v[44:45]
	v_cndmask_b32_e64 v27, 0, 0x3ff00000, vcc_lo
	v_add_co_ci_u32_e64 v8, null, 0, v8, vcc_lo
	v_add_f64_e32 v[6:7], v[6:7], v[44:45]
	s_delay_alu instid0(VALU_DEP_3) | instskip(NEXT) | instid1(VALU_DEP_1)
	v_add_f64_e64 v[44:45], v[46:47], -v[26:27]
	v_add_f64_e32 v[46:47], v[44:45], v[6:7]
	s_delay_alu instid0(VALU_DEP_1) | instskip(SKIP_1) | instid1(VALU_DEP_2)
	v_mul_f64_e32 v[48:49], 0x3ff921fb54442d18, v[46:47]
	v_add_f64_e64 v[44:45], v[46:47], -v[44:45]
	v_fma_f64 v[50:51], v[46:47], s[12:13], -v[48:49]
	s_delay_alu instid0(VALU_DEP_2) | instskip(NEXT) | instid1(VALU_DEP_2)
	v_add_f64_e64 v[6:7], v[6:7], -v[44:45]
	v_fmac_f64_e32 v[50:51], 0x3c91a62633145c07, v[46:47]
	s_delay_alu instid0(VALU_DEP_1) | instskip(NEXT) | instid1(VALU_DEP_1)
	v_fmac_f64_e32 v[50:51], 0x3ff921fb54442d18, v[6:7]
	v_add_f64_e32 v[6:7], v[48:49], v[50:51]
	s_delay_alu instid0(VALU_DEP_1) | instskip(NEXT) | instid1(VALU_DEP_1)
	v_add_f64_e64 v[44:45], v[6:7], -v[48:49]
	v_add_f64_e64 v[44:45], v[50:51], -v[44:45]
	s_and_not1_saveexec_b32 s36, s36
	s_cbranch_execz .LBB93_182
	s_branch .LBB93_181
.LBB93_180:                             ;   in Loop: Header=BB93_161 Depth=1
	s_and_not1_saveexec_b32 s36, s36
	s_cbranch_execz .LBB93_182
.LBB93_181:                             ;   in Loop: Header=BB93_161 Depth=1
	v_mul_f64_e64 v[6:7], |v[10:11]|, s[14:15]
	s_delay_alu instid0(VALU_DEP_1) | instskip(NEXT) | instid1(VALU_DEP_1)
	v_rndne_f64_e32 v[46:47], v[6:7]
	v_fma_f64 v[6:7], v[46:47], s[16:17], |v[10:11]|
	v_mul_f64_e32 v[44:45], 0xbc91a62633145c00, v[46:47]
	v_cvt_i32_f64_e32 v8, v[46:47]
	s_delay_alu instid0(VALU_DEP_3) | instskip(NEXT) | instid1(VALU_DEP_3)
	v_fmamk_f64 v[52:53], v[46:47], 0xbc91a62633145c00, v[6:7]
	v_add_f64_e32 v[48:49], v[6:7], v[44:45]
	s_delay_alu instid0(VALU_DEP_1) | instskip(NEXT) | instid1(VALU_DEP_3)
	v_add_f64_e64 v[50:51], v[6:7], -v[48:49]
	v_add_f64_e64 v[6:7], v[48:49], -v[52:53]
	s_delay_alu instid0(VALU_DEP_2) | instskip(SKIP_1) | instid1(VALU_DEP_2)
	v_add_f64_e32 v[48:49], v[50:51], v[44:45]
	v_fmamk_f64 v[44:45], v[46:47], 0x3c91a62633145c00, v[44:45]
	v_add_f64_e32 v[6:7], v[6:7], v[48:49]
	s_delay_alu instid0(VALU_DEP_1) | instskip(NEXT) | instid1(VALU_DEP_1)
	v_add_f64_e64 v[44:45], v[6:7], -v[44:45]
	v_fmac_f64_e32 v[44:45], 0xb97b839a252049c0, v[46:47]
	s_delay_alu instid0(VALU_DEP_1) | instskip(NEXT) | instid1(VALU_DEP_1)
	v_add_f64_e32 v[6:7], v[52:53], v[44:45]
	v_add_f64_e64 v[48:49], v[6:7], -v[52:53]
	s_delay_alu instid0(VALU_DEP_1)
	v_add_f64_e64 v[44:45], v[44:45], -v[48:49]
.LBB93_182:                             ;   in Loop: Header=BB93_161 Depth=1
	s_or_b32 exec_lo, exec_lo, s36
                                        ; implicit-def: $vgpr50
                                        ; implicit-def: $vgpr46_vgpr47
                                        ; implicit-def: $vgpr48_vgpr49
	s_and_saveexec_b32 s36, s35
	s_delay_alu instid0(SALU_CYCLE_1)
	s_xor_b32 s35, exec_lo, s36
	s_cbranch_execz .LBB93_184
; %bb.183:                              ;   in Loop: Header=BB93_161 Depth=1
	v_ldexp_f64 v[46:47], |v[10:11]|, 0xffffff80
	v_cmp_le_f64_e64 vcc_lo, 0x7b000000, |v[10:11]|
	v_trig_preop_f64 v[48:49], |v[10:11]|, 0
	v_and_b32_e32 v27, 0x7fffffff, v11
	v_trig_preop_f64 v[50:51], |v[10:11]|, 1
	v_trig_preop_f64 v[60:61], |v[10:11]|, 2
	s_delay_alu instid0(VALU_DEP_3) | instskip(NEXT) | instid1(VALU_DEP_1)
	v_dual_cndmask_b32 v47, v27, v47 :: v_dual_cndmask_b32 v46, v10, v46
	v_mul_f64_e32 v[52:53], v[48:49], v[46:47]
	s_delay_alu instid0(VALU_DEP_4) | instskip(NEXT) | instid1(VALU_DEP_4)
	v_mul_f64_e32 v[54:55], v[50:51], v[46:47]
	v_mul_f64_e32 v[66:67], v[60:61], v[46:47]
	s_delay_alu instid0(VALU_DEP_3) | instskip(NEXT) | instid1(VALU_DEP_3)
	v_fma_f64 v[48:49], v[48:49], v[46:47], -v[52:53]
	v_fma_f64 v[50:51], v[50:51], v[46:47], -v[54:55]
	s_delay_alu instid0(VALU_DEP_3) | instskip(NEXT) | instid1(VALU_DEP_3)
	v_fma_f64 v[46:47], v[60:61], v[46:47], -v[66:67]
	v_add_f64_e32 v[56:57], v[54:55], v[48:49]
	s_delay_alu instid0(VALU_DEP_1) | instskip(SKIP_1) | instid1(VALU_DEP_2)
	v_add_f64_e64 v[58:59], v[56:57], -v[54:55]
	v_add_f64_e32 v[64:65], v[52:53], v[56:57]
	v_add_f64_e64 v[62:63], v[56:57], -v[58:59]
	v_add_f64_e64 v[48:49], v[48:49], -v[58:59]
	s_delay_alu instid0(VALU_DEP_3) | instskip(NEXT) | instid1(VALU_DEP_3)
	v_ldexp_f64 v[58:59], v[64:65], -2
	v_add_f64_e64 v[54:55], v[54:55], -v[62:63]
	v_add_f64_e32 v[62:63], v[66:67], v[50:51]
	s_delay_alu instid0(VALU_DEP_3) | instskip(NEXT) | instid1(VALU_DEP_3)
	v_cmp_neq_f64_e64 vcc_lo, 0x7ff00000, |v[58:59]|
	v_add_f64_e32 v[48:49], v[48:49], v[54:55]
	v_fract_f64_e32 v[54:55], v[58:59]
	s_delay_alu instid0(VALU_DEP_1) | instskip(NEXT) | instid1(VALU_DEP_1)
	v_ldexp_f64 v[54:55], v[54:55], 2
	v_dual_add_f64 v[52:53], v[64:65], -v[52:53] :: v_dual_cndmask_b32 v54, 0, v54, vcc_lo
	s_delay_alu instid0(VALU_DEP_1) | instskip(SKIP_1) | instid1(VALU_DEP_1)
	v_dual_add_f64 v[52:53], v[56:57], -v[52:53] :: v_dual_cndmask_b32 v55, 0, v55, vcc_lo
	v_add_f64_e32 v[56:57], v[62:63], v[48:49]
	v_add_f64_e32 v[58:59], v[52:53], v[56:57]
	v_add_f64_e64 v[68:69], v[56:57], -v[62:63]
	s_delay_alu instid0(VALU_DEP_2) | instskip(NEXT) | instid1(VALU_DEP_2)
	v_add_f64_e32 v[64:65], v[58:59], v[54:55]
	v_add_f64_e64 v[74:75], v[56:57], -v[68:69]
	v_add_f64_e64 v[48:49], v[48:49], -v[68:69]
	;; [unrolled: 1-line block ×3, first 2 shown]
	s_delay_alu instid0(VALU_DEP_4) | instskip(SKIP_2) | instid1(VALU_DEP_2)
	v_cmp_gt_f64_e32 vcc_lo, 0, v[64:65]
	v_add_f64_e64 v[64:65], v[62:63], -v[66:67]
	v_cndmask_b32_e64 v27, 0, 0x40100000, vcc_lo
	v_add_f64_e64 v[72:73], v[62:63], -v[64:65]
	v_add_f64_e64 v[50:51], v[50:51], -v[64:65]
	;; [unrolled: 1-line block ×3, first 2 shown]
	s_delay_alu instid0(VALU_DEP_4) | instskip(NEXT) | instid1(VALU_DEP_4)
	v_add_f64_e32 v[54:55], v[54:55], v[26:27]
	v_add_f64_e64 v[64:65], v[66:67], -v[72:73]
	s_delay_alu instid0(VALU_DEP_3) | instskip(NEXT) | instid1(VALU_DEP_3)
	v_add_f64_e32 v[48:49], v[48:49], v[62:63]
	v_add_f64_e32 v[70:71], v[58:59], v[54:55]
	s_delay_alu instid0(VALU_DEP_3) | instskip(NEXT) | instid1(VALU_DEP_2)
	v_add_f64_e32 v[50:51], v[50:51], v[64:65]
	v_cvt_i32_f64_e32 v27, v[70:71]
	s_delay_alu instid0(VALU_DEP_2) | instskip(SKIP_1) | instid1(VALU_DEP_3)
	v_add_f64_e32 v[48:49], v[50:51], v[48:49]
	v_add_f64_e64 v[50:51], v[56:57], -v[52:53]
	v_cvt_f64_i32_e32 v[68:69], v27
	s_delay_alu instid0(VALU_DEP_3) | instskip(NEXT) | instid1(VALU_DEP_2)
	v_add_f64_e32 v[46:47], v[46:47], v[48:49]
	v_add_f64_e64 v[54:55], v[54:55], -v[68:69]
	s_delay_alu instid0(VALU_DEP_2) | instskip(NEXT) | instid1(VALU_DEP_2)
	v_add_f64_e32 v[46:47], v[50:51], v[46:47]
	v_add_f64_e32 v[60:61], v[58:59], v[54:55]
	s_delay_alu instid0(VALU_DEP_1) | instskip(SKIP_1) | instid1(VALU_DEP_2)
	v_add_f64_e64 v[48:49], v[60:61], -v[54:55]
	v_cmp_le_f64_e32 vcc_lo, 0.5, v[60:61]
	v_add_f64_e64 v[48:49], v[58:59], -v[48:49]
	v_add_co_ci_u32_e64 v50, null, 0, v27, vcc_lo
	v_cndmask_b32_e64 v27, 0, 0x3ff00000, vcc_lo
	s_delay_alu instid0(VALU_DEP_3) | instskip(NEXT) | instid1(VALU_DEP_2)
	v_add_f64_e32 v[46:47], v[46:47], v[48:49]
	v_add_f64_e64 v[48:49], v[60:61], -v[26:27]
	s_delay_alu instid0(VALU_DEP_1) | instskip(NEXT) | instid1(VALU_DEP_1)
	v_add_f64_e32 v[52:53], v[48:49], v[46:47]
	v_mul_f64_e32 v[54:55], 0x3ff921fb54442d18, v[52:53]
	v_add_f64_e64 v[48:49], v[52:53], -v[48:49]
	s_delay_alu instid0(VALU_DEP_2) | instskip(NEXT) | instid1(VALU_DEP_2)
	v_fma_f64 v[56:57], v[52:53], s[12:13], -v[54:55]
	v_add_f64_e64 v[46:47], v[46:47], -v[48:49]
	s_delay_alu instid0(VALU_DEP_2) | instskip(NEXT) | instid1(VALU_DEP_1)
	v_fmac_f64_e32 v[56:57], 0x3c91a62633145c07, v[52:53]
	v_fmac_f64_e32 v[56:57], 0x3ff921fb54442d18, v[46:47]
	s_delay_alu instid0(VALU_DEP_1) | instskip(NEXT) | instid1(VALU_DEP_1)
	v_add_f64_e32 v[46:47], v[54:55], v[56:57]
	v_add_f64_e64 v[48:49], v[46:47], -v[54:55]
	s_delay_alu instid0(VALU_DEP_1)
	v_add_f64_e64 v[48:49], v[56:57], -v[48:49]
	s_and_not1_saveexec_b32 s35, s35
	s_cbranch_execnz .LBB93_185
	s_branch .LBB93_186
.LBB93_184:                             ;   in Loop: Header=BB93_161 Depth=1
	s_and_not1_saveexec_b32 s35, s35
	s_cbranch_execz .LBB93_186
.LBB93_185:                             ;   in Loop: Header=BB93_161 Depth=1
	v_mul_f64_e64 v[46:47], |v[10:11]|, s[14:15]
	s_delay_alu instid0(VALU_DEP_1) | instskip(NEXT) | instid1(VALU_DEP_1)
	v_rndne_f64_e32 v[50:51], v[46:47]
	v_fma_f64 v[46:47], v[50:51], s[16:17], |v[10:11]|
	v_mul_f64_e32 v[48:49], 0xbc91a62633145c00, v[50:51]
	s_delay_alu instid0(VALU_DEP_2) | instskip(NEXT) | instid1(VALU_DEP_2)
	v_fmamk_f64 v[56:57], v[50:51], 0xbc91a62633145c00, v[46:47]
	v_add_f64_e32 v[52:53], v[46:47], v[48:49]
	s_delay_alu instid0(VALU_DEP_1) | instskip(NEXT) | instid1(VALU_DEP_3)
	v_add_f64_e64 v[54:55], v[46:47], -v[52:53]
	v_add_f64_e64 v[46:47], v[52:53], -v[56:57]
	s_delay_alu instid0(VALU_DEP_2) | instskip(SKIP_1) | instid1(VALU_DEP_2)
	v_add_f64_e32 v[52:53], v[54:55], v[48:49]
	v_fmamk_f64 v[48:49], v[50:51], 0x3c91a62633145c00, v[48:49]
	v_add_f64_e32 v[46:47], v[46:47], v[52:53]
	s_delay_alu instid0(VALU_DEP_1) | instskip(NEXT) | instid1(VALU_DEP_1)
	v_add_f64_e64 v[48:49], v[46:47], -v[48:49]
	v_fmac_f64_e32 v[48:49], 0xb97b839a252049c0, v[50:51]
	v_cvt_i32_f64_e32 v50, v[50:51]
	s_delay_alu instid0(VALU_DEP_2) | instskip(NEXT) | instid1(VALU_DEP_1)
	v_add_f64_e32 v[46:47], v[56:57], v[48:49]
	v_add_f64_e64 v[52:53], v[46:47], -v[56:57]
	s_delay_alu instid0(VALU_DEP_1)
	v_add_f64_e64 v[48:49], v[48:49], -v[52:53]
.LBB93_186:                             ;   in Loop: Header=BB93_161 Depth=1
	s_or_b32 exec_lo, exec_lo, s35
	v_dual_mul_f64 v[52:53], v[6:7], v[6:7] :: v_dual_bitop2_b32 v10, 1, v8 bitop3:0x40
	v_dual_mul_f64 v[54:55], v[46:47], v[46:47] :: v_dual_lshlrev_b32 v8, 30, v8
	s_delay_alu instid0(VALU_DEP_3) | instskip(SKIP_1) | instid1(VALU_DEP_4)
	v_mul_f64_e32 v[76:77], 0.5, v[48:49]
	v_mul_f64_e64 v[58:59], |v[12:13]|, s[26:27]
	v_cmp_eq_u32_e32 vcc_lo, 0, v10
	s_delay_alu instid0(VALU_DEP_4)
	v_dual_mul_f64 v[64:65], 0.5, v[44:45] :: v_dual_bitop2_b32 v8, v8, v11 bitop3:0x14
	v_mul_f64_e64 v[66:67], v[6:7], -v[52:53]
	v_mul_f64_e32 v[56:57], 0.5, v[52:53]
	v_fmamk_f64 v[72:73], v[52:53], 0x3de5e0b2f9a43bb8, v[34:35]
	v_mul_f64_e64 v[78:79], v[46:47], -v[54:55]
	v_fmamk_f64 v[80:81], v[54:55], 0x3de5e0b2f9a43bb8, v[34:35]
	v_rndne_f64_e32 v[58:59], v[58:59]
	s_delay_alu instid0(VALU_DEP_4) | instskip(NEXT) | instid1(VALU_DEP_1)
	v_fmaak_f64 v[72:73], v[52:53], v[72:73], 0x3ec71de3796cde01
	v_fmaak_f64 v[72:73], v[52:53], v[72:73], 0xbf2a01a019e83e5c
	s_delay_alu instid0(VALU_DEP_1) | instskip(NEXT) | instid1(VALU_DEP_1)
	v_fmaak_f64 v[72:73], v[52:53], v[72:73], 0x3f81111111110bb3
	v_fmac_f64_e32 v[64:65], v[66:67], v[72:73]
	v_add_f64_e64 v[62:63], -v[56:57], 1.0
	v_fma_f64 v[74:75], v[58:59], s[18:19], -|v[12:13]|
	v_cvt_i32_f64_e32 v27, v[58:59]
	s_delay_alu instid0(VALU_DEP_4) | instskip(NEXT) | instid1(VALU_DEP_4)
	v_fma_f64 v[64:65], v[52:53], v[64:65], -v[44:45]
	v_add_f64_e64 v[70:71], -v[62:63], 1.0
	s_delay_alu instid0(VALU_DEP_4) | instskip(NEXT) | instid1(VALU_DEP_3)
	v_fmac_f64_e32 v[74:75], 0xbc7abc9e3b39803f, v[58:59]
	v_fmac_f64_e32 v[64:65], 0xbfc5555555555555, v[66:67]
	s_delay_alu instid0(VALU_DEP_3) | instskip(SKIP_2) | instid1(VALU_DEP_2)
	v_add_f64_e64 v[56:57], v[70:71], -v[56:57]
	v_fmaak_f64 v[70:71], v[54:55], v[80:81], 0x3ec71de3796cde01
	v_fmamk_f64 v[80:81], v[52:53], 0xbda907db46cc5e42, v[32:33]
	v_fmaak_f64 v[70:71], v[54:55], v[70:71], 0xbf2a01a019e83e5c
	s_delay_alu instid0(VALU_DEP_1) | instskip(NEXT) | instid1(VALU_DEP_1)
	v_fmaak_f64 v[70:71], v[54:55], v[70:71], 0x3f81111111110bb3
	v_fmac_f64_e32 v[76:77], v[78:79], v[70:71]
	v_mul_f64_e32 v[70:71], v[52:53], v[52:53]
	v_fma_f64 v[44:45], v[6:7], -v[44:45], v[56:57]
	v_fmaak_f64 v[56:57], v[52:53], v[80:81], 0xbe927e4fa17f65f6
	v_add_f64_e64 v[6:7], v[6:7], -v[64:65]
	v_mul_f64_e32 v[80:81], v[54:55], v[54:55]
	s_delay_alu instid0(VALU_DEP_3) | instskip(NEXT) | instid1(VALU_DEP_1)
	v_fmaak_f64 v[56:57], v[52:53], v[56:57], 0x3efa01a019f4ec90
	v_fmaak_f64 v[56:57], v[52:53], v[56:57], 0xbf56c16c16c16967
	s_delay_alu instid0(VALU_DEP_1) | instskip(NEXT) | instid1(VALU_DEP_1)
	v_fmaak_f64 v[52:53], v[52:53], v[56:57], 0x3fa5555555555555
	v_fmac_f64_e32 v[44:45], v[70:71], v[52:53]
	s_delay_alu instid0(VALU_DEP_1) | instskip(NEXT) | instid1(VALU_DEP_1)
	v_add_f64_e32 v[44:45], v[62:63], v[44:45]
	v_dual_cndmask_b32 v7, v45, v7 :: v_dual_cndmask_b32 v6, v44, v6
	s_delay_alu instid0(VALU_DEP_1) | instskip(SKIP_1) | instid1(VALU_DEP_2)
	v_bitop3_b32 v7, v7, v8, 0x80000000 bitop3:0x78
	v_and_b32_e32 v8, 1, v50
	v_mul_f64_e32 v[6:7], 4.0, v[6:7]
	s_delay_alu instid0(VALU_DEP_2) | instskip(SKIP_1) | instid1(VALU_DEP_1)
	v_cmp_eq_u32_e32 vcc_lo, 0, v8
	v_mul_f64_e32 v[60:61], 0.5, v[54:55]
	v_add_f64_e64 v[68:69], -v[60:61], 1.0
	s_delay_alu instid0(VALU_DEP_1) | instskip(NEXT) | instid1(VALU_DEP_1)
	v_add_f64_e64 v[72:73], -v[68:69], 1.0
	v_add_f64_e64 v[60:61], v[72:73], -v[60:61]
	v_fmamk_f64 v[72:73], v[74:75], 0x3e5ade156a5dcb37, v[30:31]
	s_delay_alu instid0(VALU_DEP_1) | instskip(NEXT) | instid1(VALU_DEP_1)
	v_fmaak_f64 v[72:73], v[74:75], v[72:73], 0x3ec71dee623fde64
	v_fmaak_f64 v[72:73], v[74:75], v[72:73], 0x3efa01997c89e6b0
	s_delay_alu instid0(VALU_DEP_1) | instskip(SKIP_2) | instid1(VALU_DEP_3)
	v_fmaak_f64 v[56:57], v[74:75], v[72:73], 0x3f2a01a014761f6e
	v_fma_f64 v[72:73], v[54:55], v[76:77], -v[48:49]
	v_fmamk_f64 v[76:77], v[54:55], 0xbda907db46cc5e42, v[32:33]
	v_fmaak_f64 v[52:53], v[74:75], v[56:57], 0x3f56c16c1852b7b0
	s_delay_alu instid0(VALU_DEP_2) | instskip(SKIP_1) | instid1(VALU_DEP_3)
	v_fmaak_f64 v[56:57], v[54:55], v[76:77], 0xbe927e4fa17f65f6
	v_fma_f64 v[48:49], v[46:47], -v[48:49], v[60:61]
	v_fmaak_f64 v[52:53], v[74:75], v[52:53], 0x3f81111111122322
	s_delay_alu instid0(VALU_DEP_3) | instskip(NEXT) | instid1(VALU_DEP_2)
	v_fmaak_f64 v[56:57], v[54:55], v[56:57], 0x3efa01a019f4ec90
	v_fmaak_f64 v[52:53], v[74:75], v[52:53], 0x3fa55555555502a1
	s_delay_alu instid0(VALU_DEP_2) | instskip(NEXT) | instid1(VALU_DEP_2)
	v_fmaak_f64 v[56:57], v[54:55], v[56:57], 0xbf56c16c16c16967
	v_fmaak_f64 v[52:53], v[74:75], v[52:53], 0x3fc5555555555511
	s_delay_alu instid0(VALU_DEP_2) | instskip(SKIP_1) | instid1(VALU_DEP_3)
	v_fmaak_f64 v[54:55], v[54:55], v[56:57], 0x3fa5555555555555
	v_fmac_f64_e32 v[72:73], 0xbfc5555555555555, v[78:79]
	v_fmaak_f64 v[52:53], v[74:75], v[52:53], 0x3fe000000000000b
	s_delay_alu instid0(VALU_DEP_1) | instskip(NEXT) | instid1(VALU_DEP_4)
	v_fma_f64 v[52:53], v[74:75], v[52:53], 1.0
	v_fmac_f64_e32 v[48:49], v[80:81], v[54:55]
	s_delay_alu instid0(VALU_DEP_4) | instskip(NEXT) | instid1(VALU_DEP_3)
	v_add_f64_e64 v[46:47], v[46:47], -v[72:73]
	v_fma_f64 v[10:11], v[74:75], v[52:53], 1.0
	s_delay_alu instid0(VALU_DEP_3) | instskip(NEXT) | instid1(VALU_DEP_3)
	v_add_f64_e32 v[48:49], v[68:69], v[48:49]
	v_xor_b32_e32 v45, 0x80000000, v47
	s_delay_alu instid0(VALU_DEP_3) | instskip(NEXT) | instid1(VALU_DEP_2)
	v_ldexp_f64 v[10:11], v[10:11], v27
	v_dual_cndmask_b32 v8, v45, v49 :: v_dual_lshlrev_b32 v45, 30, v50
	s_delay_alu instid0(VALU_DEP_4) | instskip(SKIP_2) | instid1(VALU_DEP_4)
	v_cndmask_b32_e32 v44, v46, v48, vcc_lo
	v_cmp_nlt_f64_e64 vcc_lo, 0x4090cc00, |v[12:13]|
	v_bfi_b32 v27, 0x7fffffff, s33, v9
	v_bitop3_b32 v45, v8, v45, 0x80000000 bitop3:0x78
	s_delay_alu instid0(VALU_DEP_2) | instskip(NEXT) | instid1(VALU_DEP_2)
	v_mov_b64_e32 v[8:9], v[26:27]
	v_dual_mul_f64 v[6:7], v[6:7], v[44:45] :: v_dual_cndmask_b32 v11, 0, v11, vcc_lo
	v_cndmask_b32_e32 v10, 0, v10, vcc_lo
	s_delay_alu instid0(VALU_DEP_1) | instskip(NEXT) | instid1(VALU_DEP_1)
	v_mul_f64_e32 v[6:7], v[10:11], v[6:7]
	v_mul_f64_e32 v[6:7], v[10:11], v[6:7]
	s_or_b32 exec_lo, exec_lo, s4
                                        ; implicit-def: $vgpr10_vgpr11
.LBB93_187:                             ;   in Loop: Header=BB93_161 Depth=1
	s_and_not1_saveexec_b32 s4, s34
	s_cbranch_execz .LBB93_189
.LBB93_188:                             ;   in Loop: Header=BB93_161 Depth=1
	v_add_f64_e64 v[6:7], v[10:11], -v[10:11]
	s_delay_alu instid0(VALU_DEP_1)
	v_mov_b64_e32 v[8:9], v[6:7]
.LBB93_189:                             ;   in Loop: Header=BB93_161 Depth=1
	s_or_b32 exec_lo, exec_lo, s4
                                        ; implicit-def: $vgpr10_vgpr11
.LBB93_190:                             ;   in Loop: Header=BB93_161 Depth=1
	s_and_not1_saveexec_b32 s34, s5
	s_cbranch_execz .LBB93_207
; %bb.191:                              ;   in Loop: Header=BB93_161 Depth=1
	s_delay_alu instid0(VALU_DEP_1) | instskip(SKIP_1) | instid1(VALU_DEP_1)
	v_and_or_b32 v6, 0xfffff, v9, v8
	s_mov_b32 s4, exec_lo
	v_cmpx_ne_u32_e32 0, v6
	s_xor_b32 s4, exec_lo, s4
	s_cbranch_execz .LBB93_193
; %bb.192:                              ;   in Loop: Header=BB93_161 Depth=1
	v_mul_f64_e64 v[6:7], v[10:11], -v[12:13]
	v_cmp_eq_f64_e32 vcc_lo, 0, v[10:11]
	s_delay_alu instid0(VALU_DEP_2)
	v_dual_cndmask_b32 v7, v7, v11 :: v_dual_cndmask_b32 v6, v6, v10
                                        ; implicit-def: $vgpr10_vgpr11
.LBB93_193:                             ;   in Loop: Header=BB93_161 Depth=1
	s_and_not1_saveexec_b32 s35, s4
	s_cbranch_execz .LBB93_206
; %bb.194:                              ;   in Loop: Header=BB93_161 Depth=1
	s_mov_b32 s36, exec_lo
	v_cmpx_neq_f64_e64 0x7ff00000, |v[10:11]|
	s_cbranch_execz .LBB93_205
; %bb.195:                              ;   in Loop: Header=BB93_161 Depth=1
	v_cmp_ngt_f64_e64 s4, 0x41d00000, |v[10:11]|
                                        ; implicit-def: $vgpr48
                                        ; implicit-def: $vgpr6_vgpr7
                                        ; implicit-def: $vgpr12_vgpr13
	s_and_saveexec_b32 s5, s4
	s_delay_alu instid0(SALU_CYCLE_1)
	s_xor_b32 s5, exec_lo, s5
	s_cbranch_execz .LBB93_198
; %bb.196:                              ;   in Loop: Header=BB93_161 Depth=1
	v_ldexp_f64 v[6:7], |v[10:11]|, 0xffffff80
	v_cmp_le_f64_e64 vcc_lo, 0x7b000000, |v[10:11]|
	v_trig_preop_f64 v[12:13], |v[10:11]|, 0
	v_and_b32_e32 v27, 0x7fffffff, v11
	v_trig_preop_f64 v[44:45], |v[10:11]|, 1
	v_trig_preop_f64 v[54:55], |v[10:11]|, 2
	s_delay_alu instid0(VALU_DEP_3) | instskip(NEXT) | instid1(VALU_DEP_1)
	v_dual_cndmask_b32 v7, v27, v7 :: v_dual_cndmask_b32 v6, v10, v6
	v_mul_f64_e32 v[46:47], v[12:13], v[6:7]
	s_delay_alu instid0(VALU_DEP_4) | instskip(NEXT) | instid1(VALU_DEP_4)
	v_mul_f64_e32 v[48:49], v[44:45], v[6:7]
	v_mul_f64_e32 v[60:61], v[54:55], v[6:7]
	s_delay_alu instid0(VALU_DEP_3) | instskip(NEXT) | instid1(VALU_DEP_3)
	v_fma_f64 v[12:13], v[12:13], v[6:7], -v[46:47]
	v_fma_f64 v[44:45], v[44:45], v[6:7], -v[48:49]
	s_delay_alu instid0(VALU_DEP_3) | instskip(NEXT) | instid1(VALU_DEP_3)
	v_fma_f64 v[6:7], v[54:55], v[6:7], -v[60:61]
	v_add_f64_e32 v[50:51], v[48:49], v[12:13]
	s_delay_alu instid0(VALU_DEP_1) | instskip(SKIP_1) | instid1(VALU_DEP_2)
	v_add_f64_e64 v[52:53], v[50:51], -v[48:49]
	v_add_f64_e32 v[58:59], v[46:47], v[50:51]
	v_add_f64_e64 v[56:57], v[50:51], -v[52:53]
	v_add_f64_e64 v[12:13], v[12:13], -v[52:53]
	s_delay_alu instid0(VALU_DEP_3) | instskip(NEXT) | instid1(VALU_DEP_3)
	v_ldexp_f64 v[52:53], v[58:59], -2
	v_add_f64_e64 v[48:49], v[48:49], -v[56:57]
	v_add_f64_e32 v[56:57], v[60:61], v[44:45]
	s_delay_alu instid0(VALU_DEP_3) | instskip(NEXT) | instid1(VALU_DEP_3)
	v_cmp_neq_f64_e64 vcc_lo, 0x7ff00000, |v[52:53]|
	v_add_f64_e32 v[12:13], v[12:13], v[48:49]
	v_fract_f64_e32 v[48:49], v[52:53]
	s_delay_alu instid0(VALU_DEP_1) | instskip(NEXT) | instid1(VALU_DEP_1)
	v_ldexp_f64 v[48:49], v[48:49], 2
	v_dual_add_f64 v[46:47], v[58:59], -v[46:47] :: v_dual_cndmask_b32 v49, 0, v49, vcc_lo
	s_delay_alu instid0(VALU_DEP_1) | instskip(SKIP_1) | instid1(VALU_DEP_1)
	v_dual_add_f64 v[46:47], v[50:51], -v[46:47] :: v_dual_cndmask_b32 v48, 0, v48, vcc_lo
	v_add_f64_e32 v[50:51], v[56:57], v[12:13]
	v_add_f64_e32 v[52:53], v[46:47], v[50:51]
	v_add_f64_e64 v[62:63], v[50:51], -v[56:57]
	s_delay_alu instid0(VALU_DEP_2) | instskip(NEXT) | instid1(VALU_DEP_2)
	v_add_f64_e32 v[58:59], v[52:53], v[48:49]
	v_add_f64_e64 v[68:69], v[50:51], -v[62:63]
	v_add_f64_e64 v[12:13], v[12:13], -v[62:63]
	;; [unrolled: 1-line block ×3, first 2 shown]
	s_delay_alu instid0(VALU_DEP_4) | instskip(SKIP_1) | instid1(VALU_DEP_3)
	v_cmp_gt_f64_e32 vcc_lo, 0, v[58:59]
	v_add_f64_e64 v[58:59], v[56:57], -v[60:61]
	v_add_f64_e64 v[46:47], v[50:51], -v[46:47]
	v_cndmask_b32_e64 v27, 0, 0x40100000, vcc_lo
	s_delay_alu instid0(VALU_DEP_3) | instskip(SKIP_2) | instid1(VALU_DEP_4)
	v_add_f64_e64 v[66:67], v[56:57], -v[58:59]
	v_add_f64_e64 v[44:45], v[44:45], -v[58:59]
	;; [unrolled: 1-line block ×3, first 2 shown]
	v_add_f64_e32 v[48:49], v[48:49], v[26:27]
	s_delay_alu instid0(VALU_DEP_4) | instskip(NEXT) | instid1(VALU_DEP_3)
	v_add_f64_e64 v[58:59], v[60:61], -v[66:67]
	v_add_f64_e32 v[12:13], v[12:13], v[56:57]
	s_delay_alu instid0(VALU_DEP_3) | instskip(NEXT) | instid1(VALU_DEP_3)
	v_add_f64_e32 v[64:65], v[52:53], v[48:49]
	v_add_f64_e32 v[44:45], v[44:45], v[58:59]
	s_delay_alu instid0(VALU_DEP_2) | instskip(NEXT) | instid1(VALU_DEP_2)
	v_cvt_i32_f64_e32 v27, v[64:65]
	v_add_f64_e32 v[12:13], v[44:45], v[12:13]
	s_delay_alu instid0(VALU_DEP_2) | instskip(NEXT) | instid1(VALU_DEP_2)
	v_cvt_f64_i32_e32 v[62:63], v27
	v_add_f64_e32 v[6:7], v[6:7], v[12:13]
	s_delay_alu instid0(VALU_DEP_2) | instskip(NEXT) | instid1(VALU_DEP_2)
	v_add_f64_e64 v[48:49], v[48:49], -v[62:63]
	v_add_f64_e32 v[6:7], v[46:47], v[6:7]
	s_delay_alu instid0(VALU_DEP_2) | instskip(NEXT) | instid1(VALU_DEP_1)
	v_add_f64_e32 v[44:45], v[52:53], v[48:49]
	v_add_f64_e64 v[12:13], v[44:45], -v[48:49]
	v_cmp_le_f64_e32 vcc_lo, 0.5, v[44:45]
	s_delay_alu instid0(VALU_DEP_2) | instskip(SKIP_2) | instid1(VALU_DEP_3)
	v_add_f64_e64 v[12:13], v[52:53], -v[12:13]
	v_add_co_ci_u32_e64 v48, null, 0, v27, vcc_lo
	v_cndmask_b32_e64 v27, 0, 0x3ff00000, vcc_lo
	v_add_f64_e32 v[6:7], v[6:7], v[12:13]
	s_delay_alu instid0(VALU_DEP_2) | instskip(NEXT) | instid1(VALU_DEP_1)
	v_add_f64_e64 v[12:13], v[44:45], -v[26:27]
	v_add_f64_e32 v[44:45], v[12:13], v[6:7]
	s_delay_alu instid0(VALU_DEP_1) | instskip(SKIP_1) | instid1(VALU_DEP_2)
	v_mul_f64_e32 v[46:47], 0x3ff921fb54442d18, v[44:45]
	v_add_f64_e64 v[12:13], v[44:45], -v[12:13]
	v_fma_f64 v[50:51], v[44:45], s[12:13], -v[46:47]
	s_delay_alu instid0(VALU_DEP_2) | instskip(NEXT) | instid1(VALU_DEP_2)
	v_add_f64_e64 v[6:7], v[6:7], -v[12:13]
	v_fmac_f64_e32 v[50:51], 0x3c91a62633145c07, v[44:45]
	s_delay_alu instid0(VALU_DEP_1) | instskip(NEXT) | instid1(VALU_DEP_1)
	v_fmac_f64_e32 v[50:51], 0x3ff921fb54442d18, v[6:7]
	v_add_f64_e32 v[6:7], v[46:47], v[50:51]
	s_delay_alu instid0(VALU_DEP_1) | instskip(NEXT) | instid1(VALU_DEP_1)
	v_add_f64_e64 v[12:13], v[6:7], -v[46:47]
	v_add_f64_e64 v[12:13], v[50:51], -v[12:13]
	s_and_not1_saveexec_b32 s5, s5
	s_cbranch_execz .LBB93_200
	s_branch .LBB93_199
.LBB93_197:                             ;   in Loop: Header=BB93_161 Depth=1
	s_or_b32 exec_lo, exec_lo, s4
                                        ; implicit-def: $vgpr10_vgpr11
	s_and_not1_saveexec_b32 s4, s34
	s_cbranch_execnz .LBB93_188
	s_branch .LBB93_189
.LBB93_198:                             ;   in Loop: Header=BB93_161 Depth=1
	s_and_not1_saveexec_b32 s5, s5
	s_cbranch_execz .LBB93_200
.LBB93_199:                             ;   in Loop: Header=BB93_161 Depth=1
	v_mul_f64_e64 v[6:7], |v[10:11]|, s[14:15]
	s_delay_alu instid0(VALU_DEP_1) | instskip(NEXT) | instid1(VALU_DEP_1)
	v_rndne_f64_e32 v[44:45], v[6:7]
	v_fma_f64 v[6:7], v[44:45], s[16:17], |v[10:11]|
	v_mul_f64_e32 v[12:13], 0xbc91a62633145c00, v[44:45]
	s_delay_alu instid0(VALU_DEP_2) | instskip(NEXT) | instid1(VALU_DEP_2)
	v_fmamk_f64 v[50:51], v[44:45], 0xbc91a62633145c00, v[6:7]
	v_add_f64_e32 v[46:47], v[6:7], v[12:13]
	s_delay_alu instid0(VALU_DEP_1) | instskip(NEXT) | instid1(VALU_DEP_3)
	v_add_f64_e64 v[48:49], v[6:7], -v[46:47]
	v_add_f64_e64 v[6:7], v[46:47], -v[50:51]
	s_delay_alu instid0(VALU_DEP_2) | instskip(SKIP_2) | instid1(VALU_DEP_3)
	v_add_f64_e32 v[46:47], v[48:49], v[12:13]
	v_fmamk_f64 v[12:13], v[44:45], 0x3c91a62633145c00, v[12:13]
	v_cvt_i32_f64_e32 v48, v[44:45]
	v_add_f64_e32 v[6:7], v[6:7], v[46:47]
	s_delay_alu instid0(VALU_DEP_1) | instskip(NEXT) | instid1(VALU_DEP_1)
	v_add_f64_e64 v[12:13], v[6:7], -v[12:13]
	v_fmac_f64_e32 v[12:13], 0xb97b839a252049c0, v[44:45]
	s_delay_alu instid0(VALU_DEP_1) | instskip(NEXT) | instid1(VALU_DEP_1)
	v_add_f64_e32 v[6:7], v[50:51], v[12:13]
	v_add_f64_e64 v[46:47], v[6:7], -v[50:51]
	s_delay_alu instid0(VALU_DEP_1)
	v_add_f64_e64 v[12:13], v[12:13], -v[46:47]
.LBB93_200:                             ;   in Loop: Header=BB93_161 Depth=1
	s_or_b32 exec_lo, exec_lo, s5
                                        ; implicit-def: $vgpr49
                                        ; implicit-def: $vgpr44_vgpr45
                                        ; implicit-def: $vgpr46_vgpr47
	s_and_saveexec_b32 s5, s4
	s_delay_alu instid0(SALU_CYCLE_1)
	s_xor_b32 s4, exec_lo, s5
	s_cbranch_execz .LBB93_202
; %bb.201:                              ;   in Loop: Header=BB93_161 Depth=1
	v_ldexp_f64 v[44:45], |v[10:11]|, 0xffffff80
	v_cmp_le_f64_e64 vcc_lo, 0x7b000000, |v[10:11]|
	v_trig_preop_f64 v[46:47], |v[10:11]|, 0
	v_and_b32_e32 v27, 0x7fffffff, v11
	v_trig_preop_f64 v[50:51], |v[10:11]|, 1
	v_trig_preop_f64 v[60:61], |v[10:11]|, 2
	s_delay_alu instid0(VALU_DEP_3) | instskip(NEXT) | instid1(VALU_DEP_1)
	v_dual_cndmask_b32 v45, v27, v45 :: v_dual_cndmask_b32 v44, v10, v44
	v_mul_f64_e32 v[52:53], v[46:47], v[44:45]
	s_delay_alu instid0(VALU_DEP_4) | instskip(NEXT) | instid1(VALU_DEP_4)
	v_mul_f64_e32 v[54:55], v[50:51], v[44:45]
	v_mul_f64_e32 v[66:67], v[60:61], v[44:45]
	s_delay_alu instid0(VALU_DEP_3) | instskip(NEXT) | instid1(VALU_DEP_3)
	v_fma_f64 v[46:47], v[46:47], v[44:45], -v[52:53]
	v_fma_f64 v[50:51], v[50:51], v[44:45], -v[54:55]
	s_delay_alu instid0(VALU_DEP_3) | instskip(NEXT) | instid1(VALU_DEP_3)
	v_fma_f64 v[44:45], v[60:61], v[44:45], -v[66:67]
	v_add_f64_e32 v[56:57], v[54:55], v[46:47]
	s_delay_alu instid0(VALU_DEP_1) | instskip(SKIP_1) | instid1(VALU_DEP_2)
	v_add_f64_e64 v[58:59], v[56:57], -v[54:55]
	v_add_f64_e32 v[64:65], v[52:53], v[56:57]
	v_add_f64_e64 v[62:63], v[56:57], -v[58:59]
	v_add_f64_e64 v[46:47], v[46:47], -v[58:59]
	s_delay_alu instid0(VALU_DEP_3) | instskip(NEXT) | instid1(VALU_DEP_3)
	v_ldexp_f64 v[58:59], v[64:65], -2
	v_add_f64_e64 v[54:55], v[54:55], -v[62:63]
	v_add_f64_e32 v[62:63], v[66:67], v[50:51]
	s_delay_alu instid0(VALU_DEP_3) | instskip(NEXT) | instid1(VALU_DEP_3)
	v_cmp_neq_f64_e64 vcc_lo, 0x7ff00000, |v[58:59]|
	v_add_f64_e32 v[46:47], v[46:47], v[54:55]
	v_fract_f64_e32 v[54:55], v[58:59]
	s_delay_alu instid0(VALU_DEP_1) | instskip(NEXT) | instid1(VALU_DEP_1)
	v_ldexp_f64 v[54:55], v[54:55], 2
	v_dual_add_f64 v[52:53], v[64:65], -v[52:53] :: v_dual_cndmask_b32 v55, 0, v55, vcc_lo
	s_delay_alu instid0(VALU_DEP_1) | instskip(SKIP_1) | instid1(VALU_DEP_1)
	v_dual_add_f64 v[52:53], v[56:57], -v[52:53] :: v_dual_cndmask_b32 v54, 0, v54, vcc_lo
	v_add_f64_e32 v[56:57], v[62:63], v[46:47]
	v_add_f64_e32 v[58:59], v[52:53], v[56:57]
	v_add_f64_e64 v[68:69], v[56:57], -v[62:63]
	s_delay_alu instid0(VALU_DEP_2) | instskip(NEXT) | instid1(VALU_DEP_2)
	v_add_f64_e32 v[64:65], v[58:59], v[54:55]
	v_add_f64_e64 v[74:75], v[56:57], -v[68:69]
	v_add_f64_e64 v[46:47], v[46:47], -v[68:69]
	;; [unrolled: 1-line block ×3, first 2 shown]
	s_delay_alu instid0(VALU_DEP_4) | instskip(SKIP_1) | instid1(VALU_DEP_3)
	v_cmp_gt_f64_e32 vcc_lo, 0, v[64:65]
	v_add_f64_e64 v[64:65], v[62:63], -v[66:67]
	v_add_f64_e64 v[52:53], v[56:57], -v[52:53]
	v_cndmask_b32_e64 v27, 0, 0x40100000, vcc_lo
	s_delay_alu instid0(VALU_DEP_3) | instskip(SKIP_2) | instid1(VALU_DEP_4)
	v_add_f64_e64 v[72:73], v[62:63], -v[64:65]
	v_add_f64_e64 v[50:51], v[50:51], -v[64:65]
	;; [unrolled: 1-line block ×3, first 2 shown]
	v_add_f64_e32 v[54:55], v[54:55], v[26:27]
	s_delay_alu instid0(VALU_DEP_4) | instskip(NEXT) | instid1(VALU_DEP_3)
	v_add_f64_e64 v[64:65], v[66:67], -v[72:73]
	v_add_f64_e32 v[46:47], v[46:47], v[62:63]
	s_delay_alu instid0(VALU_DEP_3) | instskip(NEXT) | instid1(VALU_DEP_3)
	v_add_f64_e32 v[70:71], v[58:59], v[54:55]
	v_add_f64_e32 v[50:51], v[50:51], v[64:65]
	s_delay_alu instid0(VALU_DEP_2) | instskip(NEXT) | instid1(VALU_DEP_2)
	v_cvt_i32_f64_e32 v27, v[70:71]
	v_add_f64_e32 v[46:47], v[50:51], v[46:47]
	s_delay_alu instid0(VALU_DEP_2) | instskip(NEXT) | instid1(VALU_DEP_2)
	v_cvt_f64_i32_e32 v[68:69], v27
	v_add_f64_e32 v[44:45], v[44:45], v[46:47]
	s_delay_alu instid0(VALU_DEP_2) | instskip(NEXT) | instid1(VALU_DEP_2)
	v_add_f64_e64 v[54:55], v[54:55], -v[68:69]
	v_add_f64_e32 v[44:45], v[52:53], v[44:45]
	s_delay_alu instid0(VALU_DEP_2) | instskip(NEXT) | instid1(VALU_DEP_1)
	v_add_f64_e32 v[50:51], v[58:59], v[54:55]
	v_add_f64_e64 v[46:47], v[50:51], -v[54:55]
	v_cmp_le_f64_e32 vcc_lo, 0.5, v[50:51]
	s_delay_alu instid0(VALU_DEP_2) | instskip(SKIP_2) | instid1(VALU_DEP_3)
	v_add_f64_e64 v[46:47], v[58:59], -v[46:47]
	v_add_co_ci_u32_e64 v49, null, 0, v27, vcc_lo
	v_cndmask_b32_e64 v27, 0, 0x3ff00000, vcc_lo
	v_add_f64_e32 v[44:45], v[44:45], v[46:47]
	s_delay_alu instid0(VALU_DEP_2) | instskip(NEXT) | instid1(VALU_DEP_1)
	v_add_f64_e64 v[46:47], v[50:51], -v[26:27]
	v_add_f64_e32 v[50:51], v[46:47], v[44:45]
	s_delay_alu instid0(VALU_DEP_1) | instskip(SKIP_1) | instid1(VALU_DEP_2)
	v_mul_f64_e32 v[52:53], 0x3ff921fb54442d18, v[50:51]
	v_add_f64_e64 v[46:47], v[50:51], -v[46:47]
	v_fma_f64 v[54:55], v[50:51], s[12:13], -v[52:53]
	s_delay_alu instid0(VALU_DEP_2) | instskip(NEXT) | instid1(VALU_DEP_2)
	v_add_f64_e64 v[44:45], v[44:45], -v[46:47]
	v_fmac_f64_e32 v[54:55], 0x3c91a62633145c07, v[50:51]
	s_delay_alu instid0(VALU_DEP_1) | instskip(NEXT) | instid1(VALU_DEP_1)
	v_fmac_f64_e32 v[54:55], 0x3ff921fb54442d18, v[44:45]
	v_add_f64_e32 v[44:45], v[52:53], v[54:55]
	s_delay_alu instid0(VALU_DEP_1) | instskip(NEXT) | instid1(VALU_DEP_1)
	v_add_f64_e64 v[46:47], v[44:45], -v[52:53]
	v_add_f64_e64 v[46:47], v[54:55], -v[46:47]
	s_and_not1_saveexec_b32 s4, s4
	s_cbranch_execnz .LBB93_203
	s_branch .LBB93_204
.LBB93_202:                             ;   in Loop: Header=BB93_161 Depth=1
	s_and_not1_saveexec_b32 s4, s4
	s_cbranch_execz .LBB93_204
.LBB93_203:                             ;   in Loop: Header=BB93_161 Depth=1
	v_mul_f64_e64 v[44:45], |v[10:11]|, s[14:15]
	s_delay_alu instid0(VALU_DEP_1) | instskip(NEXT) | instid1(VALU_DEP_1)
	v_rndne_f64_e32 v[50:51], v[44:45]
	v_fma_f64 v[44:45], v[50:51], s[16:17], |v[10:11]|
	v_mul_f64_e32 v[46:47], 0xbc91a62633145c00, v[50:51]
	v_cvt_i32_f64_e32 v49, v[50:51]
	s_delay_alu instid0(VALU_DEP_3) | instskip(NEXT) | instid1(VALU_DEP_3)
	v_fmamk_f64 v[56:57], v[50:51], 0xbc91a62633145c00, v[44:45]
	v_add_f64_e32 v[52:53], v[44:45], v[46:47]
	s_delay_alu instid0(VALU_DEP_1) | instskip(NEXT) | instid1(VALU_DEP_3)
	v_add_f64_e64 v[54:55], v[44:45], -v[52:53]
	v_add_f64_e64 v[44:45], v[52:53], -v[56:57]
	s_delay_alu instid0(VALU_DEP_2) | instskip(SKIP_1) | instid1(VALU_DEP_2)
	v_add_f64_e32 v[52:53], v[54:55], v[46:47]
	v_fmamk_f64 v[46:47], v[50:51], 0x3c91a62633145c00, v[46:47]
	v_add_f64_e32 v[44:45], v[44:45], v[52:53]
	s_delay_alu instid0(VALU_DEP_1) | instskip(NEXT) | instid1(VALU_DEP_1)
	v_add_f64_e64 v[46:47], v[44:45], -v[46:47]
	v_fmac_f64_e32 v[46:47], 0xb97b839a252049c0, v[50:51]
	s_delay_alu instid0(VALU_DEP_1) | instskip(NEXT) | instid1(VALU_DEP_1)
	v_add_f64_e32 v[44:45], v[56:57], v[46:47]
	v_add_f64_e64 v[52:53], v[44:45], -v[56:57]
	s_delay_alu instid0(VALU_DEP_1)
	v_add_f64_e64 v[46:47], v[46:47], -v[52:53]
.LBB93_204:                             ;   in Loop: Header=BB93_161 Depth=1
	s_or_b32 exec_lo, exec_lo, s4
	v_dual_mul_f64 v[50:51], v[6:7], v[6:7] :: v_dual_bitop2_b32 v27, 1, v48 bitop3:0x40
	v_cmp_class_f64_e64 s4, v[10:11], 0x1f8
	s_delay_alu instid0(VALU_DEP_3) | instskip(NEXT) | instid1(VALU_DEP_4)
	v_mul_f64_e32 v[62:63], 0.5, v[12:13]
	v_dual_mul_f64 v[70:71], 0.5, v[46:47] :: v_dual_bitop2_b32 v10, 1, v49 bitop3:0x40
	s_delay_alu instid0(VALU_DEP_4) | instskip(NEXT) | instid1(VALU_DEP_2)
	v_cmp_eq_u32_e32 vcc_lo, 0, v27
	v_cmp_eq_u32_e64 s5, 0, v10
	v_mul_f64_e32 v[52:53], v[44:45], v[44:45]
	v_dual_mul_f64 v[54:55], 0.5, v[50:51] :: v_dual_lshlrev_b32 v10, 30, v49
	v_mul_f64_e64 v[64:65], v[6:7], -v[50:51]
	v_fmamk_f64 v[68:69], v[50:51], 0x3de5e0b2f9a43bb8, v[34:35]
	s_delay_alu instid0(VALU_DEP_1) | instskip(SKIP_2) | instid1(VALU_DEP_3)
	v_fmaak_f64 v[68:69], v[50:51], v[68:69], 0x3ec71de3796cde01
	v_mul_f64_e64 v[72:73], v[44:45], -v[52:53]
	v_fmamk_f64 v[74:75], v[52:53], 0x3de5e0b2f9a43bb8, v[34:35]
	v_fmaak_f64 v[68:69], v[50:51], v[68:69], 0xbf2a01a019e83e5c
	s_delay_alu instid0(VALU_DEP_2) | instskip(NEXT) | instid1(VALU_DEP_2)
	v_fmaak_f64 v[74:75], v[52:53], v[74:75], 0x3ec71de3796cde01
	v_fmaak_f64 v[68:69], v[50:51], v[68:69], 0x3f81111111110bb3
	v_add_f64_e64 v[58:59], -v[54:55], 1.0
	s_delay_alu instid0(VALU_DEP_2) | instskip(SKIP_1) | instid1(VALU_DEP_3)
	v_fmac_f64_e32 v[62:63], v[64:65], v[68:69]
	v_mul_f64_e32 v[68:69], v[50:51], v[50:51]
	v_add_f64_e64 v[66:67], -v[58:59], 1.0
	s_delay_alu instid0(VALU_DEP_3) | instskip(NEXT) | instid1(VALU_DEP_2)
	v_fma_f64 v[62:63], v[50:51], v[62:63], -v[12:13]
	v_add_f64_e64 v[54:55], v[66:67], -v[54:55]
	v_fmaak_f64 v[66:67], v[52:53], v[74:75], 0xbf2a01a019e83e5c
	s_delay_alu instid0(VALU_DEP_3) | instskip(SKIP_1) | instid1(VALU_DEP_3)
	v_fmac_f64_e32 v[62:63], 0xbfc5555555555555, v[64:65]
	v_mul_f64_e32 v[74:75], v[52:53], v[52:53]
	v_fmaak_f64 v[66:67], v[52:53], v[66:67], 0x3f81111111110bb3
	s_delay_alu instid0(VALU_DEP_1) | instskip(SKIP_2) | instid1(VALU_DEP_2)
	v_fmac_f64_e32 v[70:71], v[72:73], v[66:67]
	v_fmamk_f64 v[66:67], v[50:51], 0xbda907db46cc5e42, v[32:33]
	v_fma_f64 v[12:13], v[6:7], -v[12:13], v[54:55]
	v_fmaak_f64 v[54:55], v[50:51], v[66:67], 0xbe927e4fa17f65f6
	v_add_f64_e64 v[6:7], v[6:7], -v[62:63]
	s_delay_alu instid0(VALU_DEP_2) | instskip(NEXT) | instid1(VALU_DEP_1)
	v_fmaak_f64 v[54:55], v[50:51], v[54:55], 0x3efa01a019f4ec90
	v_fmaak_f64 v[54:55], v[50:51], v[54:55], 0xbf56c16c16c16967
	v_fma_f64 v[66:67], v[52:53], v[70:71], -v[46:47]
	v_fmamk_f64 v[70:71], v[52:53], 0xbda907db46cc5e42, v[32:33]
	s_delay_alu instid0(VALU_DEP_3) | instskip(NEXT) | instid1(VALU_DEP_2)
	v_fmaak_f64 v[50:51], v[50:51], v[54:55], 0x3fa5555555555555
	v_fmaak_f64 v[54:55], v[52:53], v[70:71], 0xbe927e4fa17f65f6
	s_delay_alu instid0(VALU_DEP_2) | instskip(NEXT) | instid1(VALU_DEP_2)
	v_fmac_f64_e32 v[12:13], v[68:69], v[50:51]
	v_fmaak_f64 v[50:51], v[52:53], v[54:55], 0x3efa01a019f4ec90
	s_delay_alu instid0(VALU_DEP_1) | instskip(NEXT) | instid1(VALU_DEP_1)
	v_fmaak_f64 v[50:51], v[52:53], v[50:51], 0xbf56c16c16c16967
	v_fmaak_f64 v[50:51], v[52:53], v[50:51], 0x3fa5555555555555
	s_delay_alu instid0(VALU_DEP_4) | instskip(NEXT) | instid1(VALU_DEP_1)
	v_add_f64_e32 v[12:13], v[58:59], v[12:13]
	v_dual_mul_f64 v[56:57], 0.5, v[52:53] :: v_dual_cndmask_b32 v6, v12, v6, vcc_lo
	s_delay_alu instid0(VALU_DEP_1) | instskip(NEXT) | instid1(VALU_DEP_2)
	v_add_f64_e64 v[60:61], -v[56:57], 1.0
	v_dual_lshlrev_b32 v12, 30, v48 :: v_dual_cndmask_b32 v6, 0, v6, s4
	v_fmac_f64_e32 v[66:67], 0xbfc5555555555555, v[72:73]
	s_delay_alu instid0(VALU_DEP_2) | instskip(NEXT) | instid1(VALU_DEP_4)
	v_xor_b32_e32 v11, v12, v11
	v_add_f64_e64 v[76:77], -v[60:61], 1.0
	s_delay_alu instid0(VALU_DEP_1) | instskip(NEXT) | instid1(VALU_DEP_1)
	v_add_f64_e64 v[56:57], v[76:77], -v[56:57]
	v_fma_f64 v[46:47], v[44:45], -v[46:47], v[56:57]
	v_add_f64_e64 v[44:45], v[44:45], -v[66:67]
	s_delay_alu instid0(VALU_DEP_2) | instskip(NEXT) | instid1(VALU_DEP_2)
	v_fmac_f64_e32 v[46:47], v[74:75], v[50:51]
	v_xor_b32_e32 v27, 0x80000000, v45
	s_delay_alu instid0(VALU_DEP_2) | instskip(NEXT) | instid1(VALU_DEP_1)
	v_add_f64_e32 v[46:47], v[60:61], v[46:47]
	v_dual_cndmask_b32 v7, v13, v7, vcc_lo :: v_dual_cndmask_b32 v12, v44, v46, s5
	s_delay_alu instid0(VALU_DEP_2) | instskip(NEXT) | instid1(VALU_DEP_2)
	v_cndmask_b32_e64 v13, v27, v47, s5
	v_bitop3_b32 v7, v7, v11, 0x80000000 bitop3:0x78
	s_delay_alu instid0(VALU_DEP_2) | instskip(NEXT) | instid1(VALU_DEP_2)
	v_bitop3_b32 v11, v13, v10, 0x80000000 bitop3:0x78
	v_cndmask_b32_e64 v7, 0x7ff80000, v7, s4
	v_cndmask_b32_e64 v10, 0, v12, s4
	s_delay_alu instid0(VALU_DEP_3) | instskip(NEXT) | instid1(VALU_DEP_1)
	v_cndmask_b32_e64 v11, 0x7ff80000, v11, s4
	v_mul_f64_e32 v[10:11], v[6:7], v[10:11]
.LBB93_205:                             ;   in Loop: Header=BB93_161 Depth=1
	s_or_b32 exec_lo, exec_lo, s36
	s_delay_alu instid0(VALU_DEP_1) | instskip(SKIP_1) | instid1(VALU_DEP_2)
	v_bfi_b32 v27, 0x7fffffff, 0, v11
	v_add_nc_u32_e32 v9, -2.0, v9
	v_mov_b64_e32 v[6:7], v[26:27]
.LBB93_206:                             ;   in Loop: Header=BB93_161 Depth=1
	s_or_b32 exec_lo, exec_lo, s35
.LBB93_207:                             ;   in Loop: Header=BB93_161 Depth=1
	s_delay_alu instid0(SALU_CYCLE_1) | instskip(SKIP_3) | instid1(VALU_DEP_2)
	s_or_b32 exec_lo, exec_lo, s34
	v_xor_b32_e32 v13, 0x80000000, v21
	v_mov_b32_e32 v12, v20
	s_mov_b32 s4, exec_lo
	v_and_b32_e32 v10, 0x7fffffff, v13
	s_delay_alu instid0(VALU_DEP_1)
	v_cmpx_gt_u32_e32 0x7ff00000, v10
	s_xor_b32 s5, exec_lo, s4
	s_cbranch_execz .LBB93_229
; %bb.208:                              ;   in Loop: Header=BB93_161 Depth=1
	v_cmp_class_f64_e64 s4, v[18:19], 0x1f8
	s_and_saveexec_b32 s34, s4
	s_delay_alu instid0(SALU_CYCLE_1)
	s_xor_b32 s34, exec_lo, s34
	s_cbranch_execz .LBB93_226
; %bb.209:                              ;   in Loop: Header=BB93_161 Depth=1
	s_mov_b32 s4, exec_lo
	v_cmpx_gt_u32_e32 0x40360000, v10
	s_xor_b32 s35, exec_lo, s4
	s_cbranch_execz .LBB93_215
; %bb.210:                              ;   in Loop: Header=BB93_161 Depth=1
	v_cmp_ngt_f64_e64 s4, 0x41d00000, |v[18:19]|
                                        ; implicit-def: $vgpr12
                                        ; implicit-def: $vgpr10_vgpr11
                                        ; implicit-def: $vgpr44_vgpr45
	s_and_saveexec_b32 s36, s4
	s_delay_alu instid0(SALU_CYCLE_1)
	s_xor_b32 s4, exec_lo, s36
	s_cbranch_execz .LBB93_212
; %bb.211:                              ;   in Loop: Header=BB93_161 Depth=1
	v_ldexp_f64 v[10:11], |v[18:19]|, 0xffffff80
	v_cmp_le_f64_e64 vcc_lo, 0x7b000000, |v[18:19]|
	v_trig_preop_f64 v[44:45], |v[18:19]|, 0
	v_and_b32_e32 v12, 0x7fffffff, v19
	v_trig_preop_f64 v[46:47], |v[18:19]|, 1
	v_trig_preop_f64 v[56:57], |v[18:19]|, 2
	s_delay_alu instid0(VALU_DEP_3) | instskip(NEXT) | instid1(VALU_DEP_1)
	v_dual_cndmask_b32 v11, v12, v11 :: v_dual_cndmask_b32 v10, v18, v10
	v_mul_f64_e32 v[48:49], v[44:45], v[10:11]
	s_delay_alu instid0(VALU_DEP_4) | instskip(NEXT) | instid1(VALU_DEP_4)
	v_mul_f64_e32 v[50:51], v[46:47], v[10:11]
	v_mul_f64_e32 v[62:63], v[56:57], v[10:11]
	s_delay_alu instid0(VALU_DEP_3) | instskip(NEXT) | instid1(VALU_DEP_3)
	v_fma_f64 v[44:45], v[44:45], v[10:11], -v[48:49]
	v_fma_f64 v[46:47], v[46:47], v[10:11], -v[50:51]
	s_delay_alu instid0(VALU_DEP_3) | instskip(NEXT) | instid1(VALU_DEP_3)
	v_fma_f64 v[10:11], v[56:57], v[10:11], -v[62:63]
	v_add_f64_e32 v[52:53], v[50:51], v[44:45]
	s_delay_alu instid0(VALU_DEP_1) | instskip(SKIP_1) | instid1(VALU_DEP_2)
	v_add_f64_e64 v[54:55], v[52:53], -v[50:51]
	v_add_f64_e32 v[60:61], v[48:49], v[52:53]
	v_add_f64_e64 v[58:59], v[52:53], -v[54:55]
	v_add_f64_e64 v[44:45], v[44:45], -v[54:55]
	s_delay_alu instid0(VALU_DEP_3) | instskip(NEXT) | instid1(VALU_DEP_3)
	v_ldexp_f64 v[54:55], v[60:61], -2
	v_add_f64_e64 v[50:51], v[50:51], -v[58:59]
	v_add_f64_e32 v[58:59], v[62:63], v[46:47]
	s_delay_alu instid0(VALU_DEP_3) | instskip(NEXT) | instid1(VALU_DEP_3)
	v_cmp_neq_f64_e64 vcc_lo, 0x7ff00000, |v[54:55]|
	v_add_f64_e32 v[44:45], v[44:45], v[50:51]
	v_fract_f64_e32 v[50:51], v[54:55]
	s_delay_alu instid0(VALU_DEP_1) | instskip(NEXT) | instid1(VALU_DEP_1)
	v_ldexp_f64 v[50:51], v[50:51], 2
	v_dual_add_f64 v[48:49], v[60:61], -v[48:49] :: v_dual_cndmask_b32 v50, 0, v50, vcc_lo
	s_delay_alu instid0(VALU_DEP_1) | instskip(SKIP_1) | instid1(VALU_DEP_1)
	v_dual_add_f64 v[48:49], v[52:53], -v[48:49] :: v_dual_cndmask_b32 v51, 0, v51, vcc_lo
	v_add_f64_e32 v[52:53], v[58:59], v[44:45]
	v_add_f64_e32 v[54:55], v[48:49], v[52:53]
	v_add_f64_e64 v[64:65], v[52:53], -v[58:59]
	s_delay_alu instid0(VALU_DEP_2) | instskip(NEXT) | instid1(VALU_DEP_2)
	v_add_f64_e32 v[60:61], v[54:55], v[50:51]
	v_add_f64_e64 v[70:71], v[52:53], -v[64:65]
	v_add_f64_e64 v[44:45], v[44:45], -v[64:65]
	;; [unrolled: 1-line block ×3, first 2 shown]
	s_delay_alu instid0(VALU_DEP_4) | instskip(SKIP_1) | instid1(VALU_DEP_3)
	v_cmp_gt_f64_e32 vcc_lo, 0, v[60:61]
	v_add_f64_e64 v[60:61], v[58:59], -v[62:63]
	v_add_f64_e64 v[48:49], v[52:53], -v[48:49]
	v_cndmask_b32_e64 v27, 0, 0x40100000, vcc_lo
	s_delay_alu instid0(VALU_DEP_3) | instskip(SKIP_2) | instid1(VALU_DEP_4)
	v_add_f64_e64 v[68:69], v[58:59], -v[60:61]
	v_add_f64_e64 v[46:47], v[46:47], -v[60:61]
	;; [unrolled: 1-line block ×3, first 2 shown]
	v_add_f64_e32 v[50:51], v[50:51], v[26:27]
	s_delay_alu instid0(VALU_DEP_4) | instskip(NEXT) | instid1(VALU_DEP_3)
	v_add_f64_e64 v[60:61], v[62:63], -v[68:69]
	v_add_f64_e32 v[44:45], v[44:45], v[58:59]
	s_delay_alu instid0(VALU_DEP_3) | instskip(NEXT) | instid1(VALU_DEP_3)
	v_add_f64_e32 v[66:67], v[54:55], v[50:51]
	v_add_f64_e32 v[46:47], v[46:47], v[60:61]
	s_delay_alu instid0(VALU_DEP_2) | instskip(NEXT) | instid1(VALU_DEP_2)
	v_cvt_i32_f64_e32 v12, v[66:67]
	v_add_f64_e32 v[44:45], v[46:47], v[44:45]
	s_delay_alu instid0(VALU_DEP_2) | instskip(NEXT) | instid1(VALU_DEP_2)
	v_cvt_f64_i32_e32 v[64:65], v12
	v_add_f64_e32 v[10:11], v[10:11], v[44:45]
	s_delay_alu instid0(VALU_DEP_2) | instskip(NEXT) | instid1(VALU_DEP_2)
	v_add_f64_e64 v[50:51], v[50:51], -v[64:65]
	v_add_f64_e32 v[10:11], v[48:49], v[10:11]
	s_delay_alu instid0(VALU_DEP_2) | instskip(NEXT) | instid1(VALU_DEP_1)
	v_add_f64_e32 v[46:47], v[54:55], v[50:51]
	v_add_f64_e64 v[44:45], v[46:47], -v[50:51]
	v_cmp_le_f64_e32 vcc_lo, 0.5, v[46:47]
	s_delay_alu instid0(VALU_DEP_2) | instskip(SKIP_2) | instid1(VALU_DEP_3)
	v_add_f64_e64 v[44:45], v[54:55], -v[44:45]
	v_cndmask_b32_e64 v27, 0, 0x3ff00000, vcc_lo
	v_add_co_ci_u32_e64 v12, null, 0, v12, vcc_lo
	v_add_f64_e32 v[10:11], v[10:11], v[44:45]
	s_delay_alu instid0(VALU_DEP_3) | instskip(NEXT) | instid1(VALU_DEP_1)
	v_add_f64_e64 v[44:45], v[46:47], -v[26:27]
	v_add_f64_e32 v[46:47], v[44:45], v[10:11]
	s_delay_alu instid0(VALU_DEP_1) | instskip(SKIP_1) | instid1(VALU_DEP_2)
	v_mul_f64_e32 v[48:49], 0x3ff921fb54442d18, v[46:47]
	v_add_f64_e64 v[44:45], v[46:47], -v[44:45]
	v_fma_f64 v[50:51], v[46:47], s[12:13], -v[48:49]
	s_delay_alu instid0(VALU_DEP_2) | instskip(NEXT) | instid1(VALU_DEP_2)
	v_add_f64_e64 v[10:11], v[10:11], -v[44:45]
	v_fmac_f64_e32 v[50:51], 0x3c91a62633145c07, v[46:47]
	s_delay_alu instid0(VALU_DEP_1) | instskip(NEXT) | instid1(VALU_DEP_1)
	v_fmac_f64_e32 v[50:51], 0x3ff921fb54442d18, v[10:11]
	v_add_f64_e32 v[10:11], v[48:49], v[50:51]
	s_delay_alu instid0(VALU_DEP_1) | instskip(NEXT) | instid1(VALU_DEP_1)
	v_add_f64_e64 v[44:45], v[10:11], -v[48:49]
	v_add_f64_e64 v[44:45], v[50:51], -v[44:45]
.LBB93_212:                             ;   in Loop: Header=BB93_161 Depth=1
	s_and_not1_saveexec_b32 s4, s4
	s_cbranch_execz .LBB93_214
; %bb.213:                              ;   in Loop: Header=BB93_161 Depth=1
	v_mul_f64_e64 v[10:11], |v[18:19]|, s[14:15]
	s_delay_alu instid0(VALU_DEP_1) | instskip(NEXT) | instid1(VALU_DEP_1)
	v_rndne_f64_e32 v[46:47], v[10:11]
	v_fma_f64 v[10:11], v[46:47], s[16:17], |v[18:19]|
	v_mul_f64_e32 v[44:45], 0xbc91a62633145c00, v[46:47]
	v_cvt_i32_f64_e32 v12, v[46:47]
	s_delay_alu instid0(VALU_DEP_3) | instskip(NEXT) | instid1(VALU_DEP_3)
	v_fmamk_f64 v[52:53], v[46:47], 0xbc91a62633145c00, v[10:11]
	v_add_f64_e32 v[48:49], v[10:11], v[44:45]
	s_delay_alu instid0(VALU_DEP_1) | instskip(NEXT) | instid1(VALU_DEP_3)
	v_add_f64_e64 v[50:51], v[10:11], -v[48:49]
	v_add_f64_e64 v[10:11], v[48:49], -v[52:53]
	s_delay_alu instid0(VALU_DEP_2) | instskip(SKIP_1) | instid1(VALU_DEP_2)
	v_add_f64_e32 v[48:49], v[50:51], v[44:45]
	v_fmamk_f64 v[44:45], v[46:47], 0x3c91a62633145c00, v[44:45]
	v_add_f64_e32 v[10:11], v[10:11], v[48:49]
	s_delay_alu instid0(VALU_DEP_1) | instskip(NEXT) | instid1(VALU_DEP_1)
	v_add_f64_e64 v[44:45], v[10:11], -v[44:45]
	v_fmac_f64_e32 v[44:45], 0xb97b839a252049c0, v[46:47]
	s_delay_alu instid0(VALU_DEP_1) | instskip(NEXT) | instid1(VALU_DEP_1)
	v_add_f64_e32 v[10:11], v[52:53], v[44:45]
	v_add_f64_e64 v[48:49], v[10:11], -v[52:53]
	s_delay_alu instid0(VALU_DEP_1)
	v_add_f64_e64 v[44:45], v[44:45], -v[48:49]
.LBB93_214:                             ;   in Loop: Header=BB93_161 Depth=1
	s_or_b32 exec_lo, exec_lo, s4
	v_add_f64_e64 v[46:47], |v[20:21]|, s[18:19]
	v_cmp_nge_f64_e64 vcc_lo, |v[20:21]|, s[20:21]
	v_dual_mul_f64 v[64:65], v[10:11], v[10:11] :: v_dual_bitop2_b32 v12, 1, v12 bitop3:0x40
	s_delay_alu instid0(VALU_DEP_4) | instskip(NEXT) | instid1(VALU_DEP_2)
	v_add_f64_e32 v[66:67], v[44:45], v[44:45]
	v_cmp_eq_u32_e64 s4, 0, v12
	v_add_f64_e64 v[48:49], v[46:47], -|v[20:21]|
	s_delay_alu instid0(VALU_DEP_4) | instskip(NEXT) | instid1(VALU_DEP_2)
	v_fma_f64 v[68:69], v[10:11], v[10:11], -v[64:65]
	v_add_f64_e64 v[50:51], v[48:49], -v[46:47]
	v_add_f64_e32 v[48:49], 0x3fe62e42fefa39ef, v[48:49]
	s_delay_alu instid0(VALU_DEP_3) | instskip(NEXT) | instid1(VALU_DEP_3)
	v_fmac_f64_e32 v[68:69], v[10:11], v[66:67]
	v_add_f64_e64 v[50:51], |v[20:21]|, v[50:51]
	s_delay_alu instid0(VALU_DEP_2) | instskip(NEXT) | instid1(VALU_DEP_2)
	v_add_f64_e32 v[64:65], v[64:65], v[68:69]
	v_add_f64_e64 v[48:49], v[50:51], -v[48:49]
	s_delay_alu instid0(VALU_DEP_2) | instskip(NEXT) | instid1(VALU_DEP_1)
	v_fmamk_f64 v[68:69], v[64:65], 0x3ef5e089c751c08c, v[28:29]
	v_fmaak_f64 v[68:69], v[64:65], v[68:69], 0x3f17746f90a8aae0
	s_delay_alu instid0(VALU_DEP_1) | instskip(NEXT) | instid1(VALU_DEP_4)
	v_fmaak_f64 v[68:69], v[64:65], v[68:69], 0xbefbb44da6fbf144
	v_add_f64_e32 v[48:49], 0xbc7abc9e3b39803f, v[48:49]
	s_delay_alu instid0(VALU_DEP_1) | instskip(NEXT) | instid1(VALU_DEP_1)
	v_add_f64_e32 v[50:51], v[46:47], v[48:49]
	v_mul_f64_e32 v[52:53], 0x3ff71547652b82fe, v[50:51]
	v_add_f64_e64 v[46:47], v[46:47], -v[50:51]
	s_delay_alu instid0(VALU_DEP_2) | instskip(NEXT) | instid1(VALU_DEP_2)
	v_rndne_f64_e32 v[52:53], v[52:53]
	v_add_f64_e32 v[46:47], v[48:49], v[46:47]
	s_delay_alu instid0(VALU_DEP_2) | instskip(SKIP_2) | instid1(VALU_DEP_3)
	v_fmac_f64_e32 v[50:51], 0xbfe62e42fefa3000, v[52:53]
	v_mul_f64_e32 v[48:49], 0xbd53de6af278e000, v[52:53]
	v_cvt_i32_f64_e32 v18, v[52:53]
	v_add_f64_e32 v[54:55], v[46:47], v[50:51]
	s_delay_alu instid0(VALU_DEP_1) | instskip(SKIP_1) | instid1(VALU_DEP_2)
	v_add_f64_e32 v[56:57], v[54:55], v[48:49]
	v_add_f64_e64 v[50:51], v[50:51], -v[54:55]
	v_add_f64_e64 v[54:55], v[54:55], -v[56:57]
	s_delay_alu instid0(VALU_DEP_2) | instskip(NEXT) | instid1(VALU_DEP_2)
	v_add_f64_e32 v[46:47], v[46:47], v[50:51]
	v_add_f64_e32 v[48:49], v[54:55], v[48:49]
	s_delay_alu instid0(VALU_DEP_1) | instskip(SKIP_1) | instid1(VALU_DEP_2)
	v_add_f64_e32 v[46:47], v[46:47], v[48:49]
	v_mul_f64_e32 v[48:49], 0xbac9cc01f97b57a0, v[52:53]
	v_add_f64_e32 v[50:51], v[56:57], v[46:47]
	s_delay_alu instid0(VALU_DEP_1) | instskip(SKIP_1) | instid1(VALU_DEP_2)
	v_add_f64_e32 v[54:55], v[50:51], v[48:49]
	v_add_f64_e64 v[56:57], v[56:57], -v[50:51]
	v_add_f64_e64 v[50:51], v[50:51], -v[54:55]
	s_delay_alu instid0(VALU_DEP_2) | instskip(NEXT) | instid1(VALU_DEP_2)
	v_add_f64_e32 v[46:47], v[46:47], v[56:57]
	v_add_f64_e32 v[48:49], v[50:51], v[48:49]
	s_delay_alu instid0(VALU_DEP_1) | instskip(NEXT) | instid1(VALU_DEP_1)
	v_add_f64_e32 v[46:47], v[46:47], v[48:49]
	v_add_f64_e32 v[48:49], v[54:55], v[46:47]
	s_delay_alu instid0(VALU_DEP_1) | instskip(SKIP_1) | instid1(VALU_DEP_2)
	v_add_f64_e64 v[50:51], v[54:55], -v[48:49]
	v_mul_f64_e32 v[54:55], v[48:49], v[48:49]
	v_add_f64_e32 v[46:47], v[46:47], v[50:51]
	s_delay_alu instid0(VALU_DEP_2) | instskip(NEXT) | instid1(VALU_DEP_2)
	v_fma_f64 v[50:51], v[48:49], v[48:49], -v[54:55]
	v_add_f64_e32 v[56:57], v[46:47], v[46:47]
	s_delay_alu instid0(VALU_DEP_1) | instskip(SKIP_1) | instid1(VALU_DEP_1)
	v_fmac_f64_e32 v[50:51], v[48:49], v[56:57]
	v_fmamk_f64 v[56:57], v[48:49], 0x3e5ade156a5dcb37, v[30:31]
	v_fmaak_f64 v[56:57], v[48:49], v[56:57], 0x3ec71dee623fde64
	s_delay_alu instid0(VALU_DEP_1) | instskip(NEXT) | instid1(VALU_DEP_1)
	v_fmaak_f64 v[56:57], v[48:49], v[56:57], 0x3efa01997c89e6b0
	v_fmaak_f64 v[56:57], v[48:49], v[56:57], 0x3f2a01a014761f6e
	s_delay_alu instid0(VALU_DEP_1) | instskip(SKIP_1) | instid1(VALU_DEP_2)
	v_fmaak_f64 v[56:57], v[48:49], v[56:57], 0x3f56c16c1852b7b0
	v_add_f64_e32 v[58:59], v[54:55], v[50:51]
	v_fmaak_f64 v[56:57], v[48:49], v[56:57], 0x3f81111111122322
	s_delay_alu instid0(VALU_DEP_1) | instskip(NEXT) | instid1(VALU_DEP_1)
	v_fmaak_f64 v[56:57], v[48:49], v[56:57], 0x3fa55555555502a1
	v_fmaak_f64 v[56:57], v[48:49], v[56:57], 0x3fc5555555555511
	s_delay_alu instid0(VALU_DEP_1) | instskip(SKIP_1) | instid1(VALU_DEP_2)
	v_fmaak_f64 v[56:57], v[48:49], v[56:57], 0x3fe000000000000b
	v_add_f64_e64 v[54:55], v[58:59], -v[54:55]
	v_mul_f64_e32 v[60:61], v[58:59], v[56:57]
	s_delay_alu instid0(VALU_DEP_2) | instskip(NEXT) | instid1(VALU_DEP_2)
	v_add_f64_e64 v[50:51], v[50:51], -v[54:55]
	v_fma_f64 v[54:55], v[58:59], v[56:57], -v[60:61]
	s_delay_alu instid0(VALU_DEP_1) | instskip(NEXT) | instid1(VALU_DEP_1)
	v_fmac_f64_e32 v[54:55], v[50:51], v[56:57]
	v_add_f64_e32 v[50:51], v[60:61], v[54:55]
	s_delay_alu instid0(VALU_DEP_1) | instskip(SKIP_1) | instid1(VALU_DEP_2)
	v_add_f64_e32 v[56:57], v[48:49], v[50:51]
	v_add_f64_e64 v[58:59], v[50:51], -v[60:61]
	v_add_f64_e64 v[48:49], v[56:57], -v[48:49]
	s_delay_alu instid0(VALU_DEP_2) | instskip(NEXT) | instid1(VALU_DEP_2)
	v_add_f64_e64 v[54:55], v[54:55], -v[58:59]
	v_add_f64_e64 v[48:49], v[50:51], -v[48:49]
	s_delay_alu instid0(VALU_DEP_2) | instskip(NEXT) | instid1(VALU_DEP_1)
	v_add_f64_e32 v[46:47], v[46:47], v[54:55]
	v_add_f64_e32 v[46:47], v[46:47], v[48:49]
	s_delay_alu instid0(VALU_DEP_1) | instskip(NEXT) | instid1(VALU_DEP_1)
	v_add_f64_e32 v[48:49], v[56:57], v[46:47]
	v_add_f64_e32 v[50:51], 1.0, v[48:49]
	v_add_f64_e64 v[54:55], v[48:49], -v[56:57]
	s_delay_alu instid0(VALU_DEP_2) | instskip(NEXT) | instid1(VALU_DEP_2)
	v_add_f64_e32 v[56:57], -1.0, v[50:51]
	v_add_f64_e64 v[46:47], v[46:47], -v[54:55]
	s_delay_alu instid0(VALU_DEP_2) | instskip(NEXT) | instid1(VALU_DEP_1)
	v_add_f64_e64 v[48:49], v[48:49], -v[56:57]
	v_add_f64_e32 v[46:47], v[46:47], v[48:49]
	s_delay_alu instid0(VALU_DEP_1) | instskip(NEXT) | instid1(VALU_DEP_1)
	v_add_f64_e32 v[48:49], v[50:51], v[46:47]
	v_ldexp_f64 v[52:53], v[48:49], v18
	v_add_f64_e64 v[48:49], v[48:49], -v[50:51]
	s_delay_alu instid0(VALU_DEP_2) | instskip(NEXT) | instid1(VALU_DEP_1)
	v_rcp_f64_e32 v[54:55], v[52:53]
	v_add_f64_e64 v[46:47], v[46:47], -v[48:49]
	s_delay_alu instid0(VALU_DEP_1) | instskip(NEXT) | instid1(TRANS32_DEP_1)
	v_ldexp_f64 v[46:47], v[46:47], v18
	v_fma_f64 v[56:57], -v[52:53], v[54:55], 1.0
	s_delay_alu instid0(VALU_DEP_1) | instskip(NEXT) | instid1(VALU_DEP_1)
	v_fmac_f64_e32 v[54:55], v[56:57], v[54:55]
	v_fma_f64 v[56:57], -v[52:53], v[54:55], 1.0
	s_delay_alu instid0(VALU_DEP_1) | instskip(NEXT) | instid1(VALU_DEP_1)
	v_fmac_f64_e32 v[54:55], v[56:57], v[54:55]
	v_mul_f64_e32 v[48:49], v[52:53], v[54:55]
	s_delay_alu instid0(VALU_DEP_1) | instskip(NEXT) | instid1(VALU_DEP_1)
	v_fma_f64 v[50:51], v[54:55], v[52:53], -v[48:49]
	v_fmac_f64_e32 v[50:51], v[54:55], v[46:47]
	s_delay_alu instid0(VALU_DEP_1) | instskip(NEXT) | instid1(VALU_DEP_1)
	v_add_f64_e32 v[56:57], v[48:49], v[50:51]
	v_add_f64_e64 v[58:59], -v[56:57], 1.0
	v_add_f64_e64 v[48:49], v[56:57], -v[48:49]
	s_delay_alu instid0(VALU_DEP_2) | instskip(NEXT) | instid1(VALU_DEP_2)
	v_add_f64_e64 v[60:61], -v[58:59], 1.0
	v_add_f64_e64 v[48:49], v[48:49], -v[50:51]
	s_delay_alu instid0(VALU_DEP_2) | instskip(NEXT) | instid1(VALU_DEP_1)
	v_add_f64_e64 v[50:51], v[60:61], -v[56:57]
	v_add_f64_e32 v[48:49], v[48:49], v[50:51]
	s_delay_alu instid0(VALU_DEP_1) | instskip(NEXT) | instid1(VALU_DEP_1)
	v_add_f64_e32 v[50:51], v[58:59], v[48:49]
	v_mul_f64_e32 v[56:57], v[54:55], v[50:51]
	v_add_f64_e64 v[58:59], v[58:59], -v[50:51]
	s_delay_alu instid0(VALU_DEP_2) | instskip(NEXT) | instid1(VALU_DEP_2)
	v_mul_f64_e32 v[60:61], v[52:53], v[56:57]
	v_add_f64_e32 v[48:49], v[48:49], v[58:59]
	s_delay_alu instid0(VALU_DEP_2) | instskip(NEXT) | instid1(VALU_DEP_1)
	v_fma_f64 v[62:63], v[56:57], v[52:53], -v[60:61]
	v_fmac_f64_e32 v[62:63], v[56:57], v[46:47]
	s_delay_alu instid0(VALU_DEP_1) | instskip(NEXT) | instid1(VALU_DEP_1)
	v_add_f64_e32 v[70:71], v[60:61], v[62:63]
	v_add_f64_e64 v[66:67], v[50:51], -v[70:71]
	v_add_f64_e64 v[58:59], v[70:71], -v[60:61]
	v_fmaak_f64 v[60:61], v[64:65], v[68:69], 0x3f21e634a7943acf
	s_delay_alu instid0(VALU_DEP_1) | instskip(NEXT) | instid1(VALU_DEP_1)
	v_fmaak_f64 v[60:61], v[64:65], v[60:61], 0x3f2d250fdeb68feb
	v_fmaak_f64 v[60:61], v[64:65], v[60:61], 0x3f437fd9b58c4d95
	s_delay_alu instid0(VALU_DEP_1) | instskip(NEXT) | instid1(VALU_DEP_1)
	v_fmaak_f64 v[60:61], v[64:65], v[60:61], 0x3f57d5af15120e2c
	v_fmaak_f64 v[60:61], v[64:65], v[60:61], 0x3f6d6d93e09491df
	v_add_f64_e64 v[50:51], v[50:51], -v[66:67]
	v_add_f64_e64 v[58:59], v[58:59], -v[62:63]
	s_delay_alu instid0(VALU_DEP_2) | instskip(NEXT) | instid1(VALU_DEP_1)
	v_add_f64_e64 v[50:51], v[50:51], -v[70:71]
	v_add_f64_e32 v[48:49], v[48:49], v[50:51]
	v_fmaak_f64 v[50:51], v[64:65], v[60:61], 0x3f8226e12033784d
	v_add_f64_e32 v[60:61], v[54:55], v[56:57]
	s_delay_alu instid0(VALU_DEP_2) | instskip(NEXT) | instid1(VALU_DEP_1)
	v_fmaak_f64 v[50:51], v[64:65], v[50:51], 0x3f9664f49ac36ae2
	v_fmaak_f64 v[50:51], v[64:65], v[50:51], 0x3faba1ba1b451c21
	s_delay_alu instid0(VALU_DEP_1) | instskip(NEXT) | instid1(VALU_DEP_1)
	v_fmaak_f64 v[50:51], v[64:65], v[50:51], 0x3fc11111111185b7
	v_fmaak_f64 v[50:51], v[64:65], v[50:51], 0x3fd55555555554ee
	v_add_f64_e32 v[48:49], v[58:59], v[48:49]
	v_add_f64_e64 v[58:59], v[60:61], -v[54:55]
	s_delay_alu instid0(VALU_DEP_3) | instskip(NEXT) | instid1(VALU_DEP_3)
	v_mul_f64_e32 v[50:51], v[64:65], v[50:51]
	v_add_f64_e32 v[48:49], v[66:67], v[48:49]
	s_delay_alu instid0(VALU_DEP_3) | instskip(NEXT) | instid1(VALU_DEP_3)
	v_add_f64_e64 v[56:57], v[56:57], -v[58:59]
	v_mul_f64_e32 v[62:63], v[10:11], v[50:51]
	s_delay_alu instid0(VALU_DEP_3) | instskip(NEXT) | instid1(VALU_DEP_2)
	v_mul_f64_e32 v[48:49], v[54:55], v[48:49]
	v_add_f64_e32 v[54:55], v[10:11], v[62:63]
	v_fma_f64 v[50:51], v[10:11], v[50:51], -v[62:63]
	s_delay_alu instid0(VALU_DEP_3) | instskip(NEXT) | instid1(VALU_DEP_3)
	v_add_f64_e32 v[48:49], v[56:57], v[48:49]
	v_add_f64_e64 v[10:11], v[54:55], -v[10:11]
	s_delay_alu instid0(VALU_DEP_3) | instskip(NEXT) | instid1(VALU_DEP_3)
	v_add_f64_e32 v[44:45], v[44:45], v[50:51]
	v_add_f64_e32 v[56:57], v[60:61], v[48:49]
	s_delay_alu instid0(VALU_DEP_3) | instskip(NEXT) | instid1(VALU_DEP_2)
	v_add_f64_e64 v[10:11], v[62:63], -v[10:11]
	v_ldexp_f64 v[50:51], v[56:57], -2
	v_add_f64_e64 v[56:57], v[56:57], -v[60:61]
	s_delay_alu instid0(VALU_DEP_3) | instskip(NEXT) | instid1(VALU_DEP_3)
	v_add_f64_e32 v[10:11], v[44:45], v[10:11]
	v_add_f64_e64 v[44:45], v[52:53], -v[50:51]
	s_delay_alu instid0(VALU_DEP_3) | instskip(NEXT) | instid1(VALU_DEP_3)
	v_add_f64_e64 v[48:49], v[48:49], -v[56:57]
	v_add_f64_e32 v[58:59], v[54:55], v[10:11]
	s_delay_alu instid0(VALU_DEP_3) | instskip(NEXT) | instid1(VALU_DEP_3)
	v_add_f64_e64 v[52:53], v[52:53], -v[44:45]
	v_ldexp_f64 v[48:49], v[48:49], -2
	s_delay_alu instid0(VALU_DEP_3) | instskip(NEXT) | instid1(VALU_DEP_2)
	v_rcp_f64_e32 v[60:61], v[58:59]
	v_add_f64_e64 v[50:51], v[52:53], -v[50:51]
	s_delay_alu instid0(TRANS32_DEP_1) | instskip(NEXT) | instid1(VALU_DEP_2)
	v_fma_f64 v[52:53], -v[58:59], v[60:61], 1.0
	v_add_f64_e32 v[46:47], v[46:47], v[50:51]
	s_delay_alu instid0(VALU_DEP_2) | instskip(NEXT) | instid1(VALU_DEP_2)
	v_fmac_f64_e32 v[60:61], v[52:53], v[60:61]
	v_add_f64_e64 v[46:47], v[46:47], -v[48:49]
	s_delay_alu instid0(VALU_DEP_2) | instskip(NEXT) | instid1(VALU_DEP_2)
	v_fma_f64 v[48:49], -v[58:59], v[60:61], 1.0
	v_add_f64_e32 v[44:45], v[44:45], v[46:47]
	s_delay_alu instid0(VALU_DEP_2) | instskip(NEXT) | instid1(VALU_DEP_2)
	v_fmac_f64_e32 v[60:61], v[48:49], v[60:61]
	v_cndmask_b32_e32 v18, 0x7ff00000, v45, vcc_lo
	s_delay_alu instid0(VALU_DEP_3) | instskip(SKIP_4) | instid1(VALU_DEP_3)
	v_cndmask_b32_e32 v27, 0, v44, vcc_lo
	v_cmp_gt_f64_e64 vcc_lo, 0x3e400000, |v[20:21]|
	v_and_b32_e32 v21, 0x7fffffff, v21
	v_add_f64_e64 v[44:45], v[58:59], -v[54:55]
	v_mul_f64_e32 v[46:47], v[58:59], v[60:61]
	v_dual_cndmask_b32 v18, v18, v21, vcc_lo :: v_dual_cndmask_b32 v20, v27, v20, vcc_lo
	s_delay_alu instid0(VALU_DEP_3) | instskip(NEXT) | instid1(VALU_DEP_2)
	v_add_f64_e64 v[10:11], v[10:11], -v[44:45]
	v_bfi_b32 v21, 0x7fffffff, v18, v13
	s_delay_alu instid0(VALU_DEP_4) | instskip(NEXT) | instid1(VALU_DEP_2)
	v_fma_f64 v[44:45], v[60:61], v[58:59], -v[46:47]
	v_fma_f64 v[48:49], v[20:21], v[20:21], 1.0
	s_delay_alu instid0(VALU_DEP_2) | instskip(NEXT) | instid1(VALU_DEP_2)
	v_fmac_f64_e32 v[44:45], v[60:61], v[10:11]
	v_cmp_gt_f64_e32 vcc_lo, 0x10000000, v[48:49]
	v_cndmask_b32_e64 v13, 0, 0x100, vcc_lo
	s_delay_alu instid0(VALU_DEP_1) | instskip(NEXT) | instid1(VALU_DEP_4)
	v_ldexp_f64 v[10:11], v[48:49], v13
	v_add_f64_e32 v[48:49], v[46:47], v[44:45]
	s_delay_alu instid0(VALU_DEP_2) | instskip(NEXT) | instid1(VALU_DEP_1)
	v_rsq_f64_e32 v[50:51], v[10:11]
	v_add_f64_e64 v[52:53], -v[48:49], 1.0
	v_add_f64_e64 v[46:47], v[48:49], -v[46:47]
	s_delay_alu instid0(VALU_DEP_2) | instskip(NEXT) | instid1(VALU_DEP_2)
	v_add_f64_e64 v[56:57], -v[52:53], 1.0
	v_add_f64_e64 v[44:45], v[46:47], -v[44:45]
	s_delay_alu instid0(TRANS32_DEP_1) | instskip(SKIP_1) | instid1(VALU_DEP_4)
	v_mul_f64_e32 v[54:55], v[10:11], v[50:51]
	v_mul_f64_e32 v[50:51], 0.5, v[50:51]
	v_add_f64_e64 v[46:47], v[56:57], -v[48:49]
	s_delay_alu instid0(VALU_DEP_2) | instskip(NEXT) | instid1(VALU_DEP_2)
	v_fma_f64 v[62:63], -v[50:51], v[54:55], 0.5
	v_add_f64_e32 v[44:45], v[44:45], v[46:47]
	s_delay_alu instid0(VALU_DEP_2) | instskip(SKIP_1) | instid1(VALU_DEP_3)
	v_fmac_f64_e32 v[54:55], v[54:55], v[62:63]
	v_fmac_f64_e32 v[50:51], v[50:51], v[62:63]
	v_add_f64_e32 v[44:45], v[52:53], v[44:45]
	s_delay_alu instid0(VALU_DEP_3) | instskip(NEXT) | instid1(VALU_DEP_2)
	v_fma_f64 v[46:47], -v[54:55], v[54:55], v[10:11]
	v_mul_f64_e32 v[44:45], v[60:61], v[44:45]
	s_delay_alu instid0(VALU_DEP_2) | instskip(NEXT) | instid1(VALU_DEP_2)
	v_fmac_f64_e32 v[54:55], v[46:47], v[50:51]
	v_add_f64_e32 v[44:45], v[60:61], v[44:45]
	s_delay_alu instid0(VALU_DEP_2) | instskip(NEXT) | instid1(VALU_DEP_2)
	v_fma_f64 v[46:47], -v[54:55], v[54:55], v[10:11]
	v_xor_b32_e32 v13, 0x80000000, v45
	s_delay_alu instid0(VALU_DEP_1) | instskip(NEXT) | instid1(VALU_DEP_3)
	v_dual_cndmask_b32 v18, v44, v58, s4 :: v_dual_cndmask_b32 v12, v13, v59, s4
	v_fmac_f64_e32 v[54:55], v[46:47], v[50:51]
	v_cndmask_b32_e64 v13, 0, 0xffffff80, vcc_lo
	v_cmp_class_f64_e64 vcc_lo, v[10:11], 0x260
	s_delay_alu instid0(VALU_DEP_4) | instskip(NEXT) | instid1(VALU_DEP_1)
	v_bitop3_b32 v19, v12, v19, 0x80000000 bitop3:0x78
	v_fma_f64 v[44:45], v[18:19], v[18:19], 1.0
	s_delay_alu instid0(VALU_DEP_4) | instskip(NEXT) | instid1(VALU_DEP_1)
	v_ldexp_f64 v[12:13], v[54:55], v13
	v_dual_cndmask_b32 v11, v13, v11 :: v_dual_cndmask_b32 v10, v12, v10
	s_delay_alu instid0(VALU_DEP_3) | instskip(NEXT) | instid1(VALU_DEP_2)
	v_mul_f64_e32 v[12:13], v[20:21], v[44:45]
	v_mul_f64_e32 v[10:11], v[10:11], v[44:45]
	s_delay_alu instid0(VALU_DEP_2) | instskip(NEXT) | instid1(VALU_DEP_2)
	v_fma_f64 v[44:45], v[20:21], v[12:13], 1.0
	v_mul_f64_e32 v[10:11], v[20:21], v[10:11]
	s_delay_alu instid0(VALU_DEP_2) | instskip(NEXT) | instid1(VALU_DEP_2)
	v_div_scale_f64 v[20:21], null, v[44:45], v[44:45], v[18:19]
	v_div_scale_f64 v[12:13], null, v[44:45], v[44:45], v[10:11]
	v_div_scale_f64 v[54:55], vcc_lo, v[10:11], v[44:45], v[10:11]
	s_delay_alu instid0(VALU_DEP_3) | instskip(NEXT) | instid1(VALU_DEP_2)
	v_rcp_f64_e32 v[48:49], v[20:21]
	v_rcp_f64_e32 v[46:47], v[12:13]
	s_delay_alu instid0(TRANS32_DEP_2) | instskip(NEXT) | instid1(TRANS32_DEP_1)
	v_fma_f64 v[52:53], -v[20:21], v[48:49], 1.0
	v_fma_f64 v[50:51], -v[12:13], v[46:47], 1.0
	s_delay_alu instid0(VALU_DEP_2) | instskip(NEXT) | instid1(VALU_DEP_2)
	v_fmac_f64_e32 v[48:49], v[48:49], v[52:53]
	v_fmac_f64_e32 v[46:47], v[46:47], v[50:51]
	s_delay_alu instid0(VALU_DEP_2) | instskip(NEXT) | instid1(VALU_DEP_2)
	v_fma_f64 v[52:53], -v[20:21], v[48:49], 1.0
	v_fma_f64 v[50:51], -v[12:13], v[46:47], 1.0
	s_delay_alu instid0(VALU_DEP_2) | instskip(NEXT) | instid1(VALU_DEP_2)
	v_fmac_f64_e32 v[48:49], v[48:49], v[52:53]
	v_fmac_f64_e32 v[46:47], v[46:47], v[50:51]
	v_div_scale_f64 v[50:51], s4, v[18:19], v[44:45], v[18:19]
	s_delay_alu instid0(VALU_DEP_2) | instskip(NEXT) | instid1(VALU_DEP_2)
	v_mul_f64_e32 v[52:53], v[54:55], v[46:47]
	v_mul_f64_e32 v[56:57], v[50:51], v[48:49]
	s_delay_alu instid0(VALU_DEP_2) | instskip(NEXT) | instid1(VALU_DEP_2)
	v_fma_f64 v[12:13], -v[12:13], v[52:53], v[54:55]
	v_fma_f64 v[20:21], -v[20:21], v[56:57], v[50:51]
	s_delay_alu instid0(VALU_DEP_2) | instskip(SKIP_1) | instid1(VALU_DEP_2)
	v_div_fmas_f64 v[12:13], v[12:13], v[46:47], v[52:53]
	s_mov_b32 vcc_lo, s4
	v_div_fmas_f64 v[20:21], v[20:21], v[48:49], v[56:57]
	s_delay_alu instid0(VALU_DEP_2) | instskip(NEXT) | instid1(VALU_DEP_2)
	v_div_fixup_f64 v[12:13], v[12:13], v[44:45], v[10:11]
	v_div_fixup_f64 v[10:11], v[20:21], v[44:45], v[18:19]
                                        ; implicit-def: $vgpr18_vgpr19
.LBB93_215:                             ;   in Loop: Header=BB93_161 Depth=1
	s_and_not1_saveexec_b32 s4, s35
	s_cbranch_execz .LBB93_225
; %bb.216:                              ;   in Loop: Header=BB93_161 Depth=1
	v_cmp_ngt_f64_e64 s35, 0x41d00000, |v[18:19]|
                                        ; implicit-def: $vgpr12
                                        ; implicit-def: $vgpr10_vgpr11
                                        ; implicit-def: $vgpr44_vgpr45
	s_and_saveexec_b32 s36, s35
	s_delay_alu instid0(SALU_CYCLE_1)
	s_xor_b32 s36, exec_lo, s36
	s_cbranch_execz .LBB93_218
; %bb.217:                              ;   in Loop: Header=BB93_161 Depth=1
	v_ldexp_f64 v[10:11], |v[18:19]|, 0xffffff80
	v_cmp_le_f64_e64 vcc_lo, 0x7b000000, |v[18:19]|
	v_trig_preop_f64 v[44:45], |v[18:19]|, 0
	v_and_b32_e32 v12, 0x7fffffff, v19
	v_trig_preop_f64 v[46:47], |v[18:19]|, 1
	v_trig_preop_f64 v[56:57], |v[18:19]|, 2
	s_delay_alu instid0(VALU_DEP_3) | instskip(NEXT) | instid1(VALU_DEP_1)
	v_dual_cndmask_b32 v11, v12, v11 :: v_dual_cndmask_b32 v10, v18, v10
	v_mul_f64_e32 v[48:49], v[44:45], v[10:11]
	s_delay_alu instid0(VALU_DEP_4) | instskip(NEXT) | instid1(VALU_DEP_4)
	v_mul_f64_e32 v[50:51], v[46:47], v[10:11]
	v_mul_f64_e32 v[62:63], v[56:57], v[10:11]
	s_delay_alu instid0(VALU_DEP_3) | instskip(NEXT) | instid1(VALU_DEP_3)
	v_fma_f64 v[44:45], v[44:45], v[10:11], -v[48:49]
	v_fma_f64 v[46:47], v[46:47], v[10:11], -v[50:51]
	s_delay_alu instid0(VALU_DEP_3) | instskip(NEXT) | instid1(VALU_DEP_3)
	v_fma_f64 v[10:11], v[56:57], v[10:11], -v[62:63]
	v_add_f64_e32 v[52:53], v[50:51], v[44:45]
	s_delay_alu instid0(VALU_DEP_1) | instskip(SKIP_1) | instid1(VALU_DEP_2)
	v_add_f64_e64 v[54:55], v[52:53], -v[50:51]
	v_add_f64_e32 v[60:61], v[48:49], v[52:53]
	v_add_f64_e64 v[58:59], v[52:53], -v[54:55]
	v_add_f64_e64 v[44:45], v[44:45], -v[54:55]
	s_delay_alu instid0(VALU_DEP_3) | instskip(NEXT) | instid1(VALU_DEP_3)
	v_ldexp_f64 v[54:55], v[60:61], -2
	v_add_f64_e64 v[50:51], v[50:51], -v[58:59]
	v_add_f64_e32 v[58:59], v[62:63], v[46:47]
	s_delay_alu instid0(VALU_DEP_3) | instskip(NEXT) | instid1(VALU_DEP_3)
	v_cmp_neq_f64_e64 vcc_lo, 0x7ff00000, |v[54:55]|
	v_add_f64_e32 v[44:45], v[44:45], v[50:51]
	v_fract_f64_e32 v[50:51], v[54:55]
	s_delay_alu instid0(VALU_DEP_1) | instskip(NEXT) | instid1(VALU_DEP_1)
	v_ldexp_f64 v[50:51], v[50:51], 2
	v_dual_add_f64 v[48:49], v[60:61], -v[48:49] :: v_dual_cndmask_b32 v50, 0, v50, vcc_lo
	s_delay_alu instid0(VALU_DEP_1) | instskip(SKIP_1) | instid1(VALU_DEP_1)
	v_dual_add_f64 v[48:49], v[52:53], -v[48:49] :: v_dual_cndmask_b32 v51, 0, v51, vcc_lo
	v_add_f64_e32 v[52:53], v[58:59], v[44:45]
	v_add_f64_e32 v[54:55], v[48:49], v[52:53]
	v_add_f64_e64 v[64:65], v[52:53], -v[58:59]
	s_delay_alu instid0(VALU_DEP_2) | instskip(NEXT) | instid1(VALU_DEP_2)
	v_add_f64_e32 v[60:61], v[54:55], v[50:51]
	v_add_f64_e64 v[70:71], v[52:53], -v[64:65]
	v_add_f64_e64 v[44:45], v[44:45], -v[64:65]
	;; [unrolled: 1-line block ×3, first 2 shown]
	s_delay_alu instid0(VALU_DEP_4) | instskip(SKIP_1) | instid1(VALU_DEP_3)
	v_cmp_gt_f64_e32 vcc_lo, 0, v[60:61]
	v_add_f64_e64 v[60:61], v[58:59], -v[62:63]
	v_add_f64_e64 v[48:49], v[52:53], -v[48:49]
	v_cndmask_b32_e64 v27, 0, 0x40100000, vcc_lo
	s_delay_alu instid0(VALU_DEP_3) | instskip(SKIP_2) | instid1(VALU_DEP_4)
	v_add_f64_e64 v[68:69], v[58:59], -v[60:61]
	v_add_f64_e64 v[46:47], v[46:47], -v[60:61]
	;; [unrolled: 1-line block ×3, first 2 shown]
	v_add_f64_e32 v[50:51], v[50:51], v[26:27]
	s_delay_alu instid0(VALU_DEP_4) | instskip(NEXT) | instid1(VALU_DEP_3)
	v_add_f64_e64 v[60:61], v[62:63], -v[68:69]
	v_add_f64_e32 v[44:45], v[44:45], v[58:59]
	s_delay_alu instid0(VALU_DEP_3) | instskip(NEXT) | instid1(VALU_DEP_3)
	v_add_f64_e32 v[66:67], v[54:55], v[50:51]
	v_add_f64_e32 v[46:47], v[46:47], v[60:61]
	s_delay_alu instid0(VALU_DEP_2) | instskip(NEXT) | instid1(VALU_DEP_2)
	v_cvt_i32_f64_e32 v12, v[66:67]
	v_add_f64_e32 v[44:45], v[46:47], v[44:45]
	s_delay_alu instid0(VALU_DEP_2) | instskip(NEXT) | instid1(VALU_DEP_2)
	v_cvt_f64_i32_e32 v[64:65], v12
	v_add_f64_e32 v[10:11], v[10:11], v[44:45]
	s_delay_alu instid0(VALU_DEP_2) | instskip(NEXT) | instid1(VALU_DEP_2)
	v_add_f64_e64 v[50:51], v[50:51], -v[64:65]
	v_add_f64_e32 v[10:11], v[48:49], v[10:11]
	s_delay_alu instid0(VALU_DEP_2) | instskip(NEXT) | instid1(VALU_DEP_1)
	v_add_f64_e32 v[46:47], v[54:55], v[50:51]
	v_add_f64_e64 v[44:45], v[46:47], -v[50:51]
	v_cmp_le_f64_e32 vcc_lo, 0.5, v[46:47]
	s_delay_alu instid0(VALU_DEP_2) | instskip(SKIP_2) | instid1(VALU_DEP_3)
	v_add_f64_e64 v[44:45], v[54:55], -v[44:45]
	v_cndmask_b32_e64 v27, 0, 0x3ff00000, vcc_lo
	v_add_co_ci_u32_e64 v12, null, 0, v12, vcc_lo
	v_add_f64_e32 v[10:11], v[10:11], v[44:45]
	s_delay_alu instid0(VALU_DEP_3) | instskip(NEXT) | instid1(VALU_DEP_1)
	v_add_f64_e64 v[44:45], v[46:47], -v[26:27]
	v_add_f64_e32 v[46:47], v[44:45], v[10:11]
	s_delay_alu instid0(VALU_DEP_1) | instskip(SKIP_1) | instid1(VALU_DEP_2)
	v_mul_f64_e32 v[48:49], 0x3ff921fb54442d18, v[46:47]
	v_add_f64_e64 v[44:45], v[46:47], -v[44:45]
	v_fma_f64 v[50:51], v[46:47], s[12:13], -v[48:49]
	s_delay_alu instid0(VALU_DEP_2) | instskip(NEXT) | instid1(VALU_DEP_2)
	v_add_f64_e64 v[10:11], v[10:11], -v[44:45]
	v_fmac_f64_e32 v[50:51], 0x3c91a62633145c07, v[46:47]
	s_delay_alu instid0(VALU_DEP_1) | instskip(NEXT) | instid1(VALU_DEP_1)
	v_fmac_f64_e32 v[50:51], 0x3ff921fb54442d18, v[10:11]
	v_add_f64_e32 v[10:11], v[48:49], v[50:51]
	s_delay_alu instid0(VALU_DEP_1) | instskip(NEXT) | instid1(VALU_DEP_1)
	v_add_f64_e64 v[44:45], v[10:11], -v[48:49]
	v_add_f64_e64 v[44:45], v[50:51], -v[44:45]
	s_and_not1_saveexec_b32 s36, s36
	s_cbranch_execz .LBB93_220
	s_branch .LBB93_219
.LBB93_218:                             ;   in Loop: Header=BB93_161 Depth=1
	s_and_not1_saveexec_b32 s36, s36
	s_cbranch_execz .LBB93_220
.LBB93_219:                             ;   in Loop: Header=BB93_161 Depth=1
	v_mul_f64_e64 v[10:11], |v[18:19]|, s[14:15]
	s_delay_alu instid0(VALU_DEP_1) | instskip(NEXT) | instid1(VALU_DEP_1)
	v_rndne_f64_e32 v[46:47], v[10:11]
	v_fma_f64 v[10:11], v[46:47], s[16:17], |v[18:19]|
	v_mul_f64_e32 v[44:45], 0xbc91a62633145c00, v[46:47]
	v_cvt_i32_f64_e32 v12, v[46:47]
	s_delay_alu instid0(VALU_DEP_3) | instskip(NEXT) | instid1(VALU_DEP_3)
	v_fmamk_f64 v[52:53], v[46:47], 0xbc91a62633145c00, v[10:11]
	v_add_f64_e32 v[48:49], v[10:11], v[44:45]
	s_delay_alu instid0(VALU_DEP_1) | instskip(NEXT) | instid1(VALU_DEP_3)
	v_add_f64_e64 v[50:51], v[10:11], -v[48:49]
	v_add_f64_e64 v[10:11], v[48:49], -v[52:53]
	s_delay_alu instid0(VALU_DEP_2) | instskip(SKIP_1) | instid1(VALU_DEP_2)
	v_add_f64_e32 v[48:49], v[50:51], v[44:45]
	v_fmamk_f64 v[44:45], v[46:47], 0x3c91a62633145c00, v[44:45]
	v_add_f64_e32 v[10:11], v[10:11], v[48:49]
	s_delay_alu instid0(VALU_DEP_1) | instskip(NEXT) | instid1(VALU_DEP_1)
	v_add_f64_e64 v[44:45], v[10:11], -v[44:45]
	v_fmac_f64_e32 v[44:45], 0xb97b839a252049c0, v[46:47]
	s_delay_alu instid0(VALU_DEP_1) | instskip(NEXT) | instid1(VALU_DEP_1)
	v_add_f64_e32 v[10:11], v[52:53], v[44:45]
	v_add_f64_e64 v[48:49], v[10:11], -v[52:53]
	s_delay_alu instid0(VALU_DEP_1)
	v_add_f64_e64 v[44:45], v[44:45], -v[48:49]
.LBB93_220:                             ;   in Loop: Header=BB93_161 Depth=1
	s_or_b32 exec_lo, exec_lo, s36
                                        ; implicit-def: $vgpr50
                                        ; implicit-def: $vgpr46_vgpr47
                                        ; implicit-def: $vgpr48_vgpr49
	s_and_saveexec_b32 s36, s35
	s_delay_alu instid0(SALU_CYCLE_1)
	s_xor_b32 s35, exec_lo, s36
	s_cbranch_execz .LBB93_222
; %bb.221:                              ;   in Loop: Header=BB93_161 Depth=1
	v_ldexp_f64 v[46:47], |v[18:19]|, 0xffffff80
	v_cmp_le_f64_e64 vcc_lo, 0x7b000000, |v[18:19]|
	v_trig_preop_f64 v[48:49], |v[18:19]|, 0
	v_and_b32_e32 v27, 0x7fffffff, v19
	v_trig_preop_f64 v[50:51], |v[18:19]|, 1
	v_trig_preop_f64 v[60:61], |v[18:19]|, 2
	s_delay_alu instid0(VALU_DEP_3) | instskip(NEXT) | instid1(VALU_DEP_1)
	v_dual_cndmask_b32 v47, v27, v47 :: v_dual_cndmask_b32 v46, v18, v46
	v_mul_f64_e32 v[52:53], v[48:49], v[46:47]
	s_delay_alu instid0(VALU_DEP_4) | instskip(NEXT) | instid1(VALU_DEP_4)
	v_mul_f64_e32 v[54:55], v[50:51], v[46:47]
	v_mul_f64_e32 v[66:67], v[60:61], v[46:47]
	s_delay_alu instid0(VALU_DEP_3) | instskip(NEXT) | instid1(VALU_DEP_3)
	v_fma_f64 v[48:49], v[48:49], v[46:47], -v[52:53]
	v_fma_f64 v[50:51], v[50:51], v[46:47], -v[54:55]
	s_delay_alu instid0(VALU_DEP_3) | instskip(NEXT) | instid1(VALU_DEP_3)
	v_fma_f64 v[46:47], v[60:61], v[46:47], -v[66:67]
	v_add_f64_e32 v[56:57], v[54:55], v[48:49]
	s_delay_alu instid0(VALU_DEP_1) | instskip(SKIP_1) | instid1(VALU_DEP_2)
	v_add_f64_e64 v[58:59], v[56:57], -v[54:55]
	v_add_f64_e32 v[64:65], v[52:53], v[56:57]
	v_add_f64_e64 v[62:63], v[56:57], -v[58:59]
	v_add_f64_e64 v[48:49], v[48:49], -v[58:59]
	s_delay_alu instid0(VALU_DEP_3) | instskip(NEXT) | instid1(VALU_DEP_3)
	v_ldexp_f64 v[58:59], v[64:65], -2
	v_add_f64_e64 v[54:55], v[54:55], -v[62:63]
	v_add_f64_e32 v[62:63], v[66:67], v[50:51]
	s_delay_alu instid0(VALU_DEP_3) | instskip(NEXT) | instid1(VALU_DEP_3)
	v_cmp_neq_f64_e64 vcc_lo, 0x7ff00000, |v[58:59]|
	v_add_f64_e32 v[48:49], v[48:49], v[54:55]
	v_fract_f64_e32 v[54:55], v[58:59]
	s_delay_alu instid0(VALU_DEP_1) | instskip(NEXT) | instid1(VALU_DEP_1)
	v_ldexp_f64 v[54:55], v[54:55], 2
	v_dual_add_f64 v[52:53], v[64:65], -v[52:53] :: v_dual_cndmask_b32 v54, 0, v54, vcc_lo
	s_delay_alu instid0(VALU_DEP_1) | instskip(SKIP_1) | instid1(VALU_DEP_1)
	v_dual_add_f64 v[52:53], v[56:57], -v[52:53] :: v_dual_cndmask_b32 v55, 0, v55, vcc_lo
	v_add_f64_e32 v[56:57], v[62:63], v[48:49]
	v_add_f64_e32 v[58:59], v[52:53], v[56:57]
	v_add_f64_e64 v[68:69], v[56:57], -v[62:63]
	s_delay_alu instid0(VALU_DEP_2) | instskip(NEXT) | instid1(VALU_DEP_2)
	v_add_f64_e32 v[64:65], v[58:59], v[54:55]
	v_add_f64_e64 v[74:75], v[56:57], -v[68:69]
	v_add_f64_e64 v[48:49], v[48:49], -v[68:69]
	;; [unrolled: 1-line block ×3, first 2 shown]
	s_delay_alu instid0(VALU_DEP_4) | instskip(SKIP_2) | instid1(VALU_DEP_2)
	v_cmp_gt_f64_e32 vcc_lo, 0, v[64:65]
	v_add_f64_e64 v[64:65], v[62:63], -v[66:67]
	v_cndmask_b32_e64 v27, 0, 0x40100000, vcc_lo
	v_add_f64_e64 v[72:73], v[62:63], -v[64:65]
	v_add_f64_e64 v[50:51], v[50:51], -v[64:65]
	;; [unrolled: 1-line block ×3, first 2 shown]
	s_delay_alu instid0(VALU_DEP_4) | instskip(NEXT) | instid1(VALU_DEP_4)
	v_add_f64_e32 v[54:55], v[54:55], v[26:27]
	v_add_f64_e64 v[64:65], v[66:67], -v[72:73]
	s_delay_alu instid0(VALU_DEP_3) | instskip(NEXT) | instid1(VALU_DEP_3)
	v_add_f64_e32 v[48:49], v[48:49], v[62:63]
	v_add_f64_e32 v[70:71], v[58:59], v[54:55]
	s_delay_alu instid0(VALU_DEP_3) | instskip(NEXT) | instid1(VALU_DEP_2)
	v_add_f64_e32 v[50:51], v[50:51], v[64:65]
	v_cvt_i32_f64_e32 v27, v[70:71]
	s_delay_alu instid0(VALU_DEP_2) | instskip(SKIP_1) | instid1(VALU_DEP_3)
	v_add_f64_e32 v[48:49], v[50:51], v[48:49]
	v_add_f64_e64 v[50:51], v[56:57], -v[52:53]
	v_cvt_f64_i32_e32 v[68:69], v27
	s_delay_alu instid0(VALU_DEP_3) | instskip(NEXT) | instid1(VALU_DEP_2)
	v_add_f64_e32 v[46:47], v[46:47], v[48:49]
	v_add_f64_e64 v[54:55], v[54:55], -v[68:69]
	s_delay_alu instid0(VALU_DEP_2) | instskip(NEXT) | instid1(VALU_DEP_2)
	v_add_f64_e32 v[46:47], v[50:51], v[46:47]
	v_add_f64_e32 v[60:61], v[58:59], v[54:55]
	s_delay_alu instid0(VALU_DEP_1) | instskip(SKIP_1) | instid1(VALU_DEP_2)
	v_add_f64_e64 v[48:49], v[60:61], -v[54:55]
	v_cmp_le_f64_e32 vcc_lo, 0.5, v[60:61]
	v_add_f64_e64 v[48:49], v[58:59], -v[48:49]
	v_add_co_ci_u32_e64 v50, null, 0, v27, vcc_lo
	v_cndmask_b32_e64 v27, 0, 0x3ff00000, vcc_lo
	s_delay_alu instid0(VALU_DEP_3) | instskip(NEXT) | instid1(VALU_DEP_2)
	v_add_f64_e32 v[46:47], v[46:47], v[48:49]
	v_add_f64_e64 v[48:49], v[60:61], -v[26:27]
	s_delay_alu instid0(VALU_DEP_1) | instskip(NEXT) | instid1(VALU_DEP_1)
	v_add_f64_e32 v[52:53], v[48:49], v[46:47]
	v_mul_f64_e32 v[54:55], 0x3ff921fb54442d18, v[52:53]
	v_add_f64_e64 v[48:49], v[52:53], -v[48:49]
	s_delay_alu instid0(VALU_DEP_2) | instskip(NEXT) | instid1(VALU_DEP_2)
	v_fma_f64 v[56:57], v[52:53], s[12:13], -v[54:55]
	v_add_f64_e64 v[46:47], v[46:47], -v[48:49]
	s_delay_alu instid0(VALU_DEP_2) | instskip(NEXT) | instid1(VALU_DEP_1)
	v_fmac_f64_e32 v[56:57], 0x3c91a62633145c07, v[52:53]
	v_fmac_f64_e32 v[56:57], 0x3ff921fb54442d18, v[46:47]
	s_delay_alu instid0(VALU_DEP_1) | instskip(NEXT) | instid1(VALU_DEP_1)
	v_add_f64_e32 v[46:47], v[54:55], v[56:57]
	v_add_f64_e64 v[48:49], v[46:47], -v[54:55]
	s_delay_alu instid0(VALU_DEP_1)
	v_add_f64_e64 v[48:49], v[56:57], -v[48:49]
	s_and_not1_saveexec_b32 s35, s35
	s_cbranch_execnz .LBB93_223
	s_branch .LBB93_224
.LBB93_222:                             ;   in Loop: Header=BB93_161 Depth=1
	s_and_not1_saveexec_b32 s35, s35
	s_cbranch_execz .LBB93_224
.LBB93_223:                             ;   in Loop: Header=BB93_161 Depth=1
	v_mul_f64_e64 v[46:47], |v[18:19]|, s[14:15]
	s_delay_alu instid0(VALU_DEP_1) | instskip(NEXT) | instid1(VALU_DEP_1)
	v_rndne_f64_e32 v[50:51], v[46:47]
	v_fma_f64 v[46:47], v[50:51], s[16:17], |v[18:19]|
	v_mul_f64_e32 v[48:49], 0xbc91a62633145c00, v[50:51]
	s_delay_alu instid0(VALU_DEP_2) | instskip(NEXT) | instid1(VALU_DEP_2)
	v_fmamk_f64 v[56:57], v[50:51], 0xbc91a62633145c00, v[46:47]
	v_add_f64_e32 v[52:53], v[46:47], v[48:49]
	s_delay_alu instid0(VALU_DEP_1) | instskip(NEXT) | instid1(VALU_DEP_3)
	v_add_f64_e64 v[54:55], v[46:47], -v[52:53]
	v_add_f64_e64 v[46:47], v[52:53], -v[56:57]
	s_delay_alu instid0(VALU_DEP_2) | instskip(SKIP_1) | instid1(VALU_DEP_2)
	v_add_f64_e32 v[52:53], v[54:55], v[48:49]
	v_fmamk_f64 v[48:49], v[50:51], 0x3c91a62633145c00, v[48:49]
	v_add_f64_e32 v[46:47], v[46:47], v[52:53]
	s_delay_alu instid0(VALU_DEP_1) | instskip(NEXT) | instid1(VALU_DEP_1)
	v_add_f64_e64 v[48:49], v[46:47], -v[48:49]
	v_fmac_f64_e32 v[48:49], 0xb97b839a252049c0, v[50:51]
	v_cvt_i32_f64_e32 v50, v[50:51]
	s_delay_alu instid0(VALU_DEP_2) | instskip(NEXT) | instid1(VALU_DEP_1)
	v_add_f64_e32 v[46:47], v[56:57], v[48:49]
	v_add_f64_e64 v[52:53], v[46:47], -v[56:57]
	s_delay_alu instid0(VALU_DEP_1)
	v_add_f64_e64 v[48:49], v[48:49], -v[52:53]
.LBB93_224:                             ;   in Loop: Header=BB93_161 Depth=1
	s_or_b32 exec_lo, exec_lo, s35
	v_dual_mul_f64 v[52:53], v[10:11], v[10:11] :: v_dual_bitop2_b32 v18, 1, v12 bitop3:0x40
	v_dual_mul_f64 v[54:55], v[46:47], v[46:47] :: v_dual_lshlrev_b32 v12, 30, v12
	s_delay_alu instid0(VALU_DEP_3) | instskip(SKIP_1) | instid1(VALU_DEP_4)
	v_mul_f64_e32 v[76:77], 0.5, v[48:49]
	v_mul_f64_e64 v[58:59], |v[20:21]|, s[26:27]
	v_cmp_eq_u32_e32 vcc_lo, 0, v18
	s_delay_alu instid0(VALU_DEP_4)
	v_dual_mul_f64 v[64:65], 0.5, v[44:45] :: v_dual_bitop2_b32 v12, v12, v19 bitop3:0x14
	v_mul_f64_e64 v[66:67], v[10:11], -v[52:53]
	v_mul_f64_e32 v[56:57], 0.5, v[52:53]
	v_fmamk_f64 v[72:73], v[52:53], 0x3de5e0b2f9a43bb8, v[34:35]
	v_mul_f64_e64 v[78:79], v[46:47], -v[54:55]
	v_fmamk_f64 v[80:81], v[54:55], 0x3de5e0b2f9a43bb8, v[34:35]
	v_rndne_f64_e32 v[58:59], v[58:59]
	s_delay_alu instid0(VALU_DEP_4) | instskip(NEXT) | instid1(VALU_DEP_1)
	v_fmaak_f64 v[72:73], v[52:53], v[72:73], 0x3ec71de3796cde01
	v_fmaak_f64 v[72:73], v[52:53], v[72:73], 0xbf2a01a019e83e5c
	s_delay_alu instid0(VALU_DEP_1) | instskip(NEXT) | instid1(VALU_DEP_1)
	v_fmaak_f64 v[72:73], v[52:53], v[72:73], 0x3f81111111110bb3
	v_fmac_f64_e32 v[64:65], v[66:67], v[72:73]
	v_add_f64_e64 v[62:63], -v[56:57], 1.0
	v_fma_f64 v[74:75], v[58:59], s[18:19], -|v[20:21]|
	v_cvt_i32_f64_e32 v27, v[58:59]
	s_delay_alu instid0(VALU_DEP_4) | instskip(NEXT) | instid1(VALU_DEP_4)
	v_fma_f64 v[64:65], v[52:53], v[64:65], -v[44:45]
	v_add_f64_e64 v[70:71], -v[62:63], 1.0
	s_delay_alu instid0(VALU_DEP_4) | instskip(NEXT) | instid1(VALU_DEP_3)
	v_fmac_f64_e32 v[74:75], 0xbc7abc9e3b39803f, v[58:59]
	v_fmac_f64_e32 v[64:65], 0xbfc5555555555555, v[66:67]
	s_delay_alu instid0(VALU_DEP_3) | instskip(SKIP_2) | instid1(VALU_DEP_2)
	v_add_f64_e64 v[56:57], v[70:71], -v[56:57]
	v_fmaak_f64 v[70:71], v[54:55], v[80:81], 0x3ec71de3796cde01
	v_fmamk_f64 v[80:81], v[52:53], 0xbda907db46cc5e42, v[32:33]
	v_fmaak_f64 v[70:71], v[54:55], v[70:71], 0xbf2a01a019e83e5c
	s_delay_alu instid0(VALU_DEP_1) | instskip(NEXT) | instid1(VALU_DEP_1)
	v_fmaak_f64 v[70:71], v[54:55], v[70:71], 0x3f81111111110bb3
	v_fmac_f64_e32 v[76:77], v[78:79], v[70:71]
	v_mul_f64_e32 v[70:71], v[52:53], v[52:53]
	v_fma_f64 v[44:45], v[10:11], -v[44:45], v[56:57]
	v_fmaak_f64 v[56:57], v[52:53], v[80:81], 0xbe927e4fa17f65f6
	v_add_f64_e64 v[10:11], v[10:11], -v[64:65]
	v_mul_f64_e32 v[80:81], v[54:55], v[54:55]
	s_delay_alu instid0(VALU_DEP_3) | instskip(NEXT) | instid1(VALU_DEP_1)
	v_fmaak_f64 v[56:57], v[52:53], v[56:57], 0x3efa01a019f4ec90
	v_fmaak_f64 v[56:57], v[52:53], v[56:57], 0xbf56c16c16c16967
	s_delay_alu instid0(VALU_DEP_1) | instskip(NEXT) | instid1(VALU_DEP_1)
	v_fmaak_f64 v[52:53], v[52:53], v[56:57], 0x3fa5555555555555
	v_fmac_f64_e32 v[44:45], v[70:71], v[52:53]
	s_delay_alu instid0(VALU_DEP_1) | instskip(NEXT) | instid1(VALU_DEP_1)
	v_add_f64_e32 v[44:45], v[62:63], v[44:45]
	v_dual_cndmask_b32 v11, v45, v11 :: v_dual_cndmask_b32 v10, v44, v10
	s_delay_alu instid0(VALU_DEP_1) | instskip(SKIP_1) | instid1(VALU_DEP_2)
	v_bitop3_b32 v11, v11, v12, 0x80000000 bitop3:0x78
	v_and_b32_e32 v12, 1, v50
	v_mul_f64_e32 v[10:11], 4.0, v[10:11]
	s_delay_alu instid0(VALU_DEP_2) | instskip(SKIP_1) | instid1(VALU_DEP_1)
	v_cmp_eq_u32_e32 vcc_lo, 0, v12
	v_mul_f64_e32 v[60:61], 0.5, v[54:55]
	v_add_f64_e64 v[68:69], -v[60:61], 1.0
	s_delay_alu instid0(VALU_DEP_1) | instskip(NEXT) | instid1(VALU_DEP_1)
	v_add_f64_e64 v[72:73], -v[68:69], 1.0
	v_add_f64_e64 v[60:61], v[72:73], -v[60:61]
	v_fmamk_f64 v[72:73], v[74:75], 0x3e5ade156a5dcb37, v[30:31]
	s_delay_alu instid0(VALU_DEP_1) | instskip(NEXT) | instid1(VALU_DEP_1)
	v_fmaak_f64 v[72:73], v[74:75], v[72:73], 0x3ec71dee623fde64
	v_fmaak_f64 v[72:73], v[74:75], v[72:73], 0x3efa01997c89e6b0
	s_delay_alu instid0(VALU_DEP_1) | instskip(SKIP_2) | instid1(VALU_DEP_3)
	v_fmaak_f64 v[56:57], v[74:75], v[72:73], 0x3f2a01a014761f6e
	v_fma_f64 v[72:73], v[54:55], v[76:77], -v[48:49]
	v_fmamk_f64 v[76:77], v[54:55], 0xbda907db46cc5e42, v[32:33]
	v_fmaak_f64 v[52:53], v[74:75], v[56:57], 0x3f56c16c1852b7b0
	s_delay_alu instid0(VALU_DEP_2) | instskip(SKIP_1) | instid1(VALU_DEP_3)
	v_fmaak_f64 v[56:57], v[54:55], v[76:77], 0xbe927e4fa17f65f6
	v_fma_f64 v[48:49], v[46:47], -v[48:49], v[60:61]
	v_fmaak_f64 v[52:53], v[74:75], v[52:53], 0x3f81111111122322
	s_delay_alu instid0(VALU_DEP_3) | instskip(NEXT) | instid1(VALU_DEP_2)
	v_fmaak_f64 v[56:57], v[54:55], v[56:57], 0x3efa01a019f4ec90
	v_fmaak_f64 v[52:53], v[74:75], v[52:53], 0x3fa55555555502a1
	s_delay_alu instid0(VALU_DEP_2) | instskip(NEXT) | instid1(VALU_DEP_2)
	v_fmaak_f64 v[56:57], v[54:55], v[56:57], 0xbf56c16c16c16967
	v_fmaak_f64 v[52:53], v[74:75], v[52:53], 0x3fc5555555555511
	s_delay_alu instid0(VALU_DEP_2) | instskip(SKIP_1) | instid1(VALU_DEP_3)
	v_fmaak_f64 v[54:55], v[54:55], v[56:57], 0x3fa5555555555555
	v_fmac_f64_e32 v[72:73], 0xbfc5555555555555, v[78:79]
	v_fmaak_f64 v[52:53], v[74:75], v[52:53], 0x3fe000000000000b
	s_delay_alu instid0(VALU_DEP_1) | instskip(NEXT) | instid1(VALU_DEP_4)
	v_fma_f64 v[52:53], v[74:75], v[52:53], 1.0
	v_fmac_f64_e32 v[48:49], v[80:81], v[54:55]
	s_delay_alu instid0(VALU_DEP_4) | instskip(NEXT) | instid1(VALU_DEP_3)
	v_add_f64_e64 v[46:47], v[46:47], -v[72:73]
	v_fma_f64 v[18:19], v[74:75], v[52:53], 1.0
	s_delay_alu instid0(VALU_DEP_3) | instskip(NEXT) | instid1(VALU_DEP_3)
	v_add_f64_e32 v[48:49], v[68:69], v[48:49]
	v_xor_b32_e32 v45, 0x80000000, v47
	s_delay_alu instid0(VALU_DEP_3) | instskip(NEXT) | instid1(VALU_DEP_2)
	v_ldexp_f64 v[18:19], v[18:19], v27
	v_dual_cndmask_b32 v12, v45, v49 :: v_dual_lshlrev_b32 v45, 30, v50
	s_delay_alu instid0(VALU_DEP_4) | instskip(SKIP_2) | instid1(VALU_DEP_4)
	v_cndmask_b32_e32 v44, v46, v48, vcc_lo
	v_cmp_nlt_f64_e64 vcc_lo, 0x4090cc00, |v[20:21]|
	v_bfi_b32 v27, 0x7fffffff, s33, v13
	v_bitop3_b32 v45, v12, v45, 0x80000000 bitop3:0x78
	s_delay_alu instid0(VALU_DEP_2) | instskip(NEXT) | instid1(VALU_DEP_2)
	v_mov_b64_e32 v[12:13], v[26:27]
	v_dual_mul_f64 v[10:11], v[10:11], v[44:45] :: v_dual_cndmask_b32 v19, 0, v19, vcc_lo
	v_cndmask_b32_e32 v18, 0, v18, vcc_lo
	s_delay_alu instid0(VALU_DEP_1) | instskip(NEXT) | instid1(VALU_DEP_1)
	v_mul_f64_e32 v[10:11], v[18:19], v[10:11]
	v_mul_f64_e32 v[10:11], v[18:19], v[10:11]
.LBB93_225:                             ;   in Loop: Header=BB93_161 Depth=1
	s_or_b32 exec_lo, exec_lo, s4
                                        ; implicit-def: $vgpr18_vgpr19
.LBB93_226:                             ;   in Loop: Header=BB93_161 Depth=1
	s_and_not1_saveexec_b32 s4, s34
	s_cbranch_execz .LBB93_228
; %bb.227:                              ;   in Loop: Header=BB93_161 Depth=1
	v_add_f64_e64 v[10:11], v[18:19], -v[18:19]
	s_delay_alu instid0(VALU_DEP_1)
	v_mov_b64_e32 v[12:13], v[10:11]
.LBB93_228:                             ;   in Loop: Header=BB93_161 Depth=1
	s_or_b32 exec_lo, exec_lo, s4
                                        ; implicit-def: $vgpr18_vgpr19
.LBB93_229:                             ;   in Loop: Header=BB93_161 Depth=1
	s_and_not1_saveexec_b32 s34, s5
	s_cbranch_execz .LBB93_245
; %bb.230:                              ;   in Loop: Header=BB93_161 Depth=1
	s_delay_alu instid0(VALU_DEP_1) | instskip(SKIP_1) | instid1(VALU_DEP_1)
	v_and_or_b32 v10, 0xfffff, v13, v12
	s_mov_b32 s4, exec_lo
	v_cmpx_ne_u32_e32 0, v10
	s_xor_b32 s4, exec_lo, s4
	s_cbranch_execz .LBB93_232
; %bb.231:                              ;   in Loop: Header=BB93_161 Depth=1
	v_mul_f64_e64 v[10:11], v[18:19], -v[20:21]
	v_cmp_eq_f64_e32 vcc_lo, 0, v[18:19]
	s_delay_alu instid0(VALU_DEP_2)
	v_dual_cndmask_b32 v11, v11, v19 :: v_dual_cndmask_b32 v10, v10, v18
                                        ; implicit-def: $vgpr18_vgpr19
.LBB93_232:                             ;   in Loop: Header=BB93_161 Depth=1
	s_and_not1_saveexec_b32 s35, s4
	s_cbranch_execz .LBB93_244
; %bb.233:                              ;   in Loop: Header=BB93_161 Depth=1
	s_mov_b32 s36, exec_lo
	v_cmpx_neq_f64_e64 0x7ff00000, |v[18:19]|
	s_cbranch_execz .LBB93_243
; %bb.234:                              ;   in Loop: Header=BB93_161 Depth=1
	v_cmp_ngt_f64_e64 s4, 0x41d00000, |v[18:19]|
                                        ; implicit-def: $vgpr48
                                        ; implicit-def: $vgpr10_vgpr11
                                        ; implicit-def: $vgpr20_vgpr21
	s_and_saveexec_b32 s5, s4
	s_delay_alu instid0(SALU_CYCLE_1)
	s_xor_b32 s5, exec_lo, s5
	s_cbranch_execz .LBB93_236
; %bb.235:                              ;   in Loop: Header=BB93_161 Depth=1
	v_ldexp_f64 v[10:11], |v[18:19]|, 0xffffff80
	v_cmp_le_f64_e64 vcc_lo, 0x7b000000, |v[18:19]|
	v_trig_preop_f64 v[20:21], |v[18:19]|, 0
	v_and_b32_e32 v27, 0x7fffffff, v19
	v_trig_preop_f64 v[44:45], |v[18:19]|, 1
	v_trig_preop_f64 v[54:55], |v[18:19]|, 2
	s_delay_alu instid0(VALU_DEP_3) | instskip(NEXT) | instid1(VALU_DEP_1)
	v_dual_cndmask_b32 v11, v27, v11 :: v_dual_cndmask_b32 v10, v18, v10
	v_mul_f64_e32 v[46:47], v[20:21], v[10:11]
	s_delay_alu instid0(VALU_DEP_4) | instskip(NEXT) | instid1(VALU_DEP_4)
	v_mul_f64_e32 v[48:49], v[44:45], v[10:11]
	v_mul_f64_e32 v[60:61], v[54:55], v[10:11]
	s_delay_alu instid0(VALU_DEP_3) | instskip(NEXT) | instid1(VALU_DEP_3)
	v_fma_f64 v[20:21], v[20:21], v[10:11], -v[46:47]
	v_fma_f64 v[44:45], v[44:45], v[10:11], -v[48:49]
	s_delay_alu instid0(VALU_DEP_3) | instskip(NEXT) | instid1(VALU_DEP_3)
	v_fma_f64 v[10:11], v[54:55], v[10:11], -v[60:61]
	v_add_f64_e32 v[50:51], v[48:49], v[20:21]
	s_delay_alu instid0(VALU_DEP_1) | instskip(SKIP_1) | instid1(VALU_DEP_2)
	v_add_f64_e64 v[52:53], v[50:51], -v[48:49]
	v_add_f64_e32 v[58:59], v[46:47], v[50:51]
	v_add_f64_e64 v[56:57], v[50:51], -v[52:53]
	v_add_f64_e64 v[20:21], v[20:21], -v[52:53]
	s_delay_alu instid0(VALU_DEP_3) | instskip(NEXT) | instid1(VALU_DEP_3)
	v_ldexp_f64 v[52:53], v[58:59], -2
	v_add_f64_e64 v[48:49], v[48:49], -v[56:57]
	v_add_f64_e32 v[56:57], v[60:61], v[44:45]
	s_delay_alu instid0(VALU_DEP_3) | instskip(NEXT) | instid1(VALU_DEP_3)
	v_cmp_neq_f64_e64 vcc_lo, 0x7ff00000, |v[52:53]|
	v_add_f64_e32 v[20:21], v[20:21], v[48:49]
	v_fract_f64_e32 v[48:49], v[52:53]
	s_delay_alu instid0(VALU_DEP_1) | instskip(NEXT) | instid1(VALU_DEP_1)
	v_ldexp_f64 v[48:49], v[48:49], 2
	v_dual_add_f64 v[46:47], v[58:59], -v[46:47] :: v_dual_cndmask_b32 v49, 0, v49, vcc_lo
	s_delay_alu instid0(VALU_DEP_1) | instskip(SKIP_1) | instid1(VALU_DEP_1)
	v_dual_add_f64 v[46:47], v[50:51], -v[46:47] :: v_dual_cndmask_b32 v48, 0, v48, vcc_lo
	v_add_f64_e32 v[50:51], v[56:57], v[20:21]
	v_add_f64_e32 v[52:53], v[46:47], v[50:51]
	v_add_f64_e64 v[62:63], v[50:51], -v[56:57]
	s_delay_alu instid0(VALU_DEP_2) | instskip(NEXT) | instid1(VALU_DEP_2)
	v_add_f64_e32 v[58:59], v[52:53], v[48:49]
	v_add_f64_e64 v[68:69], v[50:51], -v[62:63]
	v_add_f64_e64 v[20:21], v[20:21], -v[62:63]
	v_add_f64_e64 v[46:47], v[52:53], -v[46:47]
	s_delay_alu instid0(VALU_DEP_4) | instskip(SKIP_1) | instid1(VALU_DEP_3)
	v_cmp_gt_f64_e32 vcc_lo, 0, v[58:59]
	v_add_f64_e64 v[58:59], v[56:57], -v[60:61]
	v_add_f64_e64 v[46:47], v[50:51], -v[46:47]
	v_cndmask_b32_e64 v27, 0, 0x40100000, vcc_lo
	s_delay_alu instid0(VALU_DEP_3) | instskip(SKIP_2) | instid1(VALU_DEP_4)
	v_add_f64_e64 v[66:67], v[56:57], -v[58:59]
	v_add_f64_e64 v[44:45], v[44:45], -v[58:59]
	;; [unrolled: 1-line block ×3, first 2 shown]
	v_add_f64_e32 v[48:49], v[48:49], v[26:27]
	s_delay_alu instid0(VALU_DEP_4) | instskip(NEXT) | instid1(VALU_DEP_3)
	v_add_f64_e64 v[58:59], v[60:61], -v[66:67]
	v_add_f64_e32 v[20:21], v[20:21], v[56:57]
	s_delay_alu instid0(VALU_DEP_3) | instskip(NEXT) | instid1(VALU_DEP_3)
	v_add_f64_e32 v[64:65], v[52:53], v[48:49]
	v_add_f64_e32 v[44:45], v[44:45], v[58:59]
	s_delay_alu instid0(VALU_DEP_2) | instskip(NEXT) | instid1(VALU_DEP_2)
	v_cvt_i32_f64_e32 v27, v[64:65]
	v_add_f64_e32 v[20:21], v[44:45], v[20:21]
	s_delay_alu instid0(VALU_DEP_2) | instskip(NEXT) | instid1(VALU_DEP_2)
	v_cvt_f64_i32_e32 v[62:63], v27
	v_add_f64_e32 v[10:11], v[10:11], v[20:21]
	s_delay_alu instid0(VALU_DEP_2) | instskip(NEXT) | instid1(VALU_DEP_2)
	v_add_f64_e64 v[48:49], v[48:49], -v[62:63]
	v_add_f64_e32 v[10:11], v[46:47], v[10:11]
	s_delay_alu instid0(VALU_DEP_2) | instskip(NEXT) | instid1(VALU_DEP_1)
	v_add_f64_e32 v[44:45], v[52:53], v[48:49]
	v_add_f64_e64 v[20:21], v[44:45], -v[48:49]
	v_cmp_le_f64_e32 vcc_lo, 0.5, v[44:45]
	s_delay_alu instid0(VALU_DEP_2) | instskip(SKIP_2) | instid1(VALU_DEP_3)
	v_add_f64_e64 v[20:21], v[52:53], -v[20:21]
	v_add_co_ci_u32_e64 v48, null, 0, v27, vcc_lo
	v_cndmask_b32_e64 v27, 0, 0x3ff00000, vcc_lo
	v_add_f64_e32 v[10:11], v[10:11], v[20:21]
	s_delay_alu instid0(VALU_DEP_2) | instskip(NEXT) | instid1(VALU_DEP_1)
	v_add_f64_e64 v[20:21], v[44:45], -v[26:27]
	v_add_f64_e32 v[44:45], v[20:21], v[10:11]
	s_delay_alu instid0(VALU_DEP_1) | instskip(SKIP_1) | instid1(VALU_DEP_2)
	v_mul_f64_e32 v[46:47], 0x3ff921fb54442d18, v[44:45]
	v_add_f64_e64 v[20:21], v[44:45], -v[20:21]
	v_fma_f64 v[50:51], v[44:45], s[12:13], -v[46:47]
	s_delay_alu instid0(VALU_DEP_2) | instskip(NEXT) | instid1(VALU_DEP_2)
	v_add_f64_e64 v[10:11], v[10:11], -v[20:21]
	v_fmac_f64_e32 v[50:51], 0x3c91a62633145c07, v[44:45]
	s_delay_alu instid0(VALU_DEP_1) | instskip(NEXT) | instid1(VALU_DEP_1)
	v_fmac_f64_e32 v[50:51], 0x3ff921fb54442d18, v[10:11]
	v_add_f64_e32 v[10:11], v[46:47], v[50:51]
	s_delay_alu instid0(VALU_DEP_1) | instskip(NEXT) | instid1(VALU_DEP_1)
	v_add_f64_e64 v[20:21], v[10:11], -v[46:47]
	v_add_f64_e64 v[20:21], v[50:51], -v[20:21]
	s_and_not1_saveexec_b32 s5, s5
	s_cbranch_execz .LBB93_238
	s_branch .LBB93_237
.LBB93_236:                             ;   in Loop: Header=BB93_161 Depth=1
	s_and_not1_saveexec_b32 s5, s5
	s_cbranch_execz .LBB93_238
.LBB93_237:                             ;   in Loop: Header=BB93_161 Depth=1
	v_mul_f64_e64 v[10:11], |v[18:19]|, s[14:15]
	s_delay_alu instid0(VALU_DEP_1) | instskip(NEXT) | instid1(VALU_DEP_1)
	v_rndne_f64_e32 v[44:45], v[10:11]
	v_fma_f64 v[10:11], v[44:45], s[16:17], |v[18:19]|
	v_mul_f64_e32 v[20:21], 0xbc91a62633145c00, v[44:45]
	s_delay_alu instid0(VALU_DEP_2) | instskip(NEXT) | instid1(VALU_DEP_2)
	v_fmamk_f64 v[50:51], v[44:45], 0xbc91a62633145c00, v[10:11]
	v_add_f64_e32 v[46:47], v[10:11], v[20:21]
	s_delay_alu instid0(VALU_DEP_1) | instskip(NEXT) | instid1(VALU_DEP_3)
	v_add_f64_e64 v[48:49], v[10:11], -v[46:47]
	v_add_f64_e64 v[10:11], v[46:47], -v[50:51]
	s_delay_alu instid0(VALU_DEP_2) | instskip(SKIP_2) | instid1(VALU_DEP_3)
	v_add_f64_e32 v[46:47], v[48:49], v[20:21]
	v_fmamk_f64 v[20:21], v[44:45], 0x3c91a62633145c00, v[20:21]
	v_cvt_i32_f64_e32 v48, v[44:45]
	v_add_f64_e32 v[10:11], v[10:11], v[46:47]
	s_delay_alu instid0(VALU_DEP_1) | instskip(NEXT) | instid1(VALU_DEP_1)
	v_add_f64_e64 v[20:21], v[10:11], -v[20:21]
	v_fmac_f64_e32 v[20:21], 0xb97b839a252049c0, v[44:45]
	s_delay_alu instid0(VALU_DEP_1) | instskip(NEXT) | instid1(VALU_DEP_1)
	v_add_f64_e32 v[10:11], v[50:51], v[20:21]
	v_add_f64_e64 v[46:47], v[10:11], -v[50:51]
	s_delay_alu instid0(VALU_DEP_1)
	v_add_f64_e64 v[20:21], v[20:21], -v[46:47]
.LBB93_238:                             ;   in Loop: Header=BB93_161 Depth=1
	s_or_b32 exec_lo, exec_lo, s5
                                        ; implicit-def: $vgpr49
                                        ; implicit-def: $vgpr44_vgpr45
                                        ; implicit-def: $vgpr46_vgpr47
	s_and_saveexec_b32 s5, s4
	s_delay_alu instid0(SALU_CYCLE_1)
	s_xor_b32 s4, exec_lo, s5
	s_cbranch_execz .LBB93_240
; %bb.239:                              ;   in Loop: Header=BB93_161 Depth=1
	v_ldexp_f64 v[44:45], |v[18:19]|, 0xffffff80
	v_cmp_le_f64_e64 vcc_lo, 0x7b000000, |v[18:19]|
	v_trig_preop_f64 v[46:47], |v[18:19]|, 0
	v_and_b32_e32 v27, 0x7fffffff, v19
	v_trig_preop_f64 v[50:51], |v[18:19]|, 1
	v_trig_preop_f64 v[60:61], |v[18:19]|, 2
	s_delay_alu instid0(VALU_DEP_3) | instskip(NEXT) | instid1(VALU_DEP_1)
	v_dual_cndmask_b32 v45, v27, v45 :: v_dual_cndmask_b32 v44, v18, v44
	v_mul_f64_e32 v[52:53], v[46:47], v[44:45]
	s_delay_alu instid0(VALU_DEP_4) | instskip(NEXT) | instid1(VALU_DEP_4)
	v_mul_f64_e32 v[54:55], v[50:51], v[44:45]
	v_mul_f64_e32 v[66:67], v[60:61], v[44:45]
	s_delay_alu instid0(VALU_DEP_3) | instskip(NEXT) | instid1(VALU_DEP_3)
	v_fma_f64 v[46:47], v[46:47], v[44:45], -v[52:53]
	v_fma_f64 v[50:51], v[50:51], v[44:45], -v[54:55]
	s_delay_alu instid0(VALU_DEP_3) | instskip(NEXT) | instid1(VALU_DEP_3)
	v_fma_f64 v[44:45], v[60:61], v[44:45], -v[66:67]
	v_add_f64_e32 v[56:57], v[54:55], v[46:47]
	s_delay_alu instid0(VALU_DEP_1) | instskip(SKIP_1) | instid1(VALU_DEP_2)
	v_add_f64_e64 v[58:59], v[56:57], -v[54:55]
	v_add_f64_e32 v[64:65], v[52:53], v[56:57]
	v_add_f64_e64 v[62:63], v[56:57], -v[58:59]
	v_add_f64_e64 v[46:47], v[46:47], -v[58:59]
	s_delay_alu instid0(VALU_DEP_3) | instskip(NEXT) | instid1(VALU_DEP_3)
	v_ldexp_f64 v[58:59], v[64:65], -2
	v_add_f64_e64 v[54:55], v[54:55], -v[62:63]
	v_add_f64_e32 v[62:63], v[66:67], v[50:51]
	s_delay_alu instid0(VALU_DEP_3) | instskip(NEXT) | instid1(VALU_DEP_3)
	v_cmp_neq_f64_e64 vcc_lo, 0x7ff00000, |v[58:59]|
	v_add_f64_e32 v[46:47], v[46:47], v[54:55]
	v_fract_f64_e32 v[54:55], v[58:59]
	s_delay_alu instid0(VALU_DEP_1) | instskip(NEXT) | instid1(VALU_DEP_1)
	v_ldexp_f64 v[54:55], v[54:55], 2
	v_dual_add_f64 v[52:53], v[64:65], -v[52:53] :: v_dual_cndmask_b32 v55, 0, v55, vcc_lo
	s_delay_alu instid0(VALU_DEP_1) | instskip(SKIP_1) | instid1(VALU_DEP_1)
	v_dual_add_f64 v[52:53], v[56:57], -v[52:53] :: v_dual_cndmask_b32 v54, 0, v54, vcc_lo
	v_add_f64_e32 v[56:57], v[62:63], v[46:47]
	v_add_f64_e32 v[58:59], v[52:53], v[56:57]
	v_add_f64_e64 v[68:69], v[56:57], -v[62:63]
	s_delay_alu instid0(VALU_DEP_2) | instskip(NEXT) | instid1(VALU_DEP_2)
	v_add_f64_e32 v[64:65], v[58:59], v[54:55]
	v_add_f64_e64 v[74:75], v[56:57], -v[68:69]
	v_add_f64_e64 v[46:47], v[46:47], -v[68:69]
	;; [unrolled: 1-line block ×3, first 2 shown]
	s_delay_alu instid0(VALU_DEP_4) | instskip(SKIP_1) | instid1(VALU_DEP_3)
	v_cmp_gt_f64_e32 vcc_lo, 0, v[64:65]
	v_add_f64_e64 v[64:65], v[62:63], -v[66:67]
	v_add_f64_e64 v[52:53], v[56:57], -v[52:53]
	v_cndmask_b32_e64 v27, 0, 0x40100000, vcc_lo
	s_delay_alu instid0(VALU_DEP_3) | instskip(SKIP_2) | instid1(VALU_DEP_4)
	v_add_f64_e64 v[72:73], v[62:63], -v[64:65]
	v_add_f64_e64 v[50:51], v[50:51], -v[64:65]
	;; [unrolled: 1-line block ×3, first 2 shown]
	v_add_f64_e32 v[54:55], v[54:55], v[26:27]
	s_delay_alu instid0(VALU_DEP_4) | instskip(NEXT) | instid1(VALU_DEP_3)
	v_add_f64_e64 v[64:65], v[66:67], -v[72:73]
	v_add_f64_e32 v[46:47], v[46:47], v[62:63]
	s_delay_alu instid0(VALU_DEP_3) | instskip(NEXT) | instid1(VALU_DEP_3)
	v_add_f64_e32 v[70:71], v[58:59], v[54:55]
	v_add_f64_e32 v[50:51], v[50:51], v[64:65]
	s_delay_alu instid0(VALU_DEP_2) | instskip(NEXT) | instid1(VALU_DEP_2)
	v_cvt_i32_f64_e32 v27, v[70:71]
	v_add_f64_e32 v[46:47], v[50:51], v[46:47]
	s_delay_alu instid0(VALU_DEP_2) | instskip(NEXT) | instid1(VALU_DEP_2)
	v_cvt_f64_i32_e32 v[68:69], v27
	v_add_f64_e32 v[44:45], v[44:45], v[46:47]
	s_delay_alu instid0(VALU_DEP_2) | instskip(NEXT) | instid1(VALU_DEP_2)
	v_add_f64_e64 v[54:55], v[54:55], -v[68:69]
	v_add_f64_e32 v[44:45], v[52:53], v[44:45]
	s_delay_alu instid0(VALU_DEP_2) | instskip(NEXT) | instid1(VALU_DEP_1)
	v_add_f64_e32 v[50:51], v[58:59], v[54:55]
	v_add_f64_e64 v[46:47], v[50:51], -v[54:55]
	v_cmp_le_f64_e32 vcc_lo, 0.5, v[50:51]
	s_delay_alu instid0(VALU_DEP_2) | instskip(SKIP_2) | instid1(VALU_DEP_3)
	v_add_f64_e64 v[46:47], v[58:59], -v[46:47]
	v_add_co_ci_u32_e64 v49, null, 0, v27, vcc_lo
	v_cndmask_b32_e64 v27, 0, 0x3ff00000, vcc_lo
	v_add_f64_e32 v[44:45], v[44:45], v[46:47]
	s_delay_alu instid0(VALU_DEP_2) | instskip(NEXT) | instid1(VALU_DEP_1)
	v_add_f64_e64 v[46:47], v[50:51], -v[26:27]
	v_add_f64_e32 v[50:51], v[46:47], v[44:45]
	s_delay_alu instid0(VALU_DEP_1) | instskip(SKIP_1) | instid1(VALU_DEP_2)
	v_mul_f64_e32 v[52:53], 0x3ff921fb54442d18, v[50:51]
	v_add_f64_e64 v[46:47], v[50:51], -v[46:47]
	v_fma_f64 v[54:55], v[50:51], s[12:13], -v[52:53]
	s_delay_alu instid0(VALU_DEP_2) | instskip(NEXT) | instid1(VALU_DEP_2)
	v_add_f64_e64 v[44:45], v[44:45], -v[46:47]
	v_fmac_f64_e32 v[54:55], 0x3c91a62633145c07, v[50:51]
	s_delay_alu instid0(VALU_DEP_1) | instskip(NEXT) | instid1(VALU_DEP_1)
	v_fmac_f64_e32 v[54:55], 0x3ff921fb54442d18, v[44:45]
	v_add_f64_e32 v[44:45], v[52:53], v[54:55]
	s_delay_alu instid0(VALU_DEP_1) | instskip(NEXT) | instid1(VALU_DEP_1)
	v_add_f64_e64 v[46:47], v[44:45], -v[52:53]
	v_add_f64_e64 v[46:47], v[54:55], -v[46:47]
	s_and_not1_saveexec_b32 s4, s4
	s_cbranch_execnz .LBB93_241
	s_branch .LBB93_242
.LBB93_240:                             ;   in Loop: Header=BB93_161 Depth=1
	s_and_not1_saveexec_b32 s4, s4
	s_cbranch_execz .LBB93_242
.LBB93_241:                             ;   in Loop: Header=BB93_161 Depth=1
	v_mul_f64_e64 v[44:45], |v[18:19]|, s[14:15]
	s_delay_alu instid0(VALU_DEP_1) | instskip(NEXT) | instid1(VALU_DEP_1)
	v_rndne_f64_e32 v[50:51], v[44:45]
	v_fma_f64 v[44:45], v[50:51], s[16:17], |v[18:19]|
	v_mul_f64_e32 v[46:47], 0xbc91a62633145c00, v[50:51]
	v_cvt_i32_f64_e32 v49, v[50:51]
	s_delay_alu instid0(VALU_DEP_3) | instskip(NEXT) | instid1(VALU_DEP_3)
	v_fmamk_f64 v[56:57], v[50:51], 0xbc91a62633145c00, v[44:45]
	v_add_f64_e32 v[52:53], v[44:45], v[46:47]
	s_delay_alu instid0(VALU_DEP_1) | instskip(NEXT) | instid1(VALU_DEP_3)
	v_add_f64_e64 v[54:55], v[44:45], -v[52:53]
	v_add_f64_e64 v[44:45], v[52:53], -v[56:57]
	s_delay_alu instid0(VALU_DEP_2) | instskip(SKIP_1) | instid1(VALU_DEP_2)
	v_add_f64_e32 v[52:53], v[54:55], v[46:47]
	v_fmamk_f64 v[46:47], v[50:51], 0x3c91a62633145c00, v[46:47]
	v_add_f64_e32 v[44:45], v[44:45], v[52:53]
	s_delay_alu instid0(VALU_DEP_1) | instskip(NEXT) | instid1(VALU_DEP_1)
	v_add_f64_e64 v[46:47], v[44:45], -v[46:47]
	v_fmac_f64_e32 v[46:47], 0xb97b839a252049c0, v[50:51]
	s_delay_alu instid0(VALU_DEP_1) | instskip(NEXT) | instid1(VALU_DEP_1)
	v_add_f64_e32 v[44:45], v[56:57], v[46:47]
	v_add_f64_e64 v[52:53], v[44:45], -v[56:57]
	s_delay_alu instid0(VALU_DEP_1)
	v_add_f64_e64 v[46:47], v[46:47], -v[52:53]
.LBB93_242:                             ;   in Loop: Header=BB93_161 Depth=1
	s_or_b32 exec_lo, exec_lo, s4
	v_dual_mul_f64 v[50:51], v[10:11], v[10:11] :: v_dual_bitop2_b32 v27, 1, v48 bitop3:0x40
	v_cmp_class_f64_e64 s4, v[18:19], 0x1f8
	s_delay_alu instid0(VALU_DEP_3) | instskip(NEXT) | instid1(VALU_DEP_4)
	v_mul_f64_e32 v[62:63], 0.5, v[20:21]
	v_dual_mul_f64 v[70:71], 0.5, v[46:47] :: v_dual_bitop2_b32 v18, 1, v49 bitop3:0x40
	s_delay_alu instid0(VALU_DEP_4) | instskip(NEXT) | instid1(VALU_DEP_2)
	v_cmp_eq_u32_e32 vcc_lo, 0, v27
	v_cmp_eq_u32_e64 s5, 0, v18
	v_mul_f64_e32 v[52:53], v[44:45], v[44:45]
	v_dual_mul_f64 v[54:55], 0.5, v[50:51] :: v_dual_lshlrev_b32 v18, 30, v49
	v_mul_f64_e64 v[64:65], v[10:11], -v[50:51]
	v_fmamk_f64 v[68:69], v[50:51], 0x3de5e0b2f9a43bb8, v[34:35]
	s_delay_alu instid0(VALU_DEP_1) | instskip(SKIP_2) | instid1(VALU_DEP_3)
	v_fmaak_f64 v[68:69], v[50:51], v[68:69], 0x3ec71de3796cde01
	v_mul_f64_e64 v[72:73], v[44:45], -v[52:53]
	v_fmamk_f64 v[74:75], v[52:53], 0x3de5e0b2f9a43bb8, v[34:35]
	v_fmaak_f64 v[68:69], v[50:51], v[68:69], 0xbf2a01a019e83e5c
	s_delay_alu instid0(VALU_DEP_2) | instskip(NEXT) | instid1(VALU_DEP_2)
	v_fmaak_f64 v[74:75], v[52:53], v[74:75], 0x3ec71de3796cde01
	v_fmaak_f64 v[68:69], v[50:51], v[68:69], 0x3f81111111110bb3
	v_add_f64_e64 v[58:59], -v[54:55], 1.0
	s_delay_alu instid0(VALU_DEP_2) | instskip(SKIP_1) | instid1(VALU_DEP_3)
	v_fmac_f64_e32 v[62:63], v[64:65], v[68:69]
	v_mul_f64_e32 v[68:69], v[50:51], v[50:51]
	v_add_f64_e64 v[66:67], -v[58:59], 1.0
	s_delay_alu instid0(VALU_DEP_3) | instskip(NEXT) | instid1(VALU_DEP_2)
	v_fma_f64 v[62:63], v[50:51], v[62:63], -v[20:21]
	v_add_f64_e64 v[54:55], v[66:67], -v[54:55]
	v_fmaak_f64 v[66:67], v[52:53], v[74:75], 0xbf2a01a019e83e5c
	s_delay_alu instid0(VALU_DEP_3) | instskip(SKIP_1) | instid1(VALU_DEP_3)
	v_fmac_f64_e32 v[62:63], 0xbfc5555555555555, v[64:65]
	v_mul_f64_e32 v[74:75], v[52:53], v[52:53]
	v_fmaak_f64 v[66:67], v[52:53], v[66:67], 0x3f81111111110bb3
	s_delay_alu instid0(VALU_DEP_1) | instskip(SKIP_2) | instid1(VALU_DEP_2)
	v_fmac_f64_e32 v[70:71], v[72:73], v[66:67]
	v_fmamk_f64 v[66:67], v[50:51], 0xbda907db46cc5e42, v[32:33]
	v_fma_f64 v[20:21], v[10:11], -v[20:21], v[54:55]
	v_fmaak_f64 v[54:55], v[50:51], v[66:67], 0xbe927e4fa17f65f6
	v_add_f64_e64 v[10:11], v[10:11], -v[62:63]
	s_delay_alu instid0(VALU_DEP_2) | instskip(NEXT) | instid1(VALU_DEP_1)
	v_fmaak_f64 v[54:55], v[50:51], v[54:55], 0x3efa01a019f4ec90
	v_fmaak_f64 v[54:55], v[50:51], v[54:55], 0xbf56c16c16c16967
	v_fma_f64 v[66:67], v[52:53], v[70:71], -v[46:47]
	v_fmamk_f64 v[70:71], v[52:53], 0xbda907db46cc5e42, v[32:33]
	s_delay_alu instid0(VALU_DEP_3) | instskip(NEXT) | instid1(VALU_DEP_2)
	v_fmaak_f64 v[50:51], v[50:51], v[54:55], 0x3fa5555555555555
	v_fmaak_f64 v[54:55], v[52:53], v[70:71], 0xbe927e4fa17f65f6
	s_delay_alu instid0(VALU_DEP_2) | instskip(NEXT) | instid1(VALU_DEP_2)
	v_fmac_f64_e32 v[20:21], v[68:69], v[50:51]
	v_fmaak_f64 v[50:51], v[52:53], v[54:55], 0x3efa01a019f4ec90
	s_delay_alu instid0(VALU_DEP_1) | instskip(NEXT) | instid1(VALU_DEP_1)
	v_fmaak_f64 v[50:51], v[52:53], v[50:51], 0xbf56c16c16c16967
	v_fmaak_f64 v[50:51], v[52:53], v[50:51], 0x3fa5555555555555
	s_delay_alu instid0(VALU_DEP_4) | instskip(NEXT) | instid1(VALU_DEP_1)
	v_add_f64_e32 v[20:21], v[58:59], v[20:21]
	v_dual_mul_f64 v[56:57], 0.5, v[52:53] :: v_dual_cndmask_b32 v10, v20, v10, vcc_lo
	s_delay_alu instid0(VALU_DEP_1) | instskip(NEXT) | instid1(VALU_DEP_2)
	v_add_f64_e64 v[60:61], -v[56:57], 1.0
	v_dual_lshlrev_b32 v20, 30, v48 :: v_dual_cndmask_b32 v10, 0, v10, s4
	v_fmac_f64_e32 v[66:67], 0xbfc5555555555555, v[72:73]
	s_delay_alu instid0(VALU_DEP_2) | instskip(NEXT) | instid1(VALU_DEP_4)
	v_xor_b32_e32 v19, v20, v19
	v_add_f64_e64 v[76:77], -v[60:61], 1.0
	s_delay_alu instid0(VALU_DEP_1) | instskip(NEXT) | instid1(VALU_DEP_1)
	v_add_f64_e64 v[56:57], v[76:77], -v[56:57]
	v_fma_f64 v[46:47], v[44:45], -v[46:47], v[56:57]
	v_add_f64_e64 v[44:45], v[44:45], -v[66:67]
	s_delay_alu instid0(VALU_DEP_2) | instskip(NEXT) | instid1(VALU_DEP_2)
	v_fmac_f64_e32 v[46:47], v[74:75], v[50:51]
	v_xor_b32_e32 v27, 0x80000000, v45
	s_delay_alu instid0(VALU_DEP_2) | instskip(NEXT) | instid1(VALU_DEP_1)
	v_add_f64_e32 v[46:47], v[60:61], v[46:47]
	v_dual_cndmask_b32 v11, v21, v11, vcc_lo :: v_dual_cndmask_b32 v20, v44, v46, s5
	s_delay_alu instid0(VALU_DEP_2) | instskip(NEXT) | instid1(VALU_DEP_2)
	v_cndmask_b32_e64 v21, v27, v47, s5
	v_bitop3_b32 v11, v11, v19, 0x80000000 bitop3:0x78
	s_delay_alu instid0(VALU_DEP_2) | instskip(NEXT) | instid1(VALU_DEP_2)
	v_bitop3_b32 v19, v21, v18, 0x80000000 bitop3:0x78
	v_cndmask_b32_e64 v11, 0x7ff80000, v11, s4
	v_cndmask_b32_e64 v18, 0, v20, s4
	s_delay_alu instid0(VALU_DEP_3) | instskip(NEXT) | instid1(VALU_DEP_1)
	v_cndmask_b32_e64 v19, 0x7ff80000, v19, s4
	v_mul_f64_e32 v[18:19], v[10:11], v[18:19]
.LBB93_243:                             ;   in Loop: Header=BB93_161 Depth=1
	s_or_b32 exec_lo, exec_lo, s36
	s_delay_alu instid0(VALU_DEP_1) | instskip(SKIP_1) | instid1(VALU_DEP_2)
	v_bfi_b32 v27, 0x7fffffff, 0, v19
	v_add_nc_u32_e32 v13, -2.0, v13
	v_mov_b64_e32 v[10:11], v[26:27]
.LBB93_244:                             ;   in Loop: Header=BB93_161 Depth=1
	s_or_b32 exec_lo, exec_lo, s35
.LBB93_245:                             ;   in Loop: Header=BB93_161 Depth=1
	s_delay_alu instid0(SALU_CYCLE_1) | instskip(SKIP_3) | instid1(VALU_DEP_2)
	s_or_b32 exec_lo, exec_lo, s34
	v_xor_b32_e32 v21, 0x80000000, v17
	v_mov_b32_e32 v20, v16
	s_mov_b32 s4, exec_lo
	v_and_b32_e32 v18, 0x7fffffff, v21
	s_delay_alu instid0(VALU_DEP_1)
	v_cmpx_gt_u32_e32 0x7ff00000, v18
	s_xor_b32 s5, exec_lo, s4
	s_cbranch_execz .LBB93_267
; %bb.246:                              ;   in Loop: Header=BB93_161 Depth=1
	v_cmp_class_f64_e64 s4, v[14:15], 0x1f8
	s_and_saveexec_b32 s34, s4
	s_delay_alu instid0(SALU_CYCLE_1)
	s_xor_b32 s34, exec_lo, s34
	s_cbranch_execz .LBB93_264
; %bb.247:                              ;   in Loop: Header=BB93_161 Depth=1
	s_mov_b32 s4, exec_lo
	v_cmpx_gt_u32_e32 0x40360000, v18
	s_xor_b32 s35, exec_lo, s4
	s_cbranch_execz .LBB93_253
; %bb.248:                              ;   in Loop: Header=BB93_161 Depth=1
	v_cmp_ngt_f64_e64 s4, 0x41d00000, |v[14:15]|
                                        ; implicit-def: $vgpr20
                                        ; implicit-def: $vgpr18_vgpr19
                                        ; implicit-def: $vgpr44_vgpr45
	s_and_saveexec_b32 s36, s4
	s_delay_alu instid0(SALU_CYCLE_1)
	s_xor_b32 s4, exec_lo, s36
	s_cbranch_execz .LBB93_250
; %bb.249:                              ;   in Loop: Header=BB93_161 Depth=1
	v_ldexp_f64 v[18:19], |v[14:15]|, 0xffffff80
	v_cmp_le_f64_e64 vcc_lo, 0x7b000000, |v[14:15]|
	v_trig_preop_f64 v[44:45], |v[14:15]|, 0
	v_and_b32_e32 v20, 0x7fffffff, v15
	v_trig_preop_f64 v[46:47], |v[14:15]|, 1
	v_trig_preop_f64 v[56:57], |v[14:15]|, 2
	s_delay_alu instid0(VALU_DEP_3) | instskip(NEXT) | instid1(VALU_DEP_1)
	v_dual_cndmask_b32 v19, v20, v19 :: v_dual_cndmask_b32 v18, v14, v18
	v_mul_f64_e32 v[48:49], v[44:45], v[18:19]
	s_delay_alu instid0(VALU_DEP_4) | instskip(NEXT) | instid1(VALU_DEP_4)
	v_mul_f64_e32 v[50:51], v[46:47], v[18:19]
	v_mul_f64_e32 v[62:63], v[56:57], v[18:19]
	s_delay_alu instid0(VALU_DEP_3) | instskip(NEXT) | instid1(VALU_DEP_3)
	v_fma_f64 v[44:45], v[44:45], v[18:19], -v[48:49]
	v_fma_f64 v[46:47], v[46:47], v[18:19], -v[50:51]
	s_delay_alu instid0(VALU_DEP_3) | instskip(NEXT) | instid1(VALU_DEP_3)
	v_fma_f64 v[18:19], v[56:57], v[18:19], -v[62:63]
	v_add_f64_e32 v[52:53], v[50:51], v[44:45]
	s_delay_alu instid0(VALU_DEP_1) | instskip(SKIP_1) | instid1(VALU_DEP_2)
	v_add_f64_e64 v[54:55], v[52:53], -v[50:51]
	v_add_f64_e32 v[60:61], v[48:49], v[52:53]
	v_add_f64_e64 v[58:59], v[52:53], -v[54:55]
	v_add_f64_e64 v[44:45], v[44:45], -v[54:55]
	s_delay_alu instid0(VALU_DEP_3) | instskip(NEXT) | instid1(VALU_DEP_3)
	v_ldexp_f64 v[54:55], v[60:61], -2
	v_add_f64_e64 v[50:51], v[50:51], -v[58:59]
	v_add_f64_e32 v[58:59], v[62:63], v[46:47]
	s_delay_alu instid0(VALU_DEP_3) | instskip(NEXT) | instid1(VALU_DEP_3)
	v_cmp_neq_f64_e64 vcc_lo, 0x7ff00000, |v[54:55]|
	v_add_f64_e32 v[44:45], v[44:45], v[50:51]
	v_fract_f64_e32 v[50:51], v[54:55]
	s_delay_alu instid0(VALU_DEP_1) | instskip(NEXT) | instid1(VALU_DEP_1)
	v_ldexp_f64 v[50:51], v[50:51], 2
	v_dual_add_f64 v[48:49], v[60:61], -v[48:49] :: v_dual_cndmask_b32 v50, 0, v50, vcc_lo
	s_delay_alu instid0(VALU_DEP_1) | instskip(SKIP_1) | instid1(VALU_DEP_1)
	v_dual_add_f64 v[48:49], v[52:53], -v[48:49] :: v_dual_cndmask_b32 v51, 0, v51, vcc_lo
	v_add_f64_e32 v[52:53], v[58:59], v[44:45]
	v_add_f64_e32 v[54:55], v[48:49], v[52:53]
	v_add_f64_e64 v[64:65], v[52:53], -v[58:59]
	s_delay_alu instid0(VALU_DEP_2) | instskip(NEXT) | instid1(VALU_DEP_2)
	v_add_f64_e32 v[60:61], v[54:55], v[50:51]
	v_add_f64_e64 v[70:71], v[52:53], -v[64:65]
	v_add_f64_e64 v[44:45], v[44:45], -v[64:65]
	;; [unrolled: 1-line block ×3, first 2 shown]
	s_delay_alu instid0(VALU_DEP_4) | instskip(SKIP_1) | instid1(VALU_DEP_3)
	v_cmp_gt_f64_e32 vcc_lo, 0, v[60:61]
	v_add_f64_e64 v[60:61], v[58:59], -v[62:63]
	v_add_f64_e64 v[48:49], v[52:53], -v[48:49]
	v_cndmask_b32_e64 v27, 0, 0x40100000, vcc_lo
	s_delay_alu instid0(VALU_DEP_3) | instskip(SKIP_2) | instid1(VALU_DEP_4)
	v_add_f64_e64 v[68:69], v[58:59], -v[60:61]
	v_add_f64_e64 v[46:47], v[46:47], -v[60:61]
	;; [unrolled: 1-line block ×3, first 2 shown]
	v_add_f64_e32 v[50:51], v[50:51], v[26:27]
	s_delay_alu instid0(VALU_DEP_4) | instskip(NEXT) | instid1(VALU_DEP_3)
	v_add_f64_e64 v[60:61], v[62:63], -v[68:69]
	v_add_f64_e32 v[44:45], v[44:45], v[58:59]
	s_delay_alu instid0(VALU_DEP_3) | instskip(NEXT) | instid1(VALU_DEP_3)
	v_add_f64_e32 v[66:67], v[54:55], v[50:51]
	v_add_f64_e32 v[46:47], v[46:47], v[60:61]
	s_delay_alu instid0(VALU_DEP_2) | instskip(NEXT) | instid1(VALU_DEP_2)
	v_cvt_i32_f64_e32 v20, v[66:67]
	v_add_f64_e32 v[44:45], v[46:47], v[44:45]
	s_delay_alu instid0(VALU_DEP_2) | instskip(NEXT) | instid1(VALU_DEP_2)
	v_cvt_f64_i32_e32 v[64:65], v20
	v_add_f64_e32 v[18:19], v[18:19], v[44:45]
	s_delay_alu instid0(VALU_DEP_2) | instskip(NEXT) | instid1(VALU_DEP_2)
	v_add_f64_e64 v[50:51], v[50:51], -v[64:65]
	v_add_f64_e32 v[18:19], v[48:49], v[18:19]
	s_delay_alu instid0(VALU_DEP_2) | instskip(NEXT) | instid1(VALU_DEP_1)
	v_add_f64_e32 v[46:47], v[54:55], v[50:51]
	v_add_f64_e64 v[44:45], v[46:47], -v[50:51]
	v_cmp_le_f64_e32 vcc_lo, 0.5, v[46:47]
	s_delay_alu instid0(VALU_DEP_2) | instskip(SKIP_2) | instid1(VALU_DEP_3)
	v_add_f64_e64 v[44:45], v[54:55], -v[44:45]
	v_cndmask_b32_e64 v27, 0, 0x3ff00000, vcc_lo
	v_add_co_ci_u32_e64 v20, null, 0, v20, vcc_lo
	v_add_f64_e32 v[18:19], v[18:19], v[44:45]
	s_delay_alu instid0(VALU_DEP_3) | instskip(NEXT) | instid1(VALU_DEP_1)
	v_add_f64_e64 v[44:45], v[46:47], -v[26:27]
	v_add_f64_e32 v[46:47], v[44:45], v[18:19]
	s_delay_alu instid0(VALU_DEP_1) | instskip(SKIP_1) | instid1(VALU_DEP_2)
	v_mul_f64_e32 v[48:49], 0x3ff921fb54442d18, v[46:47]
	v_add_f64_e64 v[44:45], v[46:47], -v[44:45]
	v_fma_f64 v[50:51], v[46:47], s[12:13], -v[48:49]
	s_delay_alu instid0(VALU_DEP_2) | instskip(NEXT) | instid1(VALU_DEP_2)
	v_add_f64_e64 v[18:19], v[18:19], -v[44:45]
	v_fmac_f64_e32 v[50:51], 0x3c91a62633145c07, v[46:47]
	s_delay_alu instid0(VALU_DEP_1) | instskip(NEXT) | instid1(VALU_DEP_1)
	v_fmac_f64_e32 v[50:51], 0x3ff921fb54442d18, v[18:19]
	v_add_f64_e32 v[18:19], v[48:49], v[50:51]
	s_delay_alu instid0(VALU_DEP_1) | instskip(NEXT) | instid1(VALU_DEP_1)
	v_add_f64_e64 v[44:45], v[18:19], -v[48:49]
	v_add_f64_e64 v[44:45], v[50:51], -v[44:45]
.LBB93_250:                             ;   in Loop: Header=BB93_161 Depth=1
	s_and_not1_saveexec_b32 s4, s4
	s_cbranch_execz .LBB93_252
; %bb.251:                              ;   in Loop: Header=BB93_161 Depth=1
	v_mul_f64_e64 v[18:19], |v[14:15]|, s[14:15]
	s_delay_alu instid0(VALU_DEP_1) | instskip(NEXT) | instid1(VALU_DEP_1)
	v_rndne_f64_e32 v[46:47], v[18:19]
	v_fma_f64 v[18:19], v[46:47], s[16:17], |v[14:15]|
	v_mul_f64_e32 v[44:45], 0xbc91a62633145c00, v[46:47]
	v_cvt_i32_f64_e32 v20, v[46:47]
	s_delay_alu instid0(VALU_DEP_3) | instskip(NEXT) | instid1(VALU_DEP_3)
	v_fmamk_f64 v[52:53], v[46:47], 0xbc91a62633145c00, v[18:19]
	v_add_f64_e32 v[48:49], v[18:19], v[44:45]
	s_delay_alu instid0(VALU_DEP_1) | instskip(NEXT) | instid1(VALU_DEP_3)
	v_add_f64_e64 v[50:51], v[18:19], -v[48:49]
	v_add_f64_e64 v[18:19], v[48:49], -v[52:53]
	s_delay_alu instid0(VALU_DEP_2) | instskip(SKIP_1) | instid1(VALU_DEP_2)
	v_add_f64_e32 v[48:49], v[50:51], v[44:45]
	v_fmamk_f64 v[44:45], v[46:47], 0x3c91a62633145c00, v[44:45]
	v_add_f64_e32 v[18:19], v[18:19], v[48:49]
	s_delay_alu instid0(VALU_DEP_1) | instskip(NEXT) | instid1(VALU_DEP_1)
	v_add_f64_e64 v[44:45], v[18:19], -v[44:45]
	v_fmac_f64_e32 v[44:45], 0xb97b839a252049c0, v[46:47]
	s_delay_alu instid0(VALU_DEP_1) | instskip(NEXT) | instid1(VALU_DEP_1)
	v_add_f64_e32 v[18:19], v[52:53], v[44:45]
	v_add_f64_e64 v[48:49], v[18:19], -v[52:53]
	s_delay_alu instid0(VALU_DEP_1)
	v_add_f64_e64 v[44:45], v[44:45], -v[48:49]
.LBB93_252:                             ;   in Loop: Header=BB93_161 Depth=1
	s_or_b32 exec_lo, exec_lo, s4
	v_add_f64_e64 v[46:47], |v[16:17]|, s[18:19]
	v_cmp_nge_f64_e64 vcc_lo, |v[16:17]|, s[20:21]
	v_mul_f64_e32 v[64:65], v[18:19], v[18:19]
	s_delay_alu instid0(VALU_DEP_4) | instskip(NEXT) | instid1(VALU_DEP_4)
	v_add_f64_e32 v[66:67], v[44:45], v[44:45]
	v_add_f64_e64 v[48:49], v[46:47], -|v[16:17]|
	s_delay_alu instid0(VALU_DEP_3) | instskip(NEXT) | instid1(VALU_DEP_2)
	v_fma_f64 v[68:69], v[18:19], v[18:19], -v[64:65]
	v_add_f64_e64 v[50:51], v[48:49], -v[46:47]
	v_add_f64_e32 v[48:49], 0x3fe62e42fefa39ef, v[48:49]
	s_delay_alu instid0(VALU_DEP_3) | instskip(NEXT) | instid1(VALU_DEP_3)
	v_fmac_f64_e32 v[68:69], v[18:19], v[66:67]
	v_add_f64_e64 v[50:51], |v[16:17]|, v[50:51]
	s_delay_alu instid0(VALU_DEP_2) | instskip(NEXT) | instid1(VALU_DEP_2)
	v_add_f64_e32 v[64:65], v[64:65], v[68:69]
	v_add_f64_e64 v[48:49], v[50:51], -v[48:49]
	s_delay_alu instid0(VALU_DEP_2) | instskip(NEXT) | instid1(VALU_DEP_1)
	v_fmamk_f64 v[68:69], v[64:65], 0x3ef5e089c751c08c, v[28:29]
	v_fmaak_f64 v[68:69], v[64:65], v[68:69], 0x3f17746f90a8aae0
	s_delay_alu instid0(VALU_DEP_1) | instskip(NEXT) | instid1(VALU_DEP_4)
	v_fmaak_f64 v[68:69], v[64:65], v[68:69], 0xbefbb44da6fbf144
	v_add_f64_e32 v[48:49], 0xbc7abc9e3b39803f, v[48:49]
	s_delay_alu instid0(VALU_DEP_1) | instskip(NEXT) | instid1(VALU_DEP_1)
	v_add_f64_e32 v[50:51], v[46:47], v[48:49]
	v_mul_f64_e32 v[52:53], 0x3ff71547652b82fe, v[50:51]
	v_add_f64_e64 v[46:47], v[46:47], -v[50:51]
	s_delay_alu instid0(VALU_DEP_2) | instskip(NEXT) | instid1(VALU_DEP_2)
	v_rndne_f64_e32 v[52:53], v[52:53]
	v_add_f64_e32 v[46:47], v[48:49], v[46:47]
	s_delay_alu instid0(VALU_DEP_2) | instskip(SKIP_2) | instid1(VALU_DEP_3)
	v_fmac_f64_e32 v[50:51], 0xbfe62e42fefa3000, v[52:53]
	v_mul_f64_e32 v[48:49], 0xbd53de6af278e000, v[52:53]
	v_cvt_i32_f64_e32 v14, v[52:53]
	v_add_f64_e32 v[54:55], v[46:47], v[50:51]
	s_delay_alu instid0(VALU_DEP_1) | instskip(SKIP_1) | instid1(VALU_DEP_2)
	v_add_f64_e32 v[56:57], v[54:55], v[48:49]
	v_add_f64_e64 v[50:51], v[50:51], -v[54:55]
	v_add_f64_e64 v[54:55], v[54:55], -v[56:57]
	s_delay_alu instid0(VALU_DEP_2) | instskip(NEXT) | instid1(VALU_DEP_2)
	v_add_f64_e32 v[46:47], v[46:47], v[50:51]
	v_add_f64_e32 v[48:49], v[54:55], v[48:49]
	s_delay_alu instid0(VALU_DEP_1) | instskip(SKIP_1) | instid1(VALU_DEP_2)
	v_add_f64_e32 v[46:47], v[46:47], v[48:49]
	v_mul_f64_e32 v[48:49], 0xbac9cc01f97b57a0, v[52:53]
	v_add_f64_e32 v[50:51], v[56:57], v[46:47]
	s_delay_alu instid0(VALU_DEP_1) | instskip(SKIP_1) | instid1(VALU_DEP_2)
	v_add_f64_e32 v[54:55], v[50:51], v[48:49]
	v_add_f64_e64 v[56:57], v[56:57], -v[50:51]
	v_add_f64_e64 v[50:51], v[50:51], -v[54:55]
	s_delay_alu instid0(VALU_DEP_2) | instskip(NEXT) | instid1(VALU_DEP_2)
	v_add_f64_e32 v[46:47], v[46:47], v[56:57]
	v_add_f64_e32 v[48:49], v[50:51], v[48:49]
	s_delay_alu instid0(VALU_DEP_1) | instskip(NEXT) | instid1(VALU_DEP_1)
	v_add_f64_e32 v[46:47], v[46:47], v[48:49]
	v_add_f64_e32 v[48:49], v[54:55], v[46:47]
	s_delay_alu instid0(VALU_DEP_1) | instskip(SKIP_1) | instid1(VALU_DEP_2)
	v_add_f64_e64 v[50:51], v[54:55], -v[48:49]
	v_mul_f64_e32 v[54:55], v[48:49], v[48:49]
	v_add_f64_e32 v[46:47], v[46:47], v[50:51]
	s_delay_alu instid0(VALU_DEP_2) | instskip(NEXT) | instid1(VALU_DEP_2)
	v_fma_f64 v[50:51], v[48:49], v[48:49], -v[54:55]
	v_add_f64_e32 v[56:57], v[46:47], v[46:47]
	s_delay_alu instid0(VALU_DEP_1) | instskip(SKIP_1) | instid1(VALU_DEP_1)
	v_fmac_f64_e32 v[50:51], v[48:49], v[56:57]
	v_fmamk_f64 v[56:57], v[48:49], 0x3e5ade156a5dcb37, v[30:31]
	v_fmaak_f64 v[56:57], v[48:49], v[56:57], 0x3ec71dee623fde64
	s_delay_alu instid0(VALU_DEP_1) | instskip(NEXT) | instid1(VALU_DEP_1)
	v_fmaak_f64 v[56:57], v[48:49], v[56:57], 0x3efa01997c89e6b0
	v_fmaak_f64 v[56:57], v[48:49], v[56:57], 0x3f2a01a014761f6e
	s_delay_alu instid0(VALU_DEP_1) | instskip(SKIP_1) | instid1(VALU_DEP_2)
	v_fmaak_f64 v[56:57], v[48:49], v[56:57], 0x3f56c16c1852b7b0
	v_add_f64_e32 v[58:59], v[54:55], v[50:51]
	v_fmaak_f64 v[56:57], v[48:49], v[56:57], 0x3f81111111122322
	s_delay_alu instid0(VALU_DEP_1) | instskip(NEXT) | instid1(VALU_DEP_1)
	v_fmaak_f64 v[56:57], v[48:49], v[56:57], 0x3fa55555555502a1
	v_fmaak_f64 v[56:57], v[48:49], v[56:57], 0x3fc5555555555511
	s_delay_alu instid0(VALU_DEP_1) | instskip(SKIP_1) | instid1(VALU_DEP_2)
	v_fmaak_f64 v[56:57], v[48:49], v[56:57], 0x3fe000000000000b
	v_add_f64_e64 v[54:55], v[58:59], -v[54:55]
	v_mul_f64_e32 v[60:61], v[58:59], v[56:57]
	s_delay_alu instid0(VALU_DEP_2) | instskip(NEXT) | instid1(VALU_DEP_2)
	v_add_f64_e64 v[50:51], v[50:51], -v[54:55]
	v_fma_f64 v[54:55], v[58:59], v[56:57], -v[60:61]
	s_delay_alu instid0(VALU_DEP_1) | instskip(NEXT) | instid1(VALU_DEP_1)
	v_fmac_f64_e32 v[54:55], v[50:51], v[56:57]
	v_add_f64_e32 v[50:51], v[60:61], v[54:55]
	s_delay_alu instid0(VALU_DEP_1) | instskip(SKIP_1) | instid1(VALU_DEP_2)
	v_add_f64_e32 v[56:57], v[48:49], v[50:51]
	v_add_f64_e64 v[58:59], v[50:51], -v[60:61]
	v_add_f64_e64 v[48:49], v[56:57], -v[48:49]
	s_delay_alu instid0(VALU_DEP_2) | instskip(NEXT) | instid1(VALU_DEP_2)
	v_add_f64_e64 v[54:55], v[54:55], -v[58:59]
	v_add_f64_e64 v[48:49], v[50:51], -v[48:49]
	s_delay_alu instid0(VALU_DEP_2) | instskip(NEXT) | instid1(VALU_DEP_1)
	v_add_f64_e32 v[46:47], v[46:47], v[54:55]
	v_add_f64_e32 v[46:47], v[46:47], v[48:49]
	s_delay_alu instid0(VALU_DEP_1) | instskip(NEXT) | instid1(VALU_DEP_1)
	v_add_f64_e32 v[48:49], v[56:57], v[46:47]
	v_add_f64_e32 v[50:51], 1.0, v[48:49]
	v_add_f64_e64 v[54:55], v[48:49], -v[56:57]
	s_delay_alu instid0(VALU_DEP_2) | instskip(NEXT) | instid1(VALU_DEP_2)
	v_add_f64_e32 v[56:57], -1.0, v[50:51]
	v_add_f64_e64 v[46:47], v[46:47], -v[54:55]
	s_delay_alu instid0(VALU_DEP_2) | instskip(NEXT) | instid1(VALU_DEP_1)
	v_add_f64_e64 v[48:49], v[48:49], -v[56:57]
	v_add_f64_e32 v[46:47], v[46:47], v[48:49]
	s_delay_alu instid0(VALU_DEP_1) | instskip(NEXT) | instid1(VALU_DEP_1)
	v_add_f64_e32 v[48:49], v[50:51], v[46:47]
	v_ldexp_f64 v[52:53], v[48:49], v14
	v_add_f64_e64 v[48:49], v[48:49], -v[50:51]
	s_delay_alu instid0(VALU_DEP_2) | instskip(NEXT) | instid1(VALU_DEP_1)
	v_rcp_f64_e32 v[54:55], v[52:53]
	v_add_f64_e64 v[46:47], v[46:47], -v[48:49]
	s_delay_alu instid0(VALU_DEP_1) | instskip(NEXT) | instid1(TRANS32_DEP_1)
	v_ldexp_f64 v[46:47], v[46:47], v14
	v_fma_f64 v[56:57], -v[52:53], v[54:55], 1.0
	s_delay_alu instid0(VALU_DEP_1) | instskip(NEXT) | instid1(VALU_DEP_1)
	v_fmac_f64_e32 v[54:55], v[56:57], v[54:55]
	v_fma_f64 v[56:57], -v[52:53], v[54:55], 1.0
	s_delay_alu instid0(VALU_DEP_1) | instskip(NEXT) | instid1(VALU_DEP_1)
	v_fmac_f64_e32 v[54:55], v[56:57], v[54:55]
	v_mul_f64_e32 v[48:49], v[52:53], v[54:55]
	s_delay_alu instid0(VALU_DEP_1) | instskip(NEXT) | instid1(VALU_DEP_1)
	v_fma_f64 v[50:51], v[54:55], v[52:53], -v[48:49]
	v_fmac_f64_e32 v[50:51], v[54:55], v[46:47]
	s_delay_alu instid0(VALU_DEP_1) | instskip(NEXT) | instid1(VALU_DEP_1)
	v_add_f64_e32 v[56:57], v[48:49], v[50:51]
	v_add_f64_e64 v[58:59], -v[56:57], 1.0
	v_add_f64_e64 v[48:49], v[56:57], -v[48:49]
	s_delay_alu instid0(VALU_DEP_2) | instskip(NEXT) | instid1(VALU_DEP_2)
	v_add_f64_e64 v[60:61], -v[58:59], 1.0
	v_add_f64_e64 v[48:49], v[48:49], -v[50:51]
	s_delay_alu instid0(VALU_DEP_2) | instskip(NEXT) | instid1(VALU_DEP_1)
	v_add_f64_e64 v[50:51], v[60:61], -v[56:57]
	v_add_f64_e32 v[48:49], v[48:49], v[50:51]
	s_delay_alu instid0(VALU_DEP_1) | instskip(NEXT) | instid1(VALU_DEP_1)
	v_add_f64_e32 v[50:51], v[58:59], v[48:49]
	v_mul_f64_e32 v[56:57], v[54:55], v[50:51]
	v_add_f64_e64 v[58:59], v[58:59], -v[50:51]
	s_delay_alu instid0(VALU_DEP_2) | instskip(NEXT) | instid1(VALU_DEP_2)
	v_mul_f64_e32 v[60:61], v[52:53], v[56:57]
	v_add_f64_e32 v[48:49], v[48:49], v[58:59]
	s_delay_alu instid0(VALU_DEP_2) | instskip(NEXT) | instid1(VALU_DEP_1)
	v_fma_f64 v[62:63], v[56:57], v[52:53], -v[60:61]
	v_fmac_f64_e32 v[62:63], v[56:57], v[46:47]
	s_delay_alu instid0(VALU_DEP_1) | instskip(NEXT) | instid1(VALU_DEP_1)
	v_add_f64_e32 v[70:71], v[60:61], v[62:63]
	v_add_f64_e64 v[66:67], v[50:51], -v[70:71]
	v_add_f64_e64 v[58:59], v[70:71], -v[60:61]
	v_fmaak_f64 v[60:61], v[64:65], v[68:69], 0x3f21e634a7943acf
	s_delay_alu instid0(VALU_DEP_1) | instskip(NEXT) | instid1(VALU_DEP_1)
	v_fmaak_f64 v[60:61], v[64:65], v[60:61], 0x3f2d250fdeb68feb
	v_fmaak_f64 v[60:61], v[64:65], v[60:61], 0x3f437fd9b58c4d95
	s_delay_alu instid0(VALU_DEP_1) | instskip(NEXT) | instid1(VALU_DEP_1)
	v_fmaak_f64 v[60:61], v[64:65], v[60:61], 0x3f57d5af15120e2c
	v_fmaak_f64 v[60:61], v[64:65], v[60:61], 0x3f6d6d93e09491df
	v_add_f64_e64 v[50:51], v[50:51], -v[66:67]
	v_add_f64_e64 v[58:59], v[58:59], -v[62:63]
	s_delay_alu instid0(VALU_DEP_2) | instskip(NEXT) | instid1(VALU_DEP_1)
	v_add_f64_e64 v[50:51], v[50:51], -v[70:71]
	v_add_f64_e32 v[48:49], v[48:49], v[50:51]
	v_fmaak_f64 v[50:51], v[64:65], v[60:61], 0x3f8226e12033784d
	v_add_f64_e32 v[60:61], v[54:55], v[56:57]
	s_delay_alu instid0(VALU_DEP_2) | instskip(NEXT) | instid1(VALU_DEP_1)
	v_fmaak_f64 v[50:51], v[64:65], v[50:51], 0x3f9664f49ac36ae2
	v_fmaak_f64 v[50:51], v[64:65], v[50:51], 0x3faba1ba1b451c21
	s_delay_alu instid0(VALU_DEP_1) | instskip(NEXT) | instid1(VALU_DEP_1)
	v_fmaak_f64 v[50:51], v[64:65], v[50:51], 0x3fc11111111185b7
	v_fmaak_f64 v[50:51], v[64:65], v[50:51], 0x3fd55555555554ee
	v_add_f64_e32 v[48:49], v[58:59], v[48:49]
	v_add_f64_e64 v[58:59], v[60:61], -v[54:55]
	s_delay_alu instid0(VALU_DEP_3) | instskip(NEXT) | instid1(VALU_DEP_3)
	v_mul_f64_e32 v[50:51], v[64:65], v[50:51]
	v_add_f64_e32 v[48:49], v[66:67], v[48:49]
	s_delay_alu instid0(VALU_DEP_3) | instskip(NEXT) | instid1(VALU_DEP_3)
	v_add_f64_e64 v[56:57], v[56:57], -v[58:59]
	v_mul_f64_e32 v[62:63], v[18:19], v[50:51]
	s_delay_alu instid0(VALU_DEP_3) | instskip(NEXT) | instid1(VALU_DEP_2)
	v_mul_f64_e32 v[48:49], v[54:55], v[48:49]
	v_add_f64_e32 v[54:55], v[18:19], v[62:63]
	v_fma_f64 v[50:51], v[18:19], v[50:51], -v[62:63]
	s_delay_alu instid0(VALU_DEP_3) | instskip(NEXT) | instid1(VALU_DEP_3)
	v_add_f64_e32 v[48:49], v[56:57], v[48:49]
	v_add_f64_e64 v[18:19], v[54:55], -v[18:19]
	s_delay_alu instid0(VALU_DEP_3) | instskip(NEXT) | instid1(VALU_DEP_3)
	v_add_f64_e32 v[44:45], v[44:45], v[50:51]
	v_add_f64_e32 v[56:57], v[60:61], v[48:49]
	s_delay_alu instid0(VALU_DEP_3) | instskip(NEXT) | instid1(VALU_DEP_2)
	v_add_f64_e64 v[18:19], v[62:63], -v[18:19]
	v_ldexp_f64 v[50:51], v[56:57], -2
	v_add_f64_e64 v[56:57], v[56:57], -v[60:61]
	s_delay_alu instid0(VALU_DEP_3) | instskip(NEXT) | instid1(VALU_DEP_3)
	v_add_f64_e32 v[18:19], v[44:45], v[18:19]
	v_add_f64_e64 v[44:45], v[52:53], -v[50:51]
	s_delay_alu instid0(VALU_DEP_3) | instskip(NEXT) | instid1(VALU_DEP_3)
	v_add_f64_e64 v[48:49], v[48:49], -v[56:57]
	v_add_f64_e32 v[58:59], v[54:55], v[18:19]
	s_delay_alu instid0(VALU_DEP_3) | instskip(NEXT) | instid1(VALU_DEP_3)
	v_add_f64_e64 v[52:53], v[52:53], -v[44:45]
	v_ldexp_f64 v[48:49], v[48:49], -2
	s_delay_alu instid0(VALU_DEP_3) | instskip(NEXT) | instid1(VALU_DEP_2)
	v_rcp_f64_e32 v[60:61], v[58:59]
	v_add_f64_e64 v[50:51], v[52:53], -v[50:51]
	s_delay_alu instid0(TRANS32_DEP_1) | instskip(NEXT) | instid1(VALU_DEP_2)
	v_fma_f64 v[52:53], -v[58:59], v[60:61], 1.0
	v_add_f64_e32 v[46:47], v[46:47], v[50:51]
	s_delay_alu instid0(VALU_DEP_2) | instskip(NEXT) | instid1(VALU_DEP_2)
	v_fmac_f64_e32 v[60:61], v[52:53], v[60:61]
	v_add_f64_e64 v[46:47], v[46:47], -v[48:49]
	s_delay_alu instid0(VALU_DEP_2) | instskip(NEXT) | instid1(VALU_DEP_2)
	v_fma_f64 v[48:49], -v[58:59], v[60:61], 1.0
	v_add_f64_e32 v[44:45], v[44:45], v[46:47]
	s_delay_alu instid0(VALU_DEP_2) | instskip(NEXT) | instid1(VALU_DEP_2)
	v_fmac_f64_e32 v[60:61], v[48:49], v[60:61]
	v_cndmask_b32_e32 v14, 0x7ff00000, v45, vcc_lo
	s_delay_alu instid0(VALU_DEP_3) | instskip(SKIP_4) | instid1(VALU_DEP_3)
	v_cndmask_b32_e32 v27, 0, v44, vcc_lo
	v_cmp_gt_f64_e64 vcc_lo, 0x3e400000, |v[16:17]|
	v_and_b32_e32 v17, 0x7fffffff, v17
	v_add_f64_e64 v[44:45], v[58:59], -v[54:55]
	v_mul_f64_e32 v[46:47], v[58:59], v[60:61]
	v_dual_cndmask_b32 v14, v14, v17, vcc_lo :: v_dual_cndmask_b32 v16, v27, v16, vcc_lo
	s_delay_alu instid0(VALU_DEP_3) | instskip(NEXT) | instid1(VALU_DEP_2)
	v_add_f64_e64 v[18:19], v[18:19], -v[44:45]
	v_bfi_b32 v17, 0x7fffffff, v14, v21
	s_delay_alu instid0(VALU_DEP_4) | instskip(NEXT) | instid1(VALU_DEP_2)
	v_fma_f64 v[44:45], v[60:61], v[58:59], -v[46:47]
	v_fma_f64 v[48:49], v[16:17], v[16:17], 1.0
	s_delay_alu instid0(VALU_DEP_2) | instskip(NEXT) | instid1(VALU_DEP_2)
	v_fmac_f64_e32 v[44:45], v[60:61], v[18:19]
	v_cmp_gt_f64_e32 vcc_lo, 0x10000000, v[48:49]
	v_cndmask_b32_e64 v14, 0, 0x100, vcc_lo
	v_cndmask_b32_e64 v21, 0, 0xffffff80, vcc_lo
	s_delay_alu instid0(VALU_DEP_2) | instskip(SKIP_2) | instid1(VALU_DEP_1)
	v_ldexp_f64 v[18:19], v[48:49], v14
	v_add_f64_e32 v[48:49], v[46:47], v[44:45]
	v_and_b32_e32 v14, 1, v20
	v_cmp_eq_u32_e64 s4, 0, v14
	s_delay_alu instid0(VALU_DEP_4) | instskip(NEXT) | instid1(VALU_DEP_3)
	v_rsq_f64_e32 v[50:51], v[18:19]
	v_add_f64_e64 v[52:53], -v[48:49], 1.0
	v_add_f64_e64 v[46:47], v[48:49], -v[46:47]
	v_cmp_class_f64_e64 vcc_lo, v[18:19], 0x260
	s_delay_alu instid0(VALU_DEP_3) | instskip(NEXT) | instid1(VALU_DEP_3)
	v_add_f64_e64 v[56:57], -v[52:53], 1.0
	v_add_f64_e64 v[44:45], v[46:47], -v[44:45]
	s_delay_alu instid0(TRANS32_DEP_1) | instskip(SKIP_1) | instid1(VALU_DEP_4)
	v_mul_f64_e32 v[54:55], v[18:19], v[50:51]
	v_mul_f64_e32 v[50:51], 0.5, v[50:51]
	v_add_f64_e64 v[46:47], v[56:57], -v[48:49]
	s_delay_alu instid0(VALU_DEP_2) | instskip(NEXT) | instid1(VALU_DEP_2)
	v_fma_f64 v[62:63], -v[50:51], v[54:55], 0.5
	v_add_f64_e32 v[44:45], v[44:45], v[46:47]
	s_delay_alu instid0(VALU_DEP_2) | instskip(SKIP_1) | instid1(VALU_DEP_3)
	v_fmac_f64_e32 v[54:55], v[54:55], v[62:63]
	v_fmac_f64_e32 v[50:51], v[50:51], v[62:63]
	v_add_f64_e32 v[44:45], v[52:53], v[44:45]
	s_delay_alu instid0(VALU_DEP_3) | instskip(NEXT) | instid1(VALU_DEP_2)
	v_fma_f64 v[46:47], -v[54:55], v[54:55], v[18:19]
	v_mul_f64_e32 v[44:45], v[60:61], v[44:45]
	s_delay_alu instid0(VALU_DEP_2) | instskip(NEXT) | instid1(VALU_DEP_2)
	v_fmac_f64_e32 v[54:55], v[46:47], v[50:51]
	v_add_f64_e32 v[44:45], v[60:61], v[44:45]
	s_delay_alu instid0(VALU_DEP_2) | instskip(NEXT) | instid1(VALU_DEP_2)
	v_fma_f64 v[46:47], -v[54:55], v[54:55], v[18:19]
	v_xor_b32_e32 v20, 0x80000000, v45
	s_delay_alu instid0(VALU_DEP_3) | instskip(NEXT) | instid1(VALU_DEP_2)
	v_cndmask_b32_e64 v14, v44, v58, s4
	v_cndmask_b32_e64 v20, v20, v59, s4
	s_delay_alu instid0(VALU_DEP_4) | instskip(NEXT) | instid1(VALU_DEP_2)
	v_fmac_f64_e32 v[54:55], v[46:47], v[50:51]
	v_bitop3_b32 v15, v20, v15, 0x80000000 bitop3:0x78
	s_delay_alu instid0(VALU_DEP_1) | instskip(NEXT) | instid1(VALU_DEP_3)
	v_fma_f64 v[44:45], v[14:15], v[14:15], 1.0
	v_ldexp_f64 v[20:21], v[54:55], v21
	s_delay_alu instid0(VALU_DEP_1) | instskip(NEXT) | instid1(VALU_DEP_3)
	v_dual_cndmask_b32 v19, v21, v19 :: v_dual_cndmask_b32 v18, v20, v18
	v_mul_f64_e32 v[20:21], v[16:17], v[44:45]
	s_delay_alu instid0(VALU_DEP_2) | instskip(NEXT) | instid1(VALU_DEP_2)
	v_mul_f64_e32 v[18:19], v[18:19], v[44:45]
	v_fma_f64 v[44:45], v[16:17], v[20:21], 1.0
	s_delay_alu instid0(VALU_DEP_2) | instskip(NEXT) | instid1(VALU_DEP_2)
	v_mul_f64_e32 v[16:17], v[16:17], v[18:19]
	v_div_scale_f64 v[20:21], null, v[44:45], v[44:45], v[14:15]
	s_delay_alu instid0(VALU_DEP_2) | instskip(SKIP_1) | instid1(VALU_DEP_3)
	v_div_scale_f64 v[18:19], null, v[44:45], v[44:45], v[16:17]
	v_div_scale_f64 v[54:55], vcc_lo, v[16:17], v[44:45], v[16:17]
	v_rcp_f64_e32 v[48:49], v[20:21]
	s_delay_alu instid0(VALU_DEP_2) | instskip(NEXT) | instid1(TRANS32_DEP_2)
	v_rcp_f64_e32 v[46:47], v[18:19]
	v_fma_f64 v[52:53], -v[20:21], v[48:49], 1.0
	s_delay_alu instid0(TRANS32_DEP_1) | instskip(NEXT) | instid1(VALU_DEP_2)
	v_fma_f64 v[50:51], -v[18:19], v[46:47], 1.0
	v_fmac_f64_e32 v[48:49], v[48:49], v[52:53]
	s_delay_alu instid0(VALU_DEP_2) | instskip(NEXT) | instid1(VALU_DEP_2)
	v_fmac_f64_e32 v[46:47], v[46:47], v[50:51]
	v_fma_f64 v[52:53], -v[20:21], v[48:49], 1.0
	s_delay_alu instid0(VALU_DEP_2) | instskip(NEXT) | instid1(VALU_DEP_2)
	v_fma_f64 v[50:51], -v[18:19], v[46:47], 1.0
	v_fmac_f64_e32 v[48:49], v[48:49], v[52:53]
	s_delay_alu instid0(VALU_DEP_2) | instskip(SKIP_1) | instid1(VALU_DEP_2)
	v_fmac_f64_e32 v[46:47], v[46:47], v[50:51]
	v_div_scale_f64 v[50:51], s4, v[14:15], v[44:45], v[14:15]
	v_mul_f64_e32 v[52:53], v[54:55], v[46:47]
	s_delay_alu instid0(VALU_DEP_2) | instskip(NEXT) | instid1(VALU_DEP_2)
	v_mul_f64_e32 v[56:57], v[50:51], v[48:49]
	v_fma_f64 v[18:19], -v[18:19], v[52:53], v[54:55]
	s_delay_alu instid0(VALU_DEP_2) | instskip(NEXT) | instid1(VALU_DEP_2)
	v_fma_f64 v[20:21], -v[20:21], v[56:57], v[50:51]
	v_div_fmas_f64 v[18:19], v[18:19], v[46:47], v[52:53]
	s_mov_b32 vcc_lo, s4
	s_delay_alu instid0(VALU_DEP_2) | instskip(NEXT) | instid1(VALU_DEP_2)
	v_div_fmas_f64 v[46:47], v[20:21], v[48:49], v[56:57]
	v_div_fixup_f64 v[20:21], v[18:19], v[44:45], v[16:17]
	s_delay_alu instid0(VALU_DEP_2)
	v_div_fixup_f64 v[18:19], v[46:47], v[44:45], v[14:15]
                                        ; implicit-def: $vgpr14_vgpr15
.LBB93_253:                             ;   in Loop: Header=BB93_161 Depth=1
	s_and_not1_saveexec_b32 s4, s35
	s_cbranch_execz .LBB93_263
; %bb.254:                              ;   in Loop: Header=BB93_161 Depth=1
	v_cmp_ngt_f64_e64 s35, 0x41d00000, |v[14:15]|
                                        ; implicit-def: $vgpr20
                                        ; implicit-def: $vgpr18_vgpr19
                                        ; implicit-def: $vgpr44_vgpr45
	s_and_saveexec_b32 s36, s35
	s_delay_alu instid0(SALU_CYCLE_1)
	s_xor_b32 s36, exec_lo, s36
	s_cbranch_execz .LBB93_256
; %bb.255:                              ;   in Loop: Header=BB93_161 Depth=1
	v_ldexp_f64 v[18:19], |v[14:15]|, 0xffffff80
	v_cmp_le_f64_e64 vcc_lo, 0x7b000000, |v[14:15]|
	v_trig_preop_f64 v[44:45], |v[14:15]|, 0
	v_and_b32_e32 v20, 0x7fffffff, v15
	v_trig_preop_f64 v[46:47], |v[14:15]|, 1
	v_trig_preop_f64 v[56:57], |v[14:15]|, 2
	s_delay_alu instid0(VALU_DEP_3) | instskip(NEXT) | instid1(VALU_DEP_1)
	v_dual_cndmask_b32 v19, v20, v19 :: v_dual_cndmask_b32 v18, v14, v18
	v_mul_f64_e32 v[48:49], v[44:45], v[18:19]
	s_delay_alu instid0(VALU_DEP_4) | instskip(NEXT) | instid1(VALU_DEP_4)
	v_mul_f64_e32 v[50:51], v[46:47], v[18:19]
	v_mul_f64_e32 v[62:63], v[56:57], v[18:19]
	s_delay_alu instid0(VALU_DEP_3) | instskip(NEXT) | instid1(VALU_DEP_3)
	v_fma_f64 v[44:45], v[44:45], v[18:19], -v[48:49]
	v_fma_f64 v[46:47], v[46:47], v[18:19], -v[50:51]
	s_delay_alu instid0(VALU_DEP_3) | instskip(NEXT) | instid1(VALU_DEP_3)
	v_fma_f64 v[18:19], v[56:57], v[18:19], -v[62:63]
	v_add_f64_e32 v[52:53], v[50:51], v[44:45]
	s_delay_alu instid0(VALU_DEP_1) | instskip(SKIP_1) | instid1(VALU_DEP_2)
	v_add_f64_e64 v[54:55], v[52:53], -v[50:51]
	v_add_f64_e32 v[60:61], v[48:49], v[52:53]
	v_add_f64_e64 v[58:59], v[52:53], -v[54:55]
	v_add_f64_e64 v[44:45], v[44:45], -v[54:55]
	s_delay_alu instid0(VALU_DEP_3) | instskip(NEXT) | instid1(VALU_DEP_3)
	v_ldexp_f64 v[54:55], v[60:61], -2
	v_add_f64_e64 v[50:51], v[50:51], -v[58:59]
	v_add_f64_e32 v[58:59], v[62:63], v[46:47]
	s_delay_alu instid0(VALU_DEP_3) | instskip(NEXT) | instid1(VALU_DEP_3)
	v_cmp_neq_f64_e64 vcc_lo, 0x7ff00000, |v[54:55]|
	v_add_f64_e32 v[44:45], v[44:45], v[50:51]
	v_fract_f64_e32 v[50:51], v[54:55]
	s_delay_alu instid0(VALU_DEP_1) | instskip(NEXT) | instid1(VALU_DEP_1)
	v_ldexp_f64 v[50:51], v[50:51], 2
	v_dual_add_f64 v[48:49], v[60:61], -v[48:49] :: v_dual_cndmask_b32 v50, 0, v50, vcc_lo
	s_delay_alu instid0(VALU_DEP_1) | instskip(SKIP_1) | instid1(VALU_DEP_1)
	v_dual_add_f64 v[48:49], v[52:53], -v[48:49] :: v_dual_cndmask_b32 v51, 0, v51, vcc_lo
	v_add_f64_e32 v[52:53], v[58:59], v[44:45]
	v_add_f64_e32 v[54:55], v[48:49], v[52:53]
	v_add_f64_e64 v[64:65], v[52:53], -v[58:59]
	s_delay_alu instid0(VALU_DEP_2) | instskip(NEXT) | instid1(VALU_DEP_2)
	v_add_f64_e32 v[60:61], v[54:55], v[50:51]
	v_add_f64_e64 v[70:71], v[52:53], -v[64:65]
	v_add_f64_e64 v[44:45], v[44:45], -v[64:65]
	;; [unrolled: 1-line block ×3, first 2 shown]
	s_delay_alu instid0(VALU_DEP_4) | instskip(SKIP_1) | instid1(VALU_DEP_3)
	v_cmp_gt_f64_e32 vcc_lo, 0, v[60:61]
	v_add_f64_e64 v[60:61], v[58:59], -v[62:63]
	v_add_f64_e64 v[48:49], v[52:53], -v[48:49]
	v_cndmask_b32_e64 v27, 0, 0x40100000, vcc_lo
	s_delay_alu instid0(VALU_DEP_3) | instskip(SKIP_2) | instid1(VALU_DEP_4)
	v_add_f64_e64 v[68:69], v[58:59], -v[60:61]
	v_add_f64_e64 v[46:47], v[46:47], -v[60:61]
	;; [unrolled: 1-line block ×3, first 2 shown]
	v_add_f64_e32 v[50:51], v[50:51], v[26:27]
	s_delay_alu instid0(VALU_DEP_4) | instskip(NEXT) | instid1(VALU_DEP_3)
	v_add_f64_e64 v[60:61], v[62:63], -v[68:69]
	v_add_f64_e32 v[44:45], v[44:45], v[58:59]
	s_delay_alu instid0(VALU_DEP_3) | instskip(NEXT) | instid1(VALU_DEP_3)
	v_add_f64_e32 v[66:67], v[54:55], v[50:51]
	v_add_f64_e32 v[46:47], v[46:47], v[60:61]
	s_delay_alu instid0(VALU_DEP_2) | instskip(NEXT) | instid1(VALU_DEP_2)
	v_cvt_i32_f64_e32 v20, v[66:67]
	v_add_f64_e32 v[44:45], v[46:47], v[44:45]
	s_delay_alu instid0(VALU_DEP_2) | instskip(NEXT) | instid1(VALU_DEP_2)
	v_cvt_f64_i32_e32 v[64:65], v20
	v_add_f64_e32 v[18:19], v[18:19], v[44:45]
	s_delay_alu instid0(VALU_DEP_2) | instskip(NEXT) | instid1(VALU_DEP_2)
	v_add_f64_e64 v[50:51], v[50:51], -v[64:65]
	v_add_f64_e32 v[18:19], v[48:49], v[18:19]
	s_delay_alu instid0(VALU_DEP_2) | instskip(NEXT) | instid1(VALU_DEP_1)
	v_add_f64_e32 v[46:47], v[54:55], v[50:51]
	v_add_f64_e64 v[44:45], v[46:47], -v[50:51]
	v_cmp_le_f64_e32 vcc_lo, 0.5, v[46:47]
	s_delay_alu instid0(VALU_DEP_2) | instskip(SKIP_2) | instid1(VALU_DEP_3)
	v_add_f64_e64 v[44:45], v[54:55], -v[44:45]
	v_cndmask_b32_e64 v27, 0, 0x3ff00000, vcc_lo
	v_add_co_ci_u32_e64 v20, null, 0, v20, vcc_lo
	v_add_f64_e32 v[18:19], v[18:19], v[44:45]
	s_delay_alu instid0(VALU_DEP_3) | instskip(NEXT) | instid1(VALU_DEP_1)
	v_add_f64_e64 v[44:45], v[46:47], -v[26:27]
	v_add_f64_e32 v[46:47], v[44:45], v[18:19]
	s_delay_alu instid0(VALU_DEP_1) | instskip(SKIP_1) | instid1(VALU_DEP_2)
	v_mul_f64_e32 v[48:49], 0x3ff921fb54442d18, v[46:47]
	v_add_f64_e64 v[44:45], v[46:47], -v[44:45]
	v_fma_f64 v[50:51], v[46:47], s[12:13], -v[48:49]
	s_delay_alu instid0(VALU_DEP_2) | instskip(NEXT) | instid1(VALU_DEP_2)
	v_add_f64_e64 v[18:19], v[18:19], -v[44:45]
	v_fmac_f64_e32 v[50:51], 0x3c91a62633145c07, v[46:47]
	s_delay_alu instid0(VALU_DEP_1) | instskip(NEXT) | instid1(VALU_DEP_1)
	v_fmac_f64_e32 v[50:51], 0x3ff921fb54442d18, v[18:19]
	v_add_f64_e32 v[18:19], v[48:49], v[50:51]
	s_delay_alu instid0(VALU_DEP_1) | instskip(NEXT) | instid1(VALU_DEP_1)
	v_add_f64_e64 v[44:45], v[18:19], -v[48:49]
	v_add_f64_e64 v[44:45], v[50:51], -v[44:45]
	s_and_not1_saveexec_b32 s36, s36
	s_cbranch_execz .LBB93_258
	s_branch .LBB93_257
.LBB93_256:                             ;   in Loop: Header=BB93_161 Depth=1
	s_and_not1_saveexec_b32 s36, s36
	s_cbranch_execz .LBB93_258
.LBB93_257:                             ;   in Loop: Header=BB93_161 Depth=1
	v_mul_f64_e64 v[18:19], |v[14:15]|, s[14:15]
	s_delay_alu instid0(VALU_DEP_1) | instskip(NEXT) | instid1(VALU_DEP_1)
	v_rndne_f64_e32 v[46:47], v[18:19]
	v_fma_f64 v[18:19], v[46:47], s[16:17], |v[14:15]|
	v_mul_f64_e32 v[44:45], 0xbc91a62633145c00, v[46:47]
	v_cvt_i32_f64_e32 v20, v[46:47]
	s_delay_alu instid0(VALU_DEP_3) | instskip(NEXT) | instid1(VALU_DEP_3)
	v_fmamk_f64 v[52:53], v[46:47], 0xbc91a62633145c00, v[18:19]
	v_add_f64_e32 v[48:49], v[18:19], v[44:45]
	s_delay_alu instid0(VALU_DEP_1) | instskip(NEXT) | instid1(VALU_DEP_3)
	v_add_f64_e64 v[50:51], v[18:19], -v[48:49]
	v_add_f64_e64 v[18:19], v[48:49], -v[52:53]
	s_delay_alu instid0(VALU_DEP_2) | instskip(SKIP_1) | instid1(VALU_DEP_2)
	v_add_f64_e32 v[48:49], v[50:51], v[44:45]
	v_fmamk_f64 v[44:45], v[46:47], 0x3c91a62633145c00, v[44:45]
	v_add_f64_e32 v[18:19], v[18:19], v[48:49]
	s_delay_alu instid0(VALU_DEP_1) | instskip(NEXT) | instid1(VALU_DEP_1)
	v_add_f64_e64 v[44:45], v[18:19], -v[44:45]
	v_fmac_f64_e32 v[44:45], 0xb97b839a252049c0, v[46:47]
	s_delay_alu instid0(VALU_DEP_1) | instskip(NEXT) | instid1(VALU_DEP_1)
	v_add_f64_e32 v[18:19], v[52:53], v[44:45]
	v_add_f64_e64 v[48:49], v[18:19], -v[52:53]
	s_delay_alu instid0(VALU_DEP_1)
	v_add_f64_e64 v[44:45], v[44:45], -v[48:49]
.LBB93_258:                             ;   in Loop: Header=BB93_161 Depth=1
	s_or_b32 exec_lo, exec_lo, s36
                                        ; implicit-def: $vgpr50
                                        ; implicit-def: $vgpr46_vgpr47
                                        ; implicit-def: $vgpr48_vgpr49
	s_and_saveexec_b32 s36, s35
	s_delay_alu instid0(SALU_CYCLE_1)
	s_xor_b32 s35, exec_lo, s36
	s_cbranch_execz .LBB93_260
; %bb.259:                              ;   in Loop: Header=BB93_161 Depth=1
	v_ldexp_f64 v[46:47], |v[14:15]|, 0xffffff80
	v_cmp_le_f64_e64 vcc_lo, 0x7b000000, |v[14:15]|
	v_trig_preop_f64 v[48:49], |v[14:15]|, 0
	v_and_b32_e32 v27, 0x7fffffff, v15
	v_trig_preop_f64 v[50:51], |v[14:15]|, 1
	v_trig_preop_f64 v[60:61], |v[14:15]|, 2
	s_delay_alu instid0(VALU_DEP_3) | instskip(NEXT) | instid1(VALU_DEP_1)
	v_dual_cndmask_b32 v47, v27, v47 :: v_dual_cndmask_b32 v46, v14, v46
	v_mul_f64_e32 v[52:53], v[48:49], v[46:47]
	s_delay_alu instid0(VALU_DEP_4) | instskip(NEXT) | instid1(VALU_DEP_4)
	v_mul_f64_e32 v[54:55], v[50:51], v[46:47]
	v_mul_f64_e32 v[66:67], v[60:61], v[46:47]
	s_delay_alu instid0(VALU_DEP_3) | instskip(NEXT) | instid1(VALU_DEP_3)
	v_fma_f64 v[48:49], v[48:49], v[46:47], -v[52:53]
	v_fma_f64 v[50:51], v[50:51], v[46:47], -v[54:55]
	s_delay_alu instid0(VALU_DEP_3) | instskip(NEXT) | instid1(VALU_DEP_3)
	v_fma_f64 v[46:47], v[60:61], v[46:47], -v[66:67]
	v_add_f64_e32 v[56:57], v[54:55], v[48:49]
	s_delay_alu instid0(VALU_DEP_1) | instskip(SKIP_1) | instid1(VALU_DEP_2)
	v_add_f64_e64 v[58:59], v[56:57], -v[54:55]
	v_add_f64_e32 v[64:65], v[52:53], v[56:57]
	v_add_f64_e64 v[62:63], v[56:57], -v[58:59]
	v_add_f64_e64 v[48:49], v[48:49], -v[58:59]
	s_delay_alu instid0(VALU_DEP_3) | instskip(NEXT) | instid1(VALU_DEP_3)
	v_ldexp_f64 v[58:59], v[64:65], -2
	v_add_f64_e64 v[54:55], v[54:55], -v[62:63]
	v_add_f64_e32 v[62:63], v[66:67], v[50:51]
	s_delay_alu instid0(VALU_DEP_3) | instskip(NEXT) | instid1(VALU_DEP_3)
	v_cmp_neq_f64_e64 vcc_lo, 0x7ff00000, |v[58:59]|
	v_add_f64_e32 v[48:49], v[48:49], v[54:55]
	v_fract_f64_e32 v[54:55], v[58:59]
	s_delay_alu instid0(VALU_DEP_1) | instskip(NEXT) | instid1(VALU_DEP_1)
	v_ldexp_f64 v[54:55], v[54:55], 2
	v_dual_add_f64 v[52:53], v[64:65], -v[52:53] :: v_dual_cndmask_b32 v54, 0, v54, vcc_lo
	s_delay_alu instid0(VALU_DEP_1) | instskip(SKIP_1) | instid1(VALU_DEP_1)
	v_dual_add_f64 v[52:53], v[56:57], -v[52:53] :: v_dual_cndmask_b32 v55, 0, v55, vcc_lo
	v_add_f64_e32 v[56:57], v[62:63], v[48:49]
	v_add_f64_e32 v[58:59], v[52:53], v[56:57]
	v_add_f64_e64 v[68:69], v[56:57], -v[62:63]
	s_delay_alu instid0(VALU_DEP_2) | instskip(NEXT) | instid1(VALU_DEP_2)
	v_add_f64_e32 v[64:65], v[58:59], v[54:55]
	v_add_f64_e64 v[74:75], v[56:57], -v[68:69]
	v_add_f64_e64 v[48:49], v[48:49], -v[68:69]
	;; [unrolled: 1-line block ×3, first 2 shown]
	s_delay_alu instid0(VALU_DEP_4) | instskip(SKIP_2) | instid1(VALU_DEP_2)
	v_cmp_gt_f64_e32 vcc_lo, 0, v[64:65]
	v_add_f64_e64 v[64:65], v[62:63], -v[66:67]
	v_cndmask_b32_e64 v27, 0, 0x40100000, vcc_lo
	v_add_f64_e64 v[72:73], v[62:63], -v[64:65]
	v_add_f64_e64 v[50:51], v[50:51], -v[64:65]
	;; [unrolled: 1-line block ×3, first 2 shown]
	s_delay_alu instid0(VALU_DEP_4) | instskip(NEXT) | instid1(VALU_DEP_4)
	v_add_f64_e32 v[54:55], v[54:55], v[26:27]
	v_add_f64_e64 v[64:65], v[66:67], -v[72:73]
	s_delay_alu instid0(VALU_DEP_3) | instskip(NEXT) | instid1(VALU_DEP_3)
	v_add_f64_e32 v[48:49], v[48:49], v[62:63]
	v_add_f64_e32 v[70:71], v[58:59], v[54:55]
	s_delay_alu instid0(VALU_DEP_3) | instskip(NEXT) | instid1(VALU_DEP_2)
	v_add_f64_e32 v[50:51], v[50:51], v[64:65]
	v_cvt_i32_f64_e32 v27, v[70:71]
	s_delay_alu instid0(VALU_DEP_2) | instskip(SKIP_1) | instid1(VALU_DEP_3)
	v_add_f64_e32 v[48:49], v[50:51], v[48:49]
	v_add_f64_e64 v[50:51], v[56:57], -v[52:53]
	v_cvt_f64_i32_e32 v[68:69], v27
	s_delay_alu instid0(VALU_DEP_3) | instskip(NEXT) | instid1(VALU_DEP_2)
	v_add_f64_e32 v[46:47], v[46:47], v[48:49]
	v_add_f64_e64 v[54:55], v[54:55], -v[68:69]
	s_delay_alu instid0(VALU_DEP_2) | instskip(NEXT) | instid1(VALU_DEP_2)
	v_add_f64_e32 v[46:47], v[50:51], v[46:47]
	v_add_f64_e32 v[60:61], v[58:59], v[54:55]
	s_delay_alu instid0(VALU_DEP_1) | instskip(SKIP_1) | instid1(VALU_DEP_2)
	v_add_f64_e64 v[48:49], v[60:61], -v[54:55]
	v_cmp_le_f64_e32 vcc_lo, 0.5, v[60:61]
	v_add_f64_e64 v[48:49], v[58:59], -v[48:49]
	v_add_co_ci_u32_e64 v50, null, 0, v27, vcc_lo
	v_cndmask_b32_e64 v27, 0, 0x3ff00000, vcc_lo
	s_delay_alu instid0(VALU_DEP_3) | instskip(NEXT) | instid1(VALU_DEP_2)
	v_add_f64_e32 v[46:47], v[46:47], v[48:49]
	v_add_f64_e64 v[48:49], v[60:61], -v[26:27]
	s_delay_alu instid0(VALU_DEP_1) | instskip(NEXT) | instid1(VALU_DEP_1)
	v_add_f64_e32 v[52:53], v[48:49], v[46:47]
	v_mul_f64_e32 v[54:55], 0x3ff921fb54442d18, v[52:53]
	v_add_f64_e64 v[48:49], v[52:53], -v[48:49]
	s_delay_alu instid0(VALU_DEP_2) | instskip(NEXT) | instid1(VALU_DEP_2)
	v_fma_f64 v[56:57], v[52:53], s[12:13], -v[54:55]
	v_add_f64_e64 v[46:47], v[46:47], -v[48:49]
	s_delay_alu instid0(VALU_DEP_2) | instskip(NEXT) | instid1(VALU_DEP_1)
	v_fmac_f64_e32 v[56:57], 0x3c91a62633145c07, v[52:53]
	v_fmac_f64_e32 v[56:57], 0x3ff921fb54442d18, v[46:47]
	s_delay_alu instid0(VALU_DEP_1) | instskip(NEXT) | instid1(VALU_DEP_1)
	v_add_f64_e32 v[46:47], v[54:55], v[56:57]
	v_add_f64_e64 v[48:49], v[46:47], -v[54:55]
	s_delay_alu instid0(VALU_DEP_1)
	v_add_f64_e64 v[48:49], v[56:57], -v[48:49]
	s_and_not1_saveexec_b32 s35, s35
	s_cbranch_execnz .LBB93_261
	s_branch .LBB93_262
.LBB93_260:                             ;   in Loop: Header=BB93_161 Depth=1
	s_and_not1_saveexec_b32 s35, s35
	s_cbranch_execz .LBB93_262
.LBB93_261:                             ;   in Loop: Header=BB93_161 Depth=1
	v_mul_f64_e64 v[46:47], |v[14:15]|, s[14:15]
	s_delay_alu instid0(VALU_DEP_1) | instskip(NEXT) | instid1(VALU_DEP_1)
	v_rndne_f64_e32 v[50:51], v[46:47]
	v_fma_f64 v[46:47], v[50:51], s[16:17], |v[14:15]|
	v_mul_f64_e32 v[48:49], 0xbc91a62633145c00, v[50:51]
	s_delay_alu instid0(VALU_DEP_2) | instskip(NEXT) | instid1(VALU_DEP_2)
	v_fmamk_f64 v[56:57], v[50:51], 0xbc91a62633145c00, v[46:47]
	v_add_f64_e32 v[52:53], v[46:47], v[48:49]
	s_delay_alu instid0(VALU_DEP_1) | instskip(NEXT) | instid1(VALU_DEP_3)
	v_add_f64_e64 v[54:55], v[46:47], -v[52:53]
	v_add_f64_e64 v[46:47], v[52:53], -v[56:57]
	s_delay_alu instid0(VALU_DEP_2) | instskip(SKIP_1) | instid1(VALU_DEP_2)
	v_add_f64_e32 v[52:53], v[54:55], v[48:49]
	v_fmamk_f64 v[48:49], v[50:51], 0x3c91a62633145c00, v[48:49]
	v_add_f64_e32 v[46:47], v[46:47], v[52:53]
	s_delay_alu instid0(VALU_DEP_1) | instskip(NEXT) | instid1(VALU_DEP_1)
	v_add_f64_e64 v[48:49], v[46:47], -v[48:49]
	v_fmac_f64_e32 v[48:49], 0xb97b839a252049c0, v[50:51]
	v_cvt_i32_f64_e32 v50, v[50:51]
	s_delay_alu instid0(VALU_DEP_2) | instskip(NEXT) | instid1(VALU_DEP_1)
	v_add_f64_e32 v[46:47], v[56:57], v[48:49]
	v_add_f64_e64 v[52:53], v[46:47], -v[56:57]
	s_delay_alu instid0(VALU_DEP_1)
	v_add_f64_e64 v[48:49], v[48:49], -v[52:53]
.LBB93_262:                             ;   in Loop: Header=BB93_161 Depth=1
	s_or_b32 exec_lo, exec_lo, s35
	v_dual_mul_f64 v[52:53], v[18:19], v[18:19] :: v_dual_bitop2_b32 v14, 1, v20 bitop3:0x40
	v_dual_mul_f64 v[54:55], v[46:47], v[46:47] :: v_dual_lshlrev_b32 v20, 30, v20
	s_delay_alu instid0(VALU_DEP_3) | instskip(SKIP_1) | instid1(VALU_DEP_4)
	v_mul_f64_e32 v[76:77], 0.5, v[48:49]
	v_mul_f64_e64 v[58:59], |v[16:17]|, s[26:27]
	v_cmp_eq_u32_e32 vcc_lo, 0, v14
	s_delay_alu instid0(VALU_DEP_4)
	v_dual_mul_f64 v[64:65], 0.5, v[44:45] :: v_dual_bitop2_b32 v15, v20, v15 bitop3:0x14
	v_mul_f64_e64 v[66:67], v[18:19], -v[52:53]
	v_mul_f64_e32 v[56:57], 0.5, v[52:53]
	v_fmamk_f64 v[72:73], v[52:53], 0x3de5e0b2f9a43bb8, v[34:35]
	v_mul_f64_e64 v[78:79], v[46:47], -v[54:55]
	v_fmamk_f64 v[80:81], v[54:55], 0x3de5e0b2f9a43bb8, v[34:35]
	v_rndne_f64_e32 v[58:59], v[58:59]
	s_delay_alu instid0(VALU_DEP_4) | instskip(NEXT) | instid1(VALU_DEP_1)
	v_fmaak_f64 v[72:73], v[52:53], v[72:73], 0x3ec71de3796cde01
	v_fmaak_f64 v[72:73], v[52:53], v[72:73], 0xbf2a01a019e83e5c
	s_delay_alu instid0(VALU_DEP_1) | instskip(NEXT) | instid1(VALU_DEP_1)
	v_fmaak_f64 v[72:73], v[52:53], v[72:73], 0x3f81111111110bb3
	v_fmac_f64_e32 v[64:65], v[66:67], v[72:73]
	v_add_f64_e64 v[62:63], -v[56:57], 1.0
	v_fma_f64 v[74:75], v[58:59], s[18:19], -|v[16:17]|
	v_cvt_i32_f64_e32 v20, v[58:59]
	s_delay_alu instid0(VALU_DEP_4) | instskip(NEXT) | instid1(VALU_DEP_4)
	v_fma_f64 v[64:65], v[52:53], v[64:65], -v[44:45]
	v_add_f64_e64 v[70:71], -v[62:63], 1.0
	s_delay_alu instid0(VALU_DEP_4) | instskip(NEXT) | instid1(VALU_DEP_3)
	v_fmac_f64_e32 v[74:75], 0xbc7abc9e3b39803f, v[58:59]
	v_fmac_f64_e32 v[64:65], 0xbfc5555555555555, v[66:67]
	s_delay_alu instid0(VALU_DEP_3) | instskip(SKIP_2) | instid1(VALU_DEP_2)
	v_add_f64_e64 v[56:57], v[70:71], -v[56:57]
	v_fmaak_f64 v[70:71], v[54:55], v[80:81], 0x3ec71de3796cde01
	v_fmamk_f64 v[80:81], v[52:53], 0xbda907db46cc5e42, v[32:33]
	v_fmaak_f64 v[70:71], v[54:55], v[70:71], 0xbf2a01a019e83e5c
	s_delay_alu instid0(VALU_DEP_1) | instskip(NEXT) | instid1(VALU_DEP_1)
	v_fmaak_f64 v[70:71], v[54:55], v[70:71], 0x3f81111111110bb3
	v_fmac_f64_e32 v[76:77], v[78:79], v[70:71]
	v_mul_f64_e32 v[70:71], v[52:53], v[52:53]
	v_fma_f64 v[44:45], v[18:19], -v[44:45], v[56:57]
	v_fmaak_f64 v[56:57], v[52:53], v[80:81], 0xbe927e4fa17f65f6
	v_add_f64_e64 v[18:19], v[18:19], -v[64:65]
	v_mul_f64_e32 v[80:81], v[54:55], v[54:55]
	s_delay_alu instid0(VALU_DEP_3) | instskip(NEXT) | instid1(VALU_DEP_1)
	v_fmaak_f64 v[56:57], v[52:53], v[56:57], 0x3efa01a019f4ec90
	v_fmaak_f64 v[56:57], v[52:53], v[56:57], 0xbf56c16c16c16967
	s_delay_alu instid0(VALU_DEP_1) | instskip(NEXT) | instid1(VALU_DEP_1)
	v_fmaak_f64 v[52:53], v[52:53], v[56:57], 0x3fa5555555555555
	v_fmac_f64_e32 v[44:45], v[70:71], v[52:53]
	s_delay_alu instid0(VALU_DEP_1) | instskip(NEXT) | instid1(VALU_DEP_1)
	v_add_f64_e32 v[44:45], v[62:63], v[44:45]
	v_dual_cndmask_b32 v27, v45, v19 :: v_dual_cndmask_b32 v14, v44, v18
	s_delay_alu instid0(VALU_DEP_1) | instskip(SKIP_1) | instid1(VALU_DEP_2)
	v_bitop3_b32 v15, v27, v15, 0x80000000 bitop3:0x78
	v_and_b32_e32 v27, 1, v50
	v_mul_f64_e32 v[14:15], 4.0, v[14:15]
	s_delay_alu instid0(VALU_DEP_2) | instskip(SKIP_1) | instid1(VALU_DEP_1)
	v_cmp_eq_u32_e32 vcc_lo, 0, v27
	v_mul_f64_e32 v[60:61], 0.5, v[54:55]
	v_add_f64_e64 v[68:69], -v[60:61], 1.0
	s_delay_alu instid0(VALU_DEP_1) | instskip(NEXT) | instid1(VALU_DEP_1)
	v_add_f64_e64 v[72:73], -v[68:69], 1.0
	v_add_f64_e64 v[60:61], v[72:73], -v[60:61]
	v_fmamk_f64 v[72:73], v[74:75], 0x3e5ade156a5dcb37, v[30:31]
	s_delay_alu instid0(VALU_DEP_1) | instskip(NEXT) | instid1(VALU_DEP_1)
	v_fmaak_f64 v[72:73], v[74:75], v[72:73], 0x3ec71dee623fde64
	v_fmaak_f64 v[72:73], v[74:75], v[72:73], 0x3efa01997c89e6b0
	s_delay_alu instid0(VALU_DEP_1) | instskip(SKIP_2) | instid1(VALU_DEP_3)
	v_fmaak_f64 v[56:57], v[74:75], v[72:73], 0x3f2a01a014761f6e
	v_fma_f64 v[72:73], v[54:55], v[76:77], -v[48:49]
	v_fmamk_f64 v[76:77], v[54:55], 0xbda907db46cc5e42, v[32:33]
	v_fmaak_f64 v[52:53], v[74:75], v[56:57], 0x3f56c16c1852b7b0
	s_delay_alu instid0(VALU_DEP_2) | instskip(SKIP_1) | instid1(VALU_DEP_3)
	v_fmaak_f64 v[56:57], v[54:55], v[76:77], 0xbe927e4fa17f65f6
	v_fma_f64 v[48:49], v[46:47], -v[48:49], v[60:61]
	v_fmaak_f64 v[52:53], v[74:75], v[52:53], 0x3f81111111122322
	s_delay_alu instid0(VALU_DEP_3) | instskip(NEXT) | instid1(VALU_DEP_2)
	v_fmaak_f64 v[56:57], v[54:55], v[56:57], 0x3efa01a019f4ec90
	v_fmaak_f64 v[52:53], v[74:75], v[52:53], 0x3fa55555555502a1
	s_delay_alu instid0(VALU_DEP_2) | instskip(NEXT) | instid1(VALU_DEP_2)
	v_fmaak_f64 v[56:57], v[54:55], v[56:57], 0xbf56c16c16c16967
	v_fmaak_f64 v[52:53], v[74:75], v[52:53], 0x3fc5555555555511
	s_delay_alu instid0(VALU_DEP_2) | instskip(SKIP_1) | instid1(VALU_DEP_3)
	v_fmaak_f64 v[54:55], v[54:55], v[56:57], 0x3fa5555555555555
	v_fmac_f64_e32 v[72:73], 0xbfc5555555555555, v[78:79]
	v_fmaak_f64 v[52:53], v[74:75], v[52:53], 0x3fe000000000000b
	s_delay_alu instid0(VALU_DEP_1) | instskip(NEXT) | instid1(VALU_DEP_4)
	v_fma_f64 v[52:53], v[74:75], v[52:53], 1.0
	v_fmac_f64_e32 v[48:49], v[80:81], v[54:55]
	s_delay_alu instid0(VALU_DEP_4) | instskip(NEXT) | instid1(VALU_DEP_3)
	v_add_f64_e64 v[46:47], v[46:47], -v[72:73]
	v_fma_f64 v[18:19], v[74:75], v[52:53], 1.0
	s_delay_alu instid0(VALU_DEP_3) | instskip(NEXT) | instid1(VALU_DEP_3)
	v_add_f64_e32 v[48:49], v[68:69], v[48:49]
	v_xor_b32_e32 v45, 0x80000000, v47
	s_delay_alu instid0(VALU_DEP_3) | instskip(NEXT) | instid1(VALU_DEP_2)
	v_ldexp_f64 v[18:19], v[18:19], v20
	v_dual_cndmask_b32 v27, v45, v49, vcc_lo :: v_dual_lshlrev_b32 v45, 30, v50
	s_delay_alu instid0(VALU_DEP_4) | instskip(SKIP_1) | instid1(VALU_DEP_3)
	v_cndmask_b32_e32 v44, v46, v48, vcc_lo
	v_cmp_nlt_f64_e64 vcc_lo, 0x4090cc00, |v[16:17]|
	v_bitop3_b32 v45, v27, v45, 0x80000000 bitop3:0x78
	v_bfi_b32 v27, 0x7fffffff, s33, v21
	s_delay_alu instid0(VALU_DEP_2) | instskip(NEXT) | instid1(VALU_DEP_2)
	v_mul_f64_e32 v[14:15], v[14:15], v[44:45]
	v_mov_b64_e32 v[20:21], v[26:27]
	v_dual_cndmask_b32 v17, 0, v19 :: v_dual_cndmask_b32 v16, 0, v18
	s_delay_alu instid0(VALU_DEP_1) | instskip(NEXT) | instid1(VALU_DEP_1)
	v_mul_f64_e32 v[14:15], v[16:17], v[14:15]
	v_mul_f64_e32 v[18:19], v[16:17], v[14:15]
.LBB93_263:                             ;   in Loop: Header=BB93_161 Depth=1
	s_or_b32 exec_lo, exec_lo, s4
                                        ; implicit-def: $vgpr14_vgpr15
.LBB93_264:                             ;   in Loop: Header=BB93_161 Depth=1
	s_and_not1_saveexec_b32 s4, s34
	s_cbranch_execz .LBB93_266
; %bb.265:                              ;   in Loop: Header=BB93_161 Depth=1
	v_add_f64_e64 v[18:19], v[14:15], -v[14:15]
	s_delay_alu instid0(VALU_DEP_1)
	v_mov_b64_e32 v[20:21], v[18:19]
.LBB93_266:                             ;   in Loop: Header=BB93_161 Depth=1
	s_or_b32 exec_lo, exec_lo, s4
                                        ; implicit-def: $vgpr14_vgpr15
.LBB93_267:                             ;   in Loop: Header=BB93_161 Depth=1
	s_and_not1_saveexec_b32 s34, s5
	s_cbranch_execz .LBB93_283
; %bb.268:                              ;   in Loop: Header=BB93_161 Depth=1
	s_delay_alu instid0(VALU_DEP_1) | instskip(SKIP_1) | instid1(VALU_DEP_1)
	v_and_or_b32 v18, 0xfffff, v21, v20
	s_mov_b32 s4, exec_lo
	v_cmpx_ne_u32_e32 0, v18
	s_xor_b32 s4, exec_lo, s4
	s_cbranch_execz .LBB93_270
; %bb.269:                              ;   in Loop: Header=BB93_161 Depth=1
	v_mul_f64_e64 v[16:17], v[14:15], -v[16:17]
	v_cmp_eq_f64_e32 vcc_lo, 0, v[14:15]
	s_delay_alu instid0(VALU_DEP_2)
	v_dual_cndmask_b32 v19, v17, v15 :: v_dual_cndmask_b32 v18, v16, v14
                                        ; implicit-def: $vgpr14_vgpr15
.LBB93_270:                             ;   in Loop: Header=BB93_161 Depth=1
	s_and_not1_saveexec_b32 s35, s4
	s_cbranch_execz .LBB93_282
; %bb.271:                              ;   in Loop: Header=BB93_161 Depth=1
	s_mov_b32 s36, exec_lo
	v_cmpx_neq_f64_e64 0x7ff00000, |v[14:15]|
	s_cbranch_execz .LBB93_281
; %bb.272:                              ;   in Loop: Header=BB93_161 Depth=1
	v_cmp_ngt_f64_e64 s4, 0x41d00000, |v[14:15]|
                                        ; implicit-def: $vgpr48
                                        ; implicit-def: $vgpr16_vgpr17
                                        ; implicit-def: $vgpr18_vgpr19
	s_and_saveexec_b32 s5, s4
	s_delay_alu instid0(SALU_CYCLE_1)
	s_xor_b32 s5, exec_lo, s5
	s_cbranch_execz .LBB93_274
; %bb.273:                              ;   in Loop: Header=BB93_161 Depth=1
	v_ldexp_f64 v[16:17], |v[14:15]|, 0xffffff80
	v_cmp_le_f64_e64 vcc_lo, 0x7b000000, |v[14:15]|
	v_trig_preop_f64 v[18:19], |v[14:15]|, 0
	v_and_b32_e32 v27, 0x7fffffff, v15
	v_trig_preop_f64 v[44:45], |v[14:15]|, 1
	v_trig_preop_f64 v[54:55], |v[14:15]|, 2
	s_delay_alu instid0(VALU_DEP_3) | instskip(NEXT) | instid1(VALU_DEP_1)
	v_dual_cndmask_b32 v17, v27, v17 :: v_dual_cndmask_b32 v16, v14, v16
	v_mul_f64_e32 v[46:47], v[18:19], v[16:17]
	s_delay_alu instid0(VALU_DEP_4) | instskip(NEXT) | instid1(VALU_DEP_4)
	v_mul_f64_e32 v[48:49], v[44:45], v[16:17]
	v_mul_f64_e32 v[60:61], v[54:55], v[16:17]
	s_delay_alu instid0(VALU_DEP_3) | instskip(NEXT) | instid1(VALU_DEP_3)
	v_fma_f64 v[18:19], v[18:19], v[16:17], -v[46:47]
	v_fma_f64 v[44:45], v[44:45], v[16:17], -v[48:49]
	s_delay_alu instid0(VALU_DEP_3) | instskip(NEXT) | instid1(VALU_DEP_3)
	v_fma_f64 v[16:17], v[54:55], v[16:17], -v[60:61]
	v_add_f64_e32 v[50:51], v[48:49], v[18:19]
	s_delay_alu instid0(VALU_DEP_1) | instskip(SKIP_1) | instid1(VALU_DEP_2)
	v_add_f64_e64 v[52:53], v[50:51], -v[48:49]
	v_add_f64_e32 v[58:59], v[46:47], v[50:51]
	v_add_f64_e64 v[56:57], v[50:51], -v[52:53]
	v_add_f64_e64 v[18:19], v[18:19], -v[52:53]
	s_delay_alu instid0(VALU_DEP_3) | instskip(NEXT) | instid1(VALU_DEP_3)
	v_ldexp_f64 v[52:53], v[58:59], -2
	v_add_f64_e64 v[48:49], v[48:49], -v[56:57]
	v_add_f64_e32 v[56:57], v[60:61], v[44:45]
	s_delay_alu instid0(VALU_DEP_3) | instskip(NEXT) | instid1(VALU_DEP_3)
	v_cmp_neq_f64_e64 vcc_lo, 0x7ff00000, |v[52:53]|
	v_add_f64_e32 v[18:19], v[18:19], v[48:49]
	v_fract_f64_e32 v[48:49], v[52:53]
	s_delay_alu instid0(VALU_DEP_1) | instskip(NEXT) | instid1(VALU_DEP_1)
	v_ldexp_f64 v[48:49], v[48:49], 2
	v_dual_add_f64 v[46:47], v[58:59], -v[46:47] :: v_dual_cndmask_b32 v48, 0, v48, vcc_lo
	s_delay_alu instid0(VALU_DEP_1) | instskip(SKIP_1) | instid1(VALU_DEP_1)
	v_dual_add_f64 v[46:47], v[50:51], -v[46:47] :: v_dual_cndmask_b32 v49, 0, v49, vcc_lo
	v_add_f64_e32 v[50:51], v[56:57], v[18:19]
	v_add_f64_e32 v[52:53], v[46:47], v[50:51]
	v_add_f64_e64 v[62:63], v[50:51], -v[56:57]
	s_delay_alu instid0(VALU_DEP_2) | instskip(NEXT) | instid1(VALU_DEP_2)
	v_add_f64_e32 v[58:59], v[52:53], v[48:49]
	v_add_f64_e64 v[68:69], v[50:51], -v[62:63]
	v_add_f64_e64 v[18:19], v[18:19], -v[62:63]
	;; [unrolled: 1-line block ×3, first 2 shown]
	s_delay_alu instid0(VALU_DEP_4) | instskip(SKIP_1) | instid1(VALU_DEP_3)
	v_cmp_gt_f64_e32 vcc_lo, 0, v[58:59]
	v_add_f64_e64 v[58:59], v[56:57], -v[60:61]
	v_add_f64_e64 v[46:47], v[50:51], -v[46:47]
	v_cndmask_b32_e64 v27, 0, 0x40100000, vcc_lo
	s_delay_alu instid0(VALU_DEP_3) | instskip(SKIP_2) | instid1(VALU_DEP_4)
	v_add_f64_e64 v[66:67], v[56:57], -v[58:59]
	v_add_f64_e64 v[44:45], v[44:45], -v[58:59]
	;; [unrolled: 1-line block ×3, first 2 shown]
	v_add_f64_e32 v[48:49], v[48:49], v[26:27]
	s_delay_alu instid0(VALU_DEP_4) | instskip(NEXT) | instid1(VALU_DEP_3)
	v_add_f64_e64 v[58:59], v[60:61], -v[66:67]
	v_add_f64_e32 v[18:19], v[18:19], v[56:57]
	s_delay_alu instid0(VALU_DEP_3) | instskip(NEXT) | instid1(VALU_DEP_3)
	v_add_f64_e32 v[64:65], v[52:53], v[48:49]
	v_add_f64_e32 v[44:45], v[44:45], v[58:59]
	s_delay_alu instid0(VALU_DEP_2) | instskip(NEXT) | instid1(VALU_DEP_2)
	v_cvt_i32_f64_e32 v27, v[64:65]
	v_add_f64_e32 v[18:19], v[44:45], v[18:19]
	s_delay_alu instid0(VALU_DEP_2) | instskip(NEXT) | instid1(VALU_DEP_2)
	v_cvt_f64_i32_e32 v[62:63], v27
	v_add_f64_e32 v[16:17], v[16:17], v[18:19]
	s_delay_alu instid0(VALU_DEP_2) | instskip(NEXT) | instid1(VALU_DEP_2)
	v_add_f64_e64 v[48:49], v[48:49], -v[62:63]
	v_add_f64_e32 v[16:17], v[46:47], v[16:17]
	s_delay_alu instid0(VALU_DEP_2) | instskip(NEXT) | instid1(VALU_DEP_1)
	v_add_f64_e32 v[44:45], v[52:53], v[48:49]
	v_add_f64_e64 v[18:19], v[44:45], -v[48:49]
	v_cmp_le_f64_e32 vcc_lo, 0.5, v[44:45]
	s_delay_alu instid0(VALU_DEP_2) | instskip(SKIP_2) | instid1(VALU_DEP_3)
	v_add_f64_e64 v[18:19], v[52:53], -v[18:19]
	v_add_co_ci_u32_e64 v48, null, 0, v27, vcc_lo
	v_cndmask_b32_e64 v27, 0, 0x3ff00000, vcc_lo
	v_add_f64_e32 v[16:17], v[16:17], v[18:19]
	s_delay_alu instid0(VALU_DEP_2) | instskip(NEXT) | instid1(VALU_DEP_1)
	v_add_f64_e64 v[18:19], v[44:45], -v[26:27]
	v_add_f64_e32 v[44:45], v[18:19], v[16:17]
	s_delay_alu instid0(VALU_DEP_1) | instskip(SKIP_1) | instid1(VALU_DEP_2)
	v_mul_f64_e32 v[46:47], 0x3ff921fb54442d18, v[44:45]
	v_add_f64_e64 v[18:19], v[44:45], -v[18:19]
	v_fma_f64 v[50:51], v[44:45], s[12:13], -v[46:47]
	s_delay_alu instid0(VALU_DEP_2) | instskip(NEXT) | instid1(VALU_DEP_2)
	v_add_f64_e64 v[16:17], v[16:17], -v[18:19]
	v_fmac_f64_e32 v[50:51], 0x3c91a62633145c07, v[44:45]
	s_delay_alu instid0(VALU_DEP_1) | instskip(NEXT) | instid1(VALU_DEP_1)
	v_fmac_f64_e32 v[50:51], 0x3ff921fb54442d18, v[16:17]
	v_add_f64_e32 v[16:17], v[46:47], v[50:51]
	s_delay_alu instid0(VALU_DEP_1) | instskip(NEXT) | instid1(VALU_DEP_1)
	v_add_f64_e64 v[18:19], v[16:17], -v[46:47]
	v_add_f64_e64 v[18:19], v[50:51], -v[18:19]
	s_and_not1_saveexec_b32 s5, s5
	s_cbranch_execz .LBB93_276
	s_branch .LBB93_275
.LBB93_274:                             ;   in Loop: Header=BB93_161 Depth=1
	s_and_not1_saveexec_b32 s5, s5
	s_cbranch_execz .LBB93_276
.LBB93_275:                             ;   in Loop: Header=BB93_161 Depth=1
	v_mul_f64_e64 v[16:17], |v[14:15]|, s[14:15]
	s_delay_alu instid0(VALU_DEP_1) | instskip(NEXT) | instid1(VALU_DEP_1)
	v_rndne_f64_e32 v[44:45], v[16:17]
	v_fma_f64 v[16:17], v[44:45], s[16:17], |v[14:15]|
	v_mul_f64_e32 v[18:19], 0xbc91a62633145c00, v[44:45]
	s_delay_alu instid0(VALU_DEP_2) | instskip(NEXT) | instid1(VALU_DEP_2)
	v_fmamk_f64 v[50:51], v[44:45], 0xbc91a62633145c00, v[16:17]
	v_add_f64_e32 v[46:47], v[16:17], v[18:19]
	s_delay_alu instid0(VALU_DEP_1) | instskip(NEXT) | instid1(VALU_DEP_3)
	v_add_f64_e64 v[48:49], v[16:17], -v[46:47]
	v_add_f64_e64 v[16:17], v[46:47], -v[50:51]
	s_delay_alu instid0(VALU_DEP_2) | instskip(SKIP_2) | instid1(VALU_DEP_3)
	v_add_f64_e32 v[46:47], v[48:49], v[18:19]
	v_fmamk_f64 v[18:19], v[44:45], 0x3c91a62633145c00, v[18:19]
	v_cvt_i32_f64_e32 v48, v[44:45]
	v_add_f64_e32 v[16:17], v[16:17], v[46:47]
	s_delay_alu instid0(VALU_DEP_1) | instskip(NEXT) | instid1(VALU_DEP_1)
	v_add_f64_e64 v[18:19], v[16:17], -v[18:19]
	v_fmac_f64_e32 v[18:19], 0xb97b839a252049c0, v[44:45]
	s_delay_alu instid0(VALU_DEP_1) | instskip(NEXT) | instid1(VALU_DEP_1)
	v_add_f64_e32 v[16:17], v[50:51], v[18:19]
	v_add_f64_e64 v[46:47], v[16:17], -v[50:51]
	s_delay_alu instid0(VALU_DEP_1)
	v_add_f64_e64 v[18:19], v[18:19], -v[46:47]
.LBB93_276:                             ;   in Loop: Header=BB93_161 Depth=1
	s_or_b32 exec_lo, exec_lo, s5
                                        ; implicit-def: $vgpr49
                                        ; implicit-def: $vgpr44_vgpr45
                                        ; implicit-def: $vgpr46_vgpr47
	s_and_saveexec_b32 s5, s4
	s_delay_alu instid0(SALU_CYCLE_1)
	s_xor_b32 s4, exec_lo, s5
	s_cbranch_execz .LBB93_278
; %bb.277:                              ;   in Loop: Header=BB93_161 Depth=1
	v_ldexp_f64 v[44:45], |v[14:15]|, 0xffffff80
	v_cmp_le_f64_e64 vcc_lo, 0x7b000000, |v[14:15]|
	v_trig_preop_f64 v[46:47], |v[14:15]|, 0
	v_and_b32_e32 v27, 0x7fffffff, v15
	v_trig_preop_f64 v[50:51], |v[14:15]|, 1
	v_trig_preop_f64 v[60:61], |v[14:15]|, 2
	s_delay_alu instid0(VALU_DEP_3) | instskip(NEXT) | instid1(VALU_DEP_1)
	v_dual_cndmask_b32 v45, v27, v45 :: v_dual_cndmask_b32 v44, v14, v44
	v_mul_f64_e32 v[52:53], v[46:47], v[44:45]
	s_delay_alu instid0(VALU_DEP_4) | instskip(NEXT) | instid1(VALU_DEP_4)
	v_mul_f64_e32 v[54:55], v[50:51], v[44:45]
	v_mul_f64_e32 v[66:67], v[60:61], v[44:45]
	s_delay_alu instid0(VALU_DEP_3) | instskip(NEXT) | instid1(VALU_DEP_3)
	v_fma_f64 v[46:47], v[46:47], v[44:45], -v[52:53]
	v_fma_f64 v[50:51], v[50:51], v[44:45], -v[54:55]
	s_delay_alu instid0(VALU_DEP_3) | instskip(NEXT) | instid1(VALU_DEP_3)
	v_fma_f64 v[44:45], v[60:61], v[44:45], -v[66:67]
	v_add_f64_e32 v[56:57], v[54:55], v[46:47]
	s_delay_alu instid0(VALU_DEP_1) | instskip(SKIP_1) | instid1(VALU_DEP_2)
	v_add_f64_e64 v[58:59], v[56:57], -v[54:55]
	v_add_f64_e32 v[64:65], v[52:53], v[56:57]
	v_add_f64_e64 v[62:63], v[56:57], -v[58:59]
	v_add_f64_e64 v[46:47], v[46:47], -v[58:59]
	s_delay_alu instid0(VALU_DEP_3) | instskip(NEXT) | instid1(VALU_DEP_3)
	v_ldexp_f64 v[58:59], v[64:65], -2
	v_add_f64_e64 v[54:55], v[54:55], -v[62:63]
	v_add_f64_e32 v[62:63], v[66:67], v[50:51]
	s_delay_alu instid0(VALU_DEP_3) | instskip(NEXT) | instid1(VALU_DEP_3)
	v_cmp_neq_f64_e64 vcc_lo, 0x7ff00000, |v[58:59]|
	v_add_f64_e32 v[46:47], v[46:47], v[54:55]
	v_fract_f64_e32 v[54:55], v[58:59]
	s_delay_alu instid0(VALU_DEP_1) | instskip(NEXT) | instid1(VALU_DEP_1)
	v_ldexp_f64 v[54:55], v[54:55], 2
	v_dual_add_f64 v[52:53], v[64:65], -v[52:53] :: v_dual_cndmask_b32 v55, 0, v55, vcc_lo
	s_delay_alu instid0(VALU_DEP_1) | instskip(SKIP_1) | instid1(VALU_DEP_1)
	v_dual_add_f64 v[52:53], v[56:57], -v[52:53] :: v_dual_cndmask_b32 v54, 0, v54, vcc_lo
	v_add_f64_e32 v[56:57], v[62:63], v[46:47]
	v_add_f64_e32 v[58:59], v[52:53], v[56:57]
	v_add_f64_e64 v[68:69], v[56:57], -v[62:63]
	s_delay_alu instid0(VALU_DEP_2) | instskip(NEXT) | instid1(VALU_DEP_2)
	v_add_f64_e32 v[64:65], v[58:59], v[54:55]
	v_add_f64_e64 v[74:75], v[56:57], -v[68:69]
	v_add_f64_e64 v[46:47], v[46:47], -v[68:69]
	;; [unrolled: 1-line block ×3, first 2 shown]
	s_delay_alu instid0(VALU_DEP_4) | instskip(SKIP_1) | instid1(VALU_DEP_3)
	v_cmp_gt_f64_e32 vcc_lo, 0, v[64:65]
	v_add_f64_e64 v[64:65], v[62:63], -v[66:67]
	v_add_f64_e64 v[52:53], v[56:57], -v[52:53]
	v_cndmask_b32_e64 v27, 0, 0x40100000, vcc_lo
	s_delay_alu instid0(VALU_DEP_3) | instskip(SKIP_2) | instid1(VALU_DEP_4)
	v_add_f64_e64 v[72:73], v[62:63], -v[64:65]
	v_add_f64_e64 v[50:51], v[50:51], -v[64:65]
	;; [unrolled: 1-line block ×3, first 2 shown]
	v_add_f64_e32 v[54:55], v[54:55], v[26:27]
	s_delay_alu instid0(VALU_DEP_4) | instskip(NEXT) | instid1(VALU_DEP_3)
	v_add_f64_e64 v[64:65], v[66:67], -v[72:73]
	v_add_f64_e32 v[46:47], v[46:47], v[62:63]
	s_delay_alu instid0(VALU_DEP_3) | instskip(NEXT) | instid1(VALU_DEP_3)
	v_add_f64_e32 v[70:71], v[58:59], v[54:55]
	v_add_f64_e32 v[50:51], v[50:51], v[64:65]
	s_delay_alu instid0(VALU_DEP_2) | instskip(NEXT) | instid1(VALU_DEP_2)
	v_cvt_i32_f64_e32 v27, v[70:71]
	v_add_f64_e32 v[46:47], v[50:51], v[46:47]
	s_delay_alu instid0(VALU_DEP_2) | instskip(NEXT) | instid1(VALU_DEP_2)
	v_cvt_f64_i32_e32 v[68:69], v27
	v_add_f64_e32 v[44:45], v[44:45], v[46:47]
	s_delay_alu instid0(VALU_DEP_2) | instskip(NEXT) | instid1(VALU_DEP_2)
	v_add_f64_e64 v[54:55], v[54:55], -v[68:69]
	v_add_f64_e32 v[44:45], v[52:53], v[44:45]
	s_delay_alu instid0(VALU_DEP_2) | instskip(NEXT) | instid1(VALU_DEP_1)
	v_add_f64_e32 v[50:51], v[58:59], v[54:55]
	v_add_f64_e64 v[46:47], v[50:51], -v[54:55]
	v_cmp_le_f64_e32 vcc_lo, 0.5, v[50:51]
	s_delay_alu instid0(VALU_DEP_2) | instskip(SKIP_2) | instid1(VALU_DEP_3)
	v_add_f64_e64 v[46:47], v[58:59], -v[46:47]
	v_add_co_ci_u32_e64 v49, null, 0, v27, vcc_lo
	v_cndmask_b32_e64 v27, 0, 0x3ff00000, vcc_lo
	v_add_f64_e32 v[44:45], v[44:45], v[46:47]
	s_delay_alu instid0(VALU_DEP_2) | instskip(NEXT) | instid1(VALU_DEP_1)
	v_add_f64_e64 v[46:47], v[50:51], -v[26:27]
	v_add_f64_e32 v[50:51], v[46:47], v[44:45]
	s_delay_alu instid0(VALU_DEP_1) | instskip(SKIP_1) | instid1(VALU_DEP_2)
	v_mul_f64_e32 v[52:53], 0x3ff921fb54442d18, v[50:51]
	v_add_f64_e64 v[46:47], v[50:51], -v[46:47]
	v_fma_f64 v[54:55], v[50:51], s[12:13], -v[52:53]
	s_delay_alu instid0(VALU_DEP_2) | instskip(NEXT) | instid1(VALU_DEP_2)
	v_add_f64_e64 v[44:45], v[44:45], -v[46:47]
	v_fmac_f64_e32 v[54:55], 0x3c91a62633145c07, v[50:51]
	s_delay_alu instid0(VALU_DEP_1) | instskip(NEXT) | instid1(VALU_DEP_1)
	v_fmac_f64_e32 v[54:55], 0x3ff921fb54442d18, v[44:45]
	v_add_f64_e32 v[44:45], v[52:53], v[54:55]
	s_delay_alu instid0(VALU_DEP_1) | instskip(NEXT) | instid1(VALU_DEP_1)
	v_add_f64_e64 v[46:47], v[44:45], -v[52:53]
	v_add_f64_e64 v[46:47], v[54:55], -v[46:47]
	s_and_not1_saveexec_b32 s4, s4
	s_cbranch_execnz .LBB93_279
	s_branch .LBB93_280
.LBB93_278:                             ;   in Loop: Header=BB93_161 Depth=1
	s_and_not1_saveexec_b32 s4, s4
	s_cbranch_execz .LBB93_280
.LBB93_279:                             ;   in Loop: Header=BB93_161 Depth=1
	v_mul_f64_e64 v[44:45], |v[14:15]|, s[14:15]
	s_delay_alu instid0(VALU_DEP_1) | instskip(NEXT) | instid1(VALU_DEP_1)
	v_rndne_f64_e32 v[50:51], v[44:45]
	v_fma_f64 v[44:45], v[50:51], s[16:17], |v[14:15]|
	v_mul_f64_e32 v[46:47], 0xbc91a62633145c00, v[50:51]
	v_cvt_i32_f64_e32 v49, v[50:51]
	s_delay_alu instid0(VALU_DEP_3) | instskip(NEXT) | instid1(VALU_DEP_3)
	v_fmamk_f64 v[56:57], v[50:51], 0xbc91a62633145c00, v[44:45]
	v_add_f64_e32 v[52:53], v[44:45], v[46:47]
	s_delay_alu instid0(VALU_DEP_1) | instskip(NEXT) | instid1(VALU_DEP_3)
	v_add_f64_e64 v[54:55], v[44:45], -v[52:53]
	v_add_f64_e64 v[44:45], v[52:53], -v[56:57]
	s_delay_alu instid0(VALU_DEP_2) | instskip(SKIP_1) | instid1(VALU_DEP_2)
	v_add_f64_e32 v[52:53], v[54:55], v[46:47]
	v_fmamk_f64 v[46:47], v[50:51], 0x3c91a62633145c00, v[46:47]
	v_add_f64_e32 v[44:45], v[44:45], v[52:53]
	s_delay_alu instid0(VALU_DEP_1) | instskip(NEXT) | instid1(VALU_DEP_1)
	v_add_f64_e64 v[46:47], v[44:45], -v[46:47]
	v_fmac_f64_e32 v[46:47], 0xb97b839a252049c0, v[50:51]
	s_delay_alu instid0(VALU_DEP_1) | instskip(NEXT) | instid1(VALU_DEP_1)
	v_add_f64_e32 v[44:45], v[56:57], v[46:47]
	v_add_f64_e64 v[52:53], v[44:45], -v[56:57]
	s_delay_alu instid0(VALU_DEP_1)
	v_add_f64_e64 v[46:47], v[46:47], -v[52:53]
.LBB93_280:                             ;   in Loop: Header=BB93_161 Depth=1
	s_or_b32 exec_lo, exec_lo, s4
	v_mul_f64_e32 v[50:51], v[16:17], v[16:17]
	v_cmp_class_f64_e64 s4, v[14:15], 0x1f8
	s_delay_alu instid0(VALU_DEP_3) | instskip(SKIP_1) | instid1(VALU_DEP_2)
	v_dual_mul_f64 v[70:71], 0.5, v[46:47] :: v_dual_bitop2_b32 v27, 1, v48 bitop3:0x40
	v_and_b32_e32 v14, 1, v49
	v_cmp_eq_u32_e32 vcc_lo, 0, v27
	s_delay_alu instid0(VALU_DEP_2)
	v_cmp_eq_u32_e64 s5, 0, v14
	v_mul_f64_e32 v[52:53], v[44:45], v[44:45]
	v_dual_mul_f64 v[62:63], 0.5, v[18:19] :: v_dual_lshlrev_b32 v14, 30, v49
	v_mul_f64_e32 v[54:55], 0.5, v[50:51]
	v_mul_f64_e64 v[64:65], v[16:17], -v[50:51]
	v_fmamk_f64 v[68:69], v[50:51], 0x3de5e0b2f9a43bb8, v[34:35]
	s_delay_alu instid0(VALU_DEP_1) | instskip(SKIP_3) | instid1(VALU_DEP_4)
	v_fmaak_f64 v[68:69], v[50:51], v[68:69], 0x3ec71de3796cde01
	v_mul_f64_e32 v[56:57], 0.5, v[52:53]
	v_mul_f64_e64 v[72:73], v[44:45], -v[52:53]
	v_fmamk_f64 v[74:75], v[52:53], 0x3de5e0b2f9a43bb8, v[34:35]
	v_fmaak_f64 v[68:69], v[50:51], v[68:69], 0xbf2a01a019e83e5c
	s_delay_alu instid0(VALU_DEP_2) | instskip(NEXT) | instid1(VALU_DEP_2)
	v_fmaak_f64 v[74:75], v[52:53], v[74:75], 0x3ec71de3796cde01
	v_fmaak_f64 v[68:69], v[50:51], v[68:69], 0x3f81111111110bb3
	v_add_f64_e64 v[58:59], -v[54:55], 1.0
	s_delay_alu instid0(VALU_DEP_2) | instskip(SKIP_2) | instid1(VALU_DEP_4)
	v_fmac_f64_e32 v[62:63], v[64:65], v[68:69]
	v_mul_f64_e32 v[68:69], v[50:51], v[50:51]
	v_add_f64_e64 v[60:61], -v[56:57], 1.0
	v_add_f64_e64 v[66:67], -v[58:59], 1.0
	s_delay_alu instid0(VALU_DEP_4) | instskip(NEXT) | instid1(VALU_DEP_3)
	v_fma_f64 v[62:63], v[50:51], v[62:63], -v[18:19]
	v_add_f64_e64 v[76:77], -v[60:61], 1.0
	s_delay_alu instid0(VALU_DEP_3) | instskip(SKIP_1) | instid1(VALU_DEP_4)
	v_add_f64_e64 v[54:55], v[66:67], -v[54:55]
	v_fmaak_f64 v[66:67], v[52:53], v[74:75], 0xbf2a01a019e83e5c
	v_fmac_f64_e32 v[62:63], 0xbfc5555555555555, v[64:65]
	v_mul_f64_e32 v[74:75], v[52:53], v[52:53]
	s_delay_alu instid0(VALU_DEP_3) | instskip(SKIP_1) | instid1(VALU_DEP_2)
	v_fmaak_f64 v[66:67], v[52:53], v[66:67], 0x3f81111111110bb3
	v_add_f64_e64 v[56:57], v[76:77], -v[56:57]
	v_fmac_f64_e32 v[70:71], v[72:73], v[66:67]
	v_fmamk_f64 v[66:67], v[50:51], 0xbda907db46cc5e42, v[32:33]
	v_fma_f64 v[18:19], v[16:17], -v[18:19], v[54:55]
	s_delay_alu instid0(VALU_DEP_2) | instskip(SKIP_1) | instid1(VALU_DEP_2)
	v_fmaak_f64 v[54:55], v[50:51], v[66:67], 0xbe927e4fa17f65f6
	v_add_f64_e64 v[16:17], v[16:17], -v[62:63]
	v_fmaak_f64 v[54:55], v[50:51], v[54:55], 0x3efa01a019f4ec90
	s_delay_alu instid0(VALU_DEP_1) | instskip(NEXT) | instid1(VALU_DEP_1)
	v_fmaak_f64 v[54:55], v[50:51], v[54:55], 0xbf56c16c16c16967
	v_fmaak_f64 v[50:51], v[50:51], v[54:55], 0x3fa5555555555555
	s_delay_alu instid0(VALU_DEP_1) | instskip(NEXT) | instid1(VALU_DEP_1)
	v_fmac_f64_e32 v[18:19], v[68:69], v[50:51]
	v_add_f64_e32 v[18:19], v[58:59], v[18:19]
	v_fma_f64 v[66:67], v[52:53], v[70:71], -v[46:47]
	v_fmamk_f64 v[70:71], v[52:53], 0xbda907db46cc5e42, v[32:33]
	v_fma_f64 v[46:47], v[44:45], -v[46:47], v[56:57]
	s_delay_alu instid0(VALU_DEP_2) | instskip(NEXT) | instid1(VALU_DEP_1)
	v_fmaak_f64 v[54:55], v[52:53], v[70:71], 0xbe927e4fa17f65f6
	v_fmaak_f64 v[50:51], v[52:53], v[54:55], 0x3efa01a019f4ec90
	s_delay_alu instid0(VALU_DEP_1) | instskip(NEXT) | instid1(VALU_DEP_1)
	v_fmaak_f64 v[50:51], v[52:53], v[50:51], 0xbf56c16c16c16967
	v_fmaak_f64 v[50:51], v[52:53], v[50:51], 0x3fa5555555555555
	v_cndmask_b32_e32 v17, v19, v17, vcc_lo
	v_fmac_f64_e32 v[66:67], 0xbfc5555555555555, v[72:73]
	v_cndmask_b32_e32 v16, v18, v16, vcc_lo
	v_lshlrev_b32_e32 v18, 30, v48
	v_fmac_f64_e32 v[46:47], v[74:75], v[50:51]
	s_delay_alu instid0(VALU_DEP_2) | instskip(NEXT) | instid1(VALU_DEP_1)
	v_xor_b32_e32 v15, v18, v15
	v_bitop3_b32 v15, v17, v15, 0x80000000 bitop3:0x78
	s_delay_alu instid0(VALU_DEP_1) | instskip(SKIP_2) | instid1(VALU_DEP_2)
	v_cndmask_b32_e64 v15, 0x7ff80000, v15, s4
	v_add_f64_e64 v[44:45], v[44:45], -v[66:67]
	v_add_f64_e32 v[46:47], v[60:61], v[46:47]
	v_xor_b32_e32 v27, 0x80000000, v45
	s_delay_alu instid0(VALU_DEP_1) | instskip(NEXT) | instid1(VALU_DEP_1)
	v_dual_cndmask_b32 v18, v44, v46, s5 :: v_dual_cndmask_b32 v19, v27, v47, s5
	v_bitop3_b32 v17, v19, v14, 0x80000000 bitop3:0x78
	s_delay_alu instid0(VALU_DEP_2) | instskip(NEXT) | instid1(VALU_DEP_2)
	v_dual_cndmask_b32 v14, 0, v16, s4 :: v_dual_cndmask_b32 v16, 0, v18, s4
	v_cndmask_b32_e64 v17, 0x7ff80000, v17, s4
	s_delay_alu instid0(VALU_DEP_1)
	v_mul_f64_e32 v[14:15], v[14:15], v[16:17]
.LBB93_281:                             ;   in Loop: Header=BB93_161 Depth=1
	s_or_b32 exec_lo, exec_lo, s36
	s_delay_alu instid0(VALU_DEP_1) | instskip(SKIP_1) | instid1(VALU_DEP_2)
	v_bfi_b32 v27, 0x7fffffff, 0, v15
	v_add_nc_u32_e32 v21, -2.0, v21
	v_mov_b64_e32 v[18:19], v[26:27]
.LBB93_282:                             ;   in Loop: Header=BB93_161 Depth=1
	s_or_b32 exec_lo, exec_lo, s35
.LBB93_283:                             ;   in Loop: Header=BB93_161 Depth=1
	s_delay_alu instid0(SALU_CYCLE_1) | instskip(SKIP_3) | instid1(VALU_DEP_2)
	s_or_b32 exec_lo, exec_lo, s34
	v_xor_b32_e32 v17, 0x80000000, v5
	v_mov_b32_e32 v16, v4
	s_mov_b32 s4, exec_lo
	v_and_b32_e32 v14, 0x7fffffff, v17
	s_delay_alu instid0(VALU_DEP_1)
	v_cmpx_gt_u32_e32 0x7ff00000, v14
	s_xor_b32 s5, exec_lo, s4
	s_cbranch_execz .LBB93_294
; %bb.284:                              ;   in Loop: Header=BB93_161 Depth=1
	v_cmp_class_f64_e64 s4, v[2:3], 0x1f8
	s_and_saveexec_b32 s34, s4
	s_delay_alu instid0(SALU_CYCLE_1)
	s_xor_b32 s34, exec_lo, s34
	s_cbranch_execz .LBB93_313
; %bb.285:                              ;   in Loop: Header=BB93_161 Depth=1
	s_mov_b32 s4, exec_lo
	v_cmpx_gt_u32_e32 0x40360000, v14
	s_xor_b32 s35, exec_lo, s4
	s_cbranch_execz .LBB93_291
; %bb.286:                              ;   in Loop: Header=BB93_161 Depth=1
	v_cmp_ngt_f64_e64 s4, 0x41d00000, |v[2:3]|
                                        ; implicit-def: $vgpr16
                                        ; implicit-def: $vgpr14_vgpr15
                                        ; implicit-def: $vgpr44_vgpr45
	s_and_saveexec_b32 s36, s4
	s_delay_alu instid0(SALU_CYCLE_1)
	s_xor_b32 s4, exec_lo, s36
	s_cbranch_execz .LBB93_288
; %bb.287:                              ;   in Loop: Header=BB93_161 Depth=1
	v_ldexp_f64 v[14:15], |v[2:3]|, 0xffffff80
	v_cmp_le_f64_e64 vcc_lo, 0x7b000000, |v[2:3]|
	v_trig_preop_f64 v[44:45], |v[2:3]|, 0
	v_and_b32_e32 v16, 0x7fffffff, v3
	v_trig_preop_f64 v[46:47], |v[2:3]|, 1
	v_trig_preop_f64 v[56:57], |v[2:3]|, 2
	s_delay_alu instid0(VALU_DEP_3) | instskip(NEXT) | instid1(VALU_DEP_1)
	v_dual_cndmask_b32 v15, v16, v15 :: v_dual_cndmask_b32 v14, v2, v14
	v_mul_f64_e32 v[48:49], v[44:45], v[14:15]
	s_delay_alu instid0(VALU_DEP_4) | instskip(NEXT) | instid1(VALU_DEP_4)
	v_mul_f64_e32 v[50:51], v[46:47], v[14:15]
	v_mul_f64_e32 v[62:63], v[56:57], v[14:15]
	s_delay_alu instid0(VALU_DEP_3) | instskip(NEXT) | instid1(VALU_DEP_3)
	v_fma_f64 v[44:45], v[44:45], v[14:15], -v[48:49]
	v_fma_f64 v[46:47], v[46:47], v[14:15], -v[50:51]
	s_delay_alu instid0(VALU_DEP_3) | instskip(NEXT) | instid1(VALU_DEP_3)
	v_fma_f64 v[14:15], v[56:57], v[14:15], -v[62:63]
	v_add_f64_e32 v[52:53], v[50:51], v[44:45]
	s_delay_alu instid0(VALU_DEP_1) | instskip(SKIP_1) | instid1(VALU_DEP_2)
	v_add_f64_e64 v[54:55], v[52:53], -v[50:51]
	v_add_f64_e32 v[60:61], v[48:49], v[52:53]
	v_add_f64_e64 v[58:59], v[52:53], -v[54:55]
	v_add_f64_e64 v[44:45], v[44:45], -v[54:55]
	s_delay_alu instid0(VALU_DEP_3) | instskip(NEXT) | instid1(VALU_DEP_3)
	v_ldexp_f64 v[54:55], v[60:61], -2
	v_add_f64_e64 v[50:51], v[50:51], -v[58:59]
	v_add_f64_e32 v[58:59], v[62:63], v[46:47]
	s_delay_alu instid0(VALU_DEP_3) | instskip(NEXT) | instid1(VALU_DEP_3)
	v_cmp_neq_f64_e64 vcc_lo, 0x7ff00000, |v[54:55]|
	v_add_f64_e32 v[44:45], v[44:45], v[50:51]
	v_fract_f64_e32 v[50:51], v[54:55]
	s_delay_alu instid0(VALU_DEP_1) | instskip(NEXT) | instid1(VALU_DEP_1)
	v_ldexp_f64 v[50:51], v[50:51], 2
	v_dual_add_f64 v[48:49], v[60:61], -v[48:49] :: v_dual_cndmask_b32 v50, 0, v50, vcc_lo
	s_delay_alu instid0(VALU_DEP_1) | instskip(SKIP_1) | instid1(VALU_DEP_1)
	v_dual_add_f64 v[48:49], v[52:53], -v[48:49] :: v_dual_cndmask_b32 v51, 0, v51, vcc_lo
	v_add_f64_e32 v[52:53], v[58:59], v[44:45]
	v_add_f64_e32 v[54:55], v[48:49], v[52:53]
	v_add_f64_e64 v[64:65], v[52:53], -v[58:59]
	s_delay_alu instid0(VALU_DEP_2) | instskip(NEXT) | instid1(VALU_DEP_2)
	v_add_f64_e32 v[60:61], v[54:55], v[50:51]
	v_add_f64_e64 v[70:71], v[52:53], -v[64:65]
	v_add_f64_e64 v[44:45], v[44:45], -v[64:65]
	;; [unrolled: 1-line block ×3, first 2 shown]
	s_delay_alu instid0(VALU_DEP_4) | instskip(SKIP_1) | instid1(VALU_DEP_3)
	v_cmp_gt_f64_e32 vcc_lo, 0, v[60:61]
	v_add_f64_e64 v[60:61], v[58:59], -v[62:63]
	v_add_f64_e64 v[48:49], v[52:53], -v[48:49]
	v_cndmask_b32_e64 v27, 0, 0x40100000, vcc_lo
	s_delay_alu instid0(VALU_DEP_3) | instskip(SKIP_2) | instid1(VALU_DEP_4)
	v_add_f64_e64 v[68:69], v[58:59], -v[60:61]
	v_add_f64_e64 v[46:47], v[46:47], -v[60:61]
	;; [unrolled: 1-line block ×3, first 2 shown]
	v_add_f64_e32 v[50:51], v[50:51], v[26:27]
	s_delay_alu instid0(VALU_DEP_4) | instskip(NEXT) | instid1(VALU_DEP_3)
	v_add_f64_e64 v[60:61], v[62:63], -v[68:69]
	v_add_f64_e32 v[44:45], v[44:45], v[58:59]
	s_delay_alu instid0(VALU_DEP_3) | instskip(NEXT) | instid1(VALU_DEP_3)
	v_add_f64_e32 v[66:67], v[54:55], v[50:51]
	v_add_f64_e32 v[46:47], v[46:47], v[60:61]
	s_delay_alu instid0(VALU_DEP_2) | instskip(NEXT) | instid1(VALU_DEP_2)
	v_cvt_i32_f64_e32 v16, v[66:67]
	v_add_f64_e32 v[44:45], v[46:47], v[44:45]
	s_delay_alu instid0(VALU_DEP_2) | instskip(NEXT) | instid1(VALU_DEP_2)
	v_cvt_f64_i32_e32 v[64:65], v16
	v_add_f64_e32 v[14:15], v[14:15], v[44:45]
	s_delay_alu instid0(VALU_DEP_2) | instskip(NEXT) | instid1(VALU_DEP_2)
	v_add_f64_e64 v[50:51], v[50:51], -v[64:65]
	v_add_f64_e32 v[14:15], v[48:49], v[14:15]
	s_delay_alu instid0(VALU_DEP_2) | instskip(NEXT) | instid1(VALU_DEP_1)
	v_add_f64_e32 v[46:47], v[54:55], v[50:51]
	v_add_f64_e64 v[44:45], v[46:47], -v[50:51]
	v_cmp_le_f64_e32 vcc_lo, 0.5, v[46:47]
	s_delay_alu instid0(VALU_DEP_2) | instskip(SKIP_2) | instid1(VALU_DEP_3)
	v_add_f64_e64 v[44:45], v[54:55], -v[44:45]
	v_cndmask_b32_e64 v27, 0, 0x3ff00000, vcc_lo
	v_add_co_ci_u32_e64 v16, null, 0, v16, vcc_lo
	v_add_f64_e32 v[14:15], v[14:15], v[44:45]
	s_delay_alu instid0(VALU_DEP_3) | instskip(NEXT) | instid1(VALU_DEP_1)
	v_add_f64_e64 v[44:45], v[46:47], -v[26:27]
	v_add_f64_e32 v[46:47], v[44:45], v[14:15]
	s_delay_alu instid0(VALU_DEP_1) | instskip(SKIP_1) | instid1(VALU_DEP_2)
	v_mul_f64_e32 v[48:49], 0x3ff921fb54442d18, v[46:47]
	v_add_f64_e64 v[44:45], v[46:47], -v[44:45]
	v_fma_f64 v[50:51], v[46:47], s[12:13], -v[48:49]
	s_delay_alu instid0(VALU_DEP_2) | instskip(NEXT) | instid1(VALU_DEP_2)
	v_add_f64_e64 v[14:15], v[14:15], -v[44:45]
	v_fmac_f64_e32 v[50:51], 0x3c91a62633145c07, v[46:47]
	s_delay_alu instid0(VALU_DEP_1) | instskip(NEXT) | instid1(VALU_DEP_1)
	v_fmac_f64_e32 v[50:51], 0x3ff921fb54442d18, v[14:15]
	v_add_f64_e32 v[14:15], v[48:49], v[50:51]
	s_delay_alu instid0(VALU_DEP_1) | instskip(NEXT) | instid1(VALU_DEP_1)
	v_add_f64_e64 v[44:45], v[14:15], -v[48:49]
	v_add_f64_e64 v[44:45], v[50:51], -v[44:45]
.LBB93_288:                             ;   in Loop: Header=BB93_161 Depth=1
	s_and_not1_saveexec_b32 s4, s4
	s_cbranch_execz .LBB93_290
; %bb.289:                              ;   in Loop: Header=BB93_161 Depth=1
	v_mul_f64_e64 v[14:15], |v[2:3]|, s[14:15]
	s_delay_alu instid0(VALU_DEP_1) | instskip(NEXT) | instid1(VALU_DEP_1)
	v_rndne_f64_e32 v[46:47], v[14:15]
	v_fma_f64 v[14:15], v[46:47], s[16:17], |v[2:3]|
	v_mul_f64_e32 v[44:45], 0xbc91a62633145c00, v[46:47]
	v_cvt_i32_f64_e32 v16, v[46:47]
	s_delay_alu instid0(VALU_DEP_3) | instskip(NEXT) | instid1(VALU_DEP_3)
	v_fmamk_f64 v[52:53], v[46:47], 0xbc91a62633145c00, v[14:15]
	v_add_f64_e32 v[48:49], v[14:15], v[44:45]
	s_delay_alu instid0(VALU_DEP_1) | instskip(NEXT) | instid1(VALU_DEP_3)
	v_add_f64_e64 v[50:51], v[14:15], -v[48:49]
	v_add_f64_e64 v[14:15], v[48:49], -v[52:53]
	s_delay_alu instid0(VALU_DEP_2) | instskip(SKIP_1) | instid1(VALU_DEP_2)
	v_add_f64_e32 v[48:49], v[50:51], v[44:45]
	v_fmamk_f64 v[44:45], v[46:47], 0x3c91a62633145c00, v[44:45]
	v_add_f64_e32 v[14:15], v[14:15], v[48:49]
	s_delay_alu instid0(VALU_DEP_1) | instskip(NEXT) | instid1(VALU_DEP_1)
	v_add_f64_e64 v[44:45], v[14:15], -v[44:45]
	v_fmac_f64_e32 v[44:45], 0xb97b839a252049c0, v[46:47]
	s_delay_alu instid0(VALU_DEP_1) | instskip(NEXT) | instid1(VALU_DEP_1)
	v_add_f64_e32 v[14:15], v[52:53], v[44:45]
	v_add_f64_e64 v[48:49], v[14:15], -v[52:53]
	s_delay_alu instid0(VALU_DEP_1)
	v_add_f64_e64 v[44:45], v[44:45], -v[48:49]
.LBB93_290:                             ;   in Loop: Header=BB93_161 Depth=1
	s_or_b32 exec_lo, exec_lo, s4
	v_add_f64_e64 v[46:47], |v[4:5]|, s[18:19]
	v_cmp_nge_f64_e64 vcc_lo, |v[4:5]|, s[20:21]
	v_mul_f64_e32 v[64:65], v[14:15], v[14:15]
	s_delay_alu instid0(VALU_DEP_4) | instskip(NEXT) | instid1(VALU_DEP_4)
	v_add_f64_e32 v[66:67], v[44:45], v[44:45]
	v_add_f64_e64 v[48:49], v[46:47], -|v[4:5]|
	s_delay_alu instid0(VALU_DEP_3) | instskip(NEXT) | instid1(VALU_DEP_2)
	v_fma_f64 v[68:69], v[14:15], v[14:15], -v[64:65]
	v_add_f64_e64 v[50:51], v[48:49], -v[46:47]
	v_add_f64_e32 v[48:49], 0x3fe62e42fefa39ef, v[48:49]
	s_delay_alu instid0(VALU_DEP_3) | instskip(NEXT) | instid1(VALU_DEP_3)
	v_fmac_f64_e32 v[68:69], v[14:15], v[66:67]
	v_add_f64_e64 v[50:51], |v[4:5]|, v[50:51]
	s_delay_alu instid0(VALU_DEP_2) | instskip(NEXT) | instid1(VALU_DEP_2)
	v_add_f64_e32 v[64:65], v[64:65], v[68:69]
	v_add_f64_e64 v[48:49], v[50:51], -v[48:49]
	s_delay_alu instid0(VALU_DEP_2) | instskip(NEXT) | instid1(VALU_DEP_1)
	v_fmamk_f64 v[68:69], v[64:65], 0x3ef5e089c751c08c, v[28:29]
	v_fmaak_f64 v[68:69], v[64:65], v[68:69], 0x3f17746f90a8aae0
	s_delay_alu instid0(VALU_DEP_1) | instskip(NEXT) | instid1(VALU_DEP_4)
	v_fmaak_f64 v[68:69], v[64:65], v[68:69], 0xbefbb44da6fbf144
	v_add_f64_e32 v[48:49], 0xbc7abc9e3b39803f, v[48:49]
	s_delay_alu instid0(VALU_DEP_1) | instskip(NEXT) | instid1(VALU_DEP_1)
	v_add_f64_e32 v[50:51], v[46:47], v[48:49]
	v_mul_f64_e32 v[52:53], 0x3ff71547652b82fe, v[50:51]
	v_add_f64_e64 v[46:47], v[46:47], -v[50:51]
	s_delay_alu instid0(VALU_DEP_2) | instskip(NEXT) | instid1(VALU_DEP_2)
	v_rndne_f64_e32 v[52:53], v[52:53]
	v_add_f64_e32 v[46:47], v[48:49], v[46:47]
	s_delay_alu instid0(VALU_DEP_2) | instskip(SKIP_2) | instid1(VALU_DEP_3)
	v_fmac_f64_e32 v[50:51], 0xbfe62e42fefa3000, v[52:53]
	v_mul_f64_e32 v[48:49], 0xbd53de6af278e000, v[52:53]
	v_cvt_i32_f64_e32 v2, v[52:53]
	v_add_f64_e32 v[54:55], v[46:47], v[50:51]
	s_delay_alu instid0(VALU_DEP_1) | instskip(SKIP_1) | instid1(VALU_DEP_2)
	v_add_f64_e32 v[56:57], v[54:55], v[48:49]
	v_add_f64_e64 v[50:51], v[50:51], -v[54:55]
	v_add_f64_e64 v[54:55], v[54:55], -v[56:57]
	s_delay_alu instid0(VALU_DEP_2) | instskip(NEXT) | instid1(VALU_DEP_2)
	v_add_f64_e32 v[46:47], v[46:47], v[50:51]
	v_add_f64_e32 v[48:49], v[54:55], v[48:49]
	s_delay_alu instid0(VALU_DEP_1) | instskip(SKIP_1) | instid1(VALU_DEP_2)
	v_add_f64_e32 v[46:47], v[46:47], v[48:49]
	v_mul_f64_e32 v[48:49], 0xbac9cc01f97b57a0, v[52:53]
	v_add_f64_e32 v[50:51], v[56:57], v[46:47]
	s_delay_alu instid0(VALU_DEP_1) | instskip(SKIP_1) | instid1(VALU_DEP_2)
	v_add_f64_e32 v[54:55], v[50:51], v[48:49]
	v_add_f64_e64 v[56:57], v[56:57], -v[50:51]
	v_add_f64_e64 v[50:51], v[50:51], -v[54:55]
	s_delay_alu instid0(VALU_DEP_2) | instskip(NEXT) | instid1(VALU_DEP_2)
	v_add_f64_e32 v[46:47], v[46:47], v[56:57]
	v_add_f64_e32 v[48:49], v[50:51], v[48:49]
	s_delay_alu instid0(VALU_DEP_1) | instskip(NEXT) | instid1(VALU_DEP_1)
	v_add_f64_e32 v[46:47], v[46:47], v[48:49]
	v_add_f64_e32 v[48:49], v[54:55], v[46:47]
	s_delay_alu instid0(VALU_DEP_1) | instskip(SKIP_1) | instid1(VALU_DEP_2)
	v_add_f64_e64 v[50:51], v[54:55], -v[48:49]
	v_mul_f64_e32 v[54:55], v[48:49], v[48:49]
	v_add_f64_e32 v[46:47], v[46:47], v[50:51]
	s_delay_alu instid0(VALU_DEP_2) | instskip(NEXT) | instid1(VALU_DEP_2)
	v_fma_f64 v[50:51], v[48:49], v[48:49], -v[54:55]
	v_add_f64_e32 v[56:57], v[46:47], v[46:47]
	s_delay_alu instid0(VALU_DEP_1) | instskip(SKIP_1) | instid1(VALU_DEP_1)
	v_fmac_f64_e32 v[50:51], v[48:49], v[56:57]
	v_fmamk_f64 v[56:57], v[48:49], 0x3e5ade156a5dcb37, v[30:31]
	v_fmaak_f64 v[56:57], v[48:49], v[56:57], 0x3ec71dee623fde64
	s_delay_alu instid0(VALU_DEP_1) | instskip(NEXT) | instid1(VALU_DEP_1)
	v_fmaak_f64 v[56:57], v[48:49], v[56:57], 0x3efa01997c89e6b0
	v_fmaak_f64 v[56:57], v[48:49], v[56:57], 0x3f2a01a014761f6e
	s_delay_alu instid0(VALU_DEP_1) | instskip(SKIP_1) | instid1(VALU_DEP_2)
	v_fmaak_f64 v[56:57], v[48:49], v[56:57], 0x3f56c16c1852b7b0
	v_add_f64_e32 v[58:59], v[54:55], v[50:51]
	v_fmaak_f64 v[56:57], v[48:49], v[56:57], 0x3f81111111122322
	s_delay_alu instid0(VALU_DEP_1) | instskip(NEXT) | instid1(VALU_DEP_1)
	v_fmaak_f64 v[56:57], v[48:49], v[56:57], 0x3fa55555555502a1
	v_fmaak_f64 v[56:57], v[48:49], v[56:57], 0x3fc5555555555511
	s_delay_alu instid0(VALU_DEP_1) | instskip(SKIP_1) | instid1(VALU_DEP_2)
	v_fmaak_f64 v[56:57], v[48:49], v[56:57], 0x3fe000000000000b
	v_add_f64_e64 v[54:55], v[58:59], -v[54:55]
	v_mul_f64_e32 v[60:61], v[58:59], v[56:57]
	s_delay_alu instid0(VALU_DEP_2) | instskip(NEXT) | instid1(VALU_DEP_2)
	v_add_f64_e64 v[50:51], v[50:51], -v[54:55]
	v_fma_f64 v[54:55], v[58:59], v[56:57], -v[60:61]
	s_delay_alu instid0(VALU_DEP_1) | instskip(NEXT) | instid1(VALU_DEP_1)
	v_fmac_f64_e32 v[54:55], v[50:51], v[56:57]
	v_add_f64_e32 v[50:51], v[60:61], v[54:55]
	s_delay_alu instid0(VALU_DEP_1) | instskip(SKIP_1) | instid1(VALU_DEP_2)
	v_add_f64_e32 v[56:57], v[48:49], v[50:51]
	v_add_f64_e64 v[58:59], v[50:51], -v[60:61]
	v_add_f64_e64 v[48:49], v[56:57], -v[48:49]
	s_delay_alu instid0(VALU_DEP_2) | instskip(NEXT) | instid1(VALU_DEP_2)
	v_add_f64_e64 v[54:55], v[54:55], -v[58:59]
	v_add_f64_e64 v[48:49], v[50:51], -v[48:49]
	s_delay_alu instid0(VALU_DEP_2) | instskip(NEXT) | instid1(VALU_DEP_1)
	v_add_f64_e32 v[46:47], v[46:47], v[54:55]
	v_add_f64_e32 v[46:47], v[46:47], v[48:49]
	s_delay_alu instid0(VALU_DEP_1) | instskip(NEXT) | instid1(VALU_DEP_1)
	v_add_f64_e32 v[48:49], v[56:57], v[46:47]
	v_add_f64_e32 v[50:51], 1.0, v[48:49]
	v_add_f64_e64 v[54:55], v[48:49], -v[56:57]
	s_delay_alu instid0(VALU_DEP_2) | instskip(NEXT) | instid1(VALU_DEP_2)
	v_add_f64_e32 v[56:57], -1.0, v[50:51]
	v_add_f64_e64 v[46:47], v[46:47], -v[54:55]
	s_delay_alu instid0(VALU_DEP_2) | instskip(NEXT) | instid1(VALU_DEP_1)
	v_add_f64_e64 v[48:49], v[48:49], -v[56:57]
	v_add_f64_e32 v[46:47], v[46:47], v[48:49]
	s_delay_alu instid0(VALU_DEP_1) | instskip(NEXT) | instid1(VALU_DEP_1)
	v_add_f64_e32 v[48:49], v[50:51], v[46:47]
	v_ldexp_f64 v[52:53], v[48:49], v2
	v_add_f64_e64 v[48:49], v[48:49], -v[50:51]
	s_delay_alu instid0(VALU_DEP_2) | instskip(NEXT) | instid1(VALU_DEP_1)
	v_rcp_f64_e32 v[54:55], v[52:53]
	v_add_f64_e64 v[46:47], v[46:47], -v[48:49]
	s_delay_alu instid0(VALU_DEP_1) | instskip(NEXT) | instid1(TRANS32_DEP_1)
	v_ldexp_f64 v[46:47], v[46:47], v2
	v_fma_f64 v[56:57], -v[52:53], v[54:55], 1.0
	s_delay_alu instid0(VALU_DEP_1) | instskip(NEXT) | instid1(VALU_DEP_1)
	v_fmac_f64_e32 v[54:55], v[56:57], v[54:55]
	v_fma_f64 v[56:57], -v[52:53], v[54:55], 1.0
	s_delay_alu instid0(VALU_DEP_1) | instskip(NEXT) | instid1(VALU_DEP_1)
	v_fmac_f64_e32 v[54:55], v[56:57], v[54:55]
	v_mul_f64_e32 v[48:49], v[52:53], v[54:55]
	s_delay_alu instid0(VALU_DEP_1) | instskip(NEXT) | instid1(VALU_DEP_1)
	v_fma_f64 v[50:51], v[54:55], v[52:53], -v[48:49]
	v_fmac_f64_e32 v[50:51], v[54:55], v[46:47]
	s_delay_alu instid0(VALU_DEP_1) | instskip(NEXT) | instid1(VALU_DEP_1)
	v_add_f64_e32 v[56:57], v[48:49], v[50:51]
	v_add_f64_e64 v[58:59], -v[56:57], 1.0
	v_add_f64_e64 v[48:49], v[56:57], -v[48:49]
	s_delay_alu instid0(VALU_DEP_2) | instskip(NEXT) | instid1(VALU_DEP_2)
	v_add_f64_e64 v[60:61], -v[58:59], 1.0
	v_add_f64_e64 v[48:49], v[48:49], -v[50:51]
	s_delay_alu instid0(VALU_DEP_2) | instskip(NEXT) | instid1(VALU_DEP_1)
	v_add_f64_e64 v[50:51], v[60:61], -v[56:57]
	v_add_f64_e32 v[48:49], v[48:49], v[50:51]
	s_delay_alu instid0(VALU_DEP_1) | instskip(NEXT) | instid1(VALU_DEP_1)
	v_add_f64_e32 v[50:51], v[58:59], v[48:49]
	v_mul_f64_e32 v[56:57], v[54:55], v[50:51]
	v_add_f64_e64 v[58:59], v[58:59], -v[50:51]
	s_delay_alu instid0(VALU_DEP_2) | instskip(NEXT) | instid1(VALU_DEP_2)
	v_mul_f64_e32 v[60:61], v[52:53], v[56:57]
	v_add_f64_e32 v[48:49], v[48:49], v[58:59]
	s_delay_alu instid0(VALU_DEP_2) | instskip(NEXT) | instid1(VALU_DEP_1)
	v_fma_f64 v[62:63], v[56:57], v[52:53], -v[60:61]
	v_fmac_f64_e32 v[62:63], v[56:57], v[46:47]
	s_delay_alu instid0(VALU_DEP_1) | instskip(NEXT) | instid1(VALU_DEP_1)
	v_add_f64_e32 v[70:71], v[60:61], v[62:63]
	v_add_f64_e64 v[66:67], v[50:51], -v[70:71]
	v_add_f64_e64 v[58:59], v[70:71], -v[60:61]
	v_fmaak_f64 v[60:61], v[64:65], v[68:69], 0x3f21e634a7943acf
	s_delay_alu instid0(VALU_DEP_1) | instskip(NEXT) | instid1(VALU_DEP_1)
	v_fmaak_f64 v[60:61], v[64:65], v[60:61], 0x3f2d250fdeb68feb
	v_fmaak_f64 v[60:61], v[64:65], v[60:61], 0x3f437fd9b58c4d95
	s_delay_alu instid0(VALU_DEP_1) | instskip(NEXT) | instid1(VALU_DEP_1)
	v_fmaak_f64 v[60:61], v[64:65], v[60:61], 0x3f57d5af15120e2c
	v_fmaak_f64 v[60:61], v[64:65], v[60:61], 0x3f6d6d93e09491df
	v_add_f64_e64 v[50:51], v[50:51], -v[66:67]
	v_add_f64_e64 v[58:59], v[58:59], -v[62:63]
	s_delay_alu instid0(VALU_DEP_2) | instskip(NEXT) | instid1(VALU_DEP_1)
	v_add_f64_e64 v[50:51], v[50:51], -v[70:71]
	v_add_f64_e32 v[48:49], v[48:49], v[50:51]
	v_fmaak_f64 v[50:51], v[64:65], v[60:61], 0x3f8226e12033784d
	v_add_f64_e32 v[60:61], v[54:55], v[56:57]
	s_delay_alu instid0(VALU_DEP_2) | instskip(NEXT) | instid1(VALU_DEP_1)
	v_fmaak_f64 v[50:51], v[64:65], v[50:51], 0x3f9664f49ac36ae2
	v_fmaak_f64 v[50:51], v[64:65], v[50:51], 0x3faba1ba1b451c21
	s_delay_alu instid0(VALU_DEP_1) | instskip(NEXT) | instid1(VALU_DEP_1)
	v_fmaak_f64 v[50:51], v[64:65], v[50:51], 0x3fc11111111185b7
	v_fmaak_f64 v[50:51], v[64:65], v[50:51], 0x3fd55555555554ee
	v_add_f64_e32 v[48:49], v[58:59], v[48:49]
	v_add_f64_e64 v[58:59], v[60:61], -v[54:55]
	s_delay_alu instid0(VALU_DEP_3) | instskip(NEXT) | instid1(VALU_DEP_3)
	v_mul_f64_e32 v[50:51], v[64:65], v[50:51]
	v_add_f64_e32 v[48:49], v[66:67], v[48:49]
	s_delay_alu instid0(VALU_DEP_3) | instskip(NEXT) | instid1(VALU_DEP_3)
	v_add_f64_e64 v[56:57], v[56:57], -v[58:59]
	v_mul_f64_e32 v[62:63], v[14:15], v[50:51]
	s_delay_alu instid0(VALU_DEP_3) | instskip(NEXT) | instid1(VALU_DEP_2)
	v_mul_f64_e32 v[48:49], v[54:55], v[48:49]
	v_add_f64_e32 v[54:55], v[14:15], v[62:63]
	v_fma_f64 v[50:51], v[14:15], v[50:51], -v[62:63]
	s_delay_alu instid0(VALU_DEP_3) | instskip(NEXT) | instid1(VALU_DEP_3)
	v_add_f64_e32 v[48:49], v[56:57], v[48:49]
	v_add_f64_e64 v[14:15], v[54:55], -v[14:15]
	s_delay_alu instid0(VALU_DEP_3) | instskip(NEXT) | instid1(VALU_DEP_3)
	v_add_f64_e32 v[44:45], v[44:45], v[50:51]
	v_add_f64_e32 v[56:57], v[60:61], v[48:49]
	s_delay_alu instid0(VALU_DEP_3) | instskip(NEXT) | instid1(VALU_DEP_2)
	v_add_f64_e64 v[14:15], v[62:63], -v[14:15]
	v_ldexp_f64 v[50:51], v[56:57], -2
	v_add_f64_e64 v[56:57], v[56:57], -v[60:61]
	s_delay_alu instid0(VALU_DEP_3) | instskip(NEXT) | instid1(VALU_DEP_3)
	v_add_f64_e32 v[14:15], v[44:45], v[14:15]
	v_add_f64_e64 v[44:45], v[52:53], -v[50:51]
	s_delay_alu instid0(VALU_DEP_3) | instskip(NEXT) | instid1(VALU_DEP_3)
	v_add_f64_e64 v[48:49], v[48:49], -v[56:57]
	v_add_f64_e32 v[58:59], v[54:55], v[14:15]
	s_delay_alu instid0(VALU_DEP_3) | instskip(NEXT) | instid1(VALU_DEP_3)
	v_add_f64_e64 v[52:53], v[52:53], -v[44:45]
	v_ldexp_f64 v[48:49], v[48:49], -2
	s_delay_alu instid0(VALU_DEP_3) | instskip(NEXT) | instid1(VALU_DEP_2)
	v_rcp_f64_e32 v[60:61], v[58:59]
	v_add_f64_e64 v[50:51], v[52:53], -v[50:51]
	s_delay_alu instid0(TRANS32_DEP_1) | instskip(NEXT) | instid1(VALU_DEP_2)
	v_fma_f64 v[52:53], -v[58:59], v[60:61], 1.0
	v_add_f64_e32 v[46:47], v[46:47], v[50:51]
	s_delay_alu instid0(VALU_DEP_2) | instskip(NEXT) | instid1(VALU_DEP_2)
	v_fmac_f64_e32 v[60:61], v[52:53], v[60:61]
	v_add_f64_e64 v[46:47], v[46:47], -v[48:49]
	s_delay_alu instid0(VALU_DEP_2) | instskip(NEXT) | instid1(VALU_DEP_2)
	v_fma_f64 v[48:49], -v[58:59], v[60:61], 1.0
	v_add_f64_e32 v[44:45], v[44:45], v[46:47]
	s_delay_alu instid0(VALU_DEP_2) | instskip(NEXT) | instid1(VALU_DEP_2)
	v_fmac_f64_e32 v[60:61], v[48:49], v[60:61]
	v_cndmask_b32_e32 v2, 0x7ff00000, v45, vcc_lo
	s_delay_alu instid0(VALU_DEP_3) | instskip(SKIP_4) | instid1(VALU_DEP_3)
	v_cndmask_b32_e32 v27, 0, v44, vcc_lo
	v_cmp_gt_f64_e64 vcc_lo, 0x3e400000, |v[4:5]|
	v_and_b32_e32 v5, 0x7fffffff, v5
	v_add_f64_e64 v[44:45], v[58:59], -v[54:55]
	v_mul_f64_e32 v[46:47], v[58:59], v[60:61]
	v_dual_cndmask_b32 v2, v2, v5, vcc_lo :: v_dual_cndmask_b32 v4, v27, v4, vcc_lo
	s_delay_alu instid0(VALU_DEP_3) | instskip(NEXT) | instid1(VALU_DEP_2)
	v_add_f64_e64 v[14:15], v[14:15], -v[44:45]
	v_bfi_b32 v5, 0x7fffffff, v2, v17
	s_delay_alu instid0(VALU_DEP_4) | instskip(NEXT) | instid1(VALU_DEP_2)
	v_fma_f64 v[44:45], v[60:61], v[58:59], -v[46:47]
	v_fma_f64 v[48:49], v[4:5], v[4:5], 1.0
	s_delay_alu instid0(VALU_DEP_2) | instskip(NEXT) | instid1(VALU_DEP_2)
	v_fmac_f64_e32 v[44:45], v[60:61], v[14:15]
	v_cmp_gt_f64_e32 vcc_lo, 0x10000000, v[48:49]
	v_cndmask_b32_e64 v2, 0, 0x100, vcc_lo
	v_cndmask_b32_e64 v17, 0, 0xffffff80, vcc_lo
	s_delay_alu instid0(VALU_DEP_2) | instskip(SKIP_2) | instid1(VALU_DEP_1)
	v_ldexp_f64 v[14:15], v[48:49], v2
	v_add_f64_e32 v[48:49], v[46:47], v[44:45]
	v_and_b32_e32 v2, 1, v16
	v_cmp_eq_u32_e64 s4, 0, v2
	s_delay_alu instid0(VALU_DEP_4) | instskip(NEXT) | instid1(VALU_DEP_3)
	v_rsq_f64_e32 v[50:51], v[14:15]
	v_add_f64_e64 v[52:53], -v[48:49], 1.0
	v_add_f64_e64 v[46:47], v[48:49], -v[46:47]
	v_cmp_class_f64_e64 vcc_lo, v[14:15], 0x260
	s_delay_alu instid0(VALU_DEP_3) | instskip(NEXT) | instid1(VALU_DEP_3)
	v_add_f64_e64 v[56:57], -v[52:53], 1.0
	v_add_f64_e64 v[44:45], v[46:47], -v[44:45]
	s_delay_alu instid0(TRANS32_DEP_1) | instskip(SKIP_1) | instid1(VALU_DEP_4)
	v_mul_f64_e32 v[54:55], v[14:15], v[50:51]
	v_mul_f64_e32 v[50:51], 0.5, v[50:51]
	v_add_f64_e64 v[46:47], v[56:57], -v[48:49]
	s_delay_alu instid0(VALU_DEP_2) | instskip(NEXT) | instid1(VALU_DEP_2)
	v_fma_f64 v[62:63], -v[50:51], v[54:55], 0.5
	v_add_f64_e32 v[44:45], v[44:45], v[46:47]
	s_delay_alu instid0(VALU_DEP_2) | instskip(SKIP_1) | instid1(VALU_DEP_3)
	v_fmac_f64_e32 v[54:55], v[54:55], v[62:63]
	v_fmac_f64_e32 v[50:51], v[50:51], v[62:63]
	v_add_f64_e32 v[44:45], v[52:53], v[44:45]
	s_delay_alu instid0(VALU_DEP_3) | instskip(NEXT) | instid1(VALU_DEP_2)
	v_fma_f64 v[46:47], -v[54:55], v[54:55], v[14:15]
	v_mul_f64_e32 v[44:45], v[60:61], v[44:45]
	s_delay_alu instid0(VALU_DEP_2) | instskip(NEXT) | instid1(VALU_DEP_2)
	v_fmac_f64_e32 v[54:55], v[46:47], v[50:51]
	v_add_f64_e32 v[44:45], v[60:61], v[44:45]
	s_delay_alu instid0(VALU_DEP_2) | instskip(NEXT) | instid1(VALU_DEP_2)
	v_fma_f64 v[46:47], -v[54:55], v[54:55], v[14:15]
	v_xor_b32_e32 v16, 0x80000000, v45
	s_delay_alu instid0(VALU_DEP_3) | instskip(NEXT) | instid1(VALU_DEP_2)
	v_cndmask_b32_e64 v2, v44, v58, s4
	v_cndmask_b32_e64 v16, v16, v59, s4
	s_delay_alu instid0(VALU_DEP_4) | instskip(NEXT) | instid1(VALU_DEP_2)
	v_fmac_f64_e32 v[54:55], v[46:47], v[50:51]
	v_bitop3_b32 v3, v16, v3, 0x80000000 bitop3:0x78
	s_delay_alu instid0(VALU_DEP_1) | instskip(NEXT) | instid1(VALU_DEP_3)
	v_fma_f64 v[44:45], v[2:3], v[2:3], 1.0
	v_ldexp_f64 v[16:17], v[54:55], v17
	s_delay_alu instid0(VALU_DEP_1) | instskip(NEXT) | instid1(VALU_DEP_3)
	v_dual_cndmask_b32 v15, v17, v15 :: v_dual_cndmask_b32 v14, v16, v14
	v_mul_f64_e32 v[16:17], v[4:5], v[44:45]
	s_delay_alu instid0(VALU_DEP_2) | instskip(NEXT) | instid1(VALU_DEP_2)
	v_mul_f64_e32 v[14:15], v[14:15], v[44:45]
	v_fma_f64 v[44:45], v[4:5], v[16:17], 1.0
	s_delay_alu instid0(VALU_DEP_2) | instskip(NEXT) | instid1(VALU_DEP_2)
	v_mul_f64_e32 v[4:5], v[4:5], v[14:15]
	v_div_scale_f64 v[16:17], null, v[44:45], v[44:45], v[2:3]
	s_delay_alu instid0(VALU_DEP_2) | instskip(SKIP_1) | instid1(VALU_DEP_3)
	v_div_scale_f64 v[14:15], null, v[44:45], v[44:45], v[4:5]
	v_div_scale_f64 v[54:55], vcc_lo, v[4:5], v[44:45], v[4:5]
	v_rcp_f64_e32 v[48:49], v[16:17]
	s_delay_alu instid0(VALU_DEP_2) | instskip(NEXT) | instid1(TRANS32_DEP_2)
	v_rcp_f64_e32 v[46:47], v[14:15]
	v_fma_f64 v[52:53], -v[16:17], v[48:49], 1.0
	s_delay_alu instid0(TRANS32_DEP_1) | instskip(NEXT) | instid1(VALU_DEP_2)
	v_fma_f64 v[50:51], -v[14:15], v[46:47], 1.0
	v_fmac_f64_e32 v[48:49], v[48:49], v[52:53]
	s_delay_alu instid0(VALU_DEP_2) | instskip(NEXT) | instid1(VALU_DEP_2)
	v_fmac_f64_e32 v[46:47], v[46:47], v[50:51]
	v_fma_f64 v[52:53], -v[16:17], v[48:49], 1.0
	s_delay_alu instid0(VALU_DEP_2) | instskip(NEXT) | instid1(VALU_DEP_2)
	v_fma_f64 v[50:51], -v[14:15], v[46:47], 1.0
	v_fmac_f64_e32 v[48:49], v[48:49], v[52:53]
	s_delay_alu instid0(VALU_DEP_2) | instskip(SKIP_1) | instid1(VALU_DEP_2)
	v_fmac_f64_e32 v[46:47], v[46:47], v[50:51]
	v_div_scale_f64 v[50:51], s4, v[2:3], v[44:45], v[2:3]
	v_mul_f64_e32 v[52:53], v[54:55], v[46:47]
	s_delay_alu instid0(VALU_DEP_2) | instskip(NEXT) | instid1(VALU_DEP_2)
	v_mul_f64_e32 v[56:57], v[50:51], v[48:49]
	v_fma_f64 v[14:15], -v[14:15], v[52:53], v[54:55]
	s_delay_alu instid0(VALU_DEP_2) | instskip(NEXT) | instid1(VALU_DEP_2)
	v_fma_f64 v[16:17], -v[16:17], v[56:57], v[50:51]
	v_div_fmas_f64 v[14:15], v[14:15], v[46:47], v[52:53]
	s_mov_b32 vcc_lo, s4
	s_delay_alu instid0(VALU_DEP_2) | instskip(NEXT) | instid1(VALU_DEP_2)
	v_div_fmas_f64 v[46:47], v[16:17], v[48:49], v[56:57]
	v_div_fixup_f64 v[16:17], v[14:15], v[44:45], v[4:5]
	s_delay_alu instid0(VALU_DEP_2)
	v_div_fixup_f64 v[14:15], v[46:47], v[44:45], v[2:3]
                                        ; implicit-def: $vgpr2_vgpr3
.LBB93_291:                             ;   in Loop: Header=BB93_161 Depth=1
	s_and_not1_saveexec_b32 s4, s35
	s_cbranch_execz .LBB93_312
; %bb.292:                              ;   in Loop: Header=BB93_161 Depth=1
	v_cmp_ngt_f64_e64 s35, 0x41d00000, |v[2:3]|
                                        ; implicit-def: $vgpr16
                                        ; implicit-def: $vgpr14_vgpr15
                                        ; implicit-def: $vgpr44_vgpr45
	s_and_saveexec_b32 s36, s35
	s_delay_alu instid0(SALU_CYCLE_1)
	s_xor_b32 s36, exec_lo, s36
	s_cbranch_execz .LBB93_301
; %bb.293:                              ;   in Loop: Header=BB93_161 Depth=1
	v_ldexp_f64 v[14:15], |v[2:3]|, 0xffffff80
	v_cmp_le_f64_e64 vcc_lo, 0x7b000000, |v[2:3]|
	v_trig_preop_f64 v[44:45], |v[2:3]|, 0
	v_and_b32_e32 v16, 0x7fffffff, v3
	v_trig_preop_f64 v[46:47], |v[2:3]|, 1
	v_trig_preop_f64 v[56:57], |v[2:3]|, 2
	s_delay_alu instid0(VALU_DEP_3) | instskip(NEXT) | instid1(VALU_DEP_1)
	v_dual_cndmask_b32 v15, v16, v15 :: v_dual_cndmask_b32 v14, v2, v14
	v_mul_f64_e32 v[48:49], v[44:45], v[14:15]
	s_delay_alu instid0(VALU_DEP_4) | instskip(NEXT) | instid1(VALU_DEP_4)
	v_mul_f64_e32 v[50:51], v[46:47], v[14:15]
	v_mul_f64_e32 v[62:63], v[56:57], v[14:15]
	s_delay_alu instid0(VALU_DEP_3) | instskip(NEXT) | instid1(VALU_DEP_3)
	v_fma_f64 v[44:45], v[44:45], v[14:15], -v[48:49]
	v_fma_f64 v[46:47], v[46:47], v[14:15], -v[50:51]
	s_delay_alu instid0(VALU_DEP_3) | instskip(NEXT) | instid1(VALU_DEP_3)
	v_fma_f64 v[14:15], v[56:57], v[14:15], -v[62:63]
	v_add_f64_e32 v[52:53], v[50:51], v[44:45]
	s_delay_alu instid0(VALU_DEP_1) | instskip(SKIP_1) | instid1(VALU_DEP_2)
	v_add_f64_e64 v[54:55], v[52:53], -v[50:51]
	v_add_f64_e32 v[60:61], v[48:49], v[52:53]
	v_add_f64_e64 v[58:59], v[52:53], -v[54:55]
	v_add_f64_e64 v[44:45], v[44:45], -v[54:55]
	s_delay_alu instid0(VALU_DEP_3) | instskip(NEXT) | instid1(VALU_DEP_3)
	v_ldexp_f64 v[54:55], v[60:61], -2
	v_add_f64_e64 v[50:51], v[50:51], -v[58:59]
	v_add_f64_e32 v[58:59], v[62:63], v[46:47]
	s_delay_alu instid0(VALU_DEP_3) | instskip(NEXT) | instid1(VALU_DEP_3)
	v_cmp_neq_f64_e64 vcc_lo, 0x7ff00000, |v[54:55]|
	v_add_f64_e32 v[44:45], v[44:45], v[50:51]
	v_fract_f64_e32 v[50:51], v[54:55]
	s_delay_alu instid0(VALU_DEP_1) | instskip(NEXT) | instid1(VALU_DEP_1)
	v_ldexp_f64 v[50:51], v[50:51], 2
	v_dual_add_f64 v[48:49], v[60:61], -v[48:49] :: v_dual_cndmask_b32 v50, 0, v50, vcc_lo
	s_delay_alu instid0(VALU_DEP_1) | instskip(SKIP_1) | instid1(VALU_DEP_1)
	v_dual_add_f64 v[48:49], v[52:53], -v[48:49] :: v_dual_cndmask_b32 v51, 0, v51, vcc_lo
	v_add_f64_e32 v[52:53], v[58:59], v[44:45]
	v_add_f64_e32 v[54:55], v[48:49], v[52:53]
	v_add_f64_e64 v[64:65], v[52:53], -v[58:59]
	s_delay_alu instid0(VALU_DEP_2) | instskip(NEXT) | instid1(VALU_DEP_2)
	v_add_f64_e32 v[60:61], v[54:55], v[50:51]
	v_add_f64_e64 v[70:71], v[52:53], -v[64:65]
	v_add_f64_e64 v[44:45], v[44:45], -v[64:65]
	;; [unrolled: 1-line block ×3, first 2 shown]
	s_delay_alu instid0(VALU_DEP_4) | instskip(SKIP_1) | instid1(VALU_DEP_3)
	v_cmp_gt_f64_e32 vcc_lo, 0, v[60:61]
	v_add_f64_e64 v[60:61], v[58:59], -v[62:63]
	v_add_f64_e64 v[48:49], v[52:53], -v[48:49]
	v_cndmask_b32_e64 v27, 0, 0x40100000, vcc_lo
	s_delay_alu instid0(VALU_DEP_3) | instskip(SKIP_2) | instid1(VALU_DEP_4)
	v_add_f64_e64 v[68:69], v[58:59], -v[60:61]
	v_add_f64_e64 v[46:47], v[46:47], -v[60:61]
	;; [unrolled: 1-line block ×3, first 2 shown]
	v_add_f64_e32 v[50:51], v[50:51], v[26:27]
	s_delay_alu instid0(VALU_DEP_4) | instskip(NEXT) | instid1(VALU_DEP_3)
	v_add_f64_e64 v[60:61], v[62:63], -v[68:69]
	v_add_f64_e32 v[44:45], v[44:45], v[58:59]
	s_delay_alu instid0(VALU_DEP_3) | instskip(NEXT) | instid1(VALU_DEP_3)
	v_add_f64_e32 v[66:67], v[54:55], v[50:51]
	v_add_f64_e32 v[46:47], v[46:47], v[60:61]
	s_delay_alu instid0(VALU_DEP_2) | instskip(NEXT) | instid1(VALU_DEP_2)
	v_cvt_i32_f64_e32 v16, v[66:67]
	v_add_f64_e32 v[44:45], v[46:47], v[44:45]
	s_delay_alu instid0(VALU_DEP_2) | instskip(NEXT) | instid1(VALU_DEP_2)
	v_cvt_f64_i32_e32 v[64:65], v16
	v_add_f64_e32 v[14:15], v[14:15], v[44:45]
	s_delay_alu instid0(VALU_DEP_2) | instskip(NEXT) | instid1(VALU_DEP_2)
	v_add_f64_e64 v[50:51], v[50:51], -v[64:65]
	v_add_f64_e32 v[14:15], v[48:49], v[14:15]
	s_delay_alu instid0(VALU_DEP_2) | instskip(NEXT) | instid1(VALU_DEP_1)
	v_add_f64_e32 v[46:47], v[54:55], v[50:51]
	v_add_f64_e64 v[44:45], v[46:47], -v[50:51]
	v_cmp_le_f64_e32 vcc_lo, 0.5, v[46:47]
	s_delay_alu instid0(VALU_DEP_2) | instskip(SKIP_2) | instid1(VALU_DEP_3)
	v_add_f64_e64 v[44:45], v[54:55], -v[44:45]
	v_cndmask_b32_e64 v27, 0, 0x3ff00000, vcc_lo
	v_add_co_ci_u32_e64 v16, null, 0, v16, vcc_lo
	v_add_f64_e32 v[14:15], v[14:15], v[44:45]
	s_delay_alu instid0(VALU_DEP_3) | instskip(NEXT) | instid1(VALU_DEP_1)
	v_add_f64_e64 v[44:45], v[46:47], -v[26:27]
	v_add_f64_e32 v[46:47], v[44:45], v[14:15]
	s_delay_alu instid0(VALU_DEP_1) | instskip(SKIP_1) | instid1(VALU_DEP_2)
	v_mul_f64_e32 v[48:49], 0x3ff921fb54442d18, v[46:47]
	v_add_f64_e64 v[44:45], v[46:47], -v[44:45]
	v_fma_f64 v[50:51], v[46:47], s[12:13], -v[48:49]
	s_delay_alu instid0(VALU_DEP_2) | instskip(NEXT) | instid1(VALU_DEP_2)
	v_add_f64_e64 v[14:15], v[14:15], -v[44:45]
	v_fmac_f64_e32 v[50:51], 0x3c91a62633145c07, v[46:47]
	s_delay_alu instid0(VALU_DEP_1) | instskip(NEXT) | instid1(VALU_DEP_1)
	v_fmac_f64_e32 v[50:51], 0x3ff921fb54442d18, v[14:15]
	v_add_f64_e32 v[14:15], v[48:49], v[50:51]
	s_delay_alu instid0(VALU_DEP_1) | instskip(NEXT) | instid1(VALU_DEP_1)
	v_add_f64_e64 v[44:45], v[14:15], -v[48:49]
	v_add_f64_e64 v[44:45], v[50:51], -v[44:45]
	s_and_not1_saveexec_b32 s36, s36
	s_cbranch_execz .LBB93_303
	s_branch .LBB93_302
.LBB93_294:                             ;   in Loop: Header=BB93_161 Depth=1
	s_and_not1_saveexec_b32 s34, s5
	s_cbranch_execz .LBB93_316
.LBB93_295:                             ;   in Loop: Header=BB93_161 Depth=1
	s_delay_alu instid0(VALU_DEP_1) | instskip(SKIP_1) | instid1(VALU_DEP_1)
	v_and_or_b32 v14, 0xfffff, v17, v16
	s_mov_b32 s4, exec_lo
	v_cmpx_ne_u32_e32 0, v14
	s_xor_b32 s4, exec_lo, s4
	s_cbranch_execz .LBB93_297
; %bb.296:                              ;   in Loop: Header=BB93_161 Depth=1
	v_mul_f64_e64 v[4:5], v[2:3], -v[4:5]
	v_cmp_eq_f64_e32 vcc_lo, 0, v[2:3]
	s_delay_alu instid0(VALU_DEP_2)
	v_dual_cndmask_b32 v15, v5, v3 :: v_dual_cndmask_b32 v14, v4, v2
                                        ; implicit-def: $vgpr2_vgpr3
.LBB93_297:                             ;   in Loop: Header=BB93_161 Depth=1
	s_and_not1_saveexec_b32 s35, s4
	s_cbranch_execz .LBB93_324
; %bb.298:                              ;   in Loop: Header=BB93_161 Depth=1
	s_mov_b32 s36, exec_lo
	v_cmpx_neq_f64_e64 0x7ff00000, |v[2:3]|
	s_cbranch_execz .LBB93_323
; %bb.299:                              ;   in Loop: Header=BB93_161 Depth=1
	v_cmp_ngt_f64_e64 s4, 0x41d00000, |v[2:3]|
                                        ; implicit-def: $vgpr48
                                        ; implicit-def: $vgpr4_vgpr5
                                        ; implicit-def: $vgpr14_vgpr15
	s_and_saveexec_b32 s5, s4
	s_delay_alu instid0(SALU_CYCLE_1)
	s_xor_b32 s5, exec_lo, s5
	s_cbranch_execz .LBB93_305
; %bb.300:                              ;   in Loop: Header=BB93_161 Depth=1
	v_ldexp_f64 v[4:5], |v[2:3]|, 0xffffff80
	v_cmp_le_f64_e64 vcc_lo, 0x7b000000, |v[2:3]|
	v_trig_preop_f64 v[14:15], |v[2:3]|, 0
	v_and_b32_e32 v27, 0x7fffffff, v3
	v_trig_preop_f64 v[44:45], |v[2:3]|, 1
	v_trig_preop_f64 v[54:55], |v[2:3]|, 2
	s_delay_alu instid0(VALU_DEP_3) | instskip(NEXT) | instid1(VALU_DEP_1)
	v_dual_cndmask_b32 v5, v27, v5 :: v_dual_cndmask_b32 v4, v2, v4
	v_mul_f64_e32 v[46:47], v[14:15], v[4:5]
	s_delay_alu instid0(VALU_DEP_4) | instskip(NEXT) | instid1(VALU_DEP_4)
	v_mul_f64_e32 v[48:49], v[44:45], v[4:5]
	v_mul_f64_e32 v[60:61], v[54:55], v[4:5]
	s_delay_alu instid0(VALU_DEP_3) | instskip(NEXT) | instid1(VALU_DEP_3)
	v_fma_f64 v[14:15], v[14:15], v[4:5], -v[46:47]
	v_fma_f64 v[44:45], v[44:45], v[4:5], -v[48:49]
	s_delay_alu instid0(VALU_DEP_3) | instskip(NEXT) | instid1(VALU_DEP_3)
	v_fma_f64 v[4:5], v[54:55], v[4:5], -v[60:61]
	v_add_f64_e32 v[50:51], v[48:49], v[14:15]
	s_delay_alu instid0(VALU_DEP_1) | instskip(SKIP_1) | instid1(VALU_DEP_2)
	v_add_f64_e64 v[52:53], v[50:51], -v[48:49]
	v_add_f64_e32 v[58:59], v[46:47], v[50:51]
	v_add_f64_e64 v[56:57], v[50:51], -v[52:53]
	v_add_f64_e64 v[14:15], v[14:15], -v[52:53]
	s_delay_alu instid0(VALU_DEP_3) | instskip(NEXT) | instid1(VALU_DEP_3)
	v_ldexp_f64 v[52:53], v[58:59], -2
	v_add_f64_e64 v[48:49], v[48:49], -v[56:57]
	v_add_f64_e32 v[56:57], v[60:61], v[44:45]
	s_delay_alu instid0(VALU_DEP_3) | instskip(NEXT) | instid1(VALU_DEP_3)
	v_cmp_neq_f64_e64 vcc_lo, 0x7ff00000, |v[52:53]|
	v_add_f64_e32 v[14:15], v[14:15], v[48:49]
	v_fract_f64_e32 v[48:49], v[52:53]
	s_delay_alu instid0(VALU_DEP_1) | instskip(NEXT) | instid1(VALU_DEP_1)
	v_ldexp_f64 v[48:49], v[48:49], 2
	v_dual_add_f64 v[46:47], v[58:59], -v[46:47] :: v_dual_cndmask_b32 v48, 0, v48, vcc_lo
	s_delay_alu instid0(VALU_DEP_1) | instskip(SKIP_1) | instid1(VALU_DEP_1)
	v_dual_add_f64 v[46:47], v[50:51], -v[46:47] :: v_dual_cndmask_b32 v49, 0, v49, vcc_lo
	v_add_f64_e32 v[50:51], v[56:57], v[14:15]
	v_add_f64_e32 v[52:53], v[46:47], v[50:51]
	v_add_f64_e64 v[62:63], v[50:51], -v[56:57]
	s_delay_alu instid0(VALU_DEP_2) | instskip(NEXT) | instid1(VALU_DEP_2)
	v_add_f64_e32 v[58:59], v[52:53], v[48:49]
	v_add_f64_e64 v[68:69], v[50:51], -v[62:63]
	v_add_f64_e64 v[14:15], v[14:15], -v[62:63]
	;; [unrolled: 1-line block ×3, first 2 shown]
	s_delay_alu instid0(VALU_DEP_4) | instskip(SKIP_1) | instid1(VALU_DEP_3)
	v_cmp_gt_f64_e32 vcc_lo, 0, v[58:59]
	v_add_f64_e64 v[58:59], v[56:57], -v[60:61]
	v_add_f64_e64 v[46:47], v[50:51], -v[46:47]
	v_cndmask_b32_e64 v27, 0, 0x40100000, vcc_lo
	s_delay_alu instid0(VALU_DEP_3) | instskip(SKIP_2) | instid1(VALU_DEP_4)
	v_add_f64_e64 v[66:67], v[56:57], -v[58:59]
	v_add_f64_e64 v[44:45], v[44:45], -v[58:59]
	v_add_f64_e64 v[56:57], v[56:57], -v[68:69]
	v_add_f64_e32 v[48:49], v[48:49], v[26:27]
	s_delay_alu instid0(VALU_DEP_4) | instskip(NEXT) | instid1(VALU_DEP_3)
	v_add_f64_e64 v[58:59], v[60:61], -v[66:67]
	v_add_f64_e32 v[14:15], v[14:15], v[56:57]
	s_delay_alu instid0(VALU_DEP_3) | instskip(NEXT) | instid1(VALU_DEP_3)
	v_add_f64_e32 v[64:65], v[52:53], v[48:49]
	v_add_f64_e32 v[44:45], v[44:45], v[58:59]
	s_delay_alu instid0(VALU_DEP_2) | instskip(NEXT) | instid1(VALU_DEP_2)
	v_cvt_i32_f64_e32 v27, v[64:65]
	v_add_f64_e32 v[14:15], v[44:45], v[14:15]
	s_delay_alu instid0(VALU_DEP_2) | instskip(NEXT) | instid1(VALU_DEP_2)
	v_cvt_f64_i32_e32 v[62:63], v27
	v_add_f64_e32 v[4:5], v[4:5], v[14:15]
	s_delay_alu instid0(VALU_DEP_2) | instskip(NEXT) | instid1(VALU_DEP_2)
	v_add_f64_e64 v[48:49], v[48:49], -v[62:63]
	v_add_f64_e32 v[4:5], v[46:47], v[4:5]
	s_delay_alu instid0(VALU_DEP_2) | instskip(NEXT) | instid1(VALU_DEP_1)
	v_add_f64_e32 v[44:45], v[52:53], v[48:49]
	v_add_f64_e64 v[14:15], v[44:45], -v[48:49]
	v_cmp_le_f64_e32 vcc_lo, 0.5, v[44:45]
	s_delay_alu instid0(VALU_DEP_2) | instskip(SKIP_2) | instid1(VALU_DEP_3)
	v_add_f64_e64 v[14:15], v[52:53], -v[14:15]
	v_add_co_ci_u32_e64 v48, null, 0, v27, vcc_lo
	v_cndmask_b32_e64 v27, 0, 0x3ff00000, vcc_lo
	v_add_f64_e32 v[4:5], v[4:5], v[14:15]
	s_delay_alu instid0(VALU_DEP_2) | instskip(NEXT) | instid1(VALU_DEP_1)
	v_add_f64_e64 v[14:15], v[44:45], -v[26:27]
	v_add_f64_e32 v[44:45], v[14:15], v[4:5]
	s_delay_alu instid0(VALU_DEP_1) | instskip(SKIP_1) | instid1(VALU_DEP_2)
	v_mul_f64_e32 v[46:47], 0x3ff921fb54442d18, v[44:45]
	v_add_f64_e64 v[14:15], v[44:45], -v[14:15]
	v_fma_f64 v[50:51], v[44:45], s[12:13], -v[46:47]
	s_delay_alu instid0(VALU_DEP_2) | instskip(NEXT) | instid1(VALU_DEP_2)
	v_add_f64_e64 v[4:5], v[4:5], -v[14:15]
	v_fmac_f64_e32 v[50:51], 0x3c91a62633145c07, v[44:45]
	s_delay_alu instid0(VALU_DEP_1) | instskip(NEXT) | instid1(VALU_DEP_1)
	v_fmac_f64_e32 v[50:51], 0x3ff921fb54442d18, v[4:5]
	v_add_f64_e32 v[4:5], v[46:47], v[50:51]
	s_delay_alu instid0(VALU_DEP_1) | instskip(NEXT) | instid1(VALU_DEP_1)
	v_add_f64_e64 v[14:15], v[4:5], -v[46:47]
	v_add_f64_e64 v[14:15], v[50:51], -v[14:15]
	s_and_not1_saveexec_b32 s5, s5
	s_cbranch_execz .LBB93_307
	s_branch .LBB93_306
.LBB93_301:                             ;   in Loop: Header=BB93_161 Depth=1
	s_and_not1_saveexec_b32 s36, s36
	s_cbranch_execz .LBB93_303
.LBB93_302:                             ;   in Loop: Header=BB93_161 Depth=1
	v_mul_f64_e64 v[14:15], |v[2:3]|, s[14:15]
	s_delay_alu instid0(VALU_DEP_1) | instskip(NEXT) | instid1(VALU_DEP_1)
	v_rndne_f64_e32 v[46:47], v[14:15]
	v_fma_f64 v[14:15], v[46:47], s[16:17], |v[2:3]|
	v_mul_f64_e32 v[44:45], 0xbc91a62633145c00, v[46:47]
	v_cvt_i32_f64_e32 v16, v[46:47]
	s_delay_alu instid0(VALU_DEP_3) | instskip(NEXT) | instid1(VALU_DEP_3)
	v_fmamk_f64 v[52:53], v[46:47], 0xbc91a62633145c00, v[14:15]
	v_add_f64_e32 v[48:49], v[14:15], v[44:45]
	s_delay_alu instid0(VALU_DEP_1) | instskip(NEXT) | instid1(VALU_DEP_3)
	v_add_f64_e64 v[50:51], v[14:15], -v[48:49]
	v_add_f64_e64 v[14:15], v[48:49], -v[52:53]
	s_delay_alu instid0(VALU_DEP_2) | instskip(SKIP_1) | instid1(VALU_DEP_2)
	v_add_f64_e32 v[48:49], v[50:51], v[44:45]
	v_fmamk_f64 v[44:45], v[46:47], 0x3c91a62633145c00, v[44:45]
	v_add_f64_e32 v[14:15], v[14:15], v[48:49]
	s_delay_alu instid0(VALU_DEP_1) | instskip(NEXT) | instid1(VALU_DEP_1)
	v_add_f64_e64 v[44:45], v[14:15], -v[44:45]
	v_fmac_f64_e32 v[44:45], 0xb97b839a252049c0, v[46:47]
	s_delay_alu instid0(VALU_DEP_1) | instskip(NEXT) | instid1(VALU_DEP_1)
	v_add_f64_e32 v[14:15], v[52:53], v[44:45]
	v_add_f64_e64 v[48:49], v[14:15], -v[52:53]
	s_delay_alu instid0(VALU_DEP_1)
	v_add_f64_e64 v[44:45], v[44:45], -v[48:49]
.LBB93_303:                             ;   in Loop: Header=BB93_161 Depth=1
	s_or_b32 exec_lo, exec_lo, s36
                                        ; implicit-def: $vgpr50
                                        ; implicit-def: $vgpr46_vgpr47
                                        ; implicit-def: $vgpr48_vgpr49
	s_and_saveexec_b32 s36, s35
	s_delay_alu instid0(SALU_CYCLE_1)
	s_xor_b32 s35, exec_lo, s36
	s_cbranch_execz .LBB93_309
; %bb.304:                              ;   in Loop: Header=BB93_161 Depth=1
	v_ldexp_f64 v[46:47], |v[2:3]|, 0xffffff80
	v_cmp_le_f64_e64 vcc_lo, 0x7b000000, |v[2:3]|
	v_trig_preop_f64 v[48:49], |v[2:3]|, 0
	v_and_b32_e32 v27, 0x7fffffff, v3
	v_trig_preop_f64 v[50:51], |v[2:3]|, 1
	v_trig_preop_f64 v[60:61], |v[2:3]|, 2
	s_delay_alu instid0(VALU_DEP_3) | instskip(NEXT) | instid1(VALU_DEP_1)
	v_dual_cndmask_b32 v47, v27, v47 :: v_dual_cndmask_b32 v46, v2, v46
	v_mul_f64_e32 v[52:53], v[48:49], v[46:47]
	s_delay_alu instid0(VALU_DEP_4) | instskip(NEXT) | instid1(VALU_DEP_4)
	v_mul_f64_e32 v[54:55], v[50:51], v[46:47]
	v_mul_f64_e32 v[66:67], v[60:61], v[46:47]
	s_delay_alu instid0(VALU_DEP_3) | instskip(NEXT) | instid1(VALU_DEP_3)
	v_fma_f64 v[48:49], v[48:49], v[46:47], -v[52:53]
	v_fma_f64 v[50:51], v[50:51], v[46:47], -v[54:55]
	s_delay_alu instid0(VALU_DEP_3) | instskip(NEXT) | instid1(VALU_DEP_3)
	v_fma_f64 v[46:47], v[60:61], v[46:47], -v[66:67]
	v_add_f64_e32 v[56:57], v[54:55], v[48:49]
	s_delay_alu instid0(VALU_DEP_1) | instskip(SKIP_1) | instid1(VALU_DEP_2)
	v_add_f64_e64 v[58:59], v[56:57], -v[54:55]
	v_add_f64_e32 v[64:65], v[52:53], v[56:57]
	v_add_f64_e64 v[62:63], v[56:57], -v[58:59]
	v_add_f64_e64 v[48:49], v[48:49], -v[58:59]
	s_delay_alu instid0(VALU_DEP_3) | instskip(NEXT) | instid1(VALU_DEP_3)
	v_ldexp_f64 v[58:59], v[64:65], -2
	v_add_f64_e64 v[54:55], v[54:55], -v[62:63]
	v_add_f64_e32 v[62:63], v[66:67], v[50:51]
	s_delay_alu instid0(VALU_DEP_3) | instskip(NEXT) | instid1(VALU_DEP_3)
	v_cmp_neq_f64_e64 vcc_lo, 0x7ff00000, |v[58:59]|
	v_add_f64_e32 v[48:49], v[48:49], v[54:55]
	v_fract_f64_e32 v[54:55], v[58:59]
	s_delay_alu instid0(VALU_DEP_1) | instskip(NEXT) | instid1(VALU_DEP_1)
	v_ldexp_f64 v[54:55], v[54:55], 2
	v_dual_add_f64 v[52:53], v[64:65], -v[52:53] :: v_dual_cndmask_b32 v54, 0, v54, vcc_lo
	s_delay_alu instid0(VALU_DEP_1) | instskip(SKIP_1) | instid1(VALU_DEP_1)
	v_dual_add_f64 v[52:53], v[56:57], -v[52:53] :: v_dual_cndmask_b32 v55, 0, v55, vcc_lo
	v_add_f64_e32 v[56:57], v[62:63], v[48:49]
	v_add_f64_e32 v[58:59], v[52:53], v[56:57]
	v_add_f64_e64 v[68:69], v[56:57], -v[62:63]
	s_delay_alu instid0(VALU_DEP_2) | instskip(NEXT) | instid1(VALU_DEP_2)
	v_add_f64_e32 v[64:65], v[58:59], v[54:55]
	v_add_f64_e64 v[74:75], v[56:57], -v[68:69]
	v_add_f64_e64 v[48:49], v[48:49], -v[68:69]
	;; [unrolled: 1-line block ×3, first 2 shown]
	s_delay_alu instid0(VALU_DEP_4) | instskip(SKIP_2) | instid1(VALU_DEP_2)
	v_cmp_gt_f64_e32 vcc_lo, 0, v[64:65]
	v_add_f64_e64 v[64:65], v[62:63], -v[66:67]
	v_cndmask_b32_e64 v27, 0, 0x40100000, vcc_lo
	v_add_f64_e64 v[72:73], v[62:63], -v[64:65]
	v_add_f64_e64 v[50:51], v[50:51], -v[64:65]
	;; [unrolled: 1-line block ×3, first 2 shown]
	s_delay_alu instid0(VALU_DEP_4) | instskip(NEXT) | instid1(VALU_DEP_4)
	v_add_f64_e32 v[54:55], v[54:55], v[26:27]
	v_add_f64_e64 v[64:65], v[66:67], -v[72:73]
	s_delay_alu instid0(VALU_DEP_3) | instskip(NEXT) | instid1(VALU_DEP_3)
	v_add_f64_e32 v[48:49], v[48:49], v[62:63]
	v_add_f64_e32 v[70:71], v[58:59], v[54:55]
	s_delay_alu instid0(VALU_DEP_3) | instskip(NEXT) | instid1(VALU_DEP_2)
	v_add_f64_e32 v[50:51], v[50:51], v[64:65]
	v_cvt_i32_f64_e32 v27, v[70:71]
	s_delay_alu instid0(VALU_DEP_2) | instskip(SKIP_1) | instid1(VALU_DEP_3)
	v_add_f64_e32 v[48:49], v[50:51], v[48:49]
	v_add_f64_e64 v[50:51], v[56:57], -v[52:53]
	v_cvt_f64_i32_e32 v[68:69], v27
	s_delay_alu instid0(VALU_DEP_3) | instskip(NEXT) | instid1(VALU_DEP_2)
	v_add_f64_e32 v[46:47], v[46:47], v[48:49]
	v_add_f64_e64 v[54:55], v[54:55], -v[68:69]
	s_delay_alu instid0(VALU_DEP_2) | instskip(NEXT) | instid1(VALU_DEP_2)
	v_add_f64_e32 v[46:47], v[50:51], v[46:47]
	v_add_f64_e32 v[60:61], v[58:59], v[54:55]
	s_delay_alu instid0(VALU_DEP_1) | instskip(SKIP_1) | instid1(VALU_DEP_2)
	v_add_f64_e64 v[48:49], v[60:61], -v[54:55]
	v_cmp_le_f64_e32 vcc_lo, 0.5, v[60:61]
	v_add_f64_e64 v[48:49], v[58:59], -v[48:49]
	v_add_co_ci_u32_e64 v50, null, 0, v27, vcc_lo
	v_cndmask_b32_e64 v27, 0, 0x3ff00000, vcc_lo
	s_delay_alu instid0(VALU_DEP_3) | instskip(NEXT) | instid1(VALU_DEP_2)
	v_add_f64_e32 v[46:47], v[46:47], v[48:49]
	v_add_f64_e64 v[48:49], v[60:61], -v[26:27]
	s_delay_alu instid0(VALU_DEP_1) | instskip(NEXT) | instid1(VALU_DEP_1)
	v_add_f64_e32 v[52:53], v[48:49], v[46:47]
	v_mul_f64_e32 v[54:55], 0x3ff921fb54442d18, v[52:53]
	v_add_f64_e64 v[48:49], v[52:53], -v[48:49]
	s_delay_alu instid0(VALU_DEP_2) | instskip(NEXT) | instid1(VALU_DEP_2)
	v_fma_f64 v[56:57], v[52:53], s[12:13], -v[54:55]
	v_add_f64_e64 v[46:47], v[46:47], -v[48:49]
	s_delay_alu instid0(VALU_DEP_2) | instskip(NEXT) | instid1(VALU_DEP_1)
	v_fmac_f64_e32 v[56:57], 0x3c91a62633145c07, v[52:53]
	v_fmac_f64_e32 v[56:57], 0x3ff921fb54442d18, v[46:47]
	s_delay_alu instid0(VALU_DEP_1) | instskip(NEXT) | instid1(VALU_DEP_1)
	v_add_f64_e32 v[46:47], v[54:55], v[56:57]
	v_add_f64_e64 v[48:49], v[46:47], -v[54:55]
	s_delay_alu instid0(VALU_DEP_1)
	v_add_f64_e64 v[48:49], v[56:57], -v[48:49]
	s_and_not1_saveexec_b32 s35, s35
	s_cbranch_execnz .LBB93_310
	s_branch .LBB93_311
.LBB93_305:                             ;   in Loop: Header=BB93_161 Depth=1
	s_and_not1_saveexec_b32 s5, s5
	s_cbranch_execz .LBB93_307
.LBB93_306:                             ;   in Loop: Header=BB93_161 Depth=1
	v_mul_f64_e64 v[4:5], |v[2:3]|, s[14:15]
	s_delay_alu instid0(VALU_DEP_1) | instskip(NEXT) | instid1(VALU_DEP_1)
	v_rndne_f64_e32 v[44:45], v[4:5]
	v_fma_f64 v[4:5], v[44:45], s[16:17], |v[2:3]|
	v_mul_f64_e32 v[14:15], 0xbc91a62633145c00, v[44:45]
	s_delay_alu instid0(VALU_DEP_2) | instskip(NEXT) | instid1(VALU_DEP_2)
	v_fmamk_f64 v[50:51], v[44:45], 0xbc91a62633145c00, v[4:5]
	v_add_f64_e32 v[46:47], v[4:5], v[14:15]
	s_delay_alu instid0(VALU_DEP_1) | instskip(NEXT) | instid1(VALU_DEP_3)
	v_add_f64_e64 v[48:49], v[4:5], -v[46:47]
	v_add_f64_e64 v[4:5], v[46:47], -v[50:51]
	s_delay_alu instid0(VALU_DEP_2) | instskip(SKIP_2) | instid1(VALU_DEP_3)
	v_add_f64_e32 v[46:47], v[48:49], v[14:15]
	v_fmamk_f64 v[14:15], v[44:45], 0x3c91a62633145c00, v[14:15]
	v_cvt_i32_f64_e32 v48, v[44:45]
	v_add_f64_e32 v[4:5], v[4:5], v[46:47]
	s_delay_alu instid0(VALU_DEP_1) | instskip(NEXT) | instid1(VALU_DEP_1)
	v_add_f64_e64 v[14:15], v[4:5], -v[14:15]
	v_fmac_f64_e32 v[14:15], 0xb97b839a252049c0, v[44:45]
	s_delay_alu instid0(VALU_DEP_1) | instskip(NEXT) | instid1(VALU_DEP_1)
	v_add_f64_e32 v[4:5], v[50:51], v[14:15]
	v_add_f64_e64 v[46:47], v[4:5], -v[50:51]
	s_delay_alu instid0(VALU_DEP_1)
	v_add_f64_e64 v[14:15], v[14:15], -v[46:47]
.LBB93_307:                             ;   in Loop: Header=BB93_161 Depth=1
	s_or_b32 exec_lo, exec_lo, s5
                                        ; implicit-def: $vgpr49
                                        ; implicit-def: $vgpr44_vgpr45
                                        ; implicit-def: $vgpr46_vgpr47
	s_and_saveexec_b32 s5, s4
	s_delay_alu instid0(SALU_CYCLE_1)
	s_xor_b32 s4, exec_lo, s5
	s_cbranch_execz .LBB93_320
; %bb.308:                              ;   in Loop: Header=BB93_161 Depth=1
	v_ldexp_f64 v[44:45], |v[2:3]|, 0xffffff80
	v_cmp_le_f64_e64 vcc_lo, 0x7b000000, |v[2:3]|
	v_trig_preop_f64 v[46:47], |v[2:3]|, 0
	v_and_b32_e32 v27, 0x7fffffff, v3
	v_trig_preop_f64 v[50:51], |v[2:3]|, 1
	v_trig_preop_f64 v[60:61], |v[2:3]|, 2
	s_delay_alu instid0(VALU_DEP_3) | instskip(NEXT) | instid1(VALU_DEP_1)
	v_dual_cndmask_b32 v45, v27, v45 :: v_dual_cndmask_b32 v44, v2, v44
	v_mul_f64_e32 v[52:53], v[46:47], v[44:45]
	s_delay_alu instid0(VALU_DEP_4) | instskip(NEXT) | instid1(VALU_DEP_4)
	v_mul_f64_e32 v[54:55], v[50:51], v[44:45]
	v_mul_f64_e32 v[66:67], v[60:61], v[44:45]
	s_delay_alu instid0(VALU_DEP_3) | instskip(NEXT) | instid1(VALU_DEP_3)
	v_fma_f64 v[46:47], v[46:47], v[44:45], -v[52:53]
	v_fma_f64 v[50:51], v[50:51], v[44:45], -v[54:55]
	s_delay_alu instid0(VALU_DEP_3) | instskip(NEXT) | instid1(VALU_DEP_3)
	v_fma_f64 v[44:45], v[60:61], v[44:45], -v[66:67]
	v_add_f64_e32 v[56:57], v[54:55], v[46:47]
	s_delay_alu instid0(VALU_DEP_1) | instskip(SKIP_1) | instid1(VALU_DEP_2)
	v_add_f64_e64 v[58:59], v[56:57], -v[54:55]
	v_add_f64_e32 v[64:65], v[52:53], v[56:57]
	v_add_f64_e64 v[62:63], v[56:57], -v[58:59]
	v_add_f64_e64 v[46:47], v[46:47], -v[58:59]
	s_delay_alu instid0(VALU_DEP_3) | instskip(NEXT) | instid1(VALU_DEP_3)
	v_ldexp_f64 v[58:59], v[64:65], -2
	v_add_f64_e64 v[54:55], v[54:55], -v[62:63]
	v_add_f64_e32 v[62:63], v[66:67], v[50:51]
	s_delay_alu instid0(VALU_DEP_3) | instskip(NEXT) | instid1(VALU_DEP_3)
	v_cmp_neq_f64_e64 vcc_lo, 0x7ff00000, |v[58:59]|
	v_add_f64_e32 v[46:47], v[46:47], v[54:55]
	v_fract_f64_e32 v[54:55], v[58:59]
	s_delay_alu instid0(VALU_DEP_1) | instskip(NEXT) | instid1(VALU_DEP_1)
	v_ldexp_f64 v[54:55], v[54:55], 2
	v_dual_add_f64 v[52:53], v[64:65], -v[52:53] :: v_dual_cndmask_b32 v55, 0, v55, vcc_lo
	s_delay_alu instid0(VALU_DEP_1) | instskip(SKIP_1) | instid1(VALU_DEP_1)
	v_dual_add_f64 v[52:53], v[56:57], -v[52:53] :: v_dual_cndmask_b32 v54, 0, v54, vcc_lo
	v_add_f64_e32 v[56:57], v[62:63], v[46:47]
	v_add_f64_e32 v[58:59], v[52:53], v[56:57]
	v_add_f64_e64 v[68:69], v[56:57], -v[62:63]
	s_delay_alu instid0(VALU_DEP_2) | instskip(NEXT) | instid1(VALU_DEP_2)
	v_add_f64_e32 v[64:65], v[58:59], v[54:55]
	v_add_f64_e64 v[74:75], v[56:57], -v[68:69]
	v_add_f64_e64 v[46:47], v[46:47], -v[68:69]
	;; [unrolled: 1-line block ×3, first 2 shown]
	s_delay_alu instid0(VALU_DEP_4) | instskip(SKIP_1) | instid1(VALU_DEP_3)
	v_cmp_gt_f64_e32 vcc_lo, 0, v[64:65]
	v_add_f64_e64 v[64:65], v[62:63], -v[66:67]
	v_add_f64_e64 v[52:53], v[56:57], -v[52:53]
	v_cndmask_b32_e64 v27, 0, 0x40100000, vcc_lo
	s_delay_alu instid0(VALU_DEP_3) | instskip(SKIP_2) | instid1(VALU_DEP_4)
	v_add_f64_e64 v[72:73], v[62:63], -v[64:65]
	v_add_f64_e64 v[50:51], v[50:51], -v[64:65]
	;; [unrolled: 1-line block ×3, first 2 shown]
	v_add_f64_e32 v[54:55], v[54:55], v[26:27]
	s_delay_alu instid0(VALU_DEP_4) | instskip(NEXT) | instid1(VALU_DEP_3)
	v_add_f64_e64 v[64:65], v[66:67], -v[72:73]
	v_add_f64_e32 v[46:47], v[46:47], v[62:63]
	s_delay_alu instid0(VALU_DEP_3) | instskip(NEXT) | instid1(VALU_DEP_3)
	v_add_f64_e32 v[70:71], v[58:59], v[54:55]
	v_add_f64_e32 v[50:51], v[50:51], v[64:65]
	s_delay_alu instid0(VALU_DEP_2) | instskip(NEXT) | instid1(VALU_DEP_2)
	v_cvt_i32_f64_e32 v27, v[70:71]
	v_add_f64_e32 v[46:47], v[50:51], v[46:47]
	s_delay_alu instid0(VALU_DEP_2) | instskip(NEXT) | instid1(VALU_DEP_2)
	v_cvt_f64_i32_e32 v[68:69], v27
	v_add_f64_e32 v[44:45], v[44:45], v[46:47]
	s_delay_alu instid0(VALU_DEP_2) | instskip(NEXT) | instid1(VALU_DEP_2)
	v_add_f64_e64 v[54:55], v[54:55], -v[68:69]
	v_add_f64_e32 v[44:45], v[52:53], v[44:45]
	s_delay_alu instid0(VALU_DEP_2) | instskip(NEXT) | instid1(VALU_DEP_1)
	v_add_f64_e32 v[50:51], v[58:59], v[54:55]
	v_add_f64_e64 v[46:47], v[50:51], -v[54:55]
	v_cmp_le_f64_e32 vcc_lo, 0.5, v[50:51]
	s_delay_alu instid0(VALU_DEP_2) | instskip(SKIP_2) | instid1(VALU_DEP_3)
	v_add_f64_e64 v[46:47], v[58:59], -v[46:47]
	v_add_co_ci_u32_e64 v49, null, 0, v27, vcc_lo
	v_cndmask_b32_e64 v27, 0, 0x3ff00000, vcc_lo
	v_add_f64_e32 v[44:45], v[44:45], v[46:47]
	s_delay_alu instid0(VALU_DEP_2) | instskip(NEXT) | instid1(VALU_DEP_1)
	v_add_f64_e64 v[46:47], v[50:51], -v[26:27]
	v_add_f64_e32 v[50:51], v[46:47], v[44:45]
	s_delay_alu instid0(VALU_DEP_1) | instskip(SKIP_1) | instid1(VALU_DEP_2)
	v_mul_f64_e32 v[52:53], 0x3ff921fb54442d18, v[50:51]
	v_add_f64_e64 v[46:47], v[50:51], -v[46:47]
	v_fma_f64 v[54:55], v[50:51], s[12:13], -v[52:53]
	s_delay_alu instid0(VALU_DEP_2) | instskip(NEXT) | instid1(VALU_DEP_2)
	v_add_f64_e64 v[44:45], v[44:45], -v[46:47]
	v_fmac_f64_e32 v[54:55], 0x3c91a62633145c07, v[50:51]
	s_delay_alu instid0(VALU_DEP_1) | instskip(NEXT) | instid1(VALU_DEP_1)
	v_fmac_f64_e32 v[54:55], 0x3ff921fb54442d18, v[44:45]
	v_add_f64_e32 v[44:45], v[52:53], v[54:55]
	s_delay_alu instid0(VALU_DEP_1) | instskip(NEXT) | instid1(VALU_DEP_1)
	v_add_f64_e64 v[46:47], v[44:45], -v[52:53]
	v_add_f64_e64 v[46:47], v[54:55], -v[46:47]
	s_and_not1_saveexec_b32 s4, s4
	s_cbranch_execnz .LBB93_321
	s_branch .LBB93_322
.LBB93_309:                             ;   in Loop: Header=BB93_161 Depth=1
	s_and_not1_saveexec_b32 s35, s35
	s_cbranch_execz .LBB93_311
.LBB93_310:                             ;   in Loop: Header=BB93_161 Depth=1
	v_mul_f64_e64 v[46:47], |v[2:3]|, s[14:15]
	s_delay_alu instid0(VALU_DEP_1) | instskip(NEXT) | instid1(VALU_DEP_1)
	v_rndne_f64_e32 v[50:51], v[46:47]
	v_fma_f64 v[46:47], v[50:51], s[16:17], |v[2:3]|
	v_mul_f64_e32 v[48:49], 0xbc91a62633145c00, v[50:51]
	s_delay_alu instid0(VALU_DEP_2) | instskip(NEXT) | instid1(VALU_DEP_2)
	v_fmamk_f64 v[56:57], v[50:51], 0xbc91a62633145c00, v[46:47]
	v_add_f64_e32 v[52:53], v[46:47], v[48:49]
	s_delay_alu instid0(VALU_DEP_1) | instskip(NEXT) | instid1(VALU_DEP_3)
	v_add_f64_e64 v[54:55], v[46:47], -v[52:53]
	v_add_f64_e64 v[46:47], v[52:53], -v[56:57]
	s_delay_alu instid0(VALU_DEP_2) | instskip(SKIP_1) | instid1(VALU_DEP_2)
	v_add_f64_e32 v[52:53], v[54:55], v[48:49]
	v_fmamk_f64 v[48:49], v[50:51], 0x3c91a62633145c00, v[48:49]
	v_add_f64_e32 v[46:47], v[46:47], v[52:53]
	s_delay_alu instid0(VALU_DEP_1) | instskip(NEXT) | instid1(VALU_DEP_1)
	v_add_f64_e64 v[48:49], v[46:47], -v[48:49]
	v_fmac_f64_e32 v[48:49], 0xb97b839a252049c0, v[50:51]
	v_cvt_i32_f64_e32 v50, v[50:51]
	s_delay_alu instid0(VALU_DEP_2) | instskip(NEXT) | instid1(VALU_DEP_1)
	v_add_f64_e32 v[46:47], v[56:57], v[48:49]
	v_add_f64_e64 v[52:53], v[46:47], -v[56:57]
	s_delay_alu instid0(VALU_DEP_1)
	v_add_f64_e64 v[48:49], v[48:49], -v[52:53]
.LBB93_311:                             ;   in Loop: Header=BB93_161 Depth=1
	s_or_b32 exec_lo, exec_lo, s35
	v_dual_mul_f64 v[52:53], v[14:15], v[14:15] :: v_dual_bitop2_b32 v2, 1, v16 bitop3:0x40
	v_dual_mul_f64 v[54:55], v[46:47], v[46:47] :: v_dual_lshlrev_b32 v16, 30, v16
	s_delay_alu instid0(VALU_DEP_3) | instskip(SKIP_1) | instid1(VALU_DEP_4)
	v_mul_f64_e32 v[76:77], 0.5, v[48:49]
	v_mul_f64_e64 v[58:59], |v[4:5]|, s[26:27]
	v_cmp_eq_u32_e32 vcc_lo, 0, v2
	s_delay_alu instid0(VALU_DEP_4)
	v_dual_mul_f64 v[64:65], 0.5, v[44:45] :: v_dual_bitop2_b32 v3, v16, v3 bitop3:0x14
	v_mul_f64_e64 v[66:67], v[14:15], -v[52:53]
	v_mul_f64_e32 v[56:57], 0.5, v[52:53]
	v_fmamk_f64 v[72:73], v[52:53], 0x3de5e0b2f9a43bb8, v[34:35]
	v_mul_f64_e64 v[78:79], v[46:47], -v[54:55]
	v_fmamk_f64 v[80:81], v[54:55], 0x3de5e0b2f9a43bb8, v[34:35]
	v_rndne_f64_e32 v[58:59], v[58:59]
	s_delay_alu instid0(VALU_DEP_4) | instskip(NEXT) | instid1(VALU_DEP_1)
	v_fmaak_f64 v[72:73], v[52:53], v[72:73], 0x3ec71de3796cde01
	v_fmaak_f64 v[72:73], v[52:53], v[72:73], 0xbf2a01a019e83e5c
	s_delay_alu instid0(VALU_DEP_1) | instskip(NEXT) | instid1(VALU_DEP_1)
	v_fmaak_f64 v[72:73], v[52:53], v[72:73], 0x3f81111111110bb3
	v_fmac_f64_e32 v[64:65], v[66:67], v[72:73]
	v_add_f64_e64 v[62:63], -v[56:57], 1.0
	v_fma_f64 v[74:75], v[58:59], s[18:19], -|v[4:5]|
	v_cvt_i32_f64_e32 v16, v[58:59]
	s_delay_alu instid0(VALU_DEP_4) | instskip(NEXT) | instid1(VALU_DEP_4)
	v_fma_f64 v[64:65], v[52:53], v[64:65], -v[44:45]
	v_add_f64_e64 v[70:71], -v[62:63], 1.0
	s_delay_alu instid0(VALU_DEP_4) | instskip(NEXT) | instid1(VALU_DEP_3)
	v_fmac_f64_e32 v[74:75], 0xbc7abc9e3b39803f, v[58:59]
	v_fmac_f64_e32 v[64:65], 0xbfc5555555555555, v[66:67]
	s_delay_alu instid0(VALU_DEP_3) | instskip(SKIP_2) | instid1(VALU_DEP_2)
	v_add_f64_e64 v[56:57], v[70:71], -v[56:57]
	v_fmaak_f64 v[70:71], v[54:55], v[80:81], 0x3ec71de3796cde01
	v_fmamk_f64 v[80:81], v[52:53], 0xbda907db46cc5e42, v[32:33]
	v_fmaak_f64 v[70:71], v[54:55], v[70:71], 0xbf2a01a019e83e5c
	s_delay_alu instid0(VALU_DEP_1) | instskip(NEXT) | instid1(VALU_DEP_1)
	v_fmaak_f64 v[70:71], v[54:55], v[70:71], 0x3f81111111110bb3
	v_fmac_f64_e32 v[76:77], v[78:79], v[70:71]
	v_mul_f64_e32 v[70:71], v[52:53], v[52:53]
	v_fma_f64 v[44:45], v[14:15], -v[44:45], v[56:57]
	v_fmaak_f64 v[56:57], v[52:53], v[80:81], 0xbe927e4fa17f65f6
	v_add_f64_e64 v[14:15], v[14:15], -v[64:65]
	v_mul_f64_e32 v[80:81], v[54:55], v[54:55]
	s_delay_alu instid0(VALU_DEP_3) | instskip(NEXT) | instid1(VALU_DEP_1)
	v_fmaak_f64 v[56:57], v[52:53], v[56:57], 0x3efa01a019f4ec90
	v_fmaak_f64 v[56:57], v[52:53], v[56:57], 0xbf56c16c16c16967
	s_delay_alu instid0(VALU_DEP_1) | instskip(NEXT) | instid1(VALU_DEP_1)
	v_fmaak_f64 v[52:53], v[52:53], v[56:57], 0x3fa5555555555555
	v_fmac_f64_e32 v[44:45], v[70:71], v[52:53]
	s_delay_alu instid0(VALU_DEP_1) | instskip(NEXT) | instid1(VALU_DEP_1)
	v_add_f64_e32 v[44:45], v[62:63], v[44:45]
	v_dual_cndmask_b32 v27, v45, v15 :: v_dual_cndmask_b32 v2, v44, v14
	s_delay_alu instid0(VALU_DEP_1) | instskip(SKIP_1) | instid1(VALU_DEP_2)
	v_bitop3_b32 v3, v27, v3, 0x80000000 bitop3:0x78
	v_and_b32_e32 v27, 1, v50
	v_mul_f64_e32 v[2:3], 4.0, v[2:3]
	s_delay_alu instid0(VALU_DEP_2) | instskip(SKIP_1) | instid1(VALU_DEP_1)
	v_cmp_eq_u32_e32 vcc_lo, 0, v27
	v_mul_f64_e32 v[60:61], 0.5, v[54:55]
	v_add_f64_e64 v[68:69], -v[60:61], 1.0
	s_delay_alu instid0(VALU_DEP_1) | instskip(NEXT) | instid1(VALU_DEP_1)
	v_add_f64_e64 v[72:73], -v[68:69], 1.0
	v_add_f64_e64 v[60:61], v[72:73], -v[60:61]
	v_fmamk_f64 v[72:73], v[74:75], 0x3e5ade156a5dcb37, v[30:31]
	s_delay_alu instid0(VALU_DEP_1) | instskip(NEXT) | instid1(VALU_DEP_1)
	v_fmaak_f64 v[72:73], v[74:75], v[72:73], 0x3ec71dee623fde64
	v_fmaak_f64 v[72:73], v[74:75], v[72:73], 0x3efa01997c89e6b0
	s_delay_alu instid0(VALU_DEP_1) | instskip(SKIP_2) | instid1(VALU_DEP_3)
	v_fmaak_f64 v[56:57], v[74:75], v[72:73], 0x3f2a01a014761f6e
	v_fma_f64 v[72:73], v[54:55], v[76:77], -v[48:49]
	v_fmamk_f64 v[76:77], v[54:55], 0xbda907db46cc5e42, v[32:33]
	v_fmaak_f64 v[52:53], v[74:75], v[56:57], 0x3f56c16c1852b7b0
	s_delay_alu instid0(VALU_DEP_2) | instskip(SKIP_1) | instid1(VALU_DEP_3)
	v_fmaak_f64 v[56:57], v[54:55], v[76:77], 0xbe927e4fa17f65f6
	v_fma_f64 v[48:49], v[46:47], -v[48:49], v[60:61]
	v_fmaak_f64 v[52:53], v[74:75], v[52:53], 0x3f81111111122322
	s_delay_alu instid0(VALU_DEP_3) | instskip(NEXT) | instid1(VALU_DEP_2)
	v_fmaak_f64 v[56:57], v[54:55], v[56:57], 0x3efa01a019f4ec90
	v_fmaak_f64 v[52:53], v[74:75], v[52:53], 0x3fa55555555502a1
	s_delay_alu instid0(VALU_DEP_2) | instskip(NEXT) | instid1(VALU_DEP_2)
	v_fmaak_f64 v[56:57], v[54:55], v[56:57], 0xbf56c16c16c16967
	v_fmaak_f64 v[52:53], v[74:75], v[52:53], 0x3fc5555555555511
	s_delay_alu instid0(VALU_DEP_2) | instskip(SKIP_1) | instid1(VALU_DEP_3)
	v_fmaak_f64 v[54:55], v[54:55], v[56:57], 0x3fa5555555555555
	v_fmac_f64_e32 v[72:73], 0xbfc5555555555555, v[78:79]
	v_fmaak_f64 v[52:53], v[74:75], v[52:53], 0x3fe000000000000b
	s_delay_alu instid0(VALU_DEP_1) | instskip(NEXT) | instid1(VALU_DEP_4)
	v_fma_f64 v[52:53], v[74:75], v[52:53], 1.0
	v_fmac_f64_e32 v[48:49], v[80:81], v[54:55]
	s_delay_alu instid0(VALU_DEP_4) | instskip(NEXT) | instid1(VALU_DEP_3)
	v_add_f64_e64 v[46:47], v[46:47], -v[72:73]
	v_fma_f64 v[14:15], v[74:75], v[52:53], 1.0
	s_delay_alu instid0(VALU_DEP_3) | instskip(NEXT) | instid1(VALU_DEP_3)
	v_add_f64_e32 v[48:49], v[68:69], v[48:49]
	v_xor_b32_e32 v45, 0x80000000, v47
	s_delay_alu instid0(VALU_DEP_3) | instskip(NEXT) | instid1(VALU_DEP_2)
	v_ldexp_f64 v[14:15], v[14:15], v16
	v_dual_cndmask_b32 v27, v45, v49, vcc_lo :: v_dual_lshlrev_b32 v45, 30, v50
	s_delay_alu instid0(VALU_DEP_4) | instskip(SKIP_1) | instid1(VALU_DEP_3)
	v_cndmask_b32_e32 v44, v46, v48, vcc_lo
	v_cmp_nlt_f64_e64 vcc_lo, 0x4090cc00, |v[4:5]|
	v_bitop3_b32 v45, v27, v45, 0x80000000 bitop3:0x78
	v_bfi_b32 v27, 0x7fffffff, s33, v17
	s_delay_alu instid0(VALU_DEP_2) | instskip(NEXT) | instid1(VALU_DEP_2)
	v_mul_f64_e32 v[2:3], v[2:3], v[44:45]
	v_mov_b64_e32 v[16:17], v[26:27]
	v_dual_cndmask_b32 v5, 0, v15 :: v_dual_cndmask_b32 v4, 0, v14
	s_delay_alu instid0(VALU_DEP_1) | instskip(NEXT) | instid1(VALU_DEP_1)
	v_mul_f64_e32 v[2:3], v[4:5], v[2:3]
	v_mul_f64_e32 v[14:15], v[4:5], v[2:3]
.LBB93_312:                             ;   in Loop: Header=BB93_161 Depth=1
	s_or_b32 exec_lo, exec_lo, s4
                                        ; implicit-def: $vgpr2_vgpr3
.LBB93_313:                             ;   in Loop: Header=BB93_161 Depth=1
	s_and_not1_saveexec_b32 s4, s34
	s_cbranch_execz .LBB93_315
; %bb.314:                              ;   in Loop: Header=BB93_161 Depth=1
	v_add_f64_e64 v[14:15], v[2:3], -v[2:3]
	s_delay_alu instid0(VALU_DEP_1)
	v_mov_b64_e32 v[16:17], v[14:15]
.LBB93_315:                             ;   in Loop: Header=BB93_161 Depth=1
	s_or_b32 exec_lo, exec_lo, s4
                                        ; implicit-def: $vgpr2_vgpr3
	s_and_not1_saveexec_b32 s34, s5
	s_cbranch_execnz .LBB93_295
.LBB93_316:                             ;   in Loop: Header=BB93_161 Depth=1
	s_or_b32 exec_lo, exec_lo, s34
	s_and_saveexec_b32 s4, s0
	s_delay_alu instid0(SALU_CYCLE_1)
	s_xor_b32 s0, exec_lo, s4
	s_cbranch_execz .LBB93_325
.LBB93_317:                             ;   in Loop: Header=BB93_161 Depth=1
	v_xor_b32_e32 v9, 0x80000000, v9
	v_lshl_add_u64 v[2:3], v[36:37], 4, s[8:9]
	global_store_b128 v[2:3], v[6:9], off
	s_wait_xcnt 0x0
	s_or_b32 exec_lo, exec_lo, s0
	s_and_saveexec_b32 s0, s1
	s_cbranch_execnz .LBB93_326
.LBB93_318:                             ;   in Loop: Header=BB93_161 Depth=1
	s_or_b32 exec_lo, exec_lo, s0
	s_and_saveexec_b32 s0, s2
	s_cbranch_execz .LBB93_327
.LBB93_319:                             ;   in Loop: Header=BB93_161 Depth=1
	v_xor_b32_e32 v21, 0x80000000, v21
	v_lshl_add_u64 v[2:3], v[40:41], 4, s[8:9]
	global_store_b128 v[2:3], v[18:21], off
	s_wait_xcnt 0x0
	s_or_b32 exec_lo, exec_lo, s0
	s_and_saveexec_b32 s0, s3
	s_cbranch_execz .LBB93_160
	s_branch .LBB93_328
.LBB93_320:                             ;   in Loop: Header=BB93_161 Depth=1
	s_and_not1_saveexec_b32 s4, s4
	s_cbranch_execz .LBB93_322
.LBB93_321:                             ;   in Loop: Header=BB93_161 Depth=1
	v_mul_f64_e64 v[44:45], |v[2:3]|, s[14:15]
	s_delay_alu instid0(VALU_DEP_1) | instskip(NEXT) | instid1(VALU_DEP_1)
	v_rndne_f64_e32 v[50:51], v[44:45]
	v_fma_f64 v[44:45], v[50:51], s[16:17], |v[2:3]|
	v_mul_f64_e32 v[46:47], 0xbc91a62633145c00, v[50:51]
	v_cvt_i32_f64_e32 v49, v[50:51]
	s_delay_alu instid0(VALU_DEP_3) | instskip(NEXT) | instid1(VALU_DEP_3)
	v_fmamk_f64 v[56:57], v[50:51], 0xbc91a62633145c00, v[44:45]
	v_add_f64_e32 v[52:53], v[44:45], v[46:47]
	s_delay_alu instid0(VALU_DEP_1) | instskip(NEXT) | instid1(VALU_DEP_3)
	v_add_f64_e64 v[54:55], v[44:45], -v[52:53]
	v_add_f64_e64 v[44:45], v[52:53], -v[56:57]
	s_delay_alu instid0(VALU_DEP_2) | instskip(SKIP_1) | instid1(VALU_DEP_2)
	v_add_f64_e32 v[52:53], v[54:55], v[46:47]
	v_fmamk_f64 v[46:47], v[50:51], 0x3c91a62633145c00, v[46:47]
	v_add_f64_e32 v[44:45], v[44:45], v[52:53]
	s_delay_alu instid0(VALU_DEP_1) | instskip(NEXT) | instid1(VALU_DEP_1)
	v_add_f64_e64 v[46:47], v[44:45], -v[46:47]
	v_fmac_f64_e32 v[46:47], 0xb97b839a252049c0, v[50:51]
	s_delay_alu instid0(VALU_DEP_1) | instskip(NEXT) | instid1(VALU_DEP_1)
	v_add_f64_e32 v[44:45], v[56:57], v[46:47]
	v_add_f64_e64 v[52:53], v[44:45], -v[56:57]
	s_delay_alu instid0(VALU_DEP_1)
	v_add_f64_e64 v[46:47], v[46:47], -v[52:53]
.LBB93_322:                             ;   in Loop: Header=BB93_161 Depth=1
	s_or_b32 exec_lo, exec_lo, s4
	v_mul_f64_e32 v[50:51], v[4:5], v[4:5]
	v_cmp_class_f64_e64 s4, v[2:3], 0x1f8
	s_delay_alu instid0(VALU_DEP_3) | instskip(SKIP_1) | instid1(VALU_DEP_2)
	v_dual_mul_f64 v[70:71], 0.5, v[46:47] :: v_dual_bitop2_b32 v27, 1, v48 bitop3:0x40
	v_and_b32_e32 v2, 1, v49
	v_cmp_eq_u32_e32 vcc_lo, 0, v27
	s_delay_alu instid0(VALU_DEP_2)
	v_cmp_eq_u32_e64 s5, 0, v2
	v_mul_f64_e32 v[52:53], v[44:45], v[44:45]
	v_dual_mul_f64 v[62:63], 0.5, v[14:15] :: v_dual_lshlrev_b32 v2, 30, v49
	v_mul_f64_e32 v[54:55], 0.5, v[50:51]
	v_mul_f64_e64 v[64:65], v[4:5], -v[50:51]
	v_fmamk_f64 v[68:69], v[50:51], 0x3de5e0b2f9a43bb8, v[34:35]
	s_delay_alu instid0(VALU_DEP_1) | instskip(SKIP_3) | instid1(VALU_DEP_4)
	v_fmaak_f64 v[68:69], v[50:51], v[68:69], 0x3ec71de3796cde01
	v_mul_f64_e32 v[56:57], 0.5, v[52:53]
	v_mul_f64_e64 v[72:73], v[44:45], -v[52:53]
	v_fmamk_f64 v[74:75], v[52:53], 0x3de5e0b2f9a43bb8, v[34:35]
	v_fmaak_f64 v[68:69], v[50:51], v[68:69], 0xbf2a01a019e83e5c
	s_delay_alu instid0(VALU_DEP_2) | instskip(NEXT) | instid1(VALU_DEP_2)
	v_fmaak_f64 v[74:75], v[52:53], v[74:75], 0x3ec71de3796cde01
	v_fmaak_f64 v[68:69], v[50:51], v[68:69], 0x3f81111111110bb3
	v_add_f64_e64 v[58:59], -v[54:55], 1.0
	s_delay_alu instid0(VALU_DEP_2) | instskip(SKIP_2) | instid1(VALU_DEP_4)
	v_fmac_f64_e32 v[62:63], v[64:65], v[68:69]
	v_mul_f64_e32 v[68:69], v[50:51], v[50:51]
	v_add_f64_e64 v[60:61], -v[56:57], 1.0
	v_add_f64_e64 v[66:67], -v[58:59], 1.0
	s_delay_alu instid0(VALU_DEP_4) | instskip(NEXT) | instid1(VALU_DEP_3)
	v_fma_f64 v[62:63], v[50:51], v[62:63], -v[14:15]
	v_add_f64_e64 v[76:77], -v[60:61], 1.0
	s_delay_alu instid0(VALU_DEP_3) | instskip(SKIP_1) | instid1(VALU_DEP_4)
	v_add_f64_e64 v[54:55], v[66:67], -v[54:55]
	v_fmaak_f64 v[66:67], v[52:53], v[74:75], 0xbf2a01a019e83e5c
	v_fmac_f64_e32 v[62:63], 0xbfc5555555555555, v[64:65]
	v_mul_f64_e32 v[74:75], v[52:53], v[52:53]
	s_delay_alu instid0(VALU_DEP_3) | instskip(SKIP_1) | instid1(VALU_DEP_2)
	v_fmaak_f64 v[66:67], v[52:53], v[66:67], 0x3f81111111110bb3
	v_add_f64_e64 v[56:57], v[76:77], -v[56:57]
	v_fmac_f64_e32 v[70:71], v[72:73], v[66:67]
	v_fmamk_f64 v[66:67], v[50:51], 0xbda907db46cc5e42, v[32:33]
	v_fma_f64 v[14:15], v[4:5], -v[14:15], v[54:55]
	s_delay_alu instid0(VALU_DEP_2) | instskip(SKIP_1) | instid1(VALU_DEP_2)
	v_fmaak_f64 v[54:55], v[50:51], v[66:67], 0xbe927e4fa17f65f6
	v_add_f64_e64 v[4:5], v[4:5], -v[62:63]
	v_fmaak_f64 v[54:55], v[50:51], v[54:55], 0x3efa01a019f4ec90
	s_delay_alu instid0(VALU_DEP_1) | instskip(NEXT) | instid1(VALU_DEP_1)
	v_fmaak_f64 v[54:55], v[50:51], v[54:55], 0xbf56c16c16c16967
	v_fmaak_f64 v[50:51], v[50:51], v[54:55], 0x3fa5555555555555
	s_delay_alu instid0(VALU_DEP_1) | instskip(NEXT) | instid1(VALU_DEP_1)
	v_fmac_f64_e32 v[14:15], v[68:69], v[50:51]
	v_add_f64_e32 v[14:15], v[58:59], v[14:15]
	v_fma_f64 v[66:67], v[52:53], v[70:71], -v[46:47]
	v_fmamk_f64 v[70:71], v[52:53], 0xbda907db46cc5e42, v[32:33]
	v_fma_f64 v[46:47], v[44:45], -v[46:47], v[56:57]
	s_delay_alu instid0(VALU_DEP_2) | instskip(NEXT) | instid1(VALU_DEP_1)
	v_fmaak_f64 v[54:55], v[52:53], v[70:71], 0xbe927e4fa17f65f6
	v_fmaak_f64 v[50:51], v[52:53], v[54:55], 0x3efa01a019f4ec90
	s_delay_alu instid0(VALU_DEP_1) | instskip(NEXT) | instid1(VALU_DEP_1)
	v_fmaak_f64 v[50:51], v[52:53], v[50:51], 0xbf56c16c16c16967
	v_fmaak_f64 v[50:51], v[52:53], v[50:51], 0x3fa5555555555555
	v_cndmask_b32_e32 v5, v15, v5, vcc_lo
	v_fmac_f64_e32 v[66:67], 0xbfc5555555555555, v[72:73]
	v_cndmask_b32_e32 v4, v14, v4, vcc_lo
	v_lshlrev_b32_e32 v14, 30, v48
	v_fmac_f64_e32 v[46:47], v[74:75], v[50:51]
	s_delay_alu instid0(VALU_DEP_2) | instskip(NEXT) | instid1(VALU_DEP_1)
	v_xor_b32_e32 v3, v14, v3
	v_bitop3_b32 v3, v5, v3, 0x80000000 bitop3:0x78
	s_delay_alu instid0(VALU_DEP_1) | instskip(SKIP_2) | instid1(VALU_DEP_2)
	v_cndmask_b32_e64 v3, 0x7ff80000, v3, s4
	v_add_f64_e64 v[44:45], v[44:45], -v[66:67]
	v_add_f64_e32 v[46:47], v[60:61], v[46:47]
	v_xor_b32_e32 v27, 0x80000000, v45
	s_delay_alu instid0(VALU_DEP_1) | instskip(NEXT) | instid1(VALU_DEP_1)
	v_dual_cndmask_b32 v14, v44, v46, s5 :: v_dual_cndmask_b32 v15, v27, v47, s5
	v_bitop3_b32 v5, v15, v2, 0x80000000 bitop3:0x78
	s_delay_alu instid0(VALU_DEP_2) | instskip(NEXT) | instid1(VALU_DEP_2)
	v_dual_cndmask_b32 v2, 0, v4, s4 :: v_dual_cndmask_b32 v4, 0, v14, s4
	v_cndmask_b32_e64 v5, 0x7ff80000, v5, s4
	s_delay_alu instid0(VALU_DEP_1)
	v_mul_f64_e32 v[2:3], v[2:3], v[4:5]
.LBB93_323:                             ;   in Loop: Header=BB93_161 Depth=1
	s_or_b32 exec_lo, exec_lo, s36
	s_delay_alu instid0(VALU_DEP_1) | instskip(SKIP_1) | instid1(VALU_DEP_2)
	v_bfi_b32 v27, 0x7fffffff, 0, v3
	v_add_nc_u32_e32 v17, -2.0, v17
	v_mov_b64_e32 v[14:15], v[26:27]
.LBB93_324:                             ;   in Loop: Header=BB93_161 Depth=1
	s_or_b32 exec_lo, exec_lo, s35
	s_delay_alu instid0(SALU_CYCLE_1) | instskip(SKIP_1) | instid1(SALU_CYCLE_1)
	s_or_b32 exec_lo, exec_lo, s34
	s_and_saveexec_b32 s4, s0
	s_xor_b32 s0, exec_lo, s4
	s_cbranch_execnz .LBB93_317
.LBB93_325:                             ;   in Loop: Header=BB93_161 Depth=1
	s_or_b32 exec_lo, exec_lo, s0
	s_and_saveexec_b32 s0, s1
	s_cbranch_execz .LBB93_318
.LBB93_326:                             ;   in Loop: Header=BB93_161 Depth=1
	v_xor_b32_e32 v13, 0x80000000, v13
	v_lshl_add_u64 v[2:3], v[38:39], 4, s[8:9]
	global_store_b128 v[2:3], v[10:13], off
	s_wait_xcnt 0x0
	s_or_b32 exec_lo, exec_lo, s0
	s_and_saveexec_b32 s0, s2
	s_cbranch_execnz .LBB93_319
.LBB93_327:                             ;   in Loop: Header=BB93_161 Depth=1
	s_or_b32 exec_lo, exec_lo, s0
	s_and_saveexec_b32 s0, s3
	s_cbranch_execz .LBB93_160
.LBB93_328:                             ;   in Loop: Header=BB93_161 Depth=1
	s_delay_alu instid0(VALU_DEP_1)
	v_xor_b32_e32 v17, 0x80000000, v17
	v_lshl_add_u64 v[2:3], v[42:43], 4, s[8:9]
	global_store_b128 v[2:3], v[14:17], off
	s_branch .LBB93_160
.LBB93_329:
	s_sendmsg sendmsg(MSG_DEALLOC_VGPRS)
	s_endpgm
	.section	.rodata,"a",@progbits
	.p2align	6, 0x0
	.amdhsa_kernel _ZN2at6native12_GLOBAL__N_125multi_tensor_apply_kernelINS1_18TensorListMetadataILi2EEENS1_14UnaryOpFunctorIN3c107complexIdEELi2ELi1ELi1EEEJNS0_3TanIS8_EEEEEvT_T0_DpT1_
		.amdhsa_group_segment_fixed_size 0
		.amdhsa_private_segment_fixed_size 0
		.amdhsa_kernarg_size 3408
		.amdhsa_user_sgpr_count 2
		.amdhsa_user_sgpr_dispatch_ptr 0
		.amdhsa_user_sgpr_queue_ptr 0
		.amdhsa_user_sgpr_kernarg_segment_ptr 1
		.amdhsa_user_sgpr_dispatch_id 0
		.amdhsa_user_sgpr_kernarg_preload_length 0
		.amdhsa_user_sgpr_kernarg_preload_offset 0
		.amdhsa_user_sgpr_private_segment_size 0
		.amdhsa_wavefront_size32 1
		.amdhsa_uses_dynamic_stack 0
		.amdhsa_enable_private_segment 0
		.amdhsa_system_sgpr_workgroup_id_x 1
		.amdhsa_system_sgpr_workgroup_id_y 0
		.amdhsa_system_sgpr_workgroup_id_z 0
		.amdhsa_system_sgpr_workgroup_info 0
		.amdhsa_system_vgpr_workitem_id 0
		.amdhsa_next_free_vgpr 82
		.amdhsa_next_free_sgpr 37
		.amdhsa_named_barrier_count 0
		.amdhsa_reserve_vcc 1
		.amdhsa_float_round_mode_32 0
		.amdhsa_float_round_mode_16_64 0
		.amdhsa_float_denorm_mode_32 3
		.amdhsa_float_denorm_mode_16_64 3
		.amdhsa_fp16_overflow 0
		.amdhsa_memory_ordered 1
		.amdhsa_forward_progress 1
		.amdhsa_inst_pref_size 255
		.amdhsa_round_robin_scheduling 0
		.amdhsa_exception_fp_ieee_invalid_op 0
		.amdhsa_exception_fp_denorm_src 0
		.amdhsa_exception_fp_ieee_div_zero 0
		.amdhsa_exception_fp_ieee_overflow 0
		.amdhsa_exception_fp_ieee_underflow 0
		.amdhsa_exception_fp_ieee_inexact 0
		.amdhsa_exception_int_div_zero 0
	.end_amdhsa_kernel
	.section	.text._ZN2at6native12_GLOBAL__N_125multi_tensor_apply_kernelINS1_18TensorListMetadataILi2EEENS1_14UnaryOpFunctorIN3c107complexIdEELi2ELi1ELi1EEEJNS0_3TanIS8_EEEEEvT_T0_DpT1_,"axG",@progbits,_ZN2at6native12_GLOBAL__N_125multi_tensor_apply_kernelINS1_18TensorListMetadataILi2EEENS1_14UnaryOpFunctorIN3c107complexIdEELi2ELi1ELi1EEEJNS0_3TanIS8_EEEEEvT_T0_DpT1_,comdat
.Lfunc_end93:
	.size	_ZN2at6native12_GLOBAL__N_125multi_tensor_apply_kernelINS1_18TensorListMetadataILi2EEENS1_14UnaryOpFunctorIN3c107complexIdEELi2ELi1ELi1EEEJNS0_3TanIS8_EEEEEvT_T0_DpT1_, .Lfunc_end93-_ZN2at6native12_GLOBAL__N_125multi_tensor_apply_kernelINS1_18TensorListMetadataILi2EEENS1_14UnaryOpFunctorIN3c107complexIdEELi2ELi1ELi1EEEJNS0_3TanIS8_EEEEEvT_T0_DpT1_
                                        ; -- End function
	.set _ZN2at6native12_GLOBAL__N_125multi_tensor_apply_kernelINS1_18TensorListMetadataILi2EEENS1_14UnaryOpFunctorIN3c107complexIdEELi2ELi1ELi1EEEJNS0_3TanIS8_EEEEEvT_T0_DpT1_.num_vgpr, 82
	.set _ZN2at6native12_GLOBAL__N_125multi_tensor_apply_kernelINS1_18TensorListMetadataILi2EEENS1_14UnaryOpFunctorIN3c107complexIdEELi2ELi1ELi1EEEJNS0_3TanIS8_EEEEEvT_T0_DpT1_.num_agpr, 0
	.set _ZN2at6native12_GLOBAL__N_125multi_tensor_apply_kernelINS1_18TensorListMetadataILi2EEENS1_14UnaryOpFunctorIN3c107complexIdEELi2ELi1ELi1EEEJNS0_3TanIS8_EEEEEvT_T0_DpT1_.numbered_sgpr, 37
	.set _ZN2at6native12_GLOBAL__N_125multi_tensor_apply_kernelINS1_18TensorListMetadataILi2EEENS1_14UnaryOpFunctorIN3c107complexIdEELi2ELi1ELi1EEEJNS0_3TanIS8_EEEEEvT_T0_DpT1_.num_named_barrier, 0
	.set _ZN2at6native12_GLOBAL__N_125multi_tensor_apply_kernelINS1_18TensorListMetadataILi2EEENS1_14UnaryOpFunctorIN3c107complexIdEELi2ELi1ELi1EEEJNS0_3TanIS8_EEEEEvT_T0_DpT1_.private_seg_size, 0
	.set _ZN2at6native12_GLOBAL__N_125multi_tensor_apply_kernelINS1_18TensorListMetadataILi2EEENS1_14UnaryOpFunctorIN3c107complexIdEELi2ELi1ELi1EEEJNS0_3TanIS8_EEEEEvT_T0_DpT1_.uses_vcc, 1
	.set _ZN2at6native12_GLOBAL__N_125multi_tensor_apply_kernelINS1_18TensorListMetadataILi2EEENS1_14UnaryOpFunctorIN3c107complexIdEELi2ELi1ELi1EEEJNS0_3TanIS8_EEEEEvT_T0_DpT1_.uses_flat_scratch, 0
	.set _ZN2at6native12_GLOBAL__N_125multi_tensor_apply_kernelINS1_18TensorListMetadataILi2EEENS1_14UnaryOpFunctorIN3c107complexIdEELi2ELi1ELi1EEEJNS0_3TanIS8_EEEEEvT_T0_DpT1_.has_dyn_sized_stack, 0
	.set _ZN2at6native12_GLOBAL__N_125multi_tensor_apply_kernelINS1_18TensorListMetadataILi2EEENS1_14UnaryOpFunctorIN3c107complexIdEELi2ELi1ELi1EEEJNS0_3TanIS8_EEEEEvT_T0_DpT1_.has_recursion, 0
	.set _ZN2at6native12_GLOBAL__N_125multi_tensor_apply_kernelINS1_18TensorListMetadataILi2EEENS1_14UnaryOpFunctorIN3c107complexIdEELi2ELi1ELi1EEEJNS0_3TanIS8_EEEEEvT_T0_DpT1_.has_indirect_call, 0
	.section	.AMDGPU.csdata,"",@progbits
; Kernel info:
; codeLenInByte = 62148
; TotalNumSgprs: 39
; NumVgprs: 82
; ScratchSize: 0
; MemoryBound: 1
; FloatMode: 240
; IeeeMode: 1
; LDSByteSize: 0 bytes/workgroup (compile time only)
; SGPRBlocks: 0
; VGPRBlocks: 5
; NumSGPRsForWavesPerEU: 39
; NumVGPRsForWavesPerEU: 82
; NamedBarCnt: 0
; Occupancy: 10
; WaveLimiterHint : 0
; COMPUTE_PGM_RSRC2:SCRATCH_EN: 0
; COMPUTE_PGM_RSRC2:USER_SGPR: 2
; COMPUTE_PGM_RSRC2:TRAP_HANDLER: 0
; COMPUTE_PGM_RSRC2:TGID_X_EN: 1
; COMPUTE_PGM_RSRC2:TGID_Y_EN: 0
; COMPUTE_PGM_RSRC2:TGID_Z_EN: 0
; COMPUTE_PGM_RSRC2:TIDIG_COMP_CNT: 0
	.section	.text._ZN2at6native12_GLOBAL__N_125multi_tensor_apply_kernelINS1_18TensorListMetadataILi2EEENS1_14UnaryOpFunctorIN3c107complexIfEELi2ELi1ELi1EEEJNS0_3TanIS8_EEEEEvT_T0_DpT1_,"axG",@progbits,_ZN2at6native12_GLOBAL__N_125multi_tensor_apply_kernelINS1_18TensorListMetadataILi2EEENS1_14UnaryOpFunctorIN3c107complexIfEELi2ELi1ELi1EEEJNS0_3TanIS8_EEEEEvT_T0_DpT1_,comdat
	.globl	_ZN2at6native12_GLOBAL__N_125multi_tensor_apply_kernelINS1_18TensorListMetadataILi2EEENS1_14UnaryOpFunctorIN3c107complexIfEELi2ELi1ELi1EEEJNS0_3TanIS8_EEEEEvT_T0_DpT1_ ; -- Begin function _ZN2at6native12_GLOBAL__N_125multi_tensor_apply_kernelINS1_18TensorListMetadataILi2EEENS1_14UnaryOpFunctorIN3c107complexIfEELi2ELi1ELi1EEEJNS0_3TanIS8_EEEEEvT_T0_DpT1_
	.p2align	8
	.type	_ZN2at6native12_GLOBAL__N_125multi_tensor_apply_kernelINS1_18TensorListMetadataILi2EEENS1_14UnaryOpFunctorIN3c107complexIfEELi2ELi1ELi1EEEJNS0_3TanIS8_EEEEEvT_T0_DpT1_,@function
_ZN2at6native12_GLOBAL__N_125multi_tensor_apply_kernelINS1_18TensorListMetadataILi2EEENS1_14UnaryOpFunctorIN3c107complexIfEELi2ELi1ELi1EEEJNS0_3TanIS8_EEEEEvT_T0_DpT1_: ; @_ZN2at6native12_GLOBAL__N_125multi_tensor_apply_kernelINS1_18TensorListMetadataILi2EEENS1_14UnaryOpFunctorIN3c107complexIfEELi2ELi1ELi1EEEJNS0_3TanIS8_EEEEEvT_T0_DpT1_
; %bb.0:
	s_bfe_u32 s2, ttmp6, 0x4000c
	s_and_b32 s3, ttmp6, 15
	s_add_co_i32 s2, s2, 1
	s_getreg_b32 s4, hwreg(HW_REG_IB_STS2, 6, 4)
	s_mul_i32 s2, ttmp9, s2
	s_delay_alu instid0(SALU_CYCLE_1)
	s_add_co_i32 s3, s3, s2
	s_cmp_eq_u32 s4, 0
	s_cselect_b32 s2, ttmp9, s3
	s_mov_b32 s3, 0
	s_load_u8 s11, s[0:1], s2 offset:0x600
	s_add_nc_u64 s[4:5], s[0:1], s[2:3]
	s_mul_u64 s[6:7], s[2:3], 3
	s_delay_alu instid0(SALU_CYCLE_1)
	s_add_nc_u64 s[4:5], s[4:5], s[6:7]
	s_load_b32 s10, s[4:5], 0x740
	s_wait_kmcnt 0x0
	s_clause 0x2
	s_load_b64 s[6:7], s[0:1], s11 offset:0x0 scale_offset
	s_load_b64 s[8:9], s[0:1], s11 offset:0x200 scale_offset
	;; [unrolled: 1-line block ×3, first 2 shown]
	s_wait_xcnt 0x0
	s_ashr_i32 s11, s10, 31
	s_delay_alu instid0(SALU_CYCLE_1)
	s_lshl_b64 s[4:5], s[10:11], 19
	s_lshl_b64 s[10:11], s[10:11], 16
	s_wait_kmcnt 0x0
	s_add_nc_u64 s[8:9], s[8:9], s[4:5]
	s_add_nc_u64 s[6:7], s[6:7], s[4:5]
	s_and_b32 s4, s12, 3
	s_and_b64 s[14:15], s[8:9], 31
	s_mov_b32 s5, s3
	s_and_b32 s2, s6, 31
	s_or_b64 s[4:5], s[14:15], s[4:5]
	s_delay_alu instid0(SALU_CYCLE_1)
	s_or_b64 s[2:3], s[4:5], s[2:3]
	s_sub_nc_u64 s[4:5], s[12:13], s[10:11]
	s_cmp_eq_u64 s[2:3], 0
	s_mov_b32 s2, -1
	s_cbranch_scc0 .LBB94_157
; %bb.1:
	v_min_i64 v[14:15], 0x10000, s[4:5]
	v_dual_mov_b32 v17, 0 :: v_dual_lshlrev_b32 v16, 2, v0
	s_mov_b32 s14, exec_lo
	s_delay_alu instid0(VALU_DEP_1)
	v_cmpx_lt_i64_e64 v[16:17], v[14:15]
	s_cbranch_execz .LBB94_156
; %bb.2:
	s_load_b32 s2, s[0:1], 0xc5c
	v_dual_mov_b32 v1, v17 :: v_dual_lshlrev_b32 v18, 5, v0
	v_dual_mov_b32 v19, v17 :: v_dual_mov_b32 v21, 1.0
	v_mov_b32_e32 v23, 0x3f317218
	s_delay_alu instid0(VALU_DEP_3)
	v_mov_b64_e32 v[26:27], v[0:1]
	v_mov_b32_e32 v25, -1.0
	s_mov_b32 s11, 0
	s_mov_b32 s22, 0x7fffff
	s_mov_b64 s[12:13], 0xfe5163ab
	s_mov_b32 s23, 0xbc8cedd3
	s_mov_b32 s24, 0x3c971480
	;; [unrolled: 1-line block ×3, first 2 shown]
	s_mov_b32 s15, -1.0
	s_mov_b32 s26, 0xb94c1982
	s_mov_b32 s27, 0x37d75334
	s_mov_b64 s[16:17], s[6:7]
	s_mov_b32 s19, s11
	s_mov_b32 s28, s11
	s_wait_kmcnt 0x0
	s_and_b32 s10, s2, 0xffff
	s_mov_b64 s[20:21], s[8:9]
	s_lshl_b32 s18, s10, 5
	s_branch .LBB94_7
.LBB94_3:                               ;   in Loop: Header=BB94_7 Depth=1
	s_or_b32 exec_lo, exec_lo, s2
	s_delay_alu instid0(VALU_DEP_1) | instskip(SKIP_2) | instid1(VALU_DEP_3)
	v_dual_mul_f32 v11, v3, v3 :: v_dual_mul_f32 v16, v12, v12
	v_dual_lshlrev_b32 v5, 30, v5 :: v_dual_bitop2_b32 v22, 1, v5 bitop3:0x40
	v_dual_lshlrev_b32 v20, 30, v20 :: v_dual_bitop2_b32 v31, 1, v20 bitop3:0x40
	v_dual_fmaak_f32 v24, s26, v11, 0x3c0881c4 :: v_dual_fmaak_f32 v29, s26, v16, 0x3c0881c4
	v_fmaak_f32 v30, s27, v16, 0xbab64f3b
	s_delay_alu instid0(VALU_DEP_4) | instskip(SKIP_1) | instid1(VALU_DEP_4)
	v_cmp_eq_u32_e32 vcc_lo, 0, v22
	v_bitop3_b32 v2, v2, v5, 0x80000000 bitop3:0x78
	v_dual_fmaak_f32 v24, v11, v24, 0xbe2aaa9d :: v_dual_fmaak_f32 v29, v16, v29, 0xbe2aaa9d
	s_delay_alu instid0(VALU_DEP_1) | instskip(NEXT) | instid1(VALU_DEP_1)
	v_dual_fmaak_f32 v28, s27, v11, 0xbab64f3b :: v_dual_mul_f32 v29, v16, v29
	v_dual_mul_f32 v24, v11, v24 :: v_dual_fmac_f32 v12, v12, v29
	s_delay_alu instid0(VALU_DEP_1) | instskip(NEXT) | instid1(VALU_DEP_3)
	v_dual_fmaak_f32 v30, v16, v30, 0x3d2aabf7 :: v_dual_fmac_f32 v3, v3, v24
	v_fmaak_f32 v28, v11, v28, 0x3d2aabf7
	s_delay_alu instid0(VALU_DEP_2) | instskip(NEXT) | instid1(VALU_DEP_2)
	v_fmaak_f32 v30, v16, v30, 0xbf000004
	v_fmaak_f32 v28, v11, v28, 0xbf000004
	s_delay_alu instid0(VALU_DEP_2) | instskip(NEXT) | instid1(VALU_DEP_2)
	v_fma_f32 v16, v16, v30, 1.0
	v_fma_f32 v11, v11, v28, 1.0
	s_delay_alu instid0(VALU_DEP_1) | instskip(SKIP_1) | instid1(VALU_DEP_2)
	v_cndmask_b32_e32 v3, v11, v3, vcc_lo
	v_cmp_eq_u32_e32 vcc_lo, 0, v31
	v_xor3_b32 v2, v2, v3, v4
	v_cndmask_b32_e64 v5, -v12, v16, vcc_lo
	v_cmp_class_f32_e64 vcc_lo, v4, 0x1f8
	s_delay_alu instid0(VALU_DEP_2) | instskip(NEXT) | instid1(VALU_DEP_1)
	v_bitop3_b32 v3, v20, v5, 0x80000000 bitop3:0x6c
	v_mul_f32_e32 v2, v2, v3
	s_delay_alu instid0(VALU_DEP_1)
	v_cndmask_b32_e32 v4, 0x7fc00000, v2, vcc_lo
.LBB94_4:                               ;   in Loop: Header=BB94_7 Depth=1
	s_or_b32 exec_lo, exec_lo, s31
	v_add_nc_u32_e32 v13, -2.0, v13
	s_delay_alu instid0(VALU_DEP_2)
	v_bfi_b32 v12, 0x7fffffff, 0, v4
.LBB94_5:                               ;   in Loop: Header=BB94_7 Depth=1
	s_or_b32 exec_lo, exec_lo, s30
.LBB94_6:                               ;   in Loop: Header=BB94_7 Depth=1
	s_delay_alu instid0(SALU_CYCLE_1)
	s_or_b32 exec_lo, exec_lo, s29
	v_add_nc_u64_e32 v[26:27], s[10:11], v[26:27]
	v_xor_b32_e32 v11, 0x80000000, v9
	v_xor_b32_e32 v9, 0x80000000, v7
	;; [unrolled: 1-line block ×4, first 2 shown]
	s_add_nc_u64 s[16:17], s[16:17], s[18:19]
	v_lshlrev_b64_e32 v[2:3], 2, v[26:27]
	s_delay_alu instid0(VALU_DEP_1)
	v_cmp_ge_i64_e32 vcc_lo, v[2:3], v[14:15]
	v_add_nc_u64_e32 v[2:3], s[20:21], v[18:19]
	s_add_nc_u64 s[20:21], s[20:21], s[18:19]
	s_clause 0x1
	global_store_b128 v[2:3], v[6:9], off
	global_store_b128 v[2:3], v[10:13], off offset:16
	s_or_b32 s28, vcc_lo, s28
	s_wait_xcnt 0x0
	s_and_not1_b32 exec_lo, exec_lo, s28
	s_cbranch_execz .LBB94_156
.LBB94_7:                               ; =>This Inner Loop Header: Depth=1
	v_add_nc_u64_e32 v[6:7], s[16:17], v[18:19]
                                        ; implicit-def: $vgpr1
	s_mov_b32 s2, exec_lo
	s_clause 0x1
	global_load_b128 v[10:13], v[6:7], off
	global_load_b128 v[2:5], v[6:7], off offset:16
                                        ; implicit-def: $vgpr6
	s_wait_loadcnt 0x1
	v_and_b32_e32 v22, 0x7fffffff, v11
	s_wait_xcnt 0x0
	s_delay_alu instid0(VALU_DEP_1)
	v_cmpx_gt_u32_e32 0x7f800000, v22
	s_xor_b32 s29, exec_lo, s2
	s_cbranch_execz .LBB94_29
; %bb.8:                                ;   in Loop: Header=BB94_7 Depth=1
	v_cmp_class_f32_e64 s2, v10, 0x1f8
                                        ; implicit-def: $vgpr6
                                        ; implicit-def: $vgpr1
	s_and_saveexec_b32 s3, s2
	s_delay_alu instid0(SALU_CYCLE_1)
	s_xor_b32 s30, exec_lo, s3
	s_cbranch_execz .LBB94_26
; %bb.9:                                ;   in Loop: Header=BB94_7 Depth=1
	v_and_b32_e32 v7, 0x7fffffff, v10
                                        ; implicit-def: $vgpr6
                                        ; implicit-def: $vgpr1
	s_mov_b32 s2, exec_lo
	v_cmpx_gt_u32_e32 0x41300000, v22
	s_xor_b32 s31, exec_lo, s2
	s_cbranch_execz .LBB94_15
; %bb.10:                               ;   in Loop: Header=BB94_7 Depth=1
                                        ; implicit-def: $vgpr1
                                        ; implicit-def: $vgpr6
	s_mov_b32 s3, exec_lo
	v_cmpx_ngt_f32_e64 0x48000000, |v10|
	s_xor_b32 s33, exec_lo, s3
	s_cbranch_execz .LBB94_12
; %bb.11:                               ;   in Loop: Header=BB94_7 Depth=1
	v_and_or_b32 v16, v7, s22, 0x800000
	v_dual_lshrrev_b32 v1, 23, v7 :: v_dual_mov_b32 v37, v17
	v_mov_b32_e32 v39, v17
	s_delay_alu instid0(VALU_DEP_3) | instskip(SKIP_1) | instid1(VALU_DEP_4)
	v_mul_u64_e32 v[8:9], s[12:13], v[16:17]
	v_mov_b32_e32 v29, v17
	v_add_nc_u32_e32 v1, 0xffffff88, v1
	s_delay_alu instid0(VALU_DEP_1) | instskip(SKIP_1) | instid1(VALU_DEP_1)
	v_cmp_lt_u32_e32 vcc_lo, 63, v1
	v_cndmask_b32_e64 v6, 0, 0xffffffc0, vcc_lo
	v_add_nc_u32_e32 v1, v6, v1
	s_delay_alu instid0(VALU_DEP_1) | instskip(NEXT) | instid1(VALU_DEP_1)
	v_cmp_lt_u32_e64 s2, 31, v1
	v_cndmask_b32_e64 v6, 0, 0xffffffe0, s2
	s_delay_alu instid0(VALU_DEP_1) | instskip(NEXT) | instid1(VALU_DEP_1)
	v_dual_mov_b32 v28, v9 :: v_dual_add_nc_u32 v1, v6, v1
	v_mad_nc_u64_u32 v[28:29], 0x3c439041, v16, v[28:29]
	v_mov_b32_e32 v31, v17
	s_delay_alu instid0(VALU_DEP_3) | instskip(NEXT) | instid1(VALU_DEP_1)
	v_cmp_lt_u32_e64 s3, 31, v1
	v_cndmask_b32_e64 v6, 0, 0xffffffe0, s3
	s_delay_alu instid0(VALU_DEP_4) | instskip(NEXT) | instid1(VALU_DEP_1)
	v_mov_b32_e32 v30, v29
	v_mad_nc_u64_u32 v[30:31], 0xdb629599, v16, v[30:31]
	s_delay_alu instid0(VALU_DEP_1) | instskip(NEXT) | instid1(VALU_DEP_2)
	v_dual_mov_b32 v33, v17 :: v_dual_mov_b32 v32, v31
	v_cndmask_b32_e32 v8, v30, v8, vcc_lo
	s_delay_alu instid0(VALU_DEP_2) | instskip(SKIP_1) | instid1(VALU_DEP_2)
	v_mad_nc_u64_u32 v[32:33], 0xf534ddc0, v16, v[32:33]
	v_dual_mov_b32 v35, v17 :: v_dual_add_nc_u32 v1, v6, v1
	v_dual_cndmask_b32 v6, v32, v28, vcc_lo :: v_dual_mov_b32 v34, v33
	s_delay_alu instid0(VALU_DEP_1) | instskip(NEXT) | instid1(VALU_DEP_1)
	v_mad_nc_u64_u32 v[34:35], 0xfc2757d1, v16, v[34:35]
	v_dual_mov_b32 v36, v35 :: v_dual_cndmask_b32 v24, v34, v30, vcc_lo
	s_delay_alu instid0(VALU_DEP_1) | instskip(NEXT) | instid1(VALU_DEP_1)
	v_mad_nc_u64_u32 v[36:37], 0x4e441529, v16, v[36:37]
	v_mov_b32_e32 v38, v37
	s_delay_alu instid0(VALU_DEP_1) | instskip(NEXT) | instid1(VALU_DEP_1)
	v_mad_nc_u64_u32 v[38:39], 0xa2f9836e, v16, v[38:39]
	v_dual_cndmask_b32 v9, v36, v32 :: v_dual_cndmask_b32 v16, v38, v34
	s_delay_alu instid0(VALU_DEP_2) | instskip(SKIP_1) | instid1(VALU_DEP_3)
	v_cndmask_b32_e32 v20, v39, v36, vcc_lo
	v_cmp_eq_u32_e32 vcc_lo, 0, v1
	v_dual_cndmask_b32 v28, v16, v9, s2 :: v_dual_cndmask_b32 v9, v9, v24, s2
	s_delay_alu instid0(VALU_DEP_3) | instskip(SKIP_1) | instid1(VALU_DEP_2)
	v_dual_cndmask_b32 v16, v20, v16, s2 :: v_dual_sub_nc_u32 v20, 32, v1
	v_cndmask_b32_e64 v24, v24, v6, s2
	v_cndmask_b32_e64 v16, v16, v28, s3
	s_delay_alu instid0(VALU_DEP_2) | instskip(SKIP_1) | instid1(VALU_DEP_2)
	v_dual_cndmask_b32 v28, v28, v9, s3 :: v_dual_cndmask_b32 v9, v9, v24, s3
	v_cndmask_b32_e64 v6, v6, v8, s2
	v_alignbit_b32 v30, v28, v9, v20
	s_delay_alu instid0(VALU_DEP_1) | instskip(SKIP_1) | instid1(VALU_DEP_2)
	v_dual_cndmask_b32 v6, v24, v6, s3 :: v_dual_cndmask_b32 v8, v30, v28, vcc_lo
	v_alignbit_b32 v29, v16, v28, v20
	v_alignbit_b32 v20, v9, v6, v20
	s_delay_alu instid0(VALU_DEP_1) | instskip(NEXT) | instid1(VALU_DEP_1)
	v_dual_cndmask_b32 v1, v29, v16, vcc_lo :: v_dual_cndmask_b32 v9, v20, v9, vcc_lo
	v_bfe_u32 v16, v1, 29, 1
	v_alignbit_b32 v24, v1, v8, 30
	s_delay_alu instid0(VALU_DEP_3) | instskip(SKIP_1) | instid1(VALU_DEP_4)
	v_alignbit_b32 v8, v8, v9, 30
	v_alignbit_b32 v6, v9, v6, 30
	v_sub_nc_u32_e32 v28, 0, v16
	s_delay_alu instid0(VALU_DEP_1) | instskip(NEXT) | instid1(VALU_DEP_4)
	v_xor_b32_e32 v24, v24, v28
	v_xor_b32_e32 v8, v8, v28
	s_delay_alu instid0(VALU_DEP_4) | instskip(SKIP_1) | instid1(VALU_DEP_4)
	v_dual_lshrrev_b32 v28, 29, v1 :: v_dual_bitop2_b32 v6, v6, v28 bitop3:0x14
	v_lshrrev_b32_e32 v1, 30, v1
	v_clz_i32_u32_e32 v20, v24
	s_delay_alu instid0(VALU_DEP_2) | instskip(NEXT) | instid1(VALU_DEP_2)
	v_add_nc_u32_e32 v1, v16, v1
	v_min_u32_e32 v20, 32, v20
	s_delay_alu instid0(VALU_DEP_1) | instskip(NEXT) | instid1(VALU_DEP_1)
	v_dual_sub_nc_u32 v9, 31, v20 :: v_dual_lshlrev_b32 v29, 23, v20
	v_alignbit_b32 v24, v24, v8, v9
	v_alignbit_b32 v6, v8, v6, v9
	v_lshlrev_b32_e32 v8, 31, v28
	s_delay_alu instid0(VALU_DEP_2) | instskip(NEXT) | instid1(VALU_DEP_2)
	v_alignbit_b32 v9, v24, v6, 9
	v_or_b32_e32 v28, 0.5, v8
	v_or_b32_e32 v8, 0x33000000, v8
	v_lshrrev_b32_e32 v24, 9, v24
	s_delay_alu instid0(VALU_DEP_4) | instskip(NEXT) | instid1(VALU_DEP_4)
	v_clz_i32_u32_e32 v30, v9
	v_sub_nc_u32_e32 v28, v28, v29
	s_delay_alu instid0(VALU_DEP_2) | instskip(NEXT) | instid1(VALU_DEP_2)
	v_min_u32_e32 v29, 32, v30
	v_or_b32_e32 v24, v24, v28
	s_delay_alu instid0(VALU_DEP_2) | instskip(SKIP_1) | instid1(VALU_DEP_2)
	v_not_b32_e32 v28, v29
	v_add_lshl_u32 v20, v29, v20, 23
	v_alignbit_b32 v6, v9, v6, v28
	s_delay_alu instid0(VALU_DEP_1) | instskip(NEXT) | instid1(VALU_DEP_1)
	v_dual_sub_nc_u32 v8, v8, v20 :: v_dual_lshrrev_b32 v6, 9, v6
	v_or_b32_e32 v6, v8, v6
	v_mul_f32_e32 v30, 0x3fc90fda, v24
	s_delay_alu instid0(VALU_DEP_1) | instskip(NEXT) | instid1(VALU_DEP_1)
	v_fma_f32 v9, 0x3fc90fda, v24, -v30
	v_fmac_f32_e32 v9, 0x33a22168, v24
	s_delay_alu instid0(VALU_DEP_1) | instskip(NEXT) | instid1(VALU_DEP_1)
	v_fmac_f32_e32 v9, 0x3fc90fda, v6
	v_add_f32_e32 v6, v30, v9
.LBB94_12:                              ;   in Loop: Header=BB94_7 Depth=1
	s_and_not1_saveexec_b32 s2, s33
; %bb.13:                               ;   in Loop: Header=BB94_7 Depth=1
	v_mul_f32_e64 v1, 0x3f22f983, |v10|
	s_delay_alu instid0(VALU_DEP_1) | instskip(NEXT) | instid1(VALU_DEP_1)
	v_rndne_f32_e32 v1, v1
	v_fma_f32 v6, 0xbfc90fda, v1, |v10|
	s_delay_alu instid0(VALU_DEP_1) | instskip(NEXT) | instid1(VALU_DEP_1)
	v_fmac_f32_e32 v6, 0xb3a22168, v1
	v_fmac_f32_e32 v6, 0xa7c234c4, v1
	v_cvt_i32_f32_e32 v1, v1
; %bb.14:                               ;   in Loop: Header=BB94_7 Depth=1
	s_or_b32 exec_lo, exec_lo, s2
	v_add_f32_e64 v16, 0xbf317218, |v11|
	v_cmp_nlt_f32_e64 vcc_lo, 0x42b2d4fc, |v11|
	v_cmp_gt_f32_e64 s2, 0x39800000, |v11|
	v_and_b32_e32 v1, 1, v1
	s_delay_alu instid0(VALU_DEP_4) | instskip(NEXT) | instid1(VALU_DEP_1)
	v_sub_f32_e64 v9, v16, |v11|
	v_sub_f32_e32 v8, v9, v16
	s_delay_alu instid0(VALU_DEP_1) | instskip(NEXT) | instid1(VALU_DEP_1)
	v_pk_add_f32 v[8:9], v[22:23], v[8:9]
	v_sub_f32_e32 v8, v8, v9
	s_delay_alu instid0(VALU_DEP_1) | instskip(NEXT) | instid1(VALU_DEP_1)
	v_add_f32_e32 v8, 0x3102e308, v8
	v_add_f32_e32 v9, v16, v8
	s_delay_alu instid0(VALU_DEP_1) | instskip(SKIP_1) | instid1(VALU_DEP_2)
	v_mul_f32_e32 v20, 0x3fb8aa3b, v9
	v_sub_f32_e32 v16, v16, v9
	v_rndne_f32_e32 v20, v20
	s_delay_alu instid0(VALU_DEP_2) | instskip(NEXT) | instid1(VALU_DEP_2)
	v_add_f32_e32 v16, v8, v16
	v_fmac_f32_e32 v9, 0xbf317200, v20
	v_mul_f32_e32 v22, 0x35bfbc00, v20
	s_delay_alu instid0(VALU_DEP_2) | instskip(NEXT) | instid1(VALU_DEP_1)
	v_dual_mul_f32 v29, 0x2ea39ef3, v20 :: v_dual_add_f32 v24, v16, v9
	v_dual_sub_f32 v8, v24, v22 :: v_dual_sub_f32 v9, v9, v24
	s_delay_alu instid0(VALU_DEP_1) | instskip(NEXT) | instid1(VALU_DEP_2)
	v_sub_f32_e32 v24, v24, v8
	v_add_f32_e32 v9, v16, v9
	s_delay_alu instid0(VALU_DEP_2) | instskip(NEXT) | instid1(VALU_DEP_1)
	v_sub_f32_e32 v16, v24, v22
	v_add_f32_e32 v16, v9, v16
	s_delay_alu instid0(VALU_DEP_1) | instskip(NEXT) | instid1(VALU_DEP_1)
	v_add_f32_e32 v9, v8, v16
	v_mov_b32_e32 v28, v9
	s_delay_alu instid0(VALU_DEP_1) | instskip(NEXT) | instid1(VALU_DEP_1)
	v_pk_add_f32 v[30:31], v[8:9], v[28:29] neg_lo:[0,1] neg_hi:[0,1]
	v_dual_sub_f32 v8, v9, v31 :: v_dual_add_f32 v9, v16, v30
	s_delay_alu instid0(VALU_DEP_1) | instskip(NEXT) | instid1(VALU_DEP_1)
	v_sub_f32_e32 v8, v8, v29
	v_add_f32_e32 v8, v9, v8
	s_delay_alu instid0(VALU_DEP_1) | instskip(NEXT) | instid1(VALU_DEP_1)
	v_add_f32_e32 v9, v31, v8
	v_dual_sub_f32 v16, v31, v9 :: v_dual_mul_f32 v22, v9, v9
	v_mov_b64_e32 v[30:31], s[14:15]
	s_delay_alu instid0(VALU_DEP_2) | instskip(NEXT) | instid1(VALU_DEP_1)
	v_add_f32_e32 v8, v8, v16
	v_add_f32_e32 v28, v8, v8
	v_fmaak_f32 v16, s25, v9, 0x3c091de6
	v_fma_f32 v24, v9, v9, -v22
	s_delay_alu instid0(VALU_DEP_2) | instskip(NEXT) | instid1(VALU_DEP_2)
	v_fmaak_f32 v16, v9, v16, 0x3d2aadcc
	v_fmac_f32_e32 v24, v9, v28
	s_delay_alu instid0(VALU_DEP_2) | instskip(NEXT) | instid1(VALU_DEP_2)
	v_fmaak_f32 v16, v9, v16, 0x3e2aaa47
	v_add_f32_e32 v28, v22, v24
	s_delay_alu instid0(VALU_DEP_2) | instskip(NEXT) | instid1(VALU_DEP_2)
	v_fmaak_f32 v16, v9, v16, 0x3efffffc
	v_sub_f32_e32 v22, v28, v22
	s_delay_alu instid0(VALU_DEP_1) | instskip(NEXT) | instid1(VALU_DEP_3)
	v_sub_f32_e32 v22, v24, v22
	v_mul_f32_e32 v29, v16, v28
	s_delay_alu instid0(VALU_DEP_1) | instskip(NEXT) | instid1(VALU_DEP_1)
	v_fma_f32 v28, v28, v16, -v29
	v_fmac_f32_e32 v28, v22, v16
	s_delay_alu instid0(VALU_DEP_1) | instskip(NEXT) | instid1(VALU_DEP_1)
	v_add_f32_e32 v16, v29, v28
	v_add_f32_e32 v24, v9, v16
	s_delay_alu instid0(VALU_DEP_1) | instskip(NEXT) | instid1(VALU_DEP_1)
	v_sub_f32_e32 v9, v24, v9
	v_sub_f32_e32 v9, v16, v9
	;; [unrolled: 1-line block ×3, first 2 shown]
	s_delay_alu instid0(VALU_DEP_1) | instskip(NEXT) | instid1(VALU_DEP_1)
	v_sub_f32_e32 v22, v28, v22
	v_add_f32_e32 v8, v8, v22
	s_delay_alu instid0(VALU_DEP_1) | instskip(NEXT) | instid1(VALU_DEP_1)
	v_add_f32_e32 v8, v8, v9
	v_add_f32_e32 v28, v24, v8
	s_delay_alu instid0(VALU_DEP_1) | instskip(NEXT) | instid1(VALU_DEP_1)
	v_dual_add_f32 v29, 1.0, v28 :: v_dual_mov_b32 v9, v28
	v_pk_add_f32 v[30:31], v[28:29], v[30:31]
	v_pk_add_f32 v[32:33], v[28:29], v[24:25] neg_lo:[0,1] neg_hi:[0,1]
	s_delay_alu instid0(VALU_DEP_2) | instskip(NEXT) | instid1(VALU_DEP_1)
	v_mov_b32_e32 v33, v31
	v_pk_add_f32 v[8:9], v[8:9], v[32:33] neg_lo:[0,1] neg_hi:[0,1]
	s_delay_alu instid0(VALU_DEP_1) | instskip(SKIP_1) | instid1(VALU_DEP_2)
	v_add_f32_e32 v8, v8, v9
	v_cvt_i32_f32_e32 v9, v20
	v_add_f32_e32 v16, v29, v8
	s_delay_alu instid0(VALU_DEP_1) | instskip(NEXT) | instid1(VALU_DEP_1)
	v_ldexp_f32 v22, v16, v9
	v_rcp_f32_e32 v24, v22
	v_sub_f32_e32 v16, v16, v29
	s_delay_alu instid0(VALU_DEP_1) | instskip(NEXT) | instid1(TRANS32_DEP_1)
	v_sub_f32_e32 v16, v8, v16
	v_mul_f32_e32 v8, v22, v24
	s_delay_alu instid0(VALU_DEP_2) | instskip(NEXT) | instid1(VALU_DEP_2)
	v_ldexp_f32 v16, v16, v9
	v_fma_f32 v28, v24, v22, -v8
	s_delay_alu instid0(VALU_DEP_1) | instskip(NEXT) | instid1(VALU_DEP_1)
	v_fmac_f32_e32 v28, v24, v16
	v_add_f32_e32 v20, v8, v28
	s_delay_alu instid0(VALU_DEP_1) | instskip(NEXT) | instid1(VALU_DEP_1)
	v_dual_sub_f32 v9, 1.0, v20 :: v_dual_mov_b32 v29, v20
	v_pk_add_f32 v[30:31], v[20:21], v[8:9] neg_lo:[0,1] neg_hi:[0,1]
	s_delay_alu instid0(VALU_DEP_1) | instskip(NEXT) | instid1(VALU_DEP_1)
	v_pk_add_f32 v[28:29], v[30:31], v[28:29] neg_lo:[0,1] neg_hi:[0,1]
	v_add_f32_e32 v20, v28, v29
	s_delay_alu instid0(VALU_DEP_1) | instskip(NEXT) | instid1(VALU_DEP_1)
	v_add_f32_e32 v29, v9, v20
	v_dual_mul_f32 v32, v24, v29 :: v_dual_sub_f32 v33, v9, v29
	s_delay_alu instid0(VALU_DEP_1) | instskip(NEXT) | instid1(VALU_DEP_1)
	v_dual_mul_f32 v30, v22, v32 :: v_dual_add_f32 v20, v20, v33
	v_fma_f32 v8, v32, v22, -v30
	s_delay_alu instid0(VALU_DEP_1) | instskip(NEXT) | instid1(VALU_DEP_1)
	v_fmac_f32_e32 v8, v32, v16
	v_add_f32_e32 v28, v30, v8
	s_delay_alu instid0(VALU_DEP_1) | instskip(NEXT) | instid1(VALU_DEP_1)
	v_dual_sub_f32 v31, v29, v28 :: v_dual_mov_b32 v9, v28
	v_pk_add_f32 v[28:29], v[28:29], v[30:31] neg_lo:[0,1] neg_hi:[0,1]
	s_delay_alu instid0(VALU_DEP_1) | instskip(NEXT) | instid1(VALU_DEP_1)
	v_pk_add_f32 v[8:9], v[28:29], v[8:9] neg_lo:[0,1] neg_hi:[0,1]
	v_add_f32_e32 v9, v20, v9
	v_add_f32_e32 v20, v24, v32
	s_delay_alu instid0(VALU_DEP_2) | instskip(NEXT) | instid1(VALU_DEP_2)
	v_add_f32_e32 v8, v8, v9
	v_sub_f32_e32 v9, v20, v24
	s_delay_alu instid0(VALU_DEP_1) | instskip(NEXT) | instid1(VALU_DEP_1)
	v_dual_add_f32 v8, v31, v8 :: v_dual_sub_f32 v9, v32, v9
	v_mul_f32_e32 v8, v24, v8
	s_delay_alu instid0(VALU_DEP_1) | instskip(NEXT) | instid1(VALU_DEP_1)
	v_add_f32_e32 v8, v9, v8
	v_add_f32_e32 v9, v20, v8
	s_delay_alu instid0(VALU_DEP_1) | instskip(SKIP_1) | instid1(VALU_DEP_1)
	v_ldexp_f32 v24, v9, -2
	v_sub_f32_e32 v9, v9, v20
	v_dual_sub_f32 v28, v22, v24 :: v_dual_sub_f32 v8, v8, v9
	s_delay_alu instid0(VALU_DEP_1) | instskip(NEXT) | instid1(VALU_DEP_2)
	v_sub_f32_e32 v20, v22, v28
	v_ldexp_f32 v8, v8, -2
	s_delay_alu instid0(VALU_DEP_2) | instskip(SKIP_1) | instid1(VALU_DEP_2)
	v_sub_f32_e32 v9, v20, v24
	v_xor_b32_e32 v20, 0x80000000, v11
	v_dual_add_f32 v9, v16, v9 :: v_dual_mul_f32 v16, v6, v6
	s_delay_alu instid0(VALU_DEP_1) | instskip(NEXT) | instid1(VALU_DEP_2)
	v_sub_f32_e32 v8, v9, v8
	v_fmaak_f32 v9, s24, v16, 0xbf039337
	s_delay_alu instid0(VALU_DEP_1) | instskip(NEXT) | instid1(VALU_DEP_3)
	v_fmaak_f32 v9, v16, v9, 0x3f93f425
	v_add_f32_e32 v8, v28, v8
	s_delay_alu instid0(VALU_DEP_2) | instskip(NEXT) | instid1(VALU_DEP_1)
	v_rcp_f32_e32 v22, v9
	v_cndmask_b32_e32 v8, 0x7f800000, v8, vcc_lo
	s_delay_alu instid0(VALU_DEP_1) | instskip(NEXT) | instid1(VALU_DEP_1)
	v_cndmask_b32_e64 v8, v8, |v11|, s2
	v_bfi_b32 v9, 0x7fffffff, v8, v20
	v_fmaak_f32 v24, s23, v16, 0x3ec54587
	s_delay_alu instid0(VALU_DEP_2)
	v_fma_f32 v20, v9, v9, 1.0
	s_delay_alu instid0(TRANS32_DEP_1) | instid1(VALU_DEP_2)
	v_mul_f32_e32 v8, v24, v22
	s_delay_alu instid0(VALU_DEP_2) | instskip(NEXT) | instid1(VALU_DEP_2)
	v_cmp_gt_f32_e32 vcc_lo, 0xf800000, v20
	v_mul_f32_e32 v8, v16, v8
	v_mul_f32_e32 v16, 0x4f800000, v20
	s_delay_alu instid0(VALU_DEP_2) | instskip(NEXT) | instid1(VALU_DEP_1)
	v_fma_f32 v22, v8, v6, v6
	v_dual_cndmask_b32 v16, v20, v16, vcc_lo :: v_dual_sub_f32 v24, v22, v6
	s_delay_alu instid0(VALU_DEP_1) | instskip(NEXT) | instid1(VALU_DEP_1)
	v_sqrt_f32_e32 v28, v16
	v_fma_f32 v6, v8, v6, -v24
	v_rcp_f32_e32 v20, v22
	s_delay_alu instid0(TRANS32_DEP_2) | instskip(NEXT) | instid1(TRANS32_DEP_1)
	v_add_nc_u32_e32 v24, -1, v28
	v_fma_f32 v8, v22, -v20, 1.0
	s_delay_alu instid0(VALU_DEP_1) | instskip(NEXT) | instid1(VALU_DEP_3)
	v_fma_f32 v6, v6, -v20, v8
	v_dual_add_nc_u32 v8, 1, v28 :: v_dual_fma_f32 v29, -v24, v28, v16
	s_delay_alu instid0(VALU_DEP_2) | instskip(NEXT) | instid1(VALU_DEP_2)
	v_fma_f32 v6, v6, -v20, -v20
	v_fma_f32 v20, -v8, v28, v16
	s_delay_alu instid0(VALU_DEP_3) | instskip(NEXT) | instid1(VALU_DEP_1)
	v_cmp_ge_f32_e64 s2, 0, v29
	v_cndmask_b32_e64 v24, v28, v24, s2
	v_cmp_eq_u32_e64 s2, 0, v1
	s_delay_alu instid0(VALU_DEP_1) | instskip(SKIP_1) | instid1(VALU_DEP_2)
	v_cndmask_b32_e64 v1, v6, v22, s2
	v_cmp_lt_f32_e64 s2, 0, v20
	v_xor3_b32 v20, v7, v1, v10
	s_delay_alu instid0(VALU_DEP_2) | instskip(NEXT) | instid1(VALU_DEP_2)
	v_cndmask_b32_e64 v8, v24, v8, s2
	v_fma_f32 v6, v20, v20, 1.0
	s_delay_alu instid0(VALU_DEP_2) | instskip(NEXT) | instid1(VALU_DEP_1)
	v_mul_f32_e32 v1, 0x37800000, v8
	v_dual_mul_f32 v7, v9, v6 :: v_dual_cndmask_b32 v1, v8, v1, vcc_lo
	v_cmp_class_f32_e64 vcc_lo, v16, 0x260
	s_delay_alu instid0(VALU_DEP_2) | instskip(NEXT) | instid1(VALU_DEP_1)
	v_cndmask_b32_e32 v8, v1, v16, vcc_lo
	v_pk_mul_f32 v[6:7], v[8:9], v[6:7]
	s_delay_alu instid0(VALU_DEP_1) | instskip(NEXT) | instid1(VALU_DEP_1)
	v_dual_mul_f32 v1, v9, v6 :: v_dual_add_f32 v6, 1.0, v7
	v_div_scale_f32 v7, null, v6, v6, v1
	v_div_scale_f32 v8, null, v6, v6, v20
	v_div_scale_f32 v28, vcc_lo, v1, v6, v1
	s_delay_alu instid0(VALU_DEP_3) | instskip(NEXT) | instid1(VALU_DEP_2)
	v_rcp_f32_e32 v9, v7
	v_rcp_f32_e32 v16, v8
	s_delay_alu instid0(TRANS32_DEP_2) | instskip(NEXT) | instid1(TRANS32_DEP_1)
	v_fma_f32 v22, -v7, v9, 1.0
	v_fma_f32 v24, -v8, v16, 1.0
	s_delay_alu instid0(VALU_DEP_2) | instskip(SKIP_1) | instid1(VALU_DEP_3)
	v_fmac_f32_e32 v9, v22, v9
	v_div_scale_f32 v22, s2, v20, v6, v20
	v_fmac_f32_e32 v16, v24, v16
	s_delay_alu instid0(VALU_DEP_1) | instskip(NEXT) | instid1(VALU_DEP_1)
	v_dual_mul_f32 v24, v28, v9 :: v_dual_mul_f32 v29, v22, v16
	v_dual_fma_f32 v30, -v7, v24, v28 :: v_dual_fma_f32 v31, -v8, v29, v22
	s_delay_alu instid0(VALU_DEP_1) | instskip(NEXT) | instid1(VALU_DEP_1)
	v_dual_fmac_f32 v24, v30, v9 :: v_dual_fmac_f32 v29, v31, v16
	v_dual_fma_f32 v7, -v7, v24, v28 :: v_dual_fma_f32 v8, -v8, v29, v22
	s_delay_alu instid0(VALU_DEP_1) | instskip(SKIP_1) | instid1(VALU_DEP_2)
	v_div_fmas_f32 v7, v7, v9, v24
	s_mov_b32 vcc_lo, s2
	v_div_fmas_f32 v8, v8, v16, v29
	s_delay_alu instid0(VALU_DEP_2) | instskip(NEXT) | instid1(VALU_DEP_2)
	v_div_fixup_f32 v1, v7, v6, v1
                                        ; implicit-def: $vgpr7
	v_div_fixup_f32 v6, v8, v6, v20
.LBB94_15:                              ;   in Loop: Header=BB94_7 Depth=1
	s_and_not1_saveexec_b32 s31, s31
	s_cbranch_execz .LBB94_18
; %bb.16:                               ;   in Loop: Header=BB94_7 Depth=1
	v_lshrrev_b32_e32 v1, 23, v7
	v_cmp_ngt_f32_e64 s33, 0x48000000, |v10|
	v_and_or_b32 v16, v7, s22, 0x800000
                                        ; implicit-def: $vgpr8
	s_delay_alu instid0(VALU_DEP_3) | instskip(SKIP_1) | instid1(SALU_CYCLE_1)
	v_add_nc_u32_e32 v6, 0xffffff88, v1
                                        ; implicit-def: $vgpr1
	s_and_saveexec_b32 s2, s33
	s_xor_b32 s34, exec_lo, s2
	s_cbranch_execz .LBB94_19
; %bb.17:                               ;   in Loop: Header=BB94_7 Depth=1
	v_mul_u64_e32 v[8:9], s[12:13], v[16:17]
	v_mov_b32_e32 v29, v17
	v_cmp_lt_u32_e32 vcc_lo, 63, v6
	v_cndmask_b32_e64 v1, 0, 0xffffffc0, vcc_lo
	s_delay_alu instid0(VALU_DEP_4) | instskip(NEXT) | instid1(VALU_DEP_1)
	v_mov_b32_e32 v28, v9
	v_mad_nc_u64_u32 v[28:29], 0x3c439041, v16, v[28:29]
	s_delay_alu instid0(VALU_DEP_1) | instskip(NEXT) | instid1(VALU_DEP_1)
	v_dual_mov_b32 v31, v17 :: v_dual_mov_b32 v30, v29
	v_mad_nc_u64_u32 v[30:31], 0xdb629599, v16, v[30:31]
	s_delay_alu instid0(VALU_DEP_1) | instskip(NEXT) | instid1(VALU_DEP_2)
	v_dual_mov_b32 v33, v17 :: v_dual_mov_b32 v32, v31
	v_cndmask_b32_e32 v8, v30, v8, vcc_lo
	s_delay_alu instid0(VALU_DEP_2) | instskip(NEXT) | instid1(VALU_DEP_1)
	v_mad_nc_u64_u32 v[32:33], 0xf534ddc0, v16, v[32:33]
	v_dual_mov_b32 v35, v17 :: v_dual_mov_b32 v34, v33
	s_delay_alu instid0(VALU_DEP_1) | instskip(NEXT) | instid1(VALU_DEP_1)
	v_mad_nc_u64_u32 v[34:35], 0xfc2757d1, v16, v[34:35]
	v_dual_mov_b32 v37, v17 :: v_dual_mov_b32 v36, v35
	s_delay_alu instid0(VALU_DEP_2) | instskip(NEXT) | instid1(VALU_DEP_2)
	v_cndmask_b32_e32 v29, v34, v30, vcc_lo
	v_mad_nc_u64_u32 v[36:37], 0x4e441529, v16, v[36:37]
	v_add_nc_u32_e32 v1, v1, v6
	s_delay_alu instid0(VALU_DEP_2) | instskip(NEXT) | instid1(VALU_DEP_3)
	v_dual_mov_b32 v39, v17 :: v_dual_mov_b32 v38, v37
	v_cndmask_b32_e32 v20, v36, v32, vcc_lo
	s_delay_alu instid0(VALU_DEP_3) | instskip(NEXT) | instid1(VALU_DEP_3)
	v_cmp_lt_u32_e64 s2, 31, v1
	v_mad_nc_u64_u32 v[38:39], 0xa2f9836e, v16, v[38:39]
	s_delay_alu instid0(VALU_DEP_2) | instskip(NEXT) | instid1(VALU_DEP_1)
	v_cndmask_b32_e64 v9, 0, 0xffffffe0, s2
	v_dual_cndmask_b32 v22, v38, v34 :: v_dual_add_nc_u32 v1, v9, v1
	s_delay_alu instid0(VALU_DEP_1) | instskip(NEXT) | instid1(VALU_DEP_4)
	v_cmp_lt_u32_e64 s3, 31, v1
	v_cndmask_b32_e32 v24, v39, v36, vcc_lo
	s_delay_alu instid0(VALU_DEP_2) | instskip(NEXT) | instid1(VALU_DEP_1)
	v_cndmask_b32_e64 v9, 0, 0xffffffe0, s3
	v_dual_add_nc_u32 v1, v9, v1 :: v_dual_cndmask_b32 v9, v32, v28, vcc_lo
	s_delay_alu instid0(VALU_DEP_3) | instskip(SKIP_1) | instid1(VALU_DEP_3)
	v_dual_cndmask_b32 v28, v22, v20, s2 :: v_dual_cndmask_b32 v22, v24, v22, s2
	v_cndmask_b32_e64 v20, v20, v29, s2
	v_sub_nc_u32_e32 v24, 32, v1
	s_delay_alu instid0(VALU_DEP_4) | instskip(SKIP_3) | instid1(VALU_DEP_1)
	v_cndmask_b32_e64 v29, v29, v9, s2
	v_cmp_eq_u32_e32 vcc_lo, 0, v1
	v_cndmask_b32_e64 v22, v22, v28, s3
	v_cndmask_b32_e64 v28, v28, v20, s3
	v_alignbit_b32 v31, v22, v28, v24
	s_delay_alu instid0(VALU_DEP_1) | instskip(NEXT) | instid1(VALU_DEP_1)
	v_dual_cndmask_b32 v20, v20, v29, s3 :: v_dual_cndmask_b32 v1, v31, v22, vcc_lo
	v_alignbit_b32 v30, v28, v20, v24
	s_delay_alu instid0(VALU_DEP_2) | instskip(SKIP_1) | instid1(VALU_DEP_1)
	v_bfe_u32 v22, v1, 29, 1
	v_cndmask_b32_e64 v8, v9, v8, s2
	v_dual_cndmask_b32 v8, v29, v8, s3 :: v_dual_sub_nc_u32 v29, 0, v22
	s_delay_alu instid0(VALU_DEP_4) | instskip(NEXT) | instid1(VALU_DEP_2)
	v_cndmask_b32_e32 v9, v30, v28, vcc_lo
	v_alignbit_b32 v24, v20, v8, v24
	s_delay_alu instid0(VALU_DEP_2) | instskip(NEXT) | instid1(VALU_DEP_2)
	v_alignbit_b32 v28, v1, v9, 30
	v_cndmask_b32_e32 v20, v24, v20, vcc_lo
	s_delay_alu instid0(VALU_DEP_2) | instskip(NEXT) | instid1(VALU_DEP_2)
	v_xor_b32_e32 v28, v28, v29
	v_alignbit_b32 v9, v9, v20, 30
	s_delay_alu instid0(VALU_DEP_2) | instskip(NEXT) | instid1(VALU_DEP_2)
	v_clz_i32_u32_e32 v24, v28
	v_xor_b32_e32 v9, v9, v29
	v_alignbit_b32 v8, v20, v8, 30
	s_delay_alu instid0(VALU_DEP_3) | instskip(NEXT) | instid1(VALU_DEP_1)
	v_min_u32_e32 v24, 32, v24
	v_dual_sub_nc_u32 v20, 31, v24 :: v_dual_bitop2_b32 v8, v8, v29 bitop3:0x14
	v_dual_lshrrev_b32 v29, 29, v1 :: v_dual_lshlrev_b32 v30, 23, v24
	s_delay_alu instid0(VALU_DEP_2) | instskip(NEXT) | instid1(VALU_DEP_3)
	v_alignbit_b32 v28, v28, v9, v20
	v_alignbit_b32 v8, v9, v8, v20
	s_delay_alu instid0(VALU_DEP_3) | instskip(NEXT) | instid1(VALU_DEP_2)
	v_lshlrev_b32_e32 v9, 31, v29
	v_alignbit_b32 v20, v28, v8, 9
	s_delay_alu instid0(VALU_DEP_2) | instskip(SKIP_1) | instid1(VALU_DEP_3)
	v_dual_lshrrev_b32 v28, 9, v28 :: v_dual_bitop2_b32 v29, 0.5, v9 bitop3:0x54
	v_or_b32_e32 v9, 0x33000000, v9
	v_clz_i32_u32_e32 v31, v20
	s_delay_alu instid0(VALU_DEP_3) | instskip(NEXT) | instid1(VALU_DEP_2)
	v_sub_nc_u32_e32 v29, v29, v30
	v_min_u32_e32 v30, 32, v31
	s_delay_alu instid0(VALU_DEP_1) | instskip(NEXT) | instid1(VALU_DEP_3)
	v_add_lshl_u32 v24, v30, v24, 23
	v_or_b32_e32 v28, v28, v29
	v_not_b32_e32 v29, v30
	s_delay_alu instid0(VALU_DEP_3) | instskip(NEXT) | instid1(VALU_DEP_3)
	v_sub_nc_u32_e32 v9, v9, v24
	v_mul_f32_e32 v31, 0x3fc90fda, v28
	s_delay_alu instid0(VALU_DEP_3) | instskip(NEXT) | instid1(VALU_DEP_2)
	v_alignbit_b32 v8, v20, v8, v29
	v_fma_f32 v20, 0x3fc90fda, v28, -v31
	s_delay_alu instid0(VALU_DEP_2) | instskip(NEXT) | instid1(VALU_DEP_2)
	v_lshrrev_b32_e32 v8, 9, v8
	v_fmac_f32_e32 v20, 0x33a22168, v28
	s_delay_alu instid0(VALU_DEP_2) | instskip(NEXT) | instid1(VALU_DEP_1)
	v_or_b32_e32 v8, v9, v8
	v_fmac_f32_e32 v20, 0x3fc90fda, v8
	s_delay_alu instid0(VALU_DEP_1) | instskip(NEXT) | instid1(VALU_DEP_1)
	v_dual_add_f32 v1, v31, v20 :: v_dual_lshrrev_b32 v8, 30, v1
	v_add_nc_u32_e32 v8, v22, v8
	s_and_not1_saveexec_b32 s2, s34
	s_branch .LBB94_20
.LBB94_18:                              ;   in Loop: Header=BB94_7 Depth=1
	s_or_b32 exec_lo, exec_lo, s31
	s_and_not1_saveexec_b32 s2, s30
	s_cbranch_execnz .LBB94_27
	s_branch .LBB94_28
.LBB94_19:                              ;   in Loop: Header=BB94_7 Depth=1
	s_and_not1_saveexec_b32 s2, s34
.LBB94_20:                              ;   in Loop: Header=BB94_7 Depth=1
	v_mul_f32_e64 v1, 0x3f22f983, |v10|
	s_delay_alu instid0(VALU_DEP_1) | instskip(NEXT) | instid1(VALU_DEP_1)
	v_rndne_f32_e32 v8, v1
	v_fma_f32 v1, 0xbfc90fda, v8, |v10|
	s_delay_alu instid0(VALU_DEP_1) | instskip(NEXT) | instid1(VALU_DEP_1)
	v_fmac_f32_e32 v1, 0xb3a22168, v8
	v_fmac_f32_e32 v1, 0xa7c234c4, v8
	v_cvt_i32_f32_e32 v8, v8
; %bb.21:                               ;   in Loop: Header=BB94_7 Depth=1
	s_or_b32 exec_lo, exec_lo, s2
                                        ; implicit-def: $vgpr20
                                        ; implicit-def: $vgpr9
	s_and_saveexec_b32 s2, s33
	s_delay_alu instid0(SALU_CYCLE_1)
	s_xor_b32 s33, exec_lo, s2
	s_cbranch_execz .LBB94_23
; %bb.22:                               ;   in Loop: Header=BB94_7 Depth=1
	v_mul_u64_e32 v[28:29], s[12:13], v[16:17]
	v_mov_b32_e32 v31, v17
	v_cmp_lt_u32_e32 vcc_lo, 63, v6
	v_cndmask_b32_e64 v9, 0, 0xffffffc0, vcc_lo
	s_delay_alu instid0(VALU_DEP_4) | instskip(NEXT) | instid1(VALU_DEP_1)
	v_mov_b32_e32 v30, v29
	v_mad_nc_u64_u32 v[30:31], 0x3c439041, v16, v[30:31]
	s_delay_alu instid0(VALU_DEP_1) | instskip(NEXT) | instid1(VALU_DEP_1)
	v_dual_mov_b32 v33, v17 :: v_dual_mov_b32 v32, v31
	v_mad_nc_u64_u32 v[32:33], 0xdb629599, v16, v[32:33]
	s_delay_alu instid0(VALU_DEP_1) | instskip(NEXT) | instid1(VALU_DEP_2)
	v_dual_mov_b32 v35, v17 :: v_dual_mov_b32 v34, v33
	v_cndmask_b32_e32 v28, v32, v28, vcc_lo
	s_delay_alu instid0(VALU_DEP_2) | instskip(NEXT) | instid1(VALU_DEP_1)
	v_mad_nc_u64_u32 v[34:35], 0xf534ddc0, v16, v[34:35]
	v_dual_mov_b32 v37, v17 :: v_dual_mov_b32 v36, v35
	s_delay_alu instid0(VALU_DEP_1) | instskip(NEXT) | instid1(VALU_DEP_1)
	v_mad_nc_u64_u32 v[36:37], 0xfc2757d1, v16, v[36:37]
	v_dual_mov_b32 v39, v17 :: v_dual_mov_b32 v38, v37
	s_delay_alu instid0(VALU_DEP_2) | instskip(NEXT) | instid1(VALU_DEP_2)
	v_cndmask_b32_e32 v24, v36, v32, vcc_lo
	v_mad_nc_u64_u32 v[38:39], 0x4e441529, v16, v[38:39]
	v_add_nc_u32_e32 v6, v9, v6
	s_delay_alu instid0(VALU_DEP_2) | instskip(NEXT) | instid1(VALU_DEP_2)
	v_dual_mov_b32 v41, v17 :: v_dual_mov_b32 v40, v39
	v_cmp_lt_u32_e64 s2, 31, v6
	s_delay_alu instid0(VALU_DEP_2) | instskip(NEXT) | instid1(VALU_DEP_2)
	v_mad_nc_u64_u32 v[40:41], 0xa2f9836e, v16, v[40:41]
	v_cndmask_b32_e64 v9, 0, 0xffffffe0, s2
	v_cndmask_b32_e32 v16, v38, v34, vcc_lo
	s_delay_alu instid0(VALU_DEP_2) | instskip(NEXT) | instid1(VALU_DEP_1)
	v_dual_add_nc_u32 v6, v9, v6 :: v_dual_cndmask_b32 v20, v40, v36, vcc_lo
	v_cmp_lt_u32_e64 s3, 31, v6
	s_delay_alu instid0(VALU_DEP_2) | instskip(NEXT) | instid1(VALU_DEP_2)
	v_dual_cndmask_b32 v22, v41, v38, vcc_lo :: v_dual_cndmask_b32 v29, v20, v16, s2
	v_cndmask_b32_e64 v9, 0, 0xffffffe0, s3
	s_delay_alu instid0(VALU_DEP_1) | instskip(SKIP_1) | instid1(VALU_DEP_2)
	v_dual_cndmask_b32 v16, v16, v24, s2 :: v_dual_add_nc_u32 v6, v9, v6
	v_cndmask_b32_e32 v9, v34, v30, vcc_lo
	v_dual_cndmask_b32 v20, v22, v20, s2 :: v_dual_sub_nc_u32 v22, 32, v6
	s_delay_alu instid0(VALU_DEP_2) | instskip(NEXT) | instid1(VALU_DEP_2)
	v_cndmask_b32_e64 v24, v24, v9, s2
	v_dual_cndmask_b32 v20, v20, v29, s3 :: v_dual_cndmask_b32 v9, v9, v28, s2
	v_cndmask_b32_e64 v29, v29, v16, s3
	v_cmp_eq_u32_e32 vcc_lo, 0, v6
	s_delay_alu instid0(VALU_DEP_4) | instskip(NEXT) | instid1(VALU_DEP_4)
	v_cndmask_b32_e64 v16, v16, v24, s3
	v_cndmask_b32_e64 v9, v24, v9, s3
	s_delay_alu instid0(VALU_DEP_4) | instskip(NEXT) | instid1(VALU_DEP_3)
	v_alignbit_b32 v30, v20, v29, v22
	v_alignbit_b32 v31, v29, v16, v22
	s_delay_alu instid0(VALU_DEP_1) | instskip(NEXT) | instid1(VALU_DEP_4)
	v_dual_cndmask_b32 v6, v30, v20, vcc_lo :: v_dual_cndmask_b32 v20, v31, v29, vcc_lo
	v_alignbit_b32 v22, v16, v9, v22
	s_delay_alu instid0(VALU_DEP_2) | instskip(NEXT) | instid1(VALU_DEP_3)
	v_bfe_u32 v28, v6, 29, 1
	v_alignbit_b32 v24, v6, v20, 30
	s_delay_alu instid0(VALU_DEP_3) | instskip(NEXT) | instid1(VALU_DEP_3)
	v_cndmask_b32_e32 v16, v22, v16, vcc_lo
	v_sub_nc_u32_e32 v29, 0, v28
	s_delay_alu instid0(VALU_DEP_2) | instskip(SKIP_1) | instid1(VALU_DEP_3)
	v_alignbit_b32 v20, v20, v16, 30
	v_alignbit_b32 v9, v16, v9, 30
	v_xor_b32_e32 v24, v24, v29
	s_delay_alu instid0(VALU_DEP_1) | instskip(NEXT) | instid1(VALU_DEP_1)
	v_clz_i32_u32_e32 v22, v24
	v_min_u32_e32 v22, 32, v22
	s_delay_alu instid0(VALU_DEP_1) | instskip(SKIP_2) | instid1(VALU_DEP_2)
	v_dual_lshlrev_b32 v30, 23, v22 :: v_dual_bitop2_b32 v16, v20, v29 bitop3:0x14
	v_dual_sub_nc_u32 v20, 31, v22 :: v_dual_bitop2_b32 v9, v9, v29 bitop3:0x14
	v_dual_lshrrev_b32 v29, 29, v6 :: v_dual_lshrrev_b32 v6, 30, v6
	v_alignbit_b32 v24, v24, v16, v20
	s_delay_alu instid0(VALU_DEP_3) | instskip(NEXT) | instid1(VALU_DEP_3)
	v_alignbit_b32 v9, v16, v9, v20
	v_lshlrev_b32_e32 v16, 31, v29
	s_delay_alu instid0(VALU_DEP_2) | instskip(NEXT) | instid1(VALU_DEP_2)
	v_alignbit_b32 v20, v24, v9, 9
	v_or_b32_e32 v29, 0.5, v16
	v_lshrrev_b32_e32 v24, 9, v24
	v_or_b32_e32 v16, 0x33000000, v16
	s_delay_alu instid0(VALU_DEP_4) | instskip(NEXT) | instid1(VALU_DEP_4)
	v_clz_i32_u32_e32 v31, v20
	v_sub_nc_u32_e32 v29, v29, v30
	s_delay_alu instid0(VALU_DEP_2) | instskip(NEXT) | instid1(VALU_DEP_2)
	v_min_u32_e32 v30, 32, v31
	v_or_b32_e32 v24, v24, v29
	s_delay_alu instid0(VALU_DEP_2) | instskip(SKIP_1) | instid1(VALU_DEP_2)
	v_not_b32_e32 v29, v30
	v_add_lshl_u32 v22, v30, v22, 23
	v_alignbit_b32 v9, v20, v9, v29
	s_delay_alu instid0(VALU_DEP_1) | instskip(NEXT) | instid1(VALU_DEP_1)
	v_dual_sub_nc_u32 v16, v16, v22 :: v_dual_lshrrev_b32 v9, 9, v9
	v_or_b32_e32 v9, v16, v9
	v_mul_f32_e32 v31, 0x3fc90fda, v24
	s_delay_alu instid0(VALU_DEP_1) | instskip(NEXT) | instid1(VALU_DEP_1)
	v_fma_f32 v20, 0x3fc90fda, v24, -v31
	v_fmac_f32_e32 v20, 0x33a22168, v24
	s_delay_alu instid0(VALU_DEP_1) | instskip(NEXT) | instid1(VALU_DEP_1)
	v_fmac_f32_e32 v20, 0x3fc90fda, v9
	v_dual_add_f32 v9, v31, v20 :: v_dual_add_nc_u32 v20, v28, v6
	s_and_not1_saveexec_b32 s2, s33
	s_cbranch_execnz .LBB94_24
	s_branch .LBB94_25
.LBB94_23:                              ;   in Loop: Header=BB94_7 Depth=1
	s_and_not1_saveexec_b32 s2, s33
.LBB94_24:                              ;   in Loop: Header=BB94_7 Depth=1
	v_mul_f32_e64 v6, 0x3f22f983, |v10|
	s_delay_alu instid0(VALU_DEP_1) | instskip(NEXT) | instid1(VALU_DEP_1)
	v_rndne_f32_e32 v6, v6
	v_fma_f32 v9, 0xbfc90fda, v6, |v10|
	v_cvt_i32_f32_e32 v20, v6
	s_delay_alu instid0(VALU_DEP_2) | instskip(NEXT) | instid1(VALU_DEP_1)
	v_fmac_f32_e32 v9, 0xb3a22168, v6
	v_fmac_f32_e32 v9, 0xa7c234c4, v6
.LBB94_25:                              ;   in Loop: Header=BB94_7 Depth=1
	s_or_b32 exec_lo, exec_lo, s2
	v_dual_mul_f32 v6, v1, v1 :: v_dual_bitop2_b32 v16, 1, v8 bitop3:0x40
	s_delay_alu instid0(VALU_DEP_2) | instskip(SKIP_1) | instid1(VALU_DEP_3)
	v_dual_mul_f32 v29, v9, v9 :: v_dual_lshlrev_b32 v8, 30, v8
	v_mul_f32_e64 v22, 0xbfb8aa3b, |v11|
	v_fmaak_f32 v24, s26, v6, 0x3c0881c4
	s_delay_alu instid0(VALU_DEP_4) | instskip(NEXT) | instid1(VALU_DEP_4)
	v_cmp_eq_u32_e32 vcc_lo, 0, v16
	v_bitop3_b32 v7, v7, v8, 0x80000000 bitop3:0x78
	v_fmaak_f32 v31, s26, v29, 0x3c0881c4
	v_rndne_f32_e32 v8, v22
	v_fmaak_f32 v24, v6, v24, 0xbe2aaa9d
	v_fma_f32 v30, 0xbfb8aa3b, |v11|, -v22
	s_delay_alu instid0(VALU_DEP_2) | instskip(SKIP_1) | instid1(VALU_DEP_3)
	v_dual_fmaak_f32 v31, v29, v31, 0xbe2aaa9d :: v_dual_mul_f32 v24, v6, v24
	v_fmaak_f32 v28, s27, v6, 0xbab64f3b
	v_fma_f32 v30, 0xb2a5705f, |v11|, v30
	s_delay_alu instid0(VALU_DEP_3) | instskip(NEXT) | instid1(VALU_DEP_3)
	v_fmac_f32_e32 v1, v1, v24
	v_fmaak_f32 v28, v6, v28, 0x3d2aabf7
	s_delay_alu instid0(VALU_DEP_1) | instskip(NEXT) | instid1(VALU_DEP_1)
	v_fmaak_f32 v28, v6, v28, 0xbf000004
	v_fma_f32 v6, v6, v28, 1.0
	v_mul_f32_e32 v28, v29, v31
	v_fmaak_f32 v32, s27, v29, 0xbab64f3b
	s_delay_alu instid0(VALU_DEP_2) | instskip(NEXT) | instid1(VALU_DEP_2)
	v_dual_cndmask_b32 v1, v6, v1, vcc_lo :: v_dual_fmac_f32 v9, v9, v28
	v_fmaak_f32 v24, v29, v32, 0x3d2aabf7
	s_delay_alu instid0(VALU_DEP_2) | instskip(NEXT) | instid1(VALU_DEP_1)
	v_xor3_b32 v1, v7, v1, v10
	v_dual_fmaak_f32 v6, v29, v24, 0xbf000004 :: v_dual_mul_f32 v1, 4.0, v1
	s_delay_alu instid0(VALU_DEP_1) | instskip(SKIP_2) | instid1(VALU_DEP_2)
	v_fma_f32 v6, v29, v6, 1.0
	v_sub_f32_e32 v22, v22, v8
	v_cvt_i32_f32_e32 v8, v8
	v_add_f32_e32 v22, v22, v30
	s_delay_alu instid0(VALU_DEP_1) | instskip(SKIP_2) | instid1(VALU_DEP_1)
	v_exp_f32_e32 v16, v22
	v_nop
	v_and_b32_e32 v22, 1, v20
	v_cmp_eq_u32_e32 vcc_lo, 0, v22
	s_delay_alu instid0(TRANS32_DEP_1) | instskip(SKIP_2) | instid1(VALU_DEP_2)
	v_ldexp_f32 v7, v16, v8
	v_dual_lshlrev_b32 v8, 30, v20 :: v_dual_cndmask_b32 v6, -v9, v6, vcc_lo
	v_cmp_nlt_f32_e64 vcc_lo, 0x42ce8ed0, |v11|
	v_bitop3_b32 v6, v8, v6, 0x80000000 bitop3:0x6c
	s_delay_alu instid0(VALU_DEP_4) | instskip(SKIP_1) | instid1(VALU_DEP_3)
	v_cndmask_b32_e32 v7, 0, v7, vcc_lo
	v_cmp_ngt_f32_e64 vcc_lo, 0xc2b17218, |v11|
	v_mul_f32_e32 v1, v1, v6
	v_xor_b32_e32 v6, 0x80000000, v11
	s_delay_alu instid0(VALU_DEP_4) | instskip(NEXT) | instid1(VALU_DEP_1)
	v_cndmask_b32_e32 v7, 0x7f800000, v7, vcc_lo
	v_mul_f32_e32 v8, v7, v1
	s_delay_alu instid0(VALU_DEP_3) | instskip(NEXT) | instid1(VALU_DEP_2)
	v_bfi_b32 v1, 0x7fffffff, 1.0, v6
	v_mul_f32_e32 v6, v7, v8
	s_or_b32 exec_lo, exec_lo, s31
.LBB94_26:                              ;   in Loop: Header=BB94_7 Depth=1
	s_and_not1_saveexec_b32 s2, s30
.LBB94_27:                              ;   in Loop: Header=BB94_7 Depth=1
	v_sub_f32_e32 v6, v10, v10
	s_delay_alu instid0(VALU_DEP_1)
	v_mov_b32_e32 v1, v6
.LBB94_28:                              ;   in Loop: Header=BB94_7 Depth=1
	s_or_b32 exec_lo, exec_lo, s2
.LBB94_29:                              ;   in Loop: Header=BB94_7 Depth=1
	s_and_not1_saveexec_b32 s29, s29
	s_cbranch_execz .LBB94_45
; %bb.30:                               ;   in Loop: Header=BB94_7 Depth=1
	v_xor_b32_e32 v1, 0x80000000, v11
	s_delay_alu instid0(VALU_DEP_1) | instskip(NEXT) | instid1(VALU_DEP_1)
	v_and_b32_e32 v6, 0x7fffff, v1
	v_cmp_ne_u32_e32 vcc_lo, 0, v6
                                        ; implicit-def: $vgpr6
	s_and_saveexec_b32 s2, vcc_lo
	s_delay_alu instid0(SALU_CYCLE_1)
	s_xor_b32 s2, exec_lo, s2
; %bb.31:                               ;   in Loop: Header=BB94_7 Depth=1
	v_mul_f32_e64 v6, v10, -v11
	v_cmp_eq_f32_e32 vcc_lo, 0, v10
	s_delay_alu instid0(VALU_DEP_2)
	v_cndmask_b32_e32 v6, v6, v10, vcc_lo
; %bb.32:                               ;   in Loop: Header=BB94_7 Depth=1
	s_and_not1_saveexec_b32 s30, s2
	s_cbranch_execz .LBB94_44
; %bb.33:                               ;   in Loop: Header=BB94_7 Depth=1
	s_mov_b32 s31, exec_lo
	v_cmpx_neq_f32_e64 0x7f800000, |v10|
	s_cbranch_execz .LBB94_43
; %bb.34:                               ;   in Loop: Header=BB94_7 Depth=1
	v_and_b32_e32 v6, 0x7fffffff, v10
	v_cmp_ngt_f32_e64 s33, 0x48000000, |v10|
                                        ; implicit-def: $vgpr8
	s_delay_alu instid0(VALU_DEP_2) | instskip(SKIP_1) | instid1(VALU_DEP_2)
	v_lshrrev_b32_e32 v7, 23, v6
	v_and_or_b32 v16, v6, s22, 0x800000
	v_add_nc_u32_e32 v9, 0xffffff88, v7
                                        ; implicit-def: $vgpr7
	s_and_saveexec_b32 s2, s33
	s_delay_alu instid0(SALU_CYCLE_1)
	s_xor_b32 s34, exec_lo, s2
	s_cbranch_execz .LBB94_36
; %bb.35:                               ;   in Loop: Header=BB94_7 Depth=1
	v_mul_u64_e32 v[28:29], s[12:13], v[16:17]
	v_mov_b32_e32 v31, v17
	v_cmp_lt_u32_e32 vcc_lo, 63, v9
	v_mov_b32_e32 v41, v17
	v_cndmask_b32_e64 v7, 0, 0xffffffc0, vcc_lo
	s_delay_alu instid0(VALU_DEP_1) | instskip(NEXT) | instid1(VALU_DEP_1)
	v_add_nc_u32_e32 v7, v7, v9
	v_cmp_lt_u32_e64 s2, 31, v7
	s_delay_alu instid0(VALU_DEP_1) | instskip(NEXT) | instid1(VALU_DEP_1)
	v_cndmask_b32_e64 v8, 0, 0xffffffe0, s2
	v_dual_mov_b32 v30, v29 :: v_dual_add_nc_u32 v7, v8, v7
	s_delay_alu instid0(VALU_DEP_1) | instskip(NEXT) | instid1(VALU_DEP_2)
	v_cmp_lt_u32_e64 s3, 31, v7
	v_mad_nc_u64_u32 v[30:31], 0x3c439041, v16, v[30:31]
	v_mov_b32_e32 v33, v17
	s_delay_alu instid0(VALU_DEP_3) | instskip(NEXT) | instid1(VALU_DEP_3)
	v_cndmask_b32_e64 v8, 0, 0xffffffe0, s3
	v_mov_b32_e32 v32, v31
	s_delay_alu instid0(VALU_DEP_1) | instskip(NEXT) | instid1(VALU_DEP_1)
	v_mad_nc_u64_u32 v[32:33], 0xdb629599, v16, v[32:33]
	v_dual_mov_b32 v35, v17 :: v_dual_mov_b32 v34, v33
	s_delay_alu instid0(VALU_DEP_1) | instskip(SKIP_1) | instid1(VALU_DEP_2)
	v_mad_nc_u64_u32 v[34:35], 0xf534ddc0, v16, v[34:35]
	v_dual_mov_b32 v37, v17 :: v_dual_add_nc_u32 v7, v8, v7
	v_dual_cndmask_b32 v8, v34, v30, vcc_lo :: v_dual_mov_b32 v36, v35
	s_delay_alu instid0(VALU_DEP_1) | instskip(NEXT) | instid1(VALU_DEP_1)
	v_mad_nc_u64_u32 v[36:37], 0xfc2757d1, v16, v[36:37]
	v_dual_mov_b32 v39, v17 :: v_dual_mov_b32 v38, v37
	s_delay_alu instid0(VALU_DEP_2) | instskip(NEXT) | instid1(VALU_DEP_2)
	v_cndmask_b32_e32 v24, v36, v32, vcc_lo
	v_mad_nc_u64_u32 v[38:39], 0x4e441529, v16, v[38:39]
	s_delay_alu instid0(VALU_DEP_1) | instskip(NEXT) | instid1(VALU_DEP_1)
	v_mov_b32_e32 v40, v39
	v_mad_nc_u64_u32 v[40:41], 0xa2f9836e, v16, v[40:41]
	s_delay_alu instid0(VALU_DEP_1) | instskip(NEXT) | instid1(VALU_DEP_1)
	v_dual_cndmask_b32 v11, v38, v34 :: v_dual_cndmask_b32 v20, v40, v36
	v_dual_cndmask_b32 v22, v41, v38, vcc_lo :: v_dual_cndmask_b32 v29, v20, v11, s2
	s_delay_alu instid0(VALU_DEP_1) | instskip(SKIP_2) | instid1(VALU_DEP_2)
	v_cndmask_b32_e64 v20, v22, v20, s2
	v_dual_cndmask_b32 v11, v11, v24, s2 :: v_dual_sub_nc_u32 v22, 32, v7
	v_cndmask_b32_e64 v24, v24, v8, s2
	v_dual_cndmask_b32 v20, v20, v29, s3 :: v_dual_cndmask_b32 v29, v29, v11, s3
	s_delay_alu instid0(VALU_DEP_2) | instskip(NEXT) | instid1(VALU_DEP_2)
	v_cndmask_b32_e64 v11, v11, v24, s3
	v_alignbit_b32 v30, v20, v29, v22
	s_delay_alu instid0(VALU_DEP_2) | instskip(SKIP_2) | instid1(VALU_DEP_3)
	v_alignbit_b32 v31, v29, v11, v22
	v_cndmask_b32_e32 v28, v32, v28, vcc_lo
	v_cmp_eq_u32_e32 vcc_lo, 0, v7
	v_dual_cndmask_b32 v7, v30, v20 :: v_dual_cndmask_b32 v20, v31, v29
	s_delay_alu instid0(VALU_DEP_3) | instskip(NEXT) | instid1(VALU_DEP_2)
	v_cndmask_b32_e64 v8, v8, v28, s2
	v_bfe_u32 v28, v7, 29, 1
	s_delay_alu instid0(VALU_DEP_1) | instskip(NEXT) | instid1(VALU_DEP_3)
	v_sub_nc_u32_e32 v29, 0, v28
	v_cndmask_b32_e64 v8, v24, v8, s3
	v_alignbit_b32 v24, v7, v20, 30
	s_delay_alu instid0(VALU_DEP_2) | instskip(NEXT) | instid1(VALU_DEP_1)
	v_alignbit_b32 v22, v11, v8, v22
	v_dual_cndmask_b32 v11, v22, v11, vcc_lo :: v_dual_bitop2_b32 v24, v24, v29 bitop3:0x14
	s_delay_alu instid0(VALU_DEP_1) | instskip(NEXT) | instid1(VALU_DEP_2)
	v_clz_i32_u32_e32 v22, v24
	v_alignbit_b32 v20, v20, v11, 30
	s_delay_alu instid0(VALU_DEP_2) | instskip(SKIP_1) | instid1(VALU_DEP_2)
	v_min_u32_e32 v22, 32, v22
	v_alignbit_b32 v8, v11, v8, 30
	v_dual_sub_nc_u32 v20, 31, v22 :: v_dual_bitop2_b32 v11, v20, v29 bitop3:0x14
	s_delay_alu instid0(VALU_DEP_2) | instskip(SKIP_1) | instid1(VALU_DEP_3)
	v_dual_lshrrev_b32 v29, 29, v7 :: v_dual_bitop2_b32 v8, v8, v29 bitop3:0x14
	v_lshlrev_b32_e32 v30, 23, v22
	v_alignbit_b32 v24, v24, v11, v20
	s_delay_alu instid0(VALU_DEP_3) | instskip(NEXT) | instid1(VALU_DEP_4)
	v_alignbit_b32 v8, v11, v8, v20
	v_lshlrev_b32_e32 v11, 31, v29
	s_delay_alu instid0(VALU_DEP_2) | instskip(NEXT) | instid1(VALU_DEP_2)
	v_alignbit_b32 v20, v24, v8, 9
	v_dual_lshrrev_b32 v24, 9, v24 :: v_dual_bitop2_b32 v29, 0.5, v11 bitop3:0x54
	v_or_b32_e32 v11, 0x33000000, v11
	s_delay_alu instid0(VALU_DEP_3) | instskip(NEXT) | instid1(VALU_DEP_3)
	v_clz_i32_u32_e32 v31, v20
	v_sub_nc_u32_e32 v29, v29, v30
	s_delay_alu instid0(VALU_DEP_2) | instskip(NEXT) | instid1(VALU_DEP_1)
	v_min_u32_e32 v30, 32, v31
	v_add_lshl_u32 v22, v30, v22, 23
	s_delay_alu instid0(VALU_DEP_3) | instskip(SKIP_1) | instid1(VALU_DEP_3)
	v_or_b32_e32 v24, v24, v29
	v_not_b32_e32 v29, v30
	v_sub_nc_u32_e32 v11, v11, v22
	s_delay_alu instid0(VALU_DEP_3) | instskip(NEXT) | instid1(VALU_DEP_3)
	v_mul_f32_e32 v31, 0x3fc90fda, v24
	v_alignbit_b32 v8, v20, v8, v29
	s_delay_alu instid0(VALU_DEP_2) | instskip(NEXT) | instid1(VALU_DEP_2)
	v_fma_f32 v20, 0x3fc90fda, v24, -v31
	v_lshrrev_b32_e32 v8, 9, v8
	s_delay_alu instid0(VALU_DEP_2) | instskip(NEXT) | instid1(VALU_DEP_2)
	v_fmac_f32_e32 v20, 0x33a22168, v24
	v_or_b32_e32 v8, v11, v8
	s_delay_alu instid0(VALU_DEP_1) | instskip(NEXT) | instid1(VALU_DEP_1)
	v_fmac_f32_e32 v20, 0x3fc90fda, v8
	v_dual_add_f32 v7, v31, v20 :: v_dual_lshrrev_b32 v8, 30, v7
	s_delay_alu instid0(VALU_DEP_1)
	v_add_nc_u32_e32 v8, v28, v8
.LBB94_36:                              ;   in Loop: Header=BB94_7 Depth=1
	s_or_saveexec_b32 s2, s34
	v_mul_f32_e64 v11, 0x3f22f983, |v10|
	s_delay_alu instid0(VALU_DEP_1)
	v_rndne_f32_e32 v22, v11
	s_xor_b32 exec_lo, exec_lo, s2
; %bb.37:                               ;   in Loop: Header=BB94_7 Depth=1
	s_delay_alu instid0(VALU_DEP_1) | instskip(SKIP_1) | instid1(VALU_DEP_2)
	v_fma_f32 v7, 0xbfc90fda, v22, |v10|
	v_cvt_i32_f32_e32 v8, v22
	v_fmac_f32_e32 v7, 0xb3a22168, v22
	s_delay_alu instid0(VALU_DEP_1)
	v_fmac_f32_e32 v7, 0xa7c234c4, v22
; %bb.38:                               ;   in Loop: Header=BB94_7 Depth=1
	s_or_b32 exec_lo, exec_lo, s2
                                        ; implicit-def: $vgpr20
                                        ; implicit-def: $vgpr11
	s_and_saveexec_b32 s2, s33
	s_delay_alu instid0(SALU_CYCLE_1)
	s_xor_b32 s33, exec_lo, s2
	s_cbranch_execz .LBB94_40
; %bb.39:                               ;   in Loop: Header=BB94_7 Depth=1
	v_mul_u64_e32 v[28:29], s[12:13], v[16:17]
	v_mov_b32_e32 v31, v17
	v_cmp_lt_u32_e32 vcc_lo, 63, v9
	v_mov_b32_e32 v41, v17
	v_cndmask_b32_e64 v11, 0, 0xffffffc0, vcc_lo
	s_delay_alu instid0(VALU_DEP_1) | instskip(NEXT) | instid1(VALU_DEP_1)
	v_add_nc_u32_e32 v9, v11, v9
	v_cmp_lt_u32_e64 s2, 31, v9
	s_delay_alu instid0(VALU_DEP_1) | instskip(SKIP_1) | instid1(VALU_DEP_1)
	v_cndmask_b32_e64 v11, 0, 0xffffffe0, s2
	v_mov_b32_e32 v30, v29
	v_mad_nc_u64_u32 v[30:31], 0x3c439041, v16, v[30:31]
	s_delay_alu instid0(VALU_DEP_1) | instskip(NEXT) | instid1(VALU_DEP_1)
	v_dual_mov_b32 v33, v17 :: v_dual_mov_b32 v32, v31
	v_mad_nc_u64_u32 v[32:33], 0xdb629599, v16, v[32:33]
	s_delay_alu instid0(VALU_DEP_1) | instskip(NEXT) | instid1(VALU_DEP_2)
	v_dual_mov_b32 v35, v17 :: v_dual_mov_b32 v34, v33
	v_cndmask_b32_e32 v28, v32, v28, vcc_lo
	s_delay_alu instid0(VALU_DEP_2) | instskip(NEXT) | instid1(VALU_DEP_1)
	v_mad_nc_u64_u32 v[34:35], 0xf534ddc0, v16, v[34:35]
	v_dual_mov_b32 v37, v17 :: v_dual_mov_b32 v36, v35
	s_delay_alu instid0(VALU_DEP_1) | instskip(NEXT) | instid1(VALU_DEP_1)
	v_mad_nc_u64_u32 v[36:37], 0xfc2757d1, v16, v[36:37]
	v_dual_mov_b32 v39, v17 :: v_dual_mov_b32 v38, v37
	s_delay_alu instid0(VALU_DEP_2) | instskip(NEXT) | instid1(VALU_DEP_2)
	v_cndmask_b32_e32 v24, v36, v32, vcc_lo
	v_mad_nc_u64_u32 v[38:39], 0x4e441529, v16, v[38:39]
	s_delay_alu instid0(VALU_DEP_1) | instskip(NEXT) | instid1(VALU_DEP_1)
	v_mov_b32_e32 v40, v39
	v_mad_nc_u64_u32 v[40:41], 0xa2f9836e, v16, v[40:41]
	s_delay_alu instid0(VALU_DEP_3) | instskip(NEXT) | instid1(VALU_DEP_2)
	v_dual_cndmask_b32 v16, v38, v34 :: v_dual_add_nc_u32 v9, v11, v9
	v_cndmask_b32_e32 v20, v40, v36, vcc_lo
	s_delay_alu instid0(VALU_DEP_2) | instskip(NEXT) | instid1(VALU_DEP_4)
	v_cmp_lt_u32_e64 s3, 31, v9
	v_cndmask_b32_e32 v22, v41, v38, vcc_lo
	s_delay_alu instid0(VALU_DEP_2) | instskip(NEXT) | instid1(VALU_DEP_1)
	v_cndmask_b32_e64 v11, 0, 0xffffffe0, s3
	v_dual_add_nc_u32 v9, v11, v9 :: v_dual_cndmask_b32 v11, v34, v30, vcc_lo
	v_cndmask_b32_e64 v29, v20, v16, s2
	s_delay_alu instid0(VALU_DEP_4) | instskip(NEXT) | instid1(VALU_DEP_3)
	v_cndmask_b32_e64 v20, v22, v20, s2
	v_cmp_eq_u32_e32 vcc_lo, 0, v9
	v_dual_cndmask_b32 v16, v16, v24, s2 :: v_dual_sub_nc_u32 v22, 32, v9
	v_cndmask_b32_e64 v24, v24, v11, s2
	s_delay_alu instid0(VALU_DEP_4) | instskip(NEXT) | instid1(VALU_DEP_3)
	v_dual_cndmask_b32 v20, v20, v29, s3 :: v_dual_cndmask_b32 v11, v11, v28, s2
	v_cndmask_b32_e64 v29, v29, v16, s3
	s_delay_alu instid0(VALU_DEP_3) | instskip(NEXT) | instid1(VALU_DEP_3)
	v_cndmask_b32_e64 v16, v16, v24, s3
	v_cndmask_b32_e64 v11, v24, v11, s3
	s_delay_alu instid0(VALU_DEP_3) | instskip(NEXT) | instid1(VALU_DEP_3)
	v_alignbit_b32 v30, v20, v29, v22
	v_alignbit_b32 v31, v29, v16, v22
	s_delay_alu instid0(VALU_DEP_3) | instskip(NEXT) | instid1(VALU_DEP_2)
	v_alignbit_b32 v22, v16, v11, v22
	v_dual_cndmask_b32 v9, v30, v20 :: v_dual_cndmask_b32 v20, v31, v29
	s_delay_alu instid0(VALU_DEP_2) | instskip(NEXT) | instid1(VALU_DEP_2)
	v_cndmask_b32_e32 v16, v22, v16, vcc_lo
	v_bfe_u32 v28, v9, 29, 1
	s_delay_alu instid0(VALU_DEP_3) | instskip(NEXT) | instid1(VALU_DEP_3)
	v_alignbit_b32 v24, v9, v20, 30
	v_alignbit_b32 v20, v20, v16, 30
	s_delay_alu instid0(VALU_DEP_3) | instskip(SKIP_1) | instid1(VALU_DEP_2)
	v_sub_nc_u32_e32 v29, 0, v28
	v_alignbit_b32 v11, v16, v11, 30
	v_xor_b32_e32 v24, v24, v29
	s_delay_alu instid0(VALU_DEP_2) | instskip(NEXT) | instid1(VALU_DEP_2)
	v_xor_b32_e32 v11, v11, v29
	v_clz_i32_u32_e32 v22, v24
	s_delay_alu instid0(VALU_DEP_1) | instskip(NEXT) | instid1(VALU_DEP_1)
	v_min_u32_e32 v22, 32, v22
	v_dual_lshlrev_b32 v30, 23, v22 :: v_dual_bitop2_b32 v16, v20, v29 bitop3:0x14
	v_sub_nc_u32_e32 v20, 31, v22
	s_delay_alu instid0(VALU_DEP_1) | instskip(SKIP_3) | instid1(VALU_DEP_2)
	v_alignbit_b32 v24, v24, v16, v20
	v_lshrrev_b32_e32 v29, 29, v9
	v_alignbit_b32 v11, v16, v11, v20
	v_lshrrev_b32_e32 v9, 30, v9
	v_alignbit_b32 v20, v24, v11, 9
	s_delay_alu instid0(VALU_DEP_4) | instskip(NEXT) | instid1(VALU_DEP_2)
	v_dual_lshrrev_b32 v24, 9, v24 :: v_dual_lshlrev_b32 v16, 31, v29
	v_clz_i32_u32_e32 v31, v20
	s_delay_alu instid0(VALU_DEP_2) | instskip(NEXT) | instid1(VALU_DEP_1)
	v_or_b32_e32 v29, 0.5, v16
	v_sub_nc_u32_e32 v29, v29, v30
	s_delay_alu instid0(VALU_DEP_3) | instskip(SKIP_1) | instid1(VALU_DEP_3)
	v_min_u32_e32 v30, 32, v31
	v_or_b32_e32 v16, 0x33000000, v16
	v_or_b32_e32 v24, v24, v29
	s_delay_alu instid0(VALU_DEP_3) | instskip(SKIP_1) | instid1(VALU_DEP_2)
	v_not_b32_e32 v29, v30
	v_add_lshl_u32 v22, v30, v22, 23
	v_alignbit_b32 v11, v20, v11, v29
	s_delay_alu instid0(VALU_DEP_2) | instskip(NEXT) | instid1(VALU_DEP_2)
	v_sub_nc_u32_e32 v16, v16, v22
                                        ; implicit-def: $vgpr22
	v_lshrrev_b32_e32 v11, 9, v11
	s_delay_alu instid0(VALU_DEP_1) | instskip(SKIP_1) | instid1(VALU_DEP_1)
	v_or_b32_e32 v11, v16, v11
	v_mul_f32_e32 v31, 0x3fc90fda, v24
	v_fma_f32 v20, 0x3fc90fda, v24, -v31
	s_delay_alu instid0(VALU_DEP_1) | instskip(NEXT) | instid1(VALU_DEP_1)
	v_fmac_f32_e32 v20, 0x33a22168, v24
	v_fmac_f32_e32 v20, 0x3fc90fda, v11
	s_delay_alu instid0(VALU_DEP_1)
	v_dual_add_f32 v11, v31, v20 :: v_dual_add_nc_u32 v20, v28, v9
	s_and_not1_saveexec_b32 s2, s33
	s_cbranch_execnz .LBB94_41
	s_branch .LBB94_42
.LBB94_40:                              ;   in Loop: Header=BB94_7 Depth=1
	s_and_not1_saveexec_b32 s2, s33
.LBB94_41:                              ;   in Loop: Header=BB94_7 Depth=1
	v_fma_f32 v11, 0xbfc90fda, v22, |v10|
	v_cvt_i32_f32_e32 v20, v22
	s_delay_alu instid0(VALU_DEP_2) | instskip(NEXT) | instid1(VALU_DEP_1)
	v_fmac_f32_e32 v11, 0xb3a22168, v22
	v_fmac_f32_e32 v11, 0xa7c234c4, v22
.LBB94_42:                              ;   in Loop: Header=BB94_7 Depth=1
	s_or_b32 exec_lo, exec_lo, s2
	v_dual_mul_f32 v9, v7, v7 :: v_dual_bitop2_b32 v22, 1, v8 bitop3:0x40
	s_delay_alu instid0(VALU_DEP_2) | instskip(SKIP_1) | instid1(VALU_DEP_2)
	v_dual_mul_f32 v16, v11, v11 :: v_dual_lshlrev_b32 v8, 30, v8
	v_dual_lshlrev_b32 v20, 30, v20 :: v_dual_bitop2_b32 v31, 1, v20 bitop3:0x40
	v_dual_fmaak_f32 v24, s26, v9, 0x3c0881c4 :: v_dual_fmaak_f32 v29, s26, v16, 0x3c0881c4
	s_delay_alu instid0(VALU_DEP_4) | instskip(NEXT) | instid1(VALU_DEP_4)
	v_cmp_eq_u32_e32 vcc_lo, 0, v22
	v_bitop3_b32 v6, v6, v8, 0x80000000 bitop3:0x78
	s_delay_alu instid0(VALU_DEP_3) | instskip(SKIP_1) | instid1(VALU_DEP_2)
	v_dual_fmaak_f32 v24, v9, v24, 0xbe2aaa9d :: v_dual_fmaak_f32 v29, v16, v29, 0xbe2aaa9d
	v_fmaak_f32 v30, s27, v16, 0xbab64f3b
	v_mul_f32_e32 v24, v9, v24
	v_fmaak_f32 v28, s27, v9, 0xbab64f3b
	s_delay_alu instid0(VALU_DEP_2) | instskip(NEXT) | instid1(VALU_DEP_1)
	v_dual_mul_f32 v29, v16, v29 :: v_dual_fmac_f32 v7, v7, v24
	v_dual_fmaak_f32 v28, v9, v28, 0x3d2aabf7 :: v_dual_fmac_f32 v11, v11, v29
	s_delay_alu instid0(VALU_DEP_1) | instskip(NEXT) | instid1(VALU_DEP_1)
	v_fmaak_f32 v28, v9, v28, 0xbf000004
	v_fma_f32 v9, v9, v28, 1.0
	s_delay_alu instid0(VALU_DEP_1) | instskip(NEXT) | instid1(VALU_DEP_1)
	v_dual_fmaak_f32 v30, v16, v30, 0x3d2aabf7 :: v_dual_cndmask_b32 v7, v9, v7
	v_fmaak_f32 v30, v16, v30, 0xbf000004
	v_cmp_eq_u32_e32 vcc_lo, 0, v31
	s_delay_alu instid0(VALU_DEP_3) | instskip(NEXT) | instid1(VALU_DEP_3)
	v_xor3_b32 v6, v6, v7, v10
	v_fma_f32 v16, v16, v30, 1.0
	s_delay_alu instid0(VALU_DEP_1) | instskip(SKIP_1) | instid1(VALU_DEP_2)
	v_cndmask_b32_e64 v8, -v11, v16, vcc_lo
	v_cmp_class_f32_e64 vcc_lo, v10, 0x1f8
	v_bitop3_b32 v7, v20, v8, 0x80000000 bitop3:0x6c
	s_delay_alu instid0(VALU_DEP_1) | instskip(NEXT) | instid1(VALU_DEP_1)
	v_mul_f32_e32 v6, v6, v7
	v_cndmask_b32_e32 v10, 0x7fc00000, v6, vcc_lo
.LBB94_43:                              ;   in Loop: Header=BB94_7 Depth=1
	s_or_b32 exec_lo, exec_lo, s31
	v_add_nc_u32_e32 v1, -2.0, v1
	s_delay_alu instid0(VALU_DEP_2)
	v_bfi_b32 v6, 0x7fffffff, 0, v10
.LBB94_44:                              ;   in Loop: Header=BB94_7 Depth=1
	s_or_b32 exec_lo, exec_lo, s30
.LBB94_45:                              ;   in Loop: Header=BB94_7 Depth=1
	s_delay_alu instid0(SALU_CYCLE_1) | instskip(SKIP_2) | instid1(VALU_DEP_1)
	s_or_b32 exec_lo, exec_lo, s29
	v_and_b32_e32 v22, 0x7fffffff, v13
                                        ; implicit-def: $vgpr7
	s_mov_b32 s2, exec_lo
	v_cmpx_gt_u32_e32 0x7f800000, v22
	s_xor_b32 s29, exec_lo, s2
	s_cbranch_execz .LBB94_67
; %bb.46:                               ;   in Loop: Header=BB94_7 Depth=1
	v_cmp_class_f32_e64 s2, v12, 0x1f8
                                        ; implicit-def: $vgpr7
	s_and_saveexec_b32 s3, s2
	s_delay_alu instid0(SALU_CYCLE_1)
	s_xor_b32 s30, exec_lo, s3
	s_cbranch_execz .LBB94_64
; %bb.47:                               ;   in Loop: Header=BB94_7 Depth=1
	v_and_b32_e32 v9, 0x7fffffff, v12
                                        ; implicit-def: $vgpr7
	s_mov_b32 s2, exec_lo
	v_cmpx_gt_u32_e32 0x41300000, v22
	s_xor_b32 s31, exec_lo, s2
	s_cbranch_execz .LBB94_53
; %bb.48:                               ;   in Loop: Header=BB94_7 Depth=1
                                        ; implicit-def: $vgpr7
                                        ; implicit-def: $vgpr8
	s_mov_b32 s3, exec_lo
	v_cmpx_ngt_f32_e64 0x48000000, |v12|
	s_xor_b32 s33, exec_lo, s3
	s_cbranch_execz .LBB94_50
; %bb.49:                               ;   in Loop: Header=BB94_7 Depth=1
	v_and_or_b32 v16, v9, s22, 0x800000
	v_dual_lshrrev_b32 v7, 23, v9 :: v_dual_mov_b32 v37, v17
	v_mov_b32_e32 v39, v17
	s_delay_alu instid0(VALU_DEP_3) | instskip(SKIP_1) | instid1(VALU_DEP_4)
	v_mul_u64_e32 v[10:11], s[12:13], v[16:17]
	v_mov_b32_e32 v29, v17
	v_add_nc_u32_e32 v7, 0xffffff88, v7
	s_delay_alu instid0(VALU_DEP_1) | instskip(SKIP_1) | instid1(VALU_DEP_1)
	v_cmp_lt_u32_e32 vcc_lo, 63, v7
	v_cndmask_b32_e64 v8, 0, 0xffffffc0, vcc_lo
	v_add_nc_u32_e32 v7, v8, v7
	s_delay_alu instid0(VALU_DEP_1) | instskip(NEXT) | instid1(VALU_DEP_1)
	v_cmp_lt_u32_e64 s2, 31, v7
	v_cndmask_b32_e64 v8, 0, 0xffffffe0, s2
	s_delay_alu instid0(VALU_DEP_1) | instskip(NEXT) | instid1(VALU_DEP_1)
	v_dual_mov_b32 v28, v11 :: v_dual_add_nc_u32 v7, v8, v7
	v_mad_nc_u64_u32 v[28:29], 0x3c439041, v16, v[28:29]
	v_mov_b32_e32 v31, v17
	s_delay_alu instid0(VALU_DEP_3) | instskip(NEXT) | instid1(VALU_DEP_1)
	v_cmp_lt_u32_e64 s3, 31, v7
	v_cndmask_b32_e64 v8, 0, 0xffffffe0, s3
	s_delay_alu instid0(VALU_DEP_4) | instskip(NEXT) | instid1(VALU_DEP_1)
	v_mov_b32_e32 v30, v29
	v_mad_nc_u64_u32 v[30:31], 0xdb629599, v16, v[30:31]
	s_delay_alu instid0(VALU_DEP_1) | instskip(NEXT) | instid1(VALU_DEP_2)
	v_dual_mov_b32 v33, v17 :: v_dual_mov_b32 v32, v31
	v_cndmask_b32_e32 v10, v30, v10, vcc_lo
	s_delay_alu instid0(VALU_DEP_2) | instskip(NEXT) | instid1(VALU_DEP_1)
	v_mad_nc_u64_u32 v[32:33], 0xf534ddc0, v16, v[32:33]
	v_dual_mov_b32 v35, v17 :: v_dual_mov_b32 v34, v33
	s_delay_alu instid0(VALU_DEP_1) | instskip(NEXT) | instid1(VALU_DEP_1)
	v_mad_nc_u64_u32 v[34:35], 0xfc2757d1, v16, v[34:35]
	v_dual_mov_b32 v36, v35 :: v_dual_cndmask_b32 v24, v34, v30, vcc_lo
	s_delay_alu instid0(VALU_DEP_1) | instskip(NEXT) | instid1(VALU_DEP_1)
	v_mad_nc_u64_u32 v[36:37], 0x4e441529, v16, v[36:37]
	v_mov_b32_e32 v38, v37
	s_delay_alu instid0(VALU_DEP_1) | instskip(NEXT) | instid1(VALU_DEP_1)
	v_mad_nc_u64_u32 v[38:39], 0xa2f9836e, v16, v[38:39]
	v_dual_cndmask_b32 v11, v36, v32 :: v_dual_cndmask_b32 v16, v38, v34
	s_delay_alu instid0(VALU_DEP_2) | instskip(SKIP_1) | instid1(VALU_DEP_3)
	v_dual_cndmask_b32 v20, v39, v36 :: v_dual_add_nc_u32 v7, v8, v7
	v_cndmask_b32_e32 v8, v32, v28, vcc_lo
	v_cndmask_b32_e64 v28, v16, v11, s2
	s_delay_alu instid0(VALU_DEP_3) | instskip(NEXT) | instid1(VALU_DEP_4)
	v_cndmask_b32_e64 v16, v20, v16, s2
	v_dual_cndmask_b32 v11, v11, v24, s2 :: v_dual_sub_nc_u32 v20, 32, v7
	v_cmp_eq_u32_e32 vcc_lo, 0, v7
	s_delay_alu instid0(VALU_DEP_3) | instskip(NEXT) | instid1(VALU_DEP_3)
	v_cndmask_b32_e64 v16, v16, v28, s3
	v_cndmask_b32_e64 v28, v28, v11, s3
	s_delay_alu instid0(VALU_DEP_1) | instskip(NEXT) | instid1(VALU_DEP_1)
	v_alignbit_b32 v29, v16, v28, v20
	v_cndmask_b32_e32 v7, v29, v16, vcc_lo
	v_cndmask_b32_e64 v24, v24, v8, s2
	s_delay_alu instid0(VALU_DEP_2) | instskip(NEXT) | instid1(VALU_DEP_2)
	v_bfe_u32 v16, v7, 29, 1
	v_dual_cndmask_b32 v11, v11, v24, s3 :: v_dual_cndmask_b32 v8, v8, v10, s2
	s_delay_alu instid0(VALU_DEP_1) | instskip(NEXT) | instid1(VALU_DEP_1)
	v_alignbit_b32 v30, v28, v11, v20
	v_cndmask_b32_e32 v10, v30, v28, vcc_lo
	s_delay_alu instid0(VALU_DEP_4) | instskip(NEXT) | instid1(VALU_DEP_4)
	v_sub_nc_u32_e32 v28, 0, v16
	v_cndmask_b32_e64 v8, v24, v8, s3
	s_delay_alu instid0(VALU_DEP_3) | instskip(NEXT) | instid1(VALU_DEP_2)
	v_alignbit_b32 v24, v7, v10, 30
	v_alignbit_b32 v20, v11, v8, v20
	s_delay_alu instid0(VALU_DEP_2) | instskip(NEXT) | instid1(VALU_DEP_2)
	v_xor_b32_e32 v24, v24, v28
	v_cndmask_b32_e32 v11, v20, v11, vcc_lo
	s_delay_alu instid0(VALU_DEP_2) | instskip(NEXT) | instid1(VALU_DEP_2)
	v_clz_i32_u32_e32 v20, v24
	v_alignbit_b32 v10, v10, v11, 30
	s_delay_alu instid0(VALU_DEP_2) | instskip(NEXT) | instid1(VALU_DEP_2)
	v_min_u32_e32 v20, 32, v20
	v_xor_b32_e32 v10, v10, v28
	v_alignbit_b32 v8, v11, v8, 30
	s_delay_alu instid0(VALU_DEP_3) | instskip(NEXT) | instid1(VALU_DEP_2)
	v_dual_sub_nc_u32 v11, 31, v20 :: v_dual_lshlrev_b32 v29, 23, v20
	v_dual_lshrrev_b32 v28, 29, v7 :: v_dual_bitop2_b32 v8, v8, v28 bitop3:0x14
	v_lshrrev_b32_e32 v7, 30, v7
	s_delay_alu instid0(VALU_DEP_3) | instskip(NEXT) | instid1(VALU_DEP_3)
	v_alignbit_b32 v24, v24, v10, v11
	v_alignbit_b32 v8, v10, v8, v11
	s_delay_alu instid0(VALU_DEP_3) | instskip(NEXT) | instid1(VALU_DEP_2)
	v_dual_lshlrev_b32 v10, 31, v28 :: v_dual_add_nc_u32 v7, v16, v7
	v_alignbit_b32 v11, v24, v8, 9
	s_delay_alu instid0(VALU_DEP_2) | instskip(SKIP_1) | instid1(VALU_DEP_3)
	v_dual_lshrrev_b32 v24, 9, v24 :: v_dual_bitop2_b32 v28, 0.5, v10 bitop3:0x54
	v_or_b32_e32 v10, 0x33000000, v10
	v_clz_i32_u32_e32 v30, v11
	s_delay_alu instid0(VALU_DEP_3) | instskip(NEXT) | instid1(VALU_DEP_2)
	v_sub_nc_u32_e32 v28, v28, v29
	v_min_u32_e32 v29, 32, v30
	s_delay_alu instid0(VALU_DEP_2) | instskip(NEXT) | instid1(VALU_DEP_2)
	v_or_b32_e32 v24, v24, v28
	v_not_b32_e32 v28, v29
	s_delay_alu instid0(VALU_DEP_2) | instskip(SKIP_1) | instid1(VALU_DEP_3)
	v_mul_f32_e32 v30, 0x3fc90fda, v24
	v_add_lshl_u32 v20, v29, v20, 23
	v_alignbit_b32 v8, v11, v8, v28
	s_delay_alu instid0(VALU_DEP_3) | instskip(NEXT) | instid1(VALU_DEP_3)
	v_fma_f32 v11, 0x3fc90fda, v24, -v30
	v_sub_nc_u32_e32 v10, v10, v20
	s_delay_alu instid0(VALU_DEP_3) | instskip(NEXT) | instid1(VALU_DEP_3)
	v_lshrrev_b32_e32 v8, 9, v8
	v_fmac_f32_e32 v11, 0x33a22168, v24
	s_delay_alu instid0(VALU_DEP_2) | instskip(NEXT) | instid1(VALU_DEP_1)
	v_or_b32_e32 v8, v10, v8
	v_fmac_f32_e32 v11, 0x3fc90fda, v8
	s_delay_alu instid0(VALU_DEP_1)
	v_add_f32_e32 v8, v30, v11
.LBB94_50:                              ;   in Loop: Header=BB94_7 Depth=1
	s_and_not1_saveexec_b32 s2, s33
; %bb.51:                               ;   in Loop: Header=BB94_7 Depth=1
	v_mul_f32_e64 v7, 0x3f22f983, |v12|
	s_delay_alu instid0(VALU_DEP_1) | instskip(NEXT) | instid1(VALU_DEP_1)
	v_rndne_f32_e32 v7, v7
	v_fma_f32 v8, 0xbfc90fda, v7, |v12|
	s_delay_alu instid0(VALU_DEP_1) | instskip(NEXT) | instid1(VALU_DEP_1)
	v_fmac_f32_e32 v8, 0xb3a22168, v7
	v_fmac_f32_e32 v8, 0xa7c234c4, v7
	v_cvt_i32_f32_e32 v7, v7
; %bb.52:                               ;   in Loop: Header=BB94_7 Depth=1
	s_or_b32 exec_lo, exec_lo, s2
	v_add_f32_e64 v16, 0xbf317218, |v13|
	v_cmp_nlt_f32_e64 vcc_lo, 0x42b2d4fc, |v13|
	v_cmp_gt_f32_e64 s2, 0x39800000, |v13|
	v_and_b32_e32 v7, 1, v7
	s_delay_alu instid0(VALU_DEP_4) | instskip(NEXT) | instid1(VALU_DEP_1)
	v_sub_f32_e64 v11, v16, |v13|
	v_sub_f32_e32 v10, v11, v16
	s_delay_alu instid0(VALU_DEP_1) | instskip(NEXT) | instid1(VALU_DEP_1)
	v_pk_add_f32 v[10:11], v[22:23], v[10:11]
	v_sub_f32_e32 v10, v10, v11
	s_delay_alu instid0(VALU_DEP_1) | instskip(NEXT) | instid1(VALU_DEP_1)
	v_add_f32_e32 v10, 0x3102e308, v10
	v_add_f32_e32 v11, v16, v10
	s_delay_alu instid0(VALU_DEP_1) | instskip(NEXT) | instid1(VALU_DEP_1)
	v_sub_f32_e32 v16, v16, v11
	v_add_f32_e32 v16, v10, v16
	v_mul_f32_e32 v20, 0x3fb8aa3b, v11
	s_delay_alu instid0(VALU_DEP_1) | instskip(NEXT) | instid1(VALU_DEP_1)
	v_rndne_f32_e32 v20, v20
	v_fmac_f32_e32 v11, 0xbf317200, v20
	v_mul_f32_e32 v22, 0x35bfbc00, v20
	s_delay_alu instid0(VALU_DEP_2) | instskip(NEXT) | instid1(VALU_DEP_1)
	v_add_f32_e32 v24, v16, v11
	v_dual_sub_f32 v10, v24, v22 :: v_dual_sub_f32 v11, v11, v24
	s_delay_alu instid0(VALU_DEP_1) | instskip(NEXT) | instid1(VALU_DEP_2)
	v_sub_f32_e32 v24, v24, v10
	v_add_f32_e32 v11, v16, v11
	s_delay_alu instid0(VALU_DEP_2) | instskip(NEXT) | instid1(VALU_DEP_1)
	v_sub_f32_e32 v16, v24, v22
	v_add_f32_e32 v16, v11, v16
	s_delay_alu instid0(VALU_DEP_1) | instskip(NEXT) | instid1(VALU_DEP_1)
	v_add_f32_e32 v11, v10, v16
	v_dual_mul_f32 v29, 0x2ea39ef3, v20 :: v_dual_mov_b32 v28, v11
	s_delay_alu instid0(VALU_DEP_1) | instskip(NEXT) | instid1(VALU_DEP_1)
	v_pk_add_f32 v[30:31], v[10:11], v[28:29] neg_lo:[0,1] neg_hi:[0,1]
	v_dual_sub_f32 v10, v11, v31 :: v_dual_add_f32 v11, v16, v30
	s_delay_alu instid0(VALU_DEP_1) | instskip(NEXT) | instid1(VALU_DEP_1)
	v_sub_f32_e32 v10, v10, v29
	v_add_f32_e32 v10, v11, v10
	s_delay_alu instid0(VALU_DEP_1) | instskip(NEXT) | instid1(VALU_DEP_1)
	v_add_f32_e32 v11, v31, v10
	v_sub_f32_e32 v16, v31, v11
	v_mul_f32_e32 v22, v11, v11
	v_mov_b64_e32 v[30:31], s[14:15]
	s_delay_alu instid0(VALU_DEP_3) | instskip(SKIP_1) | instid1(VALU_DEP_2)
	v_add_f32_e32 v10, v10, v16
	v_fmaak_f32 v16, s25, v11, 0x3c091de6
	v_dual_fma_f32 v24, v11, v11, -v22 :: v_dual_add_f32 v28, v10, v10
	s_delay_alu instid0(VALU_DEP_2) | instskip(NEXT) | instid1(VALU_DEP_2)
	v_fmaak_f32 v16, v11, v16, 0x3d2aadcc
	v_fmac_f32_e32 v24, v11, v28
	s_delay_alu instid0(VALU_DEP_2) | instskip(NEXT) | instid1(VALU_DEP_2)
	v_fmaak_f32 v16, v11, v16, 0x3e2aaa47
	v_add_f32_e32 v28, v22, v24
	s_delay_alu instid0(VALU_DEP_2) | instskip(NEXT) | instid1(VALU_DEP_2)
	v_fmaak_f32 v16, v11, v16, 0x3efffffc
	v_sub_f32_e32 v22, v28, v22
	s_delay_alu instid0(VALU_DEP_1) | instskip(NEXT) | instid1(VALU_DEP_3)
	v_sub_f32_e32 v22, v24, v22
	v_mul_f32_e32 v29, v16, v28
	s_delay_alu instid0(VALU_DEP_1) | instskip(NEXT) | instid1(VALU_DEP_1)
	v_fma_f32 v28, v28, v16, -v29
	v_fmac_f32_e32 v28, v22, v16
	s_delay_alu instid0(VALU_DEP_1) | instskip(NEXT) | instid1(VALU_DEP_1)
	v_add_f32_e32 v16, v29, v28
	v_add_f32_e32 v24, v11, v16
	s_delay_alu instid0(VALU_DEP_1) | instskip(NEXT) | instid1(VALU_DEP_1)
	v_sub_f32_e32 v11, v24, v11
	v_dual_sub_f32 v11, v16, v11 :: v_dual_sub_f32 v22, v16, v29
	s_delay_alu instid0(VALU_DEP_1) | instskip(NEXT) | instid1(VALU_DEP_1)
	v_sub_f32_e32 v22, v28, v22
	v_add_f32_e32 v10, v10, v22
	s_delay_alu instid0(VALU_DEP_1) | instskip(NEXT) | instid1(VALU_DEP_1)
	v_add_f32_e32 v10, v10, v11
	v_add_f32_e32 v28, v24, v10
	s_delay_alu instid0(VALU_DEP_1) | instskip(NEXT) | instid1(VALU_DEP_1)
	v_add_f32_e32 v29, 1.0, v28
	v_pk_add_f32 v[30:31], v[28:29], v[30:31]
	v_pk_add_f32 v[32:33], v[28:29], v[24:25] neg_lo:[0,1] neg_hi:[0,1]
	s_delay_alu instid0(VALU_DEP_2) | instskip(NEXT) | instid1(VALU_DEP_1)
	v_dual_mov_b32 v33, v31 :: v_dual_mov_b32 v11, v28
	v_pk_add_f32 v[10:11], v[10:11], v[32:33] neg_lo:[0,1] neg_hi:[0,1]
	s_delay_alu instid0(VALU_DEP_1) | instskip(SKIP_1) | instid1(VALU_DEP_2)
	v_add_f32_e32 v10, v10, v11
	v_cvt_i32_f32_e32 v11, v20
	v_add_f32_e32 v16, v29, v10
	s_delay_alu instid0(VALU_DEP_1) | instskip(SKIP_1) | instid1(VALU_DEP_2)
	v_ldexp_f32 v22, v16, v11
	v_sub_f32_e32 v16, v16, v29
	v_rcp_f32_e32 v24, v22
	s_delay_alu instid0(VALU_DEP_1) | instskip(NEXT) | instid1(TRANS32_DEP_1)
	v_sub_f32_e32 v16, v10, v16
	v_mul_f32_e32 v10, v22, v24
	s_delay_alu instid0(VALU_DEP_1) | instskip(NEXT) | instid1(VALU_DEP_3)
	v_fma_f32 v28, v24, v22, -v10
	v_ldexp_f32 v16, v16, v11
	s_delay_alu instid0(VALU_DEP_1) | instskip(NEXT) | instid1(VALU_DEP_1)
	v_fmac_f32_e32 v28, v24, v16
	v_add_f32_e32 v20, v10, v28
	s_delay_alu instid0(VALU_DEP_1) | instskip(NEXT) | instid1(VALU_DEP_1)
	v_dual_sub_f32 v11, 1.0, v20 :: v_dual_mov_b32 v29, v20
	v_pk_add_f32 v[30:31], v[20:21], v[10:11] neg_lo:[0,1] neg_hi:[0,1]
	s_delay_alu instid0(VALU_DEP_1) | instskip(NEXT) | instid1(VALU_DEP_1)
	v_pk_add_f32 v[28:29], v[30:31], v[28:29] neg_lo:[0,1] neg_hi:[0,1]
	v_add_f32_e32 v20, v28, v29
	s_delay_alu instid0(VALU_DEP_1) | instskip(NEXT) | instid1(VALU_DEP_1)
	v_add_f32_e32 v29, v11, v20
	v_mul_f32_e32 v32, v24, v29
	s_delay_alu instid0(VALU_DEP_1) | instskip(NEXT) | instid1(VALU_DEP_1)
	v_mul_f32_e32 v30, v22, v32
	v_fma_f32 v10, v32, v22, -v30
	s_delay_alu instid0(VALU_DEP_1) | instskip(NEXT) | instid1(VALU_DEP_1)
	v_fmac_f32_e32 v10, v32, v16
	v_dual_add_f32 v28, v30, v10 :: v_dual_sub_f32 v33, v11, v29
	s_delay_alu instid0(VALU_DEP_1) | instskip(SKIP_1) | instid1(VALU_DEP_2)
	v_dual_sub_f32 v31, v29, v28 :: v_dual_add_f32 v20, v20, v33
	v_mov_b32_e32 v11, v28
	v_pk_add_f32 v[28:29], v[28:29], v[30:31] neg_lo:[0,1] neg_hi:[0,1]
	s_delay_alu instid0(VALU_DEP_1) | instskip(NEXT) | instid1(VALU_DEP_1)
	v_pk_add_f32 v[10:11], v[28:29], v[10:11] neg_lo:[0,1] neg_hi:[0,1]
	v_add_f32_e32 v11, v20, v11
	s_delay_alu instid0(VALU_DEP_1) | instskip(NEXT) | instid1(VALU_DEP_1)
	v_dual_add_f32 v20, v24, v32 :: v_dual_add_f32 v10, v10, v11
	v_dual_sub_f32 v11, v20, v24 :: v_dual_add_f32 v10, v31, v10
	s_delay_alu instid0(VALU_DEP_1) | instskip(NEXT) | instid1(VALU_DEP_2)
	v_sub_f32_e32 v11, v32, v11
	v_mul_f32_e32 v10, v24, v10
	s_delay_alu instid0(VALU_DEP_1) | instskip(NEXT) | instid1(VALU_DEP_1)
	v_add_f32_e32 v10, v11, v10
	v_add_f32_e32 v11, v20, v10
	s_delay_alu instid0(VALU_DEP_1) | instskip(SKIP_1) | instid1(VALU_DEP_2)
	v_ldexp_f32 v24, v11, -2
	v_sub_f32_e32 v11, v11, v20
	v_sub_f32_e32 v28, v22, v24
	s_delay_alu instid0(VALU_DEP_1) | instskip(NEXT) | instid1(VALU_DEP_1)
	v_sub_f32_e32 v20, v22, v28
	v_dual_sub_f32 v10, v10, v11 :: v_dual_sub_f32 v11, v20, v24
	s_delay_alu instid0(VALU_DEP_1) | instskip(SKIP_1) | instid1(VALU_DEP_3)
	v_ldexp_f32 v10, v10, -2
	v_xor_b32_e32 v20, 0x80000000, v13
	v_add_f32_e32 v11, v16, v11
	v_mul_f32_e32 v16, v8, v8
	s_delay_alu instid0(VALU_DEP_1) | instskip(NEXT) | instid1(VALU_DEP_3)
	v_fmaak_f32 v22, s23, v16, 0x3ec54587
	v_dual_sub_f32 v10, v11, v10 :: v_dual_fmaak_f32 v11, s24, v16, 0xbf039337
	s_delay_alu instid0(VALU_DEP_1) | instskip(NEXT) | instid1(VALU_DEP_2)
	v_add_f32_e32 v10, v28, v10
	v_fmaak_f32 v11, v16, v11, 0x3f93f425
	s_delay_alu instid0(VALU_DEP_2) | instskip(NEXT) | instid1(VALU_DEP_1)
	v_cndmask_b32_e32 v10, 0x7f800000, v10, vcc_lo
	v_cndmask_b32_e64 v10, v10, |v13|, s2
	s_delay_alu instid0(VALU_DEP_3) | instskip(SKIP_1) | instid1(VALU_DEP_2)
	v_rcp_f32_e32 v13, v11
	v_nop
	v_bfi_b32 v11, 0x7fffffff, v10, v20
	s_delay_alu instid0(TRANS32_DEP_1) | instskip(NEXT) | instid1(VALU_DEP_2)
	v_mul_f32_e32 v10, v22, v13
	v_fma_f32 v13, v11, v11, 1.0
	s_delay_alu instid0(VALU_DEP_2) | instskip(NEXT) | instid1(VALU_DEP_2)
	v_mul_f32_e32 v10, v16, v10
	v_cmp_gt_f32_e32 vcc_lo, 0xf800000, v13
	v_mul_f32_e32 v16, 0x4f800000, v13
	s_delay_alu instid0(VALU_DEP_3) | instskip(NEXT) | instid1(VALU_DEP_2)
	v_fma_f32 v20, v10, v8, v8
	v_cndmask_b32_e32 v13, v13, v16, vcc_lo
	s_delay_alu instid0(VALU_DEP_2) | instskip(NEXT) | instid1(VALU_DEP_2)
	v_sub_f32_e32 v22, v20, v8
	v_sqrt_f32_e32 v24, v13
	s_delay_alu instid0(VALU_DEP_1) | instskip(SKIP_1) | instid1(TRANS32_DEP_2)
	v_fma_f32 v8, v10, v8, -v22
	v_rcp_f32_e32 v16, v20
	v_add_nc_u32_e32 v22, -1, v24
	s_delay_alu instid0(TRANS32_DEP_1) | instskip(NEXT) | instid1(VALU_DEP_1)
	v_fma_f32 v10, v20, -v16, 1.0
	v_fma_f32 v8, v8, -v16, v10
	s_delay_alu instid0(VALU_DEP_3) | instskip(NEXT) | instid1(VALU_DEP_2)
	v_dual_add_nc_u32 v10, 1, v24 :: v_dual_fma_f32 v28, -v22, v24, v13
	v_fma_f32 v8, v8, -v16, -v16
	s_delay_alu instid0(VALU_DEP_2) | instskip(NEXT) | instid1(VALU_DEP_3)
	v_fma_f32 v16, -v10, v24, v13
	v_cmp_ge_f32_e64 s2, 0, v28
	s_delay_alu instid0(VALU_DEP_1) | instskip(SKIP_1) | instid1(VALU_DEP_1)
	v_cndmask_b32_e64 v22, v24, v22, s2
	v_cmp_eq_u32_e64 s2, 0, v7
	v_cndmask_b32_e64 v7, v8, v20, s2
	v_cmp_lt_f32_e64 s2, 0, v16
	s_delay_alu instid0(VALU_DEP_2) | instskip(NEXT) | instid1(VALU_DEP_2)
	v_xor3_b32 v12, v9, v7, v12
	v_cndmask_b32_e64 v10, v22, v10, s2
	s_delay_alu instid0(VALU_DEP_2) | instskip(NEXT) | instid1(VALU_DEP_2)
	v_fma_f32 v8, v12, v12, 1.0
	v_mul_f32_e32 v7, 0x37800000, v10
	s_delay_alu instid0(VALU_DEP_1) | instskip(SKIP_1) | instid1(VALU_DEP_2)
	v_dual_mul_f32 v9, v11, v8 :: v_dual_cndmask_b32 v7, v10, v7, vcc_lo
	v_cmp_class_f32_e64 vcc_lo, v13, 0x260
	v_cndmask_b32_e32 v10, v7, v13, vcc_lo
	s_delay_alu instid0(VALU_DEP_1) | instskip(NEXT) | instid1(VALU_DEP_1)
	v_pk_mul_f32 v[8:9], v[10:11], v[8:9]
	v_dual_mul_f32 v7, v11, v8 :: v_dual_add_f32 v8, 1.0, v9
	s_delay_alu instid0(VALU_DEP_1) | instskip(SKIP_2) | instid1(VALU_DEP_3)
	v_div_scale_f32 v9, null, v8, v8, v7
	v_div_scale_f32 v10, null, v8, v8, v12
	v_div_scale_f32 v22, vcc_lo, v7, v8, v7
	v_rcp_f32_e32 v11, v9
	s_delay_alu instid0(VALU_DEP_2) | instskip(NEXT) | instid1(TRANS32_DEP_2)
	v_rcp_f32_e32 v13, v10
	v_fma_f32 v16, -v9, v11, 1.0
	s_delay_alu instid0(TRANS32_DEP_1) | instskip(NEXT) | instid1(VALU_DEP_2)
	v_fma_f32 v20, -v10, v13, 1.0
	v_fmac_f32_e32 v11, v16, v11
	v_div_scale_f32 v16, s2, v12, v8, v12
	s_delay_alu instid0(VALU_DEP_2) | instskip(NEXT) | instid1(VALU_DEP_1)
	v_dual_fmac_f32 v13, v20, v13 :: v_dual_mul_f32 v20, v22, v11
	v_dual_mul_f32 v24, v16, v13 :: v_dual_fma_f32 v28, -v9, v20, v22
	s_delay_alu instid0(VALU_DEP_1) | instskip(NEXT) | instid1(VALU_DEP_2)
	v_fma_f32 v29, -v10, v24, v16
	v_fmac_f32_e32 v20, v28, v11
	s_delay_alu instid0(VALU_DEP_2) | instskip(NEXT) | instid1(VALU_DEP_2)
	v_fmac_f32_e32 v24, v29, v13
	v_fma_f32 v9, -v9, v20, v22
	s_delay_alu instid0(VALU_DEP_2) | instskip(NEXT) | instid1(VALU_DEP_2)
	v_fma_f32 v10, -v10, v24, v16
	v_div_fmas_f32 v9, v9, v11, v20
	s_mov_b32 vcc_lo, s2
	s_delay_alu instid0(VALU_DEP_2) | instskip(NEXT) | instid1(VALU_DEP_2)
	v_div_fmas_f32 v10, v10, v13, v24
	v_div_fixup_f32 v7, v9, v8, v7
                                        ; implicit-def: $vgpr9
	s_delay_alu instid0(VALU_DEP_2)
	v_div_fixup_f32 v8, v10, v8, v12
                                        ; implicit-def: $vgpr10_vgpr11_vgpr12_vgpr13
.LBB94_53:                              ;   in Loop: Header=BB94_7 Depth=1
	s_and_not1_saveexec_b32 s31, s31
	s_cbranch_execz .LBB94_63
; %bb.54:                               ;   in Loop: Header=BB94_7 Depth=1
	v_lshrrev_b32_e32 v7, 23, v9
	v_cmp_ngt_f32_e64 s33, 0x48000000, |v12|
	v_and_or_b32 v16, v9, s22, 0x800000
                                        ; implicit-def: $vgpr10
	s_delay_alu instid0(VALU_DEP_3) | instskip(SKIP_1) | instid1(SALU_CYCLE_1)
	v_add_nc_u32_e32 v8, 0xffffff88, v7
                                        ; implicit-def: $vgpr7
	s_and_saveexec_b32 s2, s33
	s_xor_b32 s34, exec_lo, s2
	s_cbranch_execz .LBB94_56
; %bb.55:                               ;   in Loop: Header=BB94_7 Depth=1
	v_mul_u64_e32 v[10:11], s[12:13], v[16:17]
	v_mov_b32_e32 v29, v17
	v_cmp_lt_u32_e32 vcc_lo, 63, v8
	v_mov_b32_e32 v39, v17
	v_cndmask_b32_e64 v7, 0, 0xffffffc0, vcc_lo
	s_delay_alu instid0(VALU_DEP_1) | instskip(NEXT) | instid1(VALU_DEP_1)
	v_add_nc_u32_e32 v7, v7, v8
	v_cmp_lt_u32_e64 s2, 31, v7
	v_mov_b32_e32 v28, v11
	s_delay_alu instid0(VALU_DEP_2) | instskip(NEXT) | instid1(VALU_DEP_2)
	v_cndmask_b32_e64 v11, 0, 0xffffffe0, s2
	v_mad_nc_u64_u32 v[28:29], 0x3c439041, v16, v[28:29]
	s_delay_alu instid0(VALU_DEP_2) | instskip(NEXT) | instid1(VALU_DEP_1)
	v_dual_mov_b32 v31, v17 :: v_dual_add_nc_u32 v7, v11, v7
	v_cmp_lt_u32_e64 s3, 31, v7
	s_delay_alu instid0(VALU_DEP_3) | instskip(NEXT) | instid1(VALU_DEP_2)
	v_mov_b32_e32 v30, v29
	v_cndmask_b32_e64 v11, 0, 0xffffffe0, s3
	s_delay_alu instid0(VALU_DEP_2) | instskip(NEXT) | instid1(VALU_DEP_1)
	v_mad_nc_u64_u32 v[30:31], 0xdb629599, v16, v[30:31]
	v_dual_mov_b32 v33, v17 :: v_dual_mov_b32 v32, v31
	s_delay_alu instid0(VALU_DEP_2) | instskip(NEXT) | instid1(VALU_DEP_2)
	v_cndmask_b32_e32 v10, v30, v10, vcc_lo
	v_mad_nc_u64_u32 v[32:33], 0xf534ddc0, v16, v[32:33]
	v_dual_mov_b32 v35, v17 :: v_dual_add_nc_u32 v7, v11, v7
	s_delay_alu instid0(VALU_DEP_2) | instskip(NEXT) | instid1(VALU_DEP_1)
	v_dual_cndmask_b32 v11, v32, v28 :: v_dual_mov_b32 v34, v33
	v_mad_nc_u64_u32 v[34:35], 0xfc2757d1, v16, v[34:35]
	s_delay_alu instid0(VALU_DEP_1) | instskip(NEXT) | instid1(VALU_DEP_2)
	v_dual_mov_b32 v37, v17 :: v_dual_mov_b32 v36, v35
	v_cndmask_b32_e32 v29, v34, v30, vcc_lo
	s_delay_alu instid0(VALU_DEP_2) | instskip(NEXT) | instid1(VALU_DEP_1)
	v_mad_nc_u64_u32 v[36:37], 0x4e441529, v16, v[36:37]
	v_mov_b32_e32 v38, v37
	s_delay_alu instid0(VALU_DEP_1) | instskip(NEXT) | instid1(VALU_DEP_1)
	v_mad_nc_u64_u32 v[38:39], 0xa2f9836e, v16, v[38:39]
	v_dual_cndmask_b32 v20, v36, v32, vcc_lo :: v_dual_cndmask_b32 v22, v38, v34, vcc_lo
	s_delay_alu instid0(VALU_DEP_2) | instskip(SKIP_1) | instid1(VALU_DEP_2)
	v_cndmask_b32_e32 v24, v39, v36, vcc_lo
	v_cmp_eq_u32_e32 vcc_lo, 0, v7
	v_dual_cndmask_b32 v28, v22, v20, s2 :: v_dual_cndmask_b32 v22, v24, v22, s2
	v_dual_cndmask_b32 v20, v20, v29, s2 :: v_dual_sub_nc_u32 v24, 32, v7
	s_delay_alu instid0(VALU_DEP_2) | instskip(NEXT) | instid1(VALU_DEP_2)
	v_dual_cndmask_b32 v29, v29, v11, s2 :: v_dual_cndmask_b32 v22, v22, v28, s3
	v_cndmask_b32_e64 v28, v28, v20, s3
	s_delay_alu instid0(VALU_DEP_1) | instskip(NEXT) | instid1(VALU_DEP_1)
	v_alignbit_b32 v31, v22, v28, v24
	v_dual_cndmask_b32 v20, v20, v29, s3 :: v_dual_cndmask_b32 v7, v31, v22, vcc_lo
	s_delay_alu instid0(VALU_DEP_1) | instskip(SKIP_1) | instid1(VALU_DEP_3)
	v_alignbit_b32 v30, v28, v20, v24
	v_cndmask_b32_e64 v10, v11, v10, s2
	v_bfe_u32 v22, v7, 29, 1
	s_delay_alu instid0(VALU_DEP_3) | instskip(NEXT) | instid1(VALU_DEP_1)
	v_cndmask_b32_e32 v11, v30, v28, vcc_lo
	v_alignbit_b32 v28, v7, v11, 30
	s_delay_alu instid0(VALU_DEP_4) | instskip(NEXT) | instid1(VALU_DEP_4)
	v_cndmask_b32_e64 v10, v29, v10, s3
	v_sub_nc_u32_e32 v29, 0, v22
	s_delay_alu instid0(VALU_DEP_1) | instskip(NEXT) | instid1(VALU_DEP_3)
	v_xor_b32_e32 v28, v28, v29
	v_alignbit_b32 v24, v20, v10, v24
	s_delay_alu instid0(VALU_DEP_1) | instskip(NEXT) | instid1(VALU_DEP_3)
	v_cndmask_b32_e32 v20, v24, v20, vcc_lo
	v_clz_i32_u32_e32 v24, v28
	s_delay_alu instid0(VALU_DEP_2) | instskip(NEXT) | instid1(VALU_DEP_2)
	v_alignbit_b32 v11, v11, v20, 30
	v_min_u32_e32 v24, 32, v24
	v_alignbit_b32 v10, v20, v10, 30
	s_delay_alu instid0(VALU_DEP_2) | instskip(NEXT) | instid1(VALU_DEP_2)
	v_dual_sub_nc_u32 v20, 31, v24 :: v_dual_bitop2_b32 v11, v11, v29 bitop3:0x14
	v_dual_lshrrev_b32 v29, 29, v7 :: v_dual_bitop2_b32 v10, v10, v29 bitop3:0x14
	v_lshlrev_b32_e32 v30, 23, v24
	s_delay_alu instid0(VALU_DEP_3) | instskip(NEXT) | instid1(VALU_DEP_3)
	v_alignbit_b32 v28, v28, v11, v20
	v_alignbit_b32 v10, v11, v10, v20
	s_delay_alu instid0(VALU_DEP_4) | instskip(NEXT) | instid1(VALU_DEP_2)
	v_lshlrev_b32_e32 v11, 31, v29
	v_alignbit_b32 v20, v28, v10, 9
	s_delay_alu instid0(VALU_DEP_2) | instskip(SKIP_1) | instid1(VALU_DEP_3)
	v_dual_lshrrev_b32 v28, 9, v28 :: v_dual_bitop2_b32 v29, 0.5, v11 bitop3:0x54
	v_or_b32_e32 v11, 0x33000000, v11
	v_clz_i32_u32_e32 v31, v20
	s_delay_alu instid0(VALU_DEP_3) | instskip(NEXT) | instid1(VALU_DEP_2)
	v_sub_nc_u32_e32 v29, v29, v30
	v_min_u32_e32 v30, 32, v31
	s_delay_alu instid0(VALU_DEP_1) | instskip(NEXT) | instid1(VALU_DEP_1)
	v_add_lshl_u32 v24, v30, v24, 23
	v_dual_sub_nc_u32 v11, v11, v24 :: v_dual_bitop2_b32 v28, v28, v29 bitop3:0x54
	v_not_b32_e32 v29, v30
	s_delay_alu instid0(VALU_DEP_1) | instskip(NEXT) | instid1(VALU_DEP_1)
	v_alignbit_b32 v10, v20, v10, v29
	v_lshrrev_b32_e32 v10, 9, v10
	s_delay_alu instid0(VALU_DEP_1) | instskip(SKIP_1) | instid1(VALU_DEP_1)
	v_or_b32_e32 v10, v11, v10
	v_mul_f32_e32 v31, 0x3fc90fda, v28
	v_fma_f32 v20, 0x3fc90fda, v28, -v31
	s_delay_alu instid0(VALU_DEP_1) | instskip(NEXT) | instid1(VALU_DEP_1)
	v_fmac_f32_e32 v20, 0x33a22168, v28
	v_fmac_f32_e32 v20, 0x3fc90fda, v10
	s_delay_alu instid0(VALU_DEP_1) | instskip(NEXT) | instid1(VALU_DEP_1)
	v_dual_add_f32 v7, v31, v20 :: v_dual_lshrrev_b32 v10, 30, v7
	v_add_nc_u32_e32 v10, v22, v10
	s_and_not1_saveexec_b32 s2, s34
	s_branch .LBB94_57
.LBB94_56:                              ;   in Loop: Header=BB94_7 Depth=1
	s_and_not1_saveexec_b32 s2, s34
.LBB94_57:                              ;   in Loop: Header=BB94_7 Depth=1
	v_mul_f32_e64 v7, 0x3f22f983, |v12|
	s_delay_alu instid0(VALU_DEP_1) | instskip(NEXT) | instid1(VALU_DEP_1)
	v_rndne_f32_e32 v10, v7
	v_fma_f32 v7, 0xbfc90fda, v10, |v12|
	s_delay_alu instid0(VALU_DEP_1) | instskip(NEXT) | instid1(VALU_DEP_1)
	v_fmac_f32_e32 v7, 0xb3a22168, v10
	v_fmac_f32_e32 v7, 0xa7c234c4, v10
	v_cvt_i32_f32_e32 v10, v10
; %bb.58:                               ;   in Loop: Header=BB94_7 Depth=1
	s_or_b32 exec_lo, exec_lo, s2
                                        ; implicit-def: $vgpr20
                                        ; implicit-def: $vgpr11
	s_and_saveexec_b32 s2, s33
	s_delay_alu instid0(SALU_CYCLE_1)
	s_xor_b32 s33, exec_lo, s2
	s_cbranch_execz .LBB94_60
; %bb.59:                               ;   in Loop: Header=BB94_7 Depth=1
	v_mul_u64_e32 v[28:29], s[12:13], v[16:17]
	v_mov_b32_e32 v31, v17
	v_cmp_lt_u32_e32 vcc_lo, 63, v8
	v_mov_b32_e32 v41, v17
	v_cndmask_b32_e64 v11, 0, 0xffffffc0, vcc_lo
	s_delay_alu instid0(VALU_DEP_1) | instskip(NEXT) | instid1(VALU_DEP_1)
	v_add_nc_u32_e32 v8, v11, v8
	v_cmp_lt_u32_e64 s2, 31, v8
	s_delay_alu instid0(VALU_DEP_1) | instskip(SKIP_1) | instid1(VALU_DEP_1)
	v_cndmask_b32_e64 v11, 0, 0xffffffe0, s2
	v_mov_b32_e32 v30, v29
	v_mad_nc_u64_u32 v[30:31], 0x3c439041, v16, v[30:31]
	s_delay_alu instid0(VALU_DEP_1) | instskip(NEXT) | instid1(VALU_DEP_1)
	v_dual_mov_b32 v33, v17 :: v_dual_mov_b32 v32, v31
	v_mad_nc_u64_u32 v[32:33], 0xdb629599, v16, v[32:33]
	s_delay_alu instid0(VALU_DEP_1) | instskip(NEXT) | instid1(VALU_DEP_2)
	v_dual_mov_b32 v35, v17 :: v_dual_mov_b32 v34, v33
	v_cndmask_b32_e32 v28, v32, v28, vcc_lo
	s_delay_alu instid0(VALU_DEP_2) | instskip(NEXT) | instid1(VALU_DEP_1)
	v_mad_nc_u64_u32 v[34:35], 0xf534ddc0, v16, v[34:35]
	v_dual_mov_b32 v37, v17 :: v_dual_mov_b32 v36, v35
	s_delay_alu instid0(VALU_DEP_1) | instskip(NEXT) | instid1(VALU_DEP_1)
	v_mad_nc_u64_u32 v[36:37], 0xfc2757d1, v16, v[36:37]
	v_dual_mov_b32 v39, v17 :: v_dual_mov_b32 v38, v37
	s_delay_alu instid0(VALU_DEP_2) | instskip(NEXT) | instid1(VALU_DEP_2)
	v_cndmask_b32_e32 v24, v36, v32, vcc_lo
	v_mad_nc_u64_u32 v[38:39], 0x4e441529, v16, v[38:39]
	s_delay_alu instid0(VALU_DEP_1) | instskip(NEXT) | instid1(VALU_DEP_1)
	v_mov_b32_e32 v40, v39
	v_mad_nc_u64_u32 v[40:41], 0xa2f9836e, v16, v[40:41]
	s_delay_alu instid0(VALU_DEP_3) | instskip(NEXT) | instid1(VALU_DEP_2)
	v_dual_add_nc_u32 v8, v11, v8 :: v_dual_cndmask_b32 v16, v38, v34, vcc_lo
	v_cndmask_b32_e32 v22, v41, v38, vcc_lo
	s_delay_alu instid0(VALU_DEP_2) | instskip(NEXT) | instid1(VALU_DEP_4)
	v_cmp_lt_u32_e64 s3, 31, v8
	v_cndmask_b32_e32 v20, v40, v36, vcc_lo
	s_delay_alu instid0(VALU_DEP_2) | instskip(NEXT) | instid1(VALU_DEP_1)
	v_cndmask_b32_e64 v11, 0, 0xffffffe0, s3
	v_dual_cndmask_b32 v11, v34, v30 :: v_dual_add_nc_u32 v8, v11, v8
	s_delay_alu instid0(VALU_DEP_3) | instskip(SKIP_1) | instid1(VALU_DEP_3)
	v_cndmask_b32_e64 v29, v20, v16, s2
	v_cndmask_b32_e64 v16, v16, v24, s2
	v_dual_cndmask_b32 v24, v24, v11, s2 :: v_dual_cndmask_b32 v11, v11, v28, s2
	v_cndmask_b32_e64 v20, v22, v20, s2
	v_cmp_eq_u32_e32 vcc_lo, 0, v8
	s_delay_alu instid0(VALU_DEP_3) | instskip(NEXT) | instid1(VALU_DEP_3)
	v_dual_cndmask_b32 v11, v24, v11, s3 :: v_dual_sub_nc_u32 v22, 32, v8
	v_dual_cndmask_b32 v20, v20, v29, s3 :: v_dual_cndmask_b32 v29, v29, v16, s3
	v_cndmask_b32_e64 v16, v16, v24, s3
	s_delay_alu instid0(VALU_DEP_2) | instskip(NEXT) | instid1(VALU_DEP_2)
	v_alignbit_b32 v30, v20, v29, v22
	v_alignbit_b32 v31, v29, v16, v22
	;; [unrolled: 1-line block ×3, first 2 shown]
	s_delay_alu instid0(VALU_DEP_2) | instskip(NEXT) | instid1(VALU_DEP_2)
	v_dual_cndmask_b32 v8, v30, v20, vcc_lo :: v_dual_cndmask_b32 v20, v31, v29, vcc_lo
	v_cndmask_b32_e32 v16, v22, v16, vcc_lo
	s_delay_alu instid0(VALU_DEP_2) | instskip(NEXT) | instid1(VALU_DEP_3)
	v_bfe_u32 v28, v8, 29, 1
	v_alignbit_b32 v24, v8, v20, 30
	s_delay_alu instid0(VALU_DEP_3) | instskip(SKIP_1) | instid1(VALU_DEP_4)
	v_alignbit_b32 v20, v20, v16, 30
	v_alignbit_b32 v11, v16, v11, 30
	v_sub_nc_u32_e32 v29, 0, v28
	s_delay_alu instid0(VALU_DEP_1) | instskip(NEXT) | instid1(VALU_DEP_4)
	v_xor_b32_e32 v24, v24, v29
	v_xor_b32_e32 v16, v20, v29
	s_delay_alu instid0(VALU_DEP_4) | instskip(SKIP_1) | instid1(VALU_DEP_4)
	v_dual_lshrrev_b32 v29, 29, v8 :: v_dual_bitop2_b32 v11, v11, v29 bitop3:0x14
	v_lshrrev_b32_e32 v8, 30, v8
	v_clz_i32_u32_e32 v22, v24
	s_delay_alu instid0(VALU_DEP_1) | instskip(NEXT) | instid1(VALU_DEP_1)
	v_min_u32_e32 v22, 32, v22
	v_dual_sub_nc_u32 v20, 31, v22 :: v_dual_lshlrev_b32 v30, 23, v22
	s_delay_alu instid0(VALU_DEP_1) | instskip(SKIP_2) | instid1(VALU_DEP_2)
	v_alignbit_b32 v24, v24, v16, v20
	v_alignbit_b32 v11, v16, v11, v20
	v_lshlrev_b32_e32 v16, 31, v29
	v_alignbit_b32 v20, v24, v11, 9
	s_delay_alu instid0(VALU_DEP_2) | instskip(SKIP_2) | instid1(VALU_DEP_4)
	v_or_b32_e32 v29, 0.5, v16
	v_lshrrev_b32_e32 v24, 9, v24
	v_or_b32_e32 v16, 0x33000000, v16
	v_clz_i32_u32_e32 v31, v20
	s_delay_alu instid0(VALU_DEP_4) | instskip(NEXT) | instid1(VALU_DEP_2)
	v_sub_nc_u32_e32 v29, v29, v30
	v_min_u32_e32 v30, 32, v31
	s_delay_alu instid0(VALU_DEP_2) | instskip(NEXT) | instid1(VALU_DEP_2)
	v_or_b32_e32 v24, v24, v29
	v_not_b32_e32 v29, v30
	v_add_lshl_u32 v22, v30, v22, 23
	s_delay_alu instid0(VALU_DEP_2) | instskip(NEXT) | instid1(VALU_DEP_1)
	v_alignbit_b32 v11, v20, v11, v29
	v_dual_sub_nc_u32 v16, v16, v22 :: v_dual_lshrrev_b32 v11, 9, v11
	s_delay_alu instid0(VALU_DEP_1) | instskip(SKIP_1) | instid1(VALU_DEP_1)
	v_or_b32_e32 v11, v16, v11
	v_mul_f32_e32 v31, 0x3fc90fda, v24
	v_fma_f32 v20, 0x3fc90fda, v24, -v31
	s_delay_alu instid0(VALU_DEP_1) | instskip(NEXT) | instid1(VALU_DEP_1)
	v_fmac_f32_e32 v20, 0x33a22168, v24
	v_fmac_f32_e32 v20, 0x3fc90fda, v11
	s_delay_alu instid0(VALU_DEP_1)
	v_add_f32_e32 v11, v31, v20
	v_add_nc_u32_e32 v20, v28, v8
	s_and_not1_saveexec_b32 s2, s33
	s_cbranch_execnz .LBB94_61
	s_branch .LBB94_62
.LBB94_60:                              ;   in Loop: Header=BB94_7 Depth=1
	s_and_not1_saveexec_b32 s2, s33
.LBB94_61:                              ;   in Loop: Header=BB94_7 Depth=1
	v_mul_f32_e64 v8, 0x3f22f983, |v12|
	s_delay_alu instid0(VALU_DEP_1) | instskip(NEXT) | instid1(VALU_DEP_1)
	v_rndne_f32_e32 v8, v8
	v_fma_f32 v11, 0xbfc90fda, v8, |v12|
	v_cvt_i32_f32_e32 v20, v8
	s_delay_alu instid0(VALU_DEP_2) | instskip(NEXT) | instid1(VALU_DEP_1)
	v_fmac_f32_e32 v11, 0xb3a22168, v8
	v_fmac_f32_e32 v11, 0xa7c234c4, v8
.LBB94_62:                              ;   in Loop: Header=BB94_7 Depth=1
	s_or_b32 exec_lo, exec_lo, s2
	v_dual_mul_f32 v8, v7, v7 :: v_dual_bitop2_b32 v16, 1, v10 bitop3:0x40
	s_delay_alu instid0(VALU_DEP_2) | instskip(SKIP_1) | instid1(VALU_DEP_3)
	v_dual_mul_f32 v29, v11, v11 :: v_dual_lshlrev_b32 v10, 30, v10
	v_mul_f32_e64 v22, 0xbfb8aa3b, |v13|
	v_fmaak_f32 v24, s26, v8, 0x3c0881c4
	v_fmaak_f32 v28, s27, v8, 0xbab64f3b
	s_delay_alu instid0(VALU_DEP_4)
	v_bitop3_b32 v9, v9, v10, 0x80000000 bitop3:0x78
	v_fmaak_f32 v31, s26, v29, 0x3c0881c4
	v_rndne_f32_e32 v10, v22
	v_fmaak_f32 v24, v8, v24, 0xbe2aaa9d
	v_fma_f32 v30, 0xbfb8aa3b, |v13|, -v22
	v_cmp_eq_u32_e32 vcc_lo, 0, v16
	s_delay_alu instid0(VALU_DEP_4) | instskip(NEXT) | instid1(VALU_DEP_4)
	v_dual_fmaak_f32 v31, v29, v31, 0xbe2aaa9d :: v_dual_sub_f32 v22, v22, v10
	v_mul_f32_e32 v24, v8, v24
	v_fmaak_f32 v32, s27, v29, 0xbab64f3b
	v_fma_f32 v30, 0xb2a5705f, |v13|, v30
	v_cvt_i32_f32_e32 v10, v10
	s_delay_alu instid0(VALU_DEP_4) | instskip(SKIP_1) | instid1(VALU_DEP_4)
	v_fmac_f32_e32 v7, v7, v24
	v_fmaak_f32 v28, v8, v28, 0x3d2aabf7
	v_add_f32_e32 v22, v22, v30
	v_fmaak_f32 v24, v29, v32, 0x3d2aabf7
	s_delay_alu instid0(VALU_DEP_3) | instskip(NEXT) | instid1(VALU_DEP_1)
	v_fmaak_f32 v28, v8, v28, 0xbf000004
	v_fma_f32 v8, v8, v28, 1.0
	v_mul_f32_e32 v28, v29, v31
	v_exp_f32_e32 v16, v22
	s_delay_alu instid0(VALU_DEP_2) | instskip(SKIP_1) | instid1(VALU_DEP_3)
	v_dual_cndmask_b32 v7, v8, v7, vcc_lo :: v_dual_bitop2_b32 v22, 1, v20 bitop3:0x40
	v_fmaak_f32 v8, v29, v24, 0xbf000004
	v_fmac_f32_e32 v11, v11, v28
	s_delay_alu instid0(VALU_DEP_3) | instskip(NEXT) | instid1(VALU_DEP_3)
	v_xor3_b32 v7, v9, v7, v12
	v_fma_f32 v8, v29, v8, 1.0
	s_delay_alu instid0(TRANS32_DEP_1) | instskip(SKIP_2) | instid1(VALU_DEP_4)
	v_ldexp_f32 v9, v16, v10
	v_lshlrev_b32_e32 v10, 30, v20
	v_cmp_eq_u32_e32 vcc_lo, 0, v22
	v_dual_mul_f32 v7, 4.0, v7 :: v_dual_cndmask_b32 v8, -v11, v8, vcc_lo
	v_cmp_nlt_f32_e64 vcc_lo, 0x42ce8ed0, |v13|
	s_delay_alu instid0(VALU_DEP_2) | instskip(SKIP_2) | instid1(VALU_DEP_2)
	v_bitop3_b32 v8, v10, v8, 0x80000000 bitop3:0x6c
	v_cndmask_b32_e32 v9, 0, v9, vcc_lo
	v_cmp_ngt_f32_e64 vcc_lo, 0xc2b17218, |v13|
	v_cndmask_b32_e32 v9, 0x7f800000, v9, vcc_lo
	s_delay_alu instid0(VALU_DEP_4) | instskip(SKIP_1) | instid1(VALU_DEP_2)
	v_mul_f32_e32 v7, v7, v8
	v_xor_b32_e32 v8, 0x80000000, v13
	v_mul_f32_e32 v10, v9, v7
	s_delay_alu instid0(VALU_DEP_2) | instskip(NEXT) | instid1(VALU_DEP_2)
	v_bfi_b32 v7, 0x7fffffff, 1.0, v8
	v_mul_f32_e32 v8, v9, v10
.LBB94_63:                              ;   in Loop: Header=BB94_7 Depth=1
	s_or_b32 exec_lo, exec_lo, s31
                                        ; implicit-def: $vgpr10_vgpr11_vgpr12_vgpr13
.LBB94_64:                              ;   in Loop: Header=BB94_7 Depth=1
	s_and_not1_saveexec_b32 s2, s30
; %bb.65:                               ;   in Loop: Header=BB94_7 Depth=1
	v_sub_f32_e32 v8, v12, v12
	s_delay_alu instid0(VALU_DEP_1)
	v_mov_b32_e32 v7, v8
; %bb.66:                               ;   in Loop: Header=BB94_7 Depth=1
	s_or_b32 exec_lo, exec_lo, s2
                                        ; implicit-def: $vgpr10_vgpr11_vgpr12_vgpr13
.LBB94_67:                              ;   in Loop: Header=BB94_7 Depth=1
	s_and_not1_saveexec_b32 s29, s29
	s_cbranch_execz .LBB94_83
; %bb.68:                               ;   in Loop: Header=BB94_7 Depth=1
	v_xor_b32_e32 v7, 0x80000000, v13
	s_mov_b32 s2, exec_lo
	s_delay_alu instid0(VALU_DEP_1) | instskip(NEXT) | instid1(VALU_DEP_1)
	v_and_b32_e32 v8, 0x7fffff, v7
	v_cmpx_ne_u32_e32 0, v8
	s_xor_b32 s2, exec_lo, s2
; %bb.69:                               ;   in Loop: Header=BB94_7 Depth=1
	v_mul_f32_e64 v8, v12, -v13
	v_cmp_eq_f32_e32 vcc_lo, 0, v12
	s_delay_alu instid0(VALU_DEP_2)
	v_cndmask_b32_e32 v8, v8, v12, vcc_lo
                                        ; implicit-def: $vgpr10_vgpr11_vgpr12_vgpr13
; %bb.70:                               ;   in Loop: Header=BB94_7 Depth=1
	s_and_not1_saveexec_b32 s30, s2
	s_cbranch_execz .LBB94_82
; %bb.71:                               ;   in Loop: Header=BB94_7 Depth=1
	s_mov_b32 s31, exec_lo
	v_cmpx_neq_f32_e64 0x7f800000, |v12|
	s_cbranch_execz .LBB94_81
; %bb.72:                               ;   in Loop: Header=BB94_7 Depth=1
	v_and_b32_e32 v8, 0x7fffffff, v12
	v_cmp_ngt_f32_e64 s33, 0x48000000, |v12|
                                        ; implicit-def: $vgpr10
	s_delay_alu instid0(VALU_DEP_2) | instskip(SKIP_1) | instid1(VALU_DEP_2)
	v_lshrrev_b32_e32 v9, 23, v8
	v_and_or_b32 v16, v8, s22, 0x800000
	v_add_nc_u32_e32 v11, 0xffffff88, v9
                                        ; implicit-def: $vgpr9
	s_and_saveexec_b32 s2, s33
	s_delay_alu instid0(SALU_CYCLE_1)
	s_xor_b32 s34, exec_lo, s2
	s_cbranch_execz .LBB94_74
; %bb.73:                               ;   in Loop: Header=BB94_7 Depth=1
	v_mul_u64_e32 v[28:29], s[12:13], v[16:17]
	v_mov_b32_e32 v31, v17
	v_cmp_lt_u32_e32 vcc_lo, 63, v11
	v_cndmask_b32_e64 v9, 0, 0xffffffc0, vcc_lo
	s_delay_alu instid0(VALU_DEP_4) | instskip(NEXT) | instid1(VALU_DEP_1)
	v_mov_b32_e32 v30, v29
	v_mad_nc_u64_u32 v[30:31], 0x3c439041, v16, v[30:31]
	s_delay_alu instid0(VALU_DEP_1) | instskip(NEXT) | instid1(VALU_DEP_1)
	v_dual_mov_b32 v33, v17 :: v_dual_mov_b32 v32, v31
	v_mad_nc_u64_u32 v[32:33], 0xdb629599, v16, v[32:33]
	s_delay_alu instid0(VALU_DEP_1) | instskip(NEXT) | instid1(VALU_DEP_1)
	v_dual_mov_b32 v35, v17 :: v_dual_mov_b32 v34, v33
	;; [unrolled: 3-line block ×3, first 2 shown]
	v_mad_nc_u64_u32 v[36:37], 0xfc2757d1, v16, v[36:37]
	s_delay_alu instid0(VALU_DEP_1) | instskip(NEXT) | instid1(VALU_DEP_2)
	v_dual_mov_b32 v39, v17 :: v_dual_mov_b32 v38, v37
	v_cndmask_b32_e32 v24, v36, v32, vcc_lo
	s_delay_alu instid0(VALU_DEP_2) | instskip(NEXT) | instid1(VALU_DEP_1)
	v_mad_nc_u64_u32 v[38:39], 0x4e441529, v16, v[38:39]
	v_dual_mov_b32 v40, v39 :: v_dual_add_nc_u32 v9, v9, v11
	s_delay_alu instid0(VALU_DEP_1) | instskip(NEXT) | instid1(VALU_DEP_1)
	v_cmp_lt_u32_e64 s2, 31, v9
	v_cndmask_b32_e64 v10, 0, 0xffffffe0, s2
	s_delay_alu instid0(VALU_DEP_1) | instskip(NEXT) | instid1(VALU_DEP_1)
	v_dual_mov_b32 v41, v17 :: v_dual_add_nc_u32 v9, v10, v9
	v_mad_nc_u64_u32 v[40:41], 0xa2f9836e, v16, v[40:41]
	v_cndmask_b32_e32 v13, v38, v34, vcc_lo
	s_delay_alu instid0(VALU_DEP_3) | instskip(NEXT) | instid1(VALU_DEP_1)
	v_cmp_lt_u32_e64 s3, 31, v9
	v_cndmask_b32_e64 v10, 0, 0xffffffe0, s3
	s_delay_alu instid0(VALU_DEP_4) | instskip(NEXT) | instid1(VALU_DEP_2)
	v_dual_cndmask_b32 v20, v40, v36, vcc_lo :: v_dual_cndmask_b32 v22, v41, v38, vcc_lo
	v_add_nc_u32_e32 v9, v10, v9
	s_delay_alu instid0(VALU_DEP_2) | instskip(SKIP_1) | instid1(VALU_DEP_3)
	v_dual_cndmask_b32 v10, v34, v30, vcc_lo :: v_dual_cndmask_b32 v29, v20, v13, s2
	v_cndmask_b32_e64 v13, v13, v24, s2
	v_dual_cndmask_b32 v20, v22, v20, s2 :: v_dual_sub_nc_u32 v22, 32, v9
	s_delay_alu instid0(VALU_DEP_3) | instskip(NEXT) | instid1(VALU_DEP_2)
	v_cndmask_b32_e64 v24, v24, v10, s2
	v_cndmask_b32_e64 v20, v20, v29, s3
	s_delay_alu instid0(VALU_DEP_4) | instskip(NEXT) | instid1(VALU_DEP_3)
	v_cndmask_b32_e64 v29, v29, v13, s3
	v_cndmask_b32_e64 v13, v13, v24, s3
	s_delay_alu instid0(VALU_DEP_2) | instskip(NEXT) | instid1(VALU_DEP_2)
	v_alignbit_b32 v30, v20, v29, v22
	v_alignbit_b32 v31, v29, v13, v22
	v_cndmask_b32_e32 v28, v32, v28, vcc_lo
	v_cmp_eq_u32_e32 vcc_lo, 0, v9
	s_delay_alu instid0(VALU_DEP_3) | instskip(NEXT) | instid1(VALU_DEP_3)
	v_dual_cndmask_b32 v9, v30, v20 :: v_dual_cndmask_b32 v20, v31, v29
	v_cndmask_b32_e64 v10, v10, v28, s2
	s_delay_alu instid0(VALU_DEP_1) | instskip(NEXT) | instid1(VALU_DEP_3)
	v_cndmask_b32_e64 v10, v24, v10, s3
	v_bfe_u32 v28, v9, 29, 1
	s_delay_alu instid0(VALU_DEP_4) | instskip(NEXT) | instid1(VALU_DEP_3)
	v_alignbit_b32 v24, v9, v20, 30
	v_alignbit_b32 v22, v13, v10, v22
	s_delay_alu instid0(VALU_DEP_1) | instskip(NEXT) | instid1(VALU_DEP_1)
	v_dual_sub_nc_u32 v29, 0, v28 :: v_dual_cndmask_b32 v13, v22, v13, vcc_lo
	v_xor_b32_e32 v24, v24, v29
	s_delay_alu instid0(VALU_DEP_1) | instskip(NEXT) | instid1(VALU_DEP_1)
	v_clz_i32_u32_e32 v22, v24
	v_min_u32_e32 v22, 32, v22
	s_delay_alu instid0(VALU_DEP_1) | instskip(SKIP_2) | instid1(VALU_DEP_2)
	v_lshlrev_b32_e32 v30, 23, v22
	v_alignbit_b32 v20, v20, v13, 30
	v_alignbit_b32 v10, v13, v10, 30
	v_dual_sub_nc_u32 v20, 31, v22 :: v_dual_bitop2_b32 v13, v20, v29 bitop3:0x14
	s_delay_alu instid0(VALU_DEP_2) | instskip(NEXT) | instid1(VALU_DEP_2)
	v_xor_b32_e32 v10, v10, v29
	v_alignbit_b32 v24, v24, v13, v20
	v_lshrrev_b32_e32 v29, 29, v9
	s_delay_alu instid0(VALU_DEP_3) | instskip(NEXT) | instid1(VALU_DEP_1)
	v_alignbit_b32 v10, v13, v10, v20
	v_alignbit_b32 v20, v24, v10, 9
	s_delay_alu instid0(VALU_DEP_3) | instskip(NEXT) | instid1(VALU_DEP_2)
	v_dual_lshrrev_b32 v24, 9, v24 :: v_dual_lshlrev_b32 v13, 31, v29
	v_clz_i32_u32_e32 v31, v20
	s_delay_alu instid0(VALU_DEP_2) | instskip(SKIP_1) | instid1(VALU_DEP_2)
	v_or_b32_e32 v29, 0.5, v13
	v_or_b32_e32 v13, 0x33000000, v13
	v_sub_nc_u32_e32 v29, v29, v30
	s_delay_alu instid0(VALU_DEP_4) | instskip(NEXT) | instid1(VALU_DEP_2)
	v_min_u32_e32 v30, 32, v31
	v_or_b32_e32 v24, v24, v29
	s_delay_alu instid0(VALU_DEP_2) | instskip(SKIP_1) | instid1(VALU_DEP_2)
	v_not_b32_e32 v29, v30
	v_add_lshl_u32 v22, v30, v22, 23
	v_alignbit_b32 v10, v20, v10, v29
	s_delay_alu instid0(VALU_DEP_2) | instskip(NEXT) | instid1(VALU_DEP_2)
	v_sub_nc_u32_e32 v13, v13, v22
	v_lshrrev_b32_e32 v10, 9, v10
	s_delay_alu instid0(VALU_DEP_1) | instskip(SKIP_1) | instid1(VALU_DEP_1)
	v_or_b32_e32 v10, v13, v10
	v_mul_f32_e32 v31, 0x3fc90fda, v24
	v_fma_f32 v20, 0x3fc90fda, v24, -v31
	s_delay_alu instid0(VALU_DEP_1) | instskip(NEXT) | instid1(VALU_DEP_1)
	v_fmac_f32_e32 v20, 0x33a22168, v24
	v_fmac_f32_e32 v20, 0x3fc90fda, v10
	s_delay_alu instid0(VALU_DEP_1) | instskip(NEXT) | instid1(VALU_DEP_1)
	v_dual_add_f32 v9, v31, v20 :: v_dual_lshrrev_b32 v10, 30, v9
	v_add_nc_u32_e32 v10, v28, v10
.LBB94_74:                              ;   in Loop: Header=BB94_7 Depth=1
	s_or_saveexec_b32 s2, s34
	v_mul_f32_e64 v13, 0x3f22f983, |v12|
	s_delay_alu instid0(VALU_DEP_1)
	v_rndne_f32_e32 v22, v13
	s_xor_b32 exec_lo, exec_lo, s2
; %bb.75:                               ;   in Loop: Header=BB94_7 Depth=1
	s_delay_alu instid0(VALU_DEP_1) | instskip(SKIP_1) | instid1(VALU_DEP_2)
	v_fma_f32 v9, 0xbfc90fda, v22, |v12|
	v_cvt_i32_f32_e32 v10, v22
	v_fmac_f32_e32 v9, 0xb3a22168, v22
	s_delay_alu instid0(VALU_DEP_1)
	v_fmac_f32_e32 v9, 0xa7c234c4, v22
; %bb.76:                               ;   in Loop: Header=BB94_7 Depth=1
	s_or_b32 exec_lo, exec_lo, s2
                                        ; implicit-def: $vgpr20
                                        ; implicit-def: $vgpr13
	s_and_saveexec_b32 s2, s33
	s_delay_alu instid0(SALU_CYCLE_1)
	s_xor_b32 s33, exec_lo, s2
	s_cbranch_execz .LBB94_78
; %bb.77:                               ;   in Loop: Header=BB94_7 Depth=1
	v_mul_u64_e32 v[28:29], s[12:13], v[16:17]
	v_mov_b32_e32 v31, v17
	v_cmp_lt_u32_e32 vcc_lo, 63, v11
	v_cndmask_b32_e64 v13, 0, 0xffffffc0, vcc_lo
	s_delay_alu instid0(VALU_DEP_4) | instskip(NEXT) | instid1(VALU_DEP_1)
	v_mov_b32_e32 v30, v29
	v_mad_nc_u64_u32 v[30:31], 0x3c439041, v16, v[30:31]
	s_delay_alu instid0(VALU_DEP_1) | instskip(NEXT) | instid1(VALU_DEP_1)
	v_dual_mov_b32 v33, v17 :: v_dual_mov_b32 v32, v31
	v_mad_nc_u64_u32 v[32:33], 0xdb629599, v16, v[32:33]
	s_delay_alu instid0(VALU_DEP_1) | instskip(NEXT) | instid1(VALU_DEP_2)
	v_dual_mov_b32 v35, v17 :: v_dual_mov_b32 v34, v33
	v_cndmask_b32_e32 v28, v32, v28, vcc_lo
	s_delay_alu instid0(VALU_DEP_2) | instskip(NEXT) | instid1(VALU_DEP_1)
	v_mad_nc_u64_u32 v[34:35], 0xf534ddc0, v16, v[34:35]
	v_dual_mov_b32 v37, v17 :: v_dual_mov_b32 v36, v35
	s_delay_alu instid0(VALU_DEP_1) | instskip(NEXT) | instid1(VALU_DEP_1)
	v_mad_nc_u64_u32 v[36:37], 0xfc2757d1, v16, v[36:37]
	v_dual_mov_b32 v39, v17 :: v_dual_mov_b32 v38, v37
	s_delay_alu instid0(VALU_DEP_2) | instskip(NEXT) | instid1(VALU_DEP_2)
	v_cndmask_b32_e32 v24, v36, v32, vcc_lo
	v_mad_nc_u64_u32 v[38:39], 0x4e441529, v16, v[38:39]
	v_add_nc_u32_e32 v11, v13, v11
	s_delay_alu instid0(VALU_DEP_2) | instskip(NEXT) | instid1(VALU_DEP_2)
	v_dual_mov_b32 v41, v17 :: v_dual_mov_b32 v40, v39
	v_cmp_lt_u32_e64 s2, 31, v11
	s_delay_alu instid0(VALU_DEP_2) | instskip(NEXT) | instid1(VALU_DEP_2)
	v_mad_nc_u64_u32 v[40:41], 0xa2f9836e, v16, v[40:41]
	v_cndmask_b32_e64 v13, 0, 0xffffffe0, s2
	s_delay_alu instid0(VALU_DEP_1) | instskip(NEXT) | instid1(VALU_DEP_3)
	v_dual_cndmask_b32 v16, v38, v34 :: v_dual_add_nc_u32 v11, v13, v11
	v_cndmask_b32_e32 v20, v40, v36, vcc_lo
	s_delay_alu instid0(VALU_DEP_2) | instskip(SKIP_1) | instid1(VALU_DEP_2)
	v_cmp_lt_u32_e64 s3, 31, v11
	v_cndmask_b32_e32 v22, v41, v38, vcc_lo
	v_cndmask_b32_e64 v13, 0, 0xffffffe0, s3
	s_delay_alu instid0(VALU_DEP_1) | instskip(SKIP_1) | instid1(VALU_DEP_4)
	v_dual_add_nc_u32 v11, v13, v11 :: v_dual_cndmask_b32 v13, v34, v30, vcc_lo
	v_cndmask_b32_e64 v29, v20, v16, s2
	v_cndmask_b32_e64 v20, v22, v20, s2
	s_delay_alu instid0(VALU_DEP_3) | instskip(SKIP_2) | instid1(VALU_DEP_4)
	v_cmp_eq_u32_e32 vcc_lo, 0, v11
	v_dual_cndmask_b32 v16, v16, v24, s2 :: v_dual_sub_nc_u32 v22, 32, v11
	v_cndmask_b32_e64 v24, v24, v13, s2
	v_dual_cndmask_b32 v20, v20, v29, s3 :: v_dual_cndmask_b32 v13, v13, v28, s2
	s_delay_alu instid0(VALU_DEP_3) | instskip(NEXT) | instid1(VALU_DEP_3)
	v_cndmask_b32_e64 v29, v29, v16, s3
	v_cndmask_b32_e64 v16, v16, v24, s3
	s_delay_alu instid0(VALU_DEP_3) | instskip(NEXT) | instid1(VALU_DEP_3)
	v_cndmask_b32_e64 v13, v24, v13, s3
	v_alignbit_b32 v30, v20, v29, v22
	s_delay_alu instid0(VALU_DEP_3) | instskip(NEXT) | instid1(VALU_DEP_3)
	v_alignbit_b32 v31, v29, v16, v22
	v_alignbit_b32 v22, v16, v13, v22
	s_delay_alu instid0(VALU_DEP_2) | instskip(NEXT) | instid1(VALU_DEP_2)
	v_dual_cndmask_b32 v11, v30, v20 :: v_dual_cndmask_b32 v20, v31, v29
	v_cndmask_b32_e32 v16, v22, v16, vcc_lo
	s_delay_alu instid0(VALU_DEP_2) | instskip(NEXT) | instid1(VALU_DEP_3)
	v_bfe_u32 v28, v11, 29, 1
	v_alignbit_b32 v24, v11, v20, 30
	s_delay_alu instid0(VALU_DEP_3) | instskip(NEXT) | instid1(VALU_DEP_3)
	v_alignbit_b32 v20, v20, v16, 30
	v_sub_nc_u32_e32 v29, 0, v28
	v_alignbit_b32 v13, v16, v13, 30
	s_delay_alu instid0(VALU_DEP_2) | instskip(NEXT) | instid1(VALU_DEP_4)
	v_xor_b32_e32 v24, v24, v29
	v_xor_b32_e32 v16, v20, v29
	s_delay_alu instid0(VALU_DEP_3) | instskip(SKIP_1) | instid1(VALU_DEP_4)
	v_dual_lshrrev_b32 v29, 29, v11 :: v_dual_bitop2_b32 v13, v13, v29 bitop3:0x14
	v_lshrrev_b32_e32 v11, 30, v11
	v_clz_i32_u32_e32 v22, v24
	s_delay_alu instid0(VALU_DEP_1) | instskip(NEXT) | instid1(VALU_DEP_1)
	v_min_u32_e32 v22, 32, v22
	v_dual_sub_nc_u32 v20, 31, v22 :: v_dual_lshlrev_b32 v30, 23, v22
	s_delay_alu instid0(VALU_DEP_1) | instskip(SKIP_2) | instid1(VALU_DEP_2)
	v_alignbit_b32 v24, v24, v16, v20
	v_alignbit_b32 v13, v16, v13, v20
	v_lshlrev_b32_e32 v16, 31, v29
	v_alignbit_b32 v20, v24, v13, 9
	s_delay_alu instid0(VALU_DEP_2) | instskip(SKIP_2) | instid1(VALU_DEP_4)
	v_or_b32_e32 v29, 0.5, v16
	v_lshrrev_b32_e32 v24, 9, v24
	v_or_b32_e32 v16, 0x33000000, v16
	v_clz_i32_u32_e32 v31, v20
	s_delay_alu instid0(VALU_DEP_4) | instskip(NEXT) | instid1(VALU_DEP_2)
	v_sub_nc_u32_e32 v29, v29, v30
	v_min_u32_e32 v30, 32, v31
	s_delay_alu instid0(VALU_DEP_2) | instskip(NEXT) | instid1(VALU_DEP_2)
	v_or_b32_e32 v24, v24, v29
	v_not_b32_e32 v29, v30
	v_add_lshl_u32 v22, v30, v22, 23
	s_delay_alu instid0(VALU_DEP_2) | instskip(NEXT) | instid1(VALU_DEP_2)
	v_alignbit_b32 v13, v20, v13, v29
	v_sub_nc_u32_e32 v16, v16, v22
                                        ; implicit-def: $vgpr22
	s_delay_alu instid0(VALU_DEP_2) | instskip(NEXT) | instid1(VALU_DEP_1)
	v_lshrrev_b32_e32 v13, 9, v13
	v_or_b32_e32 v13, v16, v13
	v_mul_f32_e32 v31, 0x3fc90fda, v24
	s_delay_alu instid0(VALU_DEP_1) | instskip(NEXT) | instid1(VALU_DEP_1)
	v_fma_f32 v20, 0x3fc90fda, v24, -v31
	v_fmac_f32_e32 v20, 0x33a22168, v24
	s_delay_alu instid0(VALU_DEP_1) | instskip(NEXT) | instid1(VALU_DEP_1)
	v_fmac_f32_e32 v20, 0x3fc90fda, v13
	v_dual_add_f32 v13, v31, v20 :: v_dual_add_nc_u32 v20, v28, v11
	s_and_not1_saveexec_b32 s2, s33
	s_cbranch_execnz .LBB94_79
	s_branch .LBB94_80
.LBB94_78:                              ;   in Loop: Header=BB94_7 Depth=1
	s_and_not1_saveexec_b32 s2, s33
.LBB94_79:                              ;   in Loop: Header=BB94_7 Depth=1
	v_fma_f32 v13, 0xbfc90fda, v22, |v12|
	v_cvt_i32_f32_e32 v20, v22
	s_delay_alu instid0(VALU_DEP_2) | instskip(NEXT) | instid1(VALU_DEP_1)
	v_fmac_f32_e32 v13, 0xb3a22168, v22
	v_fmac_f32_e32 v13, 0xa7c234c4, v22
.LBB94_80:                              ;   in Loop: Header=BB94_7 Depth=1
	s_or_b32 exec_lo, exec_lo, s2
	v_dual_mul_f32 v11, v9, v9 :: v_dual_bitop2_b32 v22, 1, v10 bitop3:0x40
	s_delay_alu instid0(VALU_DEP_2) | instskip(SKIP_1) | instid1(VALU_DEP_2)
	v_dual_mul_f32 v16, v13, v13 :: v_dual_lshlrev_b32 v10, 30, v10
	v_dual_lshlrev_b32 v20, 30, v20 :: v_dual_bitop2_b32 v31, 1, v20 bitop3:0x40
	v_dual_fmaak_f32 v24, s26, v11, 0x3c0881c4 :: v_dual_fmaak_f32 v29, s26, v16, 0x3c0881c4
	s_delay_alu instid0(VALU_DEP_4) | instskip(NEXT) | instid1(VALU_DEP_4)
	v_cmp_eq_u32_e32 vcc_lo, 0, v22
	v_bitop3_b32 v8, v8, v10, 0x80000000 bitop3:0x78
	s_delay_alu instid0(VALU_DEP_3) | instskip(SKIP_1) | instid1(VALU_DEP_2)
	v_dual_fmaak_f32 v24, v11, v24, 0xbe2aaa9d :: v_dual_fmaak_f32 v29, v16, v29, 0xbe2aaa9d
	v_fmaak_f32 v28, s27, v11, 0xbab64f3b
	v_dual_mul_f32 v24, v11, v24 :: v_dual_mul_f32 v29, v16, v29
	v_fmaak_f32 v30, s27, v16, 0xbab64f3b
	s_delay_alu instid0(VALU_DEP_2) | instskip(NEXT) | instid1(VALU_DEP_3)
	v_fmac_f32_e32 v9, v9, v24
	v_dual_fmaak_f32 v28, v11, v28, 0x3d2aabf7 :: v_dual_fmac_f32 v13, v13, v29
	s_delay_alu instid0(VALU_DEP_3) | instskip(NEXT) | instid1(VALU_DEP_2)
	v_fmaak_f32 v30, v16, v30, 0x3d2aabf7
	v_fmaak_f32 v28, v11, v28, 0xbf000004
	s_delay_alu instid0(VALU_DEP_2) | instskip(NEXT) | instid1(VALU_DEP_2)
	v_fmaak_f32 v30, v16, v30, 0xbf000004
	v_fma_f32 v11, v11, v28, 1.0
	s_delay_alu instid0(VALU_DEP_2) | instskip(NEXT) | instid1(VALU_DEP_2)
	v_fma_f32 v16, v16, v30, 1.0
	v_cndmask_b32_e32 v9, v11, v9, vcc_lo
	v_cmp_eq_u32_e32 vcc_lo, 0, v31
	s_delay_alu instid0(VALU_DEP_2) | instskip(NEXT) | instid1(VALU_DEP_4)
	v_xor3_b32 v8, v8, v9, v12
	v_cndmask_b32_e64 v10, -v13, v16, vcc_lo
	v_cmp_class_f32_e64 vcc_lo, v12, 0x1f8
	s_delay_alu instid0(VALU_DEP_2) | instskip(NEXT) | instid1(VALU_DEP_1)
	v_bitop3_b32 v9, v20, v10, 0x80000000 bitop3:0x6c
	v_mul_f32_e32 v8, v8, v9
	s_delay_alu instid0(VALU_DEP_1)
	v_cndmask_b32_e32 v12, 0x7fc00000, v8, vcc_lo
.LBB94_81:                              ;   in Loop: Header=BB94_7 Depth=1
	s_or_b32 exec_lo, exec_lo, s31
	v_add_nc_u32_e32 v7, -2.0, v7
	s_delay_alu instid0(VALU_DEP_2)
	v_bfi_b32 v8, 0x7fffffff, 0, v12
.LBB94_82:                              ;   in Loop: Header=BB94_7 Depth=1
	s_or_b32 exec_lo, exec_lo, s30
.LBB94_83:                              ;   in Loop: Header=BB94_7 Depth=1
	s_delay_alu instid0(SALU_CYCLE_1) | instskip(SKIP_3) | instid1(VALU_DEP_1)
	s_or_b32 exec_lo, exec_lo, s29
	s_wait_loadcnt 0x0
	v_and_b32_e32 v22, 0x7fffffff, v3
                                        ; implicit-def: $vgpr10
                                        ; implicit-def: $vgpr9
	s_mov_b32 s2, exec_lo
	v_cmpx_gt_u32_e32 0x7f800000, v22
	s_xor_b32 s29, exec_lo, s2
	s_cbranch_execz .LBB94_105
; %bb.84:                               ;   in Loop: Header=BB94_7 Depth=1
	v_cmp_class_f32_e64 s2, v2, 0x1f8
                                        ; implicit-def: $vgpr10
                                        ; implicit-def: $vgpr9
	s_and_saveexec_b32 s3, s2
	s_delay_alu instid0(SALU_CYCLE_1)
	s_xor_b32 s30, exec_lo, s3
	s_cbranch_execz .LBB94_102
; %bb.85:                               ;   in Loop: Header=BB94_7 Depth=1
	v_and_b32_e32 v11, 0x7fffffff, v2
                                        ; implicit-def: $vgpr10
                                        ; implicit-def: $vgpr9
	s_mov_b32 s2, exec_lo
	v_cmpx_gt_u32_e32 0x41300000, v22
	s_xor_b32 s31, exec_lo, s2
	s_cbranch_execz .LBB94_91
; %bb.86:                               ;   in Loop: Header=BB94_7 Depth=1
                                        ; implicit-def: $vgpr9
                                        ; implicit-def: $vgpr10
	s_mov_b32 s3, exec_lo
	v_cmpx_ngt_f32_e64 0x48000000, |v2|
	s_xor_b32 s33, exec_lo, s3
	s_cbranch_execz .LBB94_88
; %bb.87:                               ;   in Loop: Header=BB94_7 Depth=1
	v_and_or_b32 v16, v11, s22, 0x800000
	v_dual_lshrrev_b32 v9, 23, v11 :: v_dual_mov_b32 v37, v17
	v_mov_b32_e32 v39, v17
	s_delay_alu instid0(VALU_DEP_3) | instskip(SKIP_1) | instid1(VALU_DEP_4)
	v_mul_u64_e32 v[12:13], s[12:13], v[16:17]
	v_mov_b32_e32 v29, v17
	v_add_nc_u32_e32 v9, 0xffffff88, v9
	s_delay_alu instid0(VALU_DEP_1) | instskip(SKIP_1) | instid1(VALU_DEP_1)
	v_cmp_lt_u32_e32 vcc_lo, 63, v9
	v_cndmask_b32_e64 v10, 0, 0xffffffc0, vcc_lo
	v_add_nc_u32_e32 v9, v10, v9
	s_delay_alu instid0(VALU_DEP_1) | instskip(NEXT) | instid1(VALU_DEP_1)
	v_cmp_lt_u32_e64 s2, 31, v9
	v_cndmask_b32_e64 v10, 0, 0xffffffe0, s2
	s_delay_alu instid0(VALU_DEP_1) | instskip(NEXT) | instid1(VALU_DEP_1)
	v_dual_mov_b32 v28, v13 :: v_dual_add_nc_u32 v9, v10, v9
	v_mad_nc_u64_u32 v[28:29], 0x3c439041, v16, v[28:29]
	v_mov_b32_e32 v31, v17
	s_delay_alu instid0(VALU_DEP_3) | instskip(NEXT) | instid1(VALU_DEP_1)
	v_cmp_lt_u32_e64 s3, 31, v9
	v_cndmask_b32_e64 v10, 0, 0xffffffe0, s3
	s_delay_alu instid0(VALU_DEP_4) | instskip(NEXT) | instid1(VALU_DEP_1)
	v_mov_b32_e32 v30, v29
	v_mad_nc_u64_u32 v[30:31], 0xdb629599, v16, v[30:31]
	s_delay_alu instid0(VALU_DEP_1) | instskip(NEXT) | instid1(VALU_DEP_2)
	v_dual_mov_b32 v33, v17 :: v_dual_mov_b32 v32, v31
	v_cndmask_b32_e32 v12, v30, v12, vcc_lo
	s_delay_alu instid0(VALU_DEP_2) | instskip(SKIP_1) | instid1(VALU_DEP_2)
	v_mad_nc_u64_u32 v[32:33], 0xf534ddc0, v16, v[32:33]
	v_dual_mov_b32 v35, v17 :: v_dual_add_nc_u32 v9, v10, v9
	v_dual_cndmask_b32 v10, v32, v28, vcc_lo :: v_dual_mov_b32 v34, v33
	s_delay_alu instid0(VALU_DEP_1) | instskip(NEXT) | instid1(VALU_DEP_1)
	v_mad_nc_u64_u32 v[34:35], 0xfc2757d1, v16, v[34:35]
	v_dual_mov_b32 v36, v35 :: v_dual_cndmask_b32 v24, v34, v30, vcc_lo
	s_delay_alu instid0(VALU_DEP_1) | instskip(NEXT) | instid1(VALU_DEP_1)
	v_mad_nc_u64_u32 v[36:37], 0x4e441529, v16, v[36:37]
	v_mov_b32_e32 v38, v37
	s_delay_alu instid0(VALU_DEP_1) | instskip(NEXT) | instid1(VALU_DEP_1)
	v_mad_nc_u64_u32 v[38:39], 0xa2f9836e, v16, v[38:39]
	v_dual_cndmask_b32 v13, v36, v32 :: v_dual_cndmask_b32 v16, v38, v34
	s_delay_alu instid0(VALU_DEP_2) | instskip(SKIP_1) | instid1(VALU_DEP_3)
	v_cndmask_b32_e32 v20, v39, v36, vcc_lo
	v_cmp_eq_u32_e32 vcc_lo, 0, v9
	v_dual_cndmask_b32 v28, v16, v13, s2 :: v_dual_cndmask_b32 v13, v13, v24, s2
	s_delay_alu instid0(VALU_DEP_3) | instskip(SKIP_1) | instid1(VALU_DEP_2)
	v_dual_cndmask_b32 v16, v20, v16, s2 :: v_dual_sub_nc_u32 v20, 32, v9
	v_cndmask_b32_e64 v24, v24, v10, s2
	v_cndmask_b32_e64 v16, v16, v28, s3
	s_delay_alu instid0(VALU_DEP_2) | instskip(SKIP_1) | instid1(VALU_DEP_2)
	v_dual_cndmask_b32 v28, v28, v13, s3 :: v_dual_cndmask_b32 v13, v13, v24, s3
	v_cndmask_b32_e64 v10, v10, v12, s2
	v_alignbit_b32 v30, v28, v13, v20
	s_delay_alu instid0(VALU_DEP_1) | instskip(SKIP_1) | instid1(VALU_DEP_2)
	v_dual_cndmask_b32 v10, v24, v10, s3 :: v_dual_cndmask_b32 v12, v30, v28, vcc_lo
	v_alignbit_b32 v29, v16, v28, v20
	v_alignbit_b32 v20, v13, v10, v20
	s_delay_alu instid0(VALU_DEP_1) | instskip(NEXT) | instid1(VALU_DEP_1)
	v_dual_cndmask_b32 v9, v29, v16, vcc_lo :: v_dual_cndmask_b32 v13, v20, v13, vcc_lo
	v_bfe_u32 v16, v9, 29, 1
	v_alignbit_b32 v24, v9, v12, 30
	s_delay_alu instid0(VALU_DEP_3) | instskip(SKIP_1) | instid1(VALU_DEP_4)
	v_alignbit_b32 v12, v12, v13, 30
	v_alignbit_b32 v10, v13, v10, 30
	v_sub_nc_u32_e32 v28, 0, v16
	s_delay_alu instid0(VALU_DEP_1) | instskip(NEXT) | instid1(VALU_DEP_4)
	v_xor_b32_e32 v24, v24, v28
	v_xor_b32_e32 v12, v12, v28
	s_delay_alu instid0(VALU_DEP_4) | instskip(SKIP_1) | instid1(VALU_DEP_4)
	v_dual_lshrrev_b32 v28, 29, v9 :: v_dual_bitop2_b32 v10, v10, v28 bitop3:0x14
	v_lshrrev_b32_e32 v9, 30, v9
	v_clz_i32_u32_e32 v20, v24
	s_delay_alu instid0(VALU_DEP_2) | instskip(NEXT) | instid1(VALU_DEP_2)
	v_add_nc_u32_e32 v9, v16, v9
	v_min_u32_e32 v20, 32, v20
	s_delay_alu instid0(VALU_DEP_1) | instskip(NEXT) | instid1(VALU_DEP_1)
	v_dual_sub_nc_u32 v13, 31, v20 :: v_dual_lshlrev_b32 v29, 23, v20
	v_alignbit_b32 v24, v24, v12, v13
	v_alignbit_b32 v10, v12, v10, v13
	v_lshlrev_b32_e32 v12, 31, v28
	s_delay_alu instid0(VALU_DEP_2) | instskip(NEXT) | instid1(VALU_DEP_2)
	v_alignbit_b32 v13, v24, v10, 9
	v_or_b32_e32 v28, 0.5, v12
	v_or_b32_e32 v12, 0x33000000, v12
	v_lshrrev_b32_e32 v24, 9, v24
	s_delay_alu instid0(VALU_DEP_4) | instskip(NEXT) | instid1(VALU_DEP_4)
	v_clz_i32_u32_e32 v30, v13
	v_sub_nc_u32_e32 v28, v28, v29
	s_delay_alu instid0(VALU_DEP_2) | instskip(NEXT) | instid1(VALU_DEP_2)
	v_min_u32_e32 v29, 32, v30
	v_or_b32_e32 v24, v24, v28
	s_delay_alu instid0(VALU_DEP_2) | instskip(SKIP_1) | instid1(VALU_DEP_2)
	v_not_b32_e32 v28, v29
	v_add_lshl_u32 v20, v29, v20, 23
	v_alignbit_b32 v10, v13, v10, v28
	s_delay_alu instid0(VALU_DEP_1) | instskip(NEXT) | instid1(VALU_DEP_1)
	v_dual_sub_nc_u32 v12, v12, v20 :: v_dual_lshrrev_b32 v10, 9, v10
	v_or_b32_e32 v10, v12, v10
	v_mul_f32_e32 v30, 0x3fc90fda, v24
	s_delay_alu instid0(VALU_DEP_1) | instskip(NEXT) | instid1(VALU_DEP_1)
	v_fma_f32 v13, 0x3fc90fda, v24, -v30
	v_fmac_f32_e32 v13, 0x33a22168, v24
	s_delay_alu instid0(VALU_DEP_1) | instskip(NEXT) | instid1(VALU_DEP_1)
	v_fmac_f32_e32 v13, 0x3fc90fda, v10
	v_add_f32_e32 v10, v30, v13
.LBB94_88:                              ;   in Loop: Header=BB94_7 Depth=1
	s_and_not1_saveexec_b32 s2, s33
; %bb.89:                               ;   in Loop: Header=BB94_7 Depth=1
	v_mul_f32_e64 v9, 0x3f22f983, |v2|
	s_delay_alu instid0(VALU_DEP_1) | instskip(NEXT) | instid1(VALU_DEP_1)
	v_rndne_f32_e32 v9, v9
	v_fma_f32 v10, 0xbfc90fda, v9, |v2|
	s_delay_alu instid0(VALU_DEP_1) | instskip(NEXT) | instid1(VALU_DEP_1)
	v_fmac_f32_e32 v10, 0xb3a22168, v9
	v_fmac_f32_e32 v10, 0xa7c234c4, v9
	v_cvt_i32_f32_e32 v9, v9
; %bb.90:                               ;   in Loop: Header=BB94_7 Depth=1
	s_or_b32 exec_lo, exec_lo, s2
	v_add_f32_e64 v16, 0xbf317218, |v3|
	v_cmp_nlt_f32_e64 vcc_lo, 0x42b2d4fc, |v3|
	v_cmp_gt_f32_e64 s2, 0x39800000, |v3|
	v_and_b32_e32 v9, 1, v9
	s_delay_alu instid0(VALU_DEP_4) | instskip(NEXT) | instid1(VALU_DEP_1)
	v_sub_f32_e64 v13, v16, |v3|
	v_sub_f32_e32 v12, v13, v16
	s_delay_alu instid0(VALU_DEP_1) | instskip(NEXT) | instid1(VALU_DEP_1)
	v_pk_add_f32 v[12:13], v[22:23], v[12:13]
	v_sub_f32_e32 v12, v12, v13
	s_delay_alu instid0(VALU_DEP_1) | instskip(NEXT) | instid1(VALU_DEP_1)
	v_add_f32_e32 v12, 0x3102e308, v12
	v_add_f32_e32 v13, v16, v12
	s_delay_alu instid0(VALU_DEP_1) | instskip(SKIP_1) | instid1(VALU_DEP_2)
	v_mul_f32_e32 v20, 0x3fb8aa3b, v13
	v_sub_f32_e32 v16, v16, v13
	v_rndne_f32_e32 v20, v20
	s_delay_alu instid0(VALU_DEP_2) | instskip(NEXT) | instid1(VALU_DEP_2)
	v_add_f32_e32 v16, v12, v16
	v_fmac_f32_e32 v13, 0xbf317200, v20
	v_mul_f32_e32 v22, 0x35bfbc00, v20
	s_delay_alu instid0(VALU_DEP_2) | instskip(NEXT) | instid1(VALU_DEP_1)
	v_dual_mul_f32 v29, 0x2ea39ef3, v20 :: v_dual_add_f32 v24, v16, v13
	v_dual_sub_f32 v12, v24, v22 :: v_dual_sub_f32 v13, v13, v24
	s_delay_alu instid0(VALU_DEP_1) | instskip(NEXT) | instid1(VALU_DEP_2)
	v_sub_f32_e32 v24, v24, v12
	v_add_f32_e32 v13, v16, v13
	s_delay_alu instid0(VALU_DEP_2) | instskip(NEXT) | instid1(VALU_DEP_1)
	v_sub_f32_e32 v16, v24, v22
	v_add_f32_e32 v16, v13, v16
	s_delay_alu instid0(VALU_DEP_1) | instskip(NEXT) | instid1(VALU_DEP_1)
	v_add_f32_e32 v13, v12, v16
	v_mov_b32_e32 v28, v13
	s_delay_alu instid0(VALU_DEP_1) | instskip(NEXT) | instid1(VALU_DEP_1)
	v_pk_add_f32 v[30:31], v[12:13], v[28:29] neg_lo:[0,1] neg_hi:[0,1]
	v_dual_sub_f32 v12, v13, v31 :: v_dual_add_f32 v13, v16, v30
	s_delay_alu instid0(VALU_DEP_1) | instskip(NEXT) | instid1(VALU_DEP_1)
	v_sub_f32_e32 v12, v12, v29
	v_add_f32_e32 v12, v13, v12
	s_delay_alu instid0(VALU_DEP_1) | instskip(NEXT) | instid1(VALU_DEP_1)
	v_add_f32_e32 v13, v31, v12
	v_dual_sub_f32 v16, v31, v13 :: v_dual_mul_f32 v22, v13, v13
	v_mov_b64_e32 v[30:31], s[14:15]
	s_delay_alu instid0(VALU_DEP_2) | instskip(NEXT) | instid1(VALU_DEP_1)
	v_add_f32_e32 v12, v12, v16
	v_add_f32_e32 v28, v12, v12
	v_fmaak_f32 v16, s25, v13, 0x3c091de6
	v_fma_f32 v24, v13, v13, -v22
	s_delay_alu instid0(VALU_DEP_2) | instskip(NEXT) | instid1(VALU_DEP_2)
	v_fmaak_f32 v16, v13, v16, 0x3d2aadcc
	v_fmac_f32_e32 v24, v13, v28
	s_delay_alu instid0(VALU_DEP_2) | instskip(NEXT) | instid1(VALU_DEP_2)
	v_fmaak_f32 v16, v13, v16, 0x3e2aaa47
	v_add_f32_e32 v28, v22, v24
	s_delay_alu instid0(VALU_DEP_2) | instskip(NEXT) | instid1(VALU_DEP_2)
	v_fmaak_f32 v16, v13, v16, 0x3efffffc
	v_sub_f32_e32 v22, v28, v22
	s_delay_alu instid0(VALU_DEP_1) | instskip(NEXT) | instid1(VALU_DEP_3)
	v_sub_f32_e32 v22, v24, v22
	v_mul_f32_e32 v29, v16, v28
	s_delay_alu instid0(VALU_DEP_1) | instskip(NEXT) | instid1(VALU_DEP_1)
	v_fma_f32 v28, v28, v16, -v29
	v_fmac_f32_e32 v28, v22, v16
	s_delay_alu instid0(VALU_DEP_1) | instskip(NEXT) | instid1(VALU_DEP_1)
	v_add_f32_e32 v16, v29, v28
	v_add_f32_e32 v24, v13, v16
	s_delay_alu instid0(VALU_DEP_1) | instskip(NEXT) | instid1(VALU_DEP_1)
	v_sub_f32_e32 v13, v24, v13
	v_sub_f32_e32 v13, v16, v13
	;; [unrolled: 1-line block ×3, first 2 shown]
	s_delay_alu instid0(VALU_DEP_1) | instskip(NEXT) | instid1(VALU_DEP_1)
	v_sub_f32_e32 v22, v28, v22
	v_add_f32_e32 v12, v12, v22
	s_delay_alu instid0(VALU_DEP_1) | instskip(NEXT) | instid1(VALU_DEP_1)
	v_add_f32_e32 v12, v12, v13
	v_add_f32_e32 v28, v24, v12
	s_delay_alu instid0(VALU_DEP_1) | instskip(NEXT) | instid1(VALU_DEP_1)
	v_dual_add_f32 v29, 1.0, v28 :: v_dual_mov_b32 v13, v28
	v_pk_add_f32 v[30:31], v[28:29], v[30:31]
	v_pk_add_f32 v[32:33], v[28:29], v[24:25] neg_lo:[0,1] neg_hi:[0,1]
	s_delay_alu instid0(VALU_DEP_2) | instskip(NEXT) | instid1(VALU_DEP_1)
	v_mov_b32_e32 v33, v31
	v_pk_add_f32 v[12:13], v[12:13], v[32:33] neg_lo:[0,1] neg_hi:[0,1]
	s_delay_alu instid0(VALU_DEP_1) | instskip(SKIP_1) | instid1(VALU_DEP_2)
	v_add_f32_e32 v12, v12, v13
	v_cvt_i32_f32_e32 v13, v20
	v_add_f32_e32 v16, v29, v12
	s_delay_alu instid0(VALU_DEP_1) | instskip(NEXT) | instid1(VALU_DEP_1)
	v_ldexp_f32 v22, v16, v13
	v_rcp_f32_e32 v24, v22
	v_sub_f32_e32 v16, v16, v29
	s_delay_alu instid0(VALU_DEP_1) | instskip(NEXT) | instid1(TRANS32_DEP_1)
	v_sub_f32_e32 v16, v12, v16
	v_mul_f32_e32 v12, v22, v24
	s_delay_alu instid0(VALU_DEP_2) | instskip(NEXT) | instid1(VALU_DEP_2)
	v_ldexp_f32 v16, v16, v13
	v_fma_f32 v28, v24, v22, -v12
	s_delay_alu instid0(VALU_DEP_1) | instskip(NEXT) | instid1(VALU_DEP_1)
	v_fmac_f32_e32 v28, v24, v16
	v_add_f32_e32 v20, v12, v28
	s_delay_alu instid0(VALU_DEP_1) | instskip(NEXT) | instid1(VALU_DEP_1)
	v_dual_sub_f32 v13, 1.0, v20 :: v_dual_mov_b32 v29, v20
	v_pk_add_f32 v[30:31], v[20:21], v[12:13] neg_lo:[0,1] neg_hi:[0,1]
	s_delay_alu instid0(VALU_DEP_1) | instskip(NEXT) | instid1(VALU_DEP_1)
	v_pk_add_f32 v[28:29], v[30:31], v[28:29] neg_lo:[0,1] neg_hi:[0,1]
	v_add_f32_e32 v20, v28, v29
	s_delay_alu instid0(VALU_DEP_1) | instskip(NEXT) | instid1(VALU_DEP_1)
	v_add_f32_e32 v29, v13, v20
	v_dual_mul_f32 v32, v24, v29 :: v_dual_sub_f32 v33, v13, v29
	s_delay_alu instid0(VALU_DEP_1) | instskip(NEXT) | instid1(VALU_DEP_1)
	v_dual_mul_f32 v30, v22, v32 :: v_dual_add_f32 v20, v20, v33
	v_fma_f32 v12, v32, v22, -v30
	s_delay_alu instid0(VALU_DEP_1) | instskip(NEXT) | instid1(VALU_DEP_1)
	v_fmac_f32_e32 v12, v32, v16
	v_add_f32_e32 v28, v30, v12
	s_delay_alu instid0(VALU_DEP_1) | instskip(NEXT) | instid1(VALU_DEP_1)
	v_dual_sub_f32 v31, v29, v28 :: v_dual_mov_b32 v13, v28
	v_pk_add_f32 v[28:29], v[28:29], v[30:31] neg_lo:[0,1] neg_hi:[0,1]
	s_delay_alu instid0(VALU_DEP_1) | instskip(NEXT) | instid1(VALU_DEP_1)
	v_pk_add_f32 v[12:13], v[28:29], v[12:13] neg_lo:[0,1] neg_hi:[0,1]
	v_add_f32_e32 v13, v20, v13
	v_add_f32_e32 v20, v24, v32
	s_delay_alu instid0(VALU_DEP_2) | instskip(NEXT) | instid1(VALU_DEP_2)
	v_add_f32_e32 v12, v12, v13
	v_sub_f32_e32 v13, v20, v24
	s_delay_alu instid0(VALU_DEP_1) | instskip(NEXT) | instid1(VALU_DEP_1)
	v_dual_add_f32 v12, v31, v12 :: v_dual_sub_f32 v13, v32, v13
	v_mul_f32_e32 v12, v24, v12
	s_delay_alu instid0(VALU_DEP_1) | instskip(NEXT) | instid1(VALU_DEP_1)
	v_add_f32_e32 v12, v13, v12
	v_add_f32_e32 v13, v20, v12
	s_delay_alu instid0(VALU_DEP_1) | instskip(SKIP_1) | instid1(VALU_DEP_1)
	v_ldexp_f32 v24, v13, -2
	v_sub_f32_e32 v13, v13, v20
	v_dual_sub_f32 v28, v22, v24 :: v_dual_sub_f32 v12, v12, v13
	s_delay_alu instid0(VALU_DEP_1) | instskip(NEXT) | instid1(VALU_DEP_2)
	v_sub_f32_e32 v20, v22, v28
	v_ldexp_f32 v12, v12, -2
	s_delay_alu instid0(VALU_DEP_2) | instskip(SKIP_1) | instid1(VALU_DEP_2)
	v_sub_f32_e32 v13, v20, v24
	v_xor_b32_e32 v20, 0x80000000, v3
	v_dual_add_f32 v13, v16, v13 :: v_dual_mul_f32 v16, v10, v10
	s_delay_alu instid0(VALU_DEP_1) | instskip(NEXT) | instid1(VALU_DEP_2)
	v_sub_f32_e32 v12, v13, v12
	v_fmaak_f32 v13, s24, v16, 0xbf039337
	s_delay_alu instid0(VALU_DEP_1) | instskip(NEXT) | instid1(VALU_DEP_3)
	v_fmaak_f32 v13, v16, v13, 0x3f93f425
	v_add_f32_e32 v12, v28, v12
	s_delay_alu instid0(VALU_DEP_2) | instskip(NEXT) | instid1(VALU_DEP_1)
	v_rcp_f32_e32 v22, v13
	v_cndmask_b32_e32 v12, 0x7f800000, v12, vcc_lo
	s_delay_alu instid0(VALU_DEP_1) | instskip(NEXT) | instid1(VALU_DEP_1)
	v_cndmask_b32_e64 v12, v12, |v3|, s2
	v_bfi_b32 v13, 0x7fffffff, v12, v20
	v_fmaak_f32 v24, s23, v16, 0x3ec54587
	s_delay_alu instid0(VALU_DEP_2)
	v_fma_f32 v20, v13, v13, 1.0
	s_delay_alu instid0(TRANS32_DEP_1) | instid1(VALU_DEP_2)
	v_mul_f32_e32 v12, v24, v22
	s_delay_alu instid0(VALU_DEP_2) | instskip(NEXT) | instid1(VALU_DEP_2)
	v_cmp_gt_f32_e32 vcc_lo, 0xf800000, v20
	v_mul_f32_e32 v12, v16, v12
	v_mul_f32_e32 v16, 0x4f800000, v20
	s_delay_alu instid0(VALU_DEP_2) | instskip(NEXT) | instid1(VALU_DEP_1)
	v_fma_f32 v22, v12, v10, v10
	v_dual_cndmask_b32 v16, v20, v16, vcc_lo :: v_dual_sub_f32 v24, v22, v10
	s_delay_alu instid0(VALU_DEP_1) | instskip(NEXT) | instid1(VALU_DEP_1)
	v_sqrt_f32_e32 v28, v16
	v_fma_f32 v10, v12, v10, -v24
	v_rcp_f32_e32 v20, v22
	s_delay_alu instid0(TRANS32_DEP_2) | instskip(NEXT) | instid1(TRANS32_DEP_1)
	v_add_nc_u32_e32 v24, -1, v28
	v_fma_f32 v12, v22, -v20, 1.0
	s_delay_alu instid0(VALU_DEP_1) | instskip(NEXT) | instid1(VALU_DEP_3)
	v_fma_f32 v10, v10, -v20, v12
	v_dual_add_nc_u32 v12, 1, v28 :: v_dual_fma_f32 v29, -v24, v28, v16
	s_delay_alu instid0(VALU_DEP_2) | instskip(NEXT) | instid1(VALU_DEP_2)
	v_fma_f32 v10, v10, -v20, -v20
	v_fma_f32 v20, -v12, v28, v16
	s_delay_alu instid0(VALU_DEP_3) | instskip(NEXT) | instid1(VALU_DEP_1)
	v_cmp_ge_f32_e64 s2, 0, v29
	v_cndmask_b32_e64 v24, v28, v24, s2
	v_cmp_eq_u32_e64 s2, 0, v9
	s_delay_alu instid0(VALU_DEP_1) | instskip(SKIP_1) | instid1(VALU_DEP_2)
	v_cndmask_b32_e64 v9, v10, v22, s2
	v_cmp_lt_f32_e64 s2, 0, v20
	v_xor3_b32 v20, v11, v9, v2
	s_delay_alu instid0(VALU_DEP_2) | instskip(NEXT) | instid1(VALU_DEP_2)
	v_cndmask_b32_e64 v12, v24, v12, s2
	v_fma_f32 v10, v20, v20, 1.0
	s_delay_alu instid0(VALU_DEP_2) | instskip(NEXT) | instid1(VALU_DEP_1)
	v_mul_f32_e32 v9, 0x37800000, v12
	v_dual_mul_f32 v11, v13, v10 :: v_dual_cndmask_b32 v9, v12, v9, vcc_lo
	v_cmp_class_f32_e64 vcc_lo, v16, 0x260
	s_delay_alu instid0(VALU_DEP_2) | instskip(NEXT) | instid1(VALU_DEP_1)
	v_cndmask_b32_e32 v12, v9, v16, vcc_lo
	v_pk_mul_f32 v[10:11], v[12:13], v[10:11]
	s_delay_alu instid0(VALU_DEP_1) | instskip(NEXT) | instid1(VALU_DEP_1)
	v_dual_mul_f32 v9, v13, v10 :: v_dual_add_f32 v10, 1.0, v11
	v_div_scale_f32 v11, null, v10, v10, v9
	v_div_scale_f32 v12, null, v10, v10, v20
	v_div_scale_f32 v28, vcc_lo, v9, v10, v9
	s_delay_alu instid0(VALU_DEP_3) | instskip(NEXT) | instid1(VALU_DEP_2)
	v_rcp_f32_e32 v13, v11
	v_rcp_f32_e32 v16, v12
	s_delay_alu instid0(TRANS32_DEP_2) | instskip(NEXT) | instid1(TRANS32_DEP_1)
	v_fma_f32 v22, -v11, v13, 1.0
	v_fma_f32 v24, -v12, v16, 1.0
	s_delay_alu instid0(VALU_DEP_2) | instskip(SKIP_1) | instid1(VALU_DEP_3)
	v_fmac_f32_e32 v13, v22, v13
	v_div_scale_f32 v22, s2, v20, v10, v20
	v_fmac_f32_e32 v16, v24, v16
	s_delay_alu instid0(VALU_DEP_1) | instskip(NEXT) | instid1(VALU_DEP_1)
	v_dual_mul_f32 v24, v28, v13 :: v_dual_mul_f32 v29, v22, v16
	v_dual_fma_f32 v30, -v11, v24, v28 :: v_dual_fma_f32 v31, -v12, v29, v22
	s_delay_alu instid0(VALU_DEP_1) | instskip(NEXT) | instid1(VALU_DEP_1)
	v_dual_fmac_f32 v24, v30, v13 :: v_dual_fmac_f32 v29, v31, v16
	v_dual_fma_f32 v11, -v11, v24, v28 :: v_dual_fma_f32 v12, -v12, v29, v22
	s_delay_alu instid0(VALU_DEP_1) | instskip(SKIP_1) | instid1(VALU_DEP_2)
	v_div_fmas_f32 v11, v11, v13, v24
	s_mov_b32 vcc_lo, s2
	v_div_fmas_f32 v12, v12, v16, v29
	s_delay_alu instid0(VALU_DEP_2) | instskip(NEXT) | instid1(VALU_DEP_2)
	v_div_fixup_f32 v9, v11, v10, v9
                                        ; implicit-def: $vgpr11
	v_div_fixup_f32 v10, v12, v10, v20
.LBB94_91:                              ;   in Loop: Header=BB94_7 Depth=1
	s_and_not1_saveexec_b32 s31, s31
	s_cbranch_execz .LBB94_101
; %bb.92:                               ;   in Loop: Header=BB94_7 Depth=1
	v_lshrrev_b32_e32 v9, 23, v11
	v_cmp_ngt_f32_e64 s33, 0x48000000, |v2|
	v_and_or_b32 v16, v11, s22, 0x800000
                                        ; implicit-def: $vgpr12
	s_delay_alu instid0(VALU_DEP_3) | instskip(SKIP_1) | instid1(SALU_CYCLE_1)
	v_add_nc_u32_e32 v10, 0xffffff88, v9
                                        ; implicit-def: $vgpr9
	s_and_saveexec_b32 s2, s33
	s_xor_b32 s34, exec_lo, s2
	s_cbranch_execz .LBB94_94
; %bb.93:                               ;   in Loop: Header=BB94_7 Depth=1
	v_mul_u64_e32 v[12:13], s[12:13], v[16:17]
	v_mov_b32_e32 v29, v17
	v_cmp_lt_u32_e32 vcc_lo, 63, v10
	v_cndmask_b32_e64 v9, 0, 0xffffffc0, vcc_lo
	s_delay_alu instid0(VALU_DEP_4) | instskip(NEXT) | instid1(VALU_DEP_1)
	v_mov_b32_e32 v28, v13
	v_mad_nc_u64_u32 v[28:29], 0x3c439041, v16, v[28:29]
	s_delay_alu instid0(VALU_DEP_1) | instskip(NEXT) | instid1(VALU_DEP_1)
	v_dual_mov_b32 v31, v17 :: v_dual_mov_b32 v30, v29
	v_mad_nc_u64_u32 v[30:31], 0xdb629599, v16, v[30:31]
	s_delay_alu instid0(VALU_DEP_1) | instskip(NEXT) | instid1(VALU_DEP_2)
	v_dual_mov_b32 v33, v17 :: v_dual_mov_b32 v32, v31
	v_cndmask_b32_e32 v12, v30, v12, vcc_lo
	s_delay_alu instid0(VALU_DEP_2) | instskip(NEXT) | instid1(VALU_DEP_1)
	v_mad_nc_u64_u32 v[32:33], 0xf534ddc0, v16, v[32:33]
	v_dual_mov_b32 v35, v17 :: v_dual_mov_b32 v34, v33
	s_delay_alu instid0(VALU_DEP_1) | instskip(NEXT) | instid1(VALU_DEP_1)
	v_mad_nc_u64_u32 v[34:35], 0xfc2757d1, v16, v[34:35]
	v_dual_mov_b32 v37, v17 :: v_dual_mov_b32 v36, v35
	s_delay_alu instid0(VALU_DEP_2) | instskip(NEXT) | instid1(VALU_DEP_2)
	v_cndmask_b32_e32 v29, v34, v30, vcc_lo
	v_mad_nc_u64_u32 v[36:37], 0x4e441529, v16, v[36:37]
	v_add_nc_u32_e32 v9, v9, v10
	s_delay_alu instid0(VALU_DEP_2) | instskip(NEXT) | instid1(VALU_DEP_3)
	v_dual_mov_b32 v39, v17 :: v_dual_mov_b32 v38, v37
	v_cndmask_b32_e32 v20, v36, v32, vcc_lo
	s_delay_alu instid0(VALU_DEP_3) | instskip(NEXT) | instid1(VALU_DEP_3)
	v_cmp_lt_u32_e64 s2, 31, v9
	v_mad_nc_u64_u32 v[38:39], 0xa2f9836e, v16, v[38:39]
	s_delay_alu instid0(VALU_DEP_2) | instskip(NEXT) | instid1(VALU_DEP_1)
	v_cndmask_b32_e64 v13, 0, 0xffffffe0, s2
	v_dual_cndmask_b32 v22, v38, v34 :: v_dual_add_nc_u32 v9, v13, v9
	s_delay_alu instid0(VALU_DEP_1) | instskip(NEXT) | instid1(VALU_DEP_4)
	v_cmp_lt_u32_e64 s3, 31, v9
	v_cndmask_b32_e32 v24, v39, v36, vcc_lo
	s_delay_alu instid0(VALU_DEP_2) | instskip(NEXT) | instid1(VALU_DEP_1)
	v_cndmask_b32_e64 v13, 0, 0xffffffe0, s3
	v_dual_add_nc_u32 v9, v13, v9 :: v_dual_cndmask_b32 v13, v32, v28, vcc_lo
	s_delay_alu instid0(VALU_DEP_3) | instskip(SKIP_1) | instid1(VALU_DEP_3)
	v_dual_cndmask_b32 v28, v22, v20, s2 :: v_dual_cndmask_b32 v22, v24, v22, s2
	v_cndmask_b32_e64 v20, v20, v29, s2
	v_sub_nc_u32_e32 v24, 32, v9
	s_delay_alu instid0(VALU_DEP_4) | instskip(SKIP_3) | instid1(VALU_DEP_1)
	v_cndmask_b32_e64 v29, v29, v13, s2
	v_cmp_eq_u32_e32 vcc_lo, 0, v9
	v_cndmask_b32_e64 v22, v22, v28, s3
	v_cndmask_b32_e64 v28, v28, v20, s3
	v_alignbit_b32 v31, v22, v28, v24
	s_delay_alu instid0(VALU_DEP_1) | instskip(NEXT) | instid1(VALU_DEP_1)
	v_dual_cndmask_b32 v20, v20, v29, s3 :: v_dual_cndmask_b32 v9, v31, v22, vcc_lo
	v_alignbit_b32 v30, v28, v20, v24
	s_delay_alu instid0(VALU_DEP_2) | instskip(SKIP_1) | instid1(VALU_DEP_1)
	v_bfe_u32 v22, v9, 29, 1
	v_cndmask_b32_e64 v12, v13, v12, s2
	v_dual_cndmask_b32 v12, v29, v12, s3 :: v_dual_sub_nc_u32 v29, 0, v22
	s_delay_alu instid0(VALU_DEP_4) | instskip(NEXT) | instid1(VALU_DEP_2)
	v_cndmask_b32_e32 v13, v30, v28, vcc_lo
	v_alignbit_b32 v24, v20, v12, v24
	s_delay_alu instid0(VALU_DEP_2) | instskip(NEXT) | instid1(VALU_DEP_2)
	v_alignbit_b32 v28, v9, v13, 30
	v_cndmask_b32_e32 v20, v24, v20, vcc_lo
	s_delay_alu instid0(VALU_DEP_2) | instskip(NEXT) | instid1(VALU_DEP_2)
	v_xor_b32_e32 v28, v28, v29
	v_alignbit_b32 v13, v13, v20, 30
	s_delay_alu instid0(VALU_DEP_2) | instskip(NEXT) | instid1(VALU_DEP_2)
	v_clz_i32_u32_e32 v24, v28
	v_xor_b32_e32 v13, v13, v29
	v_alignbit_b32 v12, v20, v12, 30
	s_delay_alu instid0(VALU_DEP_3) | instskip(NEXT) | instid1(VALU_DEP_1)
	v_min_u32_e32 v24, 32, v24
	v_dual_sub_nc_u32 v20, 31, v24 :: v_dual_bitop2_b32 v12, v12, v29 bitop3:0x14
	v_dual_lshrrev_b32 v29, 29, v9 :: v_dual_lshlrev_b32 v30, 23, v24
	s_delay_alu instid0(VALU_DEP_2) | instskip(NEXT) | instid1(VALU_DEP_3)
	v_alignbit_b32 v28, v28, v13, v20
	v_alignbit_b32 v12, v13, v12, v20
	s_delay_alu instid0(VALU_DEP_3) | instskip(NEXT) | instid1(VALU_DEP_2)
	v_lshlrev_b32_e32 v13, 31, v29
	v_alignbit_b32 v20, v28, v12, 9
	s_delay_alu instid0(VALU_DEP_2) | instskip(SKIP_1) | instid1(VALU_DEP_3)
	v_dual_lshrrev_b32 v28, 9, v28 :: v_dual_bitop2_b32 v29, 0.5, v13 bitop3:0x54
	v_or_b32_e32 v13, 0x33000000, v13
	v_clz_i32_u32_e32 v31, v20
	s_delay_alu instid0(VALU_DEP_3) | instskip(NEXT) | instid1(VALU_DEP_2)
	v_sub_nc_u32_e32 v29, v29, v30
	v_min_u32_e32 v30, 32, v31
	s_delay_alu instid0(VALU_DEP_1) | instskip(NEXT) | instid1(VALU_DEP_3)
	v_add_lshl_u32 v24, v30, v24, 23
	v_or_b32_e32 v28, v28, v29
	v_not_b32_e32 v29, v30
	s_delay_alu instid0(VALU_DEP_3) | instskip(NEXT) | instid1(VALU_DEP_3)
	v_sub_nc_u32_e32 v13, v13, v24
	v_mul_f32_e32 v31, 0x3fc90fda, v28
	s_delay_alu instid0(VALU_DEP_3) | instskip(NEXT) | instid1(VALU_DEP_2)
	v_alignbit_b32 v12, v20, v12, v29
	v_fma_f32 v20, 0x3fc90fda, v28, -v31
	s_delay_alu instid0(VALU_DEP_2) | instskip(NEXT) | instid1(VALU_DEP_2)
	v_lshrrev_b32_e32 v12, 9, v12
	v_fmac_f32_e32 v20, 0x33a22168, v28
	s_delay_alu instid0(VALU_DEP_2) | instskip(NEXT) | instid1(VALU_DEP_1)
	v_or_b32_e32 v12, v13, v12
	v_fmac_f32_e32 v20, 0x3fc90fda, v12
	s_delay_alu instid0(VALU_DEP_1) | instskip(NEXT) | instid1(VALU_DEP_1)
	v_dual_add_f32 v9, v31, v20 :: v_dual_lshrrev_b32 v12, 30, v9
	v_add_nc_u32_e32 v12, v22, v12
	s_and_not1_saveexec_b32 s2, s34
	s_branch .LBB94_95
.LBB94_94:                              ;   in Loop: Header=BB94_7 Depth=1
	s_and_not1_saveexec_b32 s2, s34
.LBB94_95:                              ;   in Loop: Header=BB94_7 Depth=1
	v_mul_f32_e64 v9, 0x3f22f983, |v2|
	s_delay_alu instid0(VALU_DEP_1) | instskip(NEXT) | instid1(VALU_DEP_1)
	v_rndne_f32_e32 v12, v9
	v_fma_f32 v9, 0xbfc90fda, v12, |v2|
	s_delay_alu instid0(VALU_DEP_1) | instskip(NEXT) | instid1(VALU_DEP_1)
	v_fmac_f32_e32 v9, 0xb3a22168, v12
	v_fmac_f32_e32 v9, 0xa7c234c4, v12
	v_cvt_i32_f32_e32 v12, v12
; %bb.96:                               ;   in Loop: Header=BB94_7 Depth=1
	s_or_b32 exec_lo, exec_lo, s2
                                        ; implicit-def: $vgpr20
                                        ; implicit-def: $vgpr13
	s_and_saveexec_b32 s2, s33
	s_delay_alu instid0(SALU_CYCLE_1)
	s_xor_b32 s33, exec_lo, s2
	s_cbranch_execz .LBB94_98
; %bb.97:                               ;   in Loop: Header=BB94_7 Depth=1
	v_mul_u64_e32 v[28:29], s[12:13], v[16:17]
	v_mov_b32_e32 v31, v17
	v_cmp_lt_u32_e32 vcc_lo, 63, v10
	v_cndmask_b32_e64 v13, 0, 0xffffffc0, vcc_lo
	s_delay_alu instid0(VALU_DEP_4) | instskip(NEXT) | instid1(VALU_DEP_1)
	v_mov_b32_e32 v30, v29
	v_mad_nc_u64_u32 v[30:31], 0x3c439041, v16, v[30:31]
	s_delay_alu instid0(VALU_DEP_1) | instskip(NEXT) | instid1(VALU_DEP_1)
	v_dual_mov_b32 v33, v17 :: v_dual_mov_b32 v32, v31
	v_mad_nc_u64_u32 v[32:33], 0xdb629599, v16, v[32:33]
	s_delay_alu instid0(VALU_DEP_1) | instskip(NEXT) | instid1(VALU_DEP_2)
	v_dual_mov_b32 v35, v17 :: v_dual_mov_b32 v34, v33
	v_cndmask_b32_e32 v28, v32, v28, vcc_lo
	s_delay_alu instid0(VALU_DEP_2) | instskip(NEXT) | instid1(VALU_DEP_1)
	v_mad_nc_u64_u32 v[34:35], 0xf534ddc0, v16, v[34:35]
	v_dual_mov_b32 v37, v17 :: v_dual_mov_b32 v36, v35
	s_delay_alu instid0(VALU_DEP_1) | instskip(NEXT) | instid1(VALU_DEP_1)
	v_mad_nc_u64_u32 v[36:37], 0xfc2757d1, v16, v[36:37]
	v_dual_mov_b32 v39, v17 :: v_dual_mov_b32 v38, v37
	s_delay_alu instid0(VALU_DEP_2) | instskip(NEXT) | instid1(VALU_DEP_2)
	v_cndmask_b32_e32 v24, v36, v32, vcc_lo
	v_mad_nc_u64_u32 v[38:39], 0x4e441529, v16, v[38:39]
	v_add_nc_u32_e32 v10, v13, v10
	s_delay_alu instid0(VALU_DEP_2) | instskip(NEXT) | instid1(VALU_DEP_2)
	v_dual_mov_b32 v41, v17 :: v_dual_mov_b32 v40, v39
	v_cmp_lt_u32_e64 s2, 31, v10
	s_delay_alu instid0(VALU_DEP_2) | instskip(NEXT) | instid1(VALU_DEP_2)
	v_mad_nc_u64_u32 v[40:41], 0xa2f9836e, v16, v[40:41]
	v_cndmask_b32_e64 v13, 0, 0xffffffe0, s2
	v_cndmask_b32_e32 v16, v38, v34, vcc_lo
	s_delay_alu instid0(VALU_DEP_2) | instskip(NEXT) | instid1(VALU_DEP_1)
	v_dual_add_nc_u32 v10, v13, v10 :: v_dual_cndmask_b32 v20, v40, v36, vcc_lo
	v_cmp_lt_u32_e64 s3, 31, v10
	s_delay_alu instid0(VALU_DEP_2) | instskip(NEXT) | instid1(VALU_DEP_2)
	v_dual_cndmask_b32 v22, v41, v38, vcc_lo :: v_dual_cndmask_b32 v29, v20, v16, s2
	v_cndmask_b32_e64 v13, 0, 0xffffffe0, s3
	s_delay_alu instid0(VALU_DEP_1) | instskip(SKIP_1) | instid1(VALU_DEP_2)
	v_dual_cndmask_b32 v16, v16, v24, s2 :: v_dual_add_nc_u32 v10, v13, v10
	v_cndmask_b32_e32 v13, v34, v30, vcc_lo
	v_dual_cndmask_b32 v20, v22, v20, s2 :: v_dual_sub_nc_u32 v22, 32, v10
	s_delay_alu instid0(VALU_DEP_2) | instskip(NEXT) | instid1(VALU_DEP_2)
	v_cndmask_b32_e64 v24, v24, v13, s2
	v_dual_cndmask_b32 v20, v20, v29, s3 :: v_dual_cndmask_b32 v13, v13, v28, s2
	v_cndmask_b32_e64 v29, v29, v16, s3
	v_cmp_eq_u32_e32 vcc_lo, 0, v10
	s_delay_alu instid0(VALU_DEP_4) | instskip(NEXT) | instid1(VALU_DEP_4)
	v_cndmask_b32_e64 v16, v16, v24, s3
	v_cndmask_b32_e64 v13, v24, v13, s3
	s_delay_alu instid0(VALU_DEP_4) | instskip(NEXT) | instid1(VALU_DEP_3)
	v_alignbit_b32 v30, v20, v29, v22
	v_alignbit_b32 v31, v29, v16, v22
	s_delay_alu instid0(VALU_DEP_1) | instskip(NEXT) | instid1(VALU_DEP_4)
	v_dual_cndmask_b32 v10, v30, v20, vcc_lo :: v_dual_cndmask_b32 v20, v31, v29, vcc_lo
	v_alignbit_b32 v22, v16, v13, v22
	s_delay_alu instid0(VALU_DEP_2) | instskip(NEXT) | instid1(VALU_DEP_3)
	v_bfe_u32 v28, v10, 29, 1
	v_alignbit_b32 v24, v10, v20, 30
	s_delay_alu instid0(VALU_DEP_3) | instskip(NEXT) | instid1(VALU_DEP_3)
	v_cndmask_b32_e32 v16, v22, v16, vcc_lo
	v_sub_nc_u32_e32 v29, 0, v28
	s_delay_alu instid0(VALU_DEP_2) | instskip(SKIP_1) | instid1(VALU_DEP_3)
	v_alignbit_b32 v20, v20, v16, 30
	v_alignbit_b32 v13, v16, v13, 30
	v_xor_b32_e32 v24, v24, v29
	s_delay_alu instid0(VALU_DEP_1) | instskip(NEXT) | instid1(VALU_DEP_1)
	v_clz_i32_u32_e32 v22, v24
	v_min_u32_e32 v22, 32, v22
	s_delay_alu instid0(VALU_DEP_1) | instskip(SKIP_2) | instid1(VALU_DEP_2)
	v_dual_lshlrev_b32 v30, 23, v22 :: v_dual_bitop2_b32 v16, v20, v29 bitop3:0x14
	v_dual_sub_nc_u32 v20, 31, v22 :: v_dual_bitop2_b32 v13, v13, v29 bitop3:0x14
	v_dual_lshrrev_b32 v29, 29, v10 :: v_dual_lshrrev_b32 v10, 30, v10
	v_alignbit_b32 v24, v24, v16, v20
	s_delay_alu instid0(VALU_DEP_3) | instskip(NEXT) | instid1(VALU_DEP_3)
	v_alignbit_b32 v13, v16, v13, v20
	v_lshlrev_b32_e32 v16, 31, v29
	s_delay_alu instid0(VALU_DEP_2) | instskip(NEXT) | instid1(VALU_DEP_2)
	v_alignbit_b32 v20, v24, v13, 9
	v_or_b32_e32 v29, 0.5, v16
	v_lshrrev_b32_e32 v24, 9, v24
	v_or_b32_e32 v16, 0x33000000, v16
	s_delay_alu instid0(VALU_DEP_4) | instskip(NEXT) | instid1(VALU_DEP_4)
	v_clz_i32_u32_e32 v31, v20
	v_sub_nc_u32_e32 v29, v29, v30
	s_delay_alu instid0(VALU_DEP_2) | instskip(NEXT) | instid1(VALU_DEP_2)
	v_min_u32_e32 v30, 32, v31
	v_or_b32_e32 v24, v24, v29
	s_delay_alu instid0(VALU_DEP_2) | instskip(SKIP_1) | instid1(VALU_DEP_2)
	v_not_b32_e32 v29, v30
	v_add_lshl_u32 v22, v30, v22, 23
	v_alignbit_b32 v13, v20, v13, v29
	s_delay_alu instid0(VALU_DEP_1) | instskip(NEXT) | instid1(VALU_DEP_1)
	v_dual_sub_nc_u32 v16, v16, v22 :: v_dual_lshrrev_b32 v13, 9, v13
	v_or_b32_e32 v13, v16, v13
	v_mul_f32_e32 v31, 0x3fc90fda, v24
	s_delay_alu instid0(VALU_DEP_1) | instskip(NEXT) | instid1(VALU_DEP_1)
	v_fma_f32 v20, 0x3fc90fda, v24, -v31
	v_fmac_f32_e32 v20, 0x33a22168, v24
	s_delay_alu instid0(VALU_DEP_1) | instskip(NEXT) | instid1(VALU_DEP_1)
	v_fmac_f32_e32 v20, 0x3fc90fda, v13
	v_dual_add_f32 v13, v31, v20 :: v_dual_add_nc_u32 v20, v28, v10
	s_and_not1_saveexec_b32 s2, s33
	s_cbranch_execnz .LBB94_99
	s_branch .LBB94_100
.LBB94_98:                              ;   in Loop: Header=BB94_7 Depth=1
	s_and_not1_saveexec_b32 s2, s33
.LBB94_99:                              ;   in Loop: Header=BB94_7 Depth=1
	v_mul_f32_e64 v10, 0x3f22f983, |v2|
	s_delay_alu instid0(VALU_DEP_1) | instskip(NEXT) | instid1(VALU_DEP_1)
	v_rndne_f32_e32 v10, v10
	v_fma_f32 v13, 0xbfc90fda, v10, |v2|
	v_cvt_i32_f32_e32 v20, v10
	s_delay_alu instid0(VALU_DEP_2) | instskip(NEXT) | instid1(VALU_DEP_1)
	v_fmac_f32_e32 v13, 0xb3a22168, v10
	v_fmac_f32_e32 v13, 0xa7c234c4, v10
.LBB94_100:                             ;   in Loop: Header=BB94_7 Depth=1
	s_or_b32 exec_lo, exec_lo, s2
	v_dual_mul_f32 v10, v9, v9 :: v_dual_bitop2_b32 v16, 1, v12 bitop3:0x40
	s_delay_alu instid0(VALU_DEP_2) | instskip(SKIP_1) | instid1(VALU_DEP_3)
	v_dual_mul_f32 v29, v13, v13 :: v_dual_lshlrev_b32 v12, 30, v12
	v_mul_f32_e64 v22, 0xbfb8aa3b, |v3|
	v_fmaak_f32 v24, s26, v10, 0x3c0881c4
	s_delay_alu instid0(VALU_DEP_4) | instskip(NEXT) | instid1(VALU_DEP_4)
	v_cmp_eq_u32_e32 vcc_lo, 0, v16
	v_bitop3_b32 v11, v11, v12, 0x80000000 bitop3:0x78
	v_fmaak_f32 v31, s26, v29, 0x3c0881c4
	v_rndne_f32_e32 v12, v22
	v_fmaak_f32 v24, v10, v24, 0xbe2aaa9d
	v_fma_f32 v30, 0xbfb8aa3b, |v3|, -v22
	s_delay_alu instid0(VALU_DEP_2) | instskip(SKIP_1) | instid1(VALU_DEP_3)
	v_dual_fmaak_f32 v31, v29, v31, 0xbe2aaa9d :: v_dual_mul_f32 v24, v10, v24
	v_fmaak_f32 v28, s27, v10, 0xbab64f3b
	v_fma_f32 v30, 0xb2a5705f, |v3|, v30
	s_delay_alu instid0(VALU_DEP_3) | instskip(NEXT) | instid1(VALU_DEP_3)
	v_fmac_f32_e32 v9, v9, v24
	v_fmaak_f32 v28, v10, v28, 0x3d2aabf7
	s_delay_alu instid0(VALU_DEP_1) | instskip(NEXT) | instid1(VALU_DEP_1)
	v_fmaak_f32 v28, v10, v28, 0xbf000004
	v_fma_f32 v10, v10, v28, 1.0
	v_mul_f32_e32 v28, v29, v31
	v_fmaak_f32 v32, s27, v29, 0xbab64f3b
	s_delay_alu instid0(VALU_DEP_2) | instskip(NEXT) | instid1(VALU_DEP_2)
	v_dual_cndmask_b32 v9, v10, v9, vcc_lo :: v_dual_fmac_f32 v13, v13, v28
	v_fmaak_f32 v24, v29, v32, 0x3d2aabf7
	s_delay_alu instid0(VALU_DEP_2) | instskip(NEXT) | instid1(VALU_DEP_1)
	v_xor3_b32 v9, v11, v9, v2
	v_dual_fmaak_f32 v10, v29, v24, 0xbf000004 :: v_dual_mul_f32 v9, 4.0, v9
	s_delay_alu instid0(VALU_DEP_1) | instskip(SKIP_2) | instid1(VALU_DEP_2)
	v_fma_f32 v10, v29, v10, 1.0
	v_sub_f32_e32 v22, v22, v12
	v_cvt_i32_f32_e32 v12, v12
	v_add_f32_e32 v22, v22, v30
	s_delay_alu instid0(VALU_DEP_1) | instskip(SKIP_2) | instid1(VALU_DEP_1)
	v_exp_f32_e32 v16, v22
	v_nop
	v_and_b32_e32 v22, 1, v20
	v_cmp_eq_u32_e32 vcc_lo, 0, v22
	s_delay_alu instid0(TRANS32_DEP_1) | instskip(SKIP_2) | instid1(VALU_DEP_2)
	v_ldexp_f32 v11, v16, v12
	v_dual_lshlrev_b32 v12, 30, v20 :: v_dual_cndmask_b32 v10, -v13, v10, vcc_lo
	v_cmp_nlt_f32_e64 vcc_lo, 0x42ce8ed0, |v3|
	v_bitop3_b32 v10, v12, v10, 0x80000000 bitop3:0x6c
	s_delay_alu instid0(VALU_DEP_4) | instskip(SKIP_1) | instid1(VALU_DEP_3)
	v_cndmask_b32_e32 v11, 0, v11, vcc_lo
	v_cmp_ngt_f32_e64 vcc_lo, 0xc2b17218, |v3|
	v_mul_f32_e32 v9, v9, v10
	v_xor_b32_e32 v10, 0x80000000, v3
	s_delay_alu instid0(VALU_DEP_4) | instskip(NEXT) | instid1(VALU_DEP_1)
	v_cndmask_b32_e32 v11, 0x7f800000, v11, vcc_lo
	v_mul_f32_e32 v12, v11, v9
	s_delay_alu instid0(VALU_DEP_3) | instskip(NEXT) | instid1(VALU_DEP_2)
	v_bfi_b32 v9, 0x7fffffff, 1.0, v10
	v_mul_f32_e32 v10, v11, v12
.LBB94_101:                             ;   in Loop: Header=BB94_7 Depth=1
	s_or_b32 exec_lo, exec_lo, s31
.LBB94_102:                             ;   in Loop: Header=BB94_7 Depth=1
	s_and_not1_saveexec_b32 s2, s30
; %bb.103:                              ;   in Loop: Header=BB94_7 Depth=1
	v_sub_f32_e32 v10, v2, v2
	s_delay_alu instid0(VALU_DEP_1)
	v_mov_b32_e32 v9, v10
; %bb.104:                              ;   in Loop: Header=BB94_7 Depth=1
	s_or_b32 exec_lo, exec_lo, s2
.LBB94_105:                             ;   in Loop: Header=BB94_7 Depth=1
	s_and_not1_saveexec_b32 s29, s29
	s_cbranch_execz .LBB94_121
; %bb.106:                              ;   in Loop: Header=BB94_7 Depth=1
	v_xor_b32_e32 v9, 0x80000000, v3
	s_delay_alu instid0(VALU_DEP_1) | instskip(NEXT) | instid1(VALU_DEP_1)
	v_and_b32_e32 v10, 0x7fffff, v9
	v_cmp_ne_u32_e32 vcc_lo, 0, v10
                                        ; implicit-def: $vgpr10
	s_and_saveexec_b32 s2, vcc_lo
	s_delay_alu instid0(SALU_CYCLE_1)
	s_xor_b32 s2, exec_lo, s2
; %bb.107:                              ;   in Loop: Header=BB94_7 Depth=1
	v_mul_f32_e64 v3, v2, -v3
	v_cmp_eq_f32_e32 vcc_lo, 0, v2
	s_delay_alu instid0(VALU_DEP_2)
	v_cndmask_b32_e32 v10, v3, v2, vcc_lo
; %bb.108:                              ;   in Loop: Header=BB94_7 Depth=1
	s_and_not1_saveexec_b32 s30, s2
	s_cbranch_execz .LBB94_120
; %bb.109:                              ;   in Loop: Header=BB94_7 Depth=1
	s_mov_b32 s31, exec_lo
	v_cmpx_neq_f32_e64 0x7f800000, |v2|
	s_cbranch_execz .LBB94_119
; %bb.110:                              ;   in Loop: Header=BB94_7 Depth=1
	v_and_b32_e32 v3, 0x7fffffff, v2
	v_cmp_ngt_f32_e64 s33, 0x48000000, |v2|
                                        ; implicit-def: $vgpr11
	s_delay_alu instid0(VALU_DEP_2) | instskip(SKIP_1) | instid1(VALU_DEP_2)
	v_lshrrev_b32_e32 v10, 23, v3
	v_and_or_b32 v16, v3, s22, 0x800000
	v_add_nc_u32_e32 v12, 0xffffff88, v10
                                        ; implicit-def: $vgpr10
	s_and_saveexec_b32 s2, s33
	s_delay_alu instid0(SALU_CYCLE_1)
	s_xor_b32 s34, exec_lo, s2
	s_cbranch_execz .LBB94_112
; %bb.111:                              ;   in Loop: Header=BB94_7 Depth=1
	v_mul_u64_e32 v[10:11], s[12:13], v[16:17]
	v_mov_b32_e32 v29, v17
	v_cmp_lt_u32_e32 vcc_lo, 63, v12
	s_delay_alu instid0(VALU_DEP_3) | instskip(SKIP_1) | instid1(VALU_DEP_2)
	v_dual_mov_b32 v39, v17 :: v_dual_mov_b32 v28, v11
	v_cndmask_b32_e64 v11, 0, 0xffffffc0, vcc_lo
	v_mad_nc_u64_u32 v[28:29], 0x3c439041, v16, v[28:29]
	s_delay_alu instid0(VALU_DEP_2) | instskip(NEXT) | instid1(VALU_DEP_1)
	v_dual_mov_b32 v31, v17 :: v_dual_add_nc_u32 v11, v11, v12
	v_cmp_lt_u32_e64 s2, 31, v11
	s_delay_alu instid0(VALU_DEP_3) | instskip(NEXT) | instid1(VALU_DEP_2)
	v_mov_b32_e32 v30, v29
	v_cndmask_b32_e64 v13, 0, 0xffffffe0, s2
	s_delay_alu instid0(VALU_DEP_2) | instskip(NEXT) | instid1(VALU_DEP_1)
	v_mad_nc_u64_u32 v[30:31], 0xdb629599, v16, v[30:31]
	v_dual_mov_b32 v33, v17 :: v_dual_mov_b32 v32, v31
	s_delay_alu instid0(VALU_DEP_2) | instskip(NEXT) | instid1(VALU_DEP_2)
	v_cndmask_b32_e32 v10, v30, v10, vcc_lo
	v_mad_nc_u64_u32 v[32:33], 0xf534ddc0, v16, v[32:33]
	s_delay_alu instid0(VALU_DEP_1) | instskip(NEXT) | instid1(VALU_DEP_1)
	v_dual_mov_b32 v35, v17 :: v_dual_mov_b32 v34, v33
	v_mad_nc_u64_u32 v[34:35], 0xfc2757d1, v16, v[34:35]
	s_delay_alu instid0(VALU_DEP_1) | instskip(NEXT) | instid1(VALU_DEP_2)
	v_dual_mov_b32 v37, v17 :: v_dual_mov_b32 v36, v35
	v_cndmask_b32_e32 v29, v34, v30, vcc_lo
	s_delay_alu instid0(VALU_DEP_2) | instskip(NEXT) | instid1(VALU_DEP_1)
	v_mad_nc_u64_u32 v[36:37], 0x4e441529, v16, v[36:37]
	v_dual_mov_b32 v38, v37 :: v_dual_cndmask_b32 v20, v36, v32, vcc_lo
	s_delay_alu instid0(VALU_DEP_1) | instskip(NEXT) | instid1(VALU_DEP_1)
	v_mad_nc_u64_u32 v[38:39], 0xa2f9836e, v16, v[38:39]
	v_dual_cndmask_b32 v22, v38, v34 :: v_dual_add_nc_u32 v11, v13, v11
	s_delay_alu instid0(VALU_DEP_1) | instskip(NEXT) | instid1(VALU_DEP_3)
	v_cmp_lt_u32_e64 s3, 31, v11
	v_cndmask_b32_e32 v24, v39, v36, vcc_lo
	s_delay_alu instid0(VALU_DEP_2) | instskip(NEXT) | instid1(VALU_DEP_1)
	v_cndmask_b32_e64 v13, 0, 0xffffffe0, s3
	v_dual_add_nc_u32 v11, v13, v11 :: v_dual_cndmask_b32 v13, v32, v28, vcc_lo
	s_delay_alu instid0(VALU_DEP_3) | instskip(NEXT) | instid1(VALU_DEP_2)
	v_dual_cndmask_b32 v28, v22, v20, s2 :: v_dual_cndmask_b32 v22, v24, v22, s2
	v_dual_cndmask_b32 v20, v20, v29, s2 :: v_dual_sub_nc_u32 v24, 32, v11
	s_delay_alu instid0(VALU_DEP_3) | instskip(SKIP_1) | instid1(VALU_DEP_4)
	v_cndmask_b32_e64 v29, v29, v13, s2
	v_cmp_eq_u32_e32 vcc_lo, 0, v11
	v_cndmask_b32_e64 v22, v22, v28, s3
	s_delay_alu instid0(VALU_DEP_4) | instskip(NEXT) | instid1(VALU_DEP_1)
	v_cndmask_b32_e64 v28, v28, v20, s3
	v_alignbit_b32 v31, v22, v28, v24
	s_delay_alu instid0(VALU_DEP_1) | instskip(NEXT) | instid1(VALU_DEP_1)
	v_dual_cndmask_b32 v20, v20, v29, s3 :: v_dual_cndmask_b32 v11, v31, v22, vcc_lo
	v_alignbit_b32 v30, v28, v20, v24
	v_cndmask_b32_e64 v10, v13, v10, s2
	s_delay_alu instid0(VALU_DEP_3) | instskip(NEXT) | instid1(VALU_DEP_3)
	v_bfe_u32 v22, v11, 29, 1
	v_cndmask_b32_e32 v13, v30, v28, vcc_lo
	s_delay_alu instid0(VALU_DEP_1) | instskip(NEXT) | instid1(VALU_DEP_4)
	v_alignbit_b32 v28, v11, v13, 30
	v_cndmask_b32_e64 v10, v29, v10, s3
	s_delay_alu instid0(VALU_DEP_4) | instskip(NEXT) | instid1(VALU_DEP_1)
	v_sub_nc_u32_e32 v29, 0, v22
	v_xor_b32_e32 v28, v28, v29
	s_delay_alu instid0(VALU_DEP_3) | instskip(NEXT) | instid1(VALU_DEP_1)
	v_alignbit_b32 v24, v20, v10, v24
	v_cndmask_b32_e32 v20, v24, v20, vcc_lo
	s_delay_alu instid0(VALU_DEP_3) | instskip(NEXT) | instid1(VALU_DEP_2)
	v_clz_i32_u32_e32 v24, v28
	v_alignbit_b32 v13, v13, v20, 30
	s_delay_alu instid0(VALU_DEP_2) | instskip(SKIP_1) | instid1(VALU_DEP_2)
	v_min_u32_e32 v24, 32, v24
	v_alignbit_b32 v10, v20, v10, 30
	v_dual_sub_nc_u32 v20, 31, v24 :: v_dual_bitop2_b32 v13, v13, v29 bitop3:0x14
	s_delay_alu instid0(VALU_DEP_2) | instskip(SKIP_1) | instid1(VALU_DEP_3)
	v_dual_lshrrev_b32 v29, 29, v11 :: v_dual_bitop2_b32 v10, v10, v29 bitop3:0x14
	v_dual_lshlrev_b32 v30, 23, v24 :: v_dual_lshrrev_b32 v11, 30, v11
	v_alignbit_b32 v28, v28, v13, v20
	s_delay_alu instid0(VALU_DEP_3) | instskip(NEXT) | instid1(VALU_DEP_3)
	v_alignbit_b32 v10, v13, v10, v20
	v_dual_lshlrev_b32 v13, 31, v29 :: v_dual_add_nc_u32 v11, v22, v11
	s_delay_alu instid0(VALU_DEP_2) | instskip(NEXT) | instid1(VALU_DEP_2)
	v_alignbit_b32 v20, v28, v10, 9
	v_dual_lshrrev_b32 v28, 9, v28 :: v_dual_bitop2_b32 v29, 0.5, v13 bitop3:0x54
	v_or_b32_e32 v13, 0x33000000, v13
	s_delay_alu instid0(VALU_DEP_3) | instskip(NEXT) | instid1(VALU_DEP_3)
	v_clz_i32_u32_e32 v31, v20
	v_sub_nc_u32_e32 v29, v29, v30
	s_delay_alu instid0(VALU_DEP_2) | instskip(NEXT) | instid1(VALU_DEP_1)
	v_min_u32_e32 v30, 32, v31
	v_add_lshl_u32 v24, v30, v24, 23
	s_delay_alu instid0(VALU_DEP_3) | instskip(SKIP_1) | instid1(VALU_DEP_3)
	v_or_b32_e32 v28, v28, v29
	v_not_b32_e32 v29, v30
	v_sub_nc_u32_e32 v13, v13, v24
	s_delay_alu instid0(VALU_DEP_2) | instskip(NEXT) | instid1(VALU_DEP_1)
	v_alignbit_b32 v10, v20, v10, v29
	v_dual_mul_f32 v31, 0x3fc90fda, v28 :: v_dual_lshrrev_b32 v10, 9, v10
	s_delay_alu instid0(VALU_DEP_1) | instskip(NEXT) | instid1(VALU_DEP_2)
	v_fma_f32 v20, 0x3fc90fda, v28, -v31
	v_or_b32_e32 v10, v13, v10
	s_delay_alu instid0(VALU_DEP_2) | instskip(NEXT) | instid1(VALU_DEP_1)
	v_fmac_f32_e32 v20, 0x33a22168, v28
	v_fmac_f32_e32 v20, 0x3fc90fda, v10
	s_delay_alu instid0(VALU_DEP_1)
	v_add_f32_e32 v10, v31, v20
.LBB94_112:                             ;   in Loop: Header=BB94_7 Depth=1
	s_or_saveexec_b32 s2, s34
	v_mul_f32_e64 v13, 0x3f22f983, |v2|
	s_delay_alu instid0(VALU_DEP_1)
	v_rndne_f32_e32 v22, v13
	s_xor_b32 exec_lo, exec_lo, s2
; %bb.113:                              ;   in Loop: Header=BB94_7 Depth=1
	s_delay_alu instid0(VALU_DEP_1) | instskip(SKIP_1) | instid1(VALU_DEP_2)
	v_fma_f32 v10, 0xbfc90fda, v22, |v2|
	v_cvt_i32_f32_e32 v11, v22
	v_fmac_f32_e32 v10, 0xb3a22168, v22
	s_delay_alu instid0(VALU_DEP_1)
	v_fmac_f32_e32 v10, 0xa7c234c4, v22
; %bb.114:                              ;   in Loop: Header=BB94_7 Depth=1
	s_or_b32 exec_lo, exec_lo, s2
                                        ; implicit-def: $vgpr20
                                        ; implicit-def: $vgpr13
	s_and_saveexec_b32 s2, s33
	s_delay_alu instid0(SALU_CYCLE_1)
	s_xor_b32 s33, exec_lo, s2
	s_cbranch_execz .LBB94_116
; %bb.115:                              ;   in Loop: Header=BB94_7 Depth=1
	v_mul_u64_e32 v[28:29], s[12:13], v[16:17]
	v_mov_b32_e32 v31, v17
	v_cmp_lt_u32_e32 vcc_lo, 63, v12
	v_cndmask_b32_e64 v13, 0, 0xffffffc0, vcc_lo
	s_delay_alu instid0(VALU_DEP_4) | instskip(NEXT) | instid1(VALU_DEP_1)
	v_mov_b32_e32 v30, v29
	v_mad_nc_u64_u32 v[30:31], 0x3c439041, v16, v[30:31]
	s_delay_alu instid0(VALU_DEP_1) | instskip(NEXT) | instid1(VALU_DEP_1)
	v_dual_mov_b32 v33, v17 :: v_dual_mov_b32 v32, v31
	v_mad_nc_u64_u32 v[32:33], 0xdb629599, v16, v[32:33]
	s_delay_alu instid0(VALU_DEP_1) | instskip(NEXT) | instid1(VALU_DEP_2)
	v_dual_mov_b32 v35, v17 :: v_dual_mov_b32 v34, v33
	v_cndmask_b32_e32 v28, v32, v28, vcc_lo
	s_delay_alu instid0(VALU_DEP_2) | instskip(NEXT) | instid1(VALU_DEP_1)
	v_mad_nc_u64_u32 v[34:35], 0xf534ddc0, v16, v[34:35]
	v_dual_mov_b32 v37, v17 :: v_dual_mov_b32 v36, v35
	s_delay_alu instid0(VALU_DEP_1) | instskip(NEXT) | instid1(VALU_DEP_1)
	v_mad_nc_u64_u32 v[36:37], 0xfc2757d1, v16, v[36:37]
	v_dual_mov_b32 v39, v17 :: v_dual_mov_b32 v38, v37
	s_delay_alu instid0(VALU_DEP_2) | instskip(NEXT) | instid1(VALU_DEP_2)
	v_cndmask_b32_e32 v24, v36, v32, vcc_lo
	v_mad_nc_u64_u32 v[38:39], 0x4e441529, v16, v[38:39]
	s_delay_alu instid0(VALU_DEP_1) | instskip(NEXT) | instid1(VALU_DEP_1)
	v_dual_add_nc_u32 v20, v13, v12 :: v_dual_mov_b32 v12, v39
	v_cmp_lt_u32_e64 s2, 31, v20
	s_delay_alu instid0(VALU_DEP_1) | instskip(SKIP_1) | instid1(VALU_DEP_1)
	v_cndmask_b32_e64 v22, 0, 0xffffffe0, s2
	v_mov_b32_e32 v13, v17
	v_mad_nc_u64_u32 v[12:13], 0xa2f9836e, v16, v[12:13]
	s_delay_alu instid0(VALU_DEP_3) | instskip(SKIP_1) | instid1(VALU_DEP_2)
	v_add_nc_u32_e32 v16, v22, v20
	v_cndmask_b32_e32 v22, v38, v34, vcc_lo
	v_cmp_lt_u32_e64 s3, 31, v16
	s_delay_alu instid0(VALU_DEP_1) | instskip(SKIP_1) | instid1(VALU_DEP_2)
	v_cndmask_b32_e64 v20, 0, 0xffffffe0, s3
	v_dual_cndmask_b32 v12, v12, v36 :: v_dual_cndmask_b32 v13, v13, v38
	v_dual_add_nc_u32 v16, v20, v16 :: v_dual_cndmask_b32 v20, v34, v30, vcc_lo
	s_delay_alu instid0(VALU_DEP_2) | instskip(SKIP_1) | instid1(VALU_DEP_3)
	v_dual_cndmask_b32 v29, v12, v22, s2 :: v_dual_cndmask_b32 v12, v13, v12, s2
	v_cndmask_b32_e64 v13, v22, v24, s2
	v_sub_nc_u32_e32 v22, 32, v16
	v_cmp_eq_u32_e32 vcc_lo, 0, v16
	v_cndmask_b32_e64 v16, v20, v28, s2
	v_cndmask_b32_e64 v12, v12, v29, s3
	v_dual_cndmask_b32 v29, v29, v13, s3 :: v_dual_cndmask_b32 v24, v24, v20, s2
	s_delay_alu instid0(VALU_DEP_1) | instskip(NEXT) | instid1(VALU_DEP_2)
	v_alignbit_b32 v30, v12, v29, v22
	v_cndmask_b32_e64 v13, v13, v24, s3
	s_delay_alu instid0(VALU_DEP_2) | instskip(NEXT) | instid1(VALU_DEP_2)
	v_cndmask_b32_e32 v12, v30, v12, vcc_lo
	v_alignbit_b32 v31, v29, v13, v22
	s_delay_alu instid0(VALU_DEP_2) | instskip(NEXT) | instid1(VALU_DEP_1)
	v_bfe_u32 v28, v12, 29, 1
	v_dual_cndmask_b32 v20, v31, v29 :: v_dual_sub_nc_u32 v29, 0, v28
	v_cndmask_b32_e64 v16, v24, v16, s3
	s_delay_alu instid0(VALU_DEP_2) | instskip(NEXT) | instid1(VALU_DEP_1)
	v_alignbit_b32 v24, v12, v20, 30
	v_xor_b32_e32 v24, v24, v29
	s_delay_alu instid0(VALU_DEP_3) | instskip(NEXT) | instid1(VALU_DEP_1)
	v_alignbit_b32 v22, v13, v16, v22
	v_cndmask_b32_e32 v13, v22, v13, vcc_lo
	s_delay_alu instid0(VALU_DEP_3) | instskip(NEXT) | instid1(VALU_DEP_2)
	v_clz_i32_u32_e32 v22, v24
	v_alignbit_b32 v20, v20, v13, 30
	s_delay_alu instid0(VALU_DEP_2) | instskip(SKIP_1) | instid1(VALU_DEP_2)
	v_min_u32_e32 v22, 32, v22
	v_alignbit_b32 v13, v13, v16, 30
	v_dual_sub_nc_u32 v20, 31, v22 :: v_dual_bitop2_b32 v16, v20, v29 bitop3:0x14
	s_delay_alu instid0(VALU_DEP_2) | instskip(SKIP_1) | instid1(VALU_DEP_3)
	v_dual_lshrrev_b32 v29, 29, v12 :: v_dual_bitop2_b32 v13, v13, v29 bitop3:0x14
	v_dual_lshlrev_b32 v30, 23, v22 :: v_dual_lshrrev_b32 v12, 30, v12
	v_alignbit_b32 v24, v24, v16, v20
	s_delay_alu instid0(VALU_DEP_3) | instskip(NEXT) | instid1(VALU_DEP_4)
	v_alignbit_b32 v13, v16, v13, v20
	v_lshlrev_b32_e32 v16, 31, v29
	s_delay_alu instid0(VALU_DEP_2) | instskip(NEXT) | instid1(VALU_DEP_2)
	v_alignbit_b32 v20, v24, v13, 9
	v_or_b32_e32 v29, 0.5, v16
	v_lshrrev_b32_e32 v24, 9, v24
	v_or_b32_e32 v16, 0x33000000, v16
	s_delay_alu instid0(VALU_DEP_4) | instskip(NEXT) | instid1(VALU_DEP_4)
	v_clz_i32_u32_e32 v31, v20
	v_sub_nc_u32_e32 v29, v29, v30
	s_delay_alu instid0(VALU_DEP_2) | instskip(NEXT) | instid1(VALU_DEP_2)
	v_min_u32_e32 v30, 32, v31
	v_or_b32_e32 v24, v24, v29
	s_delay_alu instid0(VALU_DEP_2) | instskip(SKIP_1) | instid1(VALU_DEP_2)
	v_not_b32_e32 v29, v30
	v_add_lshl_u32 v22, v30, v22, 23
	v_alignbit_b32 v13, v20, v13, v29
	s_delay_alu instid0(VALU_DEP_2) | instskip(NEXT) | instid1(VALU_DEP_2)
	v_sub_nc_u32_e32 v16, v16, v22
                                        ; implicit-def: $vgpr22
	v_lshrrev_b32_e32 v13, 9, v13
	s_delay_alu instid0(VALU_DEP_1) | instskip(SKIP_1) | instid1(VALU_DEP_1)
	v_or_b32_e32 v13, v16, v13
	v_mul_f32_e32 v31, 0x3fc90fda, v24
	v_fma_f32 v20, 0x3fc90fda, v24, -v31
	s_delay_alu instid0(VALU_DEP_1) | instskip(NEXT) | instid1(VALU_DEP_1)
	v_fmac_f32_e32 v20, 0x33a22168, v24
	v_fmac_f32_e32 v20, 0x3fc90fda, v13
	s_delay_alu instid0(VALU_DEP_1)
	v_add_f32_e32 v13, v31, v20
	v_add_nc_u32_e32 v20, v28, v12
	s_and_not1_saveexec_b32 s2, s33
	s_cbranch_execnz .LBB94_117
	s_branch .LBB94_118
.LBB94_116:                             ;   in Loop: Header=BB94_7 Depth=1
	s_and_not1_saveexec_b32 s2, s33
.LBB94_117:                             ;   in Loop: Header=BB94_7 Depth=1
	v_fma_f32 v13, 0xbfc90fda, v22, |v2|
	v_cvt_i32_f32_e32 v20, v22
	s_delay_alu instid0(VALU_DEP_2) | instskip(NEXT) | instid1(VALU_DEP_1)
	v_fmac_f32_e32 v13, 0xb3a22168, v22
	v_fmac_f32_e32 v13, 0xa7c234c4, v22
.LBB94_118:                             ;   in Loop: Header=BB94_7 Depth=1
	s_or_b32 exec_lo, exec_lo, s2
	s_delay_alu instid0(VALU_DEP_1) | instskip(SKIP_1) | instid1(VALU_DEP_2)
	v_dual_mul_f32 v12, v10, v10 :: v_dual_mul_f32 v16, v13, v13
	v_dual_lshlrev_b32 v11, 30, v11 :: v_dual_bitop2_b32 v22, 1, v11 bitop3:0x40
	v_fmaak_f32 v29, s26, v16, 0x3c0881c4
	s_delay_alu instid0(VALU_DEP_2) | instskip(SKIP_1) | instid1(VALU_DEP_4)
	v_cmp_eq_u32_e32 vcc_lo, 0, v22
	v_and_b32_e32 v31, 1, v20
	v_bitop3_b32 v3, v3, v11, 0x80000000 bitop3:0x78
	s_delay_alu instid0(VALU_DEP_4) | instskip(NEXT) | instid1(VALU_DEP_1)
	v_dual_fmaak_f32 v29, v16, v29, 0xbe2aaa9d :: v_dual_lshlrev_b32 v20, 30, v20
	v_dual_fmaak_f32 v24, s26, v12, 0x3c0881c4 :: v_dual_mul_f32 v29, v16, v29
	v_fmaak_f32 v28, s27, v12, 0xbab64f3b
	s_delay_alu instid0(VALU_DEP_2) | instskip(NEXT) | instid1(VALU_DEP_2)
	v_dual_fmaak_f32 v24, v12, v24, 0xbe2aaa9d :: v_dual_fmac_f32 v13, v13, v29
	v_fmaak_f32 v28, v12, v28, 0x3d2aabf7
	s_delay_alu instid0(VALU_DEP_2) | instskip(NEXT) | instid1(VALU_DEP_2)
	v_mul_f32_e32 v24, v12, v24
	v_fmaak_f32 v28, v12, v28, 0xbf000004
	s_delay_alu instid0(VALU_DEP_2) | instskip(NEXT) | instid1(VALU_DEP_2)
	v_fmac_f32_e32 v10, v10, v24
	v_fma_f32 v12, v12, v28, 1.0
	s_delay_alu instid0(VALU_DEP_1) | instskip(SKIP_1) | instid1(VALU_DEP_2)
	v_cndmask_b32_e32 v10, v12, v10, vcc_lo
	v_cmp_eq_u32_e32 vcc_lo, 0, v31
	v_xor3_b32 v3, v3, v10, v2
	v_fmaak_f32 v30, s27, v16, 0xbab64f3b
	s_delay_alu instid0(VALU_DEP_1) | instskip(NEXT) | instid1(VALU_DEP_1)
	v_fmaak_f32 v30, v16, v30, 0x3d2aabf7
	v_fmaak_f32 v30, v16, v30, 0xbf000004
	s_delay_alu instid0(VALU_DEP_1) | instskip(NEXT) | instid1(VALU_DEP_1)
	v_fma_f32 v16, v16, v30, 1.0
	v_cndmask_b32_e64 v11, -v13, v16, vcc_lo
	v_cmp_class_f32_e64 vcc_lo, v2, 0x1f8
	s_delay_alu instid0(VALU_DEP_2) | instskip(NEXT) | instid1(VALU_DEP_1)
	v_bitop3_b32 v10, v20, v11, 0x80000000 bitop3:0x6c
	v_mul_f32_e32 v3, v3, v10
	s_delay_alu instid0(VALU_DEP_1)
	v_cndmask_b32_e32 v2, 0x7fc00000, v3, vcc_lo
.LBB94_119:                             ;   in Loop: Header=BB94_7 Depth=1
	s_or_b32 exec_lo, exec_lo, s31
	v_add_nc_u32_e32 v9, -2.0, v9
	s_delay_alu instid0(VALU_DEP_2)
	v_bfi_b32 v10, 0x7fffffff, 0, v2
.LBB94_120:                             ;   in Loop: Header=BB94_7 Depth=1
	s_or_b32 exec_lo, exec_lo, s30
.LBB94_121:                             ;   in Loop: Header=BB94_7 Depth=1
	s_delay_alu instid0(SALU_CYCLE_1) | instskip(SKIP_2) | instid1(VALU_DEP_1)
	s_or_b32 exec_lo, exec_lo, s29
	v_and_b32_e32 v22, 0x7fffffff, v5
                                        ; implicit-def: $vgpr13
	s_mov_b32 s2, exec_lo
	v_cmpx_gt_u32_e32 0x7f800000, v22
	s_xor_b32 s29, exec_lo, s2
	s_cbranch_execz .LBB94_143
; %bb.122:                              ;   in Loop: Header=BB94_7 Depth=1
	v_cmp_class_f32_e64 s2, v4, 0x1f8
                                        ; implicit-def: $vgpr13
	s_and_saveexec_b32 s3, s2
	s_delay_alu instid0(SALU_CYCLE_1)
	s_xor_b32 s30, exec_lo, s3
	s_cbranch_execz .LBB94_140
; %bb.123:                              ;   in Loop: Header=BB94_7 Depth=1
	v_and_b32_e32 v2, 0x7fffffff, v4
                                        ; implicit-def: $vgpr13
	s_mov_b32 s2, exec_lo
	v_cmpx_gt_u32_e32 0x41300000, v22
	s_xor_b32 s31, exec_lo, s2
	s_cbranch_execz .LBB94_129
; %bb.124:                              ;   in Loop: Header=BB94_7 Depth=1
                                        ; implicit-def: $vgpr3
                                        ; implicit-def: $vgpr11
	s_mov_b32 s3, exec_lo
	v_cmpx_ngt_f32_e64 0x48000000, |v4|
	s_xor_b32 s33, exec_lo, s3
	s_cbranch_execz .LBB94_126
; %bb.125:                              ;   in Loop: Header=BB94_7 Depth=1
	v_and_or_b32 v16, v2, s22, 0x800000
	v_dual_lshrrev_b32 v3, 23, v2 :: v_dual_mov_b32 v37, v17
	v_mov_b32_e32 v39, v17
	s_delay_alu instid0(VALU_DEP_3) | instskip(SKIP_1) | instid1(VALU_DEP_4)
	v_mul_u64_e32 v[12:13], s[12:13], v[16:17]
	v_mov_b32_e32 v29, v17
	v_add_nc_u32_e32 v3, 0xffffff88, v3
	s_delay_alu instid0(VALU_DEP_1) | instskip(SKIP_1) | instid1(VALU_DEP_1)
	v_cmp_lt_u32_e32 vcc_lo, 63, v3
	v_cndmask_b32_e64 v11, 0, 0xffffffc0, vcc_lo
	v_add_nc_u32_e32 v3, v11, v3
	s_delay_alu instid0(VALU_DEP_1) | instskip(NEXT) | instid1(VALU_DEP_1)
	v_cmp_lt_u32_e64 s2, 31, v3
	v_cndmask_b32_e64 v11, 0, 0xffffffe0, s2
	s_delay_alu instid0(VALU_DEP_1) | instskip(NEXT) | instid1(VALU_DEP_1)
	v_dual_mov_b32 v28, v13 :: v_dual_add_nc_u32 v3, v11, v3
	v_mad_nc_u64_u32 v[28:29], 0x3c439041, v16, v[28:29]
	v_mov_b32_e32 v31, v17
	s_delay_alu instid0(VALU_DEP_3) | instskip(NEXT) | instid1(VALU_DEP_1)
	v_cmp_lt_u32_e64 s3, 31, v3
	v_cndmask_b32_e64 v11, 0, 0xffffffe0, s3
	s_delay_alu instid0(VALU_DEP_4) | instskip(NEXT) | instid1(VALU_DEP_1)
	v_mov_b32_e32 v30, v29
	v_mad_nc_u64_u32 v[30:31], 0xdb629599, v16, v[30:31]
	s_delay_alu instid0(VALU_DEP_1) | instskip(NEXT) | instid1(VALU_DEP_2)
	v_dual_mov_b32 v33, v17 :: v_dual_mov_b32 v32, v31
	v_cndmask_b32_e32 v12, v30, v12, vcc_lo
	s_delay_alu instid0(VALU_DEP_2) | instskip(SKIP_1) | instid1(VALU_DEP_2)
	v_mad_nc_u64_u32 v[32:33], 0xf534ddc0, v16, v[32:33]
	v_dual_mov_b32 v35, v17 :: v_dual_add_nc_u32 v3, v11, v3
	v_dual_cndmask_b32 v11, v32, v28 :: v_dual_mov_b32 v34, v33
	s_delay_alu instid0(VALU_DEP_1) | instskip(NEXT) | instid1(VALU_DEP_1)
	v_mad_nc_u64_u32 v[34:35], 0xfc2757d1, v16, v[34:35]
	v_dual_mov_b32 v36, v35 :: v_dual_cndmask_b32 v24, v34, v30, vcc_lo
	s_delay_alu instid0(VALU_DEP_1) | instskip(NEXT) | instid1(VALU_DEP_1)
	v_mad_nc_u64_u32 v[36:37], 0x4e441529, v16, v[36:37]
	v_mov_b32_e32 v38, v37
	s_delay_alu instid0(VALU_DEP_1) | instskip(NEXT) | instid1(VALU_DEP_1)
	v_mad_nc_u64_u32 v[38:39], 0xa2f9836e, v16, v[38:39]
	v_dual_cndmask_b32 v13, v36, v32 :: v_dual_cndmask_b32 v16, v38, v34
	s_delay_alu instid0(VALU_DEP_2) | instskip(SKIP_1) | instid1(VALU_DEP_3)
	v_cndmask_b32_e32 v20, v39, v36, vcc_lo
	v_cmp_eq_u32_e32 vcc_lo, 0, v3
	v_dual_cndmask_b32 v28, v16, v13, s2 :: v_dual_cndmask_b32 v13, v13, v24, s2
	s_delay_alu instid0(VALU_DEP_3) | instskip(SKIP_1) | instid1(VALU_DEP_2)
	v_dual_cndmask_b32 v16, v20, v16, s2 :: v_dual_sub_nc_u32 v20, 32, v3
	v_cndmask_b32_e64 v24, v24, v11, s2
	v_cndmask_b32_e64 v16, v16, v28, s3
	s_delay_alu instid0(VALU_DEP_2) | instskip(SKIP_1) | instid1(VALU_DEP_2)
	v_dual_cndmask_b32 v28, v28, v13, s3 :: v_dual_cndmask_b32 v13, v13, v24, s3
	v_cndmask_b32_e64 v11, v11, v12, s2
	v_alignbit_b32 v30, v28, v13, v20
	s_delay_alu instid0(VALU_DEP_1) | instskip(SKIP_1) | instid1(VALU_DEP_2)
	v_dual_cndmask_b32 v11, v24, v11, s3 :: v_dual_cndmask_b32 v12, v30, v28, vcc_lo
	v_alignbit_b32 v29, v16, v28, v20
	v_alignbit_b32 v20, v13, v11, v20
	s_delay_alu instid0(VALU_DEP_1) | instskip(NEXT) | instid1(VALU_DEP_1)
	v_dual_cndmask_b32 v3, v29, v16, vcc_lo :: v_dual_cndmask_b32 v13, v20, v13, vcc_lo
	v_bfe_u32 v16, v3, 29, 1
	v_alignbit_b32 v24, v3, v12, 30
	s_delay_alu instid0(VALU_DEP_3) | instskip(SKIP_1) | instid1(VALU_DEP_4)
	v_alignbit_b32 v12, v12, v13, 30
	v_alignbit_b32 v11, v13, v11, 30
	v_sub_nc_u32_e32 v28, 0, v16
	s_delay_alu instid0(VALU_DEP_1) | instskip(NEXT) | instid1(VALU_DEP_4)
	v_xor_b32_e32 v24, v24, v28
	v_xor_b32_e32 v12, v12, v28
	s_delay_alu instid0(VALU_DEP_4) | instskip(SKIP_1) | instid1(VALU_DEP_4)
	v_dual_lshrrev_b32 v28, 29, v3 :: v_dual_bitop2_b32 v11, v11, v28 bitop3:0x14
	v_lshrrev_b32_e32 v3, 30, v3
	v_clz_i32_u32_e32 v20, v24
	s_delay_alu instid0(VALU_DEP_2) | instskip(NEXT) | instid1(VALU_DEP_2)
	v_add_nc_u32_e32 v3, v16, v3
	v_min_u32_e32 v20, 32, v20
	s_delay_alu instid0(VALU_DEP_1) | instskip(NEXT) | instid1(VALU_DEP_1)
	v_dual_sub_nc_u32 v13, 31, v20 :: v_dual_lshlrev_b32 v29, 23, v20
	v_alignbit_b32 v24, v24, v12, v13
	v_alignbit_b32 v11, v12, v11, v13
	v_lshlrev_b32_e32 v12, 31, v28
	s_delay_alu instid0(VALU_DEP_2) | instskip(NEXT) | instid1(VALU_DEP_2)
	v_alignbit_b32 v13, v24, v11, 9
	v_or_b32_e32 v28, 0.5, v12
	v_or_b32_e32 v12, 0x33000000, v12
	v_lshrrev_b32_e32 v24, 9, v24
	s_delay_alu instid0(VALU_DEP_4) | instskip(NEXT) | instid1(VALU_DEP_4)
	v_clz_i32_u32_e32 v30, v13
	v_sub_nc_u32_e32 v28, v28, v29
	s_delay_alu instid0(VALU_DEP_2) | instskip(NEXT) | instid1(VALU_DEP_2)
	v_min_u32_e32 v29, 32, v30
	v_or_b32_e32 v24, v24, v28
	s_delay_alu instid0(VALU_DEP_2) | instskip(SKIP_1) | instid1(VALU_DEP_2)
	v_not_b32_e32 v28, v29
	v_add_lshl_u32 v20, v29, v20, 23
	v_alignbit_b32 v11, v13, v11, v28
	s_delay_alu instid0(VALU_DEP_1) | instskip(NEXT) | instid1(VALU_DEP_1)
	v_dual_sub_nc_u32 v12, v12, v20 :: v_dual_lshrrev_b32 v11, 9, v11
	v_or_b32_e32 v11, v12, v11
	v_mul_f32_e32 v30, 0x3fc90fda, v24
	s_delay_alu instid0(VALU_DEP_1) | instskip(NEXT) | instid1(VALU_DEP_1)
	v_fma_f32 v13, 0x3fc90fda, v24, -v30
	v_fmac_f32_e32 v13, 0x33a22168, v24
	s_delay_alu instid0(VALU_DEP_1) | instskip(NEXT) | instid1(VALU_DEP_1)
	v_fmac_f32_e32 v13, 0x3fc90fda, v11
	v_add_f32_e32 v11, v30, v13
.LBB94_126:                             ;   in Loop: Header=BB94_7 Depth=1
	s_and_not1_saveexec_b32 s2, s33
; %bb.127:                              ;   in Loop: Header=BB94_7 Depth=1
	v_mul_f32_e64 v3, 0x3f22f983, |v4|
	s_delay_alu instid0(VALU_DEP_1) | instskip(NEXT) | instid1(VALU_DEP_1)
	v_rndne_f32_e32 v3, v3
	v_fma_f32 v11, 0xbfc90fda, v3, |v4|
	s_delay_alu instid0(VALU_DEP_1) | instskip(NEXT) | instid1(VALU_DEP_1)
	v_fmac_f32_e32 v11, 0xb3a22168, v3
	v_fmac_f32_e32 v11, 0xa7c234c4, v3
	v_cvt_i32_f32_e32 v3, v3
; %bb.128:                              ;   in Loop: Header=BB94_7 Depth=1
	s_or_b32 exec_lo, exec_lo, s2
	v_add_f32_e64 v16, 0xbf317218, |v5|
	v_cmp_nlt_f32_e64 vcc_lo, 0x42b2d4fc, |v5|
	v_cmp_gt_f32_e64 s2, 0x39800000, |v5|
	v_and_b32_e32 v3, 1, v3
	s_delay_alu instid0(VALU_DEP_4) | instskip(NEXT) | instid1(VALU_DEP_1)
	v_sub_f32_e64 v13, v16, |v5|
	v_sub_f32_e32 v12, v13, v16
	s_delay_alu instid0(VALU_DEP_1) | instskip(NEXT) | instid1(VALU_DEP_1)
	v_pk_add_f32 v[12:13], v[22:23], v[12:13]
	v_sub_f32_e32 v12, v12, v13
	s_delay_alu instid0(VALU_DEP_1) | instskip(NEXT) | instid1(VALU_DEP_1)
	v_add_f32_e32 v12, 0x3102e308, v12
	v_add_f32_e32 v13, v16, v12
	s_delay_alu instid0(VALU_DEP_1) | instskip(SKIP_1) | instid1(VALU_DEP_2)
	v_mul_f32_e32 v20, 0x3fb8aa3b, v13
	v_sub_f32_e32 v16, v16, v13
	v_rndne_f32_e32 v20, v20
	s_delay_alu instid0(VALU_DEP_2) | instskip(NEXT) | instid1(VALU_DEP_2)
	v_add_f32_e32 v16, v12, v16
	v_fmac_f32_e32 v13, 0xbf317200, v20
	v_mul_f32_e32 v22, 0x35bfbc00, v20
	s_delay_alu instid0(VALU_DEP_2) | instskip(NEXT) | instid1(VALU_DEP_1)
	v_dual_mul_f32 v29, 0x2ea39ef3, v20 :: v_dual_add_f32 v24, v16, v13
	v_dual_sub_f32 v12, v24, v22 :: v_dual_sub_f32 v13, v13, v24
	s_delay_alu instid0(VALU_DEP_1) | instskip(NEXT) | instid1(VALU_DEP_2)
	v_sub_f32_e32 v24, v24, v12
	v_add_f32_e32 v13, v16, v13
	s_delay_alu instid0(VALU_DEP_2) | instskip(NEXT) | instid1(VALU_DEP_1)
	v_sub_f32_e32 v16, v24, v22
	v_add_f32_e32 v16, v13, v16
	s_delay_alu instid0(VALU_DEP_1) | instskip(NEXT) | instid1(VALU_DEP_1)
	v_add_f32_e32 v13, v12, v16
	v_mov_b32_e32 v28, v13
	s_delay_alu instid0(VALU_DEP_1) | instskip(NEXT) | instid1(VALU_DEP_1)
	v_pk_add_f32 v[30:31], v[12:13], v[28:29] neg_lo:[0,1] neg_hi:[0,1]
	v_dual_sub_f32 v12, v13, v31 :: v_dual_add_f32 v13, v16, v30
	s_delay_alu instid0(VALU_DEP_1) | instskip(NEXT) | instid1(VALU_DEP_1)
	v_sub_f32_e32 v12, v12, v29
	v_add_f32_e32 v12, v13, v12
	s_delay_alu instid0(VALU_DEP_1) | instskip(NEXT) | instid1(VALU_DEP_1)
	v_add_f32_e32 v13, v31, v12
	v_dual_sub_f32 v16, v31, v13 :: v_dual_mul_f32 v22, v13, v13
	v_mov_b64_e32 v[30:31], s[14:15]
	s_delay_alu instid0(VALU_DEP_2) | instskip(NEXT) | instid1(VALU_DEP_1)
	v_add_f32_e32 v12, v12, v16
	v_add_f32_e32 v28, v12, v12
	v_fmaak_f32 v16, s25, v13, 0x3c091de6
	v_fma_f32 v24, v13, v13, -v22
	s_delay_alu instid0(VALU_DEP_2) | instskip(NEXT) | instid1(VALU_DEP_2)
	v_fmaak_f32 v16, v13, v16, 0x3d2aadcc
	v_fmac_f32_e32 v24, v13, v28
	s_delay_alu instid0(VALU_DEP_2) | instskip(NEXT) | instid1(VALU_DEP_2)
	v_fmaak_f32 v16, v13, v16, 0x3e2aaa47
	v_add_f32_e32 v28, v22, v24
	s_delay_alu instid0(VALU_DEP_2) | instskip(NEXT) | instid1(VALU_DEP_2)
	v_fmaak_f32 v16, v13, v16, 0x3efffffc
	v_sub_f32_e32 v22, v28, v22
	s_delay_alu instid0(VALU_DEP_1) | instskip(NEXT) | instid1(VALU_DEP_3)
	v_sub_f32_e32 v22, v24, v22
	v_mul_f32_e32 v29, v16, v28
	s_delay_alu instid0(VALU_DEP_1) | instskip(NEXT) | instid1(VALU_DEP_1)
	v_fma_f32 v28, v28, v16, -v29
	v_fmac_f32_e32 v28, v22, v16
	s_delay_alu instid0(VALU_DEP_1) | instskip(NEXT) | instid1(VALU_DEP_1)
	v_add_f32_e32 v16, v29, v28
	v_add_f32_e32 v24, v13, v16
	s_delay_alu instid0(VALU_DEP_1) | instskip(NEXT) | instid1(VALU_DEP_1)
	v_sub_f32_e32 v13, v24, v13
	v_sub_f32_e32 v13, v16, v13
	;; [unrolled: 1-line block ×3, first 2 shown]
	s_delay_alu instid0(VALU_DEP_1) | instskip(NEXT) | instid1(VALU_DEP_1)
	v_sub_f32_e32 v22, v28, v22
	v_add_f32_e32 v12, v12, v22
	s_delay_alu instid0(VALU_DEP_1) | instskip(NEXT) | instid1(VALU_DEP_1)
	v_add_f32_e32 v12, v12, v13
	v_add_f32_e32 v28, v24, v12
	s_delay_alu instid0(VALU_DEP_1) | instskip(NEXT) | instid1(VALU_DEP_1)
	v_dual_add_f32 v29, 1.0, v28 :: v_dual_mov_b32 v13, v28
	v_pk_add_f32 v[30:31], v[28:29], v[30:31]
	v_pk_add_f32 v[32:33], v[28:29], v[24:25] neg_lo:[0,1] neg_hi:[0,1]
	s_delay_alu instid0(VALU_DEP_2) | instskip(NEXT) | instid1(VALU_DEP_1)
	v_mov_b32_e32 v33, v31
	v_pk_add_f32 v[12:13], v[12:13], v[32:33] neg_lo:[0,1] neg_hi:[0,1]
	s_delay_alu instid0(VALU_DEP_1) | instskip(SKIP_1) | instid1(VALU_DEP_2)
	v_add_f32_e32 v12, v12, v13
	v_cvt_i32_f32_e32 v13, v20
	v_add_f32_e32 v16, v29, v12
	s_delay_alu instid0(VALU_DEP_1) | instskip(NEXT) | instid1(VALU_DEP_1)
	v_ldexp_f32 v22, v16, v13
	v_rcp_f32_e32 v24, v22
	v_sub_f32_e32 v16, v16, v29
	s_delay_alu instid0(VALU_DEP_1) | instskip(NEXT) | instid1(TRANS32_DEP_1)
	v_sub_f32_e32 v16, v12, v16
	v_mul_f32_e32 v12, v22, v24
	s_delay_alu instid0(VALU_DEP_2) | instskip(NEXT) | instid1(VALU_DEP_2)
	v_ldexp_f32 v16, v16, v13
	v_fma_f32 v28, v24, v22, -v12
	s_delay_alu instid0(VALU_DEP_1) | instskip(NEXT) | instid1(VALU_DEP_1)
	v_fmac_f32_e32 v28, v24, v16
	v_add_f32_e32 v20, v12, v28
	s_delay_alu instid0(VALU_DEP_1) | instskip(NEXT) | instid1(VALU_DEP_1)
	v_dual_sub_f32 v13, 1.0, v20 :: v_dual_mov_b32 v29, v20
	v_pk_add_f32 v[30:31], v[20:21], v[12:13] neg_lo:[0,1] neg_hi:[0,1]
	s_delay_alu instid0(VALU_DEP_1) | instskip(NEXT) | instid1(VALU_DEP_1)
	v_pk_add_f32 v[28:29], v[30:31], v[28:29] neg_lo:[0,1] neg_hi:[0,1]
	v_add_f32_e32 v20, v28, v29
	s_delay_alu instid0(VALU_DEP_1) | instskip(NEXT) | instid1(VALU_DEP_1)
	v_add_f32_e32 v29, v13, v20
	v_dual_mul_f32 v32, v24, v29 :: v_dual_sub_f32 v33, v13, v29
	s_delay_alu instid0(VALU_DEP_1) | instskip(NEXT) | instid1(VALU_DEP_1)
	v_dual_mul_f32 v30, v22, v32 :: v_dual_add_f32 v20, v20, v33
	v_fma_f32 v12, v32, v22, -v30
	s_delay_alu instid0(VALU_DEP_1) | instskip(NEXT) | instid1(VALU_DEP_1)
	v_fmac_f32_e32 v12, v32, v16
	v_add_f32_e32 v28, v30, v12
	s_delay_alu instid0(VALU_DEP_1) | instskip(NEXT) | instid1(VALU_DEP_1)
	v_dual_sub_f32 v31, v29, v28 :: v_dual_mov_b32 v13, v28
	v_pk_add_f32 v[28:29], v[28:29], v[30:31] neg_lo:[0,1] neg_hi:[0,1]
	s_delay_alu instid0(VALU_DEP_1) | instskip(NEXT) | instid1(VALU_DEP_1)
	v_pk_add_f32 v[12:13], v[28:29], v[12:13] neg_lo:[0,1] neg_hi:[0,1]
	v_add_f32_e32 v13, v20, v13
	v_add_f32_e32 v20, v24, v32
	s_delay_alu instid0(VALU_DEP_2) | instskip(NEXT) | instid1(VALU_DEP_2)
	v_add_f32_e32 v12, v12, v13
	v_sub_f32_e32 v13, v20, v24
	s_delay_alu instid0(VALU_DEP_1) | instskip(NEXT) | instid1(VALU_DEP_1)
	v_dual_add_f32 v12, v31, v12 :: v_dual_sub_f32 v13, v32, v13
	v_mul_f32_e32 v12, v24, v12
	s_delay_alu instid0(VALU_DEP_1) | instskip(NEXT) | instid1(VALU_DEP_1)
	v_add_f32_e32 v12, v13, v12
	v_add_f32_e32 v13, v20, v12
	s_delay_alu instid0(VALU_DEP_1) | instskip(SKIP_1) | instid1(VALU_DEP_1)
	v_ldexp_f32 v24, v13, -2
	v_sub_f32_e32 v13, v13, v20
	v_dual_sub_f32 v28, v22, v24 :: v_dual_sub_f32 v12, v12, v13
	s_delay_alu instid0(VALU_DEP_1) | instskip(NEXT) | instid1(VALU_DEP_2)
	v_sub_f32_e32 v20, v22, v28
	v_ldexp_f32 v12, v12, -2
	s_delay_alu instid0(VALU_DEP_2) | instskip(SKIP_1) | instid1(VALU_DEP_2)
	v_sub_f32_e32 v13, v20, v24
	v_xor_b32_e32 v20, 0x80000000, v5
	v_add_f32_e32 v13, v16, v13
	s_delay_alu instid0(VALU_DEP_1) | instskip(NEXT) | instid1(VALU_DEP_1)
	v_dual_sub_f32 v12, v13, v12 :: v_dual_mul_f32 v13, v11, v11
	v_add_f32_e32 v12, v28, v12
	s_delay_alu instid0(VALU_DEP_1) | instskip(NEXT) | instid1(VALU_DEP_1)
	v_cndmask_b32_e32 v12, 0x7f800000, v12, vcc_lo
	v_cndmask_b32_e64 v5, v12, |v5|, s2
	s_delay_alu instid0(VALU_DEP_1) | instskip(SKIP_1) | instid1(VALU_DEP_1)
	v_bfi_b32 v5, 0x7fffffff, v5, v20
	v_fmaak_f32 v16, s24, v13, 0xbf039337
	v_fmaak_f32 v16, v13, v16, 0x3f93f425
	s_delay_alu instid0(VALU_DEP_1)
	v_rcp_f32_e32 v12, v16
	v_nop
	v_fmaak_f32 v16, s23, v13, 0x3ec54587
	s_delay_alu instid0(TRANS32_DEP_1) | instid1(VALU_DEP_1)
	v_mul_f32_e32 v12, v16, v12
	v_fma_f32 v16, v5, v5, 1.0
	s_delay_alu instid0(VALU_DEP_2) | instskip(NEXT) | instid1(VALU_DEP_2)
	v_mul_f32_e32 v12, v13, v12
	v_mul_f32_e32 v13, 0x4f800000, v16
	v_cmp_gt_f32_e32 vcc_lo, 0xf800000, v16
	s_delay_alu instid0(VALU_DEP_3) | instskip(NEXT) | instid1(VALU_DEP_3)
	v_fma_f32 v20, v12, v11, v11
	v_cndmask_b32_e32 v13, v16, v13, vcc_lo
	s_delay_alu instid0(VALU_DEP_2) | instskip(NEXT) | instid1(VALU_DEP_2)
	v_sub_f32_e32 v22, v20, v11
	v_sqrt_f32_e32 v24, v13
	s_delay_alu instid0(VALU_DEP_1) | instskip(SKIP_1) | instid1(TRANS32_DEP_2)
	v_fma_f32 v11, v12, v11, -v22
	v_rcp_f32_e32 v16, v20
	v_add_nc_u32_e32 v22, -1, v24
	s_delay_alu instid0(TRANS32_DEP_1) | instskip(NEXT) | instid1(VALU_DEP_2)
	v_fma_f32 v12, v20, -v16, 1.0
	v_fma_f32 v28, -v22, v24, v13
	s_delay_alu instid0(VALU_DEP_2) | instskip(SKIP_1) | instid1(VALU_DEP_3)
	v_fma_f32 v11, v11, -v16, v12
	v_add_nc_u32_e32 v12, 1, v24
	v_cmp_ge_f32_e64 s2, 0, v28
	s_delay_alu instid0(VALU_DEP_3) | instskip(NEXT) | instid1(VALU_DEP_3)
	v_fma_f32 v11, v11, -v16, -v16
	v_fma_f32 v16, -v12, v24, v13
	s_delay_alu instid0(VALU_DEP_3) | instskip(SKIP_1) | instid1(VALU_DEP_1)
	v_cndmask_b32_e64 v22, v24, v22, s2
	v_cmp_eq_u32_e64 s2, 0, v3
	v_cndmask_b32_e64 v3, v11, v20, s2
	s_delay_alu instid0(VALU_DEP_4) | instskip(NEXT) | instid1(VALU_DEP_1)
	v_cmp_lt_f32_e64 s2, 0, v16
	v_cndmask_b32_e64 v11, v22, v12, s2
	s_delay_alu instid0(VALU_DEP_3) | instskip(NEXT) | instid1(VALU_DEP_2)
	v_xor3_b32 v12, v2, v3, v4
	v_mul_f32_e32 v3, 0x37800000, v11
	s_delay_alu instid0(VALU_DEP_2) | instskip(NEXT) | instid1(VALU_DEP_2)
	v_fma_f32 v2, v12, v12, 1.0
	v_cndmask_b32_e32 v4, v11, v3, vcc_lo
	v_cmp_class_f32_e64 vcc_lo, v13, 0x260
	s_delay_alu instid0(VALU_DEP_2) | instskip(NEXT) | instid1(VALU_DEP_1)
	v_dual_mul_f32 v3, v5, v2 :: v_dual_cndmask_b32 v4, v4, v13
	v_pk_mul_f32 v[2:3], v[4:5], v[2:3]
	s_delay_alu instid0(VALU_DEP_1) | instskip(NEXT) | instid1(VALU_DEP_1)
	v_dual_mul_f32 v2, v5, v2 :: v_dual_add_f32 v3, 1.0, v3
	v_div_scale_f32 v4, null, v3, v3, v2
	v_div_scale_f32 v5, null, v3, v3, v12
	v_div_scale_f32 v22, vcc_lo, v2, v3, v2
	s_delay_alu instid0(VALU_DEP_3) | instskip(NEXT) | instid1(VALU_DEP_2)
	v_rcp_f32_e32 v11, v4
	v_rcp_f32_e32 v13, v5
	s_delay_alu instid0(TRANS32_DEP_2) | instskip(NEXT) | instid1(TRANS32_DEP_1)
	v_fma_f32 v16, -v4, v11, 1.0
	v_fma_f32 v20, -v5, v13, 1.0
	s_delay_alu instid0(VALU_DEP_2) | instskip(SKIP_1) | instid1(VALU_DEP_2)
	v_fmac_f32_e32 v11, v16, v11
	v_div_scale_f32 v16, s2, v12, v3, v12
	v_dual_fmac_f32 v13, v20, v13 :: v_dual_mul_f32 v20, v22, v11
	s_delay_alu instid0(VALU_DEP_1) | instskip(NEXT) | instid1(VALU_DEP_2)
	v_mul_f32_e32 v24, v16, v13
	v_fma_f32 v28, -v4, v20, v22
	s_delay_alu instid0(VALU_DEP_2) | instskip(NEXT) | instid1(VALU_DEP_2)
	v_fma_f32 v29, -v5, v24, v16
	v_fmac_f32_e32 v20, v28, v11
	s_delay_alu instid0(VALU_DEP_1) | instskip(NEXT) | instid1(VALU_DEP_1)
	v_dual_fmac_f32 v24, v29, v13 :: v_dual_fma_f32 v4, -v4, v20, v22
	v_fma_f32 v5, -v5, v24, v16
	s_delay_alu instid0(VALU_DEP_2) | instskip(SKIP_1) | instid1(VALU_DEP_2)
	v_div_fmas_f32 v4, v4, v11, v20
	s_mov_b32 vcc_lo, s2
	v_div_fmas_f32 v5, v5, v13, v24
	s_delay_alu instid0(VALU_DEP_2) | instskip(NEXT) | instid1(VALU_DEP_2)
	v_div_fixup_f32 v13, v4, v3, v2
	v_div_fixup_f32 v12, v5, v3, v12
                                        ; implicit-def: $vgpr2_vgpr3_vgpr4_vgpr5
                                        ; implicit-def: $vgpr2
.LBB94_129:                             ;   in Loop: Header=BB94_7 Depth=1
	s_and_not1_saveexec_b32 s31, s31
	s_cbranch_execz .LBB94_139
; %bb.130:                              ;   in Loop: Header=BB94_7 Depth=1
	v_lshrrev_b32_e32 v3, 23, v2
	v_cmp_ngt_f32_e64 s33, 0x48000000, |v4|
	v_and_or_b32 v16, v2, s22, 0x800000
                                        ; implicit-def: $vgpr12
	s_delay_alu instid0(VALU_DEP_3) | instskip(SKIP_1) | instid1(SALU_CYCLE_1)
	v_add_nc_u32_e32 v11, 0xffffff88, v3
                                        ; implicit-def: $vgpr3
	s_and_saveexec_b32 s2, s33
	s_xor_b32 s34, exec_lo, s2
	s_cbranch_execz .LBB94_132
; %bb.131:                              ;   in Loop: Header=BB94_7 Depth=1
	v_mul_u64_e32 v[12:13], s[12:13], v[16:17]
	v_mov_b32_e32 v29, v17
	v_cmp_lt_u32_e32 vcc_lo, 63, v11
	v_mov_b32_e32 v39, v17
	v_cndmask_b32_e64 v3, 0, 0xffffffc0, vcc_lo
	s_delay_alu instid0(VALU_DEP_1) | instskip(NEXT) | instid1(VALU_DEP_1)
	v_add_nc_u32_e32 v3, v3, v11
	v_cmp_lt_u32_e64 s2, 31, v3
	v_mov_b32_e32 v28, v13
	s_delay_alu instid0(VALU_DEP_2) | instskip(NEXT) | instid1(VALU_DEP_2)
	v_cndmask_b32_e64 v13, 0, 0xffffffe0, s2
	v_mad_nc_u64_u32 v[28:29], 0x3c439041, v16, v[28:29]
	s_delay_alu instid0(VALU_DEP_1) | instskip(NEXT) | instid1(VALU_DEP_1)
	v_dual_mov_b32 v31, v17 :: v_dual_mov_b32 v30, v29
	v_mad_nc_u64_u32 v[30:31], 0xdb629599, v16, v[30:31]
	s_delay_alu instid0(VALU_DEP_1) | instskip(NEXT) | instid1(VALU_DEP_2)
	v_dual_mov_b32 v33, v17 :: v_dual_mov_b32 v32, v31
	v_cndmask_b32_e32 v12, v30, v12, vcc_lo
	s_delay_alu instid0(VALU_DEP_2) | instskip(NEXT) | instid1(VALU_DEP_1)
	v_mad_nc_u64_u32 v[32:33], 0xf534ddc0, v16, v[32:33]
	v_dual_mov_b32 v35, v17 :: v_dual_mov_b32 v34, v33
	s_delay_alu instid0(VALU_DEP_1) | instskip(NEXT) | instid1(VALU_DEP_1)
	v_mad_nc_u64_u32 v[34:35], 0xfc2757d1, v16, v[34:35]
	v_dual_mov_b32 v37, v17 :: v_dual_mov_b32 v36, v35
	s_delay_alu instid0(VALU_DEP_2) | instskip(NEXT) | instid1(VALU_DEP_2)
	v_cndmask_b32_e32 v29, v34, v30, vcc_lo
	v_mad_nc_u64_u32 v[36:37], 0x4e441529, v16, v[36:37]
	s_delay_alu instid0(VALU_DEP_1) | instskip(NEXT) | instid1(VALU_DEP_1)
	v_dual_mov_b32 v38, v37 :: v_dual_cndmask_b32 v20, v36, v32, vcc_lo
	v_mad_nc_u64_u32 v[38:39], 0xa2f9836e, v16, v[38:39]
	s_delay_alu instid0(VALU_DEP_1) | instskip(NEXT) | instid1(VALU_DEP_1)
	v_dual_cndmask_b32 v22, v38, v34 :: v_dual_add_nc_u32 v3, v13, v3
	v_cmp_lt_u32_e64 s3, 31, v3
	s_delay_alu instid0(VALU_DEP_3) | instskip(NEXT) | instid1(VALU_DEP_2)
	v_cndmask_b32_e32 v24, v39, v36, vcc_lo
	v_cndmask_b32_e64 v13, 0, 0xffffffe0, s3
	s_delay_alu instid0(VALU_DEP_1) | instskip(NEXT) | instid1(VALU_DEP_3)
	v_dual_add_nc_u32 v3, v13, v3 :: v_dual_cndmask_b32 v13, v32, v28, vcc_lo
	v_dual_cndmask_b32 v28, v22, v20, s2 :: v_dual_cndmask_b32 v22, v24, v22, s2
	s_delay_alu instid0(VALU_DEP_2) | instskip(NEXT) | instid1(VALU_DEP_3)
	v_dual_cndmask_b32 v20, v20, v29, s2 :: v_dual_sub_nc_u32 v24, 32, v3
	v_cndmask_b32_e64 v29, v29, v13, s2
	v_cmp_eq_u32_e32 vcc_lo, 0, v3
	s_delay_alu instid0(VALU_DEP_4) | instskip(NEXT) | instid1(VALU_DEP_4)
	v_cndmask_b32_e64 v22, v22, v28, s3
	v_cndmask_b32_e64 v28, v28, v20, s3
	s_delay_alu instid0(VALU_DEP_4) | instskip(NEXT) | instid1(VALU_DEP_2)
	v_dual_cndmask_b32 v12, v13, v12, s2 :: v_dual_cndmask_b32 v20, v20, v29, s3
	v_alignbit_b32 v31, v22, v28, v24
	s_delay_alu instid0(VALU_DEP_1) | instskip(NEXT) | instid1(VALU_DEP_3)
	v_cndmask_b32_e32 v3, v31, v22, vcc_lo
	v_alignbit_b32 v30, v28, v20, v24
	s_delay_alu instid0(VALU_DEP_4) | instskip(NEXT) | instid1(VALU_DEP_3)
	v_cndmask_b32_e64 v12, v29, v12, s3
	v_bfe_u32 v22, v3, 29, 1
	s_delay_alu instid0(VALU_DEP_2) | instskip(NEXT) | instid1(VALU_DEP_2)
	v_alignbit_b32 v24, v20, v12, v24
	v_dual_sub_nc_u32 v29, 0, v22 :: v_dual_cndmask_b32 v13, v30, v28, vcc_lo
	s_delay_alu instid0(VALU_DEP_2) | instskip(NEXT) | instid1(VALU_DEP_2)
	v_cndmask_b32_e32 v20, v24, v20, vcc_lo
	v_alignbit_b32 v28, v3, v13, 30
	s_delay_alu instid0(VALU_DEP_1) | instskip(NEXT) | instid1(VALU_DEP_3)
	v_xor_b32_e32 v28, v28, v29
	v_alignbit_b32 v13, v13, v20, 30
	s_delay_alu instid0(VALU_DEP_2) | instskip(NEXT) | instid1(VALU_DEP_2)
	v_clz_i32_u32_e32 v24, v28
	v_xor_b32_e32 v13, v13, v29
	v_alignbit_b32 v12, v20, v12, 30
	s_delay_alu instid0(VALU_DEP_3) | instskip(NEXT) | instid1(VALU_DEP_2)
	v_min_u32_e32 v24, 32, v24
	v_dual_lshrrev_b32 v29, 29, v3 :: v_dual_bitop2_b32 v12, v12, v29 bitop3:0x14
	s_delay_alu instid0(VALU_DEP_2) | instskip(NEXT) | instid1(VALU_DEP_1)
	v_dual_sub_nc_u32 v20, 31, v24 :: v_dual_lshlrev_b32 v30, 23, v24
	v_alignbit_b32 v28, v28, v13, v20
	s_delay_alu instid0(VALU_DEP_3) | instskip(NEXT) | instid1(VALU_DEP_4)
	v_alignbit_b32 v12, v13, v12, v20
	v_lshlrev_b32_e32 v13, 31, v29
	s_delay_alu instid0(VALU_DEP_2) | instskip(NEXT) | instid1(VALU_DEP_2)
	v_alignbit_b32 v20, v28, v12, 9
	v_dual_lshrrev_b32 v28, 9, v28 :: v_dual_bitop2_b32 v29, 0.5, v13 bitop3:0x54
	v_or_b32_e32 v13, 0x33000000, v13
	s_delay_alu instid0(VALU_DEP_3) | instskip(NEXT) | instid1(VALU_DEP_3)
	v_clz_i32_u32_e32 v31, v20
	v_sub_nc_u32_e32 v29, v29, v30
	s_delay_alu instid0(VALU_DEP_2) | instskip(NEXT) | instid1(VALU_DEP_1)
	v_min_u32_e32 v30, 32, v31
	v_add_lshl_u32 v24, v30, v24, 23
	s_delay_alu instid0(VALU_DEP_3) | instskip(SKIP_1) | instid1(VALU_DEP_3)
	v_or_b32_e32 v28, v28, v29
	v_not_b32_e32 v29, v30
	v_sub_nc_u32_e32 v13, v13, v24
	s_delay_alu instid0(VALU_DEP_3) | instskip(NEXT) | instid1(VALU_DEP_3)
	v_mul_f32_e32 v31, 0x3fc90fda, v28
	v_alignbit_b32 v12, v20, v12, v29
	s_delay_alu instid0(VALU_DEP_2) | instskip(NEXT) | instid1(VALU_DEP_2)
	v_fma_f32 v20, 0x3fc90fda, v28, -v31
	v_lshrrev_b32_e32 v12, 9, v12
	s_delay_alu instid0(VALU_DEP_2) | instskip(NEXT) | instid1(VALU_DEP_2)
	v_fmac_f32_e32 v20, 0x33a22168, v28
	v_or_b32_e32 v12, v13, v12
	s_delay_alu instid0(VALU_DEP_1) | instskip(NEXT) | instid1(VALU_DEP_1)
	v_fmac_f32_e32 v20, 0x3fc90fda, v12
	v_dual_add_f32 v3, v31, v20 :: v_dual_lshrrev_b32 v12, 30, v3
	s_delay_alu instid0(VALU_DEP_1)
	v_add_nc_u32_e32 v12, v22, v12
	s_and_not1_saveexec_b32 s2, s34
	s_branch .LBB94_133
.LBB94_132:                             ;   in Loop: Header=BB94_7 Depth=1
	s_and_not1_saveexec_b32 s2, s34
.LBB94_133:                             ;   in Loop: Header=BB94_7 Depth=1
	v_mul_f32_e64 v3, 0x3f22f983, |v4|
	s_delay_alu instid0(VALU_DEP_1) | instskip(NEXT) | instid1(VALU_DEP_1)
	v_rndne_f32_e32 v12, v3
	v_fma_f32 v3, 0xbfc90fda, v12, |v4|
	s_delay_alu instid0(VALU_DEP_1) | instskip(NEXT) | instid1(VALU_DEP_1)
	v_fmac_f32_e32 v3, 0xb3a22168, v12
	v_fmac_f32_e32 v3, 0xa7c234c4, v12
	v_cvt_i32_f32_e32 v12, v12
; %bb.134:                              ;   in Loop: Header=BB94_7 Depth=1
	s_or_b32 exec_lo, exec_lo, s2
                                        ; implicit-def: $vgpr20
                                        ; implicit-def: $vgpr13
	s_and_saveexec_b32 s2, s33
	s_delay_alu instid0(SALU_CYCLE_1)
	s_xor_b32 s33, exec_lo, s2
	s_cbranch_execz .LBB94_136
; %bb.135:                              ;   in Loop: Header=BB94_7 Depth=1
	v_mul_u64_e32 v[28:29], s[12:13], v[16:17]
	v_mov_b32_e32 v31, v17
	v_cmp_lt_u32_e32 vcc_lo, 63, v11
	v_cndmask_b32_e64 v13, 0, 0xffffffc0, vcc_lo
	s_delay_alu instid0(VALU_DEP_4) | instskip(NEXT) | instid1(VALU_DEP_1)
	v_mov_b32_e32 v30, v29
	v_mad_nc_u64_u32 v[30:31], 0x3c439041, v16, v[30:31]
	s_delay_alu instid0(VALU_DEP_1) | instskip(NEXT) | instid1(VALU_DEP_1)
	v_dual_mov_b32 v33, v17 :: v_dual_mov_b32 v32, v31
	v_mad_nc_u64_u32 v[32:33], 0xdb629599, v16, v[32:33]
	s_delay_alu instid0(VALU_DEP_1) | instskip(NEXT) | instid1(VALU_DEP_2)
	v_dual_mov_b32 v35, v17 :: v_dual_mov_b32 v34, v33
	v_cndmask_b32_e32 v28, v32, v28, vcc_lo
	s_delay_alu instid0(VALU_DEP_2) | instskip(NEXT) | instid1(VALU_DEP_1)
	v_mad_nc_u64_u32 v[34:35], 0xf534ddc0, v16, v[34:35]
	v_dual_mov_b32 v37, v17 :: v_dual_mov_b32 v36, v35
	s_delay_alu instid0(VALU_DEP_1) | instskip(NEXT) | instid1(VALU_DEP_1)
	v_mad_nc_u64_u32 v[36:37], 0xfc2757d1, v16, v[36:37]
	v_dual_mov_b32 v39, v17 :: v_dual_mov_b32 v38, v37
	s_delay_alu instid0(VALU_DEP_2) | instskip(NEXT) | instid1(VALU_DEP_2)
	v_cndmask_b32_e32 v24, v36, v32, vcc_lo
	v_mad_nc_u64_u32 v[38:39], 0x4e441529, v16, v[38:39]
	v_add_nc_u32_e32 v11, v13, v11
	s_delay_alu instid0(VALU_DEP_2) | instskip(NEXT) | instid1(VALU_DEP_2)
	v_dual_mov_b32 v41, v17 :: v_dual_mov_b32 v40, v39
	v_cmp_lt_u32_e64 s2, 31, v11
	s_delay_alu instid0(VALU_DEP_2) | instskip(NEXT) | instid1(VALU_DEP_2)
	v_mad_nc_u64_u32 v[40:41], 0xa2f9836e, v16, v[40:41]
	v_cndmask_b32_e64 v13, 0, 0xffffffe0, s2
	s_delay_alu instid0(VALU_DEP_1) | instskip(NEXT) | instid1(VALU_DEP_3)
	v_dual_cndmask_b32 v16, v38, v34 :: v_dual_add_nc_u32 v11, v13, v11
	v_cndmask_b32_e32 v20, v40, v36, vcc_lo
	s_delay_alu instid0(VALU_DEP_2) | instskip(SKIP_1) | instid1(VALU_DEP_2)
	v_cmp_lt_u32_e64 s3, 31, v11
	v_cndmask_b32_e32 v22, v41, v38, vcc_lo
	v_cndmask_b32_e64 v13, 0, 0xffffffe0, s3
	s_delay_alu instid0(VALU_DEP_1) | instskip(SKIP_1) | instid1(VALU_DEP_4)
	v_dual_add_nc_u32 v11, v13, v11 :: v_dual_cndmask_b32 v13, v34, v30, vcc_lo
	v_cndmask_b32_e64 v29, v20, v16, s2
	v_cndmask_b32_e64 v20, v22, v20, s2
	s_delay_alu instid0(VALU_DEP_3) | instskip(SKIP_2) | instid1(VALU_DEP_4)
	v_cmp_eq_u32_e32 vcc_lo, 0, v11
	v_dual_cndmask_b32 v16, v16, v24, s2 :: v_dual_sub_nc_u32 v22, 32, v11
	v_cndmask_b32_e64 v24, v24, v13, s2
	v_dual_cndmask_b32 v20, v20, v29, s3 :: v_dual_cndmask_b32 v13, v13, v28, s2
	s_delay_alu instid0(VALU_DEP_3) | instskip(NEXT) | instid1(VALU_DEP_3)
	v_cndmask_b32_e64 v29, v29, v16, s3
	v_cndmask_b32_e64 v16, v16, v24, s3
	s_delay_alu instid0(VALU_DEP_3) | instskip(NEXT) | instid1(VALU_DEP_3)
	v_cndmask_b32_e64 v13, v24, v13, s3
	v_alignbit_b32 v30, v20, v29, v22
	s_delay_alu instid0(VALU_DEP_3) | instskip(NEXT) | instid1(VALU_DEP_3)
	v_alignbit_b32 v31, v29, v16, v22
	v_alignbit_b32 v22, v16, v13, v22
	s_delay_alu instid0(VALU_DEP_2) | instskip(NEXT) | instid1(VALU_DEP_2)
	v_dual_cndmask_b32 v11, v30, v20 :: v_dual_cndmask_b32 v20, v31, v29
	v_cndmask_b32_e32 v16, v22, v16, vcc_lo
	s_delay_alu instid0(VALU_DEP_2) | instskip(NEXT) | instid1(VALU_DEP_3)
	v_bfe_u32 v28, v11, 29, 1
	v_alignbit_b32 v24, v11, v20, 30
	s_delay_alu instid0(VALU_DEP_3) | instskip(NEXT) | instid1(VALU_DEP_3)
	v_alignbit_b32 v20, v20, v16, 30
	v_sub_nc_u32_e32 v29, 0, v28
	v_alignbit_b32 v13, v16, v13, 30
	s_delay_alu instid0(VALU_DEP_2) | instskip(NEXT) | instid1(VALU_DEP_4)
	v_xor_b32_e32 v24, v24, v29
	v_xor_b32_e32 v16, v20, v29
	s_delay_alu instid0(VALU_DEP_3) | instskip(SKIP_1) | instid1(VALU_DEP_4)
	v_dual_lshrrev_b32 v29, 29, v11 :: v_dual_bitop2_b32 v13, v13, v29 bitop3:0x14
	v_lshrrev_b32_e32 v11, 30, v11
	v_clz_i32_u32_e32 v22, v24
	s_delay_alu instid0(VALU_DEP_1) | instskip(NEXT) | instid1(VALU_DEP_1)
	v_min_u32_e32 v22, 32, v22
	v_dual_sub_nc_u32 v20, 31, v22 :: v_dual_lshlrev_b32 v30, 23, v22
	s_delay_alu instid0(VALU_DEP_1) | instskip(SKIP_2) | instid1(VALU_DEP_2)
	v_alignbit_b32 v24, v24, v16, v20
	v_alignbit_b32 v13, v16, v13, v20
	v_lshlrev_b32_e32 v16, 31, v29
	v_alignbit_b32 v20, v24, v13, 9
	s_delay_alu instid0(VALU_DEP_2) | instskip(SKIP_2) | instid1(VALU_DEP_4)
	v_or_b32_e32 v29, 0.5, v16
	v_lshrrev_b32_e32 v24, 9, v24
	v_or_b32_e32 v16, 0x33000000, v16
	v_clz_i32_u32_e32 v31, v20
	s_delay_alu instid0(VALU_DEP_4) | instskip(NEXT) | instid1(VALU_DEP_2)
	v_sub_nc_u32_e32 v29, v29, v30
	v_min_u32_e32 v30, 32, v31
	s_delay_alu instid0(VALU_DEP_2) | instskip(NEXT) | instid1(VALU_DEP_2)
	v_or_b32_e32 v24, v24, v29
	v_not_b32_e32 v29, v30
	v_add_lshl_u32 v22, v30, v22, 23
	s_delay_alu instid0(VALU_DEP_2) | instskip(NEXT) | instid1(VALU_DEP_1)
	v_alignbit_b32 v13, v20, v13, v29
	v_dual_sub_nc_u32 v16, v16, v22 :: v_dual_lshrrev_b32 v13, 9, v13
	s_delay_alu instid0(VALU_DEP_1) | instskip(SKIP_1) | instid1(VALU_DEP_1)
	v_or_b32_e32 v13, v16, v13
	v_mul_f32_e32 v31, 0x3fc90fda, v24
	v_fma_f32 v20, 0x3fc90fda, v24, -v31
	s_delay_alu instid0(VALU_DEP_1) | instskip(NEXT) | instid1(VALU_DEP_1)
	v_fmac_f32_e32 v20, 0x33a22168, v24
	v_fmac_f32_e32 v20, 0x3fc90fda, v13
	s_delay_alu instid0(VALU_DEP_1)
	v_dual_add_f32 v13, v31, v20 :: v_dual_add_nc_u32 v20, v28, v11
	s_and_not1_saveexec_b32 s2, s33
	s_cbranch_execnz .LBB94_137
	s_branch .LBB94_138
.LBB94_136:                             ;   in Loop: Header=BB94_7 Depth=1
	s_and_not1_saveexec_b32 s2, s33
.LBB94_137:                             ;   in Loop: Header=BB94_7 Depth=1
	v_mul_f32_e64 v11, 0x3f22f983, |v4|
	s_delay_alu instid0(VALU_DEP_1) | instskip(NEXT) | instid1(VALU_DEP_1)
	v_rndne_f32_e32 v11, v11
	v_fma_f32 v13, 0xbfc90fda, v11, |v4|
	v_cvt_i32_f32_e32 v20, v11
	s_delay_alu instid0(VALU_DEP_2) | instskip(NEXT) | instid1(VALU_DEP_1)
	v_fmac_f32_e32 v13, 0xb3a22168, v11
	v_fmac_f32_e32 v13, 0xa7c234c4, v11
.LBB94_138:                             ;   in Loop: Header=BB94_7 Depth=1
	s_or_b32 exec_lo, exec_lo, s2
	v_dual_mul_f32 v11, v3, v3 :: v_dual_bitop2_b32 v16, 1, v12 bitop3:0x40
	s_delay_alu instid0(VALU_DEP_2) | instskip(SKIP_1) | instid1(VALU_DEP_3)
	v_dual_mul_f32 v29, v13, v13 :: v_dual_lshlrev_b32 v12, 30, v12
	v_mul_f32_e64 v22, 0xbfb8aa3b, |v5|
	v_fmaak_f32 v24, s26, v11, 0x3c0881c4
	s_delay_alu instid0(VALU_DEP_4) | instskip(NEXT) | instid1(VALU_DEP_4)
	v_cmp_eq_u32_e32 vcc_lo, 0, v16
	v_bitop3_b32 v2, v2, v12, 0x80000000 bitop3:0x78
	v_fmaak_f32 v31, s26, v29, 0x3c0881c4
	v_rndne_f32_e32 v12, v22
	v_fma_f32 v30, 0xbfb8aa3b, |v5|, -v22
	s_delay_alu instid0(VALU_DEP_3) | instskip(NEXT) | instid1(VALU_DEP_3)
	v_dual_fmaak_f32 v24, v11, v24, 0xbe2aaa9d :: v_dual_fmaak_f32 v31, v29, v31, 0xbe2aaa9d
	v_sub_f32_e32 v22, v22, v12
	s_delay_alu instid0(VALU_DEP_3) | instskip(NEXT) | instid1(VALU_DEP_3)
	v_fma_f32 v30, 0xb2a5705f, |v5|, v30
	v_mul_f32_e32 v24, v11, v24
	v_cvt_i32_f32_e32 v12, v12
	s_delay_alu instid0(VALU_DEP_3) | instskip(NEXT) | instid1(VALU_DEP_3)
	v_add_f32_e32 v22, v22, v30
	v_dual_fmaak_f32 v28, s27, v11, 0xbab64f3b :: v_dual_fmac_f32 v3, v3, v24
	s_delay_alu instid0(VALU_DEP_2) | instskip(NEXT) | instid1(VALU_DEP_1)
	v_exp_f32_e32 v16, v22
	v_fmaak_f32 v28, v11, v28, 0x3d2aabf7
	s_delay_alu instid0(VALU_DEP_1) | instskip(NEXT) | instid1(VALU_DEP_1)
	v_fmaak_f32 v28, v11, v28, 0xbf000004
	v_fma_f32 v11, v11, v28, 1.0
	v_mul_f32_e32 v28, v29, v31
	v_fmaak_f32 v32, s27, v29, 0xbab64f3b
	s_delay_alu instid0(VALU_DEP_2) | instskip(NEXT) | instid1(VALU_DEP_2)
	v_dual_cndmask_b32 v3, v11, v3, vcc_lo :: v_dual_fmac_f32 v13, v13, v28
	v_fmaak_f32 v24, v29, v32, 0x3d2aabf7
	s_delay_alu instid0(VALU_DEP_2) | instskip(SKIP_1) | instid1(VALU_DEP_2)
	v_xor3_b32 v2, v2, v3, v4
	v_ldexp_f32 v3, v16, v12
	v_dual_fmaak_f32 v11, v29, v24, 0xbf000004 :: v_dual_mul_f32 v2, 4.0, v2
	s_delay_alu instid0(VALU_DEP_1) | instskip(SKIP_1) | instid1(VALU_DEP_1)
	v_fma_f32 v11, v29, v11, 1.0
	v_and_b32_e32 v22, 1, v20
	v_cmp_eq_u32_e32 vcc_lo, 0, v22
	s_delay_alu instid0(VALU_DEP_3) | instskip(SKIP_3) | instid1(VALU_DEP_2)
	v_cndmask_b32_e64 v4, -v13, v11, vcc_lo
	v_cmp_nlt_f32_e64 vcc_lo, 0x42ce8ed0, |v5|
	v_cndmask_b32_e32 v3, 0, v3, vcc_lo
	v_cmp_ngt_f32_e64 vcc_lo, 0xc2b17218, |v5|
	v_cndmask_b32_e32 v3, 0x7f800000, v3, vcc_lo
	v_lshlrev_b32_e32 v11, 30, v20
	s_delay_alu instid0(VALU_DEP_1) | instskip(NEXT) | instid1(VALU_DEP_1)
	v_bitop3_b32 v4, v11, v4, 0x80000000 bitop3:0x6c
	v_mul_f32_e32 v2, v2, v4
	v_xor_b32_e32 v4, 0x80000000, v5
	s_delay_alu instid0(VALU_DEP_2) | instskip(NEXT) | instid1(VALU_DEP_2)
	v_mul_f32_e32 v2, v3, v2
	v_bfi_b32 v13, 0x7fffffff, 1.0, v4
	s_delay_alu instid0(VALU_DEP_2)
	v_mul_f32_e32 v12, v3, v2
.LBB94_139:                             ;   in Loop: Header=BB94_7 Depth=1
	s_or_b32 exec_lo, exec_lo, s31
                                        ; implicit-def: $vgpr2_vgpr3_vgpr4_vgpr5
.LBB94_140:                             ;   in Loop: Header=BB94_7 Depth=1
	s_and_not1_saveexec_b32 s2, s30
; %bb.141:                              ;   in Loop: Header=BB94_7 Depth=1
	v_sub_f32_e32 v12, v4, v4
	s_delay_alu instid0(VALU_DEP_1)
	v_mov_b32_e32 v13, v12
; %bb.142:                              ;   in Loop: Header=BB94_7 Depth=1
	s_or_b32 exec_lo, exec_lo, s2
                                        ; implicit-def: $vgpr2_vgpr3_vgpr4_vgpr5
.LBB94_143:                             ;   in Loop: Header=BB94_7 Depth=1
	s_and_not1_saveexec_b32 s29, s29
	s_cbranch_execz .LBB94_6
; %bb.144:                              ;   in Loop: Header=BB94_7 Depth=1
	v_xor_b32_e32 v13, 0x80000000, v5
	s_mov_b32 s2, exec_lo
	s_delay_alu instid0(VALU_DEP_1) | instskip(NEXT) | instid1(VALU_DEP_1)
	v_and_b32_e32 v2, 0x7fffff, v13
	v_cmpx_ne_u32_e32 0, v2
	s_xor_b32 s2, exec_lo, s2
; %bb.145:                              ;   in Loop: Header=BB94_7 Depth=1
	v_mul_f32_e64 v2, v4, -v5
	v_cmp_eq_f32_e32 vcc_lo, 0, v4
	s_delay_alu instid0(VALU_DEP_2)
	v_cndmask_b32_e32 v12, v2, v4, vcc_lo
                                        ; implicit-def: $vgpr2_vgpr3_vgpr4_vgpr5
; %bb.146:                              ;   in Loop: Header=BB94_7 Depth=1
	s_and_not1_saveexec_b32 s30, s2
	s_cbranch_execz .LBB94_5
; %bb.147:                              ;   in Loop: Header=BB94_7 Depth=1
	s_mov_b32 s31, exec_lo
	v_cmpx_neq_f32_e64 0x7f800000, |v4|
	s_cbranch_execz .LBB94_4
; %bb.148:                              ;   in Loop: Header=BB94_7 Depth=1
	v_and_b32_e32 v2, 0x7fffffff, v4
	v_cmp_ngt_f32_e64 s33, 0x48000000, |v4|
                                        ; implicit-def: $vgpr5
	s_delay_alu instid0(VALU_DEP_2) | instskip(SKIP_1) | instid1(VALU_DEP_2)
	v_lshrrev_b32_e32 v3, 23, v2
	v_and_or_b32 v16, v2, s22, 0x800000
	v_add_nc_u32_e32 v11, 0xffffff88, v3
                                        ; implicit-def: $vgpr3
	s_and_saveexec_b32 s2, s33
	s_delay_alu instid0(SALU_CYCLE_1)
	s_xor_b32 s34, exec_lo, s2
	s_cbranch_execz .LBB94_150
; %bb.149:                              ;   in Loop: Header=BB94_7 Depth=1
	v_mul_u64_e32 v[28:29], s[12:13], v[16:17]
	v_mov_b32_e32 v31, v17
	v_cmp_lt_u32_e32 vcc_lo, 63, v11
	v_mov_b32_e32 v41, v17
	v_cndmask_b32_e64 v3, 0, 0xffffffc0, vcc_lo
	s_delay_alu instid0(VALU_DEP_1) | instskip(NEXT) | instid1(VALU_DEP_1)
	v_add_nc_u32_e32 v3, v3, v11
	v_cmp_lt_u32_e64 s2, 31, v3
	s_delay_alu instid0(VALU_DEP_1) | instskip(NEXT) | instid1(VALU_DEP_1)
	v_cndmask_b32_e64 v5, 0, 0xffffffe0, s2
	v_add_nc_u32_e32 v3, v5, v3
	v_mov_b32_e32 v30, v29
	s_delay_alu instid0(VALU_DEP_2) | instskip(NEXT) | instid1(VALU_DEP_2)
	v_cmp_lt_u32_e64 s3, 31, v3
	v_mad_nc_u64_u32 v[30:31], 0x3c439041, v16, v[30:31]
	v_mov_b32_e32 v33, v17
	s_delay_alu instid0(VALU_DEP_3) | instskip(NEXT) | instid1(VALU_DEP_3)
	v_cndmask_b32_e64 v5, 0, 0xffffffe0, s3
	v_mov_b32_e32 v32, v31
	s_delay_alu instid0(VALU_DEP_1) | instskip(NEXT) | instid1(VALU_DEP_1)
	v_mad_nc_u64_u32 v[32:33], 0xdb629599, v16, v[32:33]
	v_dual_mov_b32 v35, v17 :: v_dual_mov_b32 v34, v33
	s_delay_alu instid0(VALU_DEP_2) | instskip(NEXT) | instid1(VALU_DEP_2)
	v_cndmask_b32_e32 v28, v32, v28, vcc_lo
	v_mad_nc_u64_u32 v[34:35], 0xf534ddc0, v16, v[34:35]
	v_mov_b32_e32 v37, v17
	s_delay_alu instid0(VALU_DEP_2) | instskip(NEXT) | instid1(VALU_DEP_3)
	v_dual_add_nc_u32 v3, v5, v3 :: v_dual_cndmask_b32 v5, v34, v30, vcc_lo
	v_mov_b32_e32 v36, v35
	s_delay_alu instid0(VALU_DEP_1) | instskip(NEXT) | instid1(VALU_DEP_1)
	v_mad_nc_u64_u32 v[36:37], 0xfc2757d1, v16, v[36:37]
	v_dual_mov_b32 v39, v17 :: v_dual_mov_b32 v38, v37
	s_delay_alu instid0(VALU_DEP_2) | instskip(NEXT) | instid1(VALU_DEP_2)
	v_cndmask_b32_e32 v24, v36, v32, vcc_lo
	v_mad_nc_u64_u32 v[38:39], 0x4e441529, v16, v[38:39]
	s_delay_alu instid0(VALU_DEP_1) | instskip(NEXT) | instid1(VALU_DEP_1)
	v_mov_b32_e32 v40, v39
	v_mad_nc_u64_u32 v[40:41], 0xa2f9836e, v16, v[40:41]
	s_delay_alu instid0(VALU_DEP_1) | instskip(NEXT) | instid1(VALU_DEP_2)
	v_dual_cndmask_b32 v12, v38, v34, vcc_lo :: v_dual_cndmask_b32 v20, v40, v36, vcc_lo
	v_cndmask_b32_e32 v22, v41, v38, vcc_lo
	v_cmp_eq_u32_e32 vcc_lo, 0, v3
	s_delay_alu instid0(VALU_DEP_3) | instskip(NEXT) | instid1(VALU_DEP_3)
	v_cndmask_b32_e64 v29, v20, v12, s2
	v_cndmask_b32_e64 v20, v22, v20, s2
	v_dual_cndmask_b32 v12, v12, v24, s2 :: v_dual_sub_nc_u32 v22, 32, v3
	v_dual_cndmask_b32 v24, v24, v5, s2 :: v_dual_cndmask_b32 v5, v5, v28, s2
	s_delay_alu instid0(VALU_DEP_2) | instskip(NEXT) | instid1(VALU_DEP_2)
	v_dual_cndmask_b32 v20, v20, v29, s3 :: v_dual_cndmask_b32 v29, v29, v12, s3
	v_cndmask_b32_e64 v12, v12, v24, s3
	s_delay_alu instid0(VALU_DEP_3) | instskip(NEXT) | instid1(VALU_DEP_3)
	v_cndmask_b32_e64 v5, v24, v5, s3
	v_alignbit_b32 v30, v20, v29, v22
	s_delay_alu instid0(VALU_DEP_3) | instskip(NEXT) | instid1(VALU_DEP_3)
	v_alignbit_b32 v31, v29, v12, v22
	v_alignbit_b32 v22, v12, v5, v22
	s_delay_alu instid0(VALU_DEP_2) | instskip(NEXT) | instid1(VALU_DEP_2)
	v_dual_cndmask_b32 v3, v30, v20 :: v_dual_cndmask_b32 v20, v31, v29
	v_cndmask_b32_e32 v12, v22, v12, vcc_lo
	s_delay_alu instid0(VALU_DEP_2) | instskip(NEXT) | instid1(VALU_DEP_3)
	v_bfe_u32 v28, v3, 29, 1
	v_alignbit_b32 v24, v3, v20, 30
	s_delay_alu instid0(VALU_DEP_3) | instskip(SKIP_1) | instid1(VALU_DEP_4)
	v_alignbit_b32 v20, v20, v12, 30
	v_alignbit_b32 v5, v12, v5, 30
	v_sub_nc_u32_e32 v29, 0, v28
	s_delay_alu instid0(VALU_DEP_1) | instskip(NEXT) | instid1(VALU_DEP_4)
	v_xor_b32_e32 v24, v24, v29
	v_xor_b32_e32 v12, v20, v29
	s_delay_alu instid0(VALU_DEP_4) | instskip(NEXT) | instid1(VALU_DEP_3)
	v_dual_lshrrev_b32 v29, 29, v3 :: v_dual_bitop2_b32 v5, v5, v29 bitop3:0x14
	v_clz_i32_u32_e32 v22, v24
	s_delay_alu instid0(VALU_DEP_1) | instskip(NEXT) | instid1(VALU_DEP_1)
	v_min_u32_e32 v22, 32, v22
	v_dual_sub_nc_u32 v20, 31, v22 :: v_dual_lshlrev_b32 v30, 23, v22
	s_delay_alu instid0(VALU_DEP_1) | instskip(SKIP_2) | instid1(VALU_DEP_2)
	v_alignbit_b32 v24, v24, v12, v20
	v_alignbit_b32 v5, v12, v5, v20
	v_lshlrev_b32_e32 v12, 31, v29
	v_alignbit_b32 v20, v24, v5, 9
	s_delay_alu instid0(VALU_DEP_2) | instskip(SKIP_2) | instid1(VALU_DEP_4)
	v_or_b32_e32 v29, 0.5, v12
	v_lshrrev_b32_e32 v24, 9, v24
	v_or_b32_e32 v12, 0x33000000, v12
	v_clz_i32_u32_e32 v31, v20
	s_delay_alu instid0(VALU_DEP_4) | instskip(NEXT) | instid1(VALU_DEP_2)
	v_sub_nc_u32_e32 v29, v29, v30
	v_min_u32_e32 v30, 32, v31
	s_delay_alu instid0(VALU_DEP_2) | instskip(NEXT) | instid1(VALU_DEP_2)
	v_or_b32_e32 v24, v24, v29
	v_not_b32_e32 v29, v30
	v_add_lshl_u32 v22, v30, v22, 23
	s_delay_alu instid0(VALU_DEP_2) | instskip(NEXT) | instid1(VALU_DEP_1)
	v_alignbit_b32 v5, v20, v5, v29
	v_dual_sub_nc_u32 v12, v12, v22 :: v_dual_lshrrev_b32 v5, 9, v5
	s_delay_alu instid0(VALU_DEP_1) | instskip(SKIP_1) | instid1(VALU_DEP_1)
	v_or_b32_e32 v5, v12, v5
	v_mul_f32_e32 v31, 0x3fc90fda, v24
	v_fma_f32 v20, 0x3fc90fda, v24, -v31
	s_delay_alu instid0(VALU_DEP_1) | instskip(NEXT) | instid1(VALU_DEP_1)
	v_fmac_f32_e32 v20, 0x33a22168, v24
	v_dual_fmac_f32 v20, 0x3fc90fda, v5 :: v_dual_lshrrev_b32 v5, 30, v3
	s_delay_alu instid0(VALU_DEP_1)
	v_dual_add_f32 v3, v31, v20 :: v_dual_add_nc_u32 v5, v28, v5
.LBB94_150:                             ;   in Loop: Header=BB94_7 Depth=1
	s_or_saveexec_b32 s2, s34
	v_mul_f32_e64 v12, 0x3f22f983, |v4|
	s_delay_alu instid0(VALU_DEP_1)
	v_rndne_f32_e32 v22, v12
	s_xor_b32 exec_lo, exec_lo, s2
; %bb.151:                              ;   in Loop: Header=BB94_7 Depth=1
	s_delay_alu instid0(VALU_DEP_1) | instskip(SKIP_1) | instid1(VALU_DEP_2)
	v_fma_f32 v3, 0xbfc90fda, v22, |v4|
	v_cvt_i32_f32_e32 v5, v22
	v_fmac_f32_e32 v3, 0xb3a22168, v22
	s_delay_alu instid0(VALU_DEP_1)
	v_fmac_f32_e32 v3, 0xa7c234c4, v22
; %bb.152:                              ;   in Loop: Header=BB94_7 Depth=1
	s_or_b32 exec_lo, exec_lo, s2
                                        ; implicit-def: $vgpr20
                                        ; implicit-def: $vgpr12
	s_and_saveexec_b32 s2, s33
	s_delay_alu instid0(SALU_CYCLE_1)
	s_xor_b32 s33, exec_lo, s2
	s_cbranch_execz .LBB94_154
; %bb.153:                              ;   in Loop: Header=BB94_7 Depth=1
	v_mul_u64_e32 v[28:29], s[12:13], v[16:17]
	v_mov_b32_e32 v31, v17
	v_cmp_lt_u32_e32 vcc_lo, 63, v11
	v_mov_b32_e32 v41, v17
	v_cndmask_b32_e64 v12, 0, 0xffffffc0, vcc_lo
	s_delay_alu instid0(VALU_DEP_1) | instskip(NEXT) | instid1(VALU_DEP_1)
	v_add_nc_u32_e32 v11, v12, v11
	v_cmp_lt_u32_e64 s2, 31, v11
	s_delay_alu instid0(VALU_DEP_1) | instskip(NEXT) | instid1(VALU_DEP_1)
	v_cndmask_b32_e64 v12, 0, 0xffffffe0, s2
	v_dual_mov_b32 v30, v29 :: v_dual_add_nc_u32 v11, v12, v11
	s_delay_alu instid0(VALU_DEP_1) | instskip(NEXT) | instid1(VALU_DEP_2)
	v_cmp_lt_u32_e64 s3, 31, v11
	v_mad_nc_u64_u32 v[30:31], 0x3c439041, v16, v[30:31]
	v_mov_b32_e32 v33, v17
	s_delay_alu instid0(VALU_DEP_3) | instskip(NEXT) | instid1(VALU_DEP_3)
	v_cndmask_b32_e64 v12, 0, 0xffffffe0, s3
	v_mov_b32_e32 v32, v31
	s_delay_alu instid0(VALU_DEP_1) | instskip(NEXT) | instid1(VALU_DEP_1)
	v_mad_nc_u64_u32 v[32:33], 0xdb629599, v16, v[32:33]
	v_dual_mov_b32 v35, v17 :: v_dual_mov_b32 v34, v33
	s_delay_alu instid0(VALU_DEP_2) | instskip(NEXT) | instid1(VALU_DEP_2)
	v_cndmask_b32_e32 v28, v32, v28, vcc_lo
	v_mad_nc_u64_u32 v[34:35], 0xf534ddc0, v16, v[34:35]
	v_dual_mov_b32 v37, v17 :: v_dual_add_nc_u32 v11, v12, v11
	s_delay_alu instid0(VALU_DEP_2) | instskip(NEXT) | instid1(VALU_DEP_1)
	v_dual_cndmask_b32 v12, v34, v30, vcc_lo :: v_dual_mov_b32 v36, v35
	v_mad_nc_u64_u32 v[36:37], 0xfc2757d1, v16, v[36:37]
	s_delay_alu instid0(VALU_DEP_1) | instskip(NEXT) | instid1(VALU_DEP_2)
	v_dual_mov_b32 v39, v17 :: v_dual_mov_b32 v38, v37
	v_cndmask_b32_e32 v24, v36, v32, vcc_lo
	s_delay_alu instid0(VALU_DEP_2) | instskip(NEXT) | instid1(VALU_DEP_1)
	v_mad_nc_u64_u32 v[38:39], 0x4e441529, v16, v[38:39]
	v_mov_b32_e32 v40, v39
	s_delay_alu instid0(VALU_DEP_1) | instskip(NEXT) | instid1(VALU_DEP_1)
	v_mad_nc_u64_u32 v[40:41], 0xa2f9836e, v16, v[40:41]
	v_dual_cndmask_b32 v16, v38, v34, vcc_lo :: v_dual_cndmask_b32 v20, v40, v36, vcc_lo
	s_delay_alu instid0(VALU_DEP_2) | instskip(SKIP_1) | instid1(VALU_DEP_3)
	v_cndmask_b32_e32 v22, v41, v38, vcc_lo
	v_cmp_eq_u32_e32 vcc_lo, 0, v11
	v_cndmask_b32_e64 v29, v20, v16, s2
	s_delay_alu instid0(VALU_DEP_3) | instskip(SKIP_3) | instid1(VALU_DEP_3)
	v_cndmask_b32_e64 v20, v22, v20, s2
	v_dual_cndmask_b32 v16, v16, v24, s2 :: v_dual_sub_nc_u32 v22, 32, v11
	v_cndmask_b32_e64 v24, v24, v12, s2
	v_cndmask_b32_e64 v12, v12, v28, s2
	v_dual_cndmask_b32 v20, v20, v29, s3 :: v_dual_cndmask_b32 v29, v29, v16, s3
	s_delay_alu instid0(VALU_DEP_1) | instskip(NEXT) | instid1(VALU_DEP_1)
	v_alignbit_b32 v30, v20, v29, v22
	v_cndmask_b32_e32 v11, v30, v20, vcc_lo
	v_cndmask_b32_e64 v16, v16, v24, s3
	s_delay_alu instid0(VALU_DEP_2) | instskip(NEXT) | instid1(VALU_DEP_2)
	v_bfe_u32 v28, v11, 29, 1
	v_alignbit_b32 v31, v29, v16, v22
	s_delay_alu instid0(VALU_DEP_1) | instskip(SKIP_1) | instid1(VALU_DEP_2)
	v_dual_cndmask_b32 v20, v31, v29 :: v_dual_sub_nc_u32 v29, 0, v28
	v_cndmask_b32_e64 v12, v24, v12, s3
	v_alignbit_b32 v24, v11, v20, 30
	s_delay_alu instid0(VALU_DEP_2) | instskip(NEXT) | instid1(VALU_DEP_1)
	v_alignbit_b32 v22, v16, v12, v22
	v_dual_cndmask_b32 v16, v22, v16, vcc_lo :: v_dual_bitop2_b32 v24, v24, v29 bitop3:0x14
	s_delay_alu instid0(VALU_DEP_1) | instskip(NEXT) | instid1(VALU_DEP_1)
	v_clz_i32_u32_e32 v22, v24
	v_min_u32_e32 v22, 32, v22
	s_delay_alu instid0(VALU_DEP_1) | instskip(NEXT) | instid1(VALU_DEP_4)
	v_lshlrev_b32_e32 v30, 23, v22
	v_alignbit_b32 v12, v16, v12, 30
	s_delay_alu instid0(VALU_DEP_1) | instskip(SKIP_1) | instid1(VALU_DEP_1)
	v_xor_b32_e32 v12, v12, v29
	v_alignbit_b32 v20, v20, v16, 30
	v_dual_sub_nc_u32 v20, 31, v22 :: v_dual_bitop2_b32 v16, v20, v29 bitop3:0x14
	v_dual_lshrrev_b32 v29, 29, v11 :: v_dual_lshrrev_b32 v11, 30, v11
	s_delay_alu instid0(VALU_DEP_2) | instskip(SKIP_1) | instid1(VALU_DEP_3)
	v_alignbit_b32 v24, v24, v16, v20
	v_alignbit_b32 v12, v16, v12, v20
	v_lshlrev_b32_e32 v16, 31, v29
	s_delay_alu instid0(VALU_DEP_2) | instskip(NEXT) | instid1(VALU_DEP_2)
	v_alignbit_b32 v20, v24, v12, 9
	v_or_b32_e32 v29, 0.5, v16
	v_lshrrev_b32_e32 v24, 9, v24
	v_or_b32_e32 v16, 0x33000000, v16
	s_delay_alu instid0(VALU_DEP_4) | instskip(NEXT) | instid1(VALU_DEP_4)
	v_clz_i32_u32_e32 v31, v20
	v_sub_nc_u32_e32 v29, v29, v30
	s_delay_alu instid0(VALU_DEP_2) | instskip(NEXT) | instid1(VALU_DEP_2)
	v_min_u32_e32 v30, 32, v31
	v_or_b32_e32 v24, v24, v29
	s_delay_alu instid0(VALU_DEP_2) | instskip(SKIP_1) | instid1(VALU_DEP_2)
	v_not_b32_e32 v29, v30
	v_add_lshl_u32 v22, v30, v22, 23
	v_alignbit_b32 v12, v20, v12, v29
	s_delay_alu instid0(VALU_DEP_2) | instskip(NEXT) | instid1(VALU_DEP_2)
	v_sub_nc_u32_e32 v16, v16, v22
                                        ; implicit-def: $vgpr22
	v_lshrrev_b32_e32 v12, 9, v12
	v_mul_f32_e32 v31, 0x3fc90fda, v24
	s_delay_alu instid0(VALU_DEP_2) | instskip(NEXT) | instid1(VALU_DEP_2)
	v_or_b32_e32 v12, v16, v12
	v_fma_f32 v20, 0x3fc90fda, v24, -v31
	s_delay_alu instid0(VALU_DEP_1) | instskip(NEXT) | instid1(VALU_DEP_1)
	v_fmac_f32_e32 v20, 0x33a22168, v24
	v_fmac_f32_e32 v20, 0x3fc90fda, v12
	s_delay_alu instid0(VALU_DEP_1)
	v_dual_add_f32 v12, v31, v20 :: v_dual_add_nc_u32 v20, v28, v11
	s_and_not1_saveexec_b32 s2, s33
	s_cbranch_execz .LBB94_3
	s_branch .LBB94_155
.LBB94_154:                             ;   in Loop: Header=BB94_7 Depth=1
	s_and_not1_saveexec_b32 s2, s33
	s_cbranch_execz .LBB94_3
.LBB94_155:                             ;   in Loop: Header=BB94_7 Depth=1
	v_fma_f32 v12, 0xbfc90fda, v22, |v4|
	v_cvt_i32_f32_e32 v20, v22
	s_delay_alu instid0(VALU_DEP_2) | instskip(NEXT) | instid1(VALU_DEP_1)
	v_fmac_f32_e32 v12, 0xb3a22168, v22
	v_fmac_f32_e32 v12, 0xa7c234c4, v22
	s_branch .LBB94_3
.LBB94_156:
	s_or_b32 exec_lo, exec_lo, s14
	s_mov_b32 s2, 0
.LBB94_157:
	s_delay_alu instid0(SALU_CYCLE_1)
	s_and_not1_b32 vcc_lo, exec_lo, s2
	s_cbranch_vccnz .LBB94_329
; %bb.158:
	v_cmp_lt_i64_e64 s2, s[4:5], 1
	s_and_b32 vcc_lo, exec_lo, s2
	s_cbranch_vccnz .LBB94_329
; %bb.159:
	v_min_i64 v[2:3], 0x10000, s[4:5]
	v_min_u64 v[4:5], 0x10000, s[4:5]
	s_load_b32 s0, s[0:1], 0xc5c
	v_dual_mov_b32 v7, 0 :: v_dual_mov_b32 v9, 1.0
	v_mov_b32_e32 v11, 0x3f317218
	v_mov_b32_e32 v13, -1.0
	s_mov_b32 s11, 0
	s_delay_alu instid0(VALU_DEP_3)
	v_mov_b32_e32 v1, v7
	s_mov_b64 s[12:13], 0
	s_mov_b32 s22, 0x7fffff
	s_mov_b64 s[14:15], 0xfe5163ab
	s_mov_b32 s17, s11
	s_mov_b32 s19, s11
	;; [unrolled: 1-line block ×6, first 2 shown]
	s_mov_b32 s23, -1.0
	s_mov_b32 s27, 0xb94c1982
	s_mov_b32 s28, 0x37d75334
	s_wait_kmcnt 0x0
	s_and_b32 s10, s0, 0xffff
	s_delay_alu instid0(SALU_CYCLE_1)
	s_lshl_b32 s16, s10, 1
	s_mul_i32 s18, s10, 3
	s_lshl_b32 s20, s10, 2
	s_branch .LBB94_161
.LBB94_160:                             ;   in Loop: Header=BB94_161 Depth=1
	s_wait_xcnt 0x0
	s_or_b32 exec_lo, exec_lo, s0
	s_add_nc_u64 s[12:13], s[12:13], s[20:21]
	s_delay_alu instid0(SALU_CYCLE_1)
	v_cmp_ge_i64_e32 vcc_lo, s[12:13], v[2:3]
	s_cbranch_vccnz .LBB94_329
.LBB94_161:                             ; =>This Inner Loop Header: Depth=1
	v_add_nc_u64_e32 v[14:15], s[12:13], v[0:1]
	v_dual_mov_b32 v28, 0 :: v_dual_mov_b32 v29, 0
	s_wait_xcnt 0x0
	s_delay_alu instid0(VALU_DEP_2)
	v_cmp_lt_u64_e64 s0, v[14:15], v[4:5]
	s_and_saveexec_b32 s1, s0
	s_cbranch_execz .LBB94_163
; %bb.162:                              ;   in Loop: Header=BB94_161 Depth=1
	v_lshl_add_u64 v[16:17], v[14:15], 3, s[6:7]
	global_load_b64 v[28:29], v[16:17], off
.LBB94_163:                             ;   in Loop: Header=BB94_161 Depth=1
	s_wait_xcnt 0x0
	s_or_b32 exec_lo, exec_lo, s1
	v_add_nc_u64_e32 v[16:17], s[10:11], v[14:15]
	v_dual_mov_b32 v26, 0 :: v_dual_mov_b32 v30, 0
	v_mov_b32_e32 v31, 0
	s_delay_alu instid0(VALU_DEP_3)
	v_cmp_lt_u64_e64 s1, v[16:17], v[4:5]
	s_and_saveexec_b32 s2, s1
	s_cbranch_execz .LBB94_165
; %bb.164:                              ;   in Loop: Header=BB94_161 Depth=1
	v_lshl_add_u64 v[18:19], v[16:17], 3, s[6:7]
	global_load_b64 v[30:31], v[18:19], off
.LBB94_165:                             ;   in Loop: Header=BB94_161 Depth=1
	s_wait_xcnt 0x0
	s_or_b32 exec_lo, exec_lo, s2
	v_add_nc_u64_e32 v[18:19], s[16:17], v[14:15]
	v_mov_b32_e32 v27, 0
	s_delay_alu instid0(VALU_DEP_2)
	v_cmp_lt_u64_e64 s2, v[18:19], v[4:5]
	s_and_saveexec_b32 s3, s2
	s_cbranch_execz .LBB94_167
; %bb.166:                              ;   in Loop: Header=BB94_161 Depth=1
	v_lshl_add_u64 v[20:21], v[18:19], 3, s[6:7]
	global_load_b64 v[26:27], v[20:21], off
.LBB94_167:                             ;   in Loop: Header=BB94_161 Depth=1
	s_wait_xcnt 0x0
	s_or_b32 exec_lo, exec_lo, s3
	v_add_nc_u64_e32 v[20:21], s[18:19], v[14:15]
	v_dual_mov_b32 v22, 0 :: v_dual_mov_b32 v23, 0
	s_delay_alu instid0(VALU_DEP_2)
	v_cmp_lt_u64_e64 s3, v[20:21], v[4:5]
	s_and_saveexec_b32 s4, s3
	s_cbranch_execz .LBB94_169
; %bb.168:                              ;   in Loop: Header=BB94_161 Depth=1
	v_lshl_add_u64 v[22:23], v[20:21], 3, s[6:7]
	global_load_b64 v[22:23], v[22:23], off
.LBB94_169:                             ;   in Loop: Header=BB94_161 Depth=1
	s_wait_xcnt 0x0
	s_or_b32 exec_lo, exec_lo, s4
	s_wait_loadcnt 0x0
	v_and_b32_e32 v10, 0x7fffffff, v29
                                        ; implicit-def: $vgpr24
                                        ; implicit-def: $vgpr25
	s_mov_b32 s4, exec_lo
	s_delay_alu instid0(VALU_DEP_1)
	v_cmpx_gt_u32_e32 0x7f800000, v10
	s_xor_b32 s29, exec_lo, s4
	s_cbranch_execz .LBB94_190
; %bb.170:                              ;   in Loop: Header=BB94_161 Depth=1
	v_cmp_class_f32_e64 s4, v28, 0x1f8
                                        ; implicit-def: $vgpr24
                                        ; implicit-def: $vgpr25
	s_and_saveexec_b32 s5, s4
	s_delay_alu instid0(SALU_CYCLE_1)
	s_xor_b32 s30, exec_lo, s5
	s_cbranch_execz .LBB94_187
; %bb.171:                              ;   in Loop: Header=BB94_161 Depth=1
	v_and_b32_e32 v32, 0x7fffffff, v28
                                        ; implicit-def: $vgpr24
                                        ; implicit-def: $vgpr25
	s_mov_b32 s4, exec_lo
	v_cmpx_gt_u32_e32 0x41300000, v10
	s_xor_b32 s31, exec_lo, s4
	s_cbranch_execz .LBB94_177
; %bb.172:                              ;   in Loop: Header=BB94_161 Depth=1
                                        ; implicit-def: $vgpr6
                                        ; implicit-def: $vgpr24
	s_mov_b32 s5, exec_lo
	v_cmpx_ngt_f32_e64 0x48000000, |v28|
	s_xor_b32 s33, exec_lo, s5
	s_cbranch_execz .LBB94_174
; %bb.173:                              ;   in Loop: Header=BB94_161 Depth=1
	v_and_or_b32 v6, v32, s22, 0x800000
	v_dual_mov_b32 v43, v7 :: v_dual_lshrrev_b32 v8, 23, v32
	v_mov_b32_e32 v45, v7
	s_delay_alu instid0(VALU_DEP_3) | instskip(NEXT) | instid1(VALU_DEP_3)
	v_mul_u64_e32 v[24:25], s[14:15], v[6:7]
	v_dual_mov_b32 v35, v7 :: v_dual_add_nc_u32 v8, 0xffffff88, v8
	s_delay_alu instid0(VALU_DEP_1) | instskip(SKIP_1) | instid1(VALU_DEP_1)
	v_cmp_lt_u32_e32 vcc_lo, 63, v8
	v_cndmask_b32_e64 v12, 0, 0xffffffc0, vcc_lo
	v_add_nc_u32_e32 v8, v12, v8
	s_delay_alu instid0(VALU_DEP_1) | instskip(NEXT) | instid1(VALU_DEP_1)
	v_cmp_lt_u32_e64 s4, 31, v8
	v_cndmask_b32_e64 v12, 0, 0xffffffe0, s4
	v_mov_b32_e32 v34, v25
	s_delay_alu instid0(VALU_DEP_1) | instskip(NEXT) | instid1(VALU_DEP_1)
	v_mad_nc_u64_u32 v[34:35], 0x3c439041, v6, v[34:35]
	v_dual_mov_b32 v37, v7 :: v_dual_mov_b32 v36, v35
	s_delay_alu instid0(VALU_DEP_1) | instskip(NEXT) | instid1(VALU_DEP_1)
	v_mad_nc_u64_u32 v[36:37], 0xdb629599, v6, v[36:37]
	v_dual_mov_b32 v39, v7 :: v_dual_mov_b32 v38, v37
	;; [unrolled: 3-line block ×3, first 2 shown]
	s_delay_alu instid0(VALU_DEP_1) | instskip(NEXT) | instid1(VALU_DEP_1)
	v_mad_nc_u64_u32 v[40:41], 0xfc2757d1, v6, v[40:41]
	v_dual_mov_b32 v42, v41 :: v_dual_cndmask_b32 v35, v40, v36
	s_delay_alu instid0(VALU_DEP_1) | instskip(NEXT) | instid1(VALU_DEP_1)
	v_mad_nc_u64_u32 v[42:43], 0x4e441529, v6, v[42:43]
	v_mov_b32_e32 v44, v43
	s_delay_alu instid0(VALU_DEP_1) | instskip(NEXT) | instid1(VALU_DEP_3)
	v_mad_nc_u64_u32 v[44:45], 0xa2f9836e, v6, v[44:45]
	v_dual_add_nc_u32 v6, v12, v8 :: v_dual_cndmask_b32 v12, v42, v38, vcc_lo
	s_delay_alu instid0(VALU_DEP_1) | instskip(NEXT) | instid1(VALU_DEP_1)
	v_cmp_lt_u32_e64 s5, 31, v6
	v_cndmask_b32_e64 v8, 0, 0xffffffe0, s5
	s_delay_alu instid0(VALU_DEP_4) | instskip(NEXT) | instid1(VALU_DEP_2)
	v_dual_cndmask_b32 v25, v44, v40, vcc_lo :: v_dual_cndmask_b32 v33, v45, v42, vcc_lo
	v_add_nc_u32_e32 v6, v8, v6
	s_delay_alu instid0(VALU_DEP_2) | instskip(NEXT) | instid1(VALU_DEP_3)
	v_dual_cndmask_b32 v8, v38, v34, vcc_lo :: v_dual_cndmask_b32 v34, v25, v12, s4
	v_dual_cndmask_b32 v25, v33, v25, s4 :: v_dual_cndmask_b32 v12, v12, v35, s4
	s_delay_alu instid0(VALU_DEP_2) | instskip(NEXT) | instid1(VALU_DEP_2)
	v_dual_sub_nc_u32 v33, 32, v6 :: v_dual_cndmask_b32 v35, v35, v8, s4
	v_dual_cndmask_b32 v25, v25, v34, s5 :: v_dual_cndmask_b32 v34, v34, v12, s5
	s_delay_alu instid0(VALU_DEP_2) | instskip(NEXT) | instid1(VALU_DEP_2)
	v_cndmask_b32_e64 v12, v12, v35, s5
	v_alignbit_b32 v37, v25, v34, v33
	v_cndmask_b32_e32 v24, v36, v24, vcc_lo
	v_cmp_eq_u32_e32 vcc_lo, 0, v6
	s_delay_alu instid0(VALU_DEP_4) | instskip(NEXT) | instid1(VALU_DEP_4)
	v_alignbit_b32 v36, v34, v12, v33
	v_cndmask_b32_e32 v6, v37, v25, vcc_lo
	s_delay_alu instid0(VALU_DEP_1) | instskip(SKIP_1) | instid1(VALU_DEP_1)
	v_bfe_u32 v25, v6, 29, 1
	v_cndmask_b32_e64 v8, v8, v24, s4
	v_dual_cndmask_b32 v24, v36, v34, vcc_lo :: v_dual_cndmask_b32 v8, v35, v8, s5
	s_delay_alu instid0(VALU_DEP_1) | instskip(NEXT) | instid1(VALU_DEP_4)
	v_alignbit_b32 v34, v6, v24, 30
	v_sub_nc_u32_e32 v35, 0, v25
	s_delay_alu instid0(VALU_DEP_3) | instskip(NEXT) | instid1(VALU_DEP_1)
	v_alignbit_b32 v33, v12, v8, v33
	v_dual_cndmask_b32 v12, v33, v12, vcc_lo :: v_dual_bitop2_b32 v34, v34, v35 bitop3:0x14
	s_delay_alu instid0(VALU_DEP_1) | instskip(NEXT) | instid1(VALU_DEP_2)
	v_clz_i32_u32_e32 v33, v34
	v_alignbit_b32 v24, v24, v12, 30
	v_alignbit_b32 v8, v12, v8, 30
	s_delay_alu instid0(VALU_DEP_3) | instskip(NEXT) | instid1(VALU_DEP_3)
	v_min_u32_e32 v33, 32, v33
	v_xor_b32_e32 v12, v24, v35
	s_delay_alu instid0(VALU_DEP_3) | instskip(NEXT) | instid1(VALU_DEP_3)
	v_dual_lshrrev_b32 v35, 29, v6 :: v_dual_bitop2_b32 v8, v8, v35 bitop3:0x14
	v_dual_sub_nc_u32 v24, 31, v33 :: v_dual_lshlrev_b32 v36, 23, v33
	v_lshrrev_b32_e32 v6, 30, v6
	s_delay_alu instid0(VALU_DEP_2) | instskip(NEXT) | instid1(VALU_DEP_4)
	v_alignbit_b32 v34, v34, v12, v24
	v_alignbit_b32 v8, v12, v8, v24
	s_delay_alu instid0(VALU_DEP_3) | instskip(NEXT) | instid1(VALU_DEP_2)
	v_dual_lshlrev_b32 v12, 31, v35 :: v_dual_add_nc_u32 v6, v25, v6
	v_alignbit_b32 v24, v34, v8, 9
	s_delay_alu instid0(VALU_DEP_2) | instskip(SKIP_1) | instid1(VALU_DEP_3)
	v_dual_lshrrev_b32 v34, 9, v34 :: v_dual_bitop2_b32 v35, 0.5, v12 bitop3:0x54
	v_or_b32_e32 v12, 0x33000000, v12
	v_clz_i32_u32_e32 v37, v24
	s_delay_alu instid0(VALU_DEP_3) | instskip(NEXT) | instid1(VALU_DEP_2)
	v_sub_nc_u32_e32 v35, v35, v36
	v_min_u32_e32 v36, 32, v37
	s_delay_alu instid0(VALU_DEP_1) | instskip(NEXT) | instid1(VALU_DEP_1)
	v_add_lshl_u32 v33, v36, v33, 23
	v_dual_sub_nc_u32 v12, v12, v33 :: v_dual_bitop2_b32 v34, v34, v35 bitop3:0x54
	v_not_b32_e32 v35, v36
	s_delay_alu instid0(VALU_DEP_1) | instskip(NEXT) | instid1(VALU_DEP_1)
	v_alignbit_b32 v8, v24, v8, v35
	v_lshrrev_b32_e32 v8, 9, v8
	s_delay_alu instid0(VALU_DEP_1) | instskip(SKIP_1) | instid1(VALU_DEP_1)
	v_or_b32_e32 v8, v12, v8
	v_mul_f32_e32 v37, 0x3fc90fda, v34
	v_fma_f32 v24, 0x3fc90fda, v34, -v37
	s_delay_alu instid0(VALU_DEP_1) | instskip(NEXT) | instid1(VALU_DEP_1)
	v_fmac_f32_e32 v24, 0x33a22168, v34
	v_fmac_f32_e32 v24, 0x3fc90fda, v8
	s_delay_alu instid0(VALU_DEP_1)
	v_add_f32_e32 v24, v37, v24
.LBB94_174:                             ;   in Loop: Header=BB94_161 Depth=1
	s_and_not1_saveexec_b32 s4, s33
; %bb.175:                              ;   in Loop: Header=BB94_161 Depth=1
	v_mul_f32_e64 v6, 0x3f22f983, |v28|
	s_delay_alu instid0(VALU_DEP_1) | instskip(NEXT) | instid1(VALU_DEP_1)
	v_rndne_f32_e32 v6, v6
	v_fma_f32 v24, 0xbfc90fda, v6, |v28|
	s_delay_alu instid0(VALU_DEP_1) | instskip(NEXT) | instid1(VALU_DEP_1)
	v_fmac_f32_e32 v24, 0xb3a22168, v6
	v_fmac_f32_e32 v24, 0xa7c234c4, v6
	v_cvt_i32_f32_e32 v6, v6
; %bb.176:                              ;   in Loop: Header=BB94_161 Depth=1
	s_or_b32 exec_lo, exec_lo, s4
	v_add_f32_e64 v8, 0xbf317218, |v29|
	v_cmp_nlt_f32_e64 vcc_lo, 0x42b2d4fc, |v29|
	v_cmp_gt_f32_e64 s4, 0x39800000, |v29|
	s_delay_alu instid0(VALU_DEP_3) | instskip(NEXT) | instid1(VALU_DEP_1)
	v_sub_f32_e64 v35, v8, |v29|
	v_sub_f32_e32 v34, v35, v8
	s_delay_alu instid0(VALU_DEP_1) | instskip(NEXT) | instid1(VALU_DEP_1)
	v_pk_add_f32 v[34:35], v[10:11], v[34:35]
	v_sub_f32_e32 v10, v34, v35
	s_delay_alu instid0(VALU_DEP_1) | instskip(NEXT) | instid1(VALU_DEP_1)
	v_add_f32_e32 v10, 0x3102e308, v10
	v_add_f32_e32 v12, v8, v10
	s_delay_alu instid0(VALU_DEP_1) | instskip(NEXT) | instid1(VALU_DEP_1)
	v_dual_mul_f32 v25, 0x3fb8aa3b, v12 :: v_dual_sub_f32 v8, v8, v12
	v_rndne_f32_e32 v25, v25
	s_delay_alu instid0(VALU_DEP_1) | instskip(NEXT) | instid1(VALU_DEP_3)
	v_fmac_f32_e32 v12, 0xbf317200, v25
	v_add_f32_e32 v8, v10, v8
	v_mul_f32_e32 v10, 0x35bfbc00, v25
	v_mul_f32_e32 v37, 0x2ea39ef3, v25
	s_delay_alu instid0(VALU_DEP_3) | instskip(NEXT) | instid1(VALU_DEP_1)
	v_add_f32_e32 v33, v8, v12
	v_dual_sub_f32 v34, v33, v10 :: v_dual_sub_f32 v12, v12, v33
	s_delay_alu instid0(VALU_DEP_1) | instskip(NEXT) | instid1(VALU_DEP_1)
	v_dual_sub_f32 v33, v33, v34 :: v_dual_add_f32 v8, v8, v12
	v_sub_f32_e32 v10, v33, v10
	s_delay_alu instid0(VALU_DEP_1) | instskip(NEXT) | instid1(VALU_DEP_1)
	v_add_f32_e32 v8, v8, v10
	v_add_f32_e32 v35, v34, v8
	s_delay_alu instid0(VALU_DEP_1) | instskip(NEXT) | instid1(VALU_DEP_1)
	v_mov_b32_e32 v36, v35
	v_pk_add_f32 v[38:39], v[34:35], v[36:37] neg_lo:[0,1] neg_hi:[0,1]
	s_delay_alu instid0(VALU_DEP_1) | instskip(NEXT) | instid1(VALU_DEP_1)
	v_dual_sub_f32 v10, v35, v39 :: v_dual_add_f32 v8, v8, v38
	v_sub_f32_e32 v10, v10, v37
	s_delay_alu instid0(VALU_DEP_1) | instskip(NEXT) | instid1(VALU_DEP_1)
	v_add_f32_e32 v8, v8, v10
	v_add_f32_e32 v10, v39, v8
	s_delay_alu instid0(VALU_DEP_1) | instskip(SKIP_1) | instid1(VALU_DEP_2)
	v_sub_f32_e32 v12, v39, v10
	v_mov_b64_e32 v[38:39], s[22:23]
	v_add_f32_e32 v8, v8, v12
	s_delay_alu instid0(VALU_DEP_1) | instskip(SKIP_1) | instid1(VALU_DEP_2)
	v_dual_add_f32 v35, v8, v8 :: v_dual_mul_f32 v33, v10, v10
	v_fmaak_f32 v12, s26, v10, 0x3c091de6
	v_fma_f32 v34, v10, v10, -v33
	s_delay_alu instid0(VALU_DEP_1) | instskip(NEXT) | instid1(VALU_DEP_1)
	v_fmac_f32_e32 v34, v10, v35
	v_dual_fmaak_f32 v12, v10, v12, 0x3d2aadcc :: v_dual_add_f32 v35, v33, v34
	s_delay_alu instid0(VALU_DEP_1) | instskip(NEXT) | instid1(VALU_DEP_1)
	v_dual_fmaak_f32 v12, v10, v12, 0x3e2aaa47 :: v_dual_sub_f32 v33, v35, v33
	v_fmaak_f32 v12, v10, v12, 0x3efffffc
	s_delay_alu instid0(VALU_DEP_1) | instskip(NEXT) | instid1(VALU_DEP_1)
	v_dual_sub_f32 v33, v34, v33 :: v_dual_mul_f32 v36, v12, v35
	v_fma_f32 v34, v35, v12, -v36
	s_delay_alu instid0(VALU_DEP_1) | instskip(NEXT) | instid1(VALU_DEP_1)
	v_fmac_f32_e32 v34, v33, v12
	v_add_f32_e32 v33, v36, v34
	s_delay_alu instid0(VALU_DEP_1) | instskip(NEXT) | instid1(VALU_DEP_1)
	v_add_f32_e32 v12, v10, v33
	v_dual_sub_f32 v10, v12, v10 :: v_dual_sub_f32 v35, v33, v36
	s_delay_alu instid0(VALU_DEP_1) | instskip(NEXT) | instid1(VALU_DEP_1)
	v_dual_sub_f32 v10, v33, v10 :: v_dual_sub_f32 v34, v34, v35
	v_add_f32_e32 v8, v8, v34
	s_delay_alu instid0(VALU_DEP_1) | instskip(SKIP_1) | instid1(VALU_DEP_2)
	v_add_f32_e32 v34, v8, v10
	v_cvt_i32_f32_e32 v10, v25
	v_add_f32_e32 v36, v12, v34
	s_delay_alu instid0(VALU_DEP_1) | instskip(NEXT) | instid1(VALU_DEP_1)
	v_dual_add_f32 v37, 1.0, v36 :: v_dual_mov_b32 v35, v36
	v_pk_add_f32 v[38:39], v[36:37], v[38:39]
	v_pk_add_f32 v[40:41], v[36:37], v[12:13] neg_lo:[0,1] neg_hi:[0,1]
	s_delay_alu instid0(VALU_DEP_2) | instskip(NEXT) | instid1(VALU_DEP_1)
	v_mov_b32_e32 v41, v39
	v_pk_add_f32 v[34:35], v[34:35], v[40:41] neg_lo:[0,1] neg_hi:[0,1]
	s_delay_alu instid0(VALU_DEP_1) | instskip(NEXT) | instid1(VALU_DEP_1)
	v_add_f32_e32 v8, v34, v35
	v_add_f32_e32 v12, v37, v8
	s_delay_alu instid0(VALU_DEP_1) | instskip(NEXT) | instid1(VALU_DEP_1)
	v_ldexp_f32 v25, v12, v10
	v_rcp_f32_e32 v33, v25
	v_nop
	s_delay_alu instid0(TRANS32_DEP_1) | instskip(NEXT) | instid1(VALU_DEP_1)
	v_mul_f32_e32 v34, v25, v33
	v_fma_f32 v36, v33, v25, -v34
	v_sub_f32_e32 v12, v12, v37
	s_delay_alu instid0(VALU_DEP_1) | instskip(NEXT) | instid1(VALU_DEP_1)
	v_sub_f32_e32 v8, v8, v12
	v_ldexp_f32 v10, v8, v10
	s_delay_alu instid0(VALU_DEP_1) | instskip(NEXT) | instid1(VALU_DEP_1)
	v_fmac_f32_e32 v36, v33, v10
	v_add_f32_e32 v8, v34, v36
	s_delay_alu instid0(VALU_DEP_1) | instskip(NEXT) | instid1(VALU_DEP_1)
	v_dual_sub_f32 v35, 1.0, v8 :: v_dual_mov_b32 v37, v8
	v_pk_add_f32 v[38:39], v[8:9], v[34:35] neg_lo:[0,1] neg_hi:[0,1]
	s_delay_alu instid0(VALU_DEP_1) | instskip(NEXT) | instid1(VALU_DEP_1)
	v_pk_add_f32 v[36:37], v[38:39], v[36:37] neg_lo:[0,1] neg_hi:[0,1]
	v_add_f32_e32 v8, v36, v37
	s_delay_alu instid0(VALU_DEP_1) | instskip(NEXT) | instid1(VALU_DEP_1)
	v_add_f32_e32 v37, v35, v8
	v_mul_f32_e32 v12, v33, v37
	s_delay_alu instid0(VALU_DEP_1) | instskip(NEXT) | instid1(VALU_DEP_1)
	v_mul_f32_e32 v38, v25, v12
	v_fma_f32 v34, v12, v25, -v38
	s_delay_alu instid0(VALU_DEP_1) | instskip(NEXT) | instid1(VALU_DEP_1)
	v_dual_fmac_f32 v34, v12, v10 :: v_dual_sub_f32 v40, v35, v37
	v_dual_add_f32 v36, v38, v34 :: v_dual_add_f32 v8, v8, v40
	s_delay_alu instid0(VALU_DEP_1) | instskip(NEXT) | instid1(VALU_DEP_1)
	v_dual_sub_f32 v39, v37, v36 :: v_dual_mov_b32 v35, v36
	v_pk_add_f32 v[36:37], v[36:37], v[38:39] neg_lo:[0,1] neg_hi:[0,1]
	s_delay_alu instid0(VALU_DEP_1) | instskip(NEXT) | instid1(VALU_DEP_1)
	v_pk_add_f32 v[34:35], v[36:37], v[34:35] neg_lo:[0,1] neg_hi:[0,1]
	v_dual_add_f32 v8, v8, v35 :: v_dual_add_f32 v35, v33, v12
	s_delay_alu instid0(VALU_DEP_1) | instskip(NEXT) | instid1(VALU_DEP_1)
	v_dual_add_f32 v8, v34, v8 :: v_dual_sub_f32 v34, v35, v33
	v_dual_sub_f32 v12, v12, v34 :: v_dual_add_f32 v8, v39, v8
	s_delay_alu instid0(VALU_DEP_1) | instskip(NEXT) | instid1(VALU_DEP_1)
	v_mul_f32_e32 v8, v33, v8
	v_add_f32_e32 v8, v12, v8
	s_delay_alu instid0(VALU_DEP_1) | instskip(NEXT) | instid1(VALU_DEP_1)
	v_add_f32_e32 v12, v35, v8
	v_ldexp_f32 v33, v12, -2
	s_delay_alu instid0(VALU_DEP_1) | instskip(NEXT) | instid1(VALU_DEP_1)
	v_dual_sub_f32 v12, v12, v35 :: v_dual_sub_f32 v34, v25, v33
	v_dual_sub_f32 v25, v25, v34 :: v_dual_sub_f32 v8, v8, v12
	s_delay_alu instid0(VALU_DEP_1) | instskip(NEXT) | instid1(VALU_DEP_2)
	v_sub_f32_e32 v12, v25, v33
	v_ldexp_f32 v8, v8, -2
	v_xor_b32_e32 v25, 0x80000000, v29
	s_delay_alu instid0(VALU_DEP_3) | instskip(NEXT) | instid1(VALU_DEP_1)
	v_add_f32_e32 v10, v10, v12
	v_sub_f32_e32 v8, v10, v8
	v_mul_f32_e32 v10, v24, v24
	s_delay_alu instid0(VALU_DEP_2) | instskip(NEXT) | instid1(VALU_DEP_1)
	v_add_f32_e32 v8, v34, v8
	v_cndmask_b32_e32 v8, 0x7f800000, v8, vcc_lo
	s_delay_alu instid0(VALU_DEP_1) | instskip(NEXT) | instid1(VALU_DEP_4)
	v_cndmask_b32_e64 v8, v8, |v29|, s4
	v_fmaak_f32 v29, s24, v10, 0x3ec54587
	s_delay_alu instid0(VALU_DEP_2) | instskip(SKIP_1) | instid1(VALU_DEP_1)
	v_bfi_b32 v25, 0x7fffffff, v8, v25
	v_fmaak_f32 v12, s25, v10, 0xbf039337
	v_fmaak_f32 v12, v10, v12, 0x3f93f425
	s_delay_alu instid0(VALU_DEP_1) | instskip(SKIP_1) | instid1(TRANS32_DEP_1)
	v_rcp_f32_e32 v12, v12
	v_nop
	v_mul_f32_e32 v8, v29, v12
	v_fma_f32 v12, v25, v25, 1.0
	s_delay_alu instid0(VALU_DEP_1) | instskip(NEXT) | instid1(VALU_DEP_3)
	v_cmp_gt_f32_e32 vcc_lo, 0xf800000, v12
	v_mul_f32_e32 v8, v10, v8
	v_mul_f32_e32 v10, 0x4f800000, v12
	s_delay_alu instid0(VALU_DEP_1) | instskip(NEXT) | instid1(VALU_DEP_3)
	v_cndmask_b32_e32 v10, v12, v10, vcc_lo
	v_fma_f32 v29, v8, v24, v24
	s_delay_alu instid0(VALU_DEP_2) | instskip(NEXT) | instid1(VALU_DEP_1)
	v_sqrt_f32_e32 v34, v10
	v_sub_f32_e32 v33, v29, v24
	s_delay_alu instid0(VALU_DEP_1) | instskip(SKIP_1) | instid1(TRANS32_DEP_2)
	v_fma_f32 v8, v8, v24, -v33
	v_rcp_f32_e32 v12, v29
	v_add_nc_u32_e32 v33, -1, v34
	s_delay_alu instid0(TRANS32_DEP_1) | instskip(NEXT) | instid1(VALU_DEP_1)
	v_fma_f32 v24, v29, -v12, 1.0
	v_dual_fma_f32 v8, v8, -v12, v24 :: v_dual_add_nc_u32 v24, 1, v34
	s_delay_alu instid0(VALU_DEP_1) | instskip(NEXT) | instid1(VALU_DEP_1)
	v_dual_fma_f32 v35, -v33, v34, v10 :: v_dual_fma_f32 v8, v8, -v12, -v12
	v_cmp_ge_f32_e64 s4, 0, v35
	s_delay_alu instid0(VALU_DEP_1) | instskip(NEXT) | instid1(VALU_DEP_4)
	v_dual_cndmask_b32 v33, v34, v33, s4 :: v_dual_bitop2_b32 v6, 1, v6 bitop3:0x40
	v_fma_f32 v12, -v24, v34, v10
	s_delay_alu instid0(VALU_DEP_2) | instskip(NEXT) | instid1(VALU_DEP_1)
	v_cmp_eq_u32_e64 s4, 0, v6
	v_cndmask_b32_e64 v6, v8, v29, s4
	s_delay_alu instid0(VALU_DEP_3) | instskip(NEXT) | instid1(VALU_DEP_1)
	v_cmp_lt_f32_e64 s4, 0, v12
	v_cndmask_b32_e64 v8, v33, v24, s4
	s_delay_alu instid0(VALU_DEP_1) | instskip(NEXT) | instid1(VALU_DEP_1)
	v_mul_f32_e32 v12, 0x37800000, v8
	v_cndmask_b32_e32 v8, v8, v12, vcc_lo
	v_xor3_b32 v6, v32, v6, v28
	v_cmp_class_f32_e64 vcc_lo, v10, 0x260
	s_delay_alu instid0(VALU_DEP_2) | instskip(NEXT) | instid1(VALU_DEP_1)
	v_fma_f32 v28, v6, v6, 1.0
	v_dual_cndmask_b32 v24, v8, v10 :: v_dual_mul_f32 v29, v25, v28
	s_delay_alu instid0(VALU_DEP_1) | instskip(NEXT) | instid1(VALU_DEP_1)
	v_pk_mul_f32 v[28:29], v[24:25], v[28:29]
	v_dual_add_f32 v10, 1.0, v29 :: v_dual_mul_f32 v8, v25, v28
	s_delay_alu instid0(VALU_DEP_1) | instskip(NEXT) | instid1(VALU_DEP_1)
	v_div_scale_f32 v24, null, v10, v10, v6
	v_rcp_f32_e32 v28, v24
	v_nop
	s_delay_alu instid0(TRANS32_DEP_1) | instskip(NEXT) | instid1(VALU_DEP_1)
	v_fma_f32 v32, -v24, v28, 1.0
	v_fmac_f32_e32 v28, v32, v28
	v_div_scale_f32 v12, null, v10, v10, v8
	v_div_scale_f32 v33, vcc_lo, v8, v10, v8
	s_delay_alu instid0(VALU_DEP_2) | instskip(SKIP_1) | instid1(TRANS32_DEP_1)
	v_rcp_f32_e32 v25, v12
	v_nop
	v_fma_f32 v29, -v12, v25, 1.0
	s_delay_alu instid0(VALU_DEP_1) | instskip(SKIP_1) | instid1(VALU_DEP_1)
	v_fmac_f32_e32 v25, v29, v25
	v_div_scale_f32 v29, s4, v6, v10, v6
	v_mul_f32_e32 v34, v29, v28
	s_delay_alu instid0(VALU_DEP_1) | instskip(NEXT) | instid1(VALU_DEP_1)
	v_dual_mul_f32 v32, v33, v25 :: v_dual_fma_f32 v36, -v24, v34, v29
	v_fma_f32 v35, -v12, v32, v33
	s_delay_alu instid0(VALU_DEP_1) | instskip(NEXT) | instid1(VALU_DEP_1)
	v_dual_fmac_f32 v32, v35, v25 :: v_dual_fmac_f32 v34, v36, v28
	v_fma_f32 v12, -v12, v32, v33
	s_delay_alu instid0(VALU_DEP_2) | instskip(NEXT) | instid1(VALU_DEP_2)
	v_fma_f32 v24, -v24, v34, v29
	v_div_fmas_f32 v12, v12, v25, v32
	s_mov_b32 vcc_lo, s4
                                        ; implicit-def: $vgpr32
	s_delay_alu instid0(VALU_DEP_2) | instskip(NEXT) | instid1(VALU_DEP_2)
	v_div_fmas_f32 v24, v24, v28, v34
                                        ; implicit-def: $vgpr28
	v_div_fixup_f32 v25, v12, v10, v8
	s_delay_alu instid0(VALU_DEP_2)
	v_div_fixup_f32 v24, v24, v10, v6
.LBB94_177:                             ;   in Loop: Header=BB94_161 Depth=1
	s_and_not1_saveexec_b32 s31, s31
	s_cbranch_execz .LBB94_197
; %bb.178:                              ;   in Loop: Header=BB94_161 Depth=1
	v_cmp_ngt_f32_e64 s33, 0x48000000, |v28|
                                        ; implicit-def: $vgpr10
                                        ; implicit-def: $vgpr8
	s_and_saveexec_b32 s4, s33
	s_delay_alu instid0(SALU_CYCLE_1)
	s_xor_b32 s34, exec_lo, s4
	s_cbranch_execz .LBB94_180
; %bb.179:                              ;   in Loop: Header=BB94_161 Depth=1
	v_and_or_b32 v6, v32, s22, 0x800000
	v_dual_mov_b32 v43, v7 :: v_dual_lshrrev_b32 v8, 23, v32
	v_mov_b32_e32 v45, v7
	s_delay_alu instid0(VALU_DEP_3) | instskip(NEXT) | instid1(VALU_DEP_3)
	v_mul_u64_e32 v[24:25], s[14:15], v[6:7]
	v_dual_mov_b32 v35, v7 :: v_dual_add_nc_u32 v8, 0xffffff88, v8
	s_delay_alu instid0(VALU_DEP_1) | instskip(SKIP_1) | instid1(VALU_DEP_1)
	v_cmp_lt_u32_e32 vcc_lo, 63, v8
	v_cndmask_b32_e64 v10, 0, 0xffffffc0, vcc_lo
	v_add_nc_u32_e32 v8, v10, v8
	s_delay_alu instid0(VALU_DEP_1) | instskip(NEXT) | instid1(VALU_DEP_1)
	v_cmp_lt_u32_e64 s4, 31, v8
	v_cndmask_b32_e64 v10, 0, 0xffffffe0, s4
	v_mov_b32_e32 v34, v25
	s_delay_alu instid0(VALU_DEP_1) | instskip(NEXT) | instid1(VALU_DEP_1)
	v_mad_nc_u64_u32 v[34:35], 0x3c439041, v6, v[34:35]
	v_dual_mov_b32 v37, v7 :: v_dual_mov_b32 v36, v35
	s_delay_alu instid0(VALU_DEP_1) | instskip(NEXT) | instid1(VALU_DEP_1)
	v_mad_nc_u64_u32 v[36:37], 0xdb629599, v6, v[36:37]
	v_dual_mov_b32 v39, v7 :: v_dual_mov_b32 v38, v37
	s_delay_alu instid0(VALU_DEP_2) | instskip(NEXT) | instid1(VALU_DEP_2)
	v_cndmask_b32_e32 v24, v36, v24, vcc_lo
	v_mad_nc_u64_u32 v[38:39], 0xf534ddc0, v6, v[38:39]
	s_delay_alu instid0(VALU_DEP_1) | instskip(NEXT) | instid1(VALU_DEP_1)
	v_dual_mov_b32 v41, v7 :: v_dual_mov_b32 v40, v39
	v_mad_nc_u64_u32 v[40:41], 0xfc2757d1, v6, v[40:41]
	s_delay_alu instid0(VALU_DEP_1) | instskip(NEXT) | instid1(VALU_DEP_1)
	v_dual_mov_b32 v42, v41 :: v_dual_cndmask_b32 v33, v40, v36
	v_mad_nc_u64_u32 v[42:43], 0x4e441529, v6, v[42:43]
	s_delay_alu instid0(VALU_DEP_1) | instskip(NEXT) | instid1(VALU_DEP_1)
	v_mov_b32_e32 v44, v43
	v_mad_nc_u64_u32 v[44:45], 0xa2f9836e, v6, v[44:45]
	v_add_nc_u32_e32 v6, v10, v8
	s_delay_alu instid0(VALU_DEP_4) | instskip(NEXT) | instid1(VALU_DEP_2)
	v_cndmask_b32_e32 v10, v42, v38, vcc_lo
	v_cmp_lt_u32_e64 s5, 31, v6
	s_delay_alu instid0(VALU_DEP_1) | instskip(SKIP_1) | instid1(VALU_DEP_2)
	v_cndmask_b32_e64 v8, 0, 0xffffffe0, s5
	v_dual_cndmask_b32 v12, v44, v40 :: v_dual_cndmask_b32 v25, v45, v42
	v_add_nc_u32_e32 v6, v8, v6
	v_cndmask_b32_e32 v8, v38, v34, vcc_lo
	s_delay_alu instid0(VALU_DEP_3) | instskip(NEXT) | instid1(VALU_DEP_4)
	v_dual_cndmask_b32 v34, v12, v10, s4 :: v_dual_cndmask_b32 v10, v10, v33, s4
	v_cndmask_b32_e64 v12, v25, v12, s4
	s_delay_alu instid0(VALU_DEP_4) | instskip(NEXT) | instid1(VALU_DEP_2)
	v_cmp_eq_u32_e32 vcc_lo, 0, v6
	v_cndmask_b32_e64 v12, v12, v34, s5
	v_dual_sub_nc_u32 v25, 32, v6 :: v_dual_cndmask_b32 v33, v33, v8, s4
	v_dual_cndmask_b32 v34, v34, v10, s5 :: v_dual_cndmask_b32 v8, v8, v24, s4
	s_delay_alu instid0(VALU_DEP_1) | instskip(NEXT) | instid1(VALU_DEP_1)
	v_alignbit_b32 v35, v12, v34, v25
	v_dual_cndmask_b32 v10, v10, v33, s5 :: v_dual_cndmask_b32 v6, v35, v12, vcc_lo
	s_delay_alu instid0(VALU_DEP_1) | instskip(NEXT) | instid1(VALU_DEP_2)
	v_alignbit_b32 v36, v34, v10, v25
	v_bfe_u32 v24, v6, 29, 1
	s_delay_alu instid0(VALU_DEP_1) | instskip(SKIP_1) | instid1(VALU_DEP_2)
	v_dual_cndmask_b32 v12, v36, v34, vcc_lo :: v_dual_sub_nc_u32 v34, 0, v24
	v_cndmask_b32_e64 v8, v33, v8, s5
	v_alignbit_b32 v33, v6, v12, 30
	s_delay_alu instid0(VALU_DEP_2) | instskip(NEXT) | instid1(VALU_DEP_2)
	v_alignbit_b32 v25, v10, v8, v25
	v_xor_b32_e32 v33, v33, v34
	s_delay_alu instid0(VALU_DEP_2) | instskip(NEXT) | instid1(VALU_DEP_2)
	v_cndmask_b32_e32 v10, v25, v10, vcc_lo
	v_clz_i32_u32_e32 v25, v33
	s_delay_alu instid0(VALU_DEP_1) | instskip(NEXT) | instid1(VALU_DEP_1)
	v_min_u32_e32 v25, 32, v25
	v_lshlrev_b32_e32 v35, 23, v25
	s_delay_alu instid0(VALU_DEP_4) | instskip(SKIP_1) | instid1(VALU_DEP_2)
	v_alignbit_b32 v12, v12, v10, 30
	v_alignbit_b32 v8, v10, v8, 30
	v_dual_sub_nc_u32 v12, 31, v25 :: v_dual_bitop2_b32 v10, v12, v34 bitop3:0x14
	s_delay_alu instid0(VALU_DEP_2) | instskip(NEXT) | instid1(VALU_DEP_2)
	v_xor_b32_e32 v8, v8, v34
	v_alignbit_b32 v33, v33, v10, v12
	v_lshrrev_b32_e32 v34, 29, v6
	s_delay_alu instid0(VALU_DEP_3) | instskip(SKIP_1) | instid1(VALU_DEP_2)
	v_alignbit_b32 v8, v10, v8, v12
	v_lshrrev_b32_e32 v6, 30, v6
	v_alignbit_b32 v12, v33, v8, 9
	s_delay_alu instid0(VALU_DEP_4) | instskip(NEXT) | instid1(VALU_DEP_2)
	v_dual_lshrrev_b32 v33, 9, v33 :: v_dual_lshlrev_b32 v10, 31, v34
	v_clz_i32_u32_e32 v36, v12
	s_delay_alu instid0(VALU_DEP_2) | instskip(SKIP_1) | instid1(VALU_DEP_2)
	v_or_b32_e32 v34, 0.5, v10
	v_or_b32_e32 v10, 0x33000000, v10
	v_sub_nc_u32_e32 v34, v34, v35
	s_delay_alu instid0(VALU_DEP_4) | instskip(NEXT) | instid1(VALU_DEP_2)
	v_min_u32_e32 v35, 32, v36
	v_or_b32_e32 v33, v33, v34
	s_delay_alu instid0(VALU_DEP_2) | instskip(SKIP_1) | instid1(VALU_DEP_2)
	v_not_b32_e32 v34, v35
	v_add_lshl_u32 v25, v35, v25, 23
	v_alignbit_b32 v8, v12, v8, v34
	s_delay_alu instid0(VALU_DEP_1) | instskip(SKIP_1) | instid1(VALU_DEP_2)
	v_dual_sub_nc_u32 v10, v10, v25 :: v_dual_lshrrev_b32 v8, 9, v8
	v_mul_f32_e32 v36, 0x3fc90fda, v33
	v_or_b32_e32 v8, v10, v8
	s_delay_alu instid0(VALU_DEP_2) | instskip(SKIP_1) | instid1(VALU_DEP_2)
	v_fma_f32 v12, 0x3fc90fda, v33, -v36
	v_add_nc_u32_e32 v10, v24, v6
	v_fmac_f32_e32 v12, 0x33a22168, v33
	s_delay_alu instid0(VALU_DEP_1) | instskip(NEXT) | instid1(VALU_DEP_1)
	v_fmac_f32_e32 v12, 0x3fc90fda, v8
	v_add_f32_e32 v8, v36, v12
	s_and_not1_saveexec_b32 s4, s34
	s_branch .LBB94_181
.LBB94_180:                             ;   in Loop: Header=BB94_161 Depth=1
	s_and_not1_saveexec_b32 s4, s34
.LBB94_181:                             ;   in Loop: Header=BB94_161 Depth=1
	v_mul_f32_e64 v6, 0x3f22f983, |v28|
	s_delay_alu instid0(VALU_DEP_1) | instskip(NEXT) | instid1(VALU_DEP_1)
	v_rndne_f32_e32 v6, v6
	v_fma_f32 v8, 0xbfc90fda, v6, |v28|
	v_cvt_i32_f32_e32 v10, v6
	s_delay_alu instid0(VALU_DEP_2) | instskip(NEXT) | instid1(VALU_DEP_1)
	v_fmac_f32_e32 v8, 0xb3a22168, v6
	v_fmac_f32_e32 v8, 0xa7c234c4, v6
; %bb.182:                              ;   in Loop: Header=BB94_161 Depth=1
	s_or_b32 exec_lo, exec_lo, s4
                                        ; implicit-def: $vgpr12
                                        ; implicit-def: $vgpr6
	s_and_saveexec_b32 s4, s33
	s_delay_alu instid0(SALU_CYCLE_1)
	s_xor_b32 s33, exec_lo, s4
	s_cbranch_execz .LBB94_184
; %bb.183:                              ;   in Loop: Header=BB94_161 Depth=1
	v_and_or_b32 v6, v32, s22, 0x800000
	v_dual_mov_b32 v43, v7 :: v_dual_lshrrev_b32 v12, 23, v32
	v_mov_b32_e32 v45, v7
	s_delay_alu instid0(VALU_DEP_3) | instskip(NEXT) | instid1(VALU_DEP_1)
	v_mul_u64_e32 v[24:25], s[14:15], v[6:7]
	v_dual_mov_b32 v35, v7 :: v_dual_mov_b32 v34, v25
	s_delay_alu instid0(VALU_DEP_1) | instskip(NEXT) | instid1(VALU_DEP_1)
	v_mad_nc_u64_u32 v[34:35], 0x3c439041, v6, v[34:35]
	v_dual_mov_b32 v37, v7 :: v_dual_mov_b32 v36, v35
	s_delay_alu instid0(VALU_DEP_1) | instskip(NEXT) | instid1(VALU_DEP_1)
	v_mad_nc_u64_u32 v[36:37], 0xdb629599, v6, v[36:37]
	v_dual_mov_b32 v39, v7 :: v_dual_mov_b32 v38, v37
	s_delay_alu instid0(VALU_DEP_1) | instskip(NEXT) | instid1(VALU_DEP_1)
	v_mad_nc_u64_u32 v[38:39], 0xf534ddc0, v6, v[38:39]
	v_dual_mov_b32 v41, v7 :: v_dual_mov_b32 v40, v39
	s_delay_alu instid0(VALU_DEP_1) | instskip(NEXT) | instid1(VALU_DEP_1)
	v_mad_nc_u64_u32 v[40:41], 0xfc2757d1, v6, v[40:41]
	v_mov_b32_e32 v42, v41
	s_delay_alu instid0(VALU_DEP_1) | instskip(SKIP_1) | instid1(VALU_DEP_1)
	v_mad_nc_u64_u32 v[42:43], 0x4e441529, v6, v[42:43]
	v_add_nc_u32_e32 v12, 0xffffff88, v12
	v_cmp_lt_u32_e32 vcc_lo, 63, v12
	v_cndmask_b32_e64 v25, 0, 0xffffffc0, vcc_lo
	s_delay_alu instid0(VALU_DEP_4) | instskip(NEXT) | instid1(VALU_DEP_2)
	v_dual_mov_b32 v44, v43 :: v_dual_cndmask_b32 v24, v36, v24, vcc_lo
	v_add_nc_u32_e32 v12, v25, v12
	s_delay_alu instid0(VALU_DEP_2) | instskip(NEXT) | instid1(VALU_DEP_2)
	v_mad_nc_u64_u32 v[44:45], 0xa2f9836e, v6, v[44:45]
	v_cmp_lt_u32_e64 s4, 31, v12
	s_delay_alu instid0(VALU_DEP_1) | instskip(NEXT) | instid1(VALU_DEP_3)
	v_cndmask_b32_e64 v25, 0, 0xffffffe0, s4
	v_dual_cndmask_b32 v33, v44, v40, vcc_lo :: v_dual_cndmask_b32 v35, v45, v42, vcc_lo
	s_delay_alu instid0(VALU_DEP_2) | instskip(SKIP_1) | instid1(VALU_DEP_2)
	v_dual_cndmask_b32 v25, v42, v38 :: v_dual_add_nc_u32 v6, v25, v12
	v_cndmask_b32_e32 v37, v40, v36, vcc_lo
	v_cmp_lt_u32_e64 s5, 31, v6
	s_delay_alu instid0(VALU_DEP_1) | instskip(NEXT) | instid1(VALU_DEP_1)
	v_cndmask_b32_e64 v12, 0, 0xffffffe0, s5
	v_add_nc_u32_e32 v6, v12, v6
	v_dual_cndmask_b32 v12, v38, v34, vcc_lo :: v_dual_cndmask_b32 v34, v33, v25, s4
	v_cndmask_b32_e64 v33, v35, v33, s4
	s_delay_alu instid0(VALU_DEP_3) | instskip(NEXT) | instid1(VALU_DEP_3)
	v_dual_cndmask_b32 v25, v25, v37, s4 :: v_dual_sub_nc_u32 v35, 32, v6
	v_cndmask_b32_e64 v37, v37, v12, s4
	v_cmp_eq_u32_e32 vcc_lo, 0, v6
	s_delay_alu instid0(VALU_DEP_3) | instskip(NEXT) | instid1(VALU_DEP_3)
	v_dual_cndmask_b32 v33, v33, v34, s5 :: v_dual_cndmask_b32 v34, v34, v25, s5
	v_dual_cndmask_b32 v12, v12, v24, s4 :: v_dual_cndmask_b32 v25, v25, v37, s5
	s_delay_alu instid0(VALU_DEP_2) | instskip(NEXT) | instid1(VALU_DEP_2)
	v_alignbit_b32 v38, v33, v34, v35
	v_alignbit_b32 v36, v34, v25, v35
	s_delay_alu instid0(VALU_DEP_1) | instskip(NEXT) | instid1(VALU_DEP_1)
	v_dual_cndmask_b32 v6, v38, v33, vcc_lo :: v_dual_cndmask_b32 v24, v36, v34, vcc_lo
	v_bfe_u32 v33, v6, 29, 1
	v_cndmask_b32_e64 v12, v37, v12, s5
	s_delay_alu instid0(VALU_DEP_3) | instskip(NEXT) | instid1(VALU_DEP_3)
	v_alignbit_b32 v34, v6, v24, 30
	v_sub_nc_u32_e32 v36, 0, v33
	s_delay_alu instid0(VALU_DEP_3) | instskip(NEXT) | instid1(VALU_DEP_1)
	v_alignbit_b32 v35, v25, v12, v35
	v_dual_cndmask_b32 v25, v35, v25, vcc_lo :: v_dual_bitop2_b32 v34, v34, v36 bitop3:0x14
	s_delay_alu instid0(VALU_DEP_1) | instskip(NEXT) | instid1(VALU_DEP_2)
	v_clz_i32_u32_e32 v35, v34
	v_alignbit_b32 v24, v24, v25, 30
	v_alignbit_b32 v12, v25, v12, 30
	s_delay_alu instid0(VALU_DEP_3) | instskip(NEXT) | instid1(VALU_DEP_3)
	v_min_u32_e32 v35, 32, v35
	v_xor_b32_e32 v24, v24, v36
	s_delay_alu instid0(VALU_DEP_3) | instskip(NEXT) | instid1(VALU_DEP_3)
	v_dual_lshrrev_b32 v36, 29, v6 :: v_dual_bitop2_b32 v12, v12, v36 bitop3:0x14
	v_dual_sub_nc_u32 v25, 31, v35 :: v_dual_lshlrev_b32 v37, 23, v35
	s_delay_alu instid0(VALU_DEP_1) | instskip(NEXT) | instid1(VALU_DEP_3)
	v_alignbit_b32 v34, v34, v24, v25
	v_alignbit_b32 v12, v24, v12, v25
	s_delay_alu instid0(VALU_DEP_4) | instskip(NEXT) | instid1(VALU_DEP_2)
	v_lshlrev_b32_e32 v24, 31, v36
	v_alignbit_b32 v25, v34, v12, 9
	s_delay_alu instid0(VALU_DEP_2) | instskip(SKIP_1) | instid1(VALU_DEP_3)
	v_dual_lshrrev_b32 v34, 9, v34 :: v_dual_bitop2_b32 v36, 0.5, v24 bitop3:0x54
	v_or_b32_e32 v24, 0x33000000, v24
	v_clz_i32_u32_e32 v38, v25
	s_delay_alu instid0(VALU_DEP_3) | instskip(NEXT) | instid1(VALU_DEP_2)
	v_sub_nc_u32_e32 v36, v36, v37
	v_min_u32_e32 v37, 32, v38
	s_delay_alu instid0(VALU_DEP_1) | instskip(NEXT) | instid1(VALU_DEP_3)
	v_add_lshl_u32 v35, v37, v35, 23
	v_or_b32_e32 v34, v34, v36
	v_not_b32_e32 v36, v37
	s_delay_alu instid0(VALU_DEP_3) | instskip(NEXT) | instid1(VALU_DEP_2)
	v_sub_nc_u32_e32 v24, v24, v35
	v_alignbit_b32 v12, v25, v12, v36
	s_delay_alu instid0(VALU_DEP_1) | instskip(NEXT) | instid1(VALU_DEP_1)
	v_lshrrev_b32_e32 v12, 9, v12
	v_or_b32_e32 v12, v24, v12
	v_mul_f32_e32 v38, 0x3fc90fda, v34
	s_delay_alu instid0(VALU_DEP_1) | instskip(NEXT) | instid1(VALU_DEP_1)
	v_fma_f32 v25, 0x3fc90fda, v34, -v38
	v_fmac_f32_e32 v25, 0x33a22168, v34
	s_delay_alu instid0(VALU_DEP_1) | instskip(NEXT) | instid1(VALU_DEP_1)
	v_dual_fmac_f32 v25, 0x3fc90fda, v12 :: v_dual_lshrrev_b32 v12, 30, v6
	v_dual_add_f32 v6, v38, v25 :: v_dual_add_nc_u32 v12, v33, v12
	s_and_not1_saveexec_b32 s4, s33
	s_cbranch_execnz .LBB94_185
	s_branch .LBB94_186
.LBB94_184:                             ;   in Loop: Header=BB94_161 Depth=1
	s_and_not1_saveexec_b32 s4, s33
.LBB94_185:                             ;   in Loop: Header=BB94_161 Depth=1
	v_mul_f32_e64 v6, 0x3f22f983, |v28|
	s_delay_alu instid0(VALU_DEP_1) | instskip(NEXT) | instid1(VALU_DEP_1)
	v_rndne_f32_e32 v12, v6
	v_fma_f32 v6, 0xbfc90fda, v12, |v28|
	s_delay_alu instid0(VALU_DEP_1) | instskip(NEXT) | instid1(VALU_DEP_1)
	v_fmac_f32_e32 v6, 0xb3a22168, v12
	v_fmac_f32_e32 v6, 0xa7c234c4, v12
	v_cvt_i32_f32_e32 v12, v12
.LBB94_186:                             ;   in Loop: Header=BB94_161 Depth=1
	s_or_b32 exec_lo, exec_lo, s4
	v_dual_mul_f32 v24, v8, v8 :: v_dual_bitop2_b32 v25, 1, v10 bitop3:0x40
	v_lshlrev_b32_e32 v10, 30, v10
	v_mul_f32_e64 v33, 0xbfb8aa3b, |v29|
	s_delay_alu instid0(VALU_DEP_3) | instskip(NEXT) | instid1(VALU_DEP_3)
	v_dual_fmaak_f32 v35, s28, v24, 0xbab64f3b :: v_dual_mul_f32 v36, v6, v6
	v_bitop3_b32 v10, v32, v10, 0x80000000 bitop3:0x78
	s_delay_alu instid0(VALU_DEP_3) | instskip(SKIP_1) | instid1(VALU_DEP_4)
	v_rndne_f32_e32 v32, v33
	v_fma_f32 v37, 0xbfb8aa3b, |v29|, -v33
	v_fmaak_f32 v35, v24, v35, 0x3d2aabf7
	v_fmaak_f32 v38, s27, v36, 0x3c0881c4
	v_cmp_eq_u32_e32 vcc_lo, 0, v25
	v_sub_f32_e32 v33, v33, v32
	v_fma_f32 v37, 0xb2a5705f, |v29|, v37
	v_cvt_i32_f32_e32 v32, v32
	v_fmaak_f32 v38, v36, v38, 0xbe2aaa9d
	s_delay_alu instid0(VALU_DEP_3) | instskip(NEXT) | instid1(VALU_DEP_1)
	v_dual_fmaak_f32 v34, s27, v24, 0x3c0881c4 :: v_dual_add_f32 v33, v33, v37
	v_fmaak_f32 v34, v24, v34, 0xbe2aaa9d
	v_fmaak_f32 v39, s28, v36, 0xbab64f3b
	s_delay_alu instid0(VALU_DEP_3) | instskip(SKIP_1) | instid1(VALU_DEP_3)
	v_exp_f32_e32 v25, v33
	v_dual_lshlrev_b32 v12, 30, v12 :: v_dual_bitop2_b32 v33, 1, v12 bitop3:0x40
	v_mul_f32_e32 v34, v24, v34
	s_delay_alu instid0(VALU_DEP_1) | instskip(SKIP_2) | instid1(VALU_DEP_2)
	v_fmac_f32_e32 v8, v8, v34
	v_fmaak_f32 v35, v24, v35, 0xbf000004
	v_fmaak_f32 v34, v36, v39, 0x3d2aabf7
	v_fma_f32 v24, v24, v35, 1.0
	v_mul_f32_e32 v35, v36, v38
	s_delay_alu instid0(VALU_DEP_1) | instskip(NEXT) | instid1(VALU_DEP_4)
	v_dual_fmac_f32 v6, v6, v35 :: v_dual_cndmask_b32 v8, v24, v8, vcc_lo
	v_fmaak_f32 v24, v36, v34, 0xbf000004
	v_cmp_eq_u32_e32 vcc_lo, 0, v33
	s_delay_alu instid0(VALU_DEP_3) | instskip(NEXT) | instid1(VALU_DEP_3)
	v_xor3_b32 v8, v10, v8, v28
	v_fma_f32 v24, v36, v24, 1.0
	v_ldexp_f32 v10, v25, v32
	s_delay_alu instid0(VALU_DEP_2) | instskip(SKIP_1) | instid1(VALU_DEP_3)
	v_cndmask_b32_e64 v6, -v6, v24, vcc_lo
	v_cmp_nlt_f32_e64 vcc_lo, 0x42ce8ed0, |v29|
	v_cndmask_b32_e32 v10, 0, v10, vcc_lo
	v_cmp_ngt_f32_e64 vcc_lo, 0xc2b17218, |v29|
	s_delay_alu instid0(VALU_DEP_4) | instskip(NEXT) | instid1(VALU_DEP_3)
	v_bitop3_b32 v6, v12, v6, 0x80000000 bitop3:0x6c
	v_cndmask_b32_e32 v10, 0x7f800000, v10, vcc_lo
	v_mul_f32_e32 v8, 4.0, v8
	s_delay_alu instid0(VALU_DEP_1) | instskip(SKIP_1) | instid1(VALU_DEP_2)
	v_mul_f32_e32 v6, v8, v6
	v_xor_b32_e32 v8, 0x80000000, v29
	v_mul_f32_e32 v6, v10, v6
	s_delay_alu instid0(VALU_DEP_2) | instskip(NEXT) | instid1(VALU_DEP_2)
	v_bfi_b32 v25, 0x7fffffff, 1.0, v8
	v_mul_f32_e32 v24, v10, v6
	s_or_b32 exec_lo, exec_lo, s31
                                        ; implicit-def: $vgpr28
.LBB94_187:                             ;   in Loop: Header=BB94_161 Depth=1
	s_and_not1_saveexec_b32 s4, s30
.LBB94_188:                             ;   in Loop: Header=BB94_161 Depth=1
	v_sub_f32_e32 v24, v28, v28
	s_delay_alu instid0(VALU_DEP_1)
	v_mov_b32_e32 v25, v24
.LBB94_189:                             ;   in Loop: Header=BB94_161 Depth=1
	s_or_b32 exec_lo, exec_lo, s4
                                        ; implicit-def: $vgpr29
.LBB94_190:                             ;   in Loop: Header=BB94_161 Depth=1
	s_and_not1_saveexec_b32 s29, s29
	s_cbranch_execz .LBB94_207
; %bb.191:                              ;   in Loop: Header=BB94_161 Depth=1
	v_xor_b32_e32 v25, 0x80000000, v29
	s_mov_b32 s4, exec_lo
                                        ; implicit-def: $vgpr24
	s_delay_alu instid0(VALU_DEP_1) | instskip(NEXT) | instid1(VALU_DEP_1)
	v_and_b32_e32 v6, 0x7fffff, v25
	v_cmpx_ne_u32_e32 0, v6
	s_xor_b32 s4, exec_lo, s4
; %bb.192:                              ;   in Loop: Header=BB94_161 Depth=1
	v_mul_f32_e64 v6, v28, -v29
	v_cmp_eq_f32_e32 vcc_lo, 0, v28
	s_delay_alu instid0(VALU_DEP_2)
	v_cndmask_b32_e32 v24, v6, v28, vcc_lo
                                        ; implicit-def: $vgpr28
; %bb.193:                              ;   in Loop: Header=BB94_161 Depth=1
	s_and_not1_saveexec_b32 s30, s4
	s_cbranch_execz .LBB94_206
; %bb.194:                              ;   in Loop: Header=BB94_161 Depth=1
	s_mov_b32 s31, exec_lo
	v_cmpx_neq_f32_e64 0x7f800000, |v28|
	s_cbranch_execz .LBB94_205
; %bb.195:                              ;   in Loop: Header=BB94_161 Depth=1
	v_and_b32_e32 v8, 0x7fffffff, v28
	v_cmp_ngt_f32_e64 s33, 0x48000000, |v28|
                                        ; implicit-def: $vgpr12
                                        ; implicit-def: $vgpr10
	s_and_saveexec_b32 s4, s33
	s_delay_alu instid0(SALU_CYCLE_1)
	s_xor_b32 s34, exec_lo, s4
	s_cbranch_execz .LBB94_198
; %bb.196:                              ;   in Loop: Header=BB94_161 Depth=1
	v_and_or_b32 v6, v8, s22, 0x800000
	v_dual_mov_b32 v43, v7 :: v_dual_lshrrev_b32 v10, 23, v8
	v_mov_b32_e32 v45, v7
	s_delay_alu instid0(VALU_DEP_3) | instskip(NEXT) | instid1(VALU_DEP_3)
	v_mul_u64_e32 v[32:33], s[14:15], v[6:7]
	v_dual_mov_b32 v35, v7 :: v_dual_add_nc_u32 v10, 0xffffff88, v10
	s_delay_alu instid0(VALU_DEP_1) | instskip(SKIP_1) | instid1(VALU_DEP_1)
	v_cmp_lt_u32_e32 vcc_lo, 63, v10
	v_cndmask_b32_e64 v12, 0, 0xffffffc0, vcc_lo
	v_add_nc_u32_e32 v10, v12, v10
	s_delay_alu instid0(VALU_DEP_1) | instskip(NEXT) | instid1(VALU_DEP_1)
	v_cmp_lt_u32_e64 s4, 31, v10
	v_cndmask_b32_e64 v12, 0, 0xffffffe0, s4
	v_mov_b32_e32 v34, v33
	s_delay_alu instid0(VALU_DEP_1) | instskip(NEXT) | instid1(VALU_DEP_1)
	v_mad_nc_u64_u32 v[34:35], 0x3c439041, v6, v[34:35]
	v_dual_mov_b32 v37, v7 :: v_dual_mov_b32 v36, v35
	s_delay_alu instid0(VALU_DEP_1) | instskip(NEXT) | instid1(VALU_DEP_1)
	v_mad_nc_u64_u32 v[36:37], 0xdb629599, v6, v[36:37]
	v_dual_mov_b32 v39, v7 :: v_dual_mov_b32 v38, v37
	s_delay_alu instid0(VALU_DEP_2) | instskip(NEXT) | instid1(VALU_DEP_2)
	v_cndmask_b32_e32 v32, v36, v32, vcc_lo
	v_mad_nc_u64_u32 v[38:39], 0xf534ddc0, v6, v[38:39]
	s_delay_alu instid0(VALU_DEP_1) | instskip(NEXT) | instid1(VALU_DEP_1)
	v_dual_mov_b32 v41, v7 :: v_dual_mov_b32 v40, v39
	v_mad_nc_u64_u32 v[40:41], 0xfc2757d1, v6, v[40:41]
	s_delay_alu instid0(VALU_DEP_1) | instskip(NEXT) | instid1(VALU_DEP_1)
	v_dual_mov_b32 v42, v41 :: v_dual_cndmask_b32 v33, v40, v36
	v_mad_nc_u64_u32 v[42:43], 0x4e441529, v6, v[42:43]
	s_delay_alu instid0(VALU_DEP_1) | instskip(NEXT) | instid1(VALU_DEP_1)
	v_mov_b32_e32 v44, v43
	v_mad_nc_u64_u32 v[44:45], 0xa2f9836e, v6, v[44:45]
	v_add_nc_u32_e32 v6, v12, v10
	s_delay_alu instid0(VALU_DEP_4) | instskip(NEXT) | instid1(VALU_DEP_2)
	v_cndmask_b32_e32 v12, v42, v38, vcc_lo
	v_cmp_lt_u32_e64 s5, 31, v6
	s_delay_alu instid0(VALU_DEP_1) | instskip(SKIP_1) | instid1(VALU_DEP_2)
	v_cndmask_b32_e64 v10, 0, 0xffffffe0, s5
	v_dual_cndmask_b32 v24, v44, v40 :: v_dual_cndmask_b32 v29, v45, v42
	v_add_nc_u32_e32 v6, v10, v6
	s_delay_alu instid0(VALU_DEP_2) | instskip(NEXT) | instid1(VALU_DEP_3)
	v_dual_cndmask_b32 v10, v38, v34, vcc_lo :: v_dual_cndmask_b32 v34, v24, v12, s4
	v_dual_cndmask_b32 v24, v29, v24, s4 :: v_dual_cndmask_b32 v12, v12, v33, s4
	s_delay_alu instid0(VALU_DEP_3) | instskip(NEXT) | instid1(VALU_DEP_3)
	v_sub_nc_u32_e32 v29, 32, v6
	v_cndmask_b32_e64 v33, v33, v10, s4
	v_cmp_eq_u32_e32 vcc_lo, 0, v6
	s_delay_alu instid0(VALU_DEP_4) | instskip(SKIP_1) | instid1(VALU_DEP_1)
	v_dual_cndmask_b32 v24, v24, v34, s5 :: v_dual_cndmask_b32 v10, v10, v32, s4
	v_cndmask_b32_e64 v34, v34, v12, s5
	v_alignbit_b32 v35, v24, v34, v29
	s_delay_alu instid0(VALU_DEP_1) | instskip(NEXT) | instid1(VALU_DEP_1)
	v_dual_cndmask_b32 v12, v12, v33, s5 :: v_dual_cndmask_b32 v6, v35, v24, vcc_lo
	v_alignbit_b32 v36, v34, v12, v29
	s_delay_alu instid0(VALU_DEP_2) | instskip(NEXT) | instid1(VALU_DEP_2)
	v_bfe_u32 v32, v6, 29, 1
	v_cndmask_b32_e32 v24, v36, v34, vcc_lo
	s_delay_alu instid0(VALU_DEP_2) | instskip(NEXT) | instid1(VALU_DEP_2)
	v_dual_cndmask_b32 v10, v33, v10, s5 :: v_dual_sub_nc_u32 v34, 0, v32
	v_alignbit_b32 v33, v6, v24, 30
	s_delay_alu instid0(VALU_DEP_2) | instskip(NEXT) | instid1(VALU_DEP_2)
	v_alignbit_b32 v29, v12, v10, v29
	v_xor_b32_e32 v33, v33, v34
	s_delay_alu instid0(VALU_DEP_2) | instskip(NEXT) | instid1(VALU_DEP_2)
	v_cndmask_b32_e32 v12, v29, v12, vcc_lo
	v_clz_i32_u32_e32 v29, v33
	s_delay_alu instid0(VALU_DEP_2) | instskip(NEXT) | instid1(VALU_DEP_2)
	v_alignbit_b32 v10, v12, v10, 30
	v_min_u32_e32 v29, 32, v29
	s_delay_alu instid0(VALU_DEP_2) | instskip(SKIP_1) | instid1(VALU_DEP_1)
	v_xor_b32_e32 v10, v10, v34
	v_alignbit_b32 v24, v24, v12, 30
	v_dual_lshlrev_b32 v35, 23, v29 :: v_dual_bitop2_b32 v12, v24, v34 bitop3:0x14
	v_sub_nc_u32_e32 v24, 31, v29
	s_delay_alu instid0(VALU_DEP_1) | instskip(SKIP_3) | instid1(VALU_DEP_2)
	v_alignbit_b32 v33, v33, v12, v24
	v_lshrrev_b32_e32 v34, 29, v6
	v_alignbit_b32 v10, v12, v10, v24
	v_lshrrev_b32_e32 v6, 30, v6
	v_alignbit_b32 v24, v33, v10, 9
	s_delay_alu instid0(VALU_DEP_4) | instskip(NEXT) | instid1(VALU_DEP_2)
	v_dual_lshrrev_b32 v33, 9, v33 :: v_dual_lshlrev_b32 v12, 31, v34
	v_clz_i32_u32_e32 v36, v24
	s_delay_alu instid0(VALU_DEP_2) | instskip(NEXT) | instid1(VALU_DEP_1)
	v_or_b32_e32 v34, 0.5, v12
	v_sub_nc_u32_e32 v34, v34, v35
	s_delay_alu instid0(VALU_DEP_3) | instskip(SKIP_1) | instid1(VALU_DEP_3)
	v_min_u32_e32 v35, 32, v36
	v_or_b32_e32 v12, 0x33000000, v12
	v_or_b32_e32 v33, v33, v34
	s_delay_alu instid0(VALU_DEP_3) | instskip(SKIP_1) | instid1(VALU_DEP_3)
	v_not_b32_e32 v34, v35
	v_add_lshl_u32 v29, v35, v29, 23
	v_mul_f32_e32 v36, 0x3fc90fda, v33
	s_delay_alu instid0(VALU_DEP_3) | instskip(NEXT) | instid1(VALU_DEP_3)
	v_alignbit_b32 v10, v24, v10, v34
	v_sub_nc_u32_e32 v12, v12, v29
	s_delay_alu instid0(VALU_DEP_3) | instskip(NEXT) | instid1(VALU_DEP_3)
	v_fma_f32 v24, 0x3fc90fda, v33, -v36
	v_lshrrev_b32_e32 v10, 9, v10
	s_delay_alu instid0(VALU_DEP_2) | instskip(NEXT) | instid1(VALU_DEP_2)
	v_fmac_f32_e32 v24, 0x33a22168, v33
	v_or_b32_e32 v10, v12, v10
	v_add_nc_u32_e32 v12, v32, v6
	s_delay_alu instid0(VALU_DEP_2) | instskip(NEXT) | instid1(VALU_DEP_1)
	v_fmac_f32_e32 v24, 0x3fc90fda, v10
	v_add_f32_e32 v10, v36, v24
	s_and_not1_saveexec_b32 s4, s34
	s_branch .LBB94_199
.LBB94_197:                             ;   in Loop: Header=BB94_161 Depth=1
	s_or_b32 exec_lo, exec_lo, s31
                                        ; implicit-def: $vgpr28
	s_and_not1_saveexec_b32 s4, s30
	s_cbranch_execnz .LBB94_188
	s_branch .LBB94_189
.LBB94_198:                             ;   in Loop: Header=BB94_161 Depth=1
	s_and_not1_saveexec_b32 s4, s34
.LBB94_199:                             ;   in Loop: Header=BB94_161 Depth=1
	v_mul_f32_e64 v6, 0x3f22f983, |v28|
	s_delay_alu instid0(VALU_DEP_1) | instskip(NEXT) | instid1(VALU_DEP_1)
	v_rndne_f32_e32 v6, v6
	v_fma_f32 v10, 0xbfc90fda, v6, |v28|
	v_cvt_i32_f32_e32 v12, v6
	s_delay_alu instid0(VALU_DEP_2) | instskip(NEXT) | instid1(VALU_DEP_1)
	v_fmac_f32_e32 v10, 0xb3a22168, v6
	v_fmac_f32_e32 v10, 0xa7c234c4, v6
; %bb.200:                              ;   in Loop: Header=BB94_161 Depth=1
	s_or_b32 exec_lo, exec_lo, s4
                                        ; implicit-def: $vgpr24
                                        ; implicit-def: $vgpr6
	s_and_saveexec_b32 s4, s33
	s_delay_alu instid0(SALU_CYCLE_1)
	s_xor_b32 s33, exec_lo, s4
	s_cbranch_execz .LBB94_202
; %bb.201:                              ;   in Loop: Header=BB94_161 Depth=1
	v_and_or_b32 v6, v8, s22, 0x800000
	v_dual_mov_b32 v43, v7 :: v_dual_lshrrev_b32 v24, 23, v8
	v_mov_b32_e32 v45, v7
	s_delay_alu instid0(VALU_DEP_3) | instskip(NEXT) | instid1(VALU_DEP_1)
	v_mul_u64_e32 v[32:33], s[14:15], v[6:7]
	v_dual_mov_b32 v35, v7 :: v_dual_mov_b32 v34, v33
	s_delay_alu instid0(VALU_DEP_1) | instskip(NEXT) | instid1(VALU_DEP_1)
	v_mad_nc_u64_u32 v[34:35], 0x3c439041, v6, v[34:35]
	v_dual_mov_b32 v37, v7 :: v_dual_mov_b32 v36, v35
	s_delay_alu instid0(VALU_DEP_1) | instskip(NEXT) | instid1(VALU_DEP_1)
	v_mad_nc_u64_u32 v[36:37], 0xdb629599, v6, v[36:37]
	;; [unrolled: 3-line block ×4, first 2 shown]
	v_mov_b32_e32 v42, v41
	s_delay_alu instid0(VALU_DEP_1) | instskip(SKIP_1) | instid1(VALU_DEP_1)
	v_mad_nc_u64_u32 v[42:43], 0x4e441529, v6, v[42:43]
	v_add_nc_u32_e32 v24, 0xffffff88, v24
	v_cmp_lt_u32_e32 vcc_lo, 63, v24
	v_cndmask_b32_e64 v29, 0, 0xffffffc0, vcc_lo
	s_delay_alu instid0(VALU_DEP_4) | instskip(NEXT) | instid1(VALU_DEP_2)
	v_dual_mov_b32 v44, v43 :: v_dual_cndmask_b32 v32, v36, v32, vcc_lo
	v_add_nc_u32_e32 v24, v29, v24
	s_delay_alu instid0(VALU_DEP_2) | instskip(NEXT) | instid1(VALU_DEP_2)
	v_mad_nc_u64_u32 v[44:45], 0xa2f9836e, v6, v[44:45]
	v_cmp_lt_u32_e64 s4, 31, v24
	s_delay_alu instid0(VALU_DEP_1) | instskip(NEXT) | instid1(VALU_DEP_3)
	v_cndmask_b32_e64 v29, 0, 0xffffffe0, s4
	v_dual_cndmask_b32 v33, v44, v40, vcc_lo :: v_dual_cndmask_b32 v35, v45, v42, vcc_lo
	s_delay_alu instid0(VALU_DEP_2) | instskip(SKIP_1) | instid1(VALU_DEP_2)
	v_dual_cndmask_b32 v29, v42, v38 :: v_dual_add_nc_u32 v6, v29, v24
	v_cndmask_b32_e32 v37, v40, v36, vcc_lo
	v_cmp_lt_u32_e64 s5, 31, v6
	s_delay_alu instid0(VALU_DEP_1) | instskip(NEXT) | instid1(VALU_DEP_1)
	v_cndmask_b32_e64 v24, 0, 0xffffffe0, s5
	v_add_nc_u32_e32 v6, v24, v6
	v_dual_cndmask_b32 v24, v38, v34, vcc_lo :: v_dual_cndmask_b32 v34, v33, v29, s4
	v_cndmask_b32_e64 v33, v35, v33, s4
	s_delay_alu instid0(VALU_DEP_3) | instskip(NEXT) | instid1(VALU_DEP_3)
	v_dual_cndmask_b32 v29, v29, v37, s4 :: v_dual_sub_nc_u32 v35, 32, v6
	v_cndmask_b32_e64 v37, v37, v24, s4
	v_cmp_eq_u32_e32 vcc_lo, 0, v6
	s_delay_alu instid0(VALU_DEP_3) | instskip(NEXT) | instid1(VALU_DEP_3)
	v_dual_cndmask_b32 v33, v33, v34, s5 :: v_dual_cndmask_b32 v34, v34, v29, s5
	v_dual_cndmask_b32 v24, v24, v32, s4 :: v_dual_cndmask_b32 v29, v29, v37, s5
	s_delay_alu instid0(VALU_DEP_2) | instskip(NEXT) | instid1(VALU_DEP_2)
	v_alignbit_b32 v38, v33, v34, v35
	v_alignbit_b32 v36, v34, v29, v35
	s_delay_alu instid0(VALU_DEP_1) | instskip(NEXT) | instid1(VALU_DEP_1)
	v_dual_cndmask_b32 v6, v38, v33, vcc_lo :: v_dual_cndmask_b32 v32, v36, v34, vcc_lo
	v_bfe_u32 v33, v6, 29, 1
	v_cndmask_b32_e64 v24, v37, v24, s5
	s_delay_alu instid0(VALU_DEP_3) | instskip(NEXT) | instid1(VALU_DEP_3)
	v_alignbit_b32 v34, v6, v32, 30
	v_sub_nc_u32_e32 v36, 0, v33
	s_delay_alu instid0(VALU_DEP_3) | instskip(NEXT) | instid1(VALU_DEP_1)
	v_alignbit_b32 v35, v29, v24, v35
	v_dual_cndmask_b32 v29, v35, v29, vcc_lo :: v_dual_bitop2_b32 v34, v34, v36 bitop3:0x14
	s_delay_alu instid0(VALU_DEP_1) | instskip(NEXT) | instid1(VALU_DEP_2)
	v_clz_i32_u32_e32 v35, v34
	v_alignbit_b32 v32, v32, v29, 30
	v_alignbit_b32 v24, v29, v24, 30
	s_delay_alu instid0(VALU_DEP_3) | instskip(NEXT) | instid1(VALU_DEP_3)
	v_min_u32_e32 v35, 32, v35
	v_xor_b32_e32 v29, v32, v36
	s_delay_alu instid0(VALU_DEP_3) | instskip(NEXT) | instid1(VALU_DEP_3)
	v_dual_lshrrev_b32 v36, 29, v6 :: v_dual_bitop2_b32 v24, v24, v36 bitop3:0x14
	v_dual_sub_nc_u32 v32, 31, v35 :: v_dual_lshlrev_b32 v37, 23, v35
	s_delay_alu instid0(VALU_DEP_1) | instskip(NEXT) | instid1(VALU_DEP_3)
	v_alignbit_b32 v34, v34, v29, v32
	v_alignbit_b32 v24, v29, v24, v32
	s_delay_alu instid0(VALU_DEP_4) | instskip(NEXT) | instid1(VALU_DEP_2)
	v_lshlrev_b32_e32 v29, 31, v36
	v_alignbit_b32 v32, v34, v24, 9
	s_delay_alu instid0(VALU_DEP_2) | instskip(SKIP_1) | instid1(VALU_DEP_3)
	v_dual_lshrrev_b32 v34, 9, v34 :: v_dual_bitop2_b32 v36, 0.5, v29 bitop3:0x54
	v_or_b32_e32 v29, 0x33000000, v29
	v_clz_i32_u32_e32 v38, v32
	s_delay_alu instid0(VALU_DEP_3) | instskip(NEXT) | instid1(VALU_DEP_2)
	v_sub_nc_u32_e32 v36, v36, v37
	v_min_u32_e32 v37, 32, v38
	s_delay_alu instid0(VALU_DEP_1) | instskip(NEXT) | instid1(VALU_DEP_1)
	v_add_lshl_u32 v35, v37, v35, 23
	v_dual_sub_nc_u32 v29, v29, v35 :: v_dual_bitop2_b32 v34, v34, v36 bitop3:0x54
	v_not_b32_e32 v36, v37
	s_delay_alu instid0(VALU_DEP_2) | instskip(NEXT) | instid1(VALU_DEP_2)
	v_mul_f32_e32 v38, 0x3fc90fda, v34
	v_alignbit_b32 v24, v32, v24, v36
	s_delay_alu instid0(VALU_DEP_2) | instskip(NEXT) | instid1(VALU_DEP_2)
	v_fma_f32 v32, 0x3fc90fda, v34, -v38
	v_lshrrev_b32_e32 v24, 9, v24
	s_delay_alu instid0(VALU_DEP_2) | instskip(NEXT) | instid1(VALU_DEP_2)
	v_fmac_f32_e32 v32, 0x33a22168, v34
	v_or_b32_e32 v24, v29, v24
	s_delay_alu instid0(VALU_DEP_1) | instskip(NEXT) | instid1(VALU_DEP_1)
	v_fmac_f32_e32 v32, 0x3fc90fda, v24
	v_dual_lshrrev_b32 v24, 30, v6 :: v_dual_add_f32 v6, v38, v32
	s_delay_alu instid0(VALU_DEP_1)
	v_add_nc_u32_e32 v24, v33, v24
	s_and_not1_saveexec_b32 s4, s33
	s_cbranch_execnz .LBB94_203
	s_branch .LBB94_204
.LBB94_202:                             ;   in Loop: Header=BB94_161 Depth=1
	s_and_not1_saveexec_b32 s4, s33
.LBB94_203:                             ;   in Loop: Header=BB94_161 Depth=1
	v_mul_f32_e64 v6, 0x3f22f983, |v28|
	s_delay_alu instid0(VALU_DEP_1) | instskip(NEXT) | instid1(VALU_DEP_1)
	v_rndne_f32_e32 v24, v6
	v_fma_f32 v6, 0xbfc90fda, v24, |v28|
	s_delay_alu instid0(VALU_DEP_1) | instskip(NEXT) | instid1(VALU_DEP_1)
	v_fmac_f32_e32 v6, 0xb3a22168, v24
	v_fmac_f32_e32 v6, 0xa7c234c4, v24
	v_cvt_i32_f32_e32 v24, v24
.LBB94_204:                             ;   in Loop: Header=BB94_161 Depth=1
	s_or_b32 exec_lo, exec_lo, s4
	v_dual_mul_f32 v29, v10, v10 :: v_dual_bitop2_b32 v33, 1, v12 bitop3:0x40
	s_delay_alu instid0(VALU_DEP_2) | instskip(SKIP_1) | instid1(VALU_DEP_3)
	v_dual_mul_f32 v32, v6, v6 :: v_dual_bitop2_b32 v38, 1, v24 bitop3:0x40
	v_lshlrev_b32_e32 v24, 30, v24
	v_fmaak_f32 v34, s27, v29, 0x3c0881c4
	v_fmaak_f32 v35, s28, v29, 0xbab64f3b
	s_delay_alu instid0(VALU_DEP_4)
	v_fmaak_f32 v36, s27, v32, 0x3c0881c4
	v_lshlrev_b32_e32 v12, 30, v12
	v_cmp_eq_u32_e32 vcc_lo, 0, v33
	v_fmaak_f32 v34, v29, v34, 0xbe2aaa9d
	v_fmaak_f32 v37, s28, v32, 0xbab64f3b
	;; [unrolled: 1-line block ×4, first 2 shown]
	v_bitop3_b32 v8, v8, v12, 0x80000000 bitop3:0x78
	s_delay_alu instid0(VALU_DEP_4) | instskip(NEXT) | instid1(VALU_DEP_3)
	v_dual_mul_f32 v34, v29, v34 :: v_dual_fmaak_f32 v37, v32, v37, 0x3d2aabf7
	v_dual_fmaak_f32 v35, v29, v35, 0xbf000004 :: v_dual_mul_f32 v36, v32, v36
	s_delay_alu instid0(VALU_DEP_2) | instskip(NEXT) | instid1(VALU_DEP_2)
	v_dual_fmac_f32 v10, v10, v34 :: v_dual_fmaak_f32 v37, v32, v37, 0xbf000004
	v_fma_f32 v29, v29, v35, 1.0
	s_delay_alu instid0(VALU_DEP_3) | instskip(NEXT) | instid1(VALU_DEP_3)
	v_fmac_f32_e32 v6, v6, v36
	v_fma_f32 v32, v32, v37, 1.0
	s_delay_alu instid0(VALU_DEP_3) | instskip(SKIP_1) | instid1(VALU_DEP_3)
	v_cndmask_b32_e32 v10, v29, v10, vcc_lo
	v_cmp_eq_u32_e32 vcc_lo, 0, v38
	v_cndmask_b32_e64 v6, -v6, v32, vcc_lo
	s_delay_alu instid0(VALU_DEP_3) | instskip(SKIP_1) | instid1(VALU_DEP_3)
	v_xor3_b32 v8, v8, v10, v28
	v_cmp_class_f32_e64 vcc_lo, v28, 0x1f8
	v_bitop3_b32 v6, v24, v6, 0x80000000 bitop3:0x6c
	s_delay_alu instid0(VALU_DEP_1) | instskip(NEXT) | instid1(VALU_DEP_1)
	v_mul_f32_e32 v6, v8, v6
	v_cndmask_b32_e32 v28, 0x7fc00000, v6, vcc_lo
.LBB94_205:                             ;   in Loop: Header=BB94_161 Depth=1
	s_or_b32 exec_lo, exec_lo, s31
	v_add_nc_u32_e32 v25, -2.0, v25
	s_delay_alu instid0(VALU_DEP_2)
	v_bfi_b32 v24, 0x7fffffff, 0, v28
.LBB94_206:                             ;   in Loop: Header=BB94_161 Depth=1
	s_or_b32 exec_lo, exec_lo, s30
.LBB94_207:                             ;   in Loop: Header=BB94_161 Depth=1
	s_delay_alu instid0(SALU_CYCLE_1) | instskip(SKIP_2) | instid1(VALU_DEP_1)
	s_or_b32 exec_lo, exec_lo, s29
	v_and_b32_e32 v10, 0x7fffffff, v31
                                        ; implicit-def: $vgpr28
                                        ; implicit-def: $vgpr29
	s_mov_b32 s4, exec_lo
	v_cmpx_gt_u32_e32 0x7f800000, v10
	s_xor_b32 s29, exec_lo, s4
	s_cbranch_execz .LBB94_229
; %bb.208:                              ;   in Loop: Header=BB94_161 Depth=1
	v_cmp_class_f32_e64 s4, v30, 0x1f8
                                        ; implicit-def: $vgpr28
                                        ; implicit-def: $vgpr29
	s_and_saveexec_b32 s5, s4
	s_delay_alu instid0(SALU_CYCLE_1)
	s_xor_b32 s30, exec_lo, s5
	s_cbranch_execz .LBB94_226
; %bb.209:                              ;   in Loop: Header=BB94_161 Depth=1
	v_and_b32_e32 v32, 0x7fffffff, v30
                                        ; implicit-def: $vgpr28
                                        ; implicit-def: $vgpr29
	s_mov_b32 s4, exec_lo
	v_cmpx_gt_u32_e32 0x41300000, v10
	s_xor_b32 s31, exec_lo, s4
	s_cbranch_execz .LBB94_215
; %bb.210:                              ;   in Loop: Header=BB94_161 Depth=1
                                        ; implicit-def: $vgpr6
                                        ; implicit-def: $vgpr28
	s_mov_b32 s5, exec_lo
	v_cmpx_ngt_f32_e64 0x48000000, |v30|
	s_xor_b32 s33, exec_lo, s5
	s_cbranch_execz .LBB94_212
; %bb.211:                              ;   in Loop: Header=BB94_161 Depth=1
	v_and_or_b32 v6, v32, s22, 0x800000
	v_dual_mov_b32 v43, v7 :: v_dual_lshrrev_b32 v8, 23, v32
	v_mov_b32_e32 v45, v7
	s_delay_alu instid0(VALU_DEP_3) | instskip(NEXT) | instid1(VALU_DEP_3)
	v_mul_u64_e32 v[28:29], s[14:15], v[6:7]
	v_dual_mov_b32 v35, v7 :: v_dual_add_nc_u32 v8, 0xffffff88, v8
	s_delay_alu instid0(VALU_DEP_1) | instskip(SKIP_1) | instid1(VALU_DEP_1)
	v_cmp_lt_u32_e32 vcc_lo, 63, v8
	v_cndmask_b32_e64 v12, 0, 0xffffffc0, vcc_lo
	v_add_nc_u32_e32 v8, v12, v8
	s_delay_alu instid0(VALU_DEP_1) | instskip(NEXT) | instid1(VALU_DEP_1)
	v_cmp_lt_u32_e64 s4, 31, v8
	v_cndmask_b32_e64 v12, 0, 0xffffffe0, s4
	v_mov_b32_e32 v34, v29
	s_delay_alu instid0(VALU_DEP_1) | instskip(NEXT) | instid1(VALU_DEP_1)
	v_mad_nc_u64_u32 v[34:35], 0x3c439041, v6, v[34:35]
	v_dual_mov_b32 v37, v7 :: v_dual_mov_b32 v36, v35
	s_delay_alu instid0(VALU_DEP_1) | instskip(NEXT) | instid1(VALU_DEP_1)
	v_mad_nc_u64_u32 v[36:37], 0xdb629599, v6, v[36:37]
	v_dual_mov_b32 v39, v7 :: v_dual_mov_b32 v38, v37
	;; [unrolled: 3-line block ×3, first 2 shown]
	s_delay_alu instid0(VALU_DEP_1) | instskip(NEXT) | instid1(VALU_DEP_1)
	v_mad_nc_u64_u32 v[40:41], 0xfc2757d1, v6, v[40:41]
	v_dual_mov_b32 v42, v41 :: v_dual_cndmask_b32 v35, v40, v36
	s_delay_alu instid0(VALU_DEP_1) | instskip(NEXT) | instid1(VALU_DEP_1)
	v_mad_nc_u64_u32 v[42:43], 0x4e441529, v6, v[42:43]
	v_mov_b32_e32 v44, v43
	s_delay_alu instid0(VALU_DEP_1) | instskip(NEXT) | instid1(VALU_DEP_3)
	v_mad_nc_u64_u32 v[44:45], 0xa2f9836e, v6, v[44:45]
	v_dual_add_nc_u32 v6, v12, v8 :: v_dual_cndmask_b32 v12, v42, v38, vcc_lo
	s_delay_alu instid0(VALU_DEP_1) | instskip(NEXT) | instid1(VALU_DEP_1)
	v_cmp_lt_u32_e64 s5, 31, v6
	v_cndmask_b32_e64 v8, 0, 0xffffffe0, s5
	s_delay_alu instid0(VALU_DEP_4) | instskip(NEXT) | instid1(VALU_DEP_2)
	v_dual_cndmask_b32 v29, v44, v40, vcc_lo :: v_dual_cndmask_b32 v33, v45, v42, vcc_lo
	v_add_nc_u32_e32 v6, v8, v6
	s_delay_alu instid0(VALU_DEP_2) | instskip(NEXT) | instid1(VALU_DEP_3)
	v_dual_cndmask_b32 v8, v38, v34, vcc_lo :: v_dual_cndmask_b32 v34, v29, v12, s4
	v_dual_cndmask_b32 v29, v33, v29, s4 :: v_dual_cndmask_b32 v12, v12, v35, s4
	s_delay_alu instid0(VALU_DEP_2) | instskip(NEXT) | instid1(VALU_DEP_2)
	v_dual_sub_nc_u32 v33, 32, v6 :: v_dual_cndmask_b32 v35, v35, v8, s4
	v_dual_cndmask_b32 v29, v29, v34, s5 :: v_dual_cndmask_b32 v34, v34, v12, s5
	s_delay_alu instid0(VALU_DEP_2) | instskip(NEXT) | instid1(VALU_DEP_2)
	v_cndmask_b32_e64 v12, v12, v35, s5
	v_alignbit_b32 v37, v29, v34, v33
	v_cndmask_b32_e32 v28, v36, v28, vcc_lo
	v_cmp_eq_u32_e32 vcc_lo, 0, v6
	s_delay_alu instid0(VALU_DEP_4) | instskip(NEXT) | instid1(VALU_DEP_4)
	v_alignbit_b32 v36, v34, v12, v33
	v_cndmask_b32_e32 v6, v37, v29, vcc_lo
	s_delay_alu instid0(VALU_DEP_1) | instskip(SKIP_1) | instid1(VALU_DEP_1)
	v_bfe_u32 v29, v6, 29, 1
	v_cndmask_b32_e64 v8, v8, v28, s4
	v_dual_cndmask_b32 v28, v36, v34, vcc_lo :: v_dual_cndmask_b32 v8, v35, v8, s5
	s_delay_alu instid0(VALU_DEP_1) | instskip(NEXT) | instid1(VALU_DEP_4)
	v_alignbit_b32 v34, v6, v28, 30
	v_sub_nc_u32_e32 v35, 0, v29
	s_delay_alu instid0(VALU_DEP_3) | instskip(NEXT) | instid1(VALU_DEP_1)
	v_alignbit_b32 v33, v12, v8, v33
	v_dual_cndmask_b32 v12, v33, v12, vcc_lo :: v_dual_bitop2_b32 v34, v34, v35 bitop3:0x14
	s_delay_alu instid0(VALU_DEP_1) | instskip(NEXT) | instid1(VALU_DEP_2)
	v_clz_i32_u32_e32 v33, v34
	v_alignbit_b32 v28, v28, v12, 30
	v_alignbit_b32 v8, v12, v8, 30
	s_delay_alu instid0(VALU_DEP_3) | instskip(NEXT) | instid1(VALU_DEP_3)
	v_min_u32_e32 v33, 32, v33
	v_xor_b32_e32 v12, v28, v35
	s_delay_alu instid0(VALU_DEP_3) | instskip(NEXT) | instid1(VALU_DEP_3)
	v_dual_lshrrev_b32 v35, 29, v6 :: v_dual_bitop2_b32 v8, v8, v35 bitop3:0x14
	v_dual_sub_nc_u32 v28, 31, v33 :: v_dual_lshlrev_b32 v36, 23, v33
	v_lshrrev_b32_e32 v6, 30, v6
	s_delay_alu instid0(VALU_DEP_2) | instskip(NEXT) | instid1(VALU_DEP_4)
	v_alignbit_b32 v34, v34, v12, v28
	v_alignbit_b32 v8, v12, v8, v28
	s_delay_alu instid0(VALU_DEP_3) | instskip(NEXT) | instid1(VALU_DEP_2)
	v_dual_lshlrev_b32 v12, 31, v35 :: v_dual_add_nc_u32 v6, v29, v6
	v_alignbit_b32 v28, v34, v8, 9
	s_delay_alu instid0(VALU_DEP_2) | instskip(SKIP_1) | instid1(VALU_DEP_3)
	v_dual_lshrrev_b32 v34, 9, v34 :: v_dual_bitop2_b32 v35, 0.5, v12 bitop3:0x54
	v_or_b32_e32 v12, 0x33000000, v12
	v_clz_i32_u32_e32 v37, v28
	s_delay_alu instid0(VALU_DEP_3) | instskip(NEXT) | instid1(VALU_DEP_2)
	v_sub_nc_u32_e32 v35, v35, v36
	v_min_u32_e32 v36, 32, v37
	s_delay_alu instid0(VALU_DEP_1) | instskip(NEXT) | instid1(VALU_DEP_1)
	v_add_lshl_u32 v33, v36, v33, 23
	v_dual_sub_nc_u32 v12, v12, v33 :: v_dual_bitop2_b32 v34, v34, v35 bitop3:0x54
	v_not_b32_e32 v35, v36
	s_delay_alu instid0(VALU_DEP_1) | instskip(NEXT) | instid1(VALU_DEP_1)
	v_alignbit_b32 v8, v28, v8, v35
	v_lshrrev_b32_e32 v8, 9, v8
	s_delay_alu instid0(VALU_DEP_1) | instskip(SKIP_1) | instid1(VALU_DEP_1)
	v_or_b32_e32 v8, v12, v8
	v_mul_f32_e32 v37, 0x3fc90fda, v34
	v_fma_f32 v28, 0x3fc90fda, v34, -v37
	s_delay_alu instid0(VALU_DEP_1) | instskip(NEXT) | instid1(VALU_DEP_1)
	v_fmac_f32_e32 v28, 0x33a22168, v34
	v_fmac_f32_e32 v28, 0x3fc90fda, v8
	s_delay_alu instid0(VALU_DEP_1)
	v_add_f32_e32 v28, v37, v28
.LBB94_212:                             ;   in Loop: Header=BB94_161 Depth=1
	s_and_not1_saveexec_b32 s4, s33
; %bb.213:                              ;   in Loop: Header=BB94_161 Depth=1
	v_mul_f32_e64 v6, 0x3f22f983, |v30|
	s_delay_alu instid0(VALU_DEP_1) | instskip(NEXT) | instid1(VALU_DEP_1)
	v_rndne_f32_e32 v6, v6
	v_fma_f32 v28, 0xbfc90fda, v6, |v30|
	s_delay_alu instid0(VALU_DEP_1) | instskip(NEXT) | instid1(VALU_DEP_1)
	v_fmac_f32_e32 v28, 0xb3a22168, v6
	v_fmac_f32_e32 v28, 0xa7c234c4, v6
	v_cvt_i32_f32_e32 v6, v6
; %bb.214:                              ;   in Loop: Header=BB94_161 Depth=1
	s_or_b32 exec_lo, exec_lo, s4
	v_add_f32_e64 v8, 0xbf317218, |v31|
	v_cmp_nlt_f32_e64 vcc_lo, 0x42b2d4fc, |v31|
	v_cmp_gt_f32_e64 s4, 0x39800000, |v31|
	s_delay_alu instid0(VALU_DEP_3) | instskip(NEXT) | instid1(VALU_DEP_1)
	v_sub_f32_e64 v35, v8, |v31|
	v_sub_f32_e32 v34, v35, v8
	s_delay_alu instid0(VALU_DEP_1) | instskip(NEXT) | instid1(VALU_DEP_1)
	v_pk_add_f32 v[34:35], v[10:11], v[34:35]
	v_sub_f32_e32 v10, v34, v35
	s_delay_alu instid0(VALU_DEP_1) | instskip(NEXT) | instid1(VALU_DEP_1)
	v_add_f32_e32 v10, 0x3102e308, v10
	v_add_f32_e32 v12, v8, v10
	s_delay_alu instid0(VALU_DEP_1) | instskip(NEXT) | instid1(VALU_DEP_1)
	v_dual_mul_f32 v29, 0x3fb8aa3b, v12 :: v_dual_sub_f32 v8, v8, v12
	v_rndne_f32_e32 v29, v29
	s_delay_alu instid0(VALU_DEP_1) | instskip(NEXT) | instid1(VALU_DEP_3)
	v_fmac_f32_e32 v12, 0xbf317200, v29
	v_add_f32_e32 v8, v10, v8
	v_mul_f32_e32 v10, 0x35bfbc00, v29
	v_mul_f32_e32 v37, 0x2ea39ef3, v29
	s_delay_alu instid0(VALU_DEP_3) | instskip(NEXT) | instid1(VALU_DEP_1)
	v_add_f32_e32 v33, v8, v12
	v_dual_sub_f32 v34, v33, v10 :: v_dual_sub_f32 v12, v12, v33
	s_delay_alu instid0(VALU_DEP_1) | instskip(NEXT) | instid1(VALU_DEP_1)
	v_dual_sub_f32 v33, v33, v34 :: v_dual_add_f32 v8, v8, v12
	v_sub_f32_e32 v10, v33, v10
	s_delay_alu instid0(VALU_DEP_1) | instskip(NEXT) | instid1(VALU_DEP_1)
	v_add_f32_e32 v8, v8, v10
	v_add_f32_e32 v35, v34, v8
	s_delay_alu instid0(VALU_DEP_1) | instskip(NEXT) | instid1(VALU_DEP_1)
	v_mov_b32_e32 v36, v35
	v_pk_add_f32 v[38:39], v[34:35], v[36:37] neg_lo:[0,1] neg_hi:[0,1]
	s_delay_alu instid0(VALU_DEP_1) | instskip(NEXT) | instid1(VALU_DEP_1)
	v_dual_sub_f32 v10, v35, v39 :: v_dual_add_f32 v8, v8, v38
	v_sub_f32_e32 v10, v10, v37
	s_delay_alu instid0(VALU_DEP_1) | instskip(NEXT) | instid1(VALU_DEP_1)
	v_add_f32_e32 v8, v8, v10
	v_add_f32_e32 v10, v39, v8
	s_delay_alu instid0(VALU_DEP_1) | instskip(SKIP_1) | instid1(VALU_DEP_2)
	v_sub_f32_e32 v12, v39, v10
	v_mov_b64_e32 v[38:39], s[22:23]
	v_add_f32_e32 v8, v8, v12
	s_delay_alu instid0(VALU_DEP_1) | instskip(SKIP_1) | instid1(VALU_DEP_2)
	v_dual_add_f32 v35, v8, v8 :: v_dual_mul_f32 v33, v10, v10
	v_fmaak_f32 v12, s26, v10, 0x3c091de6
	v_fma_f32 v34, v10, v10, -v33
	s_delay_alu instid0(VALU_DEP_1) | instskip(NEXT) | instid1(VALU_DEP_1)
	v_fmac_f32_e32 v34, v10, v35
	v_dual_fmaak_f32 v12, v10, v12, 0x3d2aadcc :: v_dual_add_f32 v35, v33, v34
	s_delay_alu instid0(VALU_DEP_1) | instskip(NEXT) | instid1(VALU_DEP_1)
	v_dual_fmaak_f32 v12, v10, v12, 0x3e2aaa47 :: v_dual_sub_f32 v33, v35, v33
	v_fmaak_f32 v12, v10, v12, 0x3efffffc
	s_delay_alu instid0(VALU_DEP_1) | instskip(NEXT) | instid1(VALU_DEP_1)
	v_dual_sub_f32 v33, v34, v33 :: v_dual_mul_f32 v36, v12, v35
	v_fma_f32 v34, v35, v12, -v36
	s_delay_alu instid0(VALU_DEP_1) | instskip(NEXT) | instid1(VALU_DEP_1)
	v_fmac_f32_e32 v34, v33, v12
	v_add_f32_e32 v33, v36, v34
	s_delay_alu instid0(VALU_DEP_1) | instskip(NEXT) | instid1(VALU_DEP_1)
	v_add_f32_e32 v12, v10, v33
	v_dual_sub_f32 v10, v12, v10 :: v_dual_sub_f32 v35, v33, v36
	s_delay_alu instid0(VALU_DEP_1) | instskip(NEXT) | instid1(VALU_DEP_1)
	v_dual_sub_f32 v10, v33, v10 :: v_dual_sub_f32 v34, v34, v35
	v_add_f32_e32 v8, v8, v34
	s_delay_alu instid0(VALU_DEP_1) | instskip(SKIP_1) | instid1(VALU_DEP_2)
	v_add_f32_e32 v34, v8, v10
	v_cvt_i32_f32_e32 v10, v29
	v_add_f32_e32 v36, v12, v34
	s_delay_alu instid0(VALU_DEP_1) | instskip(NEXT) | instid1(VALU_DEP_1)
	v_dual_add_f32 v37, 1.0, v36 :: v_dual_mov_b32 v35, v36
	v_pk_add_f32 v[38:39], v[36:37], v[38:39]
	v_pk_add_f32 v[40:41], v[36:37], v[12:13] neg_lo:[0,1] neg_hi:[0,1]
	s_delay_alu instid0(VALU_DEP_2) | instskip(NEXT) | instid1(VALU_DEP_1)
	v_mov_b32_e32 v41, v39
	v_pk_add_f32 v[34:35], v[34:35], v[40:41] neg_lo:[0,1] neg_hi:[0,1]
	s_delay_alu instid0(VALU_DEP_1) | instskip(NEXT) | instid1(VALU_DEP_1)
	v_add_f32_e32 v8, v34, v35
	v_add_f32_e32 v12, v37, v8
	s_delay_alu instid0(VALU_DEP_1) | instskip(NEXT) | instid1(VALU_DEP_1)
	v_ldexp_f32 v29, v12, v10
	v_rcp_f32_e32 v33, v29
	v_nop
	s_delay_alu instid0(TRANS32_DEP_1) | instskip(NEXT) | instid1(VALU_DEP_1)
	v_mul_f32_e32 v34, v29, v33
	v_fma_f32 v36, v33, v29, -v34
	v_sub_f32_e32 v12, v12, v37
	s_delay_alu instid0(VALU_DEP_1) | instskip(NEXT) | instid1(VALU_DEP_1)
	v_sub_f32_e32 v8, v8, v12
	v_ldexp_f32 v10, v8, v10
	s_delay_alu instid0(VALU_DEP_1) | instskip(NEXT) | instid1(VALU_DEP_1)
	v_fmac_f32_e32 v36, v33, v10
	v_add_f32_e32 v8, v34, v36
	s_delay_alu instid0(VALU_DEP_1) | instskip(NEXT) | instid1(VALU_DEP_1)
	v_dual_sub_f32 v35, 1.0, v8 :: v_dual_mov_b32 v37, v8
	v_pk_add_f32 v[38:39], v[8:9], v[34:35] neg_lo:[0,1] neg_hi:[0,1]
	s_delay_alu instid0(VALU_DEP_1) | instskip(NEXT) | instid1(VALU_DEP_1)
	v_pk_add_f32 v[36:37], v[38:39], v[36:37] neg_lo:[0,1] neg_hi:[0,1]
	v_add_f32_e32 v8, v36, v37
	s_delay_alu instid0(VALU_DEP_1) | instskip(NEXT) | instid1(VALU_DEP_1)
	v_add_f32_e32 v37, v35, v8
	v_mul_f32_e32 v12, v33, v37
	s_delay_alu instid0(VALU_DEP_1) | instskip(NEXT) | instid1(VALU_DEP_1)
	v_mul_f32_e32 v38, v29, v12
	v_fma_f32 v34, v12, v29, -v38
	s_delay_alu instid0(VALU_DEP_1) | instskip(NEXT) | instid1(VALU_DEP_1)
	v_dual_fmac_f32 v34, v12, v10 :: v_dual_sub_f32 v40, v35, v37
	v_dual_add_f32 v36, v38, v34 :: v_dual_add_f32 v8, v8, v40
	s_delay_alu instid0(VALU_DEP_1) | instskip(NEXT) | instid1(VALU_DEP_1)
	v_dual_sub_f32 v39, v37, v36 :: v_dual_mov_b32 v35, v36
	v_pk_add_f32 v[36:37], v[36:37], v[38:39] neg_lo:[0,1] neg_hi:[0,1]
	s_delay_alu instid0(VALU_DEP_1) | instskip(NEXT) | instid1(VALU_DEP_1)
	v_pk_add_f32 v[34:35], v[36:37], v[34:35] neg_lo:[0,1] neg_hi:[0,1]
	v_dual_add_f32 v8, v8, v35 :: v_dual_add_f32 v35, v33, v12
	s_delay_alu instid0(VALU_DEP_1) | instskip(NEXT) | instid1(VALU_DEP_1)
	v_dual_add_f32 v8, v34, v8 :: v_dual_sub_f32 v34, v35, v33
	v_dual_sub_f32 v12, v12, v34 :: v_dual_add_f32 v8, v39, v8
	s_delay_alu instid0(VALU_DEP_1) | instskip(NEXT) | instid1(VALU_DEP_1)
	v_mul_f32_e32 v8, v33, v8
	v_add_f32_e32 v8, v12, v8
	s_delay_alu instid0(VALU_DEP_1) | instskip(NEXT) | instid1(VALU_DEP_1)
	v_add_f32_e32 v12, v35, v8
	v_ldexp_f32 v33, v12, -2
	s_delay_alu instid0(VALU_DEP_1) | instskip(NEXT) | instid1(VALU_DEP_1)
	v_dual_sub_f32 v12, v12, v35 :: v_dual_sub_f32 v34, v29, v33
	v_dual_sub_f32 v29, v29, v34 :: v_dual_sub_f32 v8, v8, v12
	s_delay_alu instid0(VALU_DEP_1) | instskip(NEXT) | instid1(VALU_DEP_2)
	v_sub_f32_e32 v12, v29, v33
	v_ldexp_f32 v8, v8, -2
	v_xor_b32_e32 v29, 0x80000000, v31
	s_delay_alu instid0(VALU_DEP_3) | instskip(NEXT) | instid1(VALU_DEP_1)
	v_add_f32_e32 v10, v10, v12
	v_sub_f32_e32 v8, v10, v8
	v_mul_f32_e32 v10, v28, v28
	s_delay_alu instid0(VALU_DEP_2) | instskip(NEXT) | instid1(VALU_DEP_2)
	v_add_f32_e32 v8, v34, v8
	v_fmaak_f32 v12, s25, v10, 0xbf039337
	s_delay_alu instid0(VALU_DEP_2) | instskip(NEXT) | instid1(VALU_DEP_1)
	v_cndmask_b32_e32 v8, 0x7f800000, v8, vcc_lo
	v_cndmask_b32_e64 v8, v8, |v31|, s4
	v_fmaak_f32 v31, s24, v10, 0x3ec54587
	s_delay_alu instid0(VALU_DEP_2) | instskip(SKIP_1) | instid1(VALU_DEP_1)
	v_bfi_b32 v29, 0x7fffffff, v8, v29
	v_fmaak_f32 v12, v10, v12, 0x3f93f425
	v_rcp_f32_e32 v12, v12
	v_nop
	s_delay_alu instid0(TRANS32_DEP_1) | instskip(SKIP_1) | instid1(VALU_DEP_1)
	v_mul_f32_e32 v8, v31, v12
	v_fma_f32 v12, v29, v29, 1.0
	v_cmp_gt_f32_e32 vcc_lo, 0xf800000, v12
	s_delay_alu instid0(VALU_DEP_3) | instskip(SKIP_1) | instid1(VALU_DEP_1)
	v_mul_f32_e32 v8, v10, v8
	v_mul_f32_e32 v10, 0x4f800000, v12
	v_cndmask_b32_e32 v10, v12, v10, vcc_lo
	s_delay_alu instid0(VALU_DEP_3) | instskip(NEXT) | instid1(VALU_DEP_2)
	v_fma_f32 v31, v8, v28, v28
	v_sqrt_f32_e32 v34, v10
	s_delay_alu instid0(VALU_DEP_1) | instskip(NEXT) | instid1(VALU_DEP_1)
	v_sub_f32_e32 v33, v31, v28
	v_fma_f32 v8, v8, v28, -v33
	v_rcp_f32_e32 v12, v31
	s_delay_alu instid0(TRANS32_DEP_2) | instskip(NEXT) | instid1(TRANS32_DEP_1)
	v_add_nc_u32_e32 v33, -1, v34
	v_fma_f32 v28, v31, -v12, 1.0
	s_delay_alu instid0(VALU_DEP_1) | instskip(NEXT) | instid1(VALU_DEP_1)
	v_dual_fma_f32 v8, v8, -v12, v28 :: v_dual_add_nc_u32 v28, 1, v34
	v_dual_fma_f32 v35, -v33, v34, v10 :: v_dual_fma_f32 v8, v8, -v12, -v12
	s_delay_alu instid0(VALU_DEP_1) | instskip(NEXT) | instid1(VALU_DEP_1)
	v_cmp_ge_f32_e64 s4, 0, v35
	v_dual_cndmask_b32 v33, v34, v33, s4 :: v_dual_bitop2_b32 v6, 1, v6 bitop3:0x40
	s_delay_alu instid0(VALU_DEP_4) | instskip(NEXT) | instid1(VALU_DEP_2)
	v_fma_f32 v12, -v28, v34, v10
	v_cmp_eq_u32_e64 s4, 0, v6
	s_delay_alu instid0(VALU_DEP_1) | instskip(NEXT) | instid1(VALU_DEP_3)
	v_cndmask_b32_e64 v6, v8, v31, s4
	v_cmp_lt_f32_e64 s4, 0, v12
	s_delay_alu instid0(VALU_DEP_1) | instskip(NEXT) | instid1(VALU_DEP_1)
	v_cndmask_b32_e64 v8, v33, v28, s4
	v_mul_f32_e32 v12, 0x37800000, v8
	s_delay_alu instid0(VALU_DEP_1) | instskip(SKIP_2) | instid1(VALU_DEP_2)
	v_cndmask_b32_e32 v8, v8, v12, vcc_lo
	v_xor3_b32 v6, v32, v6, v30
	v_cmp_class_f32_e64 vcc_lo, v10, 0x260
	v_fma_f32 v30, v6, v6, 1.0
	s_delay_alu instid0(VALU_DEP_4) | instskip(NEXT) | instid1(VALU_DEP_2)
	v_cndmask_b32_e32 v28, v8, v10, vcc_lo
	v_mul_f32_e32 v31, v29, v30
	s_delay_alu instid0(VALU_DEP_1) | instskip(NEXT) | instid1(VALU_DEP_1)
	v_pk_mul_f32 v[30:31], v[28:29], v[30:31]
	v_dual_add_f32 v10, 1.0, v31 :: v_dual_mul_f32 v8, v29, v30
	s_delay_alu instid0(VALU_DEP_1) | instskip(NEXT) | instid1(VALU_DEP_1)
	v_div_scale_f32 v28, null, v10, v10, v6
	v_rcp_f32_e32 v30, v28
	v_nop
	s_delay_alu instid0(TRANS32_DEP_1) | instskip(NEXT) | instid1(VALU_DEP_1)
	v_fma_f32 v32, -v28, v30, 1.0
	v_fmac_f32_e32 v30, v32, v30
	v_div_scale_f32 v12, null, v10, v10, v8
	v_div_scale_f32 v33, vcc_lo, v8, v10, v8
	s_delay_alu instid0(VALU_DEP_2) | instskip(SKIP_1) | instid1(TRANS32_DEP_1)
	v_rcp_f32_e32 v29, v12
	v_nop
	v_fma_f32 v31, -v12, v29, 1.0
	s_delay_alu instid0(VALU_DEP_1) | instskip(SKIP_1) | instid1(VALU_DEP_1)
	v_fmac_f32_e32 v29, v31, v29
	v_div_scale_f32 v31, s4, v6, v10, v6
	v_dual_mul_f32 v32, v33, v29 :: v_dual_mul_f32 v34, v31, v30
	s_delay_alu instid0(VALU_DEP_1) | instskip(NEXT) | instid1(VALU_DEP_1)
	v_fma_f32 v35, -v12, v32, v33
	v_dual_fma_f32 v36, -v28, v34, v31 :: v_dual_fmac_f32 v32, v35, v29
	s_delay_alu instid0(VALU_DEP_1) | instskip(NEXT) | instid1(VALU_DEP_2)
	v_fmac_f32_e32 v34, v36, v30
	v_fma_f32 v12, -v12, v32, v33
	s_delay_alu instid0(VALU_DEP_2) | instskip(NEXT) | instid1(VALU_DEP_2)
	v_fma_f32 v28, -v28, v34, v31
	v_div_fmas_f32 v12, v12, v29, v32
	s_mov_b32 vcc_lo, s4
                                        ; implicit-def: $vgpr32
	s_delay_alu instid0(VALU_DEP_2) | instskip(NEXT) | instid1(VALU_DEP_2)
	v_div_fmas_f32 v28, v28, v30, v34
                                        ; implicit-def: $vgpr30
	v_div_fixup_f32 v29, v12, v10, v8
	s_delay_alu instid0(VALU_DEP_2)
	v_div_fixup_f32 v28, v28, v10, v6
.LBB94_215:                             ;   in Loop: Header=BB94_161 Depth=1
	s_and_not1_saveexec_b32 s31, s31
	s_cbranch_execz .LBB94_225
; %bb.216:                              ;   in Loop: Header=BB94_161 Depth=1
	v_cmp_ngt_f32_e64 s33, 0x48000000, |v30|
                                        ; implicit-def: $vgpr10
                                        ; implicit-def: $vgpr8
	s_and_saveexec_b32 s4, s33
	s_delay_alu instid0(SALU_CYCLE_1)
	s_xor_b32 s34, exec_lo, s4
	s_cbranch_execz .LBB94_218
; %bb.217:                              ;   in Loop: Header=BB94_161 Depth=1
	v_and_or_b32 v6, v32, s22, 0x800000
	v_dual_mov_b32 v43, v7 :: v_dual_lshrrev_b32 v8, 23, v32
	v_mov_b32_e32 v45, v7
	s_delay_alu instid0(VALU_DEP_3) | instskip(NEXT) | instid1(VALU_DEP_3)
	v_mul_u64_e32 v[28:29], s[14:15], v[6:7]
	v_dual_mov_b32 v35, v7 :: v_dual_add_nc_u32 v8, 0xffffff88, v8
	s_delay_alu instid0(VALU_DEP_1) | instskip(SKIP_1) | instid1(VALU_DEP_1)
	v_cmp_lt_u32_e32 vcc_lo, 63, v8
	v_cndmask_b32_e64 v10, 0, 0xffffffc0, vcc_lo
	v_add_nc_u32_e32 v8, v10, v8
	s_delay_alu instid0(VALU_DEP_1) | instskip(NEXT) | instid1(VALU_DEP_1)
	v_cmp_lt_u32_e64 s4, 31, v8
	v_cndmask_b32_e64 v10, 0, 0xffffffe0, s4
	v_mov_b32_e32 v34, v29
	s_delay_alu instid0(VALU_DEP_1) | instskip(NEXT) | instid1(VALU_DEP_1)
	v_mad_nc_u64_u32 v[34:35], 0x3c439041, v6, v[34:35]
	v_dual_mov_b32 v37, v7 :: v_dual_mov_b32 v36, v35
	s_delay_alu instid0(VALU_DEP_1) | instskip(NEXT) | instid1(VALU_DEP_1)
	v_mad_nc_u64_u32 v[36:37], 0xdb629599, v6, v[36:37]
	v_dual_mov_b32 v39, v7 :: v_dual_mov_b32 v38, v37
	s_delay_alu instid0(VALU_DEP_2) | instskip(NEXT) | instid1(VALU_DEP_2)
	v_cndmask_b32_e32 v28, v36, v28, vcc_lo
	v_mad_nc_u64_u32 v[38:39], 0xf534ddc0, v6, v[38:39]
	s_delay_alu instid0(VALU_DEP_1) | instskip(NEXT) | instid1(VALU_DEP_1)
	v_dual_mov_b32 v41, v7 :: v_dual_mov_b32 v40, v39
	v_mad_nc_u64_u32 v[40:41], 0xfc2757d1, v6, v[40:41]
	s_delay_alu instid0(VALU_DEP_1) | instskip(NEXT) | instid1(VALU_DEP_1)
	v_dual_mov_b32 v42, v41 :: v_dual_cndmask_b32 v33, v40, v36
	v_mad_nc_u64_u32 v[42:43], 0x4e441529, v6, v[42:43]
	s_delay_alu instid0(VALU_DEP_1) | instskip(NEXT) | instid1(VALU_DEP_1)
	v_mov_b32_e32 v44, v43
	v_mad_nc_u64_u32 v[44:45], 0xa2f9836e, v6, v[44:45]
	v_add_nc_u32_e32 v6, v10, v8
	s_delay_alu instid0(VALU_DEP_4) | instskip(NEXT) | instid1(VALU_DEP_2)
	v_cndmask_b32_e32 v10, v42, v38, vcc_lo
	v_cmp_lt_u32_e64 s5, 31, v6
	s_delay_alu instid0(VALU_DEP_1) | instskip(SKIP_1) | instid1(VALU_DEP_2)
	v_cndmask_b32_e64 v8, 0, 0xffffffe0, s5
	v_dual_cndmask_b32 v12, v44, v40 :: v_dual_cndmask_b32 v29, v45, v42
	v_add_nc_u32_e32 v6, v8, v6
	v_cndmask_b32_e32 v8, v38, v34, vcc_lo
	s_delay_alu instid0(VALU_DEP_3) | instskip(NEXT) | instid1(VALU_DEP_4)
	v_dual_cndmask_b32 v34, v12, v10, s4 :: v_dual_cndmask_b32 v10, v10, v33, s4
	v_cndmask_b32_e64 v12, v29, v12, s4
	s_delay_alu instid0(VALU_DEP_4) | instskip(NEXT) | instid1(VALU_DEP_2)
	v_cmp_eq_u32_e32 vcc_lo, 0, v6
	v_cndmask_b32_e64 v12, v12, v34, s5
	v_dual_sub_nc_u32 v29, 32, v6 :: v_dual_cndmask_b32 v33, v33, v8, s4
	v_dual_cndmask_b32 v34, v34, v10, s5 :: v_dual_cndmask_b32 v8, v8, v28, s4
	s_delay_alu instid0(VALU_DEP_1) | instskip(NEXT) | instid1(VALU_DEP_1)
	v_alignbit_b32 v35, v12, v34, v29
	v_dual_cndmask_b32 v10, v10, v33, s5 :: v_dual_cndmask_b32 v6, v35, v12, vcc_lo
	s_delay_alu instid0(VALU_DEP_1) | instskip(NEXT) | instid1(VALU_DEP_2)
	v_alignbit_b32 v36, v34, v10, v29
	v_bfe_u32 v28, v6, 29, 1
	s_delay_alu instid0(VALU_DEP_1) | instskip(SKIP_1) | instid1(VALU_DEP_2)
	v_dual_cndmask_b32 v12, v36, v34, vcc_lo :: v_dual_sub_nc_u32 v34, 0, v28
	v_cndmask_b32_e64 v8, v33, v8, s5
	v_alignbit_b32 v33, v6, v12, 30
	s_delay_alu instid0(VALU_DEP_2) | instskip(NEXT) | instid1(VALU_DEP_2)
	v_alignbit_b32 v29, v10, v8, v29
	v_xor_b32_e32 v33, v33, v34
	s_delay_alu instid0(VALU_DEP_2) | instskip(NEXT) | instid1(VALU_DEP_2)
	v_cndmask_b32_e32 v10, v29, v10, vcc_lo
	v_clz_i32_u32_e32 v29, v33
	s_delay_alu instid0(VALU_DEP_1) | instskip(NEXT) | instid1(VALU_DEP_1)
	v_min_u32_e32 v29, 32, v29
	v_lshlrev_b32_e32 v35, 23, v29
	s_delay_alu instid0(VALU_DEP_4) | instskip(SKIP_1) | instid1(VALU_DEP_2)
	v_alignbit_b32 v12, v12, v10, 30
	v_alignbit_b32 v8, v10, v8, 30
	v_dual_sub_nc_u32 v12, 31, v29 :: v_dual_bitop2_b32 v10, v12, v34 bitop3:0x14
	s_delay_alu instid0(VALU_DEP_2) | instskip(NEXT) | instid1(VALU_DEP_2)
	v_xor_b32_e32 v8, v8, v34
	v_alignbit_b32 v33, v33, v10, v12
	v_lshrrev_b32_e32 v34, 29, v6
	s_delay_alu instid0(VALU_DEP_3) | instskip(SKIP_1) | instid1(VALU_DEP_2)
	v_alignbit_b32 v8, v10, v8, v12
	v_lshrrev_b32_e32 v6, 30, v6
	v_alignbit_b32 v12, v33, v8, 9
	s_delay_alu instid0(VALU_DEP_4) | instskip(NEXT) | instid1(VALU_DEP_2)
	v_dual_lshrrev_b32 v33, 9, v33 :: v_dual_lshlrev_b32 v10, 31, v34
	v_clz_i32_u32_e32 v36, v12
	s_delay_alu instid0(VALU_DEP_2) | instskip(SKIP_1) | instid1(VALU_DEP_2)
	v_or_b32_e32 v34, 0.5, v10
	v_or_b32_e32 v10, 0x33000000, v10
	v_sub_nc_u32_e32 v34, v34, v35
	s_delay_alu instid0(VALU_DEP_4) | instskip(NEXT) | instid1(VALU_DEP_2)
	v_min_u32_e32 v35, 32, v36
	v_or_b32_e32 v33, v33, v34
	s_delay_alu instid0(VALU_DEP_2) | instskip(SKIP_1) | instid1(VALU_DEP_2)
	v_not_b32_e32 v34, v35
	v_add_lshl_u32 v29, v35, v29, 23
	v_alignbit_b32 v8, v12, v8, v34
	s_delay_alu instid0(VALU_DEP_1) | instskip(SKIP_1) | instid1(VALU_DEP_2)
	v_dual_sub_nc_u32 v10, v10, v29 :: v_dual_lshrrev_b32 v8, 9, v8
	v_mul_f32_e32 v36, 0x3fc90fda, v33
	v_or_b32_e32 v8, v10, v8
	s_delay_alu instid0(VALU_DEP_2) | instskip(SKIP_1) | instid1(VALU_DEP_2)
	v_fma_f32 v12, 0x3fc90fda, v33, -v36
	v_add_nc_u32_e32 v10, v28, v6
	v_fmac_f32_e32 v12, 0x33a22168, v33
	s_delay_alu instid0(VALU_DEP_1) | instskip(NEXT) | instid1(VALU_DEP_1)
	v_fmac_f32_e32 v12, 0x3fc90fda, v8
	v_add_f32_e32 v8, v36, v12
	s_and_not1_saveexec_b32 s4, s34
	s_branch .LBB94_219
.LBB94_218:                             ;   in Loop: Header=BB94_161 Depth=1
	s_and_not1_saveexec_b32 s4, s34
.LBB94_219:                             ;   in Loop: Header=BB94_161 Depth=1
	v_mul_f32_e64 v6, 0x3f22f983, |v30|
	s_delay_alu instid0(VALU_DEP_1) | instskip(NEXT) | instid1(VALU_DEP_1)
	v_rndne_f32_e32 v6, v6
	v_fma_f32 v8, 0xbfc90fda, v6, |v30|
	v_cvt_i32_f32_e32 v10, v6
	s_delay_alu instid0(VALU_DEP_2) | instskip(NEXT) | instid1(VALU_DEP_1)
	v_fmac_f32_e32 v8, 0xb3a22168, v6
	v_fmac_f32_e32 v8, 0xa7c234c4, v6
; %bb.220:                              ;   in Loop: Header=BB94_161 Depth=1
	s_or_b32 exec_lo, exec_lo, s4
                                        ; implicit-def: $vgpr12
                                        ; implicit-def: $vgpr6
	s_and_saveexec_b32 s4, s33
	s_delay_alu instid0(SALU_CYCLE_1)
	s_xor_b32 s33, exec_lo, s4
	s_cbranch_execz .LBB94_222
; %bb.221:                              ;   in Loop: Header=BB94_161 Depth=1
	v_and_or_b32 v6, v32, s22, 0x800000
	v_dual_mov_b32 v43, v7 :: v_dual_lshrrev_b32 v12, 23, v32
	v_mov_b32_e32 v45, v7
	s_delay_alu instid0(VALU_DEP_3) | instskip(NEXT) | instid1(VALU_DEP_1)
	v_mul_u64_e32 v[28:29], s[14:15], v[6:7]
	v_dual_mov_b32 v35, v7 :: v_dual_mov_b32 v34, v29
	s_delay_alu instid0(VALU_DEP_1) | instskip(NEXT) | instid1(VALU_DEP_1)
	v_mad_nc_u64_u32 v[34:35], 0x3c439041, v6, v[34:35]
	v_dual_mov_b32 v37, v7 :: v_dual_mov_b32 v36, v35
	s_delay_alu instid0(VALU_DEP_1) | instskip(NEXT) | instid1(VALU_DEP_1)
	v_mad_nc_u64_u32 v[36:37], 0xdb629599, v6, v[36:37]
	;; [unrolled: 3-line block ×4, first 2 shown]
	v_mov_b32_e32 v42, v41
	s_delay_alu instid0(VALU_DEP_1) | instskip(SKIP_1) | instid1(VALU_DEP_1)
	v_mad_nc_u64_u32 v[42:43], 0x4e441529, v6, v[42:43]
	v_add_nc_u32_e32 v12, 0xffffff88, v12
	v_cmp_lt_u32_e32 vcc_lo, 63, v12
	v_cndmask_b32_e64 v29, 0, 0xffffffc0, vcc_lo
	s_delay_alu instid0(VALU_DEP_4) | instskip(NEXT) | instid1(VALU_DEP_2)
	v_dual_mov_b32 v44, v43 :: v_dual_cndmask_b32 v28, v36, v28, vcc_lo
	v_add_nc_u32_e32 v12, v29, v12
	s_delay_alu instid0(VALU_DEP_2) | instskip(NEXT) | instid1(VALU_DEP_2)
	v_mad_nc_u64_u32 v[44:45], 0xa2f9836e, v6, v[44:45]
	v_cmp_lt_u32_e64 s4, 31, v12
	s_delay_alu instid0(VALU_DEP_1) | instskip(NEXT) | instid1(VALU_DEP_3)
	v_cndmask_b32_e64 v29, 0, 0xffffffe0, s4
	v_dual_cndmask_b32 v33, v44, v40, vcc_lo :: v_dual_cndmask_b32 v35, v45, v42, vcc_lo
	s_delay_alu instid0(VALU_DEP_2) | instskip(SKIP_1) | instid1(VALU_DEP_2)
	v_dual_cndmask_b32 v29, v42, v38 :: v_dual_add_nc_u32 v6, v29, v12
	v_cndmask_b32_e32 v37, v40, v36, vcc_lo
	v_cmp_lt_u32_e64 s5, 31, v6
	s_delay_alu instid0(VALU_DEP_1) | instskip(NEXT) | instid1(VALU_DEP_1)
	v_cndmask_b32_e64 v12, 0, 0xffffffe0, s5
	v_add_nc_u32_e32 v6, v12, v6
	v_dual_cndmask_b32 v12, v38, v34, vcc_lo :: v_dual_cndmask_b32 v34, v33, v29, s4
	v_cndmask_b32_e64 v33, v35, v33, s4
	s_delay_alu instid0(VALU_DEP_3) | instskip(NEXT) | instid1(VALU_DEP_3)
	v_dual_cndmask_b32 v29, v29, v37, s4 :: v_dual_sub_nc_u32 v35, 32, v6
	v_cndmask_b32_e64 v37, v37, v12, s4
	v_cmp_eq_u32_e32 vcc_lo, 0, v6
	s_delay_alu instid0(VALU_DEP_3) | instskip(NEXT) | instid1(VALU_DEP_3)
	v_dual_cndmask_b32 v33, v33, v34, s5 :: v_dual_cndmask_b32 v34, v34, v29, s5
	v_dual_cndmask_b32 v12, v12, v28, s4 :: v_dual_cndmask_b32 v29, v29, v37, s5
	s_delay_alu instid0(VALU_DEP_2) | instskip(NEXT) | instid1(VALU_DEP_2)
	v_alignbit_b32 v38, v33, v34, v35
	v_alignbit_b32 v36, v34, v29, v35
	s_delay_alu instid0(VALU_DEP_1) | instskip(NEXT) | instid1(VALU_DEP_1)
	v_dual_cndmask_b32 v6, v38, v33, vcc_lo :: v_dual_cndmask_b32 v28, v36, v34, vcc_lo
	v_bfe_u32 v33, v6, 29, 1
	v_cndmask_b32_e64 v12, v37, v12, s5
	s_delay_alu instid0(VALU_DEP_3) | instskip(NEXT) | instid1(VALU_DEP_3)
	v_alignbit_b32 v34, v6, v28, 30
	v_sub_nc_u32_e32 v36, 0, v33
	s_delay_alu instid0(VALU_DEP_3) | instskip(NEXT) | instid1(VALU_DEP_1)
	v_alignbit_b32 v35, v29, v12, v35
	v_dual_cndmask_b32 v29, v35, v29, vcc_lo :: v_dual_bitop2_b32 v34, v34, v36 bitop3:0x14
	s_delay_alu instid0(VALU_DEP_1) | instskip(NEXT) | instid1(VALU_DEP_2)
	v_clz_i32_u32_e32 v35, v34
	v_alignbit_b32 v28, v28, v29, 30
	v_alignbit_b32 v12, v29, v12, 30
	s_delay_alu instid0(VALU_DEP_3) | instskip(NEXT) | instid1(VALU_DEP_3)
	v_min_u32_e32 v35, 32, v35
	v_xor_b32_e32 v28, v28, v36
	s_delay_alu instid0(VALU_DEP_3) | instskip(NEXT) | instid1(VALU_DEP_3)
	v_dual_lshrrev_b32 v36, 29, v6 :: v_dual_bitop2_b32 v12, v12, v36 bitop3:0x14
	v_dual_sub_nc_u32 v29, 31, v35 :: v_dual_lshlrev_b32 v37, 23, v35
	s_delay_alu instid0(VALU_DEP_1) | instskip(NEXT) | instid1(VALU_DEP_3)
	v_alignbit_b32 v34, v34, v28, v29
	v_alignbit_b32 v12, v28, v12, v29
	s_delay_alu instid0(VALU_DEP_4) | instskip(NEXT) | instid1(VALU_DEP_2)
	v_lshlrev_b32_e32 v28, 31, v36
	v_alignbit_b32 v29, v34, v12, 9
	s_delay_alu instid0(VALU_DEP_2) | instskip(SKIP_1) | instid1(VALU_DEP_3)
	v_dual_lshrrev_b32 v34, 9, v34 :: v_dual_bitop2_b32 v36, 0.5, v28 bitop3:0x54
	v_or_b32_e32 v28, 0x33000000, v28
	v_clz_i32_u32_e32 v38, v29
	s_delay_alu instid0(VALU_DEP_3) | instskip(NEXT) | instid1(VALU_DEP_2)
	v_sub_nc_u32_e32 v36, v36, v37
	v_min_u32_e32 v37, 32, v38
	s_delay_alu instid0(VALU_DEP_1) | instskip(NEXT) | instid1(VALU_DEP_3)
	v_add_lshl_u32 v35, v37, v35, 23
	v_or_b32_e32 v34, v34, v36
	v_not_b32_e32 v36, v37
	s_delay_alu instid0(VALU_DEP_3) | instskip(NEXT) | instid1(VALU_DEP_2)
	v_sub_nc_u32_e32 v28, v28, v35
	v_alignbit_b32 v12, v29, v12, v36
	s_delay_alu instid0(VALU_DEP_1) | instskip(NEXT) | instid1(VALU_DEP_1)
	v_lshrrev_b32_e32 v12, 9, v12
	v_or_b32_e32 v12, v28, v12
	v_mul_f32_e32 v38, 0x3fc90fda, v34
	s_delay_alu instid0(VALU_DEP_1) | instskip(NEXT) | instid1(VALU_DEP_1)
	v_fma_f32 v29, 0x3fc90fda, v34, -v38
	v_fmac_f32_e32 v29, 0x33a22168, v34
	s_delay_alu instid0(VALU_DEP_1) | instskip(NEXT) | instid1(VALU_DEP_1)
	v_dual_fmac_f32 v29, 0x3fc90fda, v12 :: v_dual_lshrrev_b32 v12, 30, v6
	v_dual_add_f32 v6, v38, v29 :: v_dual_add_nc_u32 v12, v33, v12
	s_and_not1_saveexec_b32 s4, s33
	s_cbranch_execnz .LBB94_223
	s_branch .LBB94_224
.LBB94_222:                             ;   in Loop: Header=BB94_161 Depth=1
	s_and_not1_saveexec_b32 s4, s33
.LBB94_223:                             ;   in Loop: Header=BB94_161 Depth=1
	v_mul_f32_e64 v6, 0x3f22f983, |v30|
	s_delay_alu instid0(VALU_DEP_1) | instskip(NEXT) | instid1(VALU_DEP_1)
	v_rndne_f32_e32 v12, v6
	v_fma_f32 v6, 0xbfc90fda, v12, |v30|
	s_delay_alu instid0(VALU_DEP_1) | instskip(NEXT) | instid1(VALU_DEP_1)
	v_fmac_f32_e32 v6, 0xb3a22168, v12
	v_fmac_f32_e32 v6, 0xa7c234c4, v12
	v_cvt_i32_f32_e32 v12, v12
.LBB94_224:                             ;   in Loop: Header=BB94_161 Depth=1
	s_or_b32 exec_lo, exec_lo, s4
	v_dual_mul_f32 v28, v8, v8 :: v_dual_bitop2_b32 v29, 1, v10 bitop3:0x40
	v_lshlrev_b32_e32 v10, 30, v10
	v_mul_f32_e64 v33, 0xbfb8aa3b, |v31|
	s_delay_alu instid0(VALU_DEP_3) | instskip(NEXT) | instid1(VALU_DEP_3)
	v_dual_fmaak_f32 v35, s28, v28, 0xbab64f3b :: v_dual_mul_f32 v36, v6, v6
	v_bitop3_b32 v10, v32, v10, 0x80000000 bitop3:0x78
	s_delay_alu instid0(VALU_DEP_3) | instskip(SKIP_1) | instid1(VALU_DEP_4)
	v_rndne_f32_e32 v32, v33
	v_fma_f32 v37, 0xbfb8aa3b, |v31|, -v33
	v_fmaak_f32 v35, v28, v35, 0x3d2aabf7
	v_fmaak_f32 v38, s27, v36, 0x3c0881c4
	v_cmp_eq_u32_e32 vcc_lo, 0, v29
	v_sub_f32_e32 v33, v33, v32
	v_fma_f32 v37, 0xb2a5705f, |v31|, v37
	v_cvt_i32_f32_e32 v32, v32
	v_fmaak_f32 v38, v36, v38, 0xbe2aaa9d
	s_delay_alu instid0(VALU_DEP_3) | instskip(NEXT) | instid1(VALU_DEP_1)
	v_dual_fmaak_f32 v34, s27, v28, 0x3c0881c4 :: v_dual_add_f32 v33, v33, v37
	v_fmaak_f32 v34, v28, v34, 0xbe2aaa9d
	v_fmaak_f32 v39, s28, v36, 0xbab64f3b
	s_delay_alu instid0(VALU_DEP_3) | instskip(SKIP_1) | instid1(VALU_DEP_3)
	v_exp_f32_e32 v29, v33
	v_dual_lshlrev_b32 v12, 30, v12 :: v_dual_bitop2_b32 v33, 1, v12 bitop3:0x40
	v_mul_f32_e32 v34, v28, v34
	s_delay_alu instid0(VALU_DEP_1) | instskip(SKIP_2) | instid1(VALU_DEP_2)
	v_fmac_f32_e32 v8, v8, v34
	v_fmaak_f32 v35, v28, v35, 0xbf000004
	v_fmaak_f32 v34, v36, v39, 0x3d2aabf7
	v_fma_f32 v28, v28, v35, 1.0
	v_mul_f32_e32 v35, v36, v38
	s_delay_alu instid0(VALU_DEP_1) | instskip(NEXT) | instid1(VALU_DEP_4)
	v_dual_fmac_f32 v6, v6, v35 :: v_dual_cndmask_b32 v8, v28, v8, vcc_lo
	v_fmaak_f32 v28, v36, v34, 0xbf000004
	v_cmp_eq_u32_e32 vcc_lo, 0, v33
	s_delay_alu instid0(VALU_DEP_3) | instskip(NEXT) | instid1(VALU_DEP_3)
	v_xor3_b32 v8, v10, v8, v30
	v_fma_f32 v28, v36, v28, 1.0
	v_ldexp_f32 v10, v29, v32
	s_delay_alu instid0(VALU_DEP_2) | instskip(SKIP_1) | instid1(VALU_DEP_3)
	v_cndmask_b32_e64 v6, -v6, v28, vcc_lo
	v_cmp_nlt_f32_e64 vcc_lo, 0x42ce8ed0, |v31|
	v_cndmask_b32_e32 v10, 0, v10, vcc_lo
	v_cmp_ngt_f32_e64 vcc_lo, 0xc2b17218, |v31|
	s_delay_alu instid0(VALU_DEP_4) | instskip(NEXT) | instid1(VALU_DEP_3)
	v_bitop3_b32 v6, v12, v6, 0x80000000 bitop3:0x6c
	v_cndmask_b32_e32 v10, 0x7f800000, v10, vcc_lo
	v_mul_f32_e32 v8, 4.0, v8
	s_delay_alu instid0(VALU_DEP_1) | instskip(SKIP_1) | instid1(VALU_DEP_2)
	v_mul_f32_e32 v6, v8, v6
	v_xor_b32_e32 v8, 0x80000000, v31
	v_mul_f32_e32 v6, v10, v6
	s_delay_alu instid0(VALU_DEP_2) | instskip(NEXT) | instid1(VALU_DEP_2)
	v_bfi_b32 v29, 0x7fffffff, 1.0, v8
	v_mul_f32_e32 v28, v10, v6
.LBB94_225:                             ;   in Loop: Header=BB94_161 Depth=1
	s_or_b32 exec_lo, exec_lo, s31
                                        ; implicit-def: $vgpr30
.LBB94_226:                             ;   in Loop: Header=BB94_161 Depth=1
	s_and_not1_saveexec_b32 s4, s30
; %bb.227:                              ;   in Loop: Header=BB94_161 Depth=1
	v_sub_f32_e32 v28, v30, v30
	s_delay_alu instid0(VALU_DEP_1)
	v_mov_b32_e32 v29, v28
; %bb.228:                              ;   in Loop: Header=BB94_161 Depth=1
	s_or_b32 exec_lo, exec_lo, s4
                                        ; implicit-def: $vgpr31
.LBB94_229:                             ;   in Loop: Header=BB94_161 Depth=1
	s_and_not1_saveexec_b32 s29, s29
	s_cbranch_execz .LBB94_245
; %bb.230:                              ;   in Loop: Header=BB94_161 Depth=1
	v_xor_b32_e32 v29, 0x80000000, v31
	s_mov_b32 s4, exec_lo
                                        ; implicit-def: $vgpr28
	s_delay_alu instid0(VALU_DEP_1) | instskip(NEXT) | instid1(VALU_DEP_1)
	v_and_b32_e32 v6, 0x7fffff, v29
	v_cmpx_ne_u32_e32 0, v6
	s_xor_b32 s4, exec_lo, s4
; %bb.231:                              ;   in Loop: Header=BB94_161 Depth=1
	v_mul_f32_e64 v6, v30, -v31
	v_cmp_eq_f32_e32 vcc_lo, 0, v30
	s_delay_alu instid0(VALU_DEP_2)
	v_cndmask_b32_e32 v28, v6, v30, vcc_lo
                                        ; implicit-def: $vgpr30
; %bb.232:                              ;   in Loop: Header=BB94_161 Depth=1
	s_and_not1_saveexec_b32 s30, s4
	s_cbranch_execz .LBB94_244
; %bb.233:                              ;   in Loop: Header=BB94_161 Depth=1
	s_mov_b32 s31, exec_lo
	v_cmpx_neq_f32_e64 0x7f800000, |v30|
	s_cbranch_execz .LBB94_243
; %bb.234:                              ;   in Loop: Header=BB94_161 Depth=1
	v_and_b32_e32 v8, 0x7fffffff, v30
	v_cmp_ngt_f32_e64 s33, 0x48000000, |v30|
                                        ; implicit-def: $vgpr12
                                        ; implicit-def: $vgpr10
	s_and_saveexec_b32 s4, s33
	s_delay_alu instid0(SALU_CYCLE_1)
	s_xor_b32 s34, exec_lo, s4
	s_cbranch_execz .LBB94_236
; %bb.235:                              ;   in Loop: Header=BB94_161 Depth=1
	v_and_or_b32 v6, v8, s22, 0x800000
	v_dual_mov_b32 v43, v7 :: v_dual_lshrrev_b32 v10, 23, v8
	v_mov_b32_e32 v45, v7
	s_delay_alu instid0(VALU_DEP_3) | instskip(NEXT) | instid1(VALU_DEP_3)
	v_mul_u64_e32 v[32:33], s[14:15], v[6:7]
	v_dual_mov_b32 v35, v7 :: v_dual_add_nc_u32 v10, 0xffffff88, v10
	s_delay_alu instid0(VALU_DEP_1) | instskip(SKIP_1) | instid1(VALU_DEP_1)
	v_cmp_lt_u32_e32 vcc_lo, 63, v10
	v_cndmask_b32_e64 v12, 0, 0xffffffc0, vcc_lo
	v_add_nc_u32_e32 v10, v12, v10
	s_delay_alu instid0(VALU_DEP_1) | instskip(NEXT) | instid1(VALU_DEP_1)
	v_cmp_lt_u32_e64 s4, 31, v10
	v_cndmask_b32_e64 v12, 0, 0xffffffe0, s4
	v_mov_b32_e32 v34, v33
	s_delay_alu instid0(VALU_DEP_1) | instskip(NEXT) | instid1(VALU_DEP_1)
	v_mad_nc_u64_u32 v[34:35], 0x3c439041, v6, v[34:35]
	v_dual_mov_b32 v37, v7 :: v_dual_mov_b32 v36, v35
	s_delay_alu instid0(VALU_DEP_1) | instskip(NEXT) | instid1(VALU_DEP_1)
	v_mad_nc_u64_u32 v[36:37], 0xdb629599, v6, v[36:37]
	v_dual_mov_b32 v39, v7 :: v_dual_mov_b32 v38, v37
	s_delay_alu instid0(VALU_DEP_2) | instskip(NEXT) | instid1(VALU_DEP_2)
	v_cndmask_b32_e32 v32, v36, v32, vcc_lo
	v_mad_nc_u64_u32 v[38:39], 0xf534ddc0, v6, v[38:39]
	s_delay_alu instid0(VALU_DEP_1) | instskip(NEXT) | instid1(VALU_DEP_1)
	v_dual_mov_b32 v41, v7 :: v_dual_mov_b32 v40, v39
	v_mad_nc_u64_u32 v[40:41], 0xfc2757d1, v6, v[40:41]
	s_delay_alu instid0(VALU_DEP_1) | instskip(NEXT) | instid1(VALU_DEP_1)
	v_dual_mov_b32 v42, v41 :: v_dual_cndmask_b32 v33, v40, v36
	v_mad_nc_u64_u32 v[42:43], 0x4e441529, v6, v[42:43]
	s_delay_alu instid0(VALU_DEP_1) | instskip(NEXT) | instid1(VALU_DEP_1)
	v_mov_b32_e32 v44, v43
	v_mad_nc_u64_u32 v[44:45], 0xa2f9836e, v6, v[44:45]
	v_add_nc_u32_e32 v6, v12, v10
	s_delay_alu instid0(VALU_DEP_4) | instskip(NEXT) | instid1(VALU_DEP_2)
	v_cndmask_b32_e32 v12, v42, v38, vcc_lo
	v_cmp_lt_u32_e64 s5, 31, v6
	s_delay_alu instid0(VALU_DEP_1) | instskip(SKIP_1) | instid1(VALU_DEP_2)
	v_cndmask_b32_e64 v10, 0, 0xffffffe0, s5
	v_dual_cndmask_b32 v28, v44, v40 :: v_dual_cndmask_b32 v31, v45, v42
	v_add_nc_u32_e32 v6, v10, v6
	s_delay_alu instid0(VALU_DEP_2) | instskip(NEXT) | instid1(VALU_DEP_3)
	v_dual_cndmask_b32 v10, v38, v34, vcc_lo :: v_dual_cndmask_b32 v34, v28, v12, s4
	v_dual_cndmask_b32 v28, v31, v28, s4 :: v_dual_cndmask_b32 v12, v12, v33, s4
	s_delay_alu instid0(VALU_DEP_3) | instskip(NEXT) | instid1(VALU_DEP_3)
	v_sub_nc_u32_e32 v31, 32, v6
	v_cndmask_b32_e64 v33, v33, v10, s4
	v_cmp_eq_u32_e32 vcc_lo, 0, v6
	s_delay_alu instid0(VALU_DEP_4) | instskip(SKIP_1) | instid1(VALU_DEP_1)
	v_dual_cndmask_b32 v28, v28, v34, s5 :: v_dual_cndmask_b32 v10, v10, v32, s4
	v_cndmask_b32_e64 v34, v34, v12, s5
	v_alignbit_b32 v35, v28, v34, v31
	s_delay_alu instid0(VALU_DEP_1) | instskip(NEXT) | instid1(VALU_DEP_1)
	v_dual_cndmask_b32 v12, v12, v33, s5 :: v_dual_cndmask_b32 v6, v35, v28, vcc_lo
	v_alignbit_b32 v36, v34, v12, v31
	s_delay_alu instid0(VALU_DEP_2) | instskip(NEXT) | instid1(VALU_DEP_2)
	v_bfe_u32 v32, v6, 29, 1
	v_cndmask_b32_e32 v28, v36, v34, vcc_lo
	s_delay_alu instid0(VALU_DEP_2) | instskip(NEXT) | instid1(VALU_DEP_2)
	v_dual_cndmask_b32 v10, v33, v10, s5 :: v_dual_sub_nc_u32 v34, 0, v32
	v_alignbit_b32 v33, v6, v28, 30
	s_delay_alu instid0(VALU_DEP_2) | instskip(NEXT) | instid1(VALU_DEP_1)
	v_alignbit_b32 v31, v12, v10, v31
	v_dual_cndmask_b32 v12, v31, v12, vcc_lo :: v_dual_bitop2_b32 v33, v33, v34 bitop3:0x14
	s_delay_alu instid0(VALU_DEP_1) | instskip(NEXT) | instid1(VALU_DEP_2)
	v_clz_i32_u32_e32 v31, v33
	v_alignbit_b32 v28, v28, v12, 30
	v_alignbit_b32 v10, v12, v10, 30
	s_delay_alu instid0(VALU_DEP_3) | instskip(NEXT) | instid1(VALU_DEP_3)
	v_min_u32_e32 v31, 32, v31
	v_xor_b32_e32 v12, v28, v34
	s_delay_alu instid0(VALU_DEP_3) | instskip(NEXT) | instid1(VALU_DEP_3)
	v_xor_b32_e32 v10, v10, v34
	v_dual_lshrrev_b32 v34, 29, v6 :: v_dual_lshlrev_b32 v35, 23, v31
	v_sub_nc_u32_e32 v28, 31, v31
	s_delay_alu instid0(VALU_DEP_1) | instskip(NEXT) | instid1(VALU_DEP_4)
	v_alignbit_b32 v33, v33, v12, v28
	v_alignbit_b32 v10, v12, v10, v28
	s_delay_alu instid0(VALU_DEP_4) | instskip(NEXT) | instid1(VALU_DEP_2)
	v_lshlrev_b32_e32 v12, 31, v34
	v_alignbit_b32 v28, v33, v10, 9
	s_delay_alu instid0(VALU_DEP_2) | instskip(SKIP_1) | instid1(VALU_DEP_3)
	v_dual_lshrrev_b32 v33, 9, v33 :: v_dual_bitop2_b32 v34, 0.5, v12 bitop3:0x54
	v_or_b32_e32 v12, 0x33000000, v12
	v_clz_i32_u32_e32 v36, v28
	s_delay_alu instid0(VALU_DEP_3) | instskip(NEXT) | instid1(VALU_DEP_2)
	v_sub_nc_u32_e32 v34, v34, v35
	v_min_u32_e32 v35, 32, v36
	s_delay_alu instid0(VALU_DEP_1) | instskip(NEXT) | instid1(VALU_DEP_3)
	v_add_lshl_u32 v31, v35, v31, 23
	v_or_b32_e32 v33, v33, v34
	v_not_b32_e32 v34, v35
	s_delay_alu instid0(VALU_DEP_3) | instskip(NEXT) | instid1(VALU_DEP_3)
	v_sub_nc_u32_e32 v12, v12, v31
	v_mul_f32_e32 v36, 0x3fc90fda, v33
	s_delay_alu instid0(VALU_DEP_3) | instskip(NEXT) | instid1(VALU_DEP_2)
	v_alignbit_b32 v10, v28, v10, v34
	v_fma_f32 v28, 0x3fc90fda, v33, -v36
	s_delay_alu instid0(VALU_DEP_2) | instskip(NEXT) | instid1(VALU_DEP_2)
	v_lshrrev_b32_e32 v10, 9, v10
	v_fmac_f32_e32 v28, 0x33a22168, v33
	s_delay_alu instid0(VALU_DEP_2) | instskip(NEXT) | instid1(VALU_DEP_1)
	v_or_b32_e32 v10, v12, v10
	v_fmac_f32_e32 v28, 0x3fc90fda, v10
	s_delay_alu instid0(VALU_DEP_1) | instskip(NEXT) | instid1(VALU_DEP_1)
	v_dual_lshrrev_b32 v6, 30, v6 :: v_dual_add_f32 v10, v36, v28
	v_add_nc_u32_e32 v12, v32, v6
	s_and_not1_saveexec_b32 s4, s34
	s_branch .LBB94_237
.LBB94_236:                             ;   in Loop: Header=BB94_161 Depth=1
	s_and_not1_saveexec_b32 s4, s34
.LBB94_237:                             ;   in Loop: Header=BB94_161 Depth=1
	v_mul_f32_e64 v6, 0x3f22f983, |v30|
	s_delay_alu instid0(VALU_DEP_1) | instskip(NEXT) | instid1(VALU_DEP_1)
	v_rndne_f32_e32 v6, v6
	v_fma_f32 v10, 0xbfc90fda, v6, |v30|
	v_cvt_i32_f32_e32 v12, v6
	s_delay_alu instid0(VALU_DEP_2) | instskip(NEXT) | instid1(VALU_DEP_1)
	v_fmac_f32_e32 v10, 0xb3a22168, v6
	v_fmac_f32_e32 v10, 0xa7c234c4, v6
; %bb.238:                              ;   in Loop: Header=BB94_161 Depth=1
	s_or_b32 exec_lo, exec_lo, s4
                                        ; implicit-def: $vgpr28
                                        ; implicit-def: $vgpr6
	s_and_saveexec_b32 s4, s33
	s_delay_alu instid0(SALU_CYCLE_1)
	s_xor_b32 s33, exec_lo, s4
	s_cbranch_execz .LBB94_240
; %bb.239:                              ;   in Loop: Header=BB94_161 Depth=1
	v_and_or_b32 v6, v8, s22, 0x800000
	v_dual_mov_b32 v43, v7 :: v_dual_lshrrev_b32 v28, 23, v8
	v_mov_b32_e32 v45, v7
	s_delay_alu instid0(VALU_DEP_3) | instskip(NEXT) | instid1(VALU_DEP_3)
	v_mul_u64_e32 v[32:33], s[14:15], v[6:7]
	v_dual_mov_b32 v35, v7 :: v_dual_add_nc_u32 v28, 0xffffff88, v28
	s_delay_alu instid0(VALU_DEP_1) | instskip(SKIP_1) | instid1(VALU_DEP_1)
	v_cmp_lt_u32_e32 vcc_lo, 63, v28
	v_cndmask_b32_e64 v31, 0, 0xffffffc0, vcc_lo
	v_add_nc_u32_e32 v28, v31, v28
	s_delay_alu instid0(VALU_DEP_1) | instskip(NEXT) | instid1(VALU_DEP_1)
	v_cmp_lt_u32_e64 s4, 31, v28
	v_cndmask_b32_e64 v31, 0, 0xffffffe0, s4
	v_mov_b32_e32 v34, v33
	s_delay_alu instid0(VALU_DEP_1) | instskip(NEXT) | instid1(VALU_DEP_1)
	v_mad_nc_u64_u32 v[34:35], 0x3c439041, v6, v[34:35]
	v_dual_mov_b32 v37, v7 :: v_dual_mov_b32 v36, v35
	s_delay_alu instid0(VALU_DEP_1) | instskip(NEXT) | instid1(VALU_DEP_1)
	v_mad_nc_u64_u32 v[36:37], 0xdb629599, v6, v[36:37]
	v_dual_mov_b32 v39, v7 :: v_dual_mov_b32 v38, v37
	;; [unrolled: 3-line block ×3, first 2 shown]
	s_delay_alu instid0(VALU_DEP_1) | instskip(NEXT) | instid1(VALU_DEP_1)
	v_mad_nc_u64_u32 v[40:41], 0xfc2757d1, v6, v[40:41]
	v_mov_b32_e32 v42, v41
	s_delay_alu instid0(VALU_DEP_1) | instskip(NEXT) | instid1(VALU_DEP_1)
	v_mad_nc_u64_u32 v[42:43], 0x4e441529, v6, v[42:43]
	v_mov_b32_e32 v44, v43
	s_delay_alu instid0(VALU_DEP_1) | instskip(NEXT) | instid1(VALU_DEP_3)
	v_mad_nc_u64_u32 v[44:45], 0xa2f9836e, v6, v[44:45]
	v_dual_cndmask_b32 v31, v42, v38 :: v_dual_add_nc_u32 v6, v31, v28
	s_delay_alu instid0(VALU_DEP_2) | instskip(NEXT) | instid1(VALU_DEP_2)
	v_cndmask_b32_e32 v35, v45, v42, vcc_lo
	v_cmp_lt_u32_e64 s5, 31, v6
	s_delay_alu instid0(VALU_DEP_4) | instskip(SKIP_1) | instid1(VALU_DEP_3)
	v_cndmask_b32_e32 v33, v44, v40, vcc_lo
	v_cndmask_b32_e32 v37, v40, v36, vcc_lo
	v_cndmask_b32_e64 v28, 0, 0xffffffe0, s5
	s_delay_alu instid0(VALU_DEP_1) | instskip(NEXT) | instid1(VALU_DEP_4)
	v_add_nc_u32_e32 v6, v28, v6
	v_dual_cndmask_b32 v28, v38, v34, vcc_lo :: v_dual_cndmask_b32 v34, v33, v31, s4
	v_cndmask_b32_e64 v33, v35, v33, s4
	s_delay_alu instid0(VALU_DEP_3) | instskip(NEXT) | instid1(VALU_DEP_3)
	v_dual_cndmask_b32 v31, v31, v37, s4 :: v_dual_sub_nc_u32 v35, 32, v6
	v_cndmask_b32_e64 v37, v37, v28, s4
	s_delay_alu instid0(VALU_DEP_2) | instskip(NEXT) | instid1(VALU_DEP_2)
	v_dual_cndmask_b32 v33, v33, v34, s5 :: v_dual_cndmask_b32 v34, v34, v31, s5
	v_cndmask_b32_e64 v31, v31, v37, s5
	s_delay_alu instid0(VALU_DEP_2) | instskip(SKIP_2) | instid1(VALU_DEP_4)
	v_alignbit_b32 v38, v33, v34, v35
	v_cndmask_b32_e32 v32, v36, v32, vcc_lo
	v_cmp_eq_u32_e32 vcc_lo, 0, v6
	v_alignbit_b32 v36, v34, v31, v35
	s_delay_alu instid0(VALU_DEP_4) | instskip(NEXT) | instid1(VALU_DEP_1)
	v_cndmask_b32_e32 v6, v38, v33, vcc_lo
	v_bfe_u32 v33, v6, 29, 1
	v_cndmask_b32_e64 v28, v28, v32, s4
	s_delay_alu instid0(VALU_DEP_2) | instskip(NEXT) | instid1(VALU_DEP_2)
	v_dual_cndmask_b32 v32, v36, v34, vcc_lo :: v_dual_sub_nc_u32 v36, 0, v33
	v_cndmask_b32_e64 v28, v37, v28, s5
	s_delay_alu instid0(VALU_DEP_2) | instskip(NEXT) | instid1(VALU_DEP_2)
	v_alignbit_b32 v34, v6, v32, 30
	v_alignbit_b32 v35, v31, v28, v35
	s_delay_alu instid0(VALU_DEP_1) | instskip(NEXT) | instid1(VALU_DEP_1)
	v_dual_cndmask_b32 v31, v35, v31, vcc_lo :: v_dual_bitop2_b32 v34, v34, v36 bitop3:0x14
	v_clz_i32_u32_e32 v35, v34
	s_delay_alu instid0(VALU_DEP_2) | instskip(NEXT) | instid1(VALU_DEP_2)
	v_alignbit_b32 v32, v32, v31, 30
	v_min_u32_e32 v35, 32, v35
	v_alignbit_b32 v28, v31, v28, 30
	s_delay_alu instid0(VALU_DEP_2) | instskip(NEXT) | instid1(VALU_DEP_2)
	v_dual_sub_nc_u32 v32, 31, v35 :: v_dual_bitop2_b32 v31, v32, v36 bitop3:0x14
	v_dual_lshrrev_b32 v36, 29, v6 :: v_dual_bitop2_b32 v28, v28, v36 bitop3:0x14
	v_lshlrev_b32_e32 v37, 23, v35
	s_delay_alu instid0(VALU_DEP_3) | instskip(NEXT) | instid1(VALU_DEP_3)
	v_alignbit_b32 v34, v34, v31, v32
	v_alignbit_b32 v28, v31, v28, v32
	s_delay_alu instid0(VALU_DEP_4) | instskip(NEXT) | instid1(VALU_DEP_2)
	v_lshlrev_b32_e32 v31, 31, v36
	v_alignbit_b32 v32, v34, v28, 9
	s_delay_alu instid0(VALU_DEP_2) | instskip(SKIP_1) | instid1(VALU_DEP_3)
	v_dual_lshrrev_b32 v34, 9, v34 :: v_dual_bitop2_b32 v36, 0.5, v31 bitop3:0x54
	v_or_b32_e32 v31, 0x33000000, v31
	v_clz_i32_u32_e32 v38, v32
	s_delay_alu instid0(VALU_DEP_3) | instskip(NEXT) | instid1(VALU_DEP_2)
	v_sub_nc_u32_e32 v36, v36, v37
	v_min_u32_e32 v37, 32, v38
	s_delay_alu instid0(VALU_DEP_1) | instskip(NEXT) | instid1(VALU_DEP_1)
	v_add_lshl_u32 v35, v37, v35, 23
	v_dual_sub_nc_u32 v31, v31, v35 :: v_dual_bitop2_b32 v34, v34, v36 bitop3:0x54
	v_not_b32_e32 v36, v37
	s_delay_alu instid0(VALU_DEP_2) | instskip(NEXT) | instid1(VALU_DEP_2)
	v_mul_f32_e32 v38, 0x3fc90fda, v34
	v_alignbit_b32 v28, v32, v28, v36
	s_delay_alu instid0(VALU_DEP_2) | instskip(NEXT) | instid1(VALU_DEP_2)
	v_fma_f32 v32, 0x3fc90fda, v34, -v38
	v_lshrrev_b32_e32 v28, 9, v28
	s_delay_alu instid0(VALU_DEP_2) | instskip(NEXT) | instid1(VALU_DEP_2)
	v_fmac_f32_e32 v32, 0x33a22168, v34
	v_or_b32_e32 v28, v31, v28
	s_delay_alu instid0(VALU_DEP_1) | instskip(NEXT) | instid1(VALU_DEP_1)
	v_fmac_f32_e32 v32, 0x3fc90fda, v28
	v_dual_lshrrev_b32 v28, 30, v6 :: v_dual_add_f32 v6, v38, v32
	s_delay_alu instid0(VALU_DEP_1)
	v_add_nc_u32_e32 v28, v33, v28
	s_and_not1_saveexec_b32 s4, s33
	s_cbranch_execnz .LBB94_241
	s_branch .LBB94_242
.LBB94_240:                             ;   in Loop: Header=BB94_161 Depth=1
	s_and_not1_saveexec_b32 s4, s33
.LBB94_241:                             ;   in Loop: Header=BB94_161 Depth=1
	v_mul_f32_e64 v6, 0x3f22f983, |v30|
	s_delay_alu instid0(VALU_DEP_1) | instskip(NEXT) | instid1(VALU_DEP_1)
	v_rndne_f32_e32 v28, v6
	v_fma_f32 v6, 0xbfc90fda, v28, |v30|
	s_delay_alu instid0(VALU_DEP_1) | instskip(NEXT) | instid1(VALU_DEP_1)
	v_fmac_f32_e32 v6, 0xb3a22168, v28
	v_fmac_f32_e32 v6, 0xa7c234c4, v28
	v_cvt_i32_f32_e32 v28, v28
.LBB94_242:                             ;   in Loop: Header=BB94_161 Depth=1
	s_or_b32 exec_lo, exec_lo, s4
	v_dual_mul_f32 v31, v10, v10 :: v_dual_bitop2_b32 v33, 1, v12 bitop3:0x40
	s_delay_alu instid0(VALU_DEP_2) | instskip(SKIP_1) | instid1(VALU_DEP_3)
	v_dual_mul_f32 v32, v6, v6 :: v_dual_bitop2_b32 v38, 1, v28 bitop3:0x40
	v_lshlrev_b32_e32 v28, 30, v28
	v_fmaak_f32 v34, s27, v31, 0x3c0881c4
	v_fmaak_f32 v35, s28, v31, 0xbab64f3b
	s_delay_alu instid0(VALU_DEP_4)
	v_fmaak_f32 v36, s27, v32, 0x3c0881c4
	v_lshlrev_b32_e32 v12, 30, v12
	v_cmp_eq_u32_e32 vcc_lo, 0, v33
	v_fmaak_f32 v34, v31, v34, 0xbe2aaa9d
	v_fmaak_f32 v37, s28, v32, 0xbab64f3b
	;; [unrolled: 1-line block ×4, first 2 shown]
	v_bitop3_b32 v8, v8, v12, 0x80000000 bitop3:0x78
	s_delay_alu instid0(VALU_DEP_4) | instskip(NEXT) | instid1(VALU_DEP_3)
	v_dual_mul_f32 v34, v31, v34 :: v_dual_fmaak_f32 v37, v32, v37, 0x3d2aabf7
	v_dual_fmaak_f32 v35, v31, v35, 0xbf000004 :: v_dual_mul_f32 v36, v32, v36
	s_delay_alu instid0(VALU_DEP_2) | instskip(NEXT) | instid1(VALU_DEP_2)
	v_dual_fmac_f32 v10, v10, v34 :: v_dual_fmaak_f32 v37, v32, v37, 0xbf000004
	v_fma_f32 v31, v31, v35, 1.0
	s_delay_alu instid0(VALU_DEP_3) | instskip(NEXT) | instid1(VALU_DEP_3)
	v_fmac_f32_e32 v6, v6, v36
	v_fma_f32 v32, v32, v37, 1.0
	s_delay_alu instid0(VALU_DEP_3) | instskip(SKIP_1) | instid1(VALU_DEP_3)
	v_cndmask_b32_e32 v10, v31, v10, vcc_lo
	v_cmp_eq_u32_e32 vcc_lo, 0, v38
	v_cndmask_b32_e64 v6, -v6, v32, vcc_lo
	s_delay_alu instid0(VALU_DEP_3) | instskip(SKIP_1) | instid1(VALU_DEP_3)
	v_xor3_b32 v8, v8, v10, v30
	v_cmp_class_f32_e64 vcc_lo, v30, 0x1f8
	v_bitop3_b32 v6, v28, v6, 0x80000000 bitop3:0x6c
	s_delay_alu instid0(VALU_DEP_1) | instskip(NEXT) | instid1(VALU_DEP_1)
	v_mul_f32_e32 v6, v8, v6
	v_cndmask_b32_e32 v30, 0x7fc00000, v6, vcc_lo
.LBB94_243:                             ;   in Loop: Header=BB94_161 Depth=1
	s_or_b32 exec_lo, exec_lo, s31
	v_add_nc_u32_e32 v29, -2.0, v29
	s_delay_alu instid0(VALU_DEP_2)
	v_bfi_b32 v28, 0x7fffffff, 0, v30
.LBB94_244:                             ;   in Loop: Header=BB94_161 Depth=1
	s_or_b32 exec_lo, exec_lo, s30
.LBB94_245:                             ;   in Loop: Header=BB94_161 Depth=1
	s_delay_alu instid0(SALU_CYCLE_1) | instskip(SKIP_2) | instid1(VALU_DEP_1)
	s_or_b32 exec_lo, exec_lo, s29
	v_and_b32_e32 v10, 0x7fffffff, v27
                                        ; implicit-def: $vgpr30
                                        ; implicit-def: $vgpr31
	s_mov_b32 s4, exec_lo
	v_cmpx_gt_u32_e32 0x7f800000, v10
	s_xor_b32 s29, exec_lo, s4
	s_cbranch_execz .LBB94_267
; %bb.246:                              ;   in Loop: Header=BB94_161 Depth=1
	v_cmp_class_f32_e64 s4, v26, 0x1f8
                                        ; implicit-def: $vgpr30
                                        ; implicit-def: $vgpr31
	s_and_saveexec_b32 s5, s4
	s_delay_alu instid0(SALU_CYCLE_1)
	s_xor_b32 s30, exec_lo, s5
	s_cbranch_execz .LBB94_264
; %bb.247:                              ;   in Loop: Header=BB94_161 Depth=1
	v_and_b32_e32 v32, 0x7fffffff, v26
                                        ; implicit-def: $vgpr30
                                        ; implicit-def: $vgpr31
	s_mov_b32 s4, exec_lo
	v_cmpx_gt_u32_e32 0x41300000, v10
	s_xor_b32 s31, exec_lo, s4
	s_cbranch_execz .LBB94_253
; %bb.248:                              ;   in Loop: Header=BB94_161 Depth=1
                                        ; implicit-def: $vgpr6
                                        ; implicit-def: $vgpr30
	s_mov_b32 s5, exec_lo
	v_cmpx_ngt_f32_e64 0x48000000, |v26|
	s_xor_b32 s33, exec_lo, s5
	s_cbranch_execz .LBB94_250
; %bb.249:                              ;   in Loop: Header=BB94_161 Depth=1
	v_and_or_b32 v6, v32, s22, 0x800000
	v_dual_mov_b32 v43, v7 :: v_dual_lshrrev_b32 v8, 23, v32
	v_mov_b32_e32 v45, v7
	s_delay_alu instid0(VALU_DEP_3) | instskip(NEXT) | instid1(VALU_DEP_3)
	v_mul_u64_e32 v[30:31], s[14:15], v[6:7]
	v_dual_mov_b32 v35, v7 :: v_dual_add_nc_u32 v8, 0xffffff88, v8
	s_delay_alu instid0(VALU_DEP_1) | instskip(SKIP_1) | instid1(VALU_DEP_1)
	v_cmp_lt_u32_e32 vcc_lo, 63, v8
	v_cndmask_b32_e64 v12, 0, 0xffffffc0, vcc_lo
	v_add_nc_u32_e32 v8, v12, v8
	s_delay_alu instid0(VALU_DEP_1) | instskip(NEXT) | instid1(VALU_DEP_1)
	v_cmp_lt_u32_e64 s4, 31, v8
	v_cndmask_b32_e64 v12, 0, 0xffffffe0, s4
	v_mov_b32_e32 v34, v31
	s_delay_alu instid0(VALU_DEP_1) | instskip(NEXT) | instid1(VALU_DEP_1)
	v_mad_nc_u64_u32 v[34:35], 0x3c439041, v6, v[34:35]
	v_dual_mov_b32 v37, v7 :: v_dual_mov_b32 v36, v35
	s_delay_alu instid0(VALU_DEP_1) | instskip(NEXT) | instid1(VALU_DEP_1)
	v_mad_nc_u64_u32 v[36:37], 0xdb629599, v6, v[36:37]
	v_dual_mov_b32 v39, v7 :: v_dual_mov_b32 v38, v37
	s_delay_alu instid0(VALU_DEP_2) | instskip(NEXT) | instid1(VALU_DEP_2)
	v_cndmask_b32_e32 v30, v36, v30, vcc_lo
	v_mad_nc_u64_u32 v[38:39], 0xf534ddc0, v6, v[38:39]
	s_delay_alu instid0(VALU_DEP_1) | instskip(NEXT) | instid1(VALU_DEP_1)
	v_dual_mov_b32 v41, v7 :: v_dual_mov_b32 v40, v39
	v_mad_nc_u64_u32 v[40:41], 0xfc2757d1, v6, v[40:41]
	s_delay_alu instid0(VALU_DEP_1) | instskip(NEXT) | instid1(VALU_DEP_1)
	v_dual_mov_b32 v42, v41 :: v_dual_cndmask_b32 v35, v40, v36
	v_mad_nc_u64_u32 v[42:43], 0x4e441529, v6, v[42:43]
	s_delay_alu instid0(VALU_DEP_1) | instskip(NEXT) | instid1(VALU_DEP_1)
	v_mov_b32_e32 v44, v43
	v_mad_nc_u64_u32 v[44:45], 0xa2f9836e, v6, v[44:45]
	s_delay_alu instid0(VALU_DEP_3) | instskip(NEXT) | instid1(VALU_DEP_1)
	v_dual_add_nc_u32 v6, v12, v8 :: v_dual_cndmask_b32 v12, v42, v38, vcc_lo
	v_cmp_lt_u32_e64 s5, 31, v6
	s_delay_alu instid0(VALU_DEP_1) | instskip(NEXT) | instid1(VALU_DEP_4)
	v_cndmask_b32_e64 v8, 0, 0xffffffe0, s5
	v_dual_cndmask_b32 v31, v44, v40, vcc_lo :: v_dual_cndmask_b32 v33, v45, v42, vcc_lo
	s_delay_alu instid0(VALU_DEP_2) | instskip(NEXT) | instid1(VALU_DEP_2)
	v_add_nc_u32_e32 v6, v8, v6
	v_dual_cndmask_b32 v8, v38, v34, vcc_lo :: v_dual_cndmask_b32 v34, v31, v12, s4
	s_delay_alu instid0(VALU_DEP_3) | instskip(NEXT) | instid1(VALU_DEP_3)
	v_cndmask_b32_e64 v31, v33, v31, s4
	v_dual_cndmask_b32 v12, v12, v35, s4 :: v_dual_sub_nc_u32 v33, 32, v6
	s_delay_alu instid0(VALU_DEP_3) | instskip(SKIP_1) | instid1(VALU_DEP_3)
	v_cndmask_b32_e64 v35, v35, v8, s4
	v_cmp_eq_u32_e32 vcc_lo, 0, v6
	v_dual_cndmask_b32 v31, v31, v34, s5 :: v_dual_cndmask_b32 v34, v34, v12, s5
	v_cndmask_b32_e64 v8, v8, v30, s4
	s_delay_alu instid0(VALU_DEP_4) | instskip(NEXT) | instid1(VALU_DEP_3)
	v_cndmask_b32_e64 v12, v12, v35, s5
	v_alignbit_b32 v37, v31, v34, v33
	s_delay_alu instid0(VALU_DEP_3) | instskip(NEXT) | instid1(VALU_DEP_3)
	v_cndmask_b32_e64 v8, v35, v8, s5
	v_alignbit_b32 v36, v34, v12, v33
	s_delay_alu instid0(VALU_DEP_3) | instskip(NEXT) | instid1(VALU_DEP_3)
	v_cndmask_b32_e32 v6, v37, v31, vcc_lo
	v_alignbit_b32 v33, v12, v8, v33
	s_delay_alu instid0(VALU_DEP_2) | instskip(NEXT) | instid1(VALU_DEP_2)
	v_bfe_u32 v31, v6, 29, 1
	v_dual_cndmask_b32 v30, v36, v34, vcc_lo :: v_dual_cndmask_b32 v12, v33, v12, vcc_lo
	s_delay_alu instid0(VALU_DEP_2) | instskip(NEXT) | instid1(VALU_DEP_2)
	v_sub_nc_u32_e32 v35, 0, v31
	v_alignbit_b32 v34, v6, v30, 30
	s_delay_alu instid0(VALU_DEP_3) | instskip(SKIP_1) | instid1(VALU_DEP_3)
	v_alignbit_b32 v30, v30, v12, 30
	v_alignbit_b32 v8, v12, v8, 30
	v_xor_b32_e32 v34, v34, v35
	s_delay_alu instid0(VALU_DEP_2) | instskip(NEXT) | instid1(VALU_DEP_2)
	v_xor_b32_e32 v8, v8, v35
	v_clz_i32_u32_e32 v33, v34
	s_delay_alu instid0(VALU_DEP_1) | instskip(SKIP_1) | instid1(VALU_DEP_2)
	v_min_u32_e32 v33, 32, v33
	v_dual_lshrrev_b32 v35, 29, v6 :: v_dual_bitop2_b32 v12, v30, v35 bitop3:0x14
	v_dual_lshrrev_b32 v6, 30, v6 :: v_dual_sub_nc_u32 v30, 31, v33
	s_delay_alu instid0(VALU_DEP_1) | instskip(NEXT) | instid1(VALU_DEP_2)
	v_dual_lshlrev_b32 v36, 23, v33 :: v_dual_add_nc_u32 v6, v31, v6
	v_alignbit_b32 v34, v34, v12, v30
	v_alignbit_b32 v8, v12, v8, v30
	v_lshlrev_b32_e32 v12, 31, v35
	s_delay_alu instid0(VALU_DEP_2) | instskip(NEXT) | instid1(VALU_DEP_2)
	v_alignbit_b32 v30, v34, v8, 9
	v_dual_lshrrev_b32 v34, 9, v34 :: v_dual_bitop2_b32 v35, 0.5, v12 bitop3:0x54
	v_or_b32_e32 v12, 0x33000000, v12
	s_delay_alu instid0(VALU_DEP_3) | instskip(NEXT) | instid1(VALU_DEP_3)
	v_clz_i32_u32_e32 v37, v30
	v_sub_nc_u32_e32 v35, v35, v36
	s_delay_alu instid0(VALU_DEP_2) | instskip(NEXT) | instid1(VALU_DEP_1)
	v_min_u32_e32 v36, 32, v37
	v_add_lshl_u32 v33, v36, v33, 23
	s_delay_alu instid0(VALU_DEP_1) | instskip(SKIP_1) | instid1(VALU_DEP_1)
	v_dual_sub_nc_u32 v12, v12, v33 :: v_dual_bitop2_b32 v34, v34, v35 bitop3:0x54
	v_not_b32_e32 v35, v36
	v_alignbit_b32 v8, v30, v8, v35
	s_delay_alu instid0(VALU_DEP_1) | instskip(NEXT) | instid1(VALU_DEP_1)
	v_lshrrev_b32_e32 v8, 9, v8
	v_or_b32_e32 v8, v12, v8
	v_mul_f32_e32 v37, 0x3fc90fda, v34
	s_delay_alu instid0(VALU_DEP_1) | instskip(NEXT) | instid1(VALU_DEP_1)
	v_fma_f32 v30, 0x3fc90fda, v34, -v37
	v_fmac_f32_e32 v30, 0x33a22168, v34
	s_delay_alu instid0(VALU_DEP_1) | instskip(NEXT) | instid1(VALU_DEP_1)
	v_fmac_f32_e32 v30, 0x3fc90fda, v8
	v_add_f32_e32 v30, v37, v30
.LBB94_250:                             ;   in Loop: Header=BB94_161 Depth=1
	s_and_not1_saveexec_b32 s4, s33
; %bb.251:                              ;   in Loop: Header=BB94_161 Depth=1
	v_mul_f32_e64 v6, 0x3f22f983, |v26|
	s_delay_alu instid0(VALU_DEP_1) | instskip(NEXT) | instid1(VALU_DEP_1)
	v_rndne_f32_e32 v6, v6
	v_fma_f32 v30, 0xbfc90fda, v6, |v26|
	s_delay_alu instid0(VALU_DEP_1) | instskip(NEXT) | instid1(VALU_DEP_1)
	v_fmac_f32_e32 v30, 0xb3a22168, v6
	v_fmac_f32_e32 v30, 0xa7c234c4, v6
	v_cvt_i32_f32_e32 v6, v6
; %bb.252:                              ;   in Loop: Header=BB94_161 Depth=1
	s_or_b32 exec_lo, exec_lo, s4
	v_add_f32_e64 v8, 0xbf317218, |v27|
	v_cmp_nlt_f32_e64 vcc_lo, 0x42b2d4fc, |v27|
	v_cmp_gt_f32_e64 s4, 0x39800000, |v27|
	s_delay_alu instid0(VALU_DEP_3) | instskip(NEXT) | instid1(VALU_DEP_1)
	v_sub_f32_e64 v35, v8, |v27|
	v_sub_f32_e32 v34, v35, v8
	s_delay_alu instid0(VALU_DEP_1) | instskip(NEXT) | instid1(VALU_DEP_1)
	v_pk_add_f32 v[34:35], v[10:11], v[34:35]
	v_sub_f32_e32 v10, v34, v35
	s_delay_alu instid0(VALU_DEP_1) | instskip(NEXT) | instid1(VALU_DEP_1)
	v_add_f32_e32 v10, 0x3102e308, v10
	v_add_f32_e32 v12, v8, v10
	s_delay_alu instid0(VALU_DEP_1) | instskip(NEXT) | instid1(VALU_DEP_1)
	v_dual_mul_f32 v31, 0x3fb8aa3b, v12 :: v_dual_sub_f32 v8, v8, v12
	v_rndne_f32_e32 v31, v31
	s_delay_alu instid0(VALU_DEP_1) | instskip(NEXT) | instid1(VALU_DEP_3)
	v_fmac_f32_e32 v12, 0xbf317200, v31
	v_add_f32_e32 v8, v10, v8
	v_mul_f32_e32 v10, 0x35bfbc00, v31
	v_mul_f32_e32 v37, 0x2ea39ef3, v31
	s_delay_alu instid0(VALU_DEP_3) | instskip(NEXT) | instid1(VALU_DEP_1)
	v_add_f32_e32 v33, v8, v12
	v_dual_sub_f32 v34, v33, v10 :: v_dual_sub_f32 v12, v12, v33
	s_delay_alu instid0(VALU_DEP_1) | instskip(NEXT) | instid1(VALU_DEP_1)
	v_dual_sub_f32 v33, v33, v34 :: v_dual_add_f32 v8, v8, v12
	v_sub_f32_e32 v10, v33, v10
	s_delay_alu instid0(VALU_DEP_1) | instskip(NEXT) | instid1(VALU_DEP_1)
	v_add_f32_e32 v8, v8, v10
	v_add_f32_e32 v35, v34, v8
	s_delay_alu instid0(VALU_DEP_1) | instskip(NEXT) | instid1(VALU_DEP_1)
	v_mov_b32_e32 v36, v35
	v_pk_add_f32 v[38:39], v[34:35], v[36:37] neg_lo:[0,1] neg_hi:[0,1]
	s_delay_alu instid0(VALU_DEP_1) | instskip(NEXT) | instid1(VALU_DEP_1)
	v_dual_sub_f32 v10, v35, v39 :: v_dual_add_f32 v8, v8, v38
	v_sub_f32_e32 v10, v10, v37
	s_delay_alu instid0(VALU_DEP_1) | instskip(NEXT) | instid1(VALU_DEP_1)
	v_add_f32_e32 v8, v8, v10
	v_add_f32_e32 v10, v39, v8
	s_delay_alu instid0(VALU_DEP_1) | instskip(SKIP_1) | instid1(VALU_DEP_2)
	v_sub_f32_e32 v12, v39, v10
	v_mov_b64_e32 v[38:39], s[22:23]
	v_add_f32_e32 v8, v8, v12
	s_delay_alu instid0(VALU_DEP_1) | instskip(SKIP_1) | instid1(VALU_DEP_2)
	v_dual_add_f32 v35, v8, v8 :: v_dual_mul_f32 v33, v10, v10
	v_fmaak_f32 v12, s26, v10, 0x3c091de6
	v_fma_f32 v34, v10, v10, -v33
	s_delay_alu instid0(VALU_DEP_1) | instskip(NEXT) | instid1(VALU_DEP_1)
	v_fmac_f32_e32 v34, v10, v35
	v_dual_fmaak_f32 v12, v10, v12, 0x3d2aadcc :: v_dual_add_f32 v35, v33, v34
	s_delay_alu instid0(VALU_DEP_1) | instskip(NEXT) | instid1(VALU_DEP_1)
	v_dual_fmaak_f32 v12, v10, v12, 0x3e2aaa47 :: v_dual_sub_f32 v33, v35, v33
	v_fmaak_f32 v12, v10, v12, 0x3efffffc
	s_delay_alu instid0(VALU_DEP_1) | instskip(NEXT) | instid1(VALU_DEP_1)
	v_dual_sub_f32 v33, v34, v33 :: v_dual_mul_f32 v36, v12, v35
	v_fma_f32 v34, v35, v12, -v36
	s_delay_alu instid0(VALU_DEP_1) | instskip(NEXT) | instid1(VALU_DEP_1)
	v_fmac_f32_e32 v34, v33, v12
	v_add_f32_e32 v33, v36, v34
	s_delay_alu instid0(VALU_DEP_1) | instskip(NEXT) | instid1(VALU_DEP_1)
	v_add_f32_e32 v12, v10, v33
	v_dual_sub_f32 v10, v12, v10 :: v_dual_sub_f32 v35, v33, v36
	s_delay_alu instid0(VALU_DEP_1) | instskip(NEXT) | instid1(VALU_DEP_1)
	v_dual_sub_f32 v10, v33, v10 :: v_dual_sub_f32 v34, v34, v35
	v_add_f32_e32 v8, v8, v34
	s_delay_alu instid0(VALU_DEP_1) | instskip(SKIP_1) | instid1(VALU_DEP_2)
	v_add_f32_e32 v34, v8, v10
	v_cvt_i32_f32_e32 v10, v31
	v_add_f32_e32 v36, v12, v34
	s_delay_alu instid0(VALU_DEP_1) | instskip(NEXT) | instid1(VALU_DEP_1)
	v_dual_add_f32 v37, 1.0, v36 :: v_dual_mov_b32 v35, v36
	v_pk_add_f32 v[38:39], v[36:37], v[38:39]
	v_pk_add_f32 v[40:41], v[36:37], v[12:13] neg_lo:[0,1] neg_hi:[0,1]
	s_delay_alu instid0(VALU_DEP_2) | instskip(NEXT) | instid1(VALU_DEP_1)
	v_mov_b32_e32 v41, v39
	v_pk_add_f32 v[34:35], v[34:35], v[40:41] neg_lo:[0,1] neg_hi:[0,1]
	s_delay_alu instid0(VALU_DEP_1) | instskip(NEXT) | instid1(VALU_DEP_1)
	v_add_f32_e32 v8, v34, v35
	v_add_f32_e32 v12, v37, v8
	s_delay_alu instid0(VALU_DEP_1) | instskip(NEXT) | instid1(VALU_DEP_1)
	v_ldexp_f32 v31, v12, v10
	v_rcp_f32_e32 v33, v31
	v_nop
	s_delay_alu instid0(TRANS32_DEP_1) | instskip(NEXT) | instid1(VALU_DEP_1)
	v_mul_f32_e32 v34, v31, v33
	v_dual_sub_f32 v12, v12, v37 :: v_dual_fma_f32 v36, v33, v31, -v34
	s_delay_alu instid0(VALU_DEP_1) | instskip(NEXT) | instid1(VALU_DEP_1)
	v_sub_f32_e32 v8, v8, v12
	v_ldexp_f32 v10, v8, v10
	s_delay_alu instid0(VALU_DEP_1) | instskip(NEXT) | instid1(VALU_DEP_1)
	v_fmac_f32_e32 v36, v33, v10
	v_add_f32_e32 v8, v34, v36
	s_delay_alu instid0(VALU_DEP_1) | instskip(NEXT) | instid1(VALU_DEP_1)
	v_dual_sub_f32 v35, 1.0, v8 :: v_dual_mov_b32 v37, v8
	v_pk_add_f32 v[38:39], v[8:9], v[34:35] neg_lo:[0,1] neg_hi:[0,1]
	s_delay_alu instid0(VALU_DEP_1) | instskip(NEXT) | instid1(VALU_DEP_1)
	v_pk_add_f32 v[36:37], v[38:39], v[36:37] neg_lo:[0,1] neg_hi:[0,1]
	v_add_f32_e32 v8, v36, v37
	s_delay_alu instid0(VALU_DEP_1) | instskip(NEXT) | instid1(VALU_DEP_1)
	v_add_f32_e32 v37, v35, v8
	v_mul_f32_e32 v12, v33, v37
	s_delay_alu instid0(VALU_DEP_1) | instskip(NEXT) | instid1(VALU_DEP_1)
	v_mul_f32_e32 v38, v31, v12
	v_fma_f32 v34, v12, v31, -v38
	s_delay_alu instid0(VALU_DEP_1) | instskip(NEXT) | instid1(VALU_DEP_1)
	v_fmac_f32_e32 v34, v12, v10
	v_dual_add_f32 v36, v38, v34 :: v_dual_sub_f32 v40, v35, v37
	s_delay_alu instid0(VALU_DEP_1) | instskip(NEXT) | instid1(VALU_DEP_2)
	v_dual_mov_b32 v35, v36 :: v_dual_sub_f32 v39, v37, v36
	v_add_f32_e32 v8, v8, v40
	s_delay_alu instid0(VALU_DEP_2) | instskip(NEXT) | instid1(VALU_DEP_1)
	v_pk_add_f32 v[36:37], v[36:37], v[38:39] neg_lo:[0,1] neg_hi:[0,1]
	v_pk_add_f32 v[34:35], v[36:37], v[34:35] neg_lo:[0,1] neg_hi:[0,1]
	s_delay_alu instid0(VALU_DEP_1) | instskip(NEXT) | instid1(VALU_DEP_1)
	v_dual_add_f32 v8, v8, v35 :: v_dual_add_f32 v35, v33, v12
	v_dual_add_f32 v8, v34, v8 :: v_dual_sub_f32 v34, v35, v33
	s_delay_alu instid0(VALU_DEP_1) | instskip(NEXT) | instid1(VALU_DEP_1)
	v_dual_sub_f32 v12, v12, v34 :: v_dual_add_f32 v8, v39, v8
	v_mul_f32_e32 v8, v33, v8
	s_delay_alu instid0(VALU_DEP_1) | instskip(NEXT) | instid1(VALU_DEP_1)
	v_add_f32_e32 v8, v12, v8
	v_add_f32_e32 v12, v35, v8
	s_delay_alu instid0(VALU_DEP_1) | instskip(NEXT) | instid1(VALU_DEP_1)
	v_ldexp_f32 v33, v12, -2
	v_dual_sub_f32 v12, v12, v35 :: v_dual_sub_f32 v34, v31, v33
	s_delay_alu instid0(VALU_DEP_1) | instskip(NEXT) | instid1(VALU_DEP_1)
	v_dual_sub_f32 v31, v31, v34 :: v_dual_sub_f32 v8, v8, v12
	v_sub_f32_e32 v12, v31, v33
	s_delay_alu instid0(VALU_DEP_2) | instskip(SKIP_1) | instid1(VALU_DEP_3)
	v_ldexp_f32 v8, v8, -2
	v_xor_b32_e32 v31, 0x80000000, v27
	v_add_f32_e32 v10, v10, v12
	s_delay_alu instid0(VALU_DEP_1) | instskip(SKIP_1) | instid1(VALU_DEP_1)
	v_sub_f32_e32 v8, v10, v8
	v_mul_f32_e32 v10, v30, v30
	v_dual_add_f32 v8, v34, v8 :: v_dual_fmaak_f32 v33, s24, v10, 0x3ec54587
	v_fmaak_f32 v12, s25, v10, 0xbf039337
	s_delay_alu instid0(VALU_DEP_2) | instskip(NEXT) | instid1(VALU_DEP_2)
	v_cndmask_b32_e32 v8, 0x7f800000, v8, vcc_lo
	v_fmaak_f32 v12, v10, v12, 0x3f93f425
	s_delay_alu instid0(VALU_DEP_2) | instskip(NEXT) | instid1(VALU_DEP_2)
	v_cndmask_b32_e64 v8, v8, |v27|, s4
	v_rcp_f32_e32 v12, v12
	s_delay_alu instid0(VALU_DEP_1) | instskip(NEXT) | instid1(TRANS32_DEP_1)
	v_bfi_b32 v27, 0x7fffffff, v8, v31
	v_mul_f32_e32 v8, v33, v12
	s_delay_alu instid0(VALU_DEP_2) | instskip(NEXT) | instid1(VALU_DEP_1)
	v_fma_f32 v12, v27, v27, 1.0
	v_cmp_gt_f32_e32 vcc_lo, 0xf800000, v12
	s_delay_alu instid0(VALU_DEP_3) | instskip(SKIP_2) | instid1(VALU_DEP_2)
	v_mul_f32_e32 v8, v10, v8
	v_mul_f32_e32 v10, 0x4f800000, v12
	v_and_b32_e32 v6, 1, v6
	v_cndmask_b32_e32 v10, v12, v10, vcc_lo
	s_delay_alu instid0(VALU_DEP_4) | instskip(NEXT) | instid1(VALU_DEP_2)
	v_fma_f32 v31, v8, v30, v30
	v_sqrt_f32_e32 v34, v10
	s_delay_alu instid0(VALU_DEP_1) | instskip(SKIP_1) | instid1(VALU_DEP_1)
	v_sub_f32_e32 v33, v31, v30
	v_rcp_f32_e32 v12, v31
	v_fma_f32 v8, v8, v30, -v33
	s_delay_alu instid0(TRANS32_DEP_2) | instskip(NEXT) | instid1(TRANS32_DEP_1)
	v_add_nc_u32_e32 v33, -1, v34
	v_fma_f32 v30, v31, -v12, 1.0
	s_delay_alu instid0(VALU_DEP_2) | instskip(NEXT) | instid1(VALU_DEP_1)
	v_fma_f32 v35, -v33, v34, v10
	v_cmp_ge_f32_e64 s4, 0, v35
	s_delay_alu instid0(VALU_DEP_1) | instskip(SKIP_2) | instid1(VALU_DEP_2)
	v_dual_cndmask_b32 v33, v34, v33, s4 :: v_dual_fma_f32 v8, v8, -v12, v30
	v_add_nc_u32_e32 v30, 1, v34
	v_cmp_eq_u32_e64 s4, 0, v6
	v_dual_fma_f32 v8, v8, -v12, -v12 :: v_dual_fma_f32 v12, -v30, v34, v10
	s_delay_alu instid0(VALU_DEP_1) | instskip(NEXT) | instid1(VALU_DEP_2)
	v_cndmask_b32_e64 v6, v8, v31, s4
	v_cmp_lt_f32_e64 s4, 0, v12
	s_delay_alu instid0(VALU_DEP_2) | instskip(NEXT) | instid1(VALU_DEP_2)
	v_xor3_b32 v6, v32, v6, v26
	v_cndmask_b32_e64 v8, v33, v30, s4
	s_delay_alu instid0(VALU_DEP_2) | instskip(NEXT) | instid1(VALU_DEP_1)
	v_fma_f32 v30, v6, v6, 1.0
	v_dual_mul_f32 v12, 0x37800000, v8 :: v_dual_mul_f32 v31, v27, v30
	s_delay_alu instid0(VALU_DEP_1) | instskip(SKIP_1) | instid1(VALU_DEP_2)
	v_cndmask_b32_e32 v8, v8, v12, vcc_lo
	v_cmp_class_f32_e64 vcc_lo, v10, 0x260
	v_cndmask_b32_e32 v26, v8, v10, vcc_lo
	s_delay_alu instid0(VALU_DEP_1) | instskip(NEXT) | instid1(VALU_DEP_1)
	v_pk_mul_f32 v[30:31], v[26:27], v[30:31]
	v_dual_add_f32 v10, 1.0, v31 :: v_dual_mul_f32 v8, v27, v30
	s_delay_alu instid0(VALU_DEP_1) | instskip(NEXT) | instid1(VALU_DEP_1)
	v_div_scale_f32 v26, null, v10, v10, v6
	v_rcp_f32_e32 v30, v26
	v_nop
	s_delay_alu instid0(TRANS32_DEP_1) | instskip(NEXT) | instid1(VALU_DEP_1)
	v_fma_f32 v32, -v26, v30, 1.0
	v_fmac_f32_e32 v30, v32, v30
	v_div_scale_f32 v12, null, v10, v10, v8
	v_div_scale_f32 v33, vcc_lo, v8, v10, v8
	s_delay_alu instid0(VALU_DEP_2) | instskip(SKIP_1) | instid1(TRANS32_DEP_1)
	v_rcp_f32_e32 v27, v12
	v_nop
	v_fma_f32 v31, -v12, v27, 1.0
	s_delay_alu instid0(VALU_DEP_1) | instskip(SKIP_1) | instid1(VALU_DEP_1)
	v_fmac_f32_e32 v27, v31, v27
	v_div_scale_f32 v31, s4, v6, v10, v6
	v_dual_mul_f32 v32, v33, v27 :: v_dual_mul_f32 v34, v31, v30
	s_delay_alu instid0(VALU_DEP_1) | instskip(NEXT) | instid1(VALU_DEP_1)
	v_dual_fma_f32 v35, -v12, v32, v33 :: v_dual_fma_f32 v36, -v26, v34, v31
	v_dual_fmac_f32 v32, v35, v27 :: v_dual_fmac_f32 v34, v36, v30
	s_delay_alu instid0(VALU_DEP_1) | instskip(NEXT) | instid1(VALU_DEP_1)
	v_dual_fma_f32 v12, -v12, v32, v33 :: v_dual_fma_f32 v26, -v26, v34, v31
	v_div_fmas_f32 v12, v12, v27, v32
	s_mov_b32 vcc_lo, s4
                                        ; implicit-def: $vgpr32
	s_delay_alu instid0(VALU_DEP_2) | instskip(NEXT) | instid1(VALU_DEP_2)
	v_div_fmas_f32 v26, v26, v30, v34
	v_div_fixup_f32 v31, v12, v10, v8
	s_delay_alu instid0(VALU_DEP_2)
	v_div_fixup_f32 v30, v26, v10, v6
                                        ; implicit-def: $vgpr26
.LBB94_253:                             ;   in Loop: Header=BB94_161 Depth=1
	s_and_not1_saveexec_b32 s31, s31
	s_cbranch_execz .LBB94_263
; %bb.254:                              ;   in Loop: Header=BB94_161 Depth=1
	v_cmp_ngt_f32_e64 s33, 0x48000000, |v26|
                                        ; implicit-def: $vgpr10
                                        ; implicit-def: $vgpr8
	s_and_saveexec_b32 s4, s33
	s_delay_alu instid0(SALU_CYCLE_1)
	s_xor_b32 s34, exec_lo, s4
	s_cbranch_execz .LBB94_256
; %bb.255:                              ;   in Loop: Header=BB94_161 Depth=1
	v_and_or_b32 v6, v32, s22, 0x800000
	v_dual_mov_b32 v43, v7 :: v_dual_lshrrev_b32 v8, 23, v32
	v_mov_b32_e32 v45, v7
	s_delay_alu instid0(VALU_DEP_3) | instskip(NEXT) | instid1(VALU_DEP_3)
	v_mul_u64_e32 v[30:31], s[14:15], v[6:7]
	v_dual_mov_b32 v35, v7 :: v_dual_add_nc_u32 v8, 0xffffff88, v8
	s_delay_alu instid0(VALU_DEP_1) | instskip(SKIP_1) | instid1(VALU_DEP_1)
	v_cmp_lt_u32_e32 vcc_lo, 63, v8
	v_cndmask_b32_e64 v10, 0, 0xffffffc0, vcc_lo
	v_add_nc_u32_e32 v8, v10, v8
	s_delay_alu instid0(VALU_DEP_1) | instskip(NEXT) | instid1(VALU_DEP_1)
	v_cmp_lt_u32_e64 s4, 31, v8
	v_cndmask_b32_e64 v10, 0, 0xffffffe0, s4
	v_mov_b32_e32 v34, v31
	s_delay_alu instid0(VALU_DEP_1) | instskip(NEXT) | instid1(VALU_DEP_1)
	v_mad_nc_u64_u32 v[34:35], 0x3c439041, v6, v[34:35]
	v_dual_mov_b32 v37, v7 :: v_dual_mov_b32 v36, v35
	s_delay_alu instid0(VALU_DEP_1) | instskip(NEXT) | instid1(VALU_DEP_1)
	v_mad_nc_u64_u32 v[36:37], 0xdb629599, v6, v[36:37]
	v_dual_mov_b32 v39, v7 :: v_dual_mov_b32 v38, v37
	;; [unrolled: 3-line block ×3, first 2 shown]
	s_delay_alu instid0(VALU_DEP_1) | instskip(NEXT) | instid1(VALU_DEP_1)
	v_mad_nc_u64_u32 v[40:41], 0xfc2757d1, v6, v[40:41]
	v_dual_mov_b32 v42, v41 :: v_dual_cndmask_b32 v33, v40, v36
	s_delay_alu instid0(VALU_DEP_1) | instskip(NEXT) | instid1(VALU_DEP_1)
	v_mad_nc_u64_u32 v[42:43], 0x4e441529, v6, v[42:43]
	v_mov_b32_e32 v44, v43
	s_delay_alu instid0(VALU_DEP_1) | instskip(SKIP_1) | instid1(VALU_DEP_4)
	v_mad_nc_u64_u32 v[44:45], 0xa2f9836e, v6, v[44:45]
	v_add_nc_u32_e32 v6, v10, v8
	v_cndmask_b32_e32 v10, v42, v38, vcc_lo
	s_delay_alu instid0(VALU_DEP_2) | instskip(NEXT) | instid1(VALU_DEP_1)
	v_cmp_lt_u32_e64 s5, 31, v6
	v_cndmask_b32_e64 v8, 0, 0xffffffe0, s5
	v_dual_cndmask_b32 v12, v44, v40 :: v_dual_cndmask_b32 v31, v45, v42
	s_delay_alu instid0(VALU_DEP_2) | instskip(SKIP_1) | instid1(VALU_DEP_3)
	v_add_nc_u32_e32 v6, v8, v6
	v_cndmask_b32_e32 v8, v38, v34, vcc_lo
	v_dual_cndmask_b32 v34, v12, v10, s4 :: v_dual_cndmask_b32 v10, v10, v33, s4
	s_delay_alu instid0(VALU_DEP_4) | instskip(NEXT) | instid1(VALU_DEP_1)
	v_cndmask_b32_e64 v12, v31, v12, s4
	v_cndmask_b32_e64 v12, v12, v34, s5
	s_delay_alu instid0(VALU_DEP_4) | instskip(SKIP_3) | instid1(VALU_DEP_3)
	v_dual_sub_nc_u32 v31, 32, v6 :: v_dual_cndmask_b32 v33, v33, v8, s4
	v_cndmask_b32_e32 v30, v36, v30, vcc_lo
	v_cmp_eq_u32_e32 vcc_lo, 0, v6
	v_cndmask_b32_e64 v34, v34, v10, s5
	v_dual_cndmask_b32 v10, v10, v33, s5 :: v_dual_cndmask_b32 v8, v8, v30, s4
	s_delay_alu instid0(VALU_DEP_2) | instskip(NEXT) | instid1(VALU_DEP_2)
	v_alignbit_b32 v35, v12, v34, v31
	v_cndmask_b32_e64 v8, v33, v8, s5
	s_delay_alu instid0(VALU_DEP_2) | instskip(NEXT) | instid1(VALU_DEP_4)
	v_cndmask_b32_e32 v6, v35, v12, vcc_lo
	v_alignbit_b32 v36, v34, v10, v31
	s_delay_alu instid0(VALU_DEP_3) | instskip(NEXT) | instid1(VALU_DEP_3)
	v_alignbit_b32 v31, v10, v8, v31
	v_bfe_u32 v30, v6, 29, 1
	s_delay_alu instid0(VALU_DEP_3) | instskip(NEXT) | instid1(VALU_DEP_3)
	v_cndmask_b32_e32 v12, v36, v34, vcc_lo
	v_cndmask_b32_e32 v10, v31, v10, vcc_lo
	s_delay_alu instid0(VALU_DEP_3) | instskip(NEXT) | instid1(VALU_DEP_3)
	v_sub_nc_u32_e32 v34, 0, v30
	v_alignbit_b32 v33, v6, v12, 30
	s_delay_alu instid0(VALU_DEP_1) | instskip(NEXT) | instid1(VALU_DEP_1)
	v_xor_b32_e32 v33, v33, v34
	v_clz_i32_u32_e32 v31, v33
	s_delay_alu instid0(VALU_DEP_1) | instskip(NEXT) | instid1(VALU_DEP_1)
	v_min_u32_e32 v31, 32, v31
	v_lshlrev_b32_e32 v35, 23, v31
	v_alignbit_b32 v12, v12, v10, 30
	v_alignbit_b32 v8, v10, v8, 30
	s_delay_alu instid0(VALU_DEP_2) | instskip(NEXT) | instid1(VALU_DEP_2)
	v_dual_sub_nc_u32 v12, 31, v31 :: v_dual_bitop2_b32 v10, v12, v34 bitop3:0x14
	v_xor_b32_e32 v8, v8, v34
	s_delay_alu instid0(VALU_DEP_2) | instskip(SKIP_1) | instid1(VALU_DEP_3)
	v_alignbit_b32 v33, v33, v10, v12
	v_lshrrev_b32_e32 v34, 29, v6
	v_alignbit_b32 v8, v10, v8, v12
	v_lshrrev_b32_e32 v6, 30, v6
	s_delay_alu instid0(VALU_DEP_2) | instskip(NEXT) | instid1(VALU_DEP_4)
	v_alignbit_b32 v12, v33, v8, 9
	v_dual_lshrrev_b32 v33, 9, v33 :: v_dual_lshlrev_b32 v10, 31, v34
	s_delay_alu instid0(VALU_DEP_2) | instskip(NEXT) | instid1(VALU_DEP_2)
	v_clz_i32_u32_e32 v36, v12
	v_or_b32_e32 v34, 0.5, v10
	v_or_b32_e32 v10, 0x33000000, v10
	s_delay_alu instid0(VALU_DEP_2) | instskip(NEXT) | instid1(VALU_DEP_4)
	v_sub_nc_u32_e32 v34, v34, v35
	v_min_u32_e32 v35, 32, v36
	s_delay_alu instid0(VALU_DEP_2) | instskip(NEXT) | instid1(VALU_DEP_2)
	v_or_b32_e32 v33, v33, v34
	v_not_b32_e32 v34, v35
	v_add_lshl_u32 v31, v35, v31, 23
	s_delay_alu instid0(VALU_DEP_2) | instskip(NEXT) | instid1(VALU_DEP_1)
	v_alignbit_b32 v8, v12, v8, v34
	v_dual_sub_nc_u32 v10, v10, v31 :: v_dual_lshrrev_b32 v8, 9, v8
	v_mul_f32_e32 v36, 0x3fc90fda, v33
	s_delay_alu instid0(VALU_DEP_2) | instskip(NEXT) | instid1(VALU_DEP_2)
	v_or_b32_e32 v8, v10, v8
	v_fma_f32 v12, 0x3fc90fda, v33, -v36
	v_add_nc_u32_e32 v10, v30, v6
	s_delay_alu instid0(VALU_DEP_2) | instskip(NEXT) | instid1(VALU_DEP_1)
	v_fmac_f32_e32 v12, 0x33a22168, v33
	v_fmac_f32_e32 v12, 0x3fc90fda, v8
	s_delay_alu instid0(VALU_DEP_1)
	v_add_f32_e32 v8, v36, v12
	s_and_not1_saveexec_b32 s4, s34
	s_branch .LBB94_257
.LBB94_256:                             ;   in Loop: Header=BB94_161 Depth=1
	s_and_not1_saveexec_b32 s4, s34
.LBB94_257:                             ;   in Loop: Header=BB94_161 Depth=1
	v_mul_f32_e64 v6, 0x3f22f983, |v26|
	s_delay_alu instid0(VALU_DEP_1) | instskip(NEXT) | instid1(VALU_DEP_1)
	v_rndne_f32_e32 v6, v6
	v_fma_f32 v8, 0xbfc90fda, v6, |v26|
	v_cvt_i32_f32_e32 v10, v6
	s_delay_alu instid0(VALU_DEP_2) | instskip(NEXT) | instid1(VALU_DEP_1)
	v_fmac_f32_e32 v8, 0xb3a22168, v6
	v_fmac_f32_e32 v8, 0xa7c234c4, v6
; %bb.258:                              ;   in Loop: Header=BB94_161 Depth=1
	s_or_b32 exec_lo, exec_lo, s4
                                        ; implicit-def: $vgpr12
                                        ; implicit-def: $vgpr6
	s_and_saveexec_b32 s4, s33
	s_delay_alu instid0(SALU_CYCLE_1)
	s_xor_b32 s33, exec_lo, s4
	s_cbranch_execz .LBB94_260
; %bb.259:                              ;   in Loop: Header=BB94_161 Depth=1
	v_and_or_b32 v6, v32, s22, 0x800000
	v_dual_mov_b32 v43, v7 :: v_dual_lshrrev_b32 v12, 23, v32
	v_mov_b32_e32 v45, v7
	s_delay_alu instid0(VALU_DEP_3) | instskip(NEXT) | instid1(VALU_DEP_3)
	v_mul_u64_e32 v[30:31], s[14:15], v[6:7]
	v_dual_mov_b32 v35, v7 :: v_dual_add_nc_u32 v12, 0xffffff88, v12
	s_delay_alu instid0(VALU_DEP_1) | instskip(NEXT) | instid1(VALU_DEP_3)
	v_cmp_lt_u32_e32 vcc_lo, 63, v12
	v_mov_b32_e32 v34, v31
	v_cndmask_b32_e64 v31, 0, 0xffffffc0, vcc_lo
	s_delay_alu instid0(VALU_DEP_2) | instskip(SKIP_1) | instid1(VALU_DEP_3)
	v_mad_nc_u64_u32 v[34:35], 0x3c439041, v6, v[34:35]
	v_mov_b32_e32 v37, v7
	v_add_nc_u32_e32 v12, v31, v12
	s_delay_alu instid0(VALU_DEP_1) | instskip(NEXT) | instid1(VALU_DEP_4)
	v_cmp_lt_u32_e64 s4, 31, v12
	v_mov_b32_e32 v36, v35
	s_delay_alu instid0(VALU_DEP_2) | instskip(NEXT) | instid1(VALU_DEP_2)
	v_cndmask_b32_e64 v31, 0, 0xffffffe0, s4
	v_mad_nc_u64_u32 v[36:37], 0xdb629599, v6, v[36:37]
	s_delay_alu instid0(VALU_DEP_1) | instskip(NEXT) | instid1(VALU_DEP_1)
	v_dual_mov_b32 v39, v7 :: v_dual_mov_b32 v38, v37
	v_mad_nc_u64_u32 v[38:39], 0xf534ddc0, v6, v[38:39]
	s_delay_alu instid0(VALU_DEP_1) | instskip(NEXT) | instid1(VALU_DEP_1)
	v_dual_mov_b32 v41, v7 :: v_dual_mov_b32 v40, v39
	v_mad_nc_u64_u32 v[40:41], 0xfc2757d1, v6, v[40:41]
	s_delay_alu instid0(VALU_DEP_1) | instskip(NEXT) | instid1(VALU_DEP_1)
	v_mov_b32_e32 v42, v41
	v_mad_nc_u64_u32 v[42:43], 0x4e441529, v6, v[42:43]
	s_delay_alu instid0(VALU_DEP_1) | instskip(NEXT) | instid1(VALU_DEP_1)
	v_mov_b32_e32 v44, v43
	v_mad_nc_u64_u32 v[44:45], 0xa2f9836e, v6, v[44:45]
	s_delay_alu instid0(VALU_DEP_3) | instskip(NEXT) | instid1(VALU_DEP_2)
	v_dual_cndmask_b32 v31, v42, v38 :: v_dual_add_nc_u32 v6, v31, v12
	v_cndmask_b32_e32 v35, v45, v42, vcc_lo
	s_delay_alu instid0(VALU_DEP_2) | instskip(NEXT) | instid1(VALU_DEP_4)
	v_cmp_lt_u32_e64 s5, 31, v6
	v_cndmask_b32_e32 v33, v44, v40, vcc_lo
	v_cndmask_b32_e32 v37, v40, v36, vcc_lo
	s_delay_alu instid0(VALU_DEP_3) | instskip(NEXT) | instid1(VALU_DEP_1)
	v_cndmask_b32_e64 v12, 0, 0xffffffe0, s5
	v_add_nc_u32_e32 v6, v12, v6
	s_delay_alu instid0(VALU_DEP_4) | instskip(SKIP_1) | instid1(VALU_DEP_3)
	v_dual_cndmask_b32 v12, v38, v34, vcc_lo :: v_dual_cndmask_b32 v34, v33, v31, s4
	v_cndmask_b32_e64 v33, v35, v33, s4
	v_dual_cndmask_b32 v31, v31, v37, s4 :: v_dual_sub_nc_u32 v35, 32, v6
	s_delay_alu instid0(VALU_DEP_3) | instskip(NEXT) | instid1(VALU_DEP_2)
	v_cndmask_b32_e64 v37, v37, v12, s4
	v_dual_cndmask_b32 v33, v33, v34, s5 :: v_dual_cndmask_b32 v34, v34, v31, s5
	s_delay_alu instid0(VALU_DEP_2) | instskip(NEXT) | instid1(VALU_DEP_2)
	v_cndmask_b32_e64 v31, v31, v37, s5
	v_alignbit_b32 v38, v33, v34, v35
	v_cndmask_b32_e32 v30, v36, v30, vcc_lo
	v_cmp_eq_u32_e32 vcc_lo, 0, v6
	s_delay_alu instid0(VALU_DEP_4) | instskip(NEXT) | instid1(VALU_DEP_4)
	v_alignbit_b32 v36, v34, v31, v35
	v_cndmask_b32_e32 v6, v38, v33, vcc_lo
	s_delay_alu instid0(VALU_DEP_1) | instskip(SKIP_1) | instid1(VALU_DEP_2)
	v_bfe_u32 v33, v6, 29, 1
	v_cndmask_b32_e64 v12, v12, v30, s4
	v_dual_cndmask_b32 v30, v36, v34, vcc_lo :: v_dual_sub_nc_u32 v36, 0, v33
	s_delay_alu instid0(VALU_DEP_2) | instskip(NEXT) | instid1(VALU_DEP_2)
	v_cndmask_b32_e64 v12, v37, v12, s5
	v_alignbit_b32 v34, v6, v30, 30
	s_delay_alu instid0(VALU_DEP_2) | instskip(NEXT) | instid1(VALU_DEP_1)
	v_alignbit_b32 v35, v31, v12, v35
	v_dual_cndmask_b32 v31, v35, v31, vcc_lo :: v_dual_bitop2_b32 v34, v34, v36 bitop3:0x14
	s_delay_alu instid0(VALU_DEP_1) | instskip(NEXT) | instid1(VALU_DEP_2)
	v_clz_i32_u32_e32 v35, v34
	v_alignbit_b32 v30, v30, v31, 30
	s_delay_alu instid0(VALU_DEP_2) | instskip(SKIP_1) | instid1(VALU_DEP_2)
	v_min_u32_e32 v35, 32, v35
	v_alignbit_b32 v12, v31, v12, 30
	v_dual_sub_nc_u32 v31, 31, v35 :: v_dual_bitop2_b32 v30, v30, v36 bitop3:0x14
	s_delay_alu instid0(VALU_DEP_2) | instskip(SKIP_1) | instid1(VALU_DEP_3)
	v_dual_lshrrev_b32 v36, 29, v6 :: v_dual_bitop2_b32 v12, v12, v36 bitop3:0x14
	v_lshlrev_b32_e32 v37, 23, v35
	v_alignbit_b32 v34, v34, v30, v31
	s_delay_alu instid0(VALU_DEP_3) | instskip(NEXT) | instid1(VALU_DEP_4)
	v_alignbit_b32 v12, v30, v12, v31
	v_lshlrev_b32_e32 v30, 31, v36
	s_delay_alu instid0(VALU_DEP_2) | instskip(NEXT) | instid1(VALU_DEP_2)
	v_alignbit_b32 v31, v34, v12, 9
	v_or_b32_e32 v36, 0.5, v30
	v_lshrrev_b32_e32 v34, 9, v34
	v_or_b32_e32 v30, 0x33000000, v30
	s_delay_alu instid0(VALU_DEP_4) | instskip(NEXT) | instid1(VALU_DEP_4)
	v_clz_i32_u32_e32 v38, v31
	v_sub_nc_u32_e32 v36, v36, v37
	s_delay_alu instid0(VALU_DEP_2) | instskip(NEXT) | instid1(VALU_DEP_2)
	v_min_u32_e32 v37, 32, v38
	v_or_b32_e32 v34, v34, v36
	s_delay_alu instid0(VALU_DEP_2) | instskip(SKIP_1) | instid1(VALU_DEP_2)
	v_not_b32_e32 v36, v37
	v_add_lshl_u32 v35, v37, v35, 23
	v_alignbit_b32 v12, v31, v12, v36
	s_delay_alu instid0(VALU_DEP_1) | instskip(NEXT) | instid1(VALU_DEP_1)
	v_dual_sub_nc_u32 v30, v30, v35 :: v_dual_lshrrev_b32 v12, 9, v12
	v_or_b32_e32 v12, v30, v12
	v_mul_f32_e32 v38, 0x3fc90fda, v34
	s_delay_alu instid0(VALU_DEP_1) | instskip(NEXT) | instid1(VALU_DEP_1)
	v_fma_f32 v31, 0x3fc90fda, v34, -v38
	v_fmac_f32_e32 v31, 0x33a22168, v34
	s_delay_alu instid0(VALU_DEP_1) | instskip(NEXT) | instid1(VALU_DEP_1)
	v_dual_fmac_f32 v31, 0x3fc90fda, v12 :: v_dual_lshrrev_b32 v12, 30, v6
	v_dual_add_f32 v6, v38, v31 :: v_dual_add_nc_u32 v12, v33, v12
	s_and_not1_saveexec_b32 s4, s33
	s_cbranch_execnz .LBB94_261
	s_branch .LBB94_262
.LBB94_260:                             ;   in Loop: Header=BB94_161 Depth=1
	s_and_not1_saveexec_b32 s4, s33
.LBB94_261:                             ;   in Loop: Header=BB94_161 Depth=1
	v_mul_f32_e64 v6, 0x3f22f983, |v26|
	s_delay_alu instid0(VALU_DEP_1) | instskip(NEXT) | instid1(VALU_DEP_1)
	v_rndne_f32_e32 v12, v6
	v_fma_f32 v6, 0xbfc90fda, v12, |v26|
	s_delay_alu instid0(VALU_DEP_1) | instskip(NEXT) | instid1(VALU_DEP_1)
	v_fmac_f32_e32 v6, 0xb3a22168, v12
	v_fmac_f32_e32 v6, 0xa7c234c4, v12
	v_cvt_i32_f32_e32 v12, v12
.LBB94_262:                             ;   in Loop: Header=BB94_161 Depth=1
	s_or_b32 exec_lo, exec_lo, s4
	v_dual_mul_f32 v30, v8, v8 :: v_dual_bitop2_b32 v31, 1, v10 bitop3:0x40
	v_mul_f32_e64 v33, 0xbfb8aa3b, |v27|
	s_delay_alu instid0(VALU_DEP_2) | instskip(SKIP_1) | instid1(VALU_DEP_3)
	v_fmaak_f32 v35, s28, v30, 0xbab64f3b
	v_lshlrev_b32_e32 v10, 30, v10
	v_fma_f32 v37, 0xbfb8aa3b, |v27|, -v33
	v_cmp_eq_u32_e32 vcc_lo, 0, v31
	s_delay_alu instid0(VALU_DEP_4) | instskip(NEXT) | instid1(VALU_DEP_4)
	v_fmaak_f32 v35, v30, v35, 0x3d2aabf7
	v_bitop3_b32 v10, v32, v10, 0x80000000 bitop3:0x78
	v_rndne_f32_e32 v32, v33
	v_fmaak_f32 v34, s27, v30, 0x3c0881c4
	v_fma_f32 v37, 0xb2a5705f, |v27|, v37
	s_delay_alu instid0(VALU_DEP_3) | instskip(NEXT) | instid1(VALU_DEP_3)
	v_dual_sub_f32 v33, v33, v32 :: v_dual_mul_f32 v36, v6, v6
	v_fmaak_f32 v34, v30, v34, 0xbe2aaa9d
	v_cvt_i32_f32_e32 v32, v32
	s_delay_alu instid0(VALU_DEP_3) | instskip(NEXT) | instid1(VALU_DEP_3)
	v_dual_add_f32 v33, v33, v37 :: v_dual_fmaak_f32 v38, s27, v36, 0x3c0881c4
	v_dual_fmaak_f32 v39, s28, v36, 0xbab64f3b :: v_dual_mul_f32 v34, v30, v34
	v_fmaak_f32 v35, v30, v35, 0xbf000004
	s_delay_alu instid0(VALU_DEP_3) | instskip(NEXT) | instid1(VALU_DEP_3)
	v_exp_f32_e32 v31, v33
	v_fmaak_f32 v38, v36, v38, 0xbe2aaa9d
	s_delay_alu instid0(VALU_DEP_3) | instskip(NEXT) | instid1(VALU_DEP_3)
	v_dual_fmac_f32 v8, v8, v34 :: v_dual_bitop2_b32 v33, 1, v12 bitop3:0x40
	v_fma_f32 v30, v30, v35, 1.0
	s_delay_alu instid0(VALU_DEP_3) | instskip(SKIP_1) | instid1(VALU_DEP_3)
	v_dual_fmaak_f32 v34, v36, v39, 0x3d2aabf7 :: v_dual_mul_f32 v35, v36, v38
	v_lshlrev_b32_e32 v12, 30, v12
	v_cndmask_b32_e32 v8, v30, v8, vcc_lo
	s_delay_alu instid0(VALU_DEP_3) | instskip(NEXT) | instid1(VALU_DEP_4)
	v_fmaak_f32 v30, v36, v34, 0xbf000004
	v_fmac_f32_e32 v6, v6, v35
	v_cmp_eq_u32_e32 vcc_lo, 0, v33
	s_delay_alu instid0(VALU_DEP_4) | instskip(NEXT) | instid1(VALU_DEP_4)
	v_xor3_b32 v8, v10, v8, v26
	v_fma_f32 v30, v36, v30, 1.0
	v_ldexp_f32 v10, v31, v32
	s_delay_alu instid0(VALU_DEP_2) | instskip(SKIP_1) | instid1(VALU_DEP_2)
	v_dual_mul_f32 v8, 4.0, v8 :: v_dual_cndmask_b32 v6, -v6, v30, vcc_lo
	v_cmp_nlt_f32_e64 vcc_lo, 0x42ce8ed0, |v27|
	v_bitop3_b32 v6, v12, v6, 0x80000000 bitop3:0x6c
	s_delay_alu instid0(VALU_DEP_4) | instskip(SKIP_1) | instid1(VALU_DEP_3)
	v_cndmask_b32_e32 v10, 0, v10, vcc_lo
	v_cmp_ngt_f32_e64 vcc_lo, 0xc2b17218, |v27|
	v_mul_f32_e32 v6, v8, v6
	v_xor_b32_e32 v8, 0x80000000, v27
	s_delay_alu instid0(VALU_DEP_4) | instskip(NEXT) | instid1(VALU_DEP_2)
	v_cndmask_b32_e32 v10, 0x7f800000, v10, vcc_lo
	v_bfi_b32 v31, 0x7fffffff, 1.0, v8
	s_delay_alu instid0(VALU_DEP_2) | instskip(NEXT) | instid1(VALU_DEP_1)
	v_mul_f32_e32 v6, v10, v6
	v_mul_f32_e32 v30, v10, v6
.LBB94_263:                             ;   in Loop: Header=BB94_161 Depth=1
	s_or_b32 exec_lo, exec_lo, s31
                                        ; implicit-def: $vgpr26
.LBB94_264:                             ;   in Loop: Header=BB94_161 Depth=1
	s_and_not1_saveexec_b32 s4, s30
; %bb.265:                              ;   in Loop: Header=BB94_161 Depth=1
	v_sub_f32_e32 v30, v26, v26
	s_delay_alu instid0(VALU_DEP_1)
	v_mov_b32_e32 v31, v30
; %bb.266:                              ;   in Loop: Header=BB94_161 Depth=1
	s_or_b32 exec_lo, exec_lo, s4
                                        ; implicit-def: $vgpr27
.LBB94_267:                             ;   in Loop: Header=BB94_161 Depth=1
	s_and_not1_saveexec_b32 s29, s29
	s_cbranch_execz .LBB94_283
; %bb.268:                              ;   in Loop: Header=BB94_161 Depth=1
	v_xor_b32_e32 v31, 0x80000000, v27
	s_mov_b32 s4, exec_lo
                                        ; implicit-def: $vgpr30
	s_delay_alu instid0(VALU_DEP_1) | instskip(NEXT) | instid1(VALU_DEP_1)
	v_and_b32_e32 v6, 0x7fffff, v31
	v_cmpx_ne_u32_e32 0, v6
	s_xor_b32 s4, exec_lo, s4
; %bb.269:                              ;   in Loop: Header=BB94_161 Depth=1
	v_mul_f32_e64 v6, v26, -v27
	v_cmp_eq_f32_e32 vcc_lo, 0, v26
	s_delay_alu instid0(VALU_DEP_2)
	v_cndmask_b32_e32 v30, v6, v26, vcc_lo
                                        ; implicit-def: $vgpr26
; %bb.270:                              ;   in Loop: Header=BB94_161 Depth=1
	s_and_not1_saveexec_b32 s30, s4
	s_cbranch_execz .LBB94_282
; %bb.271:                              ;   in Loop: Header=BB94_161 Depth=1
	s_mov_b32 s31, exec_lo
	v_cmpx_neq_f32_e64 0x7f800000, |v26|
	s_cbranch_execz .LBB94_281
; %bb.272:                              ;   in Loop: Header=BB94_161 Depth=1
	v_and_b32_e32 v8, 0x7fffffff, v26
	v_cmp_ngt_f32_e64 s33, 0x48000000, |v26|
                                        ; implicit-def: $vgpr12
                                        ; implicit-def: $vgpr10
	s_and_saveexec_b32 s4, s33
	s_delay_alu instid0(SALU_CYCLE_1)
	s_xor_b32 s34, exec_lo, s4
	s_cbranch_execz .LBB94_274
; %bb.273:                              ;   in Loop: Header=BB94_161 Depth=1
	v_and_or_b32 v6, v8, s22, 0x800000
	v_dual_mov_b32 v43, v7 :: v_dual_lshrrev_b32 v10, 23, v8
	v_mov_b32_e32 v45, v7
	s_delay_alu instid0(VALU_DEP_3) | instskip(NEXT) | instid1(VALU_DEP_3)
	v_mul_u64_e32 v[32:33], s[14:15], v[6:7]
	v_dual_mov_b32 v35, v7 :: v_dual_add_nc_u32 v10, 0xffffff88, v10
	s_delay_alu instid0(VALU_DEP_1) | instskip(SKIP_1) | instid1(VALU_DEP_1)
	v_cmp_lt_u32_e32 vcc_lo, 63, v10
	v_cndmask_b32_e64 v12, 0, 0xffffffc0, vcc_lo
	v_add_nc_u32_e32 v10, v12, v10
	s_delay_alu instid0(VALU_DEP_1) | instskip(NEXT) | instid1(VALU_DEP_1)
	v_cmp_lt_u32_e64 s4, 31, v10
	v_cndmask_b32_e64 v12, 0, 0xffffffe0, s4
	v_mov_b32_e32 v34, v33
	s_delay_alu instid0(VALU_DEP_1) | instskip(NEXT) | instid1(VALU_DEP_1)
	v_mad_nc_u64_u32 v[34:35], 0x3c439041, v6, v[34:35]
	v_dual_mov_b32 v37, v7 :: v_dual_mov_b32 v36, v35
	s_delay_alu instid0(VALU_DEP_1) | instskip(NEXT) | instid1(VALU_DEP_1)
	v_mad_nc_u64_u32 v[36:37], 0xdb629599, v6, v[36:37]
	v_dual_mov_b32 v39, v7 :: v_dual_mov_b32 v38, v37
	;; [unrolled: 3-line block ×3, first 2 shown]
	s_delay_alu instid0(VALU_DEP_1) | instskip(NEXT) | instid1(VALU_DEP_1)
	v_mad_nc_u64_u32 v[40:41], 0xfc2757d1, v6, v[40:41]
	v_dual_mov_b32 v42, v41 :: v_dual_cndmask_b32 v33, v40, v36
	s_delay_alu instid0(VALU_DEP_1) | instskip(NEXT) | instid1(VALU_DEP_1)
	v_mad_nc_u64_u32 v[42:43], 0x4e441529, v6, v[42:43]
	v_mov_b32_e32 v44, v43
	s_delay_alu instid0(VALU_DEP_1) | instskip(SKIP_1) | instid1(VALU_DEP_4)
	v_mad_nc_u64_u32 v[44:45], 0xa2f9836e, v6, v[44:45]
	v_add_nc_u32_e32 v6, v12, v10
	v_cndmask_b32_e32 v12, v42, v38, vcc_lo
	s_delay_alu instid0(VALU_DEP_2) | instskip(NEXT) | instid1(VALU_DEP_1)
	v_cmp_lt_u32_e64 s5, 31, v6
	v_cndmask_b32_e64 v10, 0, 0xffffffe0, s5
	v_dual_cndmask_b32 v27, v44, v40 :: v_dual_cndmask_b32 v30, v45, v42
	s_delay_alu instid0(VALU_DEP_2) | instskip(NEXT) | instid1(VALU_DEP_2)
	v_add_nc_u32_e32 v6, v10, v6
	v_dual_cndmask_b32 v10, v38, v34, vcc_lo :: v_dual_cndmask_b32 v34, v27, v12, s4
	s_delay_alu instid0(VALU_DEP_3) | instskip(NEXT) | instid1(VALU_DEP_3)
	v_dual_cndmask_b32 v27, v30, v27, s4 :: v_dual_cndmask_b32 v12, v12, v33, s4
	v_sub_nc_u32_e32 v30, 32, v6
	s_delay_alu instid0(VALU_DEP_3) | instskip(NEXT) | instid1(VALU_DEP_3)
	v_cndmask_b32_e64 v33, v33, v10, s4
	v_dual_cndmask_b32 v27, v27, v34, s5 :: v_dual_cndmask_b32 v34, v34, v12, s5
	s_delay_alu instid0(VALU_DEP_2) | instskip(NEXT) | instid1(VALU_DEP_2)
	v_cndmask_b32_e64 v12, v12, v33, s5
	v_alignbit_b32 v35, v27, v34, v30
	v_cndmask_b32_e32 v32, v36, v32, vcc_lo
	v_cmp_eq_u32_e32 vcc_lo, 0, v6
	s_delay_alu instid0(VALU_DEP_4) | instskip(NEXT) | instid1(VALU_DEP_3)
	v_alignbit_b32 v36, v34, v12, v30
	v_dual_cndmask_b32 v6, v35, v27, vcc_lo :: v_dual_cndmask_b32 v10, v10, v32, s4
	s_delay_alu instid0(VALU_DEP_2) | instskip(NEXT) | instid1(VALU_DEP_2)
	v_cndmask_b32_e32 v27, v36, v34, vcc_lo
	v_bfe_u32 v32, v6, 29, 1
	s_delay_alu instid0(VALU_DEP_3) | instskip(NEXT) | instid1(VALU_DEP_3)
	v_cndmask_b32_e64 v10, v33, v10, s5
	v_alignbit_b32 v33, v6, v27, 30
	s_delay_alu instid0(VALU_DEP_3) | instskip(NEXT) | instid1(VALU_DEP_3)
	v_sub_nc_u32_e32 v34, 0, v32
	v_alignbit_b32 v30, v12, v10, v30
	s_delay_alu instid0(VALU_DEP_1) | instskip(NEXT) | instid1(VALU_DEP_1)
	v_dual_cndmask_b32 v12, v30, v12, vcc_lo :: v_dual_bitop2_b32 v33, v33, v34 bitop3:0x14
	v_clz_i32_u32_e32 v30, v33
	s_delay_alu instid0(VALU_DEP_2) | instskip(SKIP_1) | instid1(VALU_DEP_3)
	v_alignbit_b32 v27, v27, v12, 30
	v_alignbit_b32 v10, v12, v10, 30
	v_min_u32_e32 v30, 32, v30
	s_delay_alu instid0(VALU_DEP_2) | instskip(NEXT) | instid1(VALU_DEP_2)
	v_xor_b32_e32 v10, v10, v34
	v_lshlrev_b32_e32 v35, 23, v30
	v_xor_b32_e32 v12, v27, v34
	v_sub_nc_u32_e32 v27, 31, v30
	s_delay_alu instid0(VALU_DEP_1) | instskip(SKIP_3) | instid1(VALU_DEP_2)
	v_alignbit_b32 v33, v33, v12, v27
	v_lshrrev_b32_e32 v34, 29, v6
	v_alignbit_b32 v10, v12, v10, v27
	v_lshrrev_b32_e32 v6, 30, v6
	v_alignbit_b32 v27, v33, v10, 9
	s_delay_alu instid0(VALU_DEP_4) | instskip(NEXT) | instid1(VALU_DEP_2)
	v_dual_lshrrev_b32 v33, 9, v33 :: v_dual_lshlrev_b32 v12, 31, v34
	v_clz_i32_u32_e32 v36, v27
	s_delay_alu instid0(VALU_DEP_2) | instskip(SKIP_1) | instid1(VALU_DEP_2)
	v_or_b32_e32 v34, 0.5, v12
	v_or_b32_e32 v12, 0x33000000, v12
	v_sub_nc_u32_e32 v34, v34, v35
	s_delay_alu instid0(VALU_DEP_4) | instskip(NEXT) | instid1(VALU_DEP_2)
	v_min_u32_e32 v35, 32, v36
	v_or_b32_e32 v33, v33, v34
	s_delay_alu instid0(VALU_DEP_2) | instskip(SKIP_1) | instid1(VALU_DEP_3)
	v_not_b32_e32 v34, v35
	v_add_lshl_u32 v30, v35, v30, 23
	v_mul_f32_e32 v36, 0x3fc90fda, v33
	s_delay_alu instid0(VALU_DEP_3) | instskip(NEXT) | instid1(VALU_DEP_2)
	v_alignbit_b32 v10, v27, v10, v34
	v_fma_f32 v27, 0x3fc90fda, v33, -v36
	s_delay_alu instid0(VALU_DEP_4) | instskip(NEXT) | instid1(VALU_DEP_2)
	v_sub_nc_u32_e32 v12, v12, v30
	v_dual_fmac_f32 v27, 0x33a22168, v33 :: v_dual_lshrrev_b32 v10, 9, v10
	s_delay_alu instid0(VALU_DEP_1) | instskip(SKIP_1) | instid1(VALU_DEP_2)
	v_or_b32_e32 v10, v12, v10
	v_add_nc_u32_e32 v12, v32, v6
	v_fmac_f32_e32 v27, 0x3fc90fda, v10
	s_delay_alu instid0(VALU_DEP_1)
	v_add_f32_e32 v10, v36, v27
	s_and_not1_saveexec_b32 s4, s34
	s_branch .LBB94_275
.LBB94_274:                             ;   in Loop: Header=BB94_161 Depth=1
	s_and_not1_saveexec_b32 s4, s34
.LBB94_275:                             ;   in Loop: Header=BB94_161 Depth=1
	v_mul_f32_e64 v6, 0x3f22f983, |v26|
	s_delay_alu instid0(VALU_DEP_1) | instskip(NEXT) | instid1(VALU_DEP_1)
	v_rndne_f32_e32 v6, v6
	v_fma_f32 v10, 0xbfc90fda, v6, |v26|
	v_cvt_i32_f32_e32 v12, v6
	s_delay_alu instid0(VALU_DEP_2) | instskip(NEXT) | instid1(VALU_DEP_1)
	v_fmac_f32_e32 v10, 0xb3a22168, v6
	v_fmac_f32_e32 v10, 0xa7c234c4, v6
; %bb.276:                              ;   in Loop: Header=BB94_161 Depth=1
	s_or_b32 exec_lo, exec_lo, s4
                                        ; implicit-def: $vgpr27
                                        ; implicit-def: $vgpr6
	s_and_saveexec_b32 s4, s33
	s_delay_alu instid0(SALU_CYCLE_1)
	s_xor_b32 s33, exec_lo, s4
	s_cbranch_execz .LBB94_278
; %bb.277:                              ;   in Loop: Header=BB94_161 Depth=1
	v_and_or_b32 v6, v8, s22, 0x800000
	v_dual_lshrrev_b32 v27, 23, v8 :: v_dual_mov_b32 v43, v7
	v_mov_b32_e32 v45, v7
	s_delay_alu instid0(VALU_DEP_3) | instskip(SKIP_1) | instid1(VALU_DEP_4)
	v_mul_u64_e32 v[32:33], s[14:15], v[6:7]
	v_mov_b32_e32 v35, v7
	v_add_nc_u32_e32 v27, 0xffffff88, v27
	s_delay_alu instid0(VALU_DEP_1) | instskip(SKIP_1) | instid1(VALU_DEP_1)
	v_cmp_lt_u32_e32 vcc_lo, 63, v27
	v_cndmask_b32_e64 v30, 0, 0xffffffc0, vcc_lo
	v_add_nc_u32_e32 v27, v30, v27
	s_delay_alu instid0(VALU_DEP_1) | instskip(NEXT) | instid1(VALU_DEP_1)
	v_cmp_lt_u32_e64 s4, 31, v27
	v_cndmask_b32_e64 v30, 0, 0xffffffe0, s4
	v_mov_b32_e32 v34, v33
	s_delay_alu instid0(VALU_DEP_1) | instskip(NEXT) | instid1(VALU_DEP_1)
	v_mad_nc_u64_u32 v[34:35], 0x3c439041, v6, v[34:35]
	v_dual_mov_b32 v37, v7 :: v_dual_mov_b32 v36, v35
	s_delay_alu instid0(VALU_DEP_1) | instskip(NEXT) | instid1(VALU_DEP_1)
	v_mad_nc_u64_u32 v[36:37], 0xdb629599, v6, v[36:37]
	v_dual_mov_b32 v39, v7 :: v_dual_mov_b32 v38, v37
	s_delay_alu instid0(VALU_DEP_2) | instskip(NEXT) | instid1(VALU_DEP_2)
	v_cndmask_b32_e32 v32, v36, v32, vcc_lo
	v_mad_nc_u64_u32 v[38:39], 0xf534ddc0, v6, v[38:39]
	s_delay_alu instid0(VALU_DEP_1) | instskip(NEXT) | instid1(VALU_DEP_1)
	v_dual_mov_b32 v41, v7 :: v_dual_mov_b32 v40, v39
	v_mad_nc_u64_u32 v[40:41], 0xfc2757d1, v6, v[40:41]
	s_delay_alu instid0(VALU_DEP_1) | instskip(NEXT) | instid1(VALU_DEP_1)
	v_dual_mov_b32 v42, v41 :: v_dual_cndmask_b32 v37, v40, v36
	v_mad_nc_u64_u32 v[42:43], 0x4e441529, v6, v[42:43]
	s_delay_alu instid0(VALU_DEP_1) | instskip(NEXT) | instid1(VALU_DEP_1)
	v_mov_b32_e32 v44, v43
	v_mad_nc_u64_u32 v[44:45], 0xa2f9836e, v6, v[44:45]
	v_add_nc_u32_e32 v6, v30, v27
	s_delay_alu instid0(VALU_DEP_4) | instskip(NEXT) | instid1(VALU_DEP_2)
	v_cndmask_b32_e32 v30, v42, v38, vcc_lo
	v_cmp_lt_u32_e64 s5, 31, v6
	s_delay_alu instid0(VALU_DEP_1) | instskip(SKIP_1) | instid1(VALU_DEP_2)
	v_cndmask_b32_e64 v27, 0, 0xffffffe0, s5
	v_dual_cndmask_b32 v33, v44, v40, vcc_lo :: v_dual_cndmask_b32 v35, v45, v42, vcc_lo
	v_add_nc_u32_e32 v6, v27, v6
	v_cndmask_b32_e32 v27, v38, v34, vcc_lo
	s_delay_alu instid0(VALU_DEP_3) | instskip(NEXT) | instid1(VALU_DEP_3)
	v_dual_cndmask_b32 v34, v33, v30, s4 :: v_dual_cndmask_b32 v33, v35, v33, s4
	v_dual_cndmask_b32 v30, v30, v37, s4 :: v_dual_sub_nc_u32 v35, 32, v6
	s_delay_alu instid0(VALU_DEP_3) | instskip(SKIP_1) | instid1(VALU_DEP_4)
	v_cndmask_b32_e64 v37, v37, v27, s4
	v_cmp_eq_u32_e32 vcc_lo, 0, v6
	v_cndmask_b32_e64 v33, v33, v34, s5
	s_delay_alu instid0(VALU_DEP_4) | instskip(NEXT) | instid1(VALU_DEP_4)
	v_dual_cndmask_b32 v34, v34, v30, s5 :: v_dual_cndmask_b32 v27, v27, v32, s4
	v_cndmask_b32_e64 v30, v30, v37, s5
	s_delay_alu instid0(VALU_DEP_2) | instskip(NEXT) | instid1(VALU_DEP_2)
	v_alignbit_b32 v38, v33, v34, v35
	v_alignbit_b32 v36, v34, v30, v35
	s_delay_alu instid0(VALU_DEP_1) | instskip(NEXT) | instid1(VALU_DEP_1)
	v_dual_cndmask_b32 v6, v38, v33, vcc_lo :: v_dual_cndmask_b32 v32, v36, v34, vcc_lo
	v_bfe_u32 v33, v6, 29, 1
	v_cndmask_b32_e64 v27, v37, v27, s5
	s_delay_alu instid0(VALU_DEP_3) | instskip(NEXT) | instid1(VALU_DEP_3)
	v_alignbit_b32 v34, v6, v32, 30
	v_sub_nc_u32_e32 v36, 0, v33
	s_delay_alu instid0(VALU_DEP_3) | instskip(NEXT) | instid1(VALU_DEP_1)
	v_alignbit_b32 v35, v30, v27, v35
	v_dual_cndmask_b32 v30, v35, v30, vcc_lo :: v_dual_bitop2_b32 v34, v34, v36 bitop3:0x14
	s_delay_alu instid0(VALU_DEP_1) | instskip(NEXT) | instid1(VALU_DEP_2)
	v_clz_i32_u32_e32 v35, v34
	v_alignbit_b32 v32, v32, v30, 30
	v_alignbit_b32 v27, v30, v27, 30
	s_delay_alu instid0(VALU_DEP_3) | instskip(NEXT) | instid1(VALU_DEP_3)
	v_min_u32_e32 v35, 32, v35
	v_xor_b32_e32 v30, v32, v36
	s_delay_alu instid0(VALU_DEP_3) | instskip(NEXT) | instid1(VALU_DEP_3)
	v_dual_lshrrev_b32 v36, 29, v6 :: v_dual_bitop2_b32 v27, v27, v36 bitop3:0x14
	v_dual_sub_nc_u32 v32, 31, v35 :: v_dual_lshlrev_b32 v37, 23, v35
	s_delay_alu instid0(VALU_DEP_1) | instskip(NEXT) | instid1(VALU_DEP_3)
	v_alignbit_b32 v34, v34, v30, v32
	v_alignbit_b32 v27, v30, v27, v32
	s_delay_alu instid0(VALU_DEP_4) | instskip(NEXT) | instid1(VALU_DEP_2)
	v_lshlrev_b32_e32 v30, 31, v36
	v_alignbit_b32 v32, v34, v27, 9
	s_delay_alu instid0(VALU_DEP_2) | instskip(SKIP_2) | instid1(VALU_DEP_4)
	v_or_b32_e32 v36, 0.5, v30
	v_or_b32_e32 v30, 0x33000000, v30
	v_lshrrev_b32_e32 v34, 9, v34
	v_clz_i32_u32_e32 v38, v32
	s_delay_alu instid0(VALU_DEP_4) | instskip(NEXT) | instid1(VALU_DEP_2)
	v_sub_nc_u32_e32 v36, v36, v37
	v_min_u32_e32 v37, 32, v38
	s_delay_alu instid0(VALU_DEP_2) | instskip(NEXT) | instid1(VALU_DEP_2)
	v_or_b32_e32 v34, v34, v36
	v_not_b32_e32 v36, v37
	v_add_lshl_u32 v35, v37, v35, 23
	s_delay_alu instid0(VALU_DEP_2) | instskip(NEXT) | instid1(VALU_DEP_2)
	v_alignbit_b32 v27, v32, v27, v36
	v_sub_nc_u32_e32 v30, v30, v35
	s_delay_alu instid0(VALU_DEP_2) | instskip(NEXT) | instid1(VALU_DEP_1)
	v_dual_mul_f32 v38, 0x3fc90fda, v34 :: v_dual_lshrrev_b32 v27, 9, v27
	v_or_b32_e32 v27, v30, v27
	s_delay_alu instid0(VALU_DEP_2) | instskip(NEXT) | instid1(VALU_DEP_1)
	v_fma_f32 v32, 0x3fc90fda, v34, -v38
	v_fmac_f32_e32 v32, 0x33a22168, v34
	s_delay_alu instid0(VALU_DEP_1) | instskip(NEXT) | instid1(VALU_DEP_1)
	v_dual_fmac_f32 v32, 0x3fc90fda, v27 :: v_dual_lshrrev_b32 v27, 30, v6
	v_dual_add_f32 v6, v38, v32 :: v_dual_add_nc_u32 v27, v33, v27
	s_and_not1_saveexec_b32 s4, s33
	s_cbranch_execnz .LBB94_279
	s_branch .LBB94_280
.LBB94_278:                             ;   in Loop: Header=BB94_161 Depth=1
	s_and_not1_saveexec_b32 s4, s33
.LBB94_279:                             ;   in Loop: Header=BB94_161 Depth=1
	v_mul_f32_e64 v6, 0x3f22f983, |v26|
	s_delay_alu instid0(VALU_DEP_1) | instskip(NEXT) | instid1(VALU_DEP_1)
	v_rndne_f32_e32 v27, v6
	v_fma_f32 v6, 0xbfc90fda, v27, |v26|
	s_delay_alu instid0(VALU_DEP_1) | instskip(NEXT) | instid1(VALU_DEP_1)
	v_fmac_f32_e32 v6, 0xb3a22168, v27
	v_fmac_f32_e32 v6, 0xa7c234c4, v27
	v_cvt_i32_f32_e32 v27, v27
.LBB94_280:                             ;   in Loop: Header=BB94_161 Depth=1
	s_or_b32 exec_lo, exec_lo, s4
	s_delay_alu instid0(VALU_DEP_1) | instskip(SKIP_2) | instid1(VALU_DEP_3)
	v_mul_f32_e32 v32, v6, v6
	v_dual_mul_f32 v30, v10, v10 :: v_dual_bitop2_b32 v33, 1, v12 bitop3:0x40
	v_lshlrev_b32_e32 v12, 30, v12
	v_fmaak_f32 v36, s27, v32, 0x3c0881c4
	s_delay_alu instid0(VALU_DEP_3) | instskip(NEXT) | instid1(VALU_DEP_4)
	v_fmaak_f32 v34, s27, v30, 0x3c0881c4
	v_cmp_eq_u32_e32 vcc_lo, 0, v33
	s_delay_alu instid0(VALU_DEP_4) | instskip(NEXT) | instid1(VALU_DEP_4)
	v_bitop3_b32 v8, v8, v12, 0x80000000 bitop3:0x78
	v_fmaak_f32 v36, v32, v36, 0xbe2aaa9d
	s_delay_alu instid0(VALU_DEP_1) | instskip(SKIP_3) | instid1(VALU_DEP_4)
	v_dual_fmaak_f32 v35, s28, v30, 0xbab64f3b :: v_dual_mul_f32 v36, v32, v36
	v_dual_lshlrev_b32 v27, 30, v27 :: v_dual_bitop2_b32 v38, 1, v27 bitop3:0x40
	v_fmaak_f32 v34, v30, v34, 0xbe2aaa9d
	v_fmaak_f32 v37, s28, v32, 0xbab64f3b
	v_fmac_f32_e32 v6, v6, v36
	s_delay_alu instid0(VALU_DEP_2) | instskip(NEXT) | instid1(VALU_DEP_1)
	v_dual_mul_f32 v34, v30, v34 :: v_dual_fmaak_f32 v37, v32, v37, 0x3d2aabf7
	v_fmac_f32_e32 v10, v10, v34
	v_fmaak_f32 v35, v30, v35, 0x3d2aabf7
	s_delay_alu instid0(VALU_DEP_3) | instskip(NEXT) | instid1(VALU_DEP_2)
	v_fmaak_f32 v37, v32, v37, 0xbf000004
	v_fmaak_f32 v35, v30, v35, 0xbf000004
	s_delay_alu instid0(VALU_DEP_2) | instskip(NEXT) | instid1(VALU_DEP_2)
	v_fma_f32 v32, v32, v37, 1.0
	v_fma_f32 v30, v30, v35, 1.0
	s_delay_alu instid0(VALU_DEP_1) | instskip(SKIP_1) | instid1(VALU_DEP_2)
	v_cndmask_b32_e32 v10, v30, v10, vcc_lo
	v_cmp_eq_u32_e32 vcc_lo, 0, v38
	v_xor3_b32 v8, v8, v10, v26
	v_cndmask_b32_e64 v6, -v6, v32, vcc_lo
	v_cmp_class_f32_e64 vcc_lo, v26, 0x1f8
	s_delay_alu instid0(VALU_DEP_2) | instskip(NEXT) | instid1(VALU_DEP_1)
	v_bitop3_b32 v6, v27, v6, 0x80000000 bitop3:0x6c
	v_mul_f32_e32 v6, v8, v6
	s_delay_alu instid0(VALU_DEP_1)
	v_cndmask_b32_e32 v26, 0x7fc00000, v6, vcc_lo
.LBB94_281:                             ;   in Loop: Header=BB94_161 Depth=1
	s_or_b32 exec_lo, exec_lo, s31
	v_add_nc_u32_e32 v31, -2.0, v31
	s_delay_alu instid0(VALU_DEP_2)
	v_bfi_b32 v30, 0x7fffffff, 0, v26
.LBB94_282:                             ;   in Loop: Header=BB94_161 Depth=1
	s_or_b32 exec_lo, exec_lo, s30
.LBB94_283:                             ;   in Loop: Header=BB94_161 Depth=1
	s_delay_alu instid0(SALU_CYCLE_1) | instskip(SKIP_2) | instid1(VALU_DEP_1)
	s_or_b32 exec_lo, exec_lo, s29
	v_and_b32_e32 v10, 0x7fffffff, v23
                                        ; implicit-def: $vgpr26
                                        ; implicit-def: $vgpr8
	s_mov_b32 s4, exec_lo
	v_cmpx_gt_u32_e32 0x7f800000, v10
	s_xor_b32 s29, exec_lo, s4
	s_cbranch_execz .LBB94_294
; %bb.284:                              ;   in Loop: Header=BB94_161 Depth=1
	v_cmp_class_f32_e64 s4, v22, 0x1f8
                                        ; implicit-def: $vgpr26
                                        ; implicit-def: $vgpr8
	s_and_saveexec_b32 s5, s4
	s_delay_alu instid0(SALU_CYCLE_1)
	s_xor_b32 s30, exec_lo, s5
	s_cbranch_execz .LBB94_313
; %bb.285:                              ;   in Loop: Header=BB94_161 Depth=1
	v_and_b32_e32 v27, 0x7fffffff, v22
                                        ; implicit-def: $vgpr26
                                        ; implicit-def: $vgpr8
	s_mov_b32 s4, exec_lo
	v_cmpx_gt_u32_e32 0x41300000, v10
	s_xor_b32 s31, exec_lo, s4
	s_cbranch_execz .LBB94_291
; %bb.286:                              ;   in Loop: Header=BB94_161 Depth=1
                                        ; implicit-def: $vgpr6
                                        ; implicit-def: $vgpr26
	s_mov_b32 s5, exec_lo
	v_cmpx_ngt_f32_e64 0x48000000, |v22|
	s_xor_b32 s33, exec_lo, s5
	s_cbranch_execz .LBB94_288
; %bb.287:                              ;   in Loop: Header=BB94_161 Depth=1
	v_and_or_b32 v6, v27, s22, 0x800000
	v_dual_mov_b32 v43, v7 :: v_dual_lshrrev_b32 v8, 23, v27
	v_mov_b32_e32 v45, v7
	s_delay_alu instid0(VALU_DEP_3) | instskip(NEXT) | instid1(VALU_DEP_3)
	v_mul_u64_e32 v[32:33], s[14:15], v[6:7]
	v_dual_mov_b32 v35, v7 :: v_dual_add_nc_u32 v8, 0xffffff88, v8
	s_delay_alu instid0(VALU_DEP_1) | instskip(SKIP_1) | instid1(VALU_DEP_1)
	v_cmp_lt_u32_e32 vcc_lo, 63, v8
	v_cndmask_b32_e64 v12, 0, 0xffffffc0, vcc_lo
	v_add_nc_u32_e32 v8, v12, v8
	s_delay_alu instid0(VALU_DEP_1) | instskip(NEXT) | instid1(VALU_DEP_1)
	v_cmp_lt_u32_e64 s4, 31, v8
	v_cndmask_b32_e64 v12, 0, 0xffffffe0, s4
	v_mov_b32_e32 v34, v33
	s_delay_alu instid0(VALU_DEP_1) | instskip(NEXT) | instid1(VALU_DEP_1)
	v_mad_nc_u64_u32 v[34:35], 0x3c439041, v6, v[34:35]
	v_dual_mov_b32 v37, v7 :: v_dual_mov_b32 v36, v35
	s_delay_alu instid0(VALU_DEP_1) | instskip(NEXT) | instid1(VALU_DEP_1)
	v_mad_nc_u64_u32 v[36:37], 0xdb629599, v6, v[36:37]
	v_dual_mov_b32 v39, v7 :: v_dual_mov_b32 v38, v37
	;; [unrolled: 3-line block ×3, first 2 shown]
	s_delay_alu instid0(VALU_DEP_1) | instskip(NEXT) | instid1(VALU_DEP_1)
	v_mad_nc_u64_u32 v[40:41], 0xfc2757d1, v6, v[40:41]
	v_dual_mov_b32 v42, v41 :: v_dual_cndmask_b32 v35, v40, v36
	s_delay_alu instid0(VALU_DEP_1) | instskip(NEXT) | instid1(VALU_DEP_1)
	v_mad_nc_u64_u32 v[42:43], 0x4e441529, v6, v[42:43]
	v_mov_b32_e32 v44, v43
	s_delay_alu instid0(VALU_DEP_1) | instskip(NEXT) | instid1(VALU_DEP_3)
	v_mad_nc_u64_u32 v[44:45], 0xa2f9836e, v6, v[44:45]
	v_dual_add_nc_u32 v6, v12, v8 :: v_dual_cndmask_b32 v12, v42, v38, vcc_lo
	s_delay_alu instid0(VALU_DEP_1) | instskip(NEXT) | instid1(VALU_DEP_1)
	v_cmp_lt_u32_e64 s5, 31, v6
	v_cndmask_b32_e64 v8, 0, 0xffffffe0, s5
	s_delay_alu instid0(VALU_DEP_4) | instskip(NEXT) | instid1(VALU_DEP_2)
	v_dual_cndmask_b32 v26, v44, v40 :: v_dual_cndmask_b32 v33, v45, v42
	v_add_nc_u32_e32 v6, v8, v6
	v_cndmask_b32_e32 v8, v38, v34, vcc_lo
	s_delay_alu instid0(VALU_DEP_3) | instskip(NEXT) | instid1(VALU_DEP_3)
	v_dual_cndmask_b32 v34, v26, v12, s4 :: v_dual_cndmask_b32 v26, v33, v26, s4
	v_dual_cndmask_b32 v12, v12, v35, s4 :: v_dual_sub_nc_u32 v33, 32, v6
	s_delay_alu instid0(VALU_DEP_2) | instskip(NEXT) | instid1(VALU_DEP_1)
	v_dual_cndmask_b32 v35, v35, v8, s4 :: v_dual_cndmask_b32 v26, v26, v34, s5
	v_dual_cndmask_b32 v34, v34, v12, s5 :: v_dual_cndmask_b32 v12, v12, v35, s5
	s_delay_alu instid0(VALU_DEP_1) | instskip(SKIP_2) | instid1(VALU_DEP_4)
	v_alignbit_b32 v37, v26, v34, v33
	v_cndmask_b32_e32 v32, v36, v32, vcc_lo
	v_cmp_eq_u32_e32 vcc_lo, 0, v6
	v_alignbit_b32 v36, v34, v12, v33
	s_delay_alu instid0(VALU_DEP_3) | instskip(NEXT) | instid1(VALU_DEP_2)
	v_dual_cndmask_b32 v6, v37, v26, vcc_lo :: v_dual_cndmask_b32 v8, v8, v32, s4
	v_cndmask_b32_e32 v26, v36, v34, vcc_lo
	s_delay_alu instid0(VALU_DEP_2) | instskip(NEXT) | instid1(VALU_DEP_3)
	v_bfe_u32 v32, v6, 29, 1
	v_cndmask_b32_e64 v8, v35, v8, s5
	s_delay_alu instid0(VALU_DEP_3) | instskip(NEXT) | instid1(VALU_DEP_3)
	v_alignbit_b32 v34, v6, v26, 30
	v_sub_nc_u32_e32 v35, 0, v32
	s_delay_alu instid0(VALU_DEP_3) | instskip(NEXT) | instid1(VALU_DEP_1)
	v_alignbit_b32 v33, v12, v8, v33
	v_dual_cndmask_b32 v12, v33, v12, vcc_lo :: v_dual_bitop2_b32 v34, v34, v35 bitop3:0x14
	s_delay_alu instid0(VALU_DEP_1) | instskip(NEXT) | instid1(VALU_DEP_2)
	v_clz_i32_u32_e32 v33, v34
	v_alignbit_b32 v26, v26, v12, 30
	v_alignbit_b32 v8, v12, v8, 30
	s_delay_alu instid0(VALU_DEP_3) | instskip(NEXT) | instid1(VALU_DEP_3)
	v_min_u32_e32 v33, 32, v33
	v_xor_b32_e32 v12, v26, v35
	s_delay_alu instid0(VALU_DEP_3) | instskip(NEXT) | instid1(VALU_DEP_3)
	v_dual_lshrrev_b32 v35, 29, v6 :: v_dual_bitop2_b32 v8, v8, v35 bitop3:0x14
	v_dual_lshrrev_b32 v6, 30, v6 :: v_dual_sub_nc_u32 v26, 31, v33
	s_delay_alu instid0(VALU_DEP_1) | instskip(NEXT) | instid1(VALU_DEP_2)
	v_dual_lshlrev_b32 v36, 23, v33 :: v_dual_add_nc_u32 v6, v32, v6
	v_alignbit_b32 v34, v34, v12, v26
	s_delay_alu instid0(VALU_DEP_4) | instskip(SKIP_1) | instid1(VALU_DEP_2)
	v_alignbit_b32 v8, v12, v8, v26
	v_lshlrev_b32_e32 v12, 31, v35
	v_alignbit_b32 v26, v34, v8, 9
	s_delay_alu instid0(VALU_DEP_2) | instskip(SKIP_1) | instid1(VALU_DEP_3)
	v_dual_lshrrev_b32 v34, 9, v34 :: v_dual_bitop2_b32 v35, 0.5, v12 bitop3:0x54
	v_or_b32_e32 v12, 0x33000000, v12
	v_clz_i32_u32_e32 v37, v26
	s_delay_alu instid0(VALU_DEP_3) | instskip(NEXT) | instid1(VALU_DEP_2)
	v_sub_nc_u32_e32 v35, v35, v36
	v_min_u32_e32 v36, 32, v37
	s_delay_alu instid0(VALU_DEP_1) | instskip(NEXT) | instid1(VALU_DEP_1)
	v_add_lshl_u32 v33, v36, v33, 23
	v_dual_sub_nc_u32 v12, v12, v33 :: v_dual_bitop2_b32 v34, v34, v35 bitop3:0x54
	v_not_b32_e32 v35, v36
	s_delay_alu instid0(VALU_DEP_1) | instskip(NEXT) | instid1(VALU_DEP_1)
	v_alignbit_b32 v8, v26, v8, v35
	v_lshrrev_b32_e32 v8, 9, v8
	s_delay_alu instid0(VALU_DEP_1) | instskip(SKIP_1) | instid1(VALU_DEP_1)
	v_or_b32_e32 v8, v12, v8
	v_mul_f32_e32 v37, 0x3fc90fda, v34
	v_fma_f32 v26, 0x3fc90fda, v34, -v37
	s_delay_alu instid0(VALU_DEP_1) | instskip(NEXT) | instid1(VALU_DEP_1)
	v_fmac_f32_e32 v26, 0x33a22168, v34
	v_fmac_f32_e32 v26, 0x3fc90fda, v8
	s_delay_alu instid0(VALU_DEP_1)
	v_add_f32_e32 v26, v37, v26
.LBB94_288:                             ;   in Loop: Header=BB94_161 Depth=1
	s_and_not1_saveexec_b32 s4, s33
; %bb.289:                              ;   in Loop: Header=BB94_161 Depth=1
	v_mul_f32_e64 v6, 0x3f22f983, |v22|
	s_delay_alu instid0(VALU_DEP_1) | instskip(NEXT) | instid1(VALU_DEP_1)
	v_rndne_f32_e32 v6, v6
	v_fma_f32 v26, 0xbfc90fda, v6, |v22|
	s_delay_alu instid0(VALU_DEP_1) | instskip(NEXT) | instid1(VALU_DEP_1)
	v_fmac_f32_e32 v26, 0xb3a22168, v6
	v_fmac_f32_e32 v26, 0xa7c234c4, v6
	v_cvt_i32_f32_e32 v6, v6
; %bb.290:                              ;   in Loop: Header=BB94_161 Depth=1
	s_or_b32 exec_lo, exec_lo, s4
	v_add_f32_e64 v8, 0xbf317218, |v23|
	v_cmp_nlt_f32_e64 vcc_lo, 0x42b2d4fc, |v23|
	v_cmp_gt_f32_e64 s4, 0x39800000, |v23|
	v_and_b32_e32 v6, 1, v6
	s_delay_alu instid0(VALU_DEP_4) | instskip(NEXT) | instid1(VALU_DEP_1)
	v_sub_f32_e64 v33, v8, |v23|
	v_sub_f32_e32 v32, v33, v8
	s_delay_alu instid0(VALU_DEP_1) | instskip(NEXT) | instid1(VALU_DEP_1)
	v_pk_add_f32 v[32:33], v[10:11], v[32:33]
	v_sub_f32_e32 v10, v32, v33
	s_delay_alu instid0(VALU_DEP_1) | instskip(NEXT) | instid1(VALU_DEP_1)
	v_add_f32_e32 v10, 0x3102e308, v10
	v_add_f32_e32 v12, v8, v10
	s_delay_alu instid0(VALU_DEP_1) | instskip(SKIP_1) | instid1(VALU_DEP_2)
	v_mul_f32_e32 v32, 0x3fb8aa3b, v12
	v_sub_f32_e32 v8, v8, v12
	v_rndne_f32_e32 v40, v32
	s_delay_alu instid0(VALU_DEP_1) | instskip(NEXT) | instid1(VALU_DEP_3)
	v_fmac_f32_e32 v12, 0xbf317200, v40
	v_add_f32_e32 v8, v10, v8
	v_mul_f32_e32 v10, 0x35bfbc00, v40
	v_mul_f32_e32 v35, 0x2ea39ef3, v40
	s_delay_alu instid0(VALU_DEP_3) | instskip(NEXT) | instid1(VALU_DEP_1)
	v_add_f32_e32 v33, v8, v12
	v_dual_sub_f32 v32, v33, v10 :: v_dual_sub_f32 v12, v12, v33
	s_delay_alu instid0(VALU_DEP_1) | instskip(NEXT) | instid1(VALU_DEP_1)
	v_sub_f32_e32 v33, v33, v32
	v_dual_add_f32 v8, v8, v12 :: v_dual_sub_f32 v10, v33, v10
	s_delay_alu instid0(VALU_DEP_1) | instskip(NEXT) | instid1(VALU_DEP_1)
	v_add_f32_e32 v8, v8, v10
	v_add_f32_e32 v33, v32, v8
	s_delay_alu instid0(VALU_DEP_1) | instskip(NEXT) | instid1(VALU_DEP_1)
	v_mov_b32_e32 v34, v33
	v_pk_add_f32 v[36:37], v[32:33], v[34:35] neg_lo:[0,1] neg_hi:[0,1]
	s_delay_alu instid0(VALU_DEP_1) | instskip(NEXT) | instid1(VALU_DEP_1)
	v_dual_sub_f32 v10, v33, v37 :: v_dual_add_f32 v8, v8, v36
	v_sub_f32_e32 v10, v10, v35
	s_delay_alu instid0(VALU_DEP_1) | instskip(NEXT) | instid1(VALU_DEP_1)
	v_add_f32_e32 v8, v8, v10
	v_add_f32_e32 v10, v37, v8
	s_delay_alu instid0(VALU_DEP_1) | instskip(SKIP_1) | instid1(VALU_DEP_2)
	v_dual_sub_f32 v12, v37, v10 :: v_dual_mul_f32 v32, v10, v10
	v_mov_b64_e32 v[36:37], s[22:23]
	v_add_f32_e32 v8, v8, v12
	s_delay_alu instid0(VALU_DEP_1) | instskip(SKIP_2) | instid1(VALU_DEP_1)
	v_add_f32_e32 v34, v8, v8
	v_fmaak_f32 v12, s26, v10, 0x3c091de6
	v_fma_f32 v33, v10, v10, -v32
	v_dual_fmaak_f32 v12, v10, v12, 0x3d2aadcc :: v_dual_fmac_f32 v33, v10, v34
	s_delay_alu instid0(VALU_DEP_1) | instskip(NEXT) | instid1(VALU_DEP_2)
	v_fmaak_f32 v12, v10, v12, 0x3e2aaa47
	v_add_f32_e32 v34, v32, v33
	s_delay_alu instid0(VALU_DEP_2) | instskip(NEXT) | instid1(VALU_DEP_2)
	v_fmaak_f32 v12, v10, v12, 0x3efffffc
	v_sub_f32_e32 v32, v34, v32
	s_delay_alu instid0(VALU_DEP_1) | instskip(NEXT) | instid1(VALU_DEP_1)
	v_dual_sub_f32 v32, v33, v32 :: v_dual_mul_f32 v35, v12, v34
	v_fma_f32 v33, v34, v12, -v35
	s_delay_alu instid0(VALU_DEP_1) | instskip(NEXT) | instid1(VALU_DEP_1)
	v_fmac_f32_e32 v33, v32, v12
	v_add_f32_e32 v32, v35, v33
	s_delay_alu instid0(VALU_DEP_1) | instskip(NEXT) | instid1(VALU_DEP_1)
	v_dual_add_f32 v12, v10, v32 :: v_dual_sub_f32 v34, v32, v35
	v_sub_f32_e32 v10, v12, v10
	s_delay_alu instid0(VALU_DEP_1) | instskip(NEXT) | instid1(VALU_DEP_3)
	v_sub_f32_e32 v10, v32, v10
	v_sub_f32_e32 v33, v33, v34
	s_delay_alu instid0(VALU_DEP_1) | instskip(NEXT) | instid1(VALU_DEP_1)
	v_add_f32_e32 v8, v8, v33
	v_add_f32_e32 v32, v8, v10
	v_cvt_i32_f32_e32 v10, v40
	s_delay_alu instid0(VALU_DEP_2) | instskip(NEXT) | instid1(VALU_DEP_1)
	v_add_f32_e32 v34, v12, v32
	v_dual_add_f32 v35, 1.0, v34 :: v_dual_mov_b32 v33, v34
	s_delay_alu instid0(VALU_DEP_1) | instskip(SKIP_1) | instid1(VALU_DEP_2)
	v_pk_add_f32 v[36:37], v[34:35], v[36:37]
	v_pk_add_f32 v[38:39], v[34:35], v[12:13] neg_lo:[0,1] neg_hi:[0,1]
	v_mov_b32_e32 v39, v37
	s_delay_alu instid0(VALU_DEP_1) | instskip(NEXT) | instid1(VALU_DEP_1)
	v_pk_add_f32 v[32:33], v[32:33], v[38:39] neg_lo:[0,1] neg_hi:[0,1]
	v_add_f32_e32 v8, v32, v33
	s_delay_alu instid0(VALU_DEP_1) | instskip(NEXT) | instid1(VALU_DEP_1)
	v_add_f32_e32 v12, v35, v8
	v_ldexp_f32 v38, v12, v10
	v_sub_f32_e32 v12, v12, v35
	s_delay_alu instid0(VALU_DEP_2) | instskip(SKIP_1) | instid1(TRANS32_DEP_1)
	v_rcp_f32_e32 v39, v38
	v_nop
	v_dual_mul_f32 v32, v38, v39 :: v_dual_sub_f32 v8, v8, v12
	s_delay_alu instid0(VALU_DEP_1) | instskip(NEXT) | instid1(VALU_DEP_2)
	v_fma_f32 v34, v39, v38, -v32
	v_ldexp_f32 v10, v8, v10
	s_delay_alu instid0(VALU_DEP_1) | instskip(NEXT) | instid1(VALU_DEP_1)
	v_fmac_f32_e32 v34, v39, v10
	v_add_f32_e32 v8, v32, v34
	s_delay_alu instid0(VALU_DEP_1) | instskip(NEXT) | instid1(VALU_DEP_1)
	v_dual_sub_f32 v33, 1.0, v8 :: v_dual_mov_b32 v35, v8
	v_pk_add_f32 v[36:37], v[8:9], v[32:33] neg_lo:[0,1] neg_hi:[0,1]
	s_delay_alu instid0(VALU_DEP_1) | instskip(NEXT) | instid1(VALU_DEP_1)
	v_pk_add_f32 v[34:35], v[36:37], v[34:35] neg_lo:[0,1] neg_hi:[0,1]
	v_add_f32_e32 v8, v34, v35
	s_delay_alu instid0(VALU_DEP_1) | instskip(NEXT) | instid1(VALU_DEP_1)
	v_add_f32_e32 v35, v33, v8
	v_mul_f32_e32 v12, v39, v35
	s_delay_alu instid0(VALU_DEP_1) | instskip(NEXT) | instid1(VALU_DEP_1)
	v_mul_f32_e32 v36, v38, v12
	v_dual_fma_f32 v32, v12, v38, -v36 :: v_dual_sub_f32 v40, v33, v35
	s_delay_alu instid0(VALU_DEP_1) | instskip(NEXT) | instid1(VALU_DEP_2)
	v_fmac_f32_e32 v32, v12, v10
	v_add_f32_e32 v8, v8, v40
	s_delay_alu instid0(VALU_DEP_2) | instskip(NEXT) | instid1(VALU_DEP_1)
	v_add_f32_e32 v34, v36, v32
	v_dual_sub_f32 v37, v35, v34 :: v_dual_mov_b32 v33, v34
	s_delay_alu instid0(VALU_DEP_1) | instskip(NEXT) | instid1(VALU_DEP_1)
	v_pk_add_f32 v[34:35], v[34:35], v[36:37] neg_lo:[0,1] neg_hi:[0,1]
	v_pk_add_f32 v[32:33], v[34:35], v[32:33] neg_lo:[0,1] neg_hi:[0,1]
	s_delay_alu instid0(VALU_DEP_1) | instskip(NEXT) | instid1(VALU_DEP_1)
	v_dual_add_f32 v8, v8, v33 :: v_dual_add_f32 v33, v39, v12
	v_dual_add_f32 v8, v32, v8 :: v_dual_sub_f32 v32, v33, v39
	s_delay_alu instid0(VALU_DEP_1) | instskip(NEXT) | instid1(VALU_DEP_2)
	v_add_f32_e32 v8, v37, v8
	v_sub_f32_e32 v12, v12, v32
	s_delay_alu instid0(VALU_DEP_2) | instskip(NEXT) | instid1(VALU_DEP_1)
	v_mul_f32_e32 v8, v39, v8
	v_add_f32_e32 v8, v12, v8
	s_delay_alu instid0(VALU_DEP_1) | instskip(NEXT) | instid1(VALU_DEP_1)
	v_add_f32_e32 v12, v33, v8
	v_ldexp_f32 v32, v12, -2
	s_delay_alu instid0(VALU_DEP_1) | instskip(NEXT) | instid1(VALU_DEP_1)
	v_dual_sub_f32 v12, v12, v33 :: v_dual_sub_f32 v34, v38, v32
	v_dual_sub_f32 v8, v8, v12 :: v_dual_sub_f32 v33, v38, v34
	s_delay_alu instid0(VALU_DEP_1) | instskip(SKIP_1) | instid1(VALU_DEP_2)
	v_sub_f32_e32 v12, v33, v32
	v_xor_b32_e32 v32, 0x80000000, v23
	v_add_f32_e32 v10, v10, v12
	s_delay_alu instid0(VALU_DEP_4) | instskip(NEXT) | instid1(VALU_DEP_1)
	v_ldexp_f32 v8, v8, -2
	v_sub_f32_e32 v8, v10, v8
	v_mul_f32_e32 v10, v26, v26
	s_delay_alu instid0(VALU_DEP_2) | instskip(NEXT) | instid1(VALU_DEP_2)
	v_add_f32_e32 v8, v34, v8
	v_fmaak_f32 v12, s25, v10, 0xbf039337
	v_fmaak_f32 v33, s24, v10, 0x3ec54587
	s_delay_alu instid0(VALU_DEP_3) | instskip(NEXT) | instid1(VALU_DEP_3)
	v_cndmask_b32_e32 v8, 0x7f800000, v8, vcc_lo
	v_fmaak_f32 v12, v10, v12, 0x3f93f425
	s_delay_alu instid0(VALU_DEP_2) | instskip(NEXT) | instid1(VALU_DEP_2)
	v_cndmask_b32_e64 v8, v8, |v23|, s4
	v_rcp_f32_e32 v12, v12
	s_delay_alu instid0(VALU_DEP_1) | instskip(NEXT) | instid1(TRANS32_DEP_1)
	v_bfi_b32 v23, 0x7fffffff, v8, v32
	v_mul_f32_e32 v8, v33, v12
	s_delay_alu instid0(VALU_DEP_2) | instskip(NEXT) | instid1(VALU_DEP_2)
	v_fma_f32 v12, v23, v23, 1.0
	v_mul_f32_e32 v8, v10, v8
	s_delay_alu instid0(VALU_DEP_2) | instskip(SKIP_1) | instid1(VALU_DEP_3)
	v_mul_f32_e32 v10, 0x4f800000, v12
	v_cmp_gt_f32_e32 vcc_lo, 0xf800000, v12
	v_fma_f32 v32, v8, v26, v26
	s_delay_alu instid0(VALU_DEP_3) | instskip(NEXT) | instid1(VALU_DEP_2)
	v_cndmask_b32_e32 v10, v12, v10, vcc_lo
	v_sub_f32_e32 v33, v32, v26
	v_rcp_f32_e32 v12, v32
	s_delay_alu instid0(VALU_DEP_2) | instskip(NEXT) | instid1(VALU_DEP_1)
	v_sqrt_f32_e32 v34, v10
	v_fma_f32 v8, v8, v26, -v33
	s_delay_alu instid0(TRANS32_DEP_2) | instskip(NEXT) | instid1(TRANS32_DEP_1)
	v_fma_f32 v26, v32, -v12, 1.0
	v_add_nc_u32_e32 v33, -1, v34
	s_delay_alu instid0(VALU_DEP_1) | instskip(NEXT) | instid1(VALU_DEP_1)
	v_fma_f32 v35, -v33, v34, v10
	v_cmp_ge_f32_e64 s4, 0, v35
	s_delay_alu instid0(VALU_DEP_1) | instskip(SKIP_2) | instid1(VALU_DEP_2)
	v_dual_cndmask_b32 v33, v34, v33, s4 :: v_dual_fma_f32 v8, v8, -v12, v26
	v_add_nc_u32_e32 v26, 1, v34
	v_cmp_eq_u32_e64 s4, 0, v6
	v_dual_fma_f32 v8, v8, -v12, -v12 :: v_dual_fma_f32 v12, -v26, v34, v10
	s_delay_alu instid0(VALU_DEP_1) | instskip(NEXT) | instid1(VALU_DEP_2)
	v_cndmask_b32_e64 v6, v8, v32, s4
	v_cmp_lt_f32_e64 s4, 0, v12
	s_delay_alu instid0(VALU_DEP_1) | instskip(NEXT) | instid1(VALU_DEP_3)
	v_cndmask_b32_e64 v8, v33, v26, s4
	v_xor3_b32 v6, v27, v6, v22
	s_delay_alu instid0(VALU_DEP_2) | instskip(NEXT) | instid1(VALU_DEP_2)
	v_mul_f32_e32 v12, 0x37800000, v8
	v_fma_f32 v26, v6, v6, 1.0
	s_delay_alu instid0(VALU_DEP_2) | instskip(SKIP_1) | instid1(VALU_DEP_3)
	v_cndmask_b32_e32 v8, v8, v12, vcc_lo
	v_cmp_class_f32_e64 vcc_lo, v10, 0x260
	v_mul_f32_e32 v27, v23, v26
	s_delay_alu instid0(VALU_DEP_3) | instskip(NEXT) | instid1(VALU_DEP_1)
	v_cndmask_b32_e32 v22, v8, v10, vcc_lo
	v_pk_mul_f32 v[26:27], v[22:23], v[26:27]
	s_delay_alu instid0(VALU_DEP_1) | instskip(NEXT) | instid1(VALU_DEP_1)
	v_dual_add_f32 v10, 1.0, v27 :: v_dual_mul_f32 v8, v23, v26
	v_div_scale_f32 v22, null, v10, v10, v6
	s_delay_alu instid0(VALU_DEP_1) | instskip(SKIP_1) | instid1(TRANS32_DEP_1)
	v_rcp_f32_e32 v26, v22
	v_nop
	v_fma_f32 v32, -v22, v26, 1.0
	s_delay_alu instid0(VALU_DEP_1) | instskip(SKIP_2) | instid1(VALU_DEP_2)
	v_fmac_f32_e32 v26, v32, v26
	v_div_scale_f32 v12, null, v10, v10, v8
	v_div_scale_f32 v33, vcc_lo, v8, v10, v8
	v_rcp_f32_e32 v23, v12
	v_nop
	s_delay_alu instid0(TRANS32_DEP_1) | instskip(NEXT) | instid1(VALU_DEP_1)
	v_fma_f32 v27, -v12, v23, 1.0
	v_fmac_f32_e32 v23, v27, v23
	v_div_scale_f32 v27, s4, v6, v10, v6
	s_delay_alu instid0(VALU_DEP_1) | instskip(NEXT) | instid1(VALU_DEP_1)
	v_dual_mul_f32 v32, v33, v23 :: v_dual_mul_f32 v34, v27, v26
	v_dual_fma_f32 v35, -v12, v32, v33 :: v_dual_fma_f32 v36, -v22, v34, v27
	s_delay_alu instid0(VALU_DEP_1) | instskip(NEXT) | instid1(VALU_DEP_1)
	v_dual_fmac_f32 v32, v35, v23 :: v_dual_fmac_f32 v34, v36, v26
	v_dual_fma_f32 v12, -v12, v32, v33 :: v_dual_fma_f32 v22, -v22, v34, v27
                                        ; implicit-def: $vgpr27
	s_delay_alu instid0(VALU_DEP_1) | instskip(SKIP_1) | instid1(VALU_DEP_2)
	v_div_fmas_f32 v12, v12, v23, v32
	s_mov_b32 vcc_lo, s4
	v_div_fmas_f32 v22, v22, v26, v34
	s_delay_alu instid0(VALU_DEP_2) | instskip(NEXT) | instid1(VALU_DEP_2)
	v_div_fixup_f32 v8, v12, v10, v8
	v_div_fixup_f32 v26, v22, v10, v6
                                        ; implicit-def: $vgpr22
.LBB94_291:                             ;   in Loop: Header=BB94_161 Depth=1
	s_and_not1_saveexec_b32 s31, s31
	s_cbranch_execz .LBB94_312
; %bb.292:                              ;   in Loop: Header=BB94_161 Depth=1
	v_cmp_ngt_f32_e64 s33, 0x48000000, |v22|
                                        ; implicit-def: $vgpr10
                                        ; implicit-def: $vgpr8
	s_and_saveexec_b32 s4, s33
	s_delay_alu instid0(SALU_CYCLE_1)
	s_xor_b32 s34, exec_lo, s4
	s_cbranch_execz .LBB94_301
; %bb.293:                              ;   in Loop: Header=BB94_161 Depth=1
	v_and_or_b32 v6, v27, s22, 0x800000
	v_dual_mov_b32 v43, v7 :: v_dual_lshrrev_b32 v8, 23, v27
	v_mov_b32_e32 v45, v7
	s_delay_alu instid0(VALU_DEP_3) | instskip(NEXT) | instid1(VALU_DEP_3)
	v_mul_u64_e32 v[32:33], s[14:15], v[6:7]
	v_dual_mov_b32 v35, v7 :: v_dual_add_nc_u32 v8, 0xffffff88, v8
	s_delay_alu instid0(VALU_DEP_1) | instskip(SKIP_1) | instid1(VALU_DEP_1)
	v_cmp_lt_u32_e32 vcc_lo, 63, v8
	v_cndmask_b32_e64 v10, 0, 0xffffffc0, vcc_lo
	v_add_nc_u32_e32 v8, v10, v8
	s_delay_alu instid0(VALU_DEP_1) | instskip(NEXT) | instid1(VALU_DEP_1)
	v_cmp_lt_u32_e64 s4, 31, v8
	v_cndmask_b32_e64 v10, 0, 0xffffffe0, s4
	v_mov_b32_e32 v34, v33
	s_delay_alu instid0(VALU_DEP_1) | instskip(NEXT) | instid1(VALU_DEP_1)
	v_mad_nc_u64_u32 v[34:35], 0x3c439041, v6, v[34:35]
	v_dual_mov_b32 v37, v7 :: v_dual_mov_b32 v36, v35
	s_delay_alu instid0(VALU_DEP_1) | instskip(NEXT) | instid1(VALU_DEP_1)
	v_mad_nc_u64_u32 v[36:37], 0xdb629599, v6, v[36:37]
	v_dual_mov_b32 v39, v7 :: v_dual_mov_b32 v38, v37
	s_delay_alu instid0(VALU_DEP_2) | instskip(NEXT) | instid1(VALU_DEP_2)
	v_cndmask_b32_e32 v32, v36, v32, vcc_lo
	v_mad_nc_u64_u32 v[38:39], 0xf534ddc0, v6, v[38:39]
	s_delay_alu instid0(VALU_DEP_1) | instskip(NEXT) | instid1(VALU_DEP_1)
	v_dual_mov_b32 v41, v7 :: v_dual_mov_b32 v40, v39
	v_mad_nc_u64_u32 v[40:41], 0xfc2757d1, v6, v[40:41]
	s_delay_alu instid0(VALU_DEP_1) | instskip(NEXT) | instid1(VALU_DEP_1)
	v_dual_mov_b32 v42, v41 :: v_dual_cndmask_b32 v33, v40, v36
	v_mad_nc_u64_u32 v[42:43], 0x4e441529, v6, v[42:43]
	s_delay_alu instid0(VALU_DEP_1) | instskip(NEXT) | instid1(VALU_DEP_1)
	v_mov_b32_e32 v44, v43
	v_mad_nc_u64_u32 v[44:45], 0xa2f9836e, v6, v[44:45]
	v_add_nc_u32_e32 v6, v10, v8
	s_delay_alu instid0(VALU_DEP_4) | instskip(NEXT) | instid1(VALU_DEP_2)
	v_cndmask_b32_e32 v10, v42, v38, vcc_lo
	v_cmp_lt_u32_e64 s5, 31, v6
	s_delay_alu instid0(VALU_DEP_1) | instskip(SKIP_1) | instid1(VALU_DEP_2)
	v_cndmask_b32_e64 v8, 0, 0xffffffe0, s5
	v_dual_cndmask_b32 v12, v44, v40, vcc_lo :: v_dual_cndmask_b32 v26, v45, v42, vcc_lo
	v_add_nc_u32_e32 v6, v8, v6
	v_cndmask_b32_e32 v8, v38, v34, vcc_lo
	s_delay_alu instid0(VALU_DEP_3) | instskip(NEXT) | instid1(VALU_DEP_4)
	v_dual_cndmask_b32 v34, v12, v10, s4 :: v_dual_cndmask_b32 v10, v10, v33, s4
	v_cndmask_b32_e64 v12, v26, v12, s4
	s_delay_alu instid0(VALU_DEP_4) | instskip(NEXT) | instid1(VALU_DEP_2)
	v_cmp_eq_u32_e32 vcc_lo, 0, v6
	v_cndmask_b32_e64 v12, v12, v34, s5
	v_dual_sub_nc_u32 v26, 32, v6 :: v_dual_cndmask_b32 v33, v33, v8, s4
	v_dual_cndmask_b32 v34, v34, v10, s5 :: v_dual_cndmask_b32 v8, v8, v32, s4
	s_delay_alu instid0(VALU_DEP_1) | instskip(NEXT) | instid1(VALU_DEP_1)
	v_alignbit_b32 v35, v12, v34, v26
	v_dual_cndmask_b32 v10, v10, v33, s5 :: v_dual_cndmask_b32 v6, v35, v12, vcc_lo
	s_delay_alu instid0(VALU_DEP_1) | instskip(NEXT) | instid1(VALU_DEP_2)
	v_alignbit_b32 v36, v34, v10, v26
	v_bfe_u32 v32, v6, 29, 1
	s_delay_alu instid0(VALU_DEP_1) | instskip(SKIP_1) | instid1(VALU_DEP_2)
	v_dual_cndmask_b32 v12, v36, v34, vcc_lo :: v_dual_sub_nc_u32 v34, 0, v32
	v_cndmask_b32_e64 v8, v33, v8, s5
	v_alignbit_b32 v33, v6, v12, 30
	s_delay_alu instid0(VALU_DEP_2) | instskip(NEXT) | instid1(VALU_DEP_2)
	v_alignbit_b32 v26, v10, v8, v26
	v_xor_b32_e32 v33, v33, v34
	s_delay_alu instid0(VALU_DEP_2) | instskip(NEXT) | instid1(VALU_DEP_2)
	v_cndmask_b32_e32 v10, v26, v10, vcc_lo
	v_clz_i32_u32_e32 v26, v33
	s_delay_alu instid0(VALU_DEP_2) | instskip(NEXT) | instid1(VALU_DEP_2)
	v_alignbit_b32 v12, v12, v10, 30
	v_min_u32_e32 v26, 32, v26
	v_alignbit_b32 v8, v10, v8, 30
	s_delay_alu instid0(VALU_DEP_2) | instskip(NEXT) | instid1(VALU_DEP_4)
	v_lshlrev_b32_e32 v35, 23, v26
	v_xor_b32_e32 v10, v12, v34
	v_sub_nc_u32_e32 v12, 31, v26
	s_delay_alu instid0(VALU_DEP_4) | instskip(SKIP_1) | instid1(VALU_DEP_3)
	v_xor_b32_e32 v8, v8, v34
	v_dual_lshrrev_b32 v34, 29, v6 :: v_dual_lshrrev_b32 v6, 30, v6
	v_alignbit_b32 v33, v33, v10, v12
	s_delay_alu instid0(VALU_DEP_3) | instskip(NEXT) | instid1(VALU_DEP_3)
	v_alignbit_b32 v8, v10, v8, v12
	v_lshlrev_b32_e32 v10, 31, v34
	s_delay_alu instid0(VALU_DEP_2) | instskip(NEXT) | instid1(VALU_DEP_2)
	v_alignbit_b32 v12, v33, v8, 9
	v_dual_lshrrev_b32 v33, 9, v33 :: v_dual_bitop2_b32 v34, 0.5, v10 bitop3:0x54
	v_or_b32_e32 v10, 0x33000000, v10
	s_delay_alu instid0(VALU_DEP_3) | instskip(NEXT) | instid1(VALU_DEP_3)
	v_clz_i32_u32_e32 v36, v12
	v_sub_nc_u32_e32 v34, v34, v35
	s_delay_alu instid0(VALU_DEP_2) | instskip(NEXT) | instid1(VALU_DEP_2)
	v_min_u32_e32 v35, 32, v36
	v_or_b32_e32 v33, v33, v34
	s_delay_alu instid0(VALU_DEP_2) | instskip(NEXT) | instid1(VALU_DEP_2)
	v_not_b32_e32 v34, v35
	v_mul_f32_e32 v36, 0x3fc90fda, v33
	v_add_lshl_u32 v26, v35, v26, 23
	s_delay_alu instid0(VALU_DEP_3) | instskip(NEXT) | instid1(VALU_DEP_3)
	v_alignbit_b32 v8, v12, v8, v34
	v_fma_f32 v12, 0x3fc90fda, v33, -v36
	s_delay_alu instid0(VALU_DEP_2) | instskip(NEXT) | instid1(VALU_DEP_2)
	v_dual_sub_nc_u32 v10, v10, v26 :: v_dual_lshrrev_b32 v8, 9, v8
	v_fmac_f32_e32 v12, 0x33a22168, v33
	s_delay_alu instid0(VALU_DEP_2) | instskip(NEXT) | instid1(VALU_DEP_1)
	v_dual_add_nc_u32 v10, v32, v6 :: v_dual_bitop2_b32 v8, v10, v8 bitop3:0x54
	v_fmac_f32_e32 v12, 0x3fc90fda, v8
	s_delay_alu instid0(VALU_DEP_1)
	v_add_f32_e32 v8, v36, v12
	s_and_not1_saveexec_b32 s4, s34
	s_branch .LBB94_302
.LBB94_294:                             ;   in Loop: Header=BB94_161 Depth=1
	s_and_not1_saveexec_b32 s29, s29
	s_cbranch_execz .LBB94_316
.LBB94_295:                             ;   in Loop: Header=BB94_161 Depth=1
	v_xor_b32_e32 v8, 0x80000000, v23
	s_mov_b32 s4, exec_lo
                                        ; implicit-def: $vgpr26
	s_delay_alu instid0(VALU_DEP_1) | instskip(NEXT) | instid1(VALU_DEP_1)
	v_and_b32_e32 v6, 0x7fffff, v8
	v_cmpx_ne_u32_e32 0, v6
	s_xor_b32 s4, exec_lo, s4
; %bb.296:                              ;   in Loop: Header=BB94_161 Depth=1
	v_mul_f32_e64 v6, v22, -v23
	v_cmp_eq_f32_e32 vcc_lo, 0, v22
	s_delay_alu instid0(VALU_DEP_2)
	v_cndmask_b32_e32 v26, v6, v22, vcc_lo
                                        ; implicit-def: $vgpr22
; %bb.297:                              ;   in Loop: Header=BB94_161 Depth=1
	s_and_not1_saveexec_b32 s30, s4
	s_cbranch_execz .LBB94_324
; %bb.298:                              ;   in Loop: Header=BB94_161 Depth=1
	s_mov_b32 s31, exec_lo
	v_cmpx_neq_f32_e64 0x7f800000, |v22|
	s_cbranch_execz .LBB94_323
; %bb.299:                              ;   in Loop: Header=BB94_161 Depth=1
	v_and_b32_e32 v10, 0x7fffffff, v22
	v_cmp_ngt_f32_e64 s33, 0x48000000, |v22|
                                        ; implicit-def: $vgpr23
                                        ; implicit-def: $vgpr12
	s_and_saveexec_b32 s4, s33
	s_delay_alu instid0(SALU_CYCLE_1)
	s_xor_b32 s34, exec_lo, s4
	s_cbranch_execz .LBB94_305
; %bb.300:                              ;   in Loop: Header=BB94_161 Depth=1
	v_and_or_b32 v6, v10, s22, 0x800000
	v_dual_mov_b32 v41, v7 :: v_dual_lshrrev_b32 v12, 23, v10
	v_mov_b32_e32 v43, v7
	s_delay_alu instid0(VALU_DEP_3) | instskip(NEXT) | instid1(VALU_DEP_1)
	v_mul_u64_e32 v[26:27], s[14:15], v[6:7]
	v_dual_mov_b32 v33, v7 :: v_dual_mov_b32 v32, v27
	s_delay_alu instid0(VALU_DEP_1) | instskip(NEXT) | instid1(VALU_DEP_1)
	v_mad_nc_u64_u32 v[32:33], 0x3c439041, v6, v[32:33]
	v_dual_mov_b32 v35, v7 :: v_dual_mov_b32 v34, v33
	s_delay_alu instid0(VALU_DEP_1) | instskip(NEXT) | instid1(VALU_DEP_1)
	v_mad_nc_u64_u32 v[34:35], 0xdb629599, v6, v[34:35]
	;; [unrolled: 3-line block ×4, first 2 shown]
	v_mov_b32_e32 v40, v39
	s_delay_alu instid0(VALU_DEP_1) | instskip(NEXT) | instid1(VALU_DEP_1)
	v_mad_nc_u64_u32 v[40:41], 0x4e441529, v6, v[40:41]
	v_mov_b32_e32 v42, v41
	s_delay_alu instid0(VALU_DEP_1) | instskip(SKIP_1) | instid1(VALU_DEP_1)
	v_mad_nc_u64_u32 v[42:43], 0xa2f9836e, v6, v[42:43]
	v_add_nc_u32_e32 v12, 0xffffff88, v12
	v_cmp_lt_u32_e32 vcc_lo, 63, v12
	v_cndmask_b32_e64 v23, 0, 0xffffffc0, vcc_lo
	s_delay_alu instid0(VALU_DEP_4) | instskip(SKIP_1) | instid1(VALU_DEP_3)
	v_cndmask_b32_e32 v27, v42, v38, vcc_lo
	v_cndmask_b32_e32 v35, v38, v34, vcc_lo
	v_dual_cndmask_b32 v26, v34, v26, vcc_lo :: v_dual_add_nc_u32 v12, v23, v12
	s_delay_alu instid0(VALU_DEP_1) | instskip(NEXT) | instid1(VALU_DEP_1)
	v_cmp_lt_u32_e64 s4, 31, v12
	v_cndmask_b32_e64 v23, 0, 0xffffffe0, s4
	s_delay_alu instid0(VALU_DEP_1) | instskip(NEXT) | instid1(VALU_DEP_1)
	v_add_nc_u32_e32 v6, v23, v12
	v_cmp_lt_u32_e64 s5, 31, v6
	s_delay_alu instid0(VALU_DEP_1) | instskip(NEXT) | instid1(VALU_DEP_1)
	v_cndmask_b32_e64 v12, 0, 0xffffffe0, s5
	v_dual_cndmask_b32 v33, v43, v40 :: v_dual_add_nc_u32 v6, v12, v6
	v_cndmask_b32_e32 v23, v40, v36, vcc_lo
	v_cndmask_b32_e32 v12, v36, v32, vcc_lo
	s_delay_alu instid0(VALU_DEP_3) | instskip(NEXT) | instid1(VALU_DEP_3)
	v_cmp_eq_u32_e32 vcc_lo, 0, v6
	v_cndmask_b32_e64 v32, v27, v23, s4
	v_cndmask_b32_e64 v27, v33, v27, s4
	v_dual_cndmask_b32 v23, v23, v35, s4 :: v_dual_sub_nc_u32 v33, 32, v6
	v_dual_cndmask_b32 v35, v35, v12, s4 :: v_dual_cndmask_b32 v12, v12, v26, s4
	s_delay_alu instid0(VALU_DEP_2) | instskip(NEXT) | instid1(VALU_DEP_2)
	v_dual_cndmask_b32 v27, v27, v32, s5 :: v_dual_cndmask_b32 v32, v32, v23, s5
	v_cndmask_b32_e64 v23, v23, v35, s5
	s_delay_alu instid0(VALU_DEP_2) | instskip(NEXT) | instid1(VALU_DEP_2)
	v_alignbit_b32 v36, v27, v32, v33
	v_alignbit_b32 v34, v32, v23, v33
	s_delay_alu instid0(VALU_DEP_1) | instskip(NEXT) | instid1(VALU_DEP_1)
	v_dual_cndmask_b32 v6, v36, v27, vcc_lo :: v_dual_cndmask_b32 v26, v34, v32, vcc_lo
	v_bfe_u32 v27, v6, 29, 1
	v_cndmask_b32_e64 v12, v35, v12, s5
	s_delay_alu instid0(VALU_DEP_3) | instskip(NEXT) | instid1(VALU_DEP_3)
	v_alignbit_b32 v32, v6, v26, 30
	v_sub_nc_u32_e32 v34, 0, v27
	s_delay_alu instid0(VALU_DEP_3) | instskip(NEXT) | instid1(VALU_DEP_1)
	v_alignbit_b32 v33, v23, v12, v33
	v_dual_cndmask_b32 v23, v33, v23, vcc_lo :: v_dual_bitop2_b32 v32, v32, v34 bitop3:0x14
	s_delay_alu instid0(VALU_DEP_1) | instskip(NEXT) | instid1(VALU_DEP_2)
	v_clz_i32_u32_e32 v33, v32
	v_alignbit_b32 v26, v26, v23, 30
	v_alignbit_b32 v12, v23, v12, 30
	s_delay_alu instid0(VALU_DEP_3) | instskip(NEXT) | instid1(VALU_DEP_3)
	v_min_u32_e32 v33, 32, v33
	v_xor_b32_e32 v23, v26, v34
	s_delay_alu instid0(VALU_DEP_3) | instskip(SKIP_1) | instid1(VALU_DEP_4)
	v_xor_b32_e32 v12, v12, v34
	v_dual_lshrrev_b32 v34, 29, v6 :: v_dual_lshrrev_b32 v6, 30, v6
	v_dual_sub_nc_u32 v26, 31, v33 :: v_dual_lshlrev_b32 v35, 23, v33
	s_delay_alu instid0(VALU_DEP_1) | instskip(NEXT) | instid1(VALU_DEP_4)
	v_alignbit_b32 v32, v32, v23, v26
	v_alignbit_b32 v12, v23, v12, v26
	s_delay_alu instid0(VALU_DEP_4) | instskip(NEXT) | instid1(VALU_DEP_2)
	v_lshlrev_b32_e32 v23, 31, v34
	v_alignbit_b32 v26, v32, v12, 9
	s_delay_alu instid0(VALU_DEP_2) | instskip(SKIP_1) | instid1(VALU_DEP_3)
	v_dual_lshrrev_b32 v32, 9, v32 :: v_dual_bitop2_b32 v34, 0.5, v23 bitop3:0x54
	v_or_b32_e32 v23, 0x33000000, v23
	v_clz_i32_u32_e32 v36, v26
	s_delay_alu instid0(VALU_DEP_3) | instskip(NEXT) | instid1(VALU_DEP_2)
	v_sub_nc_u32_e32 v34, v34, v35
	v_min_u32_e32 v35, 32, v36
	s_delay_alu instid0(VALU_DEP_1) | instskip(NEXT) | instid1(VALU_DEP_1)
	v_add_lshl_u32 v33, v35, v33, 23
	v_dual_sub_nc_u32 v23, v23, v33 :: v_dual_bitop2_b32 v32, v32, v34 bitop3:0x54
	v_not_b32_e32 v34, v35
	s_delay_alu instid0(VALU_DEP_1) | instskip(NEXT) | instid1(VALU_DEP_1)
	v_alignbit_b32 v12, v26, v12, v34
	v_lshrrev_b32_e32 v12, 9, v12
	s_delay_alu instid0(VALU_DEP_4) | instskip(NEXT) | instid1(VALU_DEP_2)
	v_mul_f32_e32 v36, 0x3fc90fda, v32
	v_or_b32_e32 v12, v23, v12
	v_add_nc_u32_e32 v23, v27, v6
	s_delay_alu instid0(VALU_DEP_3) | instskip(NEXT) | instid1(VALU_DEP_1)
	v_fma_f32 v26, 0x3fc90fda, v32, -v36
	v_fmac_f32_e32 v26, 0x33a22168, v32
	s_delay_alu instid0(VALU_DEP_1) | instskip(NEXT) | instid1(VALU_DEP_1)
	v_fmac_f32_e32 v26, 0x3fc90fda, v12
	v_add_f32_e32 v12, v36, v26
	s_and_not1_saveexec_b32 s4, s34
	s_branch .LBB94_306
.LBB94_301:                             ;   in Loop: Header=BB94_161 Depth=1
	s_and_not1_saveexec_b32 s4, s34
.LBB94_302:                             ;   in Loop: Header=BB94_161 Depth=1
	v_mul_f32_e64 v6, 0x3f22f983, |v22|
	s_delay_alu instid0(VALU_DEP_1) | instskip(NEXT) | instid1(VALU_DEP_1)
	v_rndne_f32_e32 v6, v6
	v_fma_f32 v8, 0xbfc90fda, v6, |v22|
	v_cvt_i32_f32_e32 v10, v6
	s_delay_alu instid0(VALU_DEP_2) | instskip(NEXT) | instid1(VALU_DEP_1)
	v_fmac_f32_e32 v8, 0xb3a22168, v6
	v_fmac_f32_e32 v8, 0xa7c234c4, v6
; %bb.303:                              ;   in Loop: Header=BB94_161 Depth=1
	s_or_b32 exec_lo, exec_lo, s4
                                        ; implicit-def: $vgpr12
                                        ; implicit-def: $vgpr6
	s_and_saveexec_b32 s4, s33
	s_delay_alu instid0(SALU_CYCLE_1)
	s_xor_b32 s33, exec_lo, s4
	s_cbranch_execz .LBB94_309
; %bb.304:                              ;   in Loop: Header=BB94_161 Depth=1
	v_and_or_b32 v6, v27, s22, 0x800000
	v_dual_mov_b32 v43, v7 :: v_dual_lshrrev_b32 v12, 23, v27
	v_mov_b32_e32 v45, v7
	s_delay_alu instid0(VALU_DEP_3) | instskip(NEXT) | instid1(VALU_DEP_3)
	v_mul_u64_e32 v[32:33], s[14:15], v[6:7]
	v_dual_mov_b32 v35, v7 :: v_dual_add_nc_u32 v12, 0xffffff88, v12
	s_delay_alu instid0(VALU_DEP_1) | instskip(SKIP_1) | instid1(VALU_DEP_1)
	v_cmp_lt_u32_e32 vcc_lo, 63, v12
	v_cndmask_b32_e64 v26, 0, 0xffffffc0, vcc_lo
	v_add_nc_u32_e32 v12, v26, v12
	s_delay_alu instid0(VALU_DEP_1) | instskip(NEXT) | instid1(VALU_DEP_1)
	v_cmp_lt_u32_e64 s4, 31, v12
	v_cndmask_b32_e64 v26, 0, 0xffffffe0, s4
	v_mov_b32_e32 v34, v33
	s_delay_alu instid0(VALU_DEP_1) | instskip(NEXT) | instid1(VALU_DEP_1)
	v_mad_nc_u64_u32 v[34:35], 0x3c439041, v6, v[34:35]
	v_dual_mov_b32 v37, v7 :: v_dual_mov_b32 v36, v35
	s_delay_alu instid0(VALU_DEP_1) | instskip(NEXT) | instid1(VALU_DEP_1)
	v_mad_nc_u64_u32 v[36:37], 0xdb629599, v6, v[36:37]
	v_dual_mov_b32 v39, v7 :: v_dual_mov_b32 v38, v37
	s_delay_alu instid0(VALU_DEP_2) | instskip(NEXT) | instid1(VALU_DEP_2)
	v_cndmask_b32_e32 v32, v36, v32, vcc_lo
	v_mad_nc_u64_u32 v[38:39], 0xf534ddc0, v6, v[38:39]
	s_delay_alu instid0(VALU_DEP_1) | instskip(NEXT) | instid1(VALU_DEP_1)
	v_dual_mov_b32 v41, v7 :: v_dual_mov_b32 v40, v39
	v_mad_nc_u64_u32 v[40:41], 0xfc2757d1, v6, v[40:41]
	s_delay_alu instid0(VALU_DEP_1) | instskip(NEXT) | instid1(VALU_DEP_1)
	v_dual_mov_b32 v42, v41 :: v_dual_cndmask_b32 v37, v40, v36
	v_mad_nc_u64_u32 v[42:43], 0x4e441529, v6, v[42:43]
	s_delay_alu instid0(VALU_DEP_1) | instskip(NEXT) | instid1(VALU_DEP_1)
	v_mov_b32_e32 v44, v43
	v_mad_nc_u64_u32 v[44:45], 0xa2f9836e, v6, v[44:45]
	v_add_nc_u32_e32 v6, v26, v12
	s_delay_alu instid0(VALU_DEP_4) | instskip(NEXT) | instid1(VALU_DEP_2)
	v_cndmask_b32_e32 v26, v42, v38, vcc_lo
	v_cmp_lt_u32_e64 s5, 31, v6
	s_delay_alu instid0(VALU_DEP_1) | instskip(SKIP_1) | instid1(VALU_DEP_2)
	v_cndmask_b32_e64 v12, 0, 0xffffffe0, s5
	v_dual_cndmask_b32 v33, v44, v40, vcc_lo :: v_dual_cndmask_b32 v35, v45, v42, vcc_lo
	v_add_nc_u32_e32 v6, v12, v6
	v_cndmask_b32_e32 v12, v38, v34, vcc_lo
	s_delay_alu instid0(VALU_DEP_3) | instskip(NEXT) | instid1(VALU_DEP_4)
	v_dual_cndmask_b32 v34, v33, v26, s4 :: v_dual_cndmask_b32 v26, v26, v37, s4
	v_cndmask_b32_e64 v33, v35, v33, s4
	s_delay_alu instid0(VALU_DEP_4) | instskip(NEXT) | instid1(VALU_DEP_2)
	v_cmp_eq_u32_e32 vcc_lo, 0, v6
	v_cndmask_b32_e64 v33, v33, v34, s5
	v_dual_sub_nc_u32 v35, 32, v6 :: v_dual_cndmask_b32 v37, v37, v12, s4
	v_dual_cndmask_b32 v34, v34, v26, s5 :: v_dual_cndmask_b32 v12, v12, v32, s4
	s_delay_alu instid0(VALU_DEP_2) | instskip(NEXT) | instid1(VALU_DEP_2)
	v_cndmask_b32_e64 v26, v26, v37, s5
	v_alignbit_b32 v38, v33, v34, v35
	s_delay_alu instid0(VALU_DEP_2) | instskip(NEXT) | instid1(VALU_DEP_1)
	v_alignbit_b32 v36, v34, v26, v35
	v_dual_cndmask_b32 v6, v38, v33, vcc_lo :: v_dual_cndmask_b32 v32, v36, v34, vcc_lo
	s_delay_alu instid0(VALU_DEP_1) | instskip(SKIP_1) | instid1(VALU_DEP_3)
	v_bfe_u32 v33, v6, 29, 1
	v_cndmask_b32_e64 v12, v37, v12, s5
	v_alignbit_b32 v34, v6, v32, 30
	s_delay_alu instid0(VALU_DEP_3) | instskip(NEXT) | instid1(VALU_DEP_3)
	v_sub_nc_u32_e32 v36, 0, v33
	v_alignbit_b32 v35, v26, v12, v35
	s_delay_alu instid0(VALU_DEP_1) | instskip(NEXT) | instid1(VALU_DEP_1)
	v_dual_cndmask_b32 v26, v35, v26, vcc_lo :: v_dual_bitop2_b32 v34, v34, v36 bitop3:0x14
	v_clz_i32_u32_e32 v35, v34
	s_delay_alu instid0(VALU_DEP_2) | instskip(SKIP_1) | instid1(VALU_DEP_3)
	v_alignbit_b32 v32, v32, v26, 30
	v_alignbit_b32 v12, v26, v12, 30
	v_min_u32_e32 v35, 32, v35
	s_delay_alu instid0(VALU_DEP_3) | instskip(NEXT) | instid1(VALU_DEP_3)
	v_xor_b32_e32 v26, v32, v36
	v_dual_lshrrev_b32 v36, 29, v6 :: v_dual_bitop2_b32 v12, v12, v36 bitop3:0x14
	s_delay_alu instid0(VALU_DEP_3) | instskip(NEXT) | instid1(VALU_DEP_1)
	v_dual_sub_nc_u32 v32, 31, v35 :: v_dual_lshlrev_b32 v37, 23, v35
	v_alignbit_b32 v34, v34, v26, v32
	s_delay_alu instid0(VALU_DEP_3) | instskip(NEXT) | instid1(VALU_DEP_4)
	v_alignbit_b32 v12, v26, v12, v32
	v_lshlrev_b32_e32 v26, 31, v36
	s_delay_alu instid0(VALU_DEP_2) | instskip(NEXT) | instid1(VALU_DEP_2)
	v_alignbit_b32 v32, v34, v12, 9
	v_or_b32_e32 v36, 0.5, v26
	v_lshrrev_b32_e32 v34, 9, v34
	v_or_b32_e32 v26, 0x33000000, v26
	s_delay_alu instid0(VALU_DEP_4) | instskip(NEXT) | instid1(VALU_DEP_4)
	v_clz_i32_u32_e32 v38, v32
	v_sub_nc_u32_e32 v36, v36, v37
	s_delay_alu instid0(VALU_DEP_2) | instskip(NEXT) | instid1(VALU_DEP_2)
	v_min_u32_e32 v37, 32, v38
	v_or_b32_e32 v34, v34, v36
	s_delay_alu instid0(VALU_DEP_2) | instskip(NEXT) | instid1(VALU_DEP_2)
	v_not_b32_e32 v36, v37
	v_mul_f32_e32 v38, 0x3fc90fda, v34
	v_add_lshl_u32 v35, v37, v35, 23
	s_delay_alu instid0(VALU_DEP_3) | instskip(NEXT) | instid1(VALU_DEP_3)
	v_alignbit_b32 v12, v32, v12, v36
	v_fma_f32 v32, 0x3fc90fda, v34, -v38
	s_delay_alu instid0(VALU_DEP_2) | instskip(NEXT) | instid1(VALU_DEP_2)
	v_dual_sub_nc_u32 v26, v26, v35 :: v_dual_lshrrev_b32 v12, 9, v12
	v_fmac_f32_e32 v32, 0x33a22168, v34
	s_delay_alu instid0(VALU_DEP_2) | instskip(NEXT) | instid1(VALU_DEP_1)
	v_or_b32_e32 v12, v26, v12
	v_fmac_f32_e32 v32, 0x3fc90fda, v12
	s_delay_alu instid0(VALU_DEP_1) | instskip(NEXT) | instid1(VALU_DEP_1)
	v_dual_lshrrev_b32 v12, 30, v6 :: v_dual_add_f32 v6, v38, v32
	v_add_nc_u32_e32 v12, v33, v12
	s_and_not1_saveexec_b32 s4, s33
	s_cbranch_execnz .LBB94_310
	s_branch .LBB94_311
.LBB94_305:                             ;   in Loop: Header=BB94_161 Depth=1
	s_and_not1_saveexec_b32 s4, s34
.LBB94_306:                             ;   in Loop: Header=BB94_161 Depth=1
	v_mul_f32_e64 v6, 0x3f22f983, |v22|
	s_delay_alu instid0(VALU_DEP_1) | instskip(NEXT) | instid1(VALU_DEP_1)
	v_rndne_f32_e32 v6, v6
	v_fma_f32 v12, 0xbfc90fda, v6, |v22|
	v_cvt_i32_f32_e32 v23, v6
	s_delay_alu instid0(VALU_DEP_2) | instskip(NEXT) | instid1(VALU_DEP_1)
	v_fmac_f32_e32 v12, 0xb3a22168, v6
	v_fmac_f32_e32 v12, 0xa7c234c4, v6
; %bb.307:                              ;   in Loop: Header=BB94_161 Depth=1
	s_or_b32 exec_lo, exec_lo, s4
                                        ; implicit-def: $vgpr26
                                        ; implicit-def: $vgpr6
	s_and_saveexec_b32 s4, s33
	s_delay_alu instid0(SALU_CYCLE_1)
	s_xor_b32 s33, exec_lo, s4
	s_cbranch_execz .LBB94_320
; %bb.308:                              ;   in Loop: Header=BB94_161 Depth=1
	v_and_or_b32 v6, v10, s22, 0x800000
	v_dual_mov_b32 v41, v7 :: v_dual_mov_b32 v43, v7
	s_delay_alu instid0(VALU_DEP_2) | instskip(NEXT) | instid1(VALU_DEP_1)
	v_mul_u64_e32 v[26:27], s[14:15], v[6:7]
	v_dual_mov_b32 v33, v7 :: v_dual_mov_b32 v32, v27
	v_lshrrev_b32_e32 v27, 23, v10
	s_delay_alu instid0(VALU_DEP_2) | instskip(SKIP_1) | instid1(VALU_DEP_3)
	v_mad_nc_u64_u32 v[32:33], 0x3c439041, v6, v[32:33]
	v_mov_b32_e32 v35, v7
	v_add_nc_u32_e32 v27, 0xffffff88, v27
	s_delay_alu instid0(VALU_DEP_1) | instskip(NEXT) | instid1(VALU_DEP_4)
	v_cmp_lt_u32_e32 vcc_lo, 63, v27
	v_mov_b32_e32 v34, v33
	v_cndmask_b32_e64 v33, 0, 0xffffffc0, vcc_lo
	s_delay_alu instid0(VALU_DEP_2) | instskip(NEXT) | instid1(VALU_DEP_2)
	v_mad_nc_u64_u32 v[34:35], 0xdb629599, v6, v[34:35]
	v_dual_mov_b32 v37, v7 :: v_dual_add_nc_u32 v27, v33, v27
	s_delay_alu instid0(VALU_DEP_1) | instskip(NEXT) | instid1(VALU_DEP_3)
	v_cmp_lt_u32_e64 s4, 31, v27
	v_mov_b32_e32 v36, v35
	s_delay_alu instid0(VALU_DEP_2) | instskip(SKIP_1) | instid1(VALU_DEP_3)
	v_cndmask_b32_e64 v33, 0, 0xffffffe0, s4
	v_cndmask_b32_e32 v26, v34, v26, vcc_lo
	v_mad_nc_u64_u32 v[36:37], 0xf534ddc0, v6, v[36:37]
	s_delay_alu instid0(VALU_DEP_1) | instskip(NEXT) | instid1(VALU_DEP_1)
	v_dual_mov_b32 v39, v7 :: v_dual_mov_b32 v38, v37
	v_mad_nc_u64_u32 v[38:39], 0xfc2757d1, v6, v[38:39]
	s_delay_alu instid0(VALU_DEP_1) | instskip(NEXT) | instid1(VALU_DEP_1)
	v_mov_b32_e32 v40, v39
	v_mad_nc_u64_u32 v[40:41], 0x4e441529, v6, v[40:41]
	s_delay_alu instid0(VALU_DEP_1) | instskip(NEXT) | instid1(VALU_DEP_1)
	v_mov_b32_e32 v42, v41
	v_mad_nc_u64_u32 v[42:43], 0xa2f9836e, v6, v[42:43]
	s_delay_alu instid0(VALU_DEP_3) | instskip(NEXT) | instid1(VALU_DEP_2)
	v_dual_cndmask_b32 v33, v40, v36 :: v_dual_add_nc_u32 v6, v33, v27
	v_cndmask_b32_e32 v35, v42, v38, vcc_lo
	s_delay_alu instid0(VALU_DEP_2) | instskip(NEXT) | instid1(VALU_DEP_4)
	v_cmp_lt_u32_e64 s5, 31, v6
	v_dual_cndmask_b32 v37, v43, v40 :: v_dual_cndmask_b32 v38, v38, v34
	s_delay_alu instid0(VALU_DEP_2) | instskip(NEXT) | instid1(VALU_DEP_1)
	v_cndmask_b32_e64 v27, 0, 0xffffffe0, s5
	v_dual_cndmask_b32 v27, v36, v32 :: v_dual_add_nc_u32 v6, v27, v6
	s_delay_alu instid0(VALU_DEP_3) | instskip(NEXT) | instid1(VALU_DEP_4)
	v_dual_cndmask_b32 v32, v35, v33, s4 :: v_dual_cndmask_b32 v35, v37, v35, s4
	v_cndmask_b32_e64 v33, v33, v38, s4
	s_delay_alu instid0(VALU_DEP_3) | instskip(SKIP_1) | instid1(VALU_DEP_3)
	v_dual_sub_nc_u32 v36, 32, v6 :: v_dual_cndmask_b32 v37, v38, v27, s4
	v_cmp_eq_u32_e32 vcc_lo, 0, v6
	v_dual_cndmask_b32 v35, v35, v32, s5 :: v_dual_cndmask_b32 v32, v32, v33, s5
	s_delay_alu instid0(VALU_DEP_1) | instskip(NEXT) | instid1(VALU_DEP_1)
	v_alignbit_b32 v38, v35, v32, v36
	v_dual_cndmask_b32 v33, v33, v37, s5 :: v_dual_cndmask_b32 v6, v38, v35, vcc_lo
	s_delay_alu instid0(VALU_DEP_1) | instskip(NEXT) | instid1(VALU_DEP_1)
	v_alignbit_b32 v34, v32, v33, v36
	v_dual_cndmask_b32 v26, v27, v26, s4 :: v_dual_cndmask_b32 v27, v34, v32, vcc_lo
	s_delay_alu instid0(VALU_DEP_3) | instskip(NEXT) | instid1(VALU_DEP_2)
	v_bfe_u32 v32, v6, 29, 1
	v_cndmask_b32_e64 v26, v37, v26, s5
	s_delay_alu instid0(VALU_DEP_3) | instskip(NEXT) | instid1(VALU_DEP_3)
	v_alignbit_b32 v34, v6, v27, 30
	v_sub_nc_u32_e32 v35, 0, v32
	s_delay_alu instid0(VALU_DEP_3) | instskip(NEXT) | instid1(VALU_DEP_1)
	v_alignbit_b32 v36, v33, v26, v36
	v_dual_cndmask_b32 v33, v36, v33, vcc_lo :: v_dual_bitop2_b32 v34, v34, v35 bitop3:0x14
	s_delay_alu instid0(VALU_DEP_1) | instskip(NEXT) | instid1(VALU_DEP_2)
	v_clz_i32_u32_e32 v36, v34
	v_alignbit_b32 v27, v27, v33, 30
	v_alignbit_b32 v26, v33, v26, 30
	s_delay_alu instid0(VALU_DEP_3) | instskip(NEXT) | instid1(VALU_DEP_3)
	v_min_u32_e32 v36, 32, v36
	v_xor_b32_e32 v27, v27, v35
	s_delay_alu instid0(VALU_DEP_3) | instskip(NEXT) | instid1(VALU_DEP_3)
	v_dual_lshrrev_b32 v35, 29, v6 :: v_dual_bitop2_b32 v26, v26, v35 bitop3:0x14
	v_dual_sub_nc_u32 v33, 31, v36 :: v_dual_lshlrev_b32 v37, 23, v36
	s_delay_alu instid0(VALU_DEP_1) | instskip(NEXT) | instid1(VALU_DEP_3)
	v_alignbit_b32 v34, v34, v27, v33
	v_alignbit_b32 v26, v27, v26, v33
	s_delay_alu instid0(VALU_DEP_4) | instskip(NEXT) | instid1(VALU_DEP_2)
	v_lshlrev_b32_e32 v27, 31, v35
	v_alignbit_b32 v33, v34, v26, 9
	s_delay_alu instid0(VALU_DEP_2) | instskip(SKIP_1) | instid1(VALU_DEP_3)
	v_dual_lshrrev_b32 v34, 9, v34 :: v_dual_bitop2_b32 v35, 0.5, v27 bitop3:0x54
	v_or_b32_e32 v27, 0x33000000, v27
	v_clz_i32_u32_e32 v38, v33
	s_delay_alu instid0(VALU_DEP_3) | instskip(NEXT) | instid1(VALU_DEP_2)
	v_sub_nc_u32_e32 v35, v35, v37
	v_min_u32_e32 v37, 32, v38
	s_delay_alu instid0(VALU_DEP_1) | instskip(NEXT) | instid1(VALU_DEP_3)
	v_add_lshl_u32 v36, v37, v36, 23
	v_or_b32_e32 v34, v34, v35
	v_not_b32_e32 v35, v37
	s_delay_alu instid0(VALU_DEP_2) | instskip(NEXT) | instid1(VALU_DEP_2)
	v_dual_mul_f32 v38, 0x3fc90fda, v34 :: v_dual_sub_nc_u32 v27, v27, v36
	v_alignbit_b32 v26, v33, v26, v35
	s_delay_alu instid0(VALU_DEP_2) | instskip(NEXT) | instid1(VALU_DEP_2)
	v_fma_f32 v33, 0x3fc90fda, v34, -v38
	v_lshrrev_b32_e32 v26, 9, v26
	s_delay_alu instid0(VALU_DEP_2) | instskip(NEXT) | instid1(VALU_DEP_2)
	v_fmac_f32_e32 v33, 0x33a22168, v34
	v_or_b32_e32 v26, v27, v26
	s_delay_alu instid0(VALU_DEP_1) | instskip(SKIP_1) | instid1(VALU_DEP_1)
	v_fmac_f32_e32 v33, 0x3fc90fda, v26
	v_lshrrev_b32_e32 v26, 30, v6
	v_dual_add_nc_u32 v26, v32, v26 :: v_dual_add_f32 v6, v38, v33
	s_and_not1_saveexec_b32 s4, s33
	s_cbranch_execnz .LBB94_321
	s_branch .LBB94_322
.LBB94_309:                             ;   in Loop: Header=BB94_161 Depth=1
	s_and_not1_saveexec_b32 s4, s33
.LBB94_310:                             ;   in Loop: Header=BB94_161 Depth=1
	v_mul_f32_e64 v6, 0x3f22f983, |v22|
	s_delay_alu instid0(VALU_DEP_1) | instskip(NEXT) | instid1(VALU_DEP_1)
	v_rndne_f32_e32 v12, v6
	v_fma_f32 v6, 0xbfc90fda, v12, |v22|
	s_delay_alu instid0(VALU_DEP_1) | instskip(NEXT) | instid1(VALU_DEP_1)
	v_fmac_f32_e32 v6, 0xb3a22168, v12
	v_fmac_f32_e32 v6, 0xa7c234c4, v12
	v_cvt_i32_f32_e32 v12, v12
.LBB94_311:                             ;   in Loop: Header=BB94_161 Depth=1
	s_or_b32 exec_lo, exec_lo, s4
	v_dual_mul_f32 v26, v8, v8 :: v_dual_bitop2_b32 v32, 1, v10 bitop3:0x40
	v_mul_f32_e64 v33, 0xbfb8aa3b, |v23|
	s_delay_alu instid0(VALU_DEP_2) | instskip(SKIP_1) | instid1(VALU_DEP_3)
	v_fmaak_f32 v35, s28, v26, 0xbab64f3b
	v_lshlrev_b32_e32 v10, 30, v10
	v_fma_f32 v37, 0xbfb8aa3b, |v23|, -v33
	v_cmp_eq_u32_e32 vcc_lo, 0, v32
	s_delay_alu instid0(VALU_DEP_4) | instskip(NEXT) | instid1(VALU_DEP_4)
	v_fmaak_f32 v35, v26, v35, 0x3d2aabf7
	v_bitop3_b32 v10, v27, v10, 0x80000000 bitop3:0x78
	v_rndne_f32_e32 v27, v33
	v_fmaak_f32 v34, s27, v26, 0x3c0881c4
	v_fma_f32 v37, 0xb2a5705f, |v23|, v37
	s_delay_alu instid0(VALU_DEP_3) | instskip(NEXT) | instid1(VALU_DEP_3)
	v_dual_sub_f32 v33, v33, v27 :: v_dual_mul_f32 v36, v6, v6
	v_fmaak_f32 v34, v26, v34, 0xbe2aaa9d
	v_cvt_i32_f32_e32 v27, v27
	s_delay_alu instid0(VALU_DEP_3) | instskip(NEXT) | instid1(VALU_DEP_3)
	v_dual_add_f32 v33, v33, v37 :: v_dual_fmaak_f32 v38, s27, v36, 0x3c0881c4
	v_dual_fmaak_f32 v39, s28, v36, 0xbab64f3b :: v_dual_mul_f32 v34, v26, v34
	v_fmaak_f32 v35, v26, v35, 0xbf000004
	s_delay_alu instid0(VALU_DEP_3) | instskip(NEXT) | instid1(VALU_DEP_3)
	v_exp_f32_e32 v32, v33
	v_fmaak_f32 v38, v36, v38, 0xbe2aaa9d
	s_delay_alu instid0(VALU_DEP_3) | instskip(NEXT) | instid1(VALU_DEP_3)
	v_dual_fmac_f32 v8, v8, v34 :: v_dual_bitop2_b32 v33, 1, v12 bitop3:0x40
	v_fma_f32 v26, v26, v35, 1.0
	s_delay_alu instid0(VALU_DEP_3) | instskip(SKIP_1) | instid1(VALU_DEP_3)
	v_dual_fmaak_f32 v34, v36, v39, 0x3d2aabf7 :: v_dual_mul_f32 v35, v36, v38
	v_lshlrev_b32_e32 v12, 30, v12
	v_cndmask_b32_e32 v8, v26, v8, vcc_lo
	s_delay_alu instid0(VALU_DEP_3) | instskip(NEXT) | instid1(VALU_DEP_4)
	v_fmaak_f32 v26, v36, v34, 0xbf000004
	v_fmac_f32_e32 v6, v6, v35
	v_cmp_eq_u32_e32 vcc_lo, 0, v33
	s_delay_alu instid0(VALU_DEP_4) | instskip(NEXT) | instid1(VALU_DEP_4)
	v_xor3_b32 v8, v10, v8, v22
	v_fma_f32 v26, v36, v26, 1.0
	v_ldexp_f32 v10, v32, v27
	s_delay_alu instid0(VALU_DEP_2) | instskip(SKIP_1) | instid1(VALU_DEP_2)
	v_dual_mul_f32 v8, 4.0, v8 :: v_dual_cndmask_b32 v6, -v6, v26, vcc_lo
	v_cmp_nlt_f32_e64 vcc_lo, 0x42ce8ed0, |v23|
	v_bitop3_b32 v6, v12, v6, 0x80000000 bitop3:0x6c
	s_delay_alu instid0(VALU_DEP_4) | instskip(SKIP_1) | instid1(VALU_DEP_3)
	v_cndmask_b32_e32 v10, 0, v10, vcc_lo
	v_cmp_ngt_f32_e64 vcc_lo, 0xc2b17218, |v23|
	v_mul_f32_e32 v6, v8, v6
	v_xor_b32_e32 v8, 0x80000000, v23
	s_delay_alu instid0(VALU_DEP_4) | instskip(NEXT) | instid1(VALU_DEP_2)
	v_cndmask_b32_e32 v10, 0x7f800000, v10, vcc_lo
	v_bfi_b32 v8, 0x7fffffff, 1.0, v8
	s_delay_alu instid0(VALU_DEP_2) | instskip(NEXT) | instid1(VALU_DEP_1)
	v_mul_f32_e32 v6, v10, v6
	v_mul_f32_e32 v26, v10, v6
.LBB94_312:                             ;   in Loop: Header=BB94_161 Depth=1
	s_or_b32 exec_lo, exec_lo, s31
                                        ; implicit-def: $vgpr22
.LBB94_313:                             ;   in Loop: Header=BB94_161 Depth=1
	s_and_not1_saveexec_b32 s4, s30
; %bb.314:                              ;   in Loop: Header=BB94_161 Depth=1
	v_sub_f32_e32 v26, v22, v22
	s_delay_alu instid0(VALU_DEP_1)
	v_mov_b32_e32 v8, v26
; %bb.315:                              ;   in Loop: Header=BB94_161 Depth=1
	s_or_b32 exec_lo, exec_lo, s4
                                        ; implicit-def: $vgpr23
	s_and_not1_saveexec_b32 s29, s29
	s_cbranch_execnz .LBB94_295
.LBB94_316:                             ;   in Loop: Header=BB94_161 Depth=1
	s_or_b32 exec_lo, exec_lo, s29
	s_and_saveexec_b32 s4, s0
	s_delay_alu instid0(SALU_CYCLE_1)
	s_xor_b32 s0, exec_lo, s4
	s_cbranch_execz .LBB94_325
.LBB94_317:                             ;   in Loop: Header=BB94_161 Depth=1
	v_xor_b32_e32 v25, 0x80000000, v25
	v_lshl_add_u64 v[14:15], v[14:15], 3, s[8:9]
	global_store_b64 v[14:15], v[24:25], off
	s_wait_xcnt 0x0
	s_or_b32 exec_lo, exec_lo, s0
	s_and_saveexec_b32 s0, s1
	s_cbranch_execnz .LBB94_326
.LBB94_318:                             ;   in Loop: Header=BB94_161 Depth=1
	s_or_b32 exec_lo, exec_lo, s0
	s_and_saveexec_b32 s0, s2
	s_cbranch_execz .LBB94_327
.LBB94_319:                             ;   in Loop: Header=BB94_161 Depth=1
	v_xor_b32_e32 v31, 0x80000000, v31
	v_lshl_add_u64 v[14:15], v[18:19], 3, s[8:9]
	global_store_b64 v[14:15], v[30:31], off
	s_wait_xcnt 0x0
	s_or_b32 exec_lo, exec_lo, s0
	s_and_saveexec_b32 s0, s3
	s_cbranch_execz .LBB94_160
	s_branch .LBB94_328
.LBB94_320:                             ;   in Loop: Header=BB94_161 Depth=1
	s_and_not1_saveexec_b32 s4, s33
.LBB94_321:                             ;   in Loop: Header=BB94_161 Depth=1
	v_mul_f32_e64 v6, 0x3f22f983, |v22|
	s_delay_alu instid0(VALU_DEP_1) | instskip(NEXT) | instid1(VALU_DEP_1)
	v_rndne_f32_e32 v26, v6
	v_fma_f32 v6, 0xbfc90fda, v26, |v22|
	s_delay_alu instid0(VALU_DEP_1) | instskip(NEXT) | instid1(VALU_DEP_1)
	v_fmac_f32_e32 v6, 0xb3a22168, v26
	v_fmac_f32_e32 v6, 0xa7c234c4, v26
	v_cvt_i32_f32_e32 v26, v26
.LBB94_322:                             ;   in Loop: Header=BB94_161 Depth=1
	s_or_b32 exec_lo, exec_lo, s4
	s_delay_alu instid0(VALU_DEP_1) | instskip(SKIP_1) | instid1(VALU_DEP_2)
	v_dual_mul_f32 v27, v12, v12 :: v_dual_mul_f32 v32, v6, v6
	v_dual_lshlrev_b32 v23, 30, v23 :: v_dual_bitop2_b32 v33, 1, v23 bitop3:0x40
	v_fmaak_f32 v34, s27, v27, 0x3c0881c4
	s_delay_alu instid0(VALU_DEP_3) | instskip(SKIP_1) | instid1(VALU_DEP_4)
	v_fmaak_f32 v36, s27, v32, 0x3c0881c4
	v_fmaak_f32 v37, s28, v32, 0xbab64f3b
	v_cmp_eq_u32_e32 vcc_lo, 0, v33
	v_bitop3_b32 v10, v10, v23, 0x80000000 bitop3:0x78
	v_fmaak_f32 v34, v27, v34, 0xbe2aaa9d
	v_fmaak_f32 v35, s28, v27, 0xbab64f3b
	;; [unrolled: 1-line block ×3, first 2 shown]
	s_delay_alu instid0(VALU_DEP_2) | instskip(NEXT) | instid1(VALU_DEP_2)
	v_dual_mul_f32 v34, v27, v34 :: v_dual_fmaak_f32 v35, v27, v35, 0x3d2aabf7
	v_mul_f32_e32 v36, v32, v36
	s_delay_alu instid0(VALU_DEP_2) | instskip(NEXT) | instid1(VALU_DEP_2)
	v_dual_fmac_f32 v12, v12, v34 :: v_dual_fmaak_f32 v35, v27, v35, 0xbf000004
	v_fmac_f32_e32 v6, v6, v36
	s_delay_alu instid0(VALU_DEP_2) | instskip(SKIP_1) | instid1(VALU_DEP_2)
	v_fma_f32 v27, v27, v35, 1.0
	v_dual_lshlrev_b32 v26, 30, v26 :: v_dual_bitop2_b32 v38, 1, v26 bitop3:0x40
	v_dual_fmaak_f32 v37, v32, v37, 0x3d2aabf7 :: v_dual_cndmask_b32 v12, v27, v12
	s_delay_alu instid0(VALU_DEP_2) | instskip(NEXT) | instid1(VALU_DEP_2)
	v_cmp_eq_u32_e32 vcc_lo, 0, v38
	v_xor3_b32 v10, v10, v12, v22
	s_delay_alu instid0(VALU_DEP_3) | instskip(NEXT) | instid1(VALU_DEP_1)
	v_fmaak_f32 v37, v32, v37, 0xbf000004
	v_fma_f32 v32, v32, v37, 1.0
	s_delay_alu instid0(VALU_DEP_1) | instskip(SKIP_1) | instid1(VALU_DEP_2)
	v_cndmask_b32_e64 v6, -v6, v32, vcc_lo
	v_cmp_class_f32_e64 vcc_lo, v22, 0x1f8
	v_bitop3_b32 v6, v26, v6, 0x80000000 bitop3:0x6c
	s_delay_alu instid0(VALU_DEP_1) | instskip(NEXT) | instid1(VALU_DEP_1)
	v_mul_f32_e32 v6, v10, v6
	v_cndmask_b32_e32 v22, 0x7fc00000, v6, vcc_lo
.LBB94_323:                             ;   in Loop: Header=BB94_161 Depth=1
	s_or_b32 exec_lo, exec_lo, s31
	v_add_nc_u32_e32 v8, -2.0, v8
	s_delay_alu instid0(VALU_DEP_2)
	v_bfi_b32 v26, 0x7fffffff, 0, v22
.LBB94_324:                             ;   in Loop: Header=BB94_161 Depth=1
	s_or_b32 exec_lo, exec_lo, s30
	s_delay_alu instid0(SALU_CYCLE_1) | instskip(SKIP_1) | instid1(SALU_CYCLE_1)
	s_or_b32 exec_lo, exec_lo, s29
	s_and_saveexec_b32 s4, s0
	s_xor_b32 s0, exec_lo, s4
	s_cbranch_execnz .LBB94_317
.LBB94_325:                             ;   in Loop: Header=BB94_161 Depth=1
	s_or_b32 exec_lo, exec_lo, s0
	s_and_saveexec_b32 s0, s1
	s_cbranch_execz .LBB94_318
.LBB94_326:                             ;   in Loop: Header=BB94_161 Depth=1
	v_xor_b32_e32 v29, 0x80000000, v29
	v_lshl_add_u64 v[14:15], v[16:17], 3, s[8:9]
	global_store_b64 v[14:15], v[28:29], off
	s_wait_xcnt 0x0
	s_or_b32 exec_lo, exec_lo, s0
	s_and_saveexec_b32 s0, s2
	s_cbranch_execnz .LBB94_319
.LBB94_327:                             ;   in Loop: Header=BB94_161 Depth=1
	s_or_b32 exec_lo, exec_lo, s0
	s_and_saveexec_b32 s0, s3
	s_cbranch_execz .LBB94_160
.LBB94_328:                             ;   in Loop: Header=BB94_161 Depth=1
	v_xor_b32_e32 v27, 0x80000000, v8
	v_lshl_add_u64 v[14:15], v[20:21], 3, s[8:9]
	global_store_b64 v[14:15], v[26:27], off
	s_branch .LBB94_160
.LBB94_329:
	s_endpgm
	.section	.rodata,"a",@progbits
	.p2align	6, 0x0
	.amdhsa_kernel _ZN2at6native12_GLOBAL__N_125multi_tensor_apply_kernelINS1_18TensorListMetadataILi2EEENS1_14UnaryOpFunctorIN3c107complexIfEELi2ELi1ELi1EEEJNS0_3TanIS8_EEEEEvT_T0_DpT1_
		.amdhsa_group_segment_fixed_size 0
		.amdhsa_private_segment_fixed_size 0
		.amdhsa_kernarg_size 3408
		.amdhsa_user_sgpr_count 2
		.amdhsa_user_sgpr_dispatch_ptr 0
		.amdhsa_user_sgpr_queue_ptr 0
		.amdhsa_user_sgpr_kernarg_segment_ptr 1
		.amdhsa_user_sgpr_dispatch_id 0
		.amdhsa_user_sgpr_kernarg_preload_length 0
		.amdhsa_user_sgpr_kernarg_preload_offset 0
		.amdhsa_user_sgpr_private_segment_size 0
		.amdhsa_wavefront_size32 1
		.amdhsa_uses_dynamic_stack 0
		.amdhsa_enable_private_segment 0
		.amdhsa_system_sgpr_workgroup_id_x 1
		.amdhsa_system_sgpr_workgroup_id_y 0
		.amdhsa_system_sgpr_workgroup_id_z 0
		.amdhsa_system_sgpr_workgroup_info 0
		.amdhsa_system_vgpr_workitem_id 0
		.amdhsa_next_free_vgpr 46
		.amdhsa_next_free_sgpr 35
		.amdhsa_named_barrier_count 0
		.amdhsa_reserve_vcc 1
		.amdhsa_float_round_mode_32 0
		.amdhsa_float_round_mode_16_64 0
		.amdhsa_float_denorm_mode_32 3
		.amdhsa_float_denorm_mode_16_64 3
		.amdhsa_fp16_overflow 0
		.amdhsa_memory_ordered 1
		.amdhsa_forward_progress 1
		.amdhsa_inst_pref_size 255
		.amdhsa_round_robin_scheduling 0
		.amdhsa_exception_fp_ieee_invalid_op 0
		.amdhsa_exception_fp_denorm_src 0
		.amdhsa_exception_fp_ieee_div_zero 0
		.amdhsa_exception_fp_ieee_overflow 0
		.amdhsa_exception_fp_ieee_underflow 0
		.amdhsa_exception_fp_ieee_inexact 0
		.amdhsa_exception_int_div_zero 0
	.end_amdhsa_kernel
	.section	.text._ZN2at6native12_GLOBAL__N_125multi_tensor_apply_kernelINS1_18TensorListMetadataILi2EEENS1_14UnaryOpFunctorIN3c107complexIfEELi2ELi1ELi1EEEJNS0_3TanIS8_EEEEEvT_T0_DpT1_,"axG",@progbits,_ZN2at6native12_GLOBAL__N_125multi_tensor_apply_kernelINS1_18TensorListMetadataILi2EEENS1_14UnaryOpFunctorIN3c107complexIfEELi2ELi1ELi1EEEJNS0_3TanIS8_EEEEEvT_T0_DpT1_,comdat
.Lfunc_end94:
	.size	_ZN2at6native12_GLOBAL__N_125multi_tensor_apply_kernelINS1_18TensorListMetadataILi2EEENS1_14UnaryOpFunctorIN3c107complexIfEELi2ELi1ELi1EEEJNS0_3TanIS8_EEEEEvT_T0_DpT1_, .Lfunc_end94-_ZN2at6native12_GLOBAL__N_125multi_tensor_apply_kernelINS1_18TensorListMetadataILi2EEENS1_14UnaryOpFunctorIN3c107complexIfEELi2ELi1ELi1EEEJNS0_3TanIS8_EEEEEvT_T0_DpT1_
                                        ; -- End function
	.set _ZN2at6native12_GLOBAL__N_125multi_tensor_apply_kernelINS1_18TensorListMetadataILi2EEENS1_14UnaryOpFunctorIN3c107complexIfEELi2ELi1ELi1EEEJNS0_3TanIS8_EEEEEvT_T0_DpT1_.num_vgpr, 46
	.set _ZN2at6native12_GLOBAL__N_125multi_tensor_apply_kernelINS1_18TensorListMetadataILi2EEENS1_14UnaryOpFunctorIN3c107complexIfEELi2ELi1ELi1EEEJNS0_3TanIS8_EEEEEvT_T0_DpT1_.num_agpr, 0
	.set _ZN2at6native12_GLOBAL__N_125multi_tensor_apply_kernelINS1_18TensorListMetadataILi2EEENS1_14UnaryOpFunctorIN3c107complexIfEELi2ELi1ELi1EEEJNS0_3TanIS8_EEEEEvT_T0_DpT1_.numbered_sgpr, 35
	.set _ZN2at6native12_GLOBAL__N_125multi_tensor_apply_kernelINS1_18TensorListMetadataILi2EEENS1_14UnaryOpFunctorIN3c107complexIfEELi2ELi1ELi1EEEJNS0_3TanIS8_EEEEEvT_T0_DpT1_.num_named_barrier, 0
	.set _ZN2at6native12_GLOBAL__N_125multi_tensor_apply_kernelINS1_18TensorListMetadataILi2EEENS1_14UnaryOpFunctorIN3c107complexIfEELi2ELi1ELi1EEEJNS0_3TanIS8_EEEEEvT_T0_DpT1_.private_seg_size, 0
	.set _ZN2at6native12_GLOBAL__N_125multi_tensor_apply_kernelINS1_18TensorListMetadataILi2EEENS1_14UnaryOpFunctorIN3c107complexIfEELi2ELi1ELi1EEEJNS0_3TanIS8_EEEEEvT_T0_DpT1_.uses_vcc, 1
	.set _ZN2at6native12_GLOBAL__N_125multi_tensor_apply_kernelINS1_18TensorListMetadataILi2EEENS1_14UnaryOpFunctorIN3c107complexIfEELi2ELi1ELi1EEEJNS0_3TanIS8_EEEEEvT_T0_DpT1_.uses_flat_scratch, 0
	.set _ZN2at6native12_GLOBAL__N_125multi_tensor_apply_kernelINS1_18TensorListMetadataILi2EEENS1_14UnaryOpFunctorIN3c107complexIfEELi2ELi1ELi1EEEJNS0_3TanIS8_EEEEEvT_T0_DpT1_.has_dyn_sized_stack, 0
	.set _ZN2at6native12_GLOBAL__N_125multi_tensor_apply_kernelINS1_18TensorListMetadataILi2EEENS1_14UnaryOpFunctorIN3c107complexIfEELi2ELi1ELi1EEEJNS0_3TanIS8_EEEEEvT_T0_DpT1_.has_recursion, 0
	.set _ZN2at6native12_GLOBAL__N_125multi_tensor_apply_kernelINS1_18TensorListMetadataILi2EEENS1_14UnaryOpFunctorIN3c107complexIfEELi2ELi1ELi1EEEJNS0_3TanIS8_EEEEEvT_T0_DpT1_.has_indirect_call, 0
	.section	.AMDGPU.csdata,"",@progbits
; Kernel info:
; codeLenInByte = 50512
; TotalNumSgprs: 37
; NumVgprs: 46
; ScratchSize: 0
; MemoryBound: 0
; FloatMode: 240
; IeeeMode: 1
; LDSByteSize: 0 bytes/workgroup (compile time only)
; SGPRBlocks: 0
; VGPRBlocks: 2
; NumSGPRsForWavesPerEU: 37
; NumVGPRsForWavesPerEU: 46
; NamedBarCnt: 0
; Occupancy: 16
; WaveLimiterHint : 0
; COMPUTE_PGM_RSRC2:SCRATCH_EN: 0
; COMPUTE_PGM_RSRC2:USER_SGPR: 2
; COMPUTE_PGM_RSRC2:TRAP_HANDLER: 0
; COMPUTE_PGM_RSRC2:TGID_X_EN: 1
; COMPUTE_PGM_RSRC2:TGID_Y_EN: 0
; COMPUTE_PGM_RSRC2:TGID_Z_EN: 0
; COMPUTE_PGM_RSRC2:TIDIG_COMP_CNT: 0
	.section	.text._ZN2at6native12_GLOBAL__N_125multi_tensor_apply_kernelINS1_18TensorListMetadataILi2EEENS1_14UnaryOpFunctorIN3c104HalfELi2ELi1ELi1EEEJNS0_3TanIfEEEEEvT_T0_DpT1_,"axG",@progbits,_ZN2at6native12_GLOBAL__N_125multi_tensor_apply_kernelINS1_18TensorListMetadataILi2EEENS1_14UnaryOpFunctorIN3c104HalfELi2ELi1ELi1EEEJNS0_3TanIfEEEEEvT_T0_DpT1_,comdat
	.globl	_ZN2at6native12_GLOBAL__N_125multi_tensor_apply_kernelINS1_18TensorListMetadataILi2EEENS1_14UnaryOpFunctorIN3c104HalfELi2ELi1ELi1EEEJNS0_3TanIfEEEEEvT_T0_DpT1_ ; -- Begin function _ZN2at6native12_GLOBAL__N_125multi_tensor_apply_kernelINS1_18TensorListMetadataILi2EEENS1_14UnaryOpFunctorIN3c104HalfELi2ELi1ELi1EEEJNS0_3TanIfEEEEEvT_T0_DpT1_
	.p2align	8
	.type	_ZN2at6native12_GLOBAL__N_125multi_tensor_apply_kernelINS1_18TensorListMetadataILi2EEENS1_14UnaryOpFunctorIN3c104HalfELi2ELi1ELi1EEEJNS0_3TanIfEEEEEvT_T0_DpT1_,@function
_ZN2at6native12_GLOBAL__N_125multi_tensor_apply_kernelINS1_18TensorListMetadataILi2EEENS1_14UnaryOpFunctorIN3c104HalfELi2ELi1ELi1EEEJNS0_3TanIfEEEEEvT_T0_DpT1_: ; @_ZN2at6native12_GLOBAL__N_125multi_tensor_apply_kernelINS1_18TensorListMetadataILi2EEENS1_14UnaryOpFunctorIN3c104HalfELi2ELi1ELi1EEEJNS0_3TanIfEEEEEvT_T0_DpT1_
; %bb.0:
	s_bfe_u32 s2, ttmp6, 0x4000c
	s_and_b32 s3, ttmp6, 15
	s_add_co_i32 s2, s2, 1
	s_getreg_b32 s4, hwreg(HW_REG_IB_STS2, 6, 4)
	s_mul_i32 s2, ttmp9, s2
	s_delay_alu instid0(SALU_CYCLE_1)
	s_add_co_i32 s3, s3, s2
	s_cmp_eq_u32 s4, 0
	s_cselect_b32 s2, ttmp9, s3
	s_mov_b32 s3, 0
	s_load_u8 s11, s[0:1], s2 offset:0x600
	s_add_nc_u64 s[4:5], s[0:1], s[2:3]
	s_mul_u64 s[6:7], s[2:3], 3
	s_mov_b32 s15, s3
	s_add_nc_u64 s[6:7], s[4:5], s[6:7]
	s_load_b32 s10, s[6:7], 0x740
	s_wait_kmcnt 0x0
	s_clause 0x2
	s_load_b64 s[4:5], s[0:1], s11 offset:0x0 scale_offset
	s_load_b64 s[8:9], s[0:1], s11 offset:0x200 scale_offset
	;; [unrolled: 1-line block ×3, first 2 shown]
	s_wait_xcnt 0x0
	s_ashr_i32 s11, s10, 31
	s_delay_alu instid0(SALU_CYCLE_1)
	s_lshl_b64 s[6:7], s[10:11], 17
	s_wait_kmcnt 0x0
	s_and_b64 s[18:19], s[8:9], 7
	s_add_nc_u64 s[16:17], s[4:5], s[6:7]
	s_and_b32 s14, s12, 3
	s_and_b32 s2, s16, 7
	s_or_b64 s[14:15], s[18:19], s[14:15]
	s_lshl_b64 s[10:11], s[10:11], 16
	s_or_b64 s[2:3], s[14:15], s[2:3]
	s_sub_nc_u64 s[10:11], s[12:13], s[10:11]
	s_cmp_eq_u64 s[2:3], 0
	s_mov_b32 s2, -1
	s_cbranch_scc0 .LBB95_21
; %bb.1:
	v_min_i64 v[2:3], 0x10000, s[10:11]
	v_dual_mov_b32 v5, 0 :: v_dual_lshlrev_b32 v4, 2, v0
	s_mov_b32 s18, exec_lo
	s_delay_alu instid0(VALU_DEP_1)
	v_cmpx_lt_i64_e64 v[4:5], v[2:3]
	s_cbranch_execz .LBB95_20
; %bb.2:
	s_load_b32 s2, s[0:1], 0xc5c
	v_dual_mov_b32 v1, v5 :: v_dual_lshlrev_b32 v4, 3, v0
	s_mov_b32 s13, 0
	s_mov_b32 s19, 0x7fffff
	s_mov_b64 s[14:15], 0xfe5163ab
	s_delay_alu instid0(VALU_DEP_1)
	v_mov_b64_e32 v[8:9], v[0:1]
	v_add_nc_u64_e32 v[6:7], s[6:7], v[4:5]
	s_mov_b32 s20, 0xbc8cedd3
	s_mov_b32 s21, 0x3c971480
	s_mov_b32 s17, s13
	s_mov_b32 s22, s13
	s_wait_kmcnt 0x0
	s_and_b32 s12, s2, 0xffff
	s_delay_alu instid0(SALU_CYCLE_1)
	s_lshl_b32 s16, s12, 3
	s_branch .LBB95_4
.LBB95_3:                               ;   in Loop: Header=BB95_4 Depth=1
	s_or_b32 exec_lo, exec_lo, s2
	v_dual_mul_f32 v24, v20, v20 :: v_dual_mul_f32 v26, v13, v13
	v_mul_f32_e32 v25, v16, v16
	v_add_nc_u64_e32 v[8:9], s[12:13], v[8:9]
	v_and_b32_e32 v15, 1, v15
	v_and_b32_e32 v23, 1, v23
	v_fmaak_f32 v30, s21, v26, 0xbf039337
	v_dual_fmaak_f32 v28, s21, v24, 0xbf039337 :: v_dual_fmaak_f32 v29, s21, v25, 0xbf039337
	v_mul_f32_e32 v27, v4, v4
	v_dual_fmaak_f32 v32, s20, v24, 0x3ec54587 :: v_dual_fmaak_f32 v33, s20, v25, 0x3ec54587
	s_delay_alu instid0(VALU_DEP_3) | instskip(SKIP_1) | instid1(VALU_DEP_4)
	v_dual_fmaak_f32 v28, v24, v28, 0x3f93f425 :: v_dual_fmaak_f32 v29, v25, v29, 0x3f93f425
	v_fmaak_f32 v30, v26, v30, 0x3f93f425
	v_dual_fmaak_f32 v34, s20, v26, 0x3ec54587 :: v_dual_fmaak_f32 v35, s20, v27, 0x3ec54587
	s_delay_alu instid0(VALU_DEP_3) | instskip(SKIP_1) | instid1(VALU_DEP_3)
	v_rcp_f32_e32 v28, v28
	v_fmaak_f32 v31, s21, v27, 0xbf039337
	v_rcp_f32_e32 v30, v30
	v_rcp_f32_e32 v29, v29
	s_delay_alu instid0(TRANS32_DEP_3) | instskip(NEXT) | instid1(TRANS32_DEP_2)
	v_dual_mul_f32 v28, v32, v28 :: v_dual_bitop2_b32 v22, 1, v22 bitop3:0x40
	v_dual_fmaak_f32 v31, v27, v31, 0x3f93f425 :: v_dual_mul_f32 v30, v34, v30
	s_delay_alu instid0(TRANS32_DEP_1) | instskip(NEXT) | instid1(VALU_DEP_3)
	v_dual_mul_f32 v29, v33, v29 :: v_dual_bitop2_b32 v19, 1, v19 bitop3:0x40
	v_mul_f32_e32 v24, v24, v28
	s_delay_alu instid0(VALU_DEP_3) | instskip(SKIP_1) | instid1(VALU_DEP_2)
	v_rcp_f32_e32 v31, v31
	v_cmp_eq_u32_e32 vcc_lo, 0, v22
	v_dual_mul_f32 v25, v25, v29 :: v_dual_fma_f32 v28, v24, v20, v20
	s_delay_alu instid0(TRANS32_DEP_1) | instskip(NEXT) | instid1(VALU_DEP_2)
	v_dual_mul_f32 v31, v35, v31 :: v_dual_mul_f32 v26, v26, v30
	v_rcp_f32_e32 v33, v28
	s_delay_alu instid0(VALU_DEP_1) | instskip(NEXT) | instid1(VALU_DEP_1)
	v_dual_mul_f32 v27, v27, v31 :: v_dual_fma_f32 v29, v25, v16, v16
	v_dual_fma_f32 v30, v26, v13, v13 :: v_dual_fma_f32 v31, v27, v4, v4
	s_delay_alu instid0(VALU_DEP_2) | instskip(NEXT) | instid1(VALU_DEP_1)
	v_rcp_f32_e32 v35, v29
	v_dual_sub_f32 v36, v30, v13 :: v_dual_sub_f32 v32, v28, v20
	v_rcp_f32_e32 v37, v30
	s_delay_alu instid0(VALU_DEP_2) | instskip(NEXT) | instid1(VALU_DEP_1)
	v_rcp_f32_e32 v39, v31
	v_fma_f32 v13, v26, v13, -v36
	s_delay_alu instid0(VALU_DEP_2) | instskip(SKIP_2) | instid1(TRANS32_DEP_1)
	v_fma_f32 v20, v24, v20, -v32
	v_fma_f32 v24, v28, -v33, 1.0
	v_sub_f32_e32 v34, v29, v16
	v_fma_f32 v26, v31, -v39, 1.0
	s_delay_alu instid0(VALU_DEP_2) | instskip(SKIP_2) | instid1(VALU_DEP_3)
	v_dual_fma_f32 v20, v20, -v33, v24 :: v_dual_fma_f32 v16, v25, v16, -v34
	v_fma_f32 v25, v29, -v35, 1.0
	v_fma_f32 v24, v30, -v37, 1.0
	v_dual_fma_f32 v20, v20, -v33, -v33 :: v_dual_sub_f32 v38, v31, v4
	s_delay_alu instid0(VALU_DEP_2) | instskip(NEXT) | instid1(VALU_DEP_2)
	v_dual_fma_f32 v16, v16, -v35, v25 :: v_dual_fma_f32 v13, v13, -v37, v24
	v_cndmask_b32_e32 v20, v20, v28, vcc_lo
	s_delay_alu instid0(VALU_DEP_3) | instskip(SKIP_1) | instid1(VALU_DEP_4)
	v_fma_f32 v4, v27, v4, -v38
	v_cmp_eq_u32_e32 vcc_lo, 0, v19
	v_dual_fma_f32 v13, v13, -v37, -v37 :: v_dual_fma_f32 v16, v16, -v35, -v35
	s_delay_alu instid0(VALU_DEP_4) | instskip(NEXT) | instid1(VALU_DEP_4)
	v_xor3_b32 v18, v18, v17, v20
	v_fma_f32 v4, v4, -v39, v26
	s_delay_alu instid0(VALU_DEP_3) | instskip(SKIP_1) | instid1(VALU_DEP_3)
	v_cndmask_b32_e32 v16, v16, v29, vcc_lo
	v_cmp_eq_u32_e32 vcc_lo, 0, v15
	v_fma_f32 v4, v4, -v39, -v39
	s_delay_alu instid0(VALU_DEP_3) | instskip(SKIP_2) | instid1(VALU_DEP_2)
	v_xor3_b32 v14, v14, v10, v16
	v_cndmask_b32_e32 v13, v13, v30, vcc_lo
	v_cmp_eq_u32_e32 vcc_lo, 0, v23
	v_xor3_b32 v16, v12, v1, v13
	v_cndmask_b32_e32 v4, v4, v31, vcc_lo
	v_cmp_class_f32_e64 vcc_lo, v17, 0x1f8
	v_lshlrev_b64_e32 v[12:13], 2, v[8:9]
	s_delay_alu instid0(VALU_DEP_3)
	v_xor3_b32 v4, v21, v11, v4
	v_cndmask_b32_e32 v15, 0x7fc00000, v18, vcc_lo
	v_cmp_class_f32_e64 vcc_lo, v10, 0x1f8
	v_cndmask_b32_e32 v14, 0x7fc00000, v14, vcc_lo
	v_cmp_class_f32_e64 vcc_lo, v11, 0x1f8
	v_add_nc_u64_e32 v[10:11], s[8:9], v[6:7]
	v_add_nc_u64_e32 v[6:7], s[16:17], v[6:7]
	v_cndmask_b32_e32 v4, 0x7fc00000, v4, vcc_lo
	v_cmp_class_f32_e64 vcc_lo, v1, 0x1f8
	v_cndmask_b32_e32 v1, 0x7fc00000, v16, vcc_lo
	v_cmp_ge_i64_e32 vcc_lo, v[12:13], v[2:3]
	s_delay_alu instid0(VALU_DEP_4) | instskip(NEXT) | instid1(VALU_DEP_3)
	v_cvt_pk_f16_f32 v13, v15, v4
	v_cvt_pk_f16_f32 v12, v1, v14
	s_or_b32 s22, vcc_lo, s22
	global_store_b64 v[10:11], v[12:13], off
	s_wait_xcnt 0x0
	s_and_not1_b32 exec_lo, exec_lo, s22
	s_cbranch_execz .LBB95_20
.LBB95_4:                               ; =>This Inner Loop Header: Depth=1
	v_add_nc_u64_e32 v[10:11], s[4:5], v[6:7]
                                        ; implicit-def: $vgpr15
                                        ; implicit-def: $vgpr13
	s_mov_b32 s3, exec_lo
	global_load_b64 v[10:11], v[10:11], off
	s_wait_loadcnt 0x0
	v_cvt_f32_f16_e32 v1, v10
	s_delay_alu instid0(VALU_DEP_1)
	v_and_b32_e32 v12, 0x7fffffff, v1
	s_wait_xcnt 0x0
	v_cmpx_ngt_f32_e64 0x48000000, |v1|
	s_xor_b32 s23, exec_lo, s3
	s_cbranch_execz .LBB95_6
; %bb.5:                                ;   in Loop: Header=BB95_4 Depth=1
	v_and_or_b32 v4, v12, s19, 0x800000
	v_dual_lshrrev_b32 v13, 23, v12 :: v_dual_mov_b32 v25, v5
	v_mov_b32_e32 v27, v5
	s_delay_alu instid0(VALU_DEP_3) | instskip(SKIP_1) | instid1(VALU_DEP_4)
	v_mul_u64_e32 v[14:15], s[14:15], v[4:5]
	v_mov_b32_e32 v17, v5
	v_add_nc_u32_e32 v13, 0xffffff88, v13
	s_delay_alu instid0(VALU_DEP_1) | instskip(NEXT) | instid1(VALU_DEP_4)
	v_cmp_lt_u32_e32 vcc_lo, 63, v13
	v_mov_b32_e32 v16, v15
	v_cndmask_b32_e64 v15, 0, 0xffffffc0, vcc_lo
	s_delay_alu instid0(VALU_DEP_2) | instskip(NEXT) | instid1(VALU_DEP_2)
	v_mad_nc_u64_u32 v[16:17], 0x3c439041, v4, v[16:17]
	v_dual_mov_b32 v19, v5 :: v_dual_add_nc_u32 v13, v15, v13
	s_delay_alu instid0(VALU_DEP_1) | instskip(NEXT) | instid1(VALU_DEP_3)
	v_cmp_lt_u32_e64 s2, 31, v13
	v_mov_b32_e32 v18, v17
	s_delay_alu instid0(VALU_DEP_2) | instskip(NEXT) | instid1(VALU_DEP_2)
	v_cndmask_b32_e64 v15, 0, 0xffffffe0, s2
	v_mad_nc_u64_u32 v[18:19], 0xdb629599, v4, v[18:19]
	s_delay_alu instid0(VALU_DEP_1) | instskip(NEXT) | instid1(VALU_DEP_2)
	v_dual_mov_b32 v21, v5 :: v_dual_mov_b32 v20, v19
	v_cndmask_b32_e32 v14, v18, v14, vcc_lo
	s_delay_alu instid0(VALU_DEP_2) | instskip(NEXT) | instid1(VALU_DEP_1)
	v_mad_nc_u64_u32 v[20:21], 0xf534ddc0, v4, v[20:21]
	v_dual_mov_b32 v23, v5 :: v_dual_mov_b32 v22, v21
	s_delay_alu instid0(VALU_DEP_1) | instskip(NEXT) | instid1(VALU_DEP_1)
	v_mad_nc_u64_u32 v[22:23], 0xfc2757d1, v4, v[22:23]
	v_dual_mov_b32 v24, v23 :: v_dual_cndmask_b32 v21, v22, v18
	s_delay_alu instid0(VALU_DEP_1) | instskip(NEXT) | instid1(VALU_DEP_1)
	v_mad_nc_u64_u32 v[24:25], 0x4e441529, v4, v[24:25]
	v_mov_b32_e32 v26, v25
	s_delay_alu instid0(VALU_DEP_1) | instskip(NEXT) | instid1(VALU_DEP_3)
	v_mad_nc_u64_u32 v[26:27], 0xa2f9836e, v4, v[26:27]
	v_dual_cndmask_b32 v15, v24, v20 :: v_dual_add_nc_u32 v4, v15, v13
	s_delay_alu instid0(VALU_DEP_1) | instskip(NEXT) | instid1(VALU_DEP_1)
	v_cmp_lt_u32_e64 s3, 31, v4
	v_cndmask_b32_e64 v13, 0, 0xffffffe0, s3
	s_delay_alu instid0(VALU_DEP_4) | instskip(NEXT) | instid1(VALU_DEP_2)
	v_dual_cndmask_b32 v17, v26, v22, vcc_lo :: v_dual_cndmask_b32 v19, v27, v24, vcc_lo
	v_add_nc_u32_e32 v4, v13, v4
	s_delay_alu instid0(VALU_DEP_2) | instskip(NEXT) | instid1(VALU_DEP_3)
	v_dual_cndmask_b32 v13, v20, v16, vcc_lo :: v_dual_cndmask_b32 v16, v17, v15, s2
	v_cndmask_b32_e64 v17, v19, v17, s2
	s_delay_alu instid0(VALU_DEP_3) | instskip(NEXT) | instid1(VALU_DEP_3)
	v_dual_cndmask_b32 v15, v15, v21, s2 :: v_dual_sub_nc_u32 v19, 32, v4
	v_cndmask_b32_e64 v20, v21, v13, s2
	v_cmp_eq_u32_e32 vcc_lo, 0, v4
	s_delay_alu instid0(VALU_DEP_3) | instskip(NEXT) | instid1(VALU_DEP_1)
	v_dual_cndmask_b32 v17, v17, v16, s3 :: v_dual_cndmask_b32 v16, v16, v15, s3
	v_alignbit_b32 v21, v17, v16, v19
	s_delay_alu instid0(VALU_DEP_1) | instskip(NEXT) | instid1(VALU_DEP_1)
	v_dual_cndmask_b32 v15, v15, v20, s3 :: v_dual_cndmask_b32 v4, v21, v17, vcc_lo
	v_alignbit_b32 v18, v16, v15, v19
	s_delay_alu instid0(VALU_DEP_1) | instskip(NEXT) | instid1(VALU_DEP_3)
	v_dual_cndmask_b32 v13, v13, v14, s2 :: v_dual_cndmask_b32 v14, v18, v16, vcc_lo
	v_bfe_u32 v16, v4, 29, 1
	s_delay_alu instid0(VALU_DEP_2) | instskip(NEXT) | instid1(VALU_DEP_3)
	v_cndmask_b32_e64 v13, v20, v13, s3
	v_alignbit_b32 v17, v4, v14, 30
	s_delay_alu instid0(VALU_DEP_3) | instskip(NEXT) | instid1(VALU_DEP_3)
	v_sub_nc_u32_e32 v18, 0, v16
	v_alignbit_b32 v19, v15, v13, v19
	s_delay_alu instid0(VALU_DEP_1) | instskip(NEXT) | instid1(VALU_DEP_1)
	v_dual_cndmask_b32 v15, v19, v15, vcc_lo :: v_dual_bitop2_b32 v17, v17, v18 bitop3:0x14
	v_clz_i32_u32_e32 v19, v17
	s_delay_alu instid0(VALU_DEP_2) | instskip(SKIP_1) | instid1(VALU_DEP_3)
	v_alignbit_b32 v14, v14, v15, 30
	v_alignbit_b32 v13, v15, v13, 30
	v_min_u32_e32 v19, 32, v19
	s_delay_alu instid0(VALU_DEP_3) | instskip(NEXT) | instid1(VALU_DEP_3)
	v_xor_b32_e32 v14, v14, v18
	v_dual_lshrrev_b32 v18, 29, v4 :: v_dual_bitop2_b32 v13, v13, v18 bitop3:0x14
	s_delay_alu instid0(VALU_DEP_3) | instskip(SKIP_1) | instid1(VALU_DEP_2)
	v_dual_lshrrev_b32 v4, 30, v4 :: v_dual_sub_nc_u32 v15, 31, v19
	v_lshlrev_b32_e32 v20, 23, v19
	v_alignbit_b32 v17, v17, v14, v15
	s_delay_alu instid0(VALU_DEP_4) | instskip(SKIP_1) | instid1(VALU_DEP_2)
	v_alignbit_b32 v13, v14, v13, v15
	v_lshlrev_b32_e32 v14, 31, v18
	v_alignbit_b32 v15, v17, v13, 9
	s_delay_alu instid0(VALU_DEP_2) | instskip(SKIP_1) | instid1(VALU_DEP_3)
	v_dual_lshrrev_b32 v17, 9, v17 :: v_dual_bitop2_b32 v18, 0.5, v14 bitop3:0x54
	v_or_b32_e32 v14, 0x33000000, v14
	v_clz_i32_u32_e32 v21, v15
	s_delay_alu instid0(VALU_DEP_3) | instskip(NEXT) | instid1(VALU_DEP_2)
	v_sub_nc_u32_e32 v18, v18, v20
	v_min_u32_e32 v20, 32, v21
	s_delay_alu instid0(VALU_DEP_1) | instskip(NEXT) | instid1(VALU_DEP_3)
	v_add_lshl_u32 v19, v20, v19, 23
	v_or_b32_e32 v17, v17, v18
	v_not_b32_e32 v18, v20
	s_delay_alu instid0(VALU_DEP_2) | instskip(NEXT) | instid1(VALU_DEP_2)
	v_dual_mul_f32 v21, 0x3fc90fda, v17 :: v_dual_sub_nc_u32 v14, v14, v19
	v_alignbit_b32 v13, v15, v13, v18
	s_delay_alu instid0(VALU_DEP_2) | instskip(NEXT) | instid1(VALU_DEP_2)
	v_fma_f32 v15, 0x3fc90fda, v17, -v21
	v_lshrrev_b32_e32 v13, 9, v13
	s_delay_alu instid0(VALU_DEP_2) | instskip(NEXT) | instid1(VALU_DEP_2)
	v_fmac_f32_e32 v15, 0x33a22168, v17
	v_or_b32_e32 v13, v14, v13
	s_delay_alu instid0(VALU_DEP_1) | instskip(NEXT) | instid1(VALU_DEP_1)
	v_fmac_f32_e32 v15, 0x3fc90fda, v13
	v_dual_add_f32 v13, v21, v15 :: v_dual_add_nc_u32 v15, v16, v4
.LBB95_6:                               ;   in Loop: Header=BB95_4 Depth=1
	s_and_not1_saveexec_b32 s2, s23
; %bb.7:                                ;   in Loop: Header=BB95_4 Depth=1
	v_mul_f32_e64 v4, 0x3f22f983, |v1|
	s_delay_alu instid0(VALU_DEP_1) | instskip(NEXT) | instid1(VALU_DEP_1)
	v_rndne_f32_e32 v4, v4
	v_fma_f32 v13, 0xbfc90fda, v4, |v1|
	v_cvt_i32_f32_e32 v15, v4
	s_delay_alu instid0(VALU_DEP_2) | instskip(NEXT) | instid1(VALU_DEP_1)
	v_fmac_f32_e32 v13, 0xb3a22168, v4
	v_fmac_f32_e32 v13, 0xa7c234c4, v4
; %bb.8:                                ;   in Loop: Header=BB95_4 Depth=1
	s_or_b32 exec_lo, exec_lo, s2
	v_lshrrev_b32_e32 v4, 16, v10
                                        ; implicit-def: $vgpr19
                                        ; implicit-def: $vgpr16
	s_mov_b32 s3, exec_lo
	s_delay_alu instid0(VALU_DEP_1) | instskip(NEXT) | instid1(VALU_DEP_1)
	v_cvt_f32_f16_e32 v10, v4
	v_and_b32_e32 v14, 0x7fffffff, v10
	v_cmpx_ngt_f32_e64 0x48000000, |v10|
	s_xor_b32 s23, exec_lo, s3
	s_cbranch_execz .LBB95_10
; %bb.9:                                ;   in Loop: Header=BB95_4 Depth=1
	s_delay_alu instid0(VALU_DEP_2) | instskip(SKIP_1) | instid1(VALU_DEP_2)
	v_and_or_b32 v4, v14, s19, 0x800000
	v_dual_mov_b32 v27, v5 :: v_dual_mov_b32 v29, v5
	v_mul_u64_e32 v[16:17], s[14:15], v[4:5]
	s_delay_alu instid0(VALU_DEP_1) | instskip(SKIP_1) | instid1(VALU_DEP_2)
	v_dual_mov_b32 v19, v5 :: v_dual_mov_b32 v18, v17
	v_lshrrev_b32_e32 v17, 23, v14
	v_mad_nc_u64_u32 v[18:19], 0x3c439041, v4, v[18:19]
	v_mov_b32_e32 v21, v5
	s_delay_alu instid0(VALU_DEP_3) | instskip(NEXT) | instid1(VALU_DEP_1)
	v_add_nc_u32_e32 v17, 0xffffff88, v17
	v_cmp_lt_u32_e32 vcc_lo, 63, v17
	s_delay_alu instid0(VALU_DEP_4) | instskip(SKIP_1) | instid1(VALU_DEP_2)
	v_mov_b32_e32 v20, v19
	v_cndmask_b32_e64 v19, 0, 0xffffffc0, vcc_lo
	v_mad_nc_u64_u32 v[20:21], 0xdb629599, v4, v[20:21]
	s_delay_alu instid0(VALU_DEP_2) | instskip(NEXT) | instid1(VALU_DEP_1)
	v_dual_mov_b32 v23, v5 :: v_dual_add_nc_u32 v17, v19, v17
	v_cmp_lt_u32_e64 s2, 31, v17
	s_delay_alu instid0(VALU_DEP_3) | instskip(NEXT) | instid1(VALU_DEP_2)
	v_mov_b32_e32 v22, v21
	v_cndmask_b32_e64 v19, 0, 0xffffffe0, s2
	v_cndmask_b32_e32 v16, v20, v16, vcc_lo
	s_delay_alu instid0(VALU_DEP_3) | instskip(NEXT) | instid1(VALU_DEP_1)
	v_mad_nc_u64_u32 v[22:23], 0xf534ddc0, v4, v[22:23]
	v_dual_mov_b32 v25, v5 :: v_dual_mov_b32 v24, v23
	s_delay_alu instid0(VALU_DEP_1) | instskip(NEXT) | instid1(VALU_DEP_1)
	v_mad_nc_u64_u32 v[24:25], 0xfc2757d1, v4, v[24:25]
	v_mov_b32_e32 v26, v25
	s_delay_alu instid0(VALU_DEP_1) | instskip(NEXT) | instid1(VALU_DEP_1)
	v_mad_nc_u64_u32 v[26:27], 0x4e441529, v4, v[26:27]
	v_mov_b32_e32 v28, v27
	s_delay_alu instid0(VALU_DEP_1) | instskip(NEXT) | instid1(VALU_DEP_3)
	v_mad_nc_u64_u32 v[28:29], 0xa2f9836e, v4, v[28:29]
	v_dual_cndmask_b32 v19, v26, v22 :: v_dual_add_nc_u32 v4, v19, v17
	s_delay_alu instid0(VALU_DEP_2) | instskip(NEXT) | instid1(VALU_DEP_2)
	v_cndmask_b32_e32 v21, v28, v24, vcc_lo
	v_cmp_lt_u32_e64 s3, 31, v4
	s_delay_alu instid0(VALU_DEP_4) | instskip(NEXT) | instid1(VALU_DEP_2)
	v_dual_cndmask_b32 v23, v29, v26 :: v_dual_cndmask_b32 v24, v24, v20
	v_cndmask_b32_e64 v17, 0, 0xffffffe0, s3
	s_delay_alu instid0(VALU_DEP_1) | instskip(NEXT) | instid1(VALU_DEP_3)
	v_dual_cndmask_b32 v17, v22, v18 :: v_dual_add_nc_u32 v4, v17, v4
	v_dual_cndmask_b32 v18, v21, v19, s2 :: v_dual_cndmask_b32 v21, v23, v21, s2
	s_delay_alu instid0(VALU_DEP_4) | instskip(NEXT) | instid1(VALU_DEP_3)
	v_cndmask_b32_e64 v19, v19, v24, s2
	v_dual_sub_nc_u32 v22, 32, v4 :: v_dual_cndmask_b32 v23, v24, v17, s2
	v_cmp_eq_u32_e32 vcc_lo, 0, v4
	s_delay_alu instid0(VALU_DEP_3) | instskip(NEXT) | instid1(VALU_DEP_1)
	v_dual_cndmask_b32 v21, v21, v18, s3 :: v_dual_cndmask_b32 v18, v18, v19, s3
	v_alignbit_b32 v24, v21, v18, v22
	s_delay_alu instid0(VALU_DEP_1) | instskip(NEXT) | instid1(VALU_DEP_1)
	v_dual_cndmask_b32 v19, v19, v23, s3 :: v_dual_cndmask_b32 v4, v24, v21, vcc_lo
	v_alignbit_b32 v20, v18, v19, v22
	s_delay_alu instid0(VALU_DEP_1) | instskip(NEXT) | instid1(VALU_DEP_3)
	v_dual_cndmask_b32 v16, v17, v16, s2 :: v_dual_cndmask_b32 v17, v20, v18, vcc_lo
	v_bfe_u32 v18, v4, 29, 1
	s_delay_alu instid0(VALU_DEP_2) | instskip(NEXT) | instid1(VALU_DEP_3)
	v_cndmask_b32_e64 v16, v23, v16, s3
	v_alignbit_b32 v20, v4, v17, 30
	s_delay_alu instid0(VALU_DEP_3) | instskip(NEXT) | instid1(VALU_DEP_3)
	v_sub_nc_u32_e32 v21, 0, v18
	v_alignbit_b32 v22, v19, v16, v22
	s_delay_alu instid0(VALU_DEP_1) | instskip(NEXT) | instid1(VALU_DEP_1)
	v_dual_cndmask_b32 v19, v22, v19, vcc_lo :: v_dual_bitop2_b32 v20, v20, v21 bitop3:0x14
	v_clz_i32_u32_e32 v22, v20
	s_delay_alu instid0(VALU_DEP_2) | instskip(SKIP_1) | instid1(VALU_DEP_3)
	v_alignbit_b32 v17, v17, v19, 30
	v_alignbit_b32 v16, v19, v16, 30
	v_min_u32_e32 v22, 32, v22
	s_delay_alu instid0(VALU_DEP_3) | instskip(NEXT) | instid1(VALU_DEP_3)
	v_xor_b32_e32 v17, v17, v21
	v_dual_lshrrev_b32 v21, 29, v4 :: v_dual_bitop2_b32 v16, v16, v21 bitop3:0x14
	s_delay_alu instid0(VALU_DEP_3) | instskip(NEXT) | instid1(VALU_DEP_1)
	v_dual_sub_nc_u32 v19, 31, v22 :: v_dual_lshlrev_b32 v23, 23, v22
	v_alignbit_b32 v20, v20, v17, v19
	s_delay_alu instid0(VALU_DEP_3) | instskip(NEXT) | instid1(VALU_DEP_4)
	v_alignbit_b32 v16, v17, v16, v19
	v_lshlrev_b32_e32 v17, 31, v21
	s_delay_alu instid0(VALU_DEP_2) | instskip(NEXT) | instid1(VALU_DEP_2)
	v_alignbit_b32 v19, v20, v16, 9
	v_dual_lshrrev_b32 v20, 9, v20 :: v_dual_bitop2_b32 v21, 0.5, v17 bitop3:0x54
	v_or_b32_e32 v17, 0x33000000, v17
	s_delay_alu instid0(VALU_DEP_3) | instskip(NEXT) | instid1(VALU_DEP_3)
	v_clz_i32_u32_e32 v24, v19
	v_sub_nc_u32_e32 v21, v21, v23
	s_delay_alu instid0(VALU_DEP_2) | instskip(NEXT) | instid1(VALU_DEP_1)
	v_min_u32_e32 v23, 32, v24
	v_add_lshl_u32 v22, v23, v22, 23
	s_delay_alu instid0(VALU_DEP_3) | instskip(SKIP_1) | instid1(VALU_DEP_2)
	v_or_b32_e32 v20, v20, v21
	v_not_b32_e32 v21, v23
	v_dual_mul_f32 v24, 0x3fc90fda, v20 :: v_dual_sub_nc_u32 v17, v17, v22
	s_delay_alu instid0(VALU_DEP_2) | instskip(NEXT) | instid1(VALU_DEP_2)
	v_alignbit_b32 v16, v19, v16, v21
	v_fma_f32 v19, 0x3fc90fda, v20, -v24
	s_delay_alu instid0(VALU_DEP_2) | instskip(NEXT) | instid1(VALU_DEP_2)
	v_lshrrev_b32_e32 v16, 9, v16
	v_fmac_f32_e32 v19, 0x33a22168, v20
	s_delay_alu instid0(VALU_DEP_2) | instskip(NEXT) | instid1(VALU_DEP_1)
	v_or_b32_e32 v16, v17, v16
	v_fmac_f32_e32 v19, 0x3fc90fda, v16
	s_delay_alu instid0(VALU_DEP_1) | instskip(NEXT) | instid1(VALU_DEP_1)
	v_dual_lshrrev_b32 v4, 30, v4 :: v_dual_add_f32 v16, v24, v19
	v_add_nc_u32_e32 v19, v18, v4
.LBB95_10:                              ;   in Loop: Header=BB95_4 Depth=1
	s_and_not1_saveexec_b32 s2, s23
; %bb.11:                               ;   in Loop: Header=BB95_4 Depth=1
	v_mul_f32_e64 v4, 0x3f22f983, |v10|
	s_delay_alu instid0(VALU_DEP_1) | instskip(NEXT) | instid1(VALU_DEP_1)
	v_rndne_f32_e32 v4, v4
	v_fma_f32 v16, 0xbfc90fda, v4, |v10|
	v_cvt_i32_f32_e32 v19, v4
	s_delay_alu instid0(VALU_DEP_2) | instskip(NEXT) | instid1(VALU_DEP_1)
	v_fmac_f32_e32 v16, 0xb3a22168, v4
	v_fmac_f32_e32 v16, 0xa7c234c4, v4
; %bb.12:                               ;   in Loop: Header=BB95_4 Depth=1
	s_or_b32 exec_lo, exec_lo, s2
	v_cvt_f32_f16_e32 v17, v11
                                        ; implicit-def: $vgpr22
                                        ; implicit-def: $vgpr20
	s_mov_b32 s3, exec_lo
	s_delay_alu instid0(VALU_DEP_1)
	v_and_b32_e32 v18, 0x7fffffff, v17
	v_cmpx_ngt_f32_e64 0x48000000, |v17|
	s_xor_b32 s23, exec_lo, s3
	s_cbranch_execz .LBB95_14
; %bb.13:                               ;   in Loop: Header=BB95_4 Depth=1
	s_delay_alu instid0(VALU_DEP_2) | instskip(SKIP_1) | instid1(VALU_DEP_2)
	v_and_or_b32 v4, v18, s19, 0x800000
	v_dual_mov_b32 v31, v5 :: v_dual_mov_b32 v33, v5
	v_mul_u64_e32 v[20:21], s[14:15], v[4:5]
	s_delay_alu instid0(VALU_DEP_1) | instskip(SKIP_1) | instid1(VALU_DEP_2)
	v_dual_mov_b32 v23, v5 :: v_dual_mov_b32 v22, v21
	v_lshrrev_b32_e32 v21, 23, v18
	v_mad_nc_u64_u32 v[22:23], 0x3c439041, v4, v[22:23]
	v_mov_b32_e32 v25, v5
	s_delay_alu instid0(VALU_DEP_3) | instskip(NEXT) | instid1(VALU_DEP_1)
	v_add_nc_u32_e32 v21, 0xffffff88, v21
	v_cmp_lt_u32_e32 vcc_lo, 63, v21
	s_delay_alu instid0(VALU_DEP_4) | instskip(SKIP_1) | instid1(VALU_DEP_2)
	v_mov_b32_e32 v24, v23
	v_cndmask_b32_e64 v23, 0, 0xffffffc0, vcc_lo
	v_mad_nc_u64_u32 v[24:25], 0xdb629599, v4, v[24:25]
	s_delay_alu instid0(VALU_DEP_2) | instskip(NEXT) | instid1(VALU_DEP_1)
	v_dual_mov_b32 v27, v5 :: v_dual_add_nc_u32 v21, v23, v21
	v_cmp_lt_u32_e64 s2, 31, v21
	s_delay_alu instid0(VALU_DEP_3) | instskip(NEXT) | instid1(VALU_DEP_2)
	v_mov_b32_e32 v26, v25
	v_cndmask_b32_e64 v23, 0, 0xffffffe0, s2
	v_cndmask_b32_e32 v20, v24, v20, vcc_lo
	s_delay_alu instid0(VALU_DEP_3) | instskip(NEXT) | instid1(VALU_DEP_1)
	v_mad_nc_u64_u32 v[26:27], 0xf534ddc0, v4, v[26:27]
	v_dual_mov_b32 v29, v5 :: v_dual_mov_b32 v28, v27
	s_delay_alu instid0(VALU_DEP_1) | instskip(NEXT) | instid1(VALU_DEP_1)
	v_mad_nc_u64_u32 v[28:29], 0xfc2757d1, v4, v[28:29]
	v_mov_b32_e32 v30, v29
	s_delay_alu instid0(VALU_DEP_1) | instskip(NEXT) | instid1(VALU_DEP_1)
	v_mad_nc_u64_u32 v[30:31], 0x4e441529, v4, v[30:31]
	v_mov_b32_e32 v32, v31
	s_delay_alu instid0(VALU_DEP_1) | instskip(NEXT) | instid1(VALU_DEP_3)
	v_mad_nc_u64_u32 v[32:33], 0xa2f9836e, v4, v[32:33]
	v_dual_cndmask_b32 v23, v30, v26 :: v_dual_add_nc_u32 v4, v23, v21
	s_delay_alu instid0(VALU_DEP_2) | instskip(NEXT) | instid1(VALU_DEP_2)
	v_cndmask_b32_e32 v25, v32, v28, vcc_lo
	v_cmp_lt_u32_e64 s3, 31, v4
	s_delay_alu instid0(VALU_DEP_4) | instskip(NEXT) | instid1(VALU_DEP_2)
	v_dual_cndmask_b32 v27, v33, v30 :: v_dual_cndmask_b32 v28, v28, v24
	v_cndmask_b32_e64 v21, 0, 0xffffffe0, s3
	s_delay_alu instid0(VALU_DEP_1) | instskip(NEXT) | instid1(VALU_DEP_3)
	v_dual_cndmask_b32 v21, v26, v22 :: v_dual_add_nc_u32 v4, v21, v4
	v_dual_cndmask_b32 v22, v25, v23, s2 :: v_dual_cndmask_b32 v25, v27, v25, s2
	s_delay_alu instid0(VALU_DEP_4) | instskip(NEXT) | instid1(VALU_DEP_3)
	v_cndmask_b32_e64 v23, v23, v28, s2
	v_dual_sub_nc_u32 v26, 32, v4 :: v_dual_cndmask_b32 v27, v28, v21, s2
	v_cmp_eq_u32_e32 vcc_lo, 0, v4
	s_delay_alu instid0(VALU_DEP_3) | instskip(NEXT) | instid1(VALU_DEP_1)
	v_dual_cndmask_b32 v25, v25, v22, s3 :: v_dual_cndmask_b32 v22, v22, v23, s3
	v_alignbit_b32 v28, v25, v22, v26
	s_delay_alu instid0(VALU_DEP_1) | instskip(NEXT) | instid1(VALU_DEP_1)
	v_dual_cndmask_b32 v23, v23, v27, s3 :: v_dual_cndmask_b32 v4, v28, v25, vcc_lo
	v_alignbit_b32 v24, v22, v23, v26
	s_delay_alu instid0(VALU_DEP_1) | instskip(NEXT) | instid1(VALU_DEP_3)
	v_dual_cndmask_b32 v20, v21, v20, s2 :: v_dual_cndmask_b32 v21, v24, v22, vcc_lo
	v_bfe_u32 v22, v4, 29, 1
	s_delay_alu instid0(VALU_DEP_2) | instskip(NEXT) | instid1(VALU_DEP_3)
	v_cndmask_b32_e64 v20, v27, v20, s3
	v_alignbit_b32 v24, v4, v21, 30
	s_delay_alu instid0(VALU_DEP_3) | instskip(NEXT) | instid1(VALU_DEP_3)
	v_sub_nc_u32_e32 v25, 0, v22
	v_alignbit_b32 v26, v23, v20, v26
	s_delay_alu instid0(VALU_DEP_1) | instskip(NEXT) | instid1(VALU_DEP_1)
	v_dual_cndmask_b32 v23, v26, v23, vcc_lo :: v_dual_bitop2_b32 v24, v24, v25 bitop3:0x14
	v_clz_i32_u32_e32 v26, v24
	s_delay_alu instid0(VALU_DEP_2) | instskip(SKIP_1) | instid1(VALU_DEP_3)
	v_alignbit_b32 v21, v21, v23, 30
	v_alignbit_b32 v20, v23, v20, 30
	v_min_u32_e32 v26, 32, v26
	s_delay_alu instid0(VALU_DEP_3) | instskip(NEXT) | instid1(VALU_DEP_3)
	v_xor_b32_e32 v21, v21, v25
	v_dual_lshrrev_b32 v25, 29, v4 :: v_dual_bitop2_b32 v20, v20, v25 bitop3:0x14
	s_delay_alu instid0(VALU_DEP_3) | instskip(NEXT) | instid1(VALU_DEP_1)
	v_dual_sub_nc_u32 v23, 31, v26 :: v_dual_lshlrev_b32 v27, 23, v26
	v_alignbit_b32 v24, v24, v21, v23
	s_delay_alu instid0(VALU_DEP_3) | instskip(NEXT) | instid1(VALU_DEP_4)
	v_alignbit_b32 v20, v21, v20, v23
	v_lshlrev_b32_e32 v21, 31, v25
	s_delay_alu instid0(VALU_DEP_2) | instskip(NEXT) | instid1(VALU_DEP_2)
	v_alignbit_b32 v23, v24, v20, 9
	v_dual_lshrrev_b32 v24, 9, v24 :: v_dual_bitop2_b32 v25, 0.5, v21 bitop3:0x54
	v_or_b32_e32 v21, 0x33000000, v21
	s_delay_alu instid0(VALU_DEP_3) | instskip(NEXT) | instid1(VALU_DEP_3)
	v_clz_i32_u32_e32 v28, v23
	v_sub_nc_u32_e32 v25, v25, v27
	s_delay_alu instid0(VALU_DEP_2) | instskip(NEXT) | instid1(VALU_DEP_1)
	v_min_u32_e32 v27, 32, v28
	v_add_lshl_u32 v26, v27, v26, 23
	s_delay_alu instid0(VALU_DEP_3) | instskip(SKIP_1) | instid1(VALU_DEP_2)
	v_or_b32_e32 v24, v24, v25
	v_not_b32_e32 v25, v27
	v_dual_mul_f32 v28, 0x3fc90fda, v24 :: v_dual_sub_nc_u32 v21, v21, v26
	s_delay_alu instid0(VALU_DEP_2) | instskip(NEXT) | instid1(VALU_DEP_2)
	v_alignbit_b32 v20, v23, v20, v25
	v_fma_f32 v23, 0x3fc90fda, v24, -v28
	s_delay_alu instid0(VALU_DEP_2) | instskip(NEXT) | instid1(VALU_DEP_2)
	v_lshrrev_b32_e32 v20, 9, v20
	v_fmac_f32_e32 v23, 0x33a22168, v24
	s_delay_alu instid0(VALU_DEP_2) | instskip(NEXT) | instid1(VALU_DEP_1)
	v_or_b32_e32 v20, v21, v20
	v_fmac_f32_e32 v23, 0x3fc90fda, v20
	s_delay_alu instid0(VALU_DEP_1) | instskip(NEXT) | instid1(VALU_DEP_1)
	v_dual_lshrrev_b32 v4, 30, v4 :: v_dual_add_f32 v20, v28, v23
	v_add_nc_u32_e32 v22, v22, v4
.LBB95_14:                              ;   in Loop: Header=BB95_4 Depth=1
	s_and_not1_saveexec_b32 s2, s23
; %bb.15:                               ;   in Loop: Header=BB95_4 Depth=1
	v_mul_f32_e64 v4, 0x3f22f983, |v17|
	s_delay_alu instid0(VALU_DEP_1) | instskip(NEXT) | instid1(VALU_DEP_1)
	v_rndne_f32_e32 v4, v4
	v_fma_f32 v20, 0xbfc90fda, v4, |v17|
	v_cvt_i32_f32_e32 v22, v4
	s_delay_alu instid0(VALU_DEP_2) | instskip(NEXT) | instid1(VALU_DEP_1)
	v_fmac_f32_e32 v20, 0xb3a22168, v4
	v_fmac_f32_e32 v20, 0xa7c234c4, v4
; %bb.16:                               ;   in Loop: Header=BB95_4 Depth=1
	s_or_b32 exec_lo, exec_lo, s2
	v_lshrrev_b32_e32 v4, 16, v11
                                        ; implicit-def: $vgpr23
	s_mov_b32 s3, exec_lo
	s_delay_alu instid0(VALU_DEP_1) | instskip(NEXT) | instid1(VALU_DEP_1)
	v_cvt_f32_f16_e32 v11, v4
                                        ; implicit-def: $vgpr4
	v_and_b32_e32 v21, 0x7fffffff, v11
	v_cmpx_ngt_f32_e64 0x48000000, |v11|
	s_xor_b32 s23, exec_lo, s3
	s_cbranch_execz .LBB95_18
; %bb.17:                               ;   in Loop: Header=BB95_4 Depth=1
	s_delay_alu instid0(VALU_DEP_2) | instskip(SKIP_1) | instid1(VALU_DEP_2)
	v_and_or_b32 v4, v21, s19, 0x800000
	v_dual_lshrrev_b32 v23, 23, v21 :: v_dual_mov_b32 v35, v5
	v_mul_u64_e32 v[24:25], s[14:15], v[4:5]
	v_mov_b32_e32 v27, v5
	s_delay_alu instid0(VALU_DEP_3) | instskip(NEXT) | instid1(VALU_DEP_1)
	v_add_nc_u32_e32 v23, 0xffffff88, v23
	v_cmp_lt_u32_e32 vcc_lo, 63, v23
	s_delay_alu instid0(VALU_DEP_4) | instskip(SKIP_1) | instid1(VALU_DEP_2)
	v_mov_b32_e32 v26, v25
	v_cndmask_b32_e64 v25, 0, 0xffffffc0, vcc_lo
	v_mad_nc_u64_u32 v[26:27], 0x3c439041, v4, v[26:27]
	s_delay_alu instid0(VALU_DEP_1) | instskip(NEXT) | instid1(VALU_DEP_1)
	v_dual_mov_b32 v29, v5 :: v_dual_mov_b32 v28, v27
	v_mad_nc_u64_u32 v[28:29], 0xdb629599, v4, v[28:29]
	s_delay_alu instid0(VALU_DEP_1) | instskip(NEXT) | instid1(VALU_DEP_2)
	v_dual_mov_b32 v31, v5 :: v_dual_mov_b32 v30, v29
	v_cndmask_b32_e32 v24, v28, v24, vcc_lo
	s_delay_alu instid0(VALU_DEP_2) | instskip(NEXT) | instid1(VALU_DEP_1)
	v_mad_nc_u64_u32 v[30:31], 0xf534ddc0, v4, v[30:31]
	v_dual_mov_b32 v33, v5 :: v_dual_mov_b32 v32, v31
	s_delay_alu instid0(VALU_DEP_1) | instskip(NEXT) | instid1(VALU_DEP_1)
	v_mad_nc_u64_u32 v[32:33], 0xfc2757d1, v4, v[32:33]
	v_dual_mov_b32 v34, v33 :: v_dual_cndmask_b32 v31, v32, v28
	s_delay_alu instid0(VALU_DEP_1) | instskip(SKIP_1) | instid1(VALU_DEP_2)
	v_mad_nc_u64_u32 v[34:35], 0x4e441529, v4, v[34:35]
	v_add_nc_u32_e32 v23, v25, v23
	v_dual_mov_b32 v37, v5 :: v_dual_mov_b32 v36, v35
	s_delay_alu instid0(VALU_DEP_2) | instskip(NEXT) | instid1(VALU_DEP_2)
	v_cmp_lt_u32_e64 s2, 31, v23
	v_mad_nc_u64_u32 v[36:37], 0xa2f9836e, v4, v[36:37]
	s_delay_alu instid0(VALU_DEP_2) | instskip(NEXT) | instid1(VALU_DEP_1)
	v_cndmask_b32_e64 v25, 0, 0xffffffe0, s2
	v_dual_cndmask_b32 v25, v34, v30 :: v_dual_add_nc_u32 v4, v25, v23
	s_delay_alu instid0(VALU_DEP_3) | instskip(NEXT) | instid1(VALU_DEP_2)
	v_cndmask_b32_e32 v27, v36, v32, vcc_lo
	v_cmp_lt_u32_e64 s3, 31, v4
	v_cndmask_b32_e32 v29, v37, v34, vcc_lo
	s_delay_alu instid0(VALU_DEP_2) | instskip(NEXT) | instid1(VALU_DEP_1)
	v_cndmask_b32_e64 v23, 0, 0xffffffe0, s3
	v_dual_cndmask_b32 v23, v30, v26 :: v_dual_add_nc_u32 v4, v23, v4
	s_delay_alu instid0(VALU_DEP_3) | instskip(NEXT) | instid1(VALU_DEP_2)
	v_dual_cndmask_b32 v26, v27, v25, s2 :: v_dual_cndmask_b32 v27, v29, v27, s2
	v_dual_cndmask_b32 v25, v25, v31, s2 :: v_dual_sub_nc_u32 v29, 32, v4
	s_delay_alu instid0(VALU_DEP_3) | instskip(SKIP_1) | instid1(VALU_DEP_3)
	v_cndmask_b32_e64 v30, v31, v23, s2
	v_cmp_eq_u32_e32 vcc_lo, 0, v4
	v_dual_cndmask_b32 v27, v27, v26, s3 :: v_dual_cndmask_b32 v26, v26, v25, s3
	s_delay_alu instid0(VALU_DEP_1) | instskip(NEXT) | instid1(VALU_DEP_1)
	v_alignbit_b32 v31, v27, v26, v29
	v_dual_cndmask_b32 v25, v25, v30, s3 :: v_dual_cndmask_b32 v4, v31, v27, vcc_lo
	s_delay_alu instid0(VALU_DEP_1) | instskip(NEXT) | instid1(VALU_DEP_1)
	v_alignbit_b32 v28, v26, v25, v29
	v_dual_cndmask_b32 v23, v23, v24, s2 :: v_dual_cndmask_b32 v24, v28, v26, vcc_lo
	s_delay_alu instid0(VALU_DEP_3) | instskip(NEXT) | instid1(VALU_DEP_2)
	v_bfe_u32 v26, v4, 29, 1
	v_cndmask_b32_e64 v23, v30, v23, s3
	s_delay_alu instid0(VALU_DEP_3) | instskip(NEXT) | instid1(VALU_DEP_3)
	v_alignbit_b32 v27, v4, v24, 30
	v_sub_nc_u32_e32 v28, 0, v26
	s_delay_alu instid0(VALU_DEP_3) | instskip(NEXT) | instid1(VALU_DEP_1)
	v_alignbit_b32 v29, v25, v23, v29
	v_dual_cndmask_b32 v25, v29, v25, vcc_lo :: v_dual_bitop2_b32 v27, v27, v28 bitop3:0x14
	s_delay_alu instid0(VALU_DEP_1) | instskip(NEXT) | instid1(VALU_DEP_2)
	v_clz_i32_u32_e32 v29, v27
	v_alignbit_b32 v24, v24, v25, 30
	v_alignbit_b32 v23, v25, v23, 30
	s_delay_alu instid0(VALU_DEP_3) | instskip(NEXT) | instid1(VALU_DEP_3)
	v_min_u32_e32 v29, 32, v29
	v_xor_b32_e32 v24, v24, v28
	s_delay_alu instid0(VALU_DEP_3) | instskip(NEXT) | instid1(VALU_DEP_3)
	v_xor_b32_e32 v23, v23, v28
	v_dual_lshrrev_b32 v28, 29, v4 :: v_dual_lshlrev_b32 v30, 23, v29
	v_sub_nc_u32_e32 v25, 31, v29
	s_delay_alu instid0(VALU_DEP_1) | instskip(NEXT) | instid1(VALU_DEP_4)
	v_alignbit_b32 v27, v27, v24, v25
	v_alignbit_b32 v23, v24, v23, v25
	s_delay_alu instid0(VALU_DEP_4) | instskip(NEXT) | instid1(VALU_DEP_2)
	v_lshlrev_b32_e32 v24, 31, v28
	v_alignbit_b32 v25, v27, v23, 9
	s_delay_alu instid0(VALU_DEP_2) | instskip(SKIP_1) | instid1(VALU_DEP_3)
	v_dual_lshrrev_b32 v27, 9, v27 :: v_dual_bitop2_b32 v28, 0.5, v24 bitop3:0x54
	v_or_b32_e32 v24, 0x33000000, v24
	v_clz_i32_u32_e32 v31, v25
	s_delay_alu instid0(VALU_DEP_3) | instskip(NEXT) | instid1(VALU_DEP_2)
	v_sub_nc_u32_e32 v28, v28, v30
	v_min_u32_e32 v30, 32, v31
	s_delay_alu instid0(VALU_DEP_1) | instskip(NEXT) | instid1(VALU_DEP_3)
	v_add_lshl_u32 v29, v30, v29, 23
	v_or_b32_e32 v27, v27, v28
	v_not_b32_e32 v28, v30
	s_delay_alu instid0(VALU_DEP_2) | instskip(NEXT) | instid1(VALU_DEP_2)
	v_dual_mul_f32 v31, 0x3fc90fda, v27 :: v_dual_sub_nc_u32 v24, v24, v29
	v_alignbit_b32 v23, v25, v23, v28
	s_delay_alu instid0(VALU_DEP_2) | instskip(NEXT) | instid1(VALU_DEP_2)
	v_fma_f32 v25, 0x3fc90fda, v27, -v31
	v_lshrrev_b32_e32 v23, 9, v23
	s_delay_alu instid0(VALU_DEP_2) | instskip(NEXT) | instid1(VALU_DEP_2)
	v_fmac_f32_e32 v25, 0x33a22168, v27
	v_or_b32_e32 v23, v24, v23
	s_delay_alu instid0(VALU_DEP_1) | instskip(NEXT) | instid1(VALU_DEP_1)
	v_fmac_f32_e32 v25, 0x3fc90fda, v23
	v_dual_add_f32 v4, v31, v25 :: v_dual_lshrrev_b32 v23, 30, v4
	s_delay_alu instid0(VALU_DEP_1)
	v_add_nc_u32_e32 v23, v26, v23
.LBB95_18:                              ;   in Loop: Header=BB95_4 Depth=1
	s_and_not1_saveexec_b32 s2, s23
	s_cbranch_execz .LBB95_3
; %bb.19:                               ;   in Loop: Header=BB95_4 Depth=1
	v_mul_f32_e64 v4, 0x3f22f983, |v11|
	s_delay_alu instid0(VALU_DEP_1) | instskip(NEXT) | instid1(VALU_DEP_1)
	v_rndne_f32_e32 v23, v4
	v_fma_f32 v4, 0xbfc90fda, v23, |v11|
	s_delay_alu instid0(VALU_DEP_1) | instskip(NEXT) | instid1(VALU_DEP_1)
	v_fmac_f32_e32 v4, 0xb3a22168, v23
	v_fmac_f32_e32 v4, 0xa7c234c4, v23
	v_cvt_i32_f32_e32 v23, v23
	s_branch .LBB95_3
.LBB95_20:
	s_or_b32 exec_lo, exec_lo, s18
	s_mov_b32 s2, 0
.LBB95_21:
	s_delay_alu instid0(SALU_CYCLE_1)
	s_and_not1_b32 vcc_lo, exec_lo, s2
	s_cbranch_vccnz .LBB95_57
; %bb.22:
	v_cmp_lt_i64_e64 s2, s[10:11], 1
	s_and_b32 vcc_lo, exec_lo, s2
	s_cbranch_vccnz .LBB95_57
; %bb.23:
	s_load_b32 s0, s[0:1], 0xc5c
	v_min_i64 v[2:3], 0x10000, s[10:11]
	v_min_u64 v[6:7], 0x10000, s[10:11]
	v_dual_mov_b32 v5, 0 :: v_dual_lshlrev_b32 v4, 1, v0
	s_mov_b32 s13, 0
	s_mov_b64 s[14:15], 0
	s_mov_b32 s11, s13
	s_delay_alu instid0(VALU_DEP_1)
	v_mov_b32_e32 v1, v5
	v_add_nc_u64_e32 v[8:9], s[4:5], v[4:5]
	v_add_nc_u64_e32 v[10:11], s[8:9], v[4:5]
	s_wait_xcnt 0x0
	s_mov_b32 s1, s13
	s_mov_b32 s3, s13
	;; [unrolled: 1-line block ×5, first 2 shown]
	s_wait_kmcnt 0x0
	s_and_b32 s12, s0, 0xffff
	s_delay_alu instid0(SALU_CYCLE_1)
	v_add_nc_u64_e32 v[12:13], s[12:13], v[0:1]
	v_mad_nc_u64_u32 v[24:25], s12, 6, v[4:5]
	s_lshl_b32 s10, s12, 2
	s_lshl_b32 s0, s12, 1
	v_add_nc_u64_e32 v[20:21], s[10:11], v[4:5]
	s_mul_i32 s2, s12, 3
	s_lshl_b32 s12, s12, 3
	v_lshlrev_b32_e32 v4, 1, v12
	v_add_nc_u64_e32 v[14:15], s[2:3], v[0:1]
	v_add_nc_u64_e32 v[16:17], s[0:1], v[0:1]
	s_delay_alu instid0(VALU_DEP_4)
	v_add_nc_u64_e32 v[18:19], s[4:5], v[20:21]
	v_add_nc_u64_e32 v[20:21], s[8:9], v[20:21]
	;; [unrolled: 1-line block ×6, first 2 shown]
	s_mov_b64 s[8:9], 0xfe5163ab
	s_branch .LBB95_25
.LBB95_24:                              ;   in Loop: Header=BB95_25 Depth=1
	s_wait_xcnt 0x0
	s_or_b32 exec_lo, exec_lo, s0
	s_add_nc_u64 s[14:15], s[14:15], s[10:11]
	v_add_nc_u64_e32 v[8:9], s[12:13], v[8:9]
	v_cmp_ge_i64_e32 vcc_lo, s[14:15], v[2:3]
	v_add_nc_u64_e32 v[10:11], s[12:13], v[10:11]
	v_add_nc_u64_e32 v[22:23], s[12:13], v[22:23]
	v_add_nc_u64_e32 v[24:25], s[12:13], v[24:25]
	v_add_nc_u64_e32 v[18:19], s[12:13], v[18:19]
	v_add_nc_u64_e32 v[20:21], s[12:13], v[20:21]
	v_add_nc_u64_e32 v[26:27], s[12:13], v[26:27]
	v_add_nc_u64_e32 v[28:29], s[12:13], v[28:29]
	s_cbranch_vccnz .LBB95_57
.LBB95_25:                              ; =>This Inner Loop Header: Depth=1
	v_add_nc_u64_e32 v[30:31], s[14:15], v[0:1]
	v_mov_b32_e32 v33, 0
	s_delay_alu instid0(VALU_DEP_2)
	v_cmp_lt_u64_e64 s2, v[30:31], v[6:7]
	s_and_saveexec_b32 s0, s2
	s_cbranch_execz .LBB95_27
; %bb.26:                               ;   in Loop: Header=BB95_25 Depth=1
	v_add_nc_u64_e32 v[30:31], s[6:7], v[8:9]
	global_load_u16 v4, v[30:31], off
	s_wait_loadcnt 0x0
	v_cvt_f32_f16_e32 v33, v4
.LBB95_27:                              ;   in Loop: Header=BB95_25 Depth=1
	s_wait_xcnt 0x0
	s_or_b32 exec_lo, exec_lo, s0
	v_add_nc_u64_e32 v[30:31], s[14:15], v[12:13]
	v_mov_b32_e32 v32, 0
	s_delay_alu instid0(VALU_DEP_2)
	v_cmp_lt_u64_e64 s1, v[30:31], v[6:7]
	v_mov_b32_e32 v31, 0
	s_and_saveexec_b32 s0, s1
	s_cbranch_execz .LBB95_29
; %bb.28:                               ;   in Loop: Header=BB95_25 Depth=1
	v_add_nc_u64_e32 v[34:35], s[6:7], v[26:27]
	global_load_u16 v4, v[34:35], off
	s_wait_loadcnt 0x0
	v_cvt_f32_f16_e32 v32, v4
.LBB95_29:                              ;   in Loop: Header=BB95_25 Depth=1
	s_wait_xcnt 0x0
	s_or_b32 exec_lo, exec_lo, s0
	v_add_nc_u64_e32 v[34:35], s[14:15], v[16:17]
	s_delay_alu instid0(VALU_DEP_1)
	v_cmp_lt_u64_e64 s0, v[34:35], v[6:7]
	s_and_saveexec_b32 s3, s0
	s_cbranch_execz .LBB95_31
; %bb.30:                               ;   in Loop: Header=BB95_25 Depth=1
	v_add_nc_u64_e32 v[30:31], s[6:7], v[18:19]
	global_load_u16 v4, v[30:31], off
	s_wait_loadcnt 0x0
	v_cvt_f32_f16_e32 v31, v4
.LBB95_31:                              ;   in Loop: Header=BB95_25 Depth=1
	s_or_b32 exec_lo, exec_lo, s3
	v_add_nc_u64_e32 v[34:35], s[14:15], v[14:15]
	v_mov_b32_e32 v30, 0
	s_delay_alu instid0(VALU_DEP_2)
	v_cmp_lt_u64_e32 vcc_lo, v[34:35], v[6:7]
	s_and_saveexec_b32 s3, vcc_lo
	s_cbranch_execz .LBB95_33
; %bb.32:                               ;   in Loop: Header=BB95_25 Depth=1
	v_add_nc_u64_e32 v[34:35], s[6:7], v[22:23]
	global_load_u16 v4, v[34:35], off
	s_wait_loadcnt 0x0
	v_cvt_f32_f16_e32 v30, v4
.LBB95_33:                              ;   in Loop: Header=BB95_25 Depth=1
	s_wait_xcnt 0x0
	s_or_b32 exec_lo, exec_lo, s3
	v_and_b32_e32 v34, 0x7fffffff, v33
                                        ; implicit-def: $vgpr37
                                        ; implicit-def: $vgpr35
	s_mov_b32 s4, exec_lo
	v_cmpx_ngt_f32_e64 0x48000000, |v33|
	s_xor_b32 s19, exec_lo, s4
	s_cbranch_execz .LBB95_35
; %bb.34:                               ;   in Loop: Header=BB95_25 Depth=1
	v_and_or_b32 v4, v34, s16, 0x800000
	v_dual_lshrrev_b32 v35, 23, v34 :: v_dual_mov_b32 v47, v5
	s_delay_alu instid0(VALU_DEP_2) | instskip(SKIP_1) | instid1(VALU_DEP_3)
	v_mul_u64_e32 v[36:37], s[8:9], v[4:5]
	v_mov_b32_e32 v39, v5
	v_add_nc_u32_e32 v35, 0xffffff88, v35
	s_delay_alu instid0(VALU_DEP_1) | instskip(NEXT) | instid1(VALU_DEP_4)
	v_cmp_lt_u32_e64 s3, 63, v35
	v_mov_b32_e32 v38, v37
	s_delay_alu instid0(VALU_DEP_2) | instskip(NEXT) | instid1(VALU_DEP_2)
	v_cndmask_b32_e64 v37, 0, 0xffffffc0, s3
	v_mad_nc_u64_u32 v[38:39], 0x3c439041, v4, v[38:39]
	s_delay_alu instid0(VALU_DEP_1) | instskip(NEXT) | instid1(VALU_DEP_1)
	v_dual_mov_b32 v41, v5 :: v_dual_mov_b32 v40, v39
	v_mad_nc_u64_u32 v[40:41], 0xdb629599, v4, v[40:41]
	s_delay_alu instid0(VALU_DEP_1) | instskip(NEXT) | instid1(VALU_DEP_2)
	v_dual_mov_b32 v43, v5 :: v_dual_mov_b32 v42, v41
	v_cndmask_b32_e64 v36, v40, v36, s3
	s_delay_alu instid0(VALU_DEP_2) | instskip(NEXT) | instid1(VALU_DEP_1)
	v_mad_nc_u64_u32 v[42:43], 0xf534ddc0, v4, v[42:43]
	v_dual_mov_b32 v45, v5 :: v_dual_mov_b32 v44, v43
	s_delay_alu instid0(VALU_DEP_1) | instskip(NEXT) | instid1(VALU_DEP_1)
	v_mad_nc_u64_u32 v[44:45], 0xfc2757d1, v4, v[44:45]
	v_dual_mov_b32 v46, v45 :: v_dual_cndmask_b32 v43, v44, v40, s3
	s_delay_alu instid0(VALU_DEP_1) | instskip(SKIP_1) | instid1(VALU_DEP_2)
	v_mad_nc_u64_u32 v[46:47], 0x4e441529, v4, v[46:47]
	v_add_nc_u32_e32 v35, v37, v35
	v_dual_mov_b32 v49, v5 :: v_dual_mov_b32 v48, v47
	s_delay_alu instid0(VALU_DEP_2) | instskip(NEXT) | instid1(VALU_DEP_2)
	v_cmp_lt_u32_e64 s4, 31, v35
	v_mad_nc_u64_u32 v[48:49], 0xa2f9836e, v4, v[48:49]
	s_delay_alu instid0(VALU_DEP_2) | instskip(NEXT) | instid1(VALU_DEP_1)
	v_cndmask_b32_e64 v37, 0, 0xffffffe0, s4
	v_dual_add_nc_u32 v4, v37, v35 :: v_dual_cndmask_b32 v37, v46, v42, s3
	s_delay_alu instid0(VALU_DEP_3) | instskip(NEXT) | instid1(VALU_DEP_2)
	v_cndmask_b32_e64 v39, v48, v44, s3
	v_cmp_lt_u32_e64 s5, 31, v4
	v_cndmask_b32_e64 v41, v49, v46, s3
	s_delay_alu instid0(VALU_DEP_2) | instskip(NEXT) | instid1(VALU_DEP_1)
	v_cndmask_b32_e64 v35, 0, 0xffffffe0, s5
	v_dual_add_nc_u32 v4, v35, v4 :: v_dual_cndmask_b32 v35, v42, v38, s3
	s_delay_alu instid0(VALU_DEP_3) | instskip(NEXT) | instid1(VALU_DEP_2)
	v_dual_cndmask_b32 v38, v39, v37, s4 :: v_dual_cndmask_b32 v39, v41, v39, s4
	v_dual_cndmask_b32 v37, v37, v43, s4 :: v_dual_sub_nc_u32 v41, 32, v4
	s_delay_alu instid0(VALU_DEP_3) | instskip(SKIP_1) | instid1(VALU_DEP_3)
	v_cndmask_b32_e64 v42, v43, v35, s4
	v_cmp_eq_u32_e64 s3, 0, v4
	v_dual_cndmask_b32 v39, v39, v38, s5 :: v_dual_cndmask_b32 v38, v38, v37, s5
	s_delay_alu instid0(VALU_DEP_1) | instskip(NEXT) | instid1(VALU_DEP_1)
	v_alignbit_b32 v43, v39, v38, v41
	v_dual_cndmask_b32 v37, v37, v42, s5 :: v_dual_cndmask_b32 v4, v43, v39, s3
	s_delay_alu instid0(VALU_DEP_1) | instskip(NEXT) | instid1(VALU_DEP_1)
	v_alignbit_b32 v40, v38, v37, v41
	v_dual_cndmask_b32 v35, v35, v36, s4 :: v_dual_cndmask_b32 v36, v40, v38, s3
	s_delay_alu instid0(VALU_DEP_3) | instskip(NEXT) | instid1(VALU_DEP_2)
	v_bfe_u32 v38, v4, 29, 1
	v_cndmask_b32_e64 v35, v42, v35, s5
	s_delay_alu instid0(VALU_DEP_3) | instskip(NEXT) | instid1(VALU_DEP_3)
	v_alignbit_b32 v39, v4, v36, 30
	v_sub_nc_u32_e32 v40, 0, v38
	s_delay_alu instid0(VALU_DEP_3) | instskip(NEXT) | instid1(VALU_DEP_1)
	v_alignbit_b32 v41, v37, v35, v41
	v_dual_cndmask_b32 v37, v41, v37, s3 :: v_dual_bitop2_b32 v39, v39, v40 bitop3:0x14
	s_delay_alu instid0(VALU_DEP_1) | instskip(NEXT) | instid1(VALU_DEP_2)
	v_clz_i32_u32_e32 v41, v39
	v_alignbit_b32 v36, v36, v37, 30
	v_alignbit_b32 v35, v37, v35, 30
	s_delay_alu instid0(VALU_DEP_3) | instskip(NEXT) | instid1(VALU_DEP_3)
	v_min_u32_e32 v41, 32, v41
	v_xor_b32_e32 v36, v36, v40
	s_delay_alu instid0(VALU_DEP_3) | instskip(SKIP_1) | instid1(VALU_DEP_4)
	v_xor_b32_e32 v35, v35, v40
	v_dual_lshrrev_b32 v40, 29, v4 :: v_dual_lshrrev_b32 v4, 30, v4
	v_dual_sub_nc_u32 v37, 31, v41 :: v_dual_lshlrev_b32 v42, 23, v41
	s_delay_alu instid0(VALU_DEP_1) | instskip(NEXT) | instid1(VALU_DEP_4)
	v_alignbit_b32 v39, v39, v36, v37
	v_alignbit_b32 v35, v36, v35, v37
	s_delay_alu instid0(VALU_DEP_4) | instskip(NEXT) | instid1(VALU_DEP_2)
	v_lshlrev_b32_e32 v36, 31, v40
	v_alignbit_b32 v37, v39, v35, 9
	s_delay_alu instid0(VALU_DEP_2) | instskip(SKIP_1) | instid1(VALU_DEP_3)
	v_dual_lshrrev_b32 v39, 9, v39 :: v_dual_bitop2_b32 v40, 0.5, v36 bitop3:0x54
	v_or_b32_e32 v36, 0x33000000, v36
	v_clz_i32_u32_e32 v43, v37
	s_delay_alu instid0(VALU_DEP_3) | instskip(NEXT) | instid1(VALU_DEP_2)
	v_sub_nc_u32_e32 v40, v40, v42
	v_min_u32_e32 v42, 32, v43
	s_delay_alu instid0(VALU_DEP_1) | instskip(NEXT) | instid1(VALU_DEP_3)
	v_add_lshl_u32 v41, v42, v41, 23
	v_or_b32_e32 v39, v39, v40
	v_not_b32_e32 v40, v42
	s_delay_alu instid0(VALU_DEP_2) | instskip(NEXT) | instid1(VALU_DEP_2)
	v_dual_mul_f32 v43, 0x3fc90fda, v39 :: v_dual_sub_nc_u32 v36, v36, v41
	v_alignbit_b32 v35, v37, v35, v40
	s_delay_alu instid0(VALU_DEP_2) | instskip(NEXT) | instid1(VALU_DEP_2)
	v_fma_f32 v37, 0x3fc90fda, v39, -v43
	v_lshrrev_b32_e32 v35, 9, v35
	s_delay_alu instid0(VALU_DEP_2) | instskip(NEXT) | instid1(VALU_DEP_2)
	v_fmac_f32_e32 v37, 0x33a22168, v39
	v_or_b32_e32 v35, v36, v35
	s_delay_alu instid0(VALU_DEP_1) | instskip(NEXT) | instid1(VALU_DEP_1)
	v_fmac_f32_e32 v37, 0x3fc90fda, v35
	v_dual_add_f32 v35, v43, v37 :: v_dual_add_nc_u32 v37, v38, v4
.LBB95_35:                              ;   in Loop: Header=BB95_25 Depth=1
	s_and_not1_saveexec_b32 s3, s19
; %bb.36:                               ;   in Loop: Header=BB95_25 Depth=1
	v_mul_f32_e64 v4, 0x3f22f983, |v33|
	s_delay_alu instid0(VALU_DEP_1) | instskip(NEXT) | instid1(VALU_DEP_1)
	v_rndne_f32_e32 v4, v4
	v_fma_f32 v35, 0xbfc90fda, v4, |v33|
	v_cvt_i32_f32_e32 v37, v4
	s_delay_alu instid0(VALU_DEP_2) | instskip(NEXT) | instid1(VALU_DEP_1)
	v_fmac_f32_e32 v35, 0xb3a22168, v4
	v_fmac_f32_e32 v35, 0xa7c234c4, v4
; %bb.37:                               ;   in Loop: Header=BB95_25 Depth=1
	s_or_b32 exec_lo, exec_lo, s3
	v_and_b32_e32 v36, 0x7fffffff, v32
                                        ; implicit-def: $vgpr40
                                        ; implicit-def: $vgpr39
	s_mov_b32 s4, exec_lo
	v_cmpx_ngt_f32_e64 0x48000000, |v32|
	s_xor_b32 s19, exec_lo, s4
	s_cbranch_execz .LBB95_39
; %bb.38:                               ;   in Loop: Header=BB95_25 Depth=1
	v_and_or_b32 v4, v36, s16, 0x800000
	v_mov_b32_e32 v49, v5
	s_delay_alu instid0(VALU_DEP_2) | instskip(NEXT) | instid1(VALU_DEP_1)
	v_mul_u64_e32 v[38:39], s[8:9], v[4:5]
	v_dual_mov_b32 v41, v5 :: v_dual_mov_b32 v40, v39
	v_lshrrev_b32_e32 v39, 23, v36
	s_delay_alu instid0(VALU_DEP_2) | instskip(SKIP_1) | instid1(VALU_DEP_3)
	v_mad_nc_u64_u32 v[40:41], 0x3c439041, v4, v[40:41]
	v_mov_b32_e32 v43, v5
	v_add_nc_u32_e32 v39, 0xffffff88, v39
	s_delay_alu instid0(VALU_DEP_1) | instskip(NEXT) | instid1(VALU_DEP_4)
	v_cmp_lt_u32_e64 s3, 63, v39
	v_mov_b32_e32 v42, v41
	s_delay_alu instid0(VALU_DEP_2) | instskip(NEXT) | instid1(VALU_DEP_2)
	v_cndmask_b32_e64 v41, 0, 0xffffffc0, s3
	v_mad_nc_u64_u32 v[42:43], 0xdb629599, v4, v[42:43]
	s_delay_alu instid0(VALU_DEP_1) | instskip(NEXT) | instid1(VALU_DEP_2)
	v_dual_mov_b32 v45, v5 :: v_dual_mov_b32 v44, v43
	v_cndmask_b32_e64 v38, v42, v38, s3
	s_delay_alu instid0(VALU_DEP_2) | instskip(NEXT) | instid1(VALU_DEP_1)
	v_mad_nc_u64_u32 v[44:45], 0xf534ddc0, v4, v[44:45]
	v_dual_mov_b32 v47, v5 :: v_dual_mov_b32 v46, v45
	s_delay_alu instid0(VALU_DEP_1) | instskip(NEXT) | instid1(VALU_DEP_1)
	v_mad_nc_u64_u32 v[46:47], 0xfc2757d1, v4, v[46:47]
	v_mov_b32_e32 v48, v47
	s_delay_alu instid0(VALU_DEP_1) | instskip(SKIP_2) | instid1(VALU_DEP_2)
	v_mad_nc_u64_u32 v[48:49], 0x4e441529, v4, v[48:49]
	v_add_nc_u32_e32 v39, v41, v39
	v_mov_b32_e32 v51, v5
	v_cmp_lt_u32_e64 s4, 31, v39
	s_delay_alu instid0(VALU_DEP_4) | instskip(NEXT) | instid1(VALU_DEP_2)
	v_mov_b32_e32 v50, v49
	v_cndmask_b32_e64 v41, 0, 0xffffffe0, s4
	s_delay_alu instid0(VALU_DEP_2) | instskip(NEXT) | instid1(VALU_DEP_2)
	v_mad_nc_u64_u32 v[50:51], 0xa2f9836e, v4, v[50:51]
	v_dual_add_nc_u32 v4, v41, v39 :: v_dual_cndmask_b32 v41, v48, v44, s3
	s_delay_alu instid0(VALU_DEP_2) | instskip(NEXT) | instid1(VALU_DEP_2)
	v_cndmask_b32_e64 v43, v50, v46, s3
	v_cmp_lt_u32_e64 s5, 31, v4
	s_delay_alu instid0(VALU_DEP_4) | instskip(NEXT) | instid1(VALU_DEP_2)
	v_dual_cndmask_b32 v45, v51, v48, s3 :: v_dual_cndmask_b32 v46, v46, v42, s3
	v_cndmask_b32_e64 v39, 0, 0xffffffe0, s5
	s_delay_alu instid0(VALU_DEP_1) | instskip(SKIP_1) | instid1(VALU_DEP_4)
	v_add_nc_u32_e32 v4, v39, v4
	v_dual_cndmask_b32 v39, v44, v40, s3 :: v_dual_cndmask_b32 v40, v43, v41, s4
	v_cndmask_b32_e64 v43, v45, v43, s4
	s_delay_alu instid0(VALU_DEP_3) | instskip(NEXT) | instid1(VALU_DEP_3)
	v_dual_cndmask_b32 v41, v41, v46, s4 :: v_dual_sub_nc_u32 v44, 32, v4
	v_cndmask_b32_e64 v45, v46, v39, s4
	v_cmp_eq_u32_e64 s3, 0, v4
	s_delay_alu instid0(VALU_DEP_3) | instskip(NEXT) | instid1(VALU_DEP_1)
	v_dual_cndmask_b32 v43, v43, v40, s5 :: v_dual_cndmask_b32 v40, v40, v41, s5
	v_alignbit_b32 v46, v43, v40, v44
	s_delay_alu instid0(VALU_DEP_1) | instskip(NEXT) | instid1(VALU_DEP_1)
	v_dual_cndmask_b32 v41, v41, v45, s5 :: v_dual_cndmask_b32 v4, v46, v43, s3
	v_alignbit_b32 v42, v40, v41, v44
	s_delay_alu instid0(VALU_DEP_1) | instskip(NEXT) | instid1(VALU_DEP_3)
	v_dual_cndmask_b32 v38, v39, v38, s4 :: v_dual_cndmask_b32 v39, v42, v40, s3
	v_bfe_u32 v40, v4, 29, 1
	s_delay_alu instid0(VALU_DEP_2) | instskip(NEXT) | instid1(VALU_DEP_3)
	v_cndmask_b32_e64 v38, v45, v38, s5
	v_alignbit_b32 v42, v4, v39, 30
	s_delay_alu instid0(VALU_DEP_3) | instskip(NEXT) | instid1(VALU_DEP_3)
	v_sub_nc_u32_e32 v43, 0, v40
	v_alignbit_b32 v44, v41, v38, v44
	s_delay_alu instid0(VALU_DEP_1) | instskip(NEXT) | instid1(VALU_DEP_1)
	v_dual_cndmask_b32 v41, v44, v41, s3 :: v_dual_bitop2_b32 v42, v42, v43 bitop3:0x14
	v_clz_i32_u32_e32 v44, v42
	s_delay_alu instid0(VALU_DEP_2) | instskip(SKIP_1) | instid1(VALU_DEP_3)
	v_alignbit_b32 v39, v39, v41, 30
	v_alignbit_b32 v38, v41, v38, 30
	v_min_u32_e32 v44, 32, v44
	s_delay_alu instid0(VALU_DEP_3) | instskip(NEXT) | instid1(VALU_DEP_3)
	v_xor_b32_e32 v39, v39, v43
	v_dual_lshrrev_b32 v43, 29, v4 :: v_dual_bitop2_b32 v38, v38, v43 bitop3:0x14
	v_lshrrev_b32_e32 v4, 30, v4
	s_delay_alu instid0(VALU_DEP_4) | instskip(NEXT) | instid1(VALU_DEP_2)
	v_dual_sub_nc_u32 v41, 31, v44 :: v_dual_lshlrev_b32 v45, 23, v44
	v_add_nc_u32_e32 v40, v40, v4
	s_delay_alu instid0(VALU_DEP_2) | instskip(SKIP_2) | instid1(VALU_DEP_2)
	v_alignbit_b32 v42, v42, v39, v41
	v_alignbit_b32 v38, v39, v38, v41
	v_lshlrev_b32_e32 v39, 31, v43
	v_alignbit_b32 v41, v42, v38, 9
	s_delay_alu instid0(VALU_DEP_2) | instskip(SKIP_1) | instid1(VALU_DEP_3)
	v_dual_lshrrev_b32 v42, 9, v42 :: v_dual_bitop2_b32 v43, 0.5, v39 bitop3:0x54
	v_or_b32_e32 v39, 0x33000000, v39
	v_clz_i32_u32_e32 v46, v41
	s_delay_alu instid0(VALU_DEP_3) | instskip(NEXT) | instid1(VALU_DEP_2)
	v_sub_nc_u32_e32 v43, v43, v45
	v_min_u32_e32 v45, 32, v46
	s_delay_alu instid0(VALU_DEP_1) | instskip(NEXT) | instid1(VALU_DEP_3)
	v_add_lshl_u32 v44, v45, v44, 23
	v_or_b32_e32 v42, v42, v43
	v_not_b32_e32 v43, v45
	s_delay_alu instid0(VALU_DEP_2) | instskip(NEXT) | instid1(VALU_DEP_2)
	v_dual_mul_f32 v46, 0x3fc90fda, v42 :: v_dual_sub_nc_u32 v39, v39, v44
	v_alignbit_b32 v38, v41, v38, v43
	s_delay_alu instid0(VALU_DEP_2) | instskip(NEXT) | instid1(VALU_DEP_2)
	v_fma_f32 v41, 0x3fc90fda, v42, -v46
	v_lshrrev_b32_e32 v38, 9, v38
	s_delay_alu instid0(VALU_DEP_2) | instskip(NEXT) | instid1(VALU_DEP_2)
	v_fmac_f32_e32 v41, 0x33a22168, v42
	v_or_b32_e32 v38, v39, v38
	s_delay_alu instid0(VALU_DEP_1) | instskip(NEXT) | instid1(VALU_DEP_1)
	v_fmac_f32_e32 v41, 0x3fc90fda, v38
	v_add_f32_e32 v39, v46, v41
.LBB95_39:                              ;   in Loop: Header=BB95_25 Depth=1
	s_and_not1_saveexec_b32 s3, s19
; %bb.40:                               ;   in Loop: Header=BB95_25 Depth=1
	v_mul_f32_e64 v4, 0x3f22f983, |v32|
	s_delay_alu instid0(VALU_DEP_1) | instskip(NEXT) | instid1(VALU_DEP_1)
	v_rndne_f32_e32 v4, v4
	v_fma_f32 v39, 0xbfc90fda, v4, |v32|
	v_cvt_i32_f32_e32 v40, v4
	s_delay_alu instid0(VALU_DEP_2) | instskip(NEXT) | instid1(VALU_DEP_1)
	v_fmac_f32_e32 v39, 0xb3a22168, v4
	v_fmac_f32_e32 v39, 0xa7c234c4, v4
; %bb.41:                               ;   in Loop: Header=BB95_25 Depth=1
	s_or_b32 exec_lo, exec_lo, s3
	v_and_b32_e32 v38, 0x7fffffff, v31
                                        ; implicit-def: $vgpr43
                                        ; implicit-def: $vgpr42
	s_mov_b32 s4, exec_lo
	v_cmpx_ngt_f32_e64 0x48000000, |v31|
	s_xor_b32 s19, exec_lo, s4
	s_cbranch_execz .LBB95_43
; %bb.42:                               ;   in Loop: Header=BB95_25 Depth=1
	v_and_or_b32 v4, v38, s16, 0x800000
	v_dual_lshrrev_b32 v41, 23, v38 :: v_dual_mov_b32 v53, v5
	v_mov_b32_e32 v55, v5
	s_delay_alu instid0(VALU_DEP_3) | instskip(SKIP_1) | instid1(VALU_DEP_4)
	v_mul_u64_e32 v[42:43], s[8:9], v[4:5]
	v_mov_b32_e32 v45, v5
	v_add_nc_u32_e32 v41, 0xffffff88, v41
	s_delay_alu instid0(VALU_DEP_1) | instskip(NEXT) | instid1(VALU_DEP_4)
	v_cmp_lt_u32_e64 s3, 63, v41
	v_mov_b32_e32 v44, v43
	s_delay_alu instid0(VALU_DEP_2) | instskip(NEXT) | instid1(VALU_DEP_2)
	v_cndmask_b32_e64 v43, 0, 0xffffffc0, s3
	v_mad_nc_u64_u32 v[44:45], 0x3c439041, v4, v[44:45]
	s_delay_alu instid0(VALU_DEP_2) | instskip(NEXT) | instid1(VALU_DEP_1)
	v_dual_mov_b32 v47, v5 :: v_dual_add_nc_u32 v41, v43, v41
	v_cmp_lt_u32_e64 s4, 31, v41
	s_delay_alu instid0(VALU_DEP_3) | instskip(NEXT) | instid1(VALU_DEP_2)
	v_mov_b32_e32 v46, v45
	v_cndmask_b32_e64 v43, 0, 0xffffffe0, s4
	s_delay_alu instid0(VALU_DEP_2) | instskip(NEXT) | instid1(VALU_DEP_1)
	v_mad_nc_u64_u32 v[46:47], 0xdb629599, v4, v[46:47]
	v_dual_mov_b32 v49, v5 :: v_dual_mov_b32 v48, v47
	s_delay_alu instid0(VALU_DEP_2) | instskip(NEXT) | instid1(VALU_DEP_2)
	v_cndmask_b32_e64 v42, v46, v42, s3
	v_mad_nc_u64_u32 v[48:49], 0xf534ddc0, v4, v[48:49]
	s_delay_alu instid0(VALU_DEP_1) | instskip(NEXT) | instid1(VALU_DEP_1)
	v_dual_mov_b32 v51, v5 :: v_dual_mov_b32 v50, v49
	v_mad_nc_u64_u32 v[50:51], 0xfc2757d1, v4, v[50:51]
	s_delay_alu instid0(VALU_DEP_1) | instskip(NEXT) | instid1(VALU_DEP_1)
	v_dual_mov_b32 v52, v51 :: v_dual_cndmask_b32 v49, v50, v46, s3
	v_mad_nc_u64_u32 v[52:53], 0x4e441529, v4, v[52:53]
	s_delay_alu instid0(VALU_DEP_1) | instskip(NEXT) | instid1(VALU_DEP_1)
	v_mov_b32_e32 v54, v53
	v_mad_nc_u64_u32 v[54:55], 0xa2f9836e, v4, v[54:55]
	s_delay_alu instid0(VALU_DEP_3) | instskip(NEXT) | instid1(VALU_DEP_1)
	v_dual_add_nc_u32 v4, v43, v41 :: v_dual_cndmask_b32 v43, v52, v48, s3
	v_cmp_lt_u32_e64 s5, 31, v4
	s_delay_alu instid0(VALU_DEP_1) | instskip(NEXT) | instid1(VALU_DEP_4)
	v_cndmask_b32_e64 v41, 0, 0xffffffe0, s5
	v_dual_cndmask_b32 v45, v54, v50, s3 :: v_dual_cndmask_b32 v47, v55, v52, s3
	s_delay_alu instid0(VALU_DEP_2) | instskip(NEXT) | instid1(VALU_DEP_2)
	v_add_nc_u32_e32 v4, v41, v4
	v_dual_cndmask_b32 v41, v48, v44, s3 :: v_dual_cndmask_b32 v44, v45, v43, s4
	s_delay_alu instid0(VALU_DEP_3) | instskip(NEXT) | instid1(VALU_DEP_3)
	v_cndmask_b32_e64 v45, v47, v45, s4
	v_dual_cndmask_b32 v43, v43, v49, s4 :: v_dual_sub_nc_u32 v47, 32, v4
	s_delay_alu instid0(VALU_DEP_3) | instskip(SKIP_1) | instid1(VALU_DEP_3)
	v_cndmask_b32_e64 v48, v49, v41, s4
	v_cmp_eq_u32_e64 s3, 0, v4
	v_dual_cndmask_b32 v45, v45, v44, s5 :: v_dual_cndmask_b32 v44, v44, v43, s5
	s_delay_alu instid0(VALU_DEP_1) | instskip(NEXT) | instid1(VALU_DEP_1)
	v_alignbit_b32 v49, v45, v44, v47
	v_dual_cndmask_b32 v43, v43, v48, s5 :: v_dual_cndmask_b32 v4, v49, v45, s3
	s_delay_alu instid0(VALU_DEP_1) | instskip(NEXT) | instid1(VALU_DEP_1)
	v_alignbit_b32 v46, v44, v43, v47
	v_dual_cndmask_b32 v41, v41, v42, s4 :: v_dual_cndmask_b32 v42, v46, v44, s3
	s_delay_alu instid0(VALU_DEP_3) | instskip(NEXT) | instid1(VALU_DEP_2)
	v_bfe_u32 v44, v4, 29, 1
	v_cndmask_b32_e64 v41, v48, v41, s5
	s_delay_alu instid0(VALU_DEP_3) | instskip(NEXT) | instid1(VALU_DEP_3)
	v_alignbit_b32 v45, v4, v42, 30
	v_sub_nc_u32_e32 v46, 0, v44
	s_delay_alu instid0(VALU_DEP_3) | instskip(NEXT) | instid1(VALU_DEP_1)
	v_alignbit_b32 v47, v43, v41, v47
	v_dual_cndmask_b32 v43, v47, v43, s3 :: v_dual_bitop2_b32 v45, v45, v46 bitop3:0x14
	s_delay_alu instid0(VALU_DEP_1) | instskip(NEXT) | instid1(VALU_DEP_2)
	v_clz_i32_u32_e32 v47, v45
	v_alignbit_b32 v42, v42, v43, 30
	v_alignbit_b32 v41, v43, v41, 30
	s_delay_alu instid0(VALU_DEP_3) | instskip(NEXT) | instid1(VALU_DEP_3)
	v_min_u32_e32 v47, 32, v47
	v_xor_b32_e32 v42, v42, v46
	s_delay_alu instid0(VALU_DEP_3) | instskip(NEXT) | instid1(VALU_DEP_3)
	v_dual_lshrrev_b32 v46, 29, v4 :: v_dual_bitop2_b32 v41, v41, v46 bitop3:0x14
	v_dual_lshrrev_b32 v4, 30, v4 :: v_dual_sub_nc_u32 v43, 31, v47
	v_lshlrev_b32_e32 v48, 23, v47
	s_delay_alu instid0(VALU_DEP_2) | instskip(NEXT) | instid1(VALU_DEP_4)
	v_alignbit_b32 v45, v45, v42, v43
	v_alignbit_b32 v41, v42, v41, v43
	v_lshlrev_b32_e32 v42, 31, v46
	s_delay_alu instid0(VALU_DEP_2) | instskip(NEXT) | instid1(VALU_DEP_2)
	v_alignbit_b32 v43, v45, v41, 9
	v_dual_lshrrev_b32 v45, 9, v45 :: v_dual_bitop2_b32 v46, 0.5, v42 bitop3:0x54
	v_or_b32_e32 v42, 0x33000000, v42
	s_delay_alu instid0(VALU_DEP_3) | instskip(NEXT) | instid1(VALU_DEP_3)
	v_clz_i32_u32_e32 v49, v43
	v_sub_nc_u32_e32 v46, v46, v48
	s_delay_alu instid0(VALU_DEP_2) | instskip(NEXT) | instid1(VALU_DEP_1)
	v_min_u32_e32 v48, 32, v49
	v_add_lshl_u32 v47, v48, v47, 23
	s_delay_alu instid0(VALU_DEP_3) | instskip(SKIP_1) | instid1(VALU_DEP_2)
	v_or_b32_e32 v45, v45, v46
	v_not_b32_e32 v46, v48
	v_dual_mul_f32 v49, 0x3fc90fda, v45 :: v_dual_sub_nc_u32 v42, v42, v47
	s_delay_alu instid0(VALU_DEP_2) | instskip(NEXT) | instid1(VALU_DEP_2)
	v_alignbit_b32 v41, v43, v41, v46
	v_fma_f32 v43, 0x3fc90fda, v45, -v49
	s_delay_alu instid0(VALU_DEP_2) | instskip(NEXT) | instid1(VALU_DEP_2)
	v_lshrrev_b32_e32 v41, 9, v41
	v_fmac_f32_e32 v43, 0x33a22168, v45
	s_delay_alu instid0(VALU_DEP_2) | instskip(NEXT) | instid1(VALU_DEP_1)
	v_or_b32_e32 v41, v42, v41
	v_fmac_f32_e32 v43, 0x3fc90fda, v41
	s_delay_alu instid0(VALU_DEP_1)
	v_dual_add_f32 v42, v49, v43 :: v_dual_add_nc_u32 v43, v44, v4
.LBB95_43:                              ;   in Loop: Header=BB95_25 Depth=1
	s_and_not1_saveexec_b32 s3, s19
; %bb.44:                               ;   in Loop: Header=BB95_25 Depth=1
	v_mul_f32_e64 v4, 0x3f22f983, |v31|
	s_delay_alu instid0(VALU_DEP_1) | instskip(NEXT) | instid1(VALU_DEP_1)
	v_rndne_f32_e32 v4, v4
	v_fma_f32 v42, 0xbfc90fda, v4, |v31|
	v_cvt_i32_f32_e32 v43, v4
	s_delay_alu instid0(VALU_DEP_2) | instskip(NEXT) | instid1(VALU_DEP_1)
	v_fmac_f32_e32 v42, 0xb3a22168, v4
	v_fmac_f32_e32 v42, 0xa7c234c4, v4
; %bb.45:                               ;   in Loop: Header=BB95_25 Depth=1
	s_or_b32 exec_lo, exec_lo, s3
	v_and_b32_e32 v41, 0x7fffffff, v30
                                        ; implicit-def: $vgpr44
                                        ; implicit-def: $vgpr4
	s_mov_b32 s4, exec_lo
	v_cmpx_ngt_f32_e64 0x48000000, |v30|
	s_xor_b32 s19, exec_lo, s4
	s_cbranch_execnz .LBB95_51
; %bb.46:                               ;   in Loop: Header=BB95_25 Depth=1
	s_and_not1_saveexec_b32 s3, s19
	s_cbranch_execnz .LBB95_52
.LBB95_47:                              ;   in Loop: Header=BB95_25 Depth=1
	s_or_b32 exec_lo, exec_lo, s3
	s_and_saveexec_b32 s3, s2
	s_delay_alu instid0(SALU_CYCLE_1)
	s_xor_b32 s3, exec_lo, s3
	s_cbranch_execnz .LBB95_53
.LBB95_48:                              ;   in Loop: Header=BB95_25 Depth=1
	s_or_b32 exec_lo, exec_lo, s3
	s_and_saveexec_b32 s2, s1
	s_cbranch_execnz .LBB95_54
.LBB95_49:                              ;   in Loop: Header=BB95_25 Depth=1
	s_or_b32 exec_lo, exec_lo, s2
	s_and_saveexec_b32 s1, s0
	s_cbranch_execnz .LBB95_55
.LBB95_50:                              ;   in Loop: Header=BB95_25 Depth=1
	s_or_b32 exec_lo, exec_lo, s1
	s_and_saveexec_b32 s0, vcc_lo
	s_cbranch_execz .LBB95_24
	s_branch .LBB95_56
.LBB95_51:                              ;   in Loop: Header=BB95_25 Depth=1
	v_and_or_b32 v4, v41, s16, 0x800000
	v_dual_mov_b32 v55, v5 :: v_dual_mov_b32 v57, v5
	s_delay_alu instid0(VALU_DEP_2) | instskip(NEXT) | instid1(VALU_DEP_1)
	v_mul_u64_e32 v[44:45], s[8:9], v[4:5]
	v_dual_mov_b32 v47, v5 :: v_dual_mov_b32 v46, v45
	v_lshrrev_b32_e32 v45, 23, v41
	s_delay_alu instid0(VALU_DEP_2) | instskip(SKIP_1) | instid1(VALU_DEP_3)
	v_mad_nc_u64_u32 v[46:47], 0x3c439041, v4, v[46:47]
	v_mov_b32_e32 v49, v5
	v_add_nc_u32_e32 v45, 0xffffff88, v45
	s_delay_alu instid0(VALU_DEP_1) | instskip(NEXT) | instid1(VALU_DEP_4)
	v_cmp_lt_u32_e64 s3, 63, v45
	v_mov_b32_e32 v48, v47
	s_delay_alu instid0(VALU_DEP_2) | instskip(NEXT) | instid1(VALU_DEP_2)
	v_cndmask_b32_e64 v47, 0, 0xffffffc0, s3
	v_mad_nc_u64_u32 v[48:49], 0xdb629599, v4, v[48:49]
	s_delay_alu instid0(VALU_DEP_2) | instskip(NEXT) | instid1(VALU_DEP_1)
	v_dual_mov_b32 v51, v5 :: v_dual_add_nc_u32 v45, v47, v45
	v_cmp_lt_u32_e64 s4, 31, v45
	s_delay_alu instid0(VALU_DEP_3) | instskip(NEXT) | instid1(VALU_DEP_2)
	v_mov_b32_e32 v50, v49
	v_cndmask_b32_e64 v47, 0, 0xffffffe0, s4
	v_cndmask_b32_e64 v44, v48, v44, s3
	s_delay_alu instid0(VALU_DEP_3) | instskip(NEXT) | instid1(VALU_DEP_1)
	v_mad_nc_u64_u32 v[50:51], 0xf534ddc0, v4, v[50:51]
	v_dual_mov_b32 v53, v5 :: v_dual_mov_b32 v52, v51
	s_delay_alu instid0(VALU_DEP_1) | instskip(NEXT) | instid1(VALU_DEP_1)
	v_mad_nc_u64_u32 v[52:53], 0xfc2757d1, v4, v[52:53]
	v_mov_b32_e32 v54, v53
	s_delay_alu instid0(VALU_DEP_1) | instskip(NEXT) | instid1(VALU_DEP_1)
	v_mad_nc_u64_u32 v[54:55], 0x4e441529, v4, v[54:55]
	v_mov_b32_e32 v56, v55
	s_delay_alu instid0(VALU_DEP_1) | instskip(NEXT) | instid1(VALU_DEP_3)
	v_mad_nc_u64_u32 v[56:57], 0xa2f9836e, v4, v[56:57]
	v_dual_add_nc_u32 v4, v47, v45 :: v_dual_cndmask_b32 v47, v54, v50, s3
	s_delay_alu instid0(VALU_DEP_2) | instskip(NEXT) | instid1(VALU_DEP_2)
	v_cndmask_b32_e64 v49, v56, v52, s3
	v_cmp_lt_u32_e64 s5, 31, v4
	s_delay_alu instid0(VALU_DEP_4) | instskip(NEXT) | instid1(VALU_DEP_2)
	v_dual_cndmask_b32 v51, v57, v54, s3 :: v_dual_cndmask_b32 v52, v52, v48, s3
	v_cndmask_b32_e64 v45, 0, 0xffffffe0, s5
	s_delay_alu instid0(VALU_DEP_1) | instskip(NEXT) | instid1(VALU_DEP_3)
	v_dual_add_nc_u32 v4, v45, v4 :: v_dual_cndmask_b32 v45, v50, v46, s3
	v_dual_cndmask_b32 v46, v49, v47, s4 :: v_dual_cndmask_b32 v49, v51, v49, s4
	s_delay_alu instid0(VALU_DEP_4) | instskip(NEXT) | instid1(VALU_DEP_3)
	v_cndmask_b32_e64 v47, v47, v52, s4
	v_dual_sub_nc_u32 v50, 32, v4 :: v_dual_cndmask_b32 v51, v52, v45, s4
	v_cmp_eq_u32_e64 s3, 0, v4
	s_delay_alu instid0(VALU_DEP_3) | instskip(NEXT) | instid1(VALU_DEP_1)
	v_dual_cndmask_b32 v49, v49, v46, s5 :: v_dual_cndmask_b32 v46, v46, v47, s5
	v_alignbit_b32 v52, v49, v46, v50
	s_delay_alu instid0(VALU_DEP_1) | instskip(NEXT) | instid1(VALU_DEP_1)
	v_dual_cndmask_b32 v47, v47, v51, s5 :: v_dual_cndmask_b32 v4, v52, v49, s3
	v_alignbit_b32 v48, v46, v47, v50
	s_delay_alu instid0(VALU_DEP_1) | instskip(NEXT) | instid1(VALU_DEP_3)
	v_dual_cndmask_b32 v44, v45, v44, s4 :: v_dual_cndmask_b32 v45, v48, v46, s3
	v_bfe_u32 v46, v4, 29, 1
	s_delay_alu instid0(VALU_DEP_2) | instskip(NEXT) | instid1(VALU_DEP_3)
	v_cndmask_b32_e64 v44, v51, v44, s5
	v_alignbit_b32 v48, v4, v45, 30
	s_delay_alu instid0(VALU_DEP_3) | instskip(NEXT) | instid1(VALU_DEP_3)
	v_sub_nc_u32_e32 v49, 0, v46
	v_alignbit_b32 v50, v47, v44, v50
	s_delay_alu instid0(VALU_DEP_1) | instskip(NEXT) | instid1(VALU_DEP_1)
	v_dual_cndmask_b32 v47, v50, v47, s3 :: v_dual_bitop2_b32 v48, v48, v49 bitop3:0x14
	v_clz_i32_u32_e32 v50, v48
	s_delay_alu instid0(VALU_DEP_2) | instskip(SKIP_1) | instid1(VALU_DEP_3)
	v_alignbit_b32 v45, v45, v47, 30
	v_alignbit_b32 v44, v47, v44, 30
	v_min_u32_e32 v50, 32, v50
	s_delay_alu instid0(VALU_DEP_3) | instskip(NEXT) | instid1(VALU_DEP_3)
	v_xor_b32_e32 v45, v45, v49
	v_dual_lshrrev_b32 v49, 29, v4 :: v_dual_bitop2_b32 v44, v44, v49 bitop3:0x14
	s_delay_alu instid0(VALU_DEP_3) | instskip(NEXT) | instid1(VALU_DEP_1)
	v_dual_sub_nc_u32 v47, 31, v50 :: v_dual_lshlrev_b32 v51, 23, v50
	v_alignbit_b32 v48, v48, v45, v47
	s_delay_alu instid0(VALU_DEP_3) | instskip(NEXT) | instid1(VALU_DEP_4)
	v_alignbit_b32 v44, v45, v44, v47
	v_lshlrev_b32_e32 v45, 31, v49
	s_delay_alu instid0(VALU_DEP_2) | instskip(NEXT) | instid1(VALU_DEP_2)
	v_alignbit_b32 v47, v48, v44, 9
	v_dual_lshrrev_b32 v48, 9, v48 :: v_dual_bitop2_b32 v49, 0.5, v45 bitop3:0x54
	v_or_b32_e32 v45, 0x33000000, v45
	s_delay_alu instid0(VALU_DEP_3) | instskip(NEXT) | instid1(VALU_DEP_3)
	v_clz_i32_u32_e32 v52, v47
	v_sub_nc_u32_e32 v49, v49, v51
	s_delay_alu instid0(VALU_DEP_2) | instskip(NEXT) | instid1(VALU_DEP_1)
	v_min_u32_e32 v51, 32, v52
	v_add_lshl_u32 v50, v51, v50, 23
	s_delay_alu instid0(VALU_DEP_3) | instskip(SKIP_1) | instid1(VALU_DEP_2)
	v_or_b32_e32 v48, v48, v49
	v_not_b32_e32 v49, v51
	v_dual_mul_f32 v52, 0x3fc90fda, v48 :: v_dual_sub_nc_u32 v45, v45, v50
	s_delay_alu instid0(VALU_DEP_2) | instskip(NEXT) | instid1(VALU_DEP_2)
	v_alignbit_b32 v44, v47, v44, v49
	v_fma_f32 v47, 0x3fc90fda, v48, -v52
	s_delay_alu instid0(VALU_DEP_2) | instskip(NEXT) | instid1(VALU_DEP_2)
	v_lshrrev_b32_e32 v44, 9, v44
	v_fmac_f32_e32 v47, 0x33a22168, v48
	s_delay_alu instid0(VALU_DEP_2) | instskip(NEXT) | instid1(VALU_DEP_1)
	v_or_b32_e32 v44, v45, v44
	v_fmac_f32_e32 v47, 0x3fc90fda, v44
	v_lshrrev_b32_e32 v44, 30, v4
	s_delay_alu instid0(VALU_DEP_1)
	v_dual_add_nc_u32 v44, v46, v44 :: v_dual_add_f32 v4, v52, v47
	s_and_not1_saveexec_b32 s3, s19
	s_cbranch_execz .LBB95_47
.LBB95_52:                              ;   in Loop: Header=BB95_25 Depth=1
	v_mul_f32_e64 v4, 0x3f22f983, |v30|
	s_delay_alu instid0(VALU_DEP_1) | instskip(NEXT) | instid1(VALU_DEP_1)
	v_rndne_f32_e32 v44, v4
	v_fma_f32 v4, 0xbfc90fda, v44, |v30|
	s_delay_alu instid0(VALU_DEP_1) | instskip(NEXT) | instid1(VALU_DEP_1)
	v_fmac_f32_e32 v4, 0xb3a22168, v44
	v_fmac_f32_e32 v4, 0xa7c234c4, v44
	v_cvt_i32_f32_e32 v44, v44
	s_or_b32 exec_lo, exec_lo, s3
	s_and_saveexec_b32 s3, s2
	s_delay_alu instid0(SALU_CYCLE_1)
	s_xor_b32 s3, exec_lo, s3
	s_cbranch_execz .LBB95_48
.LBB95_53:                              ;   in Loop: Header=BB95_25 Depth=1
	v_dual_mul_f32 v45, v35, v35 :: v_dual_bitop2_b32 v37, 1, v37 bitop3:0x40
	s_delay_alu instid0(VALU_DEP_1) | instskip(SKIP_1) | instid1(VALU_DEP_3)
	v_fmaak_f32 v46, s18, v45, 0xbf039337
	v_fmaak_f32 v47, s17, v45, 0x3ec54587
	v_cmp_eq_u32_e64 s2, 0, v37
	s_delay_alu instid0(VALU_DEP_3) | instskip(NEXT) | instid1(VALU_DEP_1)
	v_fmaak_f32 v46, v45, v46, 0x3f93f425
	v_rcp_f32_e32 v46, v46
	v_nop
	s_delay_alu instid0(TRANS32_DEP_1) | instskip(NEXT) | instid1(VALU_DEP_1)
	v_mul_f32_e32 v46, v47, v46
	v_mul_f32_e32 v45, v45, v46
	s_delay_alu instid0(VALU_DEP_1) | instskip(NEXT) | instid1(VALU_DEP_1)
	v_fma_f32 v46, v45, v35, v35
	v_rcp_f32_e32 v47, v46
	v_sub_f32_e32 v48, v46, v35
	s_delay_alu instid0(VALU_DEP_1) | instskip(NEXT) | instid1(TRANS32_DEP_1)
	v_fma_f32 v35, v45, v35, -v48
	v_fma_f32 v45, v46, -v47, 1.0
	s_delay_alu instid0(VALU_DEP_1) | instskip(NEXT) | instid1(VALU_DEP_1)
	v_fma_f32 v35, v35, -v47, v45
	v_fma_f32 v35, v35, -v47, -v47
	s_delay_alu instid0(VALU_DEP_1) | instskip(SKIP_1) | instid1(VALU_DEP_2)
	v_cndmask_b32_e64 v35, v35, v46, s2
	v_cmp_class_f32_e64 s2, v33, 0x1f8
	v_xor3_b32 v34, v34, v33, v35
	s_delay_alu instid0(VALU_DEP_1) | instskip(SKIP_1) | instid1(VALU_DEP_2)
	v_cndmask_b32_e64 v33, 0x7fc00000, v34, s2
	v_add_nc_u64_e32 v[34:35], s[6:7], v[10:11]
	v_cvt_f16_f32_e32 v33, v33
	global_store_b16 v[34:35], v33, off
	s_wait_xcnt 0x0
	s_or_b32 exec_lo, exec_lo, s3
	s_and_saveexec_b32 s2, s1
	s_cbranch_execz .LBB95_49
.LBB95_54:                              ;   in Loop: Header=BB95_25 Depth=1
	v_mul_f32_e32 v33, v39, v39
	s_delay_alu instid0(VALU_DEP_1) | instskip(SKIP_1) | instid1(VALU_DEP_2)
	v_fmaak_f32 v34, s18, v33, 0xbf039337
	v_fmaak_f32 v35, s17, v33, 0x3ec54587
	;; [unrolled: 1-line block ×3, first 2 shown]
	s_delay_alu instid0(VALU_DEP_1) | instskip(SKIP_1) | instid1(TRANS32_DEP_1)
	v_rcp_f32_e32 v34, v34
	v_nop
	v_mul_f32_e32 v34, v35, v34
	s_delay_alu instid0(VALU_DEP_1) | instskip(NEXT) | instid1(VALU_DEP_1)
	v_mul_f32_e32 v33, v33, v34
	v_fma_f32 v34, v33, v39, v39
	s_delay_alu instid0(VALU_DEP_1) | instskip(SKIP_1) | instid1(VALU_DEP_1)
	v_rcp_f32_e32 v35, v34
	v_sub_f32_e32 v37, v34, v39
	v_fma_f32 v33, v33, v39, -v37
	s_delay_alu instid0(TRANS32_DEP_1) | instskip(NEXT) | instid1(VALU_DEP_1)
	v_fma_f32 v37, v34, -v35, 1.0
	v_dual_fma_f32 v33, v33, -v35, v37 :: v_dual_bitop2_b32 v37, 1, v40 bitop3:0x40
	s_delay_alu instid0(VALU_DEP_1) | instskip(NEXT) | instid1(VALU_DEP_2)
	v_fma_f32 v33, v33, -v35, -v35
	v_cmp_eq_u32_e64 s1, 0, v37
	s_delay_alu instid0(VALU_DEP_1) | instskip(SKIP_1) | instid1(VALU_DEP_2)
	v_cndmask_b32_e64 v33, v33, v34, s1
	v_cmp_class_f32_e64 s1, v32, 0x1f8
	v_xor3_b32 v33, v36, v32, v33
	s_delay_alu instid0(VALU_DEP_1) | instskip(SKIP_1) | instid1(VALU_DEP_2)
	v_cndmask_b32_e64 v34, 0x7fc00000, v33, s1
	v_add_nc_u64_e32 v[32:33], s[6:7], v[28:29]
	v_cvt_f16_f32_e32 v34, v34
	global_store_b16 v[32:33], v34, off
	s_wait_xcnt 0x0
	s_or_b32 exec_lo, exec_lo, s2
	s_and_saveexec_b32 s1, s0
	s_cbranch_execz .LBB95_50
.LBB95_55:                              ;   in Loop: Header=BB95_25 Depth=1
	v_mul_f32_e32 v32, v42, v42
	s_delay_alu instid0(VALU_DEP_1) | instskip(SKIP_1) | instid1(VALU_DEP_2)
	v_fmaak_f32 v33, s18, v32, 0xbf039337
	v_fmaak_f32 v34, s17, v32, 0x3ec54587
	;; [unrolled: 1-line block ×3, first 2 shown]
	s_delay_alu instid0(VALU_DEP_1) | instskip(SKIP_1) | instid1(TRANS32_DEP_1)
	v_rcp_f32_e32 v33, v33
	v_nop
	v_mul_f32_e32 v33, v34, v33
	s_delay_alu instid0(VALU_DEP_1) | instskip(NEXT) | instid1(VALU_DEP_1)
	v_mul_f32_e32 v32, v32, v33
	v_fma_f32 v33, v32, v42, v42
	s_delay_alu instid0(VALU_DEP_1) | instskip(SKIP_1) | instid1(VALU_DEP_1)
	v_rcp_f32_e32 v34, v33
	v_sub_f32_e32 v35, v33, v42
	v_fma_f32 v32, v32, v42, -v35
	s_delay_alu instid0(TRANS32_DEP_1) | instskip(NEXT) | instid1(VALU_DEP_1)
	v_fma_f32 v35, v33, -v34, 1.0
	v_dual_fma_f32 v32, v32, -v34, v35 :: v_dual_bitop2_b32 v35, 1, v43 bitop3:0x40
	s_delay_alu instid0(VALU_DEP_1) | instskip(NEXT) | instid1(VALU_DEP_2)
	v_fma_f32 v32, v32, -v34, -v34
	v_cmp_eq_u32_e64 s0, 0, v35
	s_delay_alu instid0(VALU_DEP_1) | instskip(SKIP_1) | instid1(VALU_DEP_2)
	v_cndmask_b32_e64 v32, v32, v33, s0
	v_cmp_class_f32_e64 s0, v31, 0x1f8
	v_xor3_b32 v32, v38, v31, v32
	s_delay_alu instid0(VALU_DEP_1) | instskip(SKIP_1) | instid1(VALU_DEP_2)
	v_cndmask_b32_e64 v31, 0x7fc00000, v32, s0
	v_add_nc_u64_e32 v[32:33], s[6:7], v[20:21]
	v_cvt_f16_f32_e32 v31, v31
	global_store_b16 v[32:33], v31, off
	s_wait_xcnt 0x0
	s_or_b32 exec_lo, exec_lo, s1
	s_and_saveexec_b32 s0, vcc_lo
	s_cbranch_execz .LBB95_24
.LBB95_56:                              ;   in Loop: Header=BB95_25 Depth=1
	v_mul_f32_e32 v31, v4, v4
	s_delay_alu instid0(VALU_DEP_1) | instskip(SKIP_1) | instid1(VALU_DEP_2)
	v_fmaak_f32 v32, s18, v31, 0xbf039337
	v_fmaak_f32 v33, s17, v31, 0x3ec54587
	;; [unrolled: 1-line block ×3, first 2 shown]
	s_delay_alu instid0(VALU_DEP_1) | instskip(SKIP_1) | instid1(TRANS32_DEP_1)
	v_rcp_f32_e32 v32, v32
	v_nop
	v_mul_f32_e32 v32, v33, v32
	s_delay_alu instid0(VALU_DEP_1) | instskip(NEXT) | instid1(VALU_DEP_1)
	v_mul_f32_e32 v31, v31, v32
	v_fma_f32 v32, v31, v4, v4
	s_delay_alu instid0(VALU_DEP_1) | instskip(NEXT) | instid1(VALU_DEP_1)
	v_sub_f32_e32 v34, v32, v4
	v_fma_f32 v4, v31, v4, -v34
	v_rcp_f32_e32 v33, v32
	v_nop
	s_delay_alu instid0(TRANS32_DEP_1) | instskip(NEXT) | instid1(VALU_DEP_1)
	v_fma_f32 v31, v32, -v33, 1.0
	v_dual_fma_f32 v4, v4, -v33, v31 :: v_dual_bitop2_b32 v31, 1, v44 bitop3:0x40
	s_delay_alu instid0(VALU_DEP_1) | instskip(NEXT) | instid1(VALU_DEP_2)
	v_fma_f32 v4, v4, -v33, -v33
	v_cmp_eq_u32_e32 vcc_lo, 0, v31
	s_delay_alu instid0(VALU_DEP_2) | instskip(SKIP_1) | instid1(VALU_DEP_2)
	v_cndmask_b32_e32 v4, v4, v32, vcc_lo
	v_cmp_class_f32_e64 vcc_lo, v30, 0x1f8
	v_xor3_b32 v4, v41, v30, v4
	v_add_nc_u64_e32 v[30:31], s[6:7], v[24:25]
	s_delay_alu instid0(VALU_DEP_2) | instskip(NEXT) | instid1(VALU_DEP_1)
	v_cndmask_b32_e32 v4, 0x7fc00000, v4, vcc_lo
	v_cvt_f16_f32_e32 v4, v4
	global_store_b16 v[30:31], v4, off
	s_branch .LBB95_24
.LBB95_57:
	s_endpgm
	.section	.rodata,"a",@progbits
	.p2align	6, 0x0
	.amdhsa_kernel _ZN2at6native12_GLOBAL__N_125multi_tensor_apply_kernelINS1_18TensorListMetadataILi2EEENS1_14UnaryOpFunctorIN3c104HalfELi2ELi1ELi1EEEJNS0_3TanIfEEEEEvT_T0_DpT1_
		.amdhsa_group_segment_fixed_size 0
		.amdhsa_private_segment_fixed_size 0
		.amdhsa_kernarg_size 3408
		.amdhsa_user_sgpr_count 2
		.amdhsa_user_sgpr_dispatch_ptr 0
		.amdhsa_user_sgpr_queue_ptr 0
		.amdhsa_user_sgpr_kernarg_segment_ptr 1
		.amdhsa_user_sgpr_dispatch_id 0
		.amdhsa_user_sgpr_kernarg_preload_length 0
		.amdhsa_user_sgpr_kernarg_preload_offset 0
		.amdhsa_user_sgpr_private_segment_size 0
		.amdhsa_wavefront_size32 1
		.amdhsa_uses_dynamic_stack 0
		.amdhsa_enable_private_segment 0
		.amdhsa_system_sgpr_workgroup_id_x 1
		.amdhsa_system_sgpr_workgroup_id_y 0
		.amdhsa_system_sgpr_workgroup_id_z 0
		.amdhsa_system_sgpr_workgroup_info 0
		.amdhsa_system_vgpr_workitem_id 0
		.amdhsa_next_free_vgpr 58
		.amdhsa_next_free_sgpr 24
		.amdhsa_named_barrier_count 0
		.amdhsa_reserve_vcc 1
		.amdhsa_float_round_mode_32 0
		.amdhsa_float_round_mode_16_64 0
		.amdhsa_float_denorm_mode_32 3
		.amdhsa_float_denorm_mode_16_64 3
		.amdhsa_fp16_overflow 0
		.amdhsa_memory_ordered 1
		.amdhsa_forward_progress 1
		.amdhsa_inst_pref_size 71
		.amdhsa_round_robin_scheduling 0
		.amdhsa_exception_fp_ieee_invalid_op 0
		.amdhsa_exception_fp_denorm_src 0
		.amdhsa_exception_fp_ieee_div_zero 0
		.amdhsa_exception_fp_ieee_overflow 0
		.amdhsa_exception_fp_ieee_underflow 0
		.amdhsa_exception_fp_ieee_inexact 0
		.amdhsa_exception_int_div_zero 0
	.end_amdhsa_kernel
	.section	.text._ZN2at6native12_GLOBAL__N_125multi_tensor_apply_kernelINS1_18TensorListMetadataILi2EEENS1_14UnaryOpFunctorIN3c104HalfELi2ELi1ELi1EEEJNS0_3TanIfEEEEEvT_T0_DpT1_,"axG",@progbits,_ZN2at6native12_GLOBAL__N_125multi_tensor_apply_kernelINS1_18TensorListMetadataILi2EEENS1_14UnaryOpFunctorIN3c104HalfELi2ELi1ELi1EEEJNS0_3TanIfEEEEEvT_T0_DpT1_,comdat
.Lfunc_end95:
	.size	_ZN2at6native12_GLOBAL__N_125multi_tensor_apply_kernelINS1_18TensorListMetadataILi2EEENS1_14UnaryOpFunctorIN3c104HalfELi2ELi1ELi1EEEJNS0_3TanIfEEEEEvT_T0_DpT1_, .Lfunc_end95-_ZN2at6native12_GLOBAL__N_125multi_tensor_apply_kernelINS1_18TensorListMetadataILi2EEENS1_14UnaryOpFunctorIN3c104HalfELi2ELi1ELi1EEEJNS0_3TanIfEEEEEvT_T0_DpT1_
                                        ; -- End function
	.set _ZN2at6native12_GLOBAL__N_125multi_tensor_apply_kernelINS1_18TensorListMetadataILi2EEENS1_14UnaryOpFunctorIN3c104HalfELi2ELi1ELi1EEEJNS0_3TanIfEEEEEvT_T0_DpT1_.num_vgpr, 58
	.set _ZN2at6native12_GLOBAL__N_125multi_tensor_apply_kernelINS1_18TensorListMetadataILi2EEENS1_14UnaryOpFunctorIN3c104HalfELi2ELi1ELi1EEEJNS0_3TanIfEEEEEvT_T0_DpT1_.num_agpr, 0
	.set _ZN2at6native12_GLOBAL__N_125multi_tensor_apply_kernelINS1_18TensorListMetadataILi2EEENS1_14UnaryOpFunctorIN3c104HalfELi2ELi1ELi1EEEJNS0_3TanIfEEEEEvT_T0_DpT1_.numbered_sgpr, 24
	.set _ZN2at6native12_GLOBAL__N_125multi_tensor_apply_kernelINS1_18TensorListMetadataILi2EEENS1_14UnaryOpFunctorIN3c104HalfELi2ELi1ELi1EEEJNS0_3TanIfEEEEEvT_T0_DpT1_.num_named_barrier, 0
	.set _ZN2at6native12_GLOBAL__N_125multi_tensor_apply_kernelINS1_18TensorListMetadataILi2EEENS1_14UnaryOpFunctorIN3c104HalfELi2ELi1ELi1EEEJNS0_3TanIfEEEEEvT_T0_DpT1_.private_seg_size, 0
	.set _ZN2at6native12_GLOBAL__N_125multi_tensor_apply_kernelINS1_18TensorListMetadataILi2EEENS1_14UnaryOpFunctorIN3c104HalfELi2ELi1ELi1EEEJNS0_3TanIfEEEEEvT_T0_DpT1_.uses_vcc, 1
	.set _ZN2at6native12_GLOBAL__N_125multi_tensor_apply_kernelINS1_18TensorListMetadataILi2EEENS1_14UnaryOpFunctorIN3c104HalfELi2ELi1ELi1EEEJNS0_3TanIfEEEEEvT_T0_DpT1_.uses_flat_scratch, 0
	.set _ZN2at6native12_GLOBAL__N_125multi_tensor_apply_kernelINS1_18TensorListMetadataILi2EEENS1_14UnaryOpFunctorIN3c104HalfELi2ELi1ELi1EEEJNS0_3TanIfEEEEEvT_T0_DpT1_.has_dyn_sized_stack, 0
	.set _ZN2at6native12_GLOBAL__N_125multi_tensor_apply_kernelINS1_18TensorListMetadataILi2EEENS1_14UnaryOpFunctorIN3c104HalfELi2ELi1ELi1EEEJNS0_3TanIfEEEEEvT_T0_DpT1_.has_recursion, 0
	.set _ZN2at6native12_GLOBAL__N_125multi_tensor_apply_kernelINS1_18TensorListMetadataILi2EEENS1_14UnaryOpFunctorIN3c104HalfELi2ELi1ELi1EEEJNS0_3TanIfEEEEEvT_T0_DpT1_.has_indirect_call, 0
	.section	.AMDGPU.csdata,"",@progbits
; Kernel info:
; codeLenInByte = 9004
; TotalNumSgprs: 26
; NumVgprs: 58
; ScratchSize: 0
; MemoryBound: 0
; FloatMode: 240
; IeeeMode: 1
; LDSByteSize: 0 bytes/workgroup (compile time only)
; SGPRBlocks: 0
; VGPRBlocks: 3
; NumSGPRsForWavesPerEU: 26
; NumVGPRsForWavesPerEU: 58
; NamedBarCnt: 0
; Occupancy: 16
; WaveLimiterHint : 0
; COMPUTE_PGM_RSRC2:SCRATCH_EN: 0
; COMPUTE_PGM_RSRC2:USER_SGPR: 2
; COMPUTE_PGM_RSRC2:TRAP_HANDLER: 0
; COMPUTE_PGM_RSRC2:TGID_X_EN: 1
; COMPUTE_PGM_RSRC2:TGID_Y_EN: 0
; COMPUTE_PGM_RSRC2:TGID_Z_EN: 0
; COMPUTE_PGM_RSRC2:TIDIG_COMP_CNT: 0
	.section	.text._ZN2at6native12_GLOBAL__N_125multi_tensor_apply_kernelINS1_18TensorListMetadataILi2EEENS1_14UnaryOpFunctorIN3c108BFloat16ELi2ELi1ELi1EEEJNS0_3TanIfEEEEEvT_T0_DpT1_,"axG",@progbits,_ZN2at6native12_GLOBAL__N_125multi_tensor_apply_kernelINS1_18TensorListMetadataILi2EEENS1_14UnaryOpFunctorIN3c108BFloat16ELi2ELi1ELi1EEEJNS0_3TanIfEEEEEvT_T0_DpT1_,comdat
	.globl	_ZN2at6native12_GLOBAL__N_125multi_tensor_apply_kernelINS1_18TensorListMetadataILi2EEENS1_14UnaryOpFunctorIN3c108BFloat16ELi2ELi1ELi1EEEJNS0_3TanIfEEEEEvT_T0_DpT1_ ; -- Begin function _ZN2at6native12_GLOBAL__N_125multi_tensor_apply_kernelINS1_18TensorListMetadataILi2EEENS1_14UnaryOpFunctorIN3c108BFloat16ELi2ELi1ELi1EEEJNS0_3TanIfEEEEEvT_T0_DpT1_
	.p2align	8
	.type	_ZN2at6native12_GLOBAL__N_125multi_tensor_apply_kernelINS1_18TensorListMetadataILi2EEENS1_14UnaryOpFunctorIN3c108BFloat16ELi2ELi1ELi1EEEJNS0_3TanIfEEEEEvT_T0_DpT1_,@function
_ZN2at6native12_GLOBAL__N_125multi_tensor_apply_kernelINS1_18TensorListMetadataILi2EEENS1_14UnaryOpFunctorIN3c108BFloat16ELi2ELi1ELi1EEEJNS0_3TanIfEEEEEvT_T0_DpT1_: ; @_ZN2at6native12_GLOBAL__N_125multi_tensor_apply_kernelINS1_18TensorListMetadataILi2EEENS1_14UnaryOpFunctorIN3c108BFloat16ELi2ELi1ELi1EEEJNS0_3TanIfEEEEEvT_T0_DpT1_
; %bb.0:
	s_bfe_u32 s2, ttmp6, 0x4000c
	s_and_b32 s3, ttmp6, 15
	s_add_co_i32 s2, s2, 1
	s_getreg_b32 s4, hwreg(HW_REG_IB_STS2, 6, 4)
	s_mul_i32 s2, ttmp9, s2
	s_delay_alu instid0(SALU_CYCLE_1)
	s_add_co_i32 s3, s3, s2
	s_cmp_eq_u32 s4, 0
	s_cselect_b32 s2, ttmp9, s3
	s_mov_b32 s3, 0
	s_load_u8 s11, s[0:1], s2 offset:0x600
	s_add_nc_u64 s[4:5], s[0:1], s[2:3]
	s_mul_u64 s[6:7], s[2:3], 3
	s_mov_b32 s15, s3
	s_add_nc_u64 s[6:7], s[4:5], s[6:7]
	s_load_b32 s10, s[6:7], 0x740
	s_wait_kmcnt 0x0
	s_clause 0x2
	s_load_b64 s[4:5], s[0:1], s11 offset:0x0 scale_offset
	s_load_b64 s[8:9], s[0:1], s11 offset:0x200 scale_offset
	;; [unrolled: 1-line block ×3, first 2 shown]
	s_wait_xcnt 0x0
	s_ashr_i32 s11, s10, 31
	s_delay_alu instid0(SALU_CYCLE_1)
	s_lshl_b64 s[6:7], s[10:11], 17
	s_wait_kmcnt 0x0
	s_and_b64 s[18:19], s[8:9], 7
	s_add_nc_u64 s[16:17], s[4:5], s[6:7]
	s_and_b32 s14, s12, 3
	s_and_b32 s2, s16, 7
	s_or_b64 s[14:15], s[18:19], s[14:15]
	s_lshl_b64 s[10:11], s[10:11], 16
	s_or_b64 s[2:3], s[14:15], s[2:3]
	s_sub_nc_u64 s[10:11], s[12:13], s[10:11]
	s_cmp_eq_u64 s[2:3], 0
	s_mov_b32 s2, -1
	s_cbranch_scc0 .LBB96_21
; %bb.1:
	v_min_i64 v[2:3], 0x10000, s[10:11]
	v_dual_mov_b32 v5, 0 :: v_dual_lshlrev_b32 v4, 2, v0
	s_mov_b32 s18, exec_lo
	s_delay_alu instid0(VALU_DEP_1)
	v_cmpx_lt_i64_e64 v[4:5], v[2:3]
	s_cbranch_execz .LBB96_20
; %bb.2:
	s_load_b32 s2, s[0:1], 0xc5c
	v_dual_mov_b32 v1, v5 :: v_dual_lshlrev_b32 v4, 3, v0
	s_mov_b32 s13, 0
	s_mov_b32 s19, 0x7fffff
	s_mov_b64 s[14:15], 0xfe5163ab
	s_delay_alu instid0(VALU_DEP_1)
	v_mov_b64_e32 v[8:9], v[0:1]
	v_add_nc_u64_e32 v[6:7], s[6:7], v[4:5]
	s_mov_b32 s20, 0xbc8cedd3
	s_mov_b32 s21, 0x3c971480
	;; [unrolled: 1-line block ×4, first 2 shown]
	s_wait_kmcnt 0x0
	s_and_b32 s12, s2, 0xffff
	s_delay_alu instid0(SALU_CYCLE_1)
	s_lshl_b32 s16, s12, 3
	s_branch .LBB96_4
.LBB96_3:                               ;   in Loop: Header=BB96_4 Depth=1
	s_or_b32 exec_lo, exec_lo, s2
	v_dual_mul_f32 v24, v20, v20 :: v_dual_mul_f32 v25, v17, v17
	v_dual_mul_f32 v26, v13, v13 :: v_dual_mul_f32 v27, v4, v4
	v_add_nc_u64_e32 v[8:9], s[12:13], v[8:9]
	s_delay_alu instid0(VALU_DEP_3) | instskip(NEXT) | instid1(VALU_DEP_3)
	v_dual_fmaak_f32 v28, s21, v24, 0xbf039337 :: v_dual_fmaak_f32 v29, s21, v25, 0xbf039337
	v_dual_fmaak_f32 v30, s21, v26, 0xbf039337 :: v_dual_fmaak_f32 v31, s21, v27, 0xbf039337
	;; [unrolled: 1-line block ×3, first 2 shown]
	s_delay_alu instid0(VALU_DEP_3) | instskip(NEXT) | instid1(VALU_DEP_3)
	v_dual_fmaak_f32 v28, v24, v28, 0x3f93f425 :: v_dual_fmaak_f32 v29, v25, v29, 0x3f93f425
	v_dual_fmaak_f32 v30, v26, v30, 0x3f93f425 :: v_dual_fmaak_f32 v31, v27, v31, 0x3f93f425
	;; [unrolled: 1-line block ×3, first 2 shown]
	s_delay_alu instid0(VALU_DEP_3) | instskip(NEXT) | instid1(VALU_DEP_3)
	v_rcp_f32_e32 v28, v28
	v_rcp_f32_e32 v29, v29
	s_delay_alu instid0(VALU_DEP_2) | instskip(SKIP_4) | instid1(TRANS32_DEP_2)
	v_rcp_f32_e32 v31, v31
	v_rcp_f32_e32 v30, v30
	v_and_b32_e32 v22, 1, v22
	v_and_b32_e32 v15, 1, v15
	v_dual_mul_f32 v28, v32, v28 :: v_dual_bitop2_b32 v23, 1, v23 bitop3:0x40
	v_dual_mul_f32 v29, v33, v29 :: v_dual_mul_f32 v31, v35, v31
	s_delay_alu instid0(TRANS32_DEP_1) | instskip(NEXT) | instid1(VALU_DEP_3)
	v_mul_f32_e32 v30, v34, v30
	v_dual_mul_f32 v24, v24, v28 :: v_dual_bitop2_b32 v18, 1, v18 bitop3:0x40
	s_delay_alu instid0(VALU_DEP_3) | instskip(NEXT) | instid1(VALU_DEP_3)
	v_dual_mul_f32 v25, v25, v29 :: v_dual_mul_f32 v27, v27, v31
	v_mul_f32_e32 v26, v26, v30
	v_cmp_eq_u32_e32 vcc_lo, 0, v22
	s_delay_alu instid0(VALU_DEP_3) | instskip(NEXT) | instid1(VALU_DEP_3)
	v_dual_fma_f32 v28, v24, v20, v20 :: v_dual_fma_f32 v29, v25, v17, v17
	v_dual_fma_f32 v31, v27, v4, v4 :: v_dual_fma_f32 v30, v26, v13, v13
	s_delay_alu instid0(VALU_DEP_2) | instskip(SKIP_1) | instid1(VALU_DEP_3)
	v_sub_f32_e32 v32, v28, v20
	v_rcp_f32_e32 v33, v28
	v_rcp_f32_e32 v35, v29
	s_delay_alu instid0(VALU_DEP_2) | instskip(NEXT) | instid1(VALU_DEP_2)
	v_dual_sub_f32 v34, v29, v17 :: v_dual_sub_f32 v38, v31, v4
	v_dual_sub_f32 v36, v30, v13 :: v_dual_fma_f32 v20, v24, v20, -v32
	v_rcp_f32_e32 v37, v30
	s_delay_alu instid0(TRANS32_DEP_3)
	v_fma_f32 v24, v28, -v33, 1.0
	v_rcp_f32_e32 v39, v31
	v_fma_f32 v17, v25, v17, -v34
	v_fma_f32 v25, v29, -v35, 1.0
	v_dual_fma_f32 v13, v26, v13, -v36 :: v_dual_fma_f32 v4, v27, v4, -v38
	v_fma_f32 v20, v20, -v33, v24
	v_fma_f32 v24, v30, -v37, 1.0
	s_delay_alu instid0(TRANS32_DEP_1) | instskip(SKIP_1) | instid1(VALU_DEP_4)
	v_fma_f32 v26, v31, -v39, 1.0
	v_fma_f32 v17, v17, -v35, v25
	v_fma_f32 v20, v20, -v33, -v33
	s_delay_alu instid0(VALU_DEP_3) | instskip(NEXT) | instid1(VALU_DEP_2)
	v_dual_fma_f32 v13, v13, -v37, v24 :: v_dual_fma_f32 v4, v4, -v39, v26
	v_dual_fma_f32 v17, v17, -v35, -v35 :: v_dual_cndmask_b32 v20, v20, v28, vcc_lo
	s_delay_alu instid0(VALU_DEP_2) | instskip(SKIP_1) | instid1(VALU_DEP_4)
	v_fma_f32 v13, v13, -v37, -v37
	v_cmp_eq_u32_e32 vcc_lo, 0, v18
	v_fma_f32 v4, v4, -v39, -v39
	s_delay_alu instid0(VALU_DEP_4) | instskip(SKIP_2) | instid1(VALU_DEP_2)
	v_xor3_b32 v18, v19, v20, v10
	v_cndmask_b32_e32 v17, v17, v29, vcc_lo
	v_cmp_eq_u32_e32 vcc_lo, 0, v15
	v_xor3_b32 v15, v16, v17, v14
	v_cndmask_b32_e32 v13, v13, v30, vcc_lo
	v_cmp_eq_u32_e32 vcc_lo, 0, v23
	v_cndmask_b32_e32 v4, v4, v31, vcc_lo
	v_cmp_class_f32_e64 vcc_lo, v10, 0x1f8
	s_delay_alu instid0(VALU_DEP_4) | instskip(NEXT) | instid1(VALU_DEP_3)
	v_xor3_b32 v10, v12, v13, v1
	v_xor3_b32 v4, v21, v4, v11
	v_cndmask_b32_e32 v16, 0x7fc00000, v18, vcc_lo
	v_cmp_class_f32_e64 vcc_lo, v14, 0x1f8
	v_cndmask_b32_e32 v12, 0x7fc00000, v15, vcc_lo
	v_cmp_class_f32_e64 vcc_lo, v1, 0x1f8
	v_cndmask_b32_e32 v1, 0x7fc00000, v10, vcc_lo
	v_bfe_u32 v10, v16, 16, 1
	v_cmp_class_f32_e64 vcc_lo, v11, 0x1f8
	s_delay_alu instid0(VALU_DEP_3) | instskip(NEXT) | instid1(VALU_DEP_3)
	v_bfe_u32 v13, v1, 16, 1
	v_add3_u32 v10, v16, v10, 0x7fff
	v_cndmask_b32_e32 v4, 0x7fc00000, v4, vcc_lo
	s_delay_alu instid0(VALU_DEP_3) | instskip(NEXT) | instid1(VALU_DEP_3)
	v_add3_u32 v13, v1, v13, 0x7fff
	v_lshrrev_b32_e32 v15, 16, v10
	v_bfe_u32 v11, v12, 16, 1
	s_delay_alu instid0(VALU_DEP_4) | instskip(SKIP_1) | instid1(VALU_DEP_3)
	v_bfe_u32 v14, v4, 16, 1
	v_cmp_o_f32_e32 vcc_lo, v12, v12
	v_add3_u32 v11, v12, v11, 0x7fff
	s_delay_alu instid0(VALU_DEP_3) | instskip(NEXT) | instid1(VALU_DEP_2)
	v_add3_u32 v14, v4, v14, 0x7fff
	v_and_b32_e32 v10, 0xffff0000, v11
	v_lshrrev_b32_e32 v11, 16, v13
	s_delay_alu instid0(VALU_DEP_3) | instskip(NEXT) | instid1(VALU_DEP_3)
	v_and_b32_e32 v13, 0xffff0000, v14
	v_cndmask_b32_e32 v12, 0x7fc00000, v10, vcc_lo
	v_cmp_o_f32_e32 vcc_lo, v1, v1
	s_delay_alu instid0(VALU_DEP_4) | instskip(SKIP_2) | instid1(VALU_DEP_3)
	v_cndmask_b32_e32 v1, 0x7fc0, v11, vcc_lo
	v_cmp_o_f32_e32 vcc_lo, v4, v4
	v_lshlrev_b64_e32 v[10:11], 2, v[8:9]
	v_or_b32_e32 v1, v12, v1
	v_cndmask_b32_e32 v4, 0x7fc00000, v13, vcc_lo
	v_cmp_o_f32_e32 vcc_lo, v16, v16
	s_delay_alu instid0(VALU_DEP_3) | instskip(SKIP_4) | instid1(VALU_DEP_4)
	v_or3_b32 v12, v1, 0, 0
	v_cndmask_b32_e32 v13, 0x7fc0, v15, vcc_lo
	v_cmp_ge_i64_e32 vcc_lo, v[10:11], v[2:3]
	v_add_nc_u64_e32 v[10:11], s[8:9], v[6:7]
	v_add_nc_u64_e32 v[6:7], s[16:17], v[6:7]
	v_or3_b32 v13, 0, v13, v4
	s_or_b32 s22, vcc_lo, s22
	global_store_b64 v[10:11], v[12:13], off
	s_wait_xcnt 0x0
	s_and_not1_b32 exec_lo, exec_lo, s22
	s_cbranch_execz .LBB96_20
.LBB96_4:                               ; =>This Inner Loop Header: Depth=1
	v_add_nc_u64_e32 v[10:11], s[4:5], v[6:7]
                                        ; implicit-def: $vgpr15
                                        ; implicit-def: $vgpr13
	s_mov_b32 s3, exec_lo
	global_load_b64 v[10:11], v[10:11], off
	s_wait_loadcnt 0x0
	v_lshlrev_b32_e32 v1, 16, v10
	s_delay_alu instid0(VALU_DEP_1)
	v_and_b32_e32 v12, 0x7fffffff, v1
	s_wait_xcnt 0x0
	v_cmpx_ngt_f32_e64 0x48000000, |v1|
	s_xor_b32 s23, exec_lo, s3
	s_cbranch_execz .LBB96_6
; %bb.5:                                ;   in Loop: Header=BB96_4 Depth=1
	v_and_or_b32 v4, v12, s19, 0x800000
	v_dual_lshrrev_b32 v13, 23, v12 :: v_dual_mov_b32 v25, v5
	v_mov_b32_e32 v27, v5
	s_delay_alu instid0(VALU_DEP_3) | instskip(SKIP_1) | instid1(VALU_DEP_4)
	v_mul_u64_e32 v[14:15], s[14:15], v[4:5]
	v_mov_b32_e32 v17, v5
	v_add_nc_u32_e32 v13, 0xffffff88, v13
	s_delay_alu instid0(VALU_DEP_1) | instskip(NEXT) | instid1(VALU_DEP_4)
	v_cmp_lt_u32_e32 vcc_lo, 63, v13
	v_mov_b32_e32 v16, v15
	v_cndmask_b32_e64 v15, 0, 0xffffffc0, vcc_lo
	s_delay_alu instid0(VALU_DEP_2) | instskip(NEXT) | instid1(VALU_DEP_2)
	v_mad_nc_u64_u32 v[16:17], 0x3c439041, v4, v[16:17]
	v_dual_mov_b32 v19, v5 :: v_dual_add_nc_u32 v13, v15, v13
	s_delay_alu instid0(VALU_DEP_1) | instskip(NEXT) | instid1(VALU_DEP_3)
	v_cmp_lt_u32_e64 s2, 31, v13
	v_mov_b32_e32 v18, v17
	s_delay_alu instid0(VALU_DEP_2) | instskip(NEXT) | instid1(VALU_DEP_2)
	v_cndmask_b32_e64 v15, 0, 0xffffffe0, s2
	v_mad_nc_u64_u32 v[18:19], 0xdb629599, v4, v[18:19]
	s_delay_alu instid0(VALU_DEP_1) | instskip(NEXT) | instid1(VALU_DEP_2)
	v_dual_mov_b32 v21, v5 :: v_dual_mov_b32 v20, v19
	v_cndmask_b32_e32 v14, v18, v14, vcc_lo
	s_delay_alu instid0(VALU_DEP_2) | instskip(NEXT) | instid1(VALU_DEP_1)
	v_mad_nc_u64_u32 v[20:21], 0xf534ddc0, v4, v[20:21]
	v_dual_mov_b32 v23, v5 :: v_dual_mov_b32 v22, v21
	s_delay_alu instid0(VALU_DEP_1) | instskip(NEXT) | instid1(VALU_DEP_1)
	v_mad_nc_u64_u32 v[22:23], 0xfc2757d1, v4, v[22:23]
	v_dual_mov_b32 v24, v23 :: v_dual_cndmask_b32 v21, v22, v18
	s_delay_alu instid0(VALU_DEP_1) | instskip(NEXT) | instid1(VALU_DEP_1)
	v_mad_nc_u64_u32 v[24:25], 0x4e441529, v4, v[24:25]
	v_mov_b32_e32 v26, v25
	s_delay_alu instid0(VALU_DEP_1) | instskip(NEXT) | instid1(VALU_DEP_3)
	v_mad_nc_u64_u32 v[26:27], 0xa2f9836e, v4, v[26:27]
	v_dual_cndmask_b32 v15, v24, v20 :: v_dual_add_nc_u32 v4, v15, v13
	s_delay_alu instid0(VALU_DEP_1) | instskip(NEXT) | instid1(VALU_DEP_1)
	v_cmp_lt_u32_e64 s3, 31, v4
	v_cndmask_b32_e64 v13, 0, 0xffffffe0, s3
	s_delay_alu instid0(VALU_DEP_4) | instskip(NEXT) | instid1(VALU_DEP_2)
	v_dual_cndmask_b32 v17, v26, v22, vcc_lo :: v_dual_cndmask_b32 v19, v27, v24, vcc_lo
	v_add_nc_u32_e32 v4, v13, v4
	s_delay_alu instid0(VALU_DEP_2) | instskip(NEXT) | instid1(VALU_DEP_3)
	v_dual_cndmask_b32 v13, v20, v16, vcc_lo :: v_dual_cndmask_b32 v16, v17, v15, s2
	v_cndmask_b32_e64 v17, v19, v17, s2
	s_delay_alu instid0(VALU_DEP_3) | instskip(NEXT) | instid1(VALU_DEP_3)
	v_dual_cndmask_b32 v15, v15, v21, s2 :: v_dual_sub_nc_u32 v19, 32, v4
	v_cndmask_b32_e64 v20, v21, v13, s2
	v_cmp_eq_u32_e32 vcc_lo, 0, v4
	s_delay_alu instid0(VALU_DEP_3) | instskip(NEXT) | instid1(VALU_DEP_1)
	v_dual_cndmask_b32 v17, v17, v16, s3 :: v_dual_cndmask_b32 v16, v16, v15, s3
	v_alignbit_b32 v21, v17, v16, v19
	s_delay_alu instid0(VALU_DEP_1) | instskip(NEXT) | instid1(VALU_DEP_1)
	v_dual_cndmask_b32 v15, v15, v20, s3 :: v_dual_cndmask_b32 v4, v21, v17, vcc_lo
	v_alignbit_b32 v18, v16, v15, v19
	s_delay_alu instid0(VALU_DEP_1) | instskip(NEXT) | instid1(VALU_DEP_3)
	v_dual_cndmask_b32 v13, v13, v14, s2 :: v_dual_cndmask_b32 v14, v18, v16, vcc_lo
	v_bfe_u32 v16, v4, 29, 1
	s_delay_alu instid0(VALU_DEP_2) | instskip(NEXT) | instid1(VALU_DEP_3)
	v_cndmask_b32_e64 v13, v20, v13, s3
	v_alignbit_b32 v17, v4, v14, 30
	s_delay_alu instid0(VALU_DEP_3) | instskip(NEXT) | instid1(VALU_DEP_3)
	v_sub_nc_u32_e32 v18, 0, v16
	v_alignbit_b32 v19, v15, v13, v19
	s_delay_alu instid0(VALU_DEP_1) | instskip(NEXT) | instid1(VALU_DEP_1)
	v_dual_cndmask_b32 v15, v19, v15, vcc_lo :: v_dual_bitop2_b32 v17, v17, v18 bitop3:0x14
	v_clz_i32_u32_e32 v19, v17
	s_delay_alu instid0(VALU_DEP_2) | instskip(SKIP_1) | instid1(VALU_DEP_3)
	v_alignbit_b32 v14, v14, v15, 30
	v_alignbit_b32 v13, v15, v13, 30
	v_min_u32_e32 v19, 32, v19
	s_delay_alu instid0(VALU_DEP_3) | instskip(NEXT) | instid1(VALU_DEP_3)
	v_xor_b32_e32 v14, v14, v18
	v_dual_lshrrev_b32 v18, 29, v4 :: v_dual_bitop2_b32 v13, v13, v18 bitop3:0x14
	s_delay_alu instid0(VALU_DEP_3) | instskip(SKIP_1) | instid1(VALU_DEP_2)
	v_dual_lshrrev_b32 v4, 30, v4 :: v_dual_sub_nc_u32 v15, 31, v19
	v_lshlrev_b32_e32 v20, 23, v19
	v_alignbit_b32 v17, v17, v14, v15
	s_delay_alu instid0(VALU_DEP_4) | instskip(SKIP_1) | instid1(VALU_DEP_2)
	v_alignbit_b32 v13, v14, v13, v15
	v_lshlrev_b32_e32 v14, 31, v18
	v_alignbit_b32 v15, v17, v13, 9
	s_delay_alu instid0(VALU_DEP_2) | instskip(SKIP_1) | instid1(VALU_DEP_3)
	v_dual_lshrrev_b32 v17, 9, v17 :: v_dual_bitop2_b32 v18, 0.5, v14 bitop3:0x54
	v_or_b32_e32 v14, 0x33000000, v14
	v_clz_i32_u32_e32 v21, v15
	s_delay_alu instid0(VALU_DEP_3) | instskip(NEXT) | instid1(VALU_DEP_2)
	v_sub_nc_u32_e32 v18, v18, v20
	v_min_u32_e32 v20, 32, v21
	s_delay_alu instid0(VALU_DEP_1) | instskip(NEXT) | instid1(VALU_DEP_3)
	v_add_lshl_u32 v19, v20, v19, 23
	v_or_b32_e32 v17, v17, v18
	v_not_b32_e32 v18, v20
	s_delay_alu instid0(VALU_DEP_2) | instskip(NEXT) | instid1(VALU_DEP_2)
	v_dual_mul_f32 v21, 0x3fc90fda, v17 :: v_dual_sub_nc_u32 v14, v14, v19
	v_alignbit_b32 v13, v15, v13, v18
	s_delay_alu instid0(VALU_DEP_2) | instskip(NEXT) | instid1(VALU_DEP_2)
	v_fma_f32 v15, 0x3fc90fda, v17, -v21
	v_lshrrev_b32_e32 v13, 9, v13
	s_delay_alu instid0(VALU_DEP_2) | instskip(NEXT) | instid1(VALU_DEP_2)
	v_fmac_f32_e32 v15, 0x33a22168, v17
	v_or_b32_e32 v13, v14, v13
	s_delay_alu instid0(VALU_DEP_1) | instskip(NEXT) | instid1(VALU_DEP_1)
	v_fmac_f32_e32 v15, 0x3fc90fda, v13
	v_dual_add_f32 v13, v21, v15 :: v_dual_add_nc_u32 v15, v16, v4
.LBB96_6:                               ;   in Loop: Header=BB96_4 Depth=1
	s_and_not1_saveexec_b32 s2, s23
; %bb.7:                                ;   in Loop: Header=BB96_4 Depth=1
	v_mul_f32_e64 v4, 0x3f22f983, |v1|
	s_delay_alu instid0(VALU_DEP_1) | instskip(NEXT) | instid1(VALU_DEP_1)
	v_rndne_f32_e32 v4, v4
	v_fma_f32 v13, 0xbfc90fda, v4, |v1|
	v_cvt_i32_f32_e32 v15, v4
	s_delay_alu instid0(VALU_DEP_2) | instskip(NEXT) | instid1(VALU_DEP_1)
	v_fmac_f32_e32 v13, 0xb3a22168, v4
	v_fmac_f32_e32 v13, 0xa7c234c4, v4
; %bb.8:                                ;   in Loop: Header=BB96_4 Depth=1
	s_or_b32 exec_lo, exec_lo, s2
	v_and_b32_e32 v14, 0xffff0000, v10
                                        ; implicit-def: $vgpr18
                                        ; implicit-def: $vgpr17
	s_mov_b32 s3, exec_lo
	s_delay_alu instid0(VALU_DEP_1)
	v_and_b32_e32 v16, 0x7fffffff, v14
	v_cmpx_ngt_f32_e64 0x48000000, |v14|
	s_xor_b32 s23, exec_lo, s3
	s_cbranch_execz .LBB96_10
; %bb.9:                                ;   in Loop: Header=BB96_4 Depth=1
	s_delay_alu instid0(VALU_DEP_2) | instskip(SKIP_2) | instid1(VALU_DEP_3)
	v_and_or_b32 v4, v16, s19, 0x800000
	v_dual_lshrrev_b32 v17, 23, v16 :: v_dual_mov_b32 v29, v5
	v_mov_b32_e32 v31, v5
	v_mul_u64_e32 v[18:19], s[14:15], v[4:5]
	v_mov_b32_e32 v21, v5
	s_delay_alu instid0(VALU_DEP_4) | instskip(NEXT) | instid1(VALU_DEP_1)
	v_add_nc_u32_e32 v17, 0xffffff88, v17
	v_cmp_lt_u32_e32 vcc_lo, 63, v17
	s_delay_alu instid0(VALU_DEP_4) | instskip(SKIP_1) | instid1(VALU_DEP_2)
	v_mov_b32_e32 v20, v19
	v_cndmask_b32_e64 v19, 0, 0xffffffc0, vcc_lo
	v_mad_nc_u64_u32 v[20:21], 0x3c439041, v4, v[20:21]
	s_delay_alu instid0(VALU_DEP_2) | instskip(NEXT) | instid1(VALU_DEP_1)
	v_dual_mov_b32 v23, v5 :: v_dual_add_nc_u32 v17, v19, v17
	v_cmp_lt_u32_e64 s2, 31, v17
	s_delay_alu instid0(VALU_DEP_3) | instskip(NEXT) | instid1(VALU_DEP_2)
	v_mov_b32_e32 v22, v21
	v_cndmask_b32_e64 v19, 0, 0xffffffe0, s2
	s_delay_alu instid0(VALU_DEP_2) | instskip(NEXT) | instid1(VALU_DEP_1)
	v_mad_nc_u64_u32 v[22:23], 0xdb629599, v4, v[22:23]
	v_dual_mov_b32 v25, v5 :: v_dual_mov_b32 v24, v23
	s_delay_alu instid0(VALU_DEP_2) | instskip(NEXT) | instid1(VALU_DEP_2)
	v_cndmask_b32_e32 v18, v22, v18, vcc_lo
	v_mad_nc_u64_u32 v[24:25], 0xf534ddc0, v4, v[24:25]
	s_delay_alu instid0(VALU_DEP_1) | instskip(NEXT) | instid1(VALU_DEP_1)
	v_dual_mov_b32 v27, v5 :: v_dual_mov_b32 v26, v25
	v_mad_nc_u64_u32 v[26:27], 0xfc2757d1, v4, v[26:27]
	s_delay_alu instid0(VALU_DEP_1) | instskip(NEXT) | instid1(VALU_DEP_1)
	v_dual_mov_b32 v28, v27 :: v_dual_cndmask_b32 v25, v26, v22
	v_mad_nc_u64_u32 v[28:29], 0x4e441529, v4, v[28:29]
	s_delay_alu instid0(VALU_DEP_1) | instskip(NEXT) | instid1(VALU_DEP_1)
	v_mov_b32_e32 v30, v29
	v_mad_nc_u64_u32 v[30:31], 0xa2f9836e, v4, v[30:31]
	s_delay_alu instid0(VALU_DEP_3) | instskip(NEXT) | instid1(VALU_DEP_1)
	v_dual_cndmask_b32 v19, v28, v24 :: v_dual_add_nc_u32 v4, v19, v17
	v_cmp_lt_u32_e64 s3, 31, v4
	s_delay_alu instid0(VALU_DEP_1) | instskip(NEXT) | instid1(VALU_DEP_4)
	v_cndmask_b32_e64 v17, 0, 0xffffffe0, s3
	v_dual_cndmask_b32 v21, v30, v26, vcc_lo :: v_dual_cndmask_b32 v23, v31, v28, vcc_lo
	s_delay_alu instid0(VALU_DEP_2) | instskip(NEXT) | instid1(VALU_DEP_2)
	v_add_nc_u32_e32 v4, v17, v4
	v_dual_cndmask_b32 v17, v24, v20, vcc_lo :: v_dual_cndmask_b32 v20, v21, v19, s2
	s_delay_alu instid0(VALU_DEP_3) | instskip(NEXT) | instid1(VALU_DEP_3)
	v_cndmask_b32_e64 v21, v23, v21, s2
	v_dual_cndmask_b32 v19, v19, v25, s2 :: v_dual_sub_nc_u32 v23, 32, v4
	s_delay_alu instid0(VALU_DEP_3) | instskip(SKIP_1) | instid1(VALU_DEP_3)
	v_cndmask_b32_e64 v24, v25, v17, s2
	v_cmp_eq_u32_e32 vcc_lo, 0, v4
	v_dual_cndmask_b32 v21, v21, v20, s3 :: v_dual_cndmask_b32 v20, v20, v19, s3
	s_delay_alu instid0(VALU_DEP_1) | instskip(NEXT) | instid1(VALU_DEP_1)
	v_alignbit_b32 v25, v21, v20, v23
	v_dual_cndmask_b32 v19, v19, v24, s3 :: v_dual_cndmask_b32 v4, v25, v21, vcc_lo
	s_delay_alu instid0(VALU_DEP_1) | instskip(NEXT) | instid1(VALU_DEP_1)
	v_alignbit_b32 v22, v20, v19, v23
	v_dual_cndmask_b32 v17, v17, v18, s2 :: v_dual_cndmask_b32 v18, v22, v20, vcc_lo
	s_delay_alu instid0(VALU_DEP_3) | instskip(NEXT) | instid1(VALU_DEP_2)
	v_bfe_u32 v20, v4, 29, 1
	v_cndmask_b32_e64 v17, v24, v17, s3
	s_delay_alu instid0(VALU_DEP_3) | instskip(NEXT) | instid1(VALU_DEP_3)
	v_alignbit_b32 v21, v4, v18, 30
	v_sub_nc_u32_e32 v22, 0, v20
	s_delay_alu instid0(VALU_DEP_3) | instskip(NEXT) | instid1(VALU_DEP_1)
	v_alignbit_b32 v23, v19, v17, v23
	v_dual_cndmask_b32 v19, v23, v19, vcc_lo :: v_dual_bitop2_b32 v21, v21, v22 bitop3:0x14
	s_delay_alu instid0(VALU_DEP_1) | instskip(NEXT) | instid1(VALU_DEP_2)
	v_clz_i32_u32_e32 v23, v21
	v_alignbit_b32 v18, v18, v19, 30
	v_alignbit_b32 v17, v19, v17, 30
	s_delay_alu instid0(VALU_DEP_3) | instskip(NEXT) | instid1(VALU_DEP_3)
	v_min_u32_e32 v23, 32, v23
	v_xor_b32_e32 v18, v18, v22
	s_delay_alu instid0(VALU_DEP_3) | instskip(NEXT) | instid1(VALU_DEP_3)
	v_dual_lshrrev_b32 v22, 29, v4 :: v_dual_bitop2_b32 v17, v17, v22 bitop3:0x14
	v_dual_lshrrev_b32 v4, 30, v4 :: v_dual_sub_nc_u32 v19, 31, v23
	v_lshlrev_b32_e32 v24, 23, v23
	s_delay_alu instid0(VALU_DEP_2) | instskip(NEXT) | instid1(VALU_DEP_4)
	v_alignbit_b32 v21, v21, v18, v19
	v_alignbit_b32 v17, v18, v17, v19
	v_lshlrev_b32_e32 v18, 31, v22
	s_delay_alu instid0(VALU_DEP_2) | instskip(NEXT) | instid1(VALU_DEP_2)
	v_alignbit_b32 v19, v21, v17, 9
	v_dual_lshrrev_b32 v21, 9, v21 :: v_dual_bitop2_b32 v22, 0.5, v18 bitop3:0x54
	v_or_b32_e32 v18, 0x33000000, v18
	s_delay_alu instid0(VALU_DEP_3) | instskip(NEXT) | instid1(VALU_DEP_3)
	v_clz_i32_u32_e32 v25, v19
	v_sub_nc_u32_e32 v22, v22, v24
	s_delay_alu instid0(VALU_DEP_2) | instskip(NEXT) | instid1(VALU_DEP_1)
	v_min_u32_e32 v24, 32, v25
	v_add_lshl_u32 v23, v24, v23, 23
	s_delay_alu instid0(VALU_DEP_3) | instskip(SKIP_1) | instid1(VALU_DEP_2)
	v_or_b32_e32 v21, v21, v22
	v_not_b32_e32 v22, v24
	v_dual_mul_f32 v25, 0x3fc90fda, v21 :: v_dual_sub_nc_u32 v18, v18, v23
	s_delay_alu instid0(VALU_DEP_2) | instskip(NEXT) | instid1(VALU_DEP_2)
	v_alignbit_b32 v17, v19, v17, v22
	v_fma_f32 v19, 0x3fc90fda, v21, -v25
	s_delay_alu instid0(VALU_DEP_2) | instskip(NEXT) | instid1(VALU_DEP_2)
	v_lshrrev_b32_e32 v17, 9, v17
	v_fmac_f32_e32 v19, 0x33a22168, v21
	s_delay_alu instid0(VALU_DEP_2) | instskip(NEXT) | instid1(VALU_DEP_1)
	v_dual_add_nc_u32 v18, v20, v4 :: v_dual_bitop2_b32 v17, v18, v17 bitop3:0x54
	v_fmac_f32_e32 v19, 0x3fc90fda, v17
	s_delay_alu instid0(VALU_DEP_1)
	v_add_f32_e32 v17, v25, v19
.LBB96_10:                              ;   in Loop: Header=BB96_4 Depth=1
	s_and_not1_saveexec_b32 s2, s23
; %bb.11:                               ;   in Loop: Header=BB96_4 Depth=1
	v_mul_f32_e64 v4, 0x3f22f983, |v14|
	s_delay_alu instid0(VALU_DEP_1) | instskip(NEXT) | instid1(VALU_DEP_1)
	v_rndne_f32_e32 v4, v4
	v_fma_f32 v17, 0xbfc90fda, v4, |v14|
	v_cvt_i32_f32_e32 v18, v4
	s_delay_alu instid0(VALU_DEP_2) | instskip(NEXT) | instid1(VALU_DEP_1)
	v_fmac_f32_e32 v17, 0xb3a22168, v4
	v_fmac_f32_e32 v17, 0xa7c234c4, v4
; %bb.12:                               ;   in Loop: Header=BB96_4 Depth=1
	s_or_b32 exec_lo, exec_lo, s2
	v_alignbit_b32 v4, v11, v10, 16
                                        ; implicit-def: $vgpr22
                                        ; implicit-def: $vgpr20
	s_mov_b32 s3, exec_lo
	s_delay_alu instid0(VALU_DEP_1) | instskip(NEXT) | instid1(VALU_DEP_1)
	v_and_b32_e32 v10, 0xffff0000, v4
	v_and_b32_e32 v19, 0x7fffffff, v10
	v_cmpx_ngt_f32_e64 0x48000000, |v10|
	s_xor_b32 s23, exec_lo, s3
	s_cbranch_execz .LBB96_14
; %bb.13:                               ;   in Loop: Header=BB96_4 Depth=1
	s_delay_alu instid0(VALU_DEP_2) | instskip(SKIP_1) | instid1(VALU_DEP_2)
	v_and_or_b32 v4, v19, s19, 0x800000
	v_dual_mov_b32 v31, v5 :: v_dual_mov_b32 v33, v5
	v_mul_u64_e32 v[20:21], s[14:15], v[4:5]
	s_delay_alu instid0(VALU_DEP_1) | instskip(SKIP_1) | instid1(VALU_DEP_2)
	v_dual_mov_b32 v23, v5 :: v_dual_mov_b32 v22, v21
	v_lshrrev_b32_e32 v21, 23, v19
	v_mad_nc_u64_u32 v[22:23], 0x3c439041, v4, v[22:23]
	v_mov_b32_e32 v25, v5
	s_delay_alu instid0(VALU_DEP_3) | instskip(NEXT) | instid1(VALU_DEP_1)
	v_add_nc_u32_e32 v21, 0xffffff88, v21
	v_cmp_lt_u32_e32 vcc_lo, 63, v21
	s_delay_alu instid0(VALU_DEP_4) | instskip(SKIP_1) | instid1(VALU_DEP_2)
	v_mov_b32_e32 v24, v23
	v_cndmask_b32_e64 v23, 0, 0xffffffc0, vcc_lo
	v_mad_nc_u64_u32 v[24:25], 0xdb629599, v4, v[24:25]
	s_delay_alu instid0(VALU_DEP_2) | instskip(NEXT) | instid1(VALU_DEP_1)
	v_dual_mov_b32 v27, v5 :: v_dual_add_nc_u32 v21, v23, v21
	v_cmp_lt_u32_e64 s2, 31, v21
	s_delay_alu instid0(VALU_DEP_3) | instskip(NEXT) | instid1(VALU_DEP_2)
	v_mov_b32_e32 v26, v25
	v_cndmask_b32_e64 v23, 0, 0xffffffe0, s2
	v_cndmask_b32_e32 v20, v24, v20, vcc_lo
	s_delay_alu instid0(VALU_DEP_3) | instskip(NEXT) | instid1(VALU_DEP_1)
	v_mad_nc_u64_u32 v[26:27], 0xf534ddc0, v4, v[26:27]
	v_dual_mov_b32 v29, v5 :: v_dual_mov_b32 v28, v27
	s_delay_alu instid0(VALU_DEP_1) | instskip(NEXT) | instid1(VALU_DEP_1)
	v_mad_nc_u64_u32 v[28:29], 0xfc2757d1, v4, v[28:29]
	v_mov_b32_e32 v30, v29
	s_delay_alu instid0(VALU_DEP_1) | instskip(NEXT) | instid1(VALU_DEP_1)
	v_mad_nc_u64_u32 v[30:31], 0x4e441529, v4, v[30:31]
	v_mov_b32_e32 v32, v31
	s_delay_alu instid0(VALU_DEP_1) | instskip(NEXT) | instid1(VALU_DEP_3)
	v_mad_nc_u64_u32 v[32:33], 0xa2f9836e, v4, v[32:33]
	v_dual_cndmask_b32 v23, v30, v26 :: v_dual_add_nc_u32 v4, v23, v21
	s_delay_alu instid0(VALU_DEP_2) | instskip(NEXT) | instid1(VALU_DEP_2)
	v_cndmask_b32_e32 v25, v32, v28, vcc_lo
	v_cmp_lt_u32_e64 s3, 31, v4
	s_delay_alu instid0(VALU_DEP_4) | instskip(NEXT) | instid1(VALU_DEP_2)
	v_dual_cndmask_b32 v27, v33, v30 :: v_dual_cndmask_b32 v28, v28, v24
	v_cndmask_b32_e64 v21, 0, 0xffffffe0, s3
	s_delay_alu instid0(VALU_DEP_1) | instskip(NEXT) | instid1(VALU_DEP_3)
	v_dual_cndmask_b32 v21, v26, v22 :: v_dual_add_nc_u32 v4, v21, v4
	v_dual_cndmask_b32 v22, v25, v23, s2 :: v_dual_cndmask_b32 v25, v27, v25, s2
	s_delay_alu instid0(VALU_DEP_4) | instskip(NEXT) | instid1(VALU_DEP_3)
	v_cndmask_b32_e64 v23, v23, v28, s2
	v_dual_sub_nc_u32 v26, 32, v4 :: v_dual_cndmask_b32 v27, v28, v21, s2
	v_cmp_eq_u32_e32 vcc_lo, 0, v4
	s_delay_alu instid0(VALU_DEP_3) | instskip(NEXT) | instid1(VALU_DEP_1)
	v_dual_cndmask_b32 v25, v25, v22, s3 :: v_dual_cndmask_b32 v22, v22, v23, s3
	v_alignbit_b32 v28, v25, v22, v26
	s_delay_alu instid0(VALU_DEP_1) | instskip(NEXT) | instid1(VALU_DEP_1)
	v_dual_cndmask_b32 v23, v23, v27, s3 :: v_dual_cndmask_b32 v4, v28, v25, vcc_lo
	v_alignbit_b32 v24, v22, v23, v26
	s_delay_alu instid0(VALU_DEP_1) | instskip(NEXT) | instid1(VALU_DEP_3)
	v_dual_cndmask_b32 v20, v21, v20, s2 :: v_dual_cndmask_b32 v21, v24, v22, vcc_lo
	v_bfe_u32 v22, v4, 29, 1
	s_delay_alu instid0(VALU_DEP_2) | instskip(NEXT) | instid1(VALU_DEP_3)
	v_cndmask_b32_e64 v20, v27, v20, s3
	v_alignbit_b32 v24, v4, v21, 30
	s_delay_alu instid0(VALU_DEP_3) | instskip(NEXT) | instid1(VALU_DEP_3)
	v_sub_nc_u32_e32 v25, 0, v22
	v_alignbit_b32 v26, v23, v20, v26
	s_delay_alu instid0(VALU_DEP_1) | instskip(NEXT) | instid1(VALU_DEP_1)
	v_dual_cndmask_b32 v23, v26, v23, vcc_lo :: v_dual_bitop2_b32 v24, v24, v25 bitop3:0x14
	v_clz_i32_u32_e32 v26, v24
	s_delay_alu instid0(VALU_DEP_2) | instskip(SKIP_1) | instid1(VALU_DEP_3)
	v_alignbit_b32 v21, v21, v23, 30
	v_alignbit_b32 v20, v23, v20, 30
	v_min_u32_e32 v26, 32, v26
	s_delay_alu instid0(VALU_DEP_3) | instskip(NEXT) | instid1(VALU_DEP_3)
	v_xor_b32_e32 v21, v21, v25
	v_dual_lshrrev_b32 v25, 29, v4 :: v_dual_bitop2_b32 v20, v20, v25 bitop3:0x14
	s_delay_alu instid0(VALU_DEP_3) | instskip(NEXT) | instid1(VALU_DEP_1)
	v_dual_sub_nc_u32 v23, 31, v26 :: v_dual_lshlrev_b32 v27, 23, v26
	v_alignbit_b32 v24, v24, v21, v23
	s_delay_alu instid0(VALU_DEP_3) | instskip(NEXT) | instid1(VALU_DEP_4)
	v_alignbit_b32 v20, v21, v20, v23
	v_lshlrev_b32_e32 v21, 31, v25
	s_delay_alu instid0(VALU_DEP_2) | instskip(NEXT) | instid1(VALU_DEP_2)
	v_alignbit_b32 v23, v24, v20, 9
	v_dual_lshrrev_b32 v24, 9, v24 :: v_dual_bitop2_b32 v25, 0.5, v21 bitop3:0x54
	v_or_b32_e32 v21, 0x33000000, v21
	s_delay_alu instid0(VALU_DEP_3) | instskip(NEXT) | instid1(VALU_DEP_3)
	v_clz_i32_u32_e32 v28, v23
	v_sub_nc_u32_e32 v25, v25, v27
	s_delay_alu instid0(VALU_DEP_2) | instskip(NEXT) | instid1(VALU_DEP_1)
	v_min_u32_e32 v27, 32, v28
	v_add_lshl_u32 v26, v27, v26, 23
	s_delay_alu instid0(VALU_DEP_3) | instskip(SKIP_1) | instid1(VALU_DEP_2)
	v_or_b32_e32 v24, v24, v25
	v_not_b32_e32 v25, v27
	v_dual_mul_f32 v28, 0x3fc90fda, v24 :: v_dual_sub_nc_u32 v21, v21, v26
	s_delay_alu instid0(VALU_DEP_2) | instskip(NEXT) | instid1(VALU_DEP_2)
	v_alignbit_b32 v20, v23, v20, v25
	v_fma_f32 v23, 0x3fc90fda, v24, -v28
	s_delay_alu instid0(VALU_DEP_2) | instskip(NEXT) | instid1(VALU_DEP_2)
	v_lshrrev_b32_e32 v20, 9, v20
	v_fmac_f32_e32 v23, 0x33a22168, v24
	s_delay_alu instid0(VALU_DEP_2) | instskip(NEXT) | instid1(VALU_DEP_1)
	v_or_b32_e32 v20, v21, v20
	v_fmac_f32_e32 v23, 0x3fc90fda, v20
	s_delay_alu instid0(VALU_DEP_1) | instskip(NEXT) | instid1(VALU_DEP_1)
	v_dual_lshrrev_b32 v4, 30, v4 :: v_dual_add_f32 v20, v28, v23
	v_add_nc_u32_e32 v22, v22, v4
.LBB96_14:                              ;   in Loop: Header=BB96_4 Depth=1
	s_and_not1_saveexec_b32 s2, s23
; %bb.15:                               ;   in Loop: Header=BB96_4 Depth=1
	v_mul_f32_e64 v4, 0x3f22f983, |v10|
	s_delay_alu instid0(VALU_DEP_1) | instskip(NEXT) | instid1(VALU_DEP_1)
	v_rndne_f32_e32 v4, v4
	v_fma_f32 v20, 0xbfc90fda, v4, |v10|
	v_cvt_i32_f32_e32 v22, v4
	s_delay_alu instid0(VALU_DEP_2) | instskip(NEXT) | instid1(VALU_DEP_1)
	v_fmac_f32_e32 v20, 0xb3a22168, v4
	v_fmac_f32_e32 v20, 0xa7c234c4, v4
; %bb.16:                               ;   in Loop: Header=BB96_4 Depth=1
	s_or_b32 exec_lo, exec_lo, s2
	v_and_b32_e32 v11, 0xffff0000, v11
                                        ; implicit-def: $vgpr23
                                        ; implicit-def: $vgpr4
	s_mov_b32 s3, exec_lo
	s_delay_alu instid0(VALU_DEP_1)
	v_and_b32_e32 v21, 0x7fffffff, v11
	v_cmpx_ngt_f32_e64 0x48000000, |v11|
	s_xor_b32 s23, exec_lo, s3
	s_cbranch_execz .LBB96_18
; %bb.17:                               ;   in Loop: Header=BB96_4 Depth=1
	s_delay_alu instid0(VALU_DEP_2) | instskip(SKIP_1) | instid1(VALU_DEP_2)
	v_and_or_b32 v4, v21, s19, 0x800000
	v_dual_lshrrev_b32 v23, 23, v21 :: v_dual_mov_b32 v35, v5
	v_mul_u64_e32 v[24:25], s[14:15], v[4:5]
	v_mov_b32_e32 v27, v5
	s_delay_alu instid0(VALU_DEP_3) | instskip(NEXT) | instid1(VALU_DEP_1)
	v_add_nc_u32_e32 v23, 0xffffff88, v23
	v_cmp_lt_u32_e32 vcc_lo, 63, v23
	s_delay_alu instid0(VALU_DEP_4) | instskip(SKIP_1) | instid1(VALU_DEP_2)
	v_mov_b32_e32 v26, v25
	v_cndmask_b32_e64 v25, 0, 0xffffffc0, vcc_lo
	v_mad_nc_u64_u32 v[26:27], 0x3c439041, v4, v[26:27]
	s_delay_alu instid0(VALU_DEP_1) | instskip(NEXT) | instid1(VALU_DEP_1)
	v_dual_mov_b32 v29, v5 :: v_dual_mov_b32 v28, v27
	v_mad_nc_u64_u32 v[28:29], 0xdb629599, v4, v[28:29]
	s_delay_alu instid0(VALU_DEP_1) | instskip(NEXT) | instid1(VALU_DEP_2)
	v_dual_mov_b32 v31, v5 :: v_dual_mov_b32 v30, v29
	v_cndmask_b32_e32 v24, v28, v24, vcc_lo
	s_delay_alu instid0(VALU_DEP_2) | instskip(NEXT) | instid1(VALU_DEP_1)
	v_mad_nc_u64_u32 v[30:31], 0xf534ddc0, v4, v[30:31]
	v_dual_mov_b32 v33, v5 :: v_dual_mov_b32 v32, v31
	s_delay_alu instid0(VALU_DEP_1) | instskip(NEXT) | instid1(VALU_DEP_1)
	v_mad_nc_u64_u32 v[32:33], 0xfc2757d1, v4, v[32:33]
	v_dual_mov_b32 v34, v33 :: v_dual_cndmask_b32 v31, v32, v28
	s_delay_alu instid0(VALU_DEP_1) | instskip(SKIP_1) | instid1(VALU_DEP_2)
	v_mad_nc_u64_u32 v[34:35], 0x4e441529, v4, v[34:35]
	v_add_nc_u32_e32 v23, v25, v23
	v_dual_mov_b32 v37, v5 :: v_dual_mov_b32 v36, v35
	s_delay_alu instid0(VALU_DEP_2) | instskip(NEXT) | instid1(VALU_DEP_2)
	v_cmp_lt_u32_e64 s2, 31, v23
	v_mad_nc_u64_u32 v[36:37], 0xa2f9836e, v4, v[36:37]
	s_delay_alu instid0(VALU_DEP_2) | instskip(NEXT) | instid1(VALU_DEP_1)
	v_cndmask_b32_e64 v25, 0, 0xffffffe0, s2
	v_dual_cndmask_b32 v25, v34, v30 :: v_dual_add_nc_u32 v4, v25, v23
	s_delay_alu instid0(VALU_DEP_3) | instskip(NEXT) | instid1(VALU_DEP_2)
	v_cndmask_b32_e32 v27, v36, v32, vcc_lo
	v_cmp_lt_u32_e64 s3, 31, v4
	v_cndmask_b32_e32 v29, v37, v34, vcc_lo
	s_delay_alu instid0(VALU_DEP_2) | instskip(NEXT) | instid1(VALU_DEP_1)
	v_cndmask_b32_e64 v23, 0, 0xffffffe0, s3
	v_dual_cndmask_b32 v23, v30, v26 :: v_dual_add_nc_u32 v4, v23, v4
	s_delay_alu instid0(VALU_DEP_3) | instskip(NEXT) | instid1(VALU_DEP_2)
	v_dual_cndmask_b32 v26, v27, v25, s2 :: v_dual_cndmask_b32 v27, v29, v27, s2
	v_dual_cndmask_b32 v25, v25, v31, s2 :: v_dual_sub_nc_u32 v29, 32, v4
	s_delay_alu instid0(VALU_DEP_3) | instskip(SKIP_1) | instid1(VALU_DEP_3)
	v_cndmask_b32_e64 v30, v31, v23, s2
	v_cmp_eq_u32_e32 vcc_lo, 0, v4
	v_dual_cndmask_b32 v27, v27, v26, s3 :: v_dual_cndmask_b32 v26, v26, v25, s3
	s_delay_alu instid0(VALU_DEP_1) | instskip(NEXT) | instid1(VALU_DEP_1)
	v_alignbit_b32 v31, v27, v26, v29
	v_dual_cndmask_b32 v25, v25, v30, s3 :: v_dual_cndmask_b32 v4, v31, v27, vcc_lo
	s_delay_alu instid0(VALU_DEP_1) | instskip(NEXT) | instid1(VALU_DEP_1)
	v_alignbit_b32 v28, v26, v25, v29
	v_dual_cndmask_b32 v23, v23, v24, s2 :: v_dual_cndmask_b32 v24, v28, v26, vcc_lo
	s_delay_alu instid0(VALU_DEP_3) | instskip(NEXT) | instid1(VALU_DEP_2)
	v_bfe_u32 v26, v4, 29, 1
	v_cndmask_b32_e64 v23, v30, v23, s3
	s_delay_alu instid0(VALU_DEP_3) | instskip(NEXT) | instid1(VALU_DEP_3)
	v_alignbit_b32 v27, v4, v24, 30
	v_sub_nc_u32_e32 v28, 0, v26
	s_delay_alu instid0(VALU_DEP_3) | instskip(NEXT) | instid1(VALU_DEP_1)
	v_alignbit_b32 v29, v25, v23, v29
	v_dual_cndmask_b32 v25, v29, v25, vcc_lo :: v_dual_bitop2_b32 v27, v27, v28 bitop3:0x14
	s_delay_alu instid0(VALU_DEP_1) | instskip(NEXT) | instid1(VALU_DEP_2)
	v_clz_i32_u32_e32 v29, v27
	v_alignbit_b32 v24, v24, v25, 30
	v_alignbit_b32 v23, v25, v23, 30
	s_delay_alu instid0(VALU_DEP_3) | instskip(NEXT) | instid1(VALU_DEP_3)
	v_min_u32_e32 v29, 32, v29
	v_xor_b32_e32 v24, v24, v28
	s_delay_alu instid0(VALU_DEP_3) | instskip(NEXT) | instid1(VALU_DEP_3)
	v_xor_b32_e32 v23, v23, v28
	v_dual_lshrrev_b32 v28, 29, v4 :: v_dual_lshlrev_b32 v30, 23, v29
	v_sub_nc_u32_e32 v25, 31, v29
	s_delay_alu instid0(VALU_DEP_1) | instskip(NEXT) | instid1(VALU_DEP_4)
	v_alignbit_b32 v27, v27, v24, v25
	v_alignbit_b32 v23, v24, v23, v25
	s_delay_alu instid0(VALU_DEP_4) | instskip(NEXT) | instid1(VALU_DEP_2)
	v_lshlrev_b32_e32 v24, 31, v28
	v_alignbit_b32 v25, v27, v23, 9
	s_delay_alu instid0(VALU_DEP_2) | instskip(SKIP_1) | instid1(VALU_DEP_3)
	v_dual_lshrrev_b32 v27, 9, v27 :: v_dual_bitop2_b32 v28, 0.5, v24 bitop3:0x54
	v_or_b32_e32 v24, 0x33000000, v24
	v_clz_i32_u32_e32 v31, v25
	s_delay_alu instid0(VALU_DEP_3) | instskip(NEXT) | instid1(VALU_DEP_2)
	v_sub_nc_u32_e32 v28, v28, v30
	v_min_u32_e32 v30, 32, v31
	s_delay_alu instid0(VALU_DEP_1) | instskip(NEXT) | instid1(VALU_DEP_3)
	v_add_lshl_u32 v29, v30, v29, 23
	v_or_b32_e32 v27, v27, v28
	v_not_b32_e32 v28, v30
	s_delay_alu instid0(VALU_DEP_2) | instskip(NEXT) | instid1(VALU_DEP_2)
	v_dual_mul_f32 v31, 0x3fc90fda, v27 :: v_dual_sub_nc_u32 v24, v24, v29
	v_alignbit_b32 v23, v25, v23, v28
	s_delay_alu instid0(VALU_DEP_2) | instskip(NEXT) | instid1(VALU_DEP_2)
	v_fma_f32 v25, 0x3fc90fda, v27, -v31
	v_lshrrev_b32_e32 v23, 9, v23
	s_delay_alu instid0(VALU_DEP_2) | instskip(NEXT) | instid1(VALU_DEP_2)
	v_fmac_f32_e32 v25, 0x33a22168, v27
	v_or_b32_e32 v23, v24, v23
	s_delay_alu instid0(VALU_DEP_1) | instskip(NEXT) | instid1(VALU_DEP_1)
	v_fmac_f32_e32 v25, 0x3fc90fda, v23
	v_dual_add_f32 v4, v31, v25 :: v_dual_lshrrev_b32 v23, 30, v4
	s_delay_alu instid0(VALU_DEP_1)
	v_add_nc_u32_e32 v23, v26, v23
.LBB96_18:                              ;   in Loop: Header=BB96_4 Depth=1
	s_and_not1_saveexec_b32 s2, s23
	s_cbranch_execz .LBB96_3
; %bb.19:                               ;   in Loop: Header=BB96_4 Depth=1
	v_mul_f32_e64 v4, 0x3f22f983, |v11|
	s_delay_alu instid0(VALU_DEP_1) | instskip(NEXT) | instid1(VALU_DEP_1)
	v_rndne_f32_e32 v23, v4
	v_fma_f32 v4, 0xbfc90fda, v23, |v11|
	s_delay_alu instid0(VALU_DEP_1) | instskip(NEXT) | instid1(VALU_DEP_1)
	v_fmac_f32_e32 v4, 0xb3a22168, v23
	v_fmac_f32_e32 v4, 0xa7c234c4, v23
	v_cvt_i32_f32_e32 v23, v23
	s_branch .LBB96_3
.LBB96_20:
	s_or_b32 exec_lo, exec_lo, s18
	s_mov_b32 s2, 0
.LBB96_21:
	s_delay_alu instid0(SALU_CYCLE_1)
	s_and_not1_b32 vcc_lo, exec_lo, s2
	s_cbranch_vccnz .LBB96_57
; %bb.22:
	v_cmp_lt_i64_e64 s2, s[10:11], 1
	s_and_b32 vcc_lo, exec_lo, s2
	s_cbranch_vccnz .LBB96_57
; %bb.23:
	s_load_b32 s0, s[0:1], 0xc5c
	v_min_i64 v[2:3], 0x10000, s[10:11]
	v_min_u64 v[6:7], 0x10000, s[10:11]
	v_dual_mov_b32 v5, 0 :: v_dual_lshlrev_b32 v4, 1, v0
	s_mov_b32 s13, 0
	s_mov_b64 s[14:15], 0
	s_mov_b32 s11, s13
	s_delay_alu instid0(VALU_DEP_1)
	v_mov_b32_e32 v1, v5
	v_add_nc_u64_e32 v[8:9], s[4:5], v[4:5]
	v_add_nc_u64_e32 v[10:11], s[8:9], v[4:5]
	s_wait_xcnt 0x0
	s_mov_b32 s1, s13
	s_mov_b32 s3, s13
	;; [unrolled: 1-line block ×5, first 2 shown]
	s_wait_kmcnt 0x0
	s_and_b32 s12, s0, 0xffff
	s_delay_alu instid0(SALU_CYCLE_1)
	v_add_nc_u64_e32 v[12:13], s[12:13], v[0:1]
	v_mad_nc_u64_u32 v[24:25], s12, 6, v[4:5]
	s_lshl_b32 s10, s12, 2
	s_lshl_b32 s0, s12, 1
	v_add_nc_u64_e32 v[20:21], s[10:11], v[4:5]
	s_mul_i32 s2, s12, 3
	s_lshl_b32 s12, s12, 3
	v_lshlrev_b32_e32 v4, 1, v12
	v_add_nc_u64_e32 v[14:15], s[2:3], v[0:1]
	v_add_nc_u64_e32 v[16:17], s[0:1], v[0:1]
	s_delay_alu instid0(VALU_DEP_4)
	v_add_nc_u64_e32 v[18:19], s[4:5], v[20:21]
	v_add_nc_u64_e32 v[20:21], s[8:9], v[20:21]
	;; [unrolled: 1-line block ×6, first 2 shown]
	s_mov_b64 s[8:9], 0xfe5163ab
	s_branch .LBB96_25
.LBB96_24:                              ;   in Loop: Header=BB96_25 Depth=1
	s_wait_xcnt 0x0
	s_or_b32 exec_lo, exec_lo, s0
	s_add_nc_u64 s[14:15], s[14:15], s[10:11]
	v_add_nc_u64_e32 v[8:9], s[12:13], v[8:9]
	v_cmp_ge_i64_e32 vcc_lo, s[14:15], v[2:3]
	v_add_nc_u64_e32 v[10:11], s[12:13], v[10:11]
	v_add_nc_u64_e32 v[22:23], s[12:13], v[22:23]
	;; [unrolled: 1-line block ×7, first 2 shown]
	s_cbranch_vccnz .LBB96_57
.LBB96_25:                              ; =>This Inner Loop Header: Depth=1
	v_add_nc_u64_e32 v[30:31], s[14:15], v[0:1]
	v_mov_b32_e32 v33, 0
	s_delay_alu instid0(VALU_DEP_2)
	v_cmp_lt_u64_e64 s2, v[30:31], v[6:7]
	s_and_saveexec_b32 s0, s2
	s_cbranch_execz .LBB96_27
; %bb.26:                               ;   in Loop: Header=BB96_25 Depth=1
	v_add_nc_u64_e32 v[30:31], s[6:7], v[8:9]
	global_load_u16 v4, v[30:31], off
	s_wait_loadcnt 0x0
	v_lshlrev_b32_e32 v33, 16, v4
.LBB96_27:                              ;   in Loop: Header=BB96_25 Depth=1
	s_wait_xcnt 0x0
	s_or_b32 exec_lo, exec_lo, s0
	v_add_nc_u64_e32 v[30:31], s[14:15], v[12:13]
	v_mov_b32_e32 v32, 0
	s_delay_alu instid0(VALU_DEP_2)
	v_cmp_lt_u64_e64 s1, v[30:31], v[6:7]
	v_mov_b32_e32 v31, 0
	s_and_saveexec_b32 s0, s1
	s_cbranch_execz .LBB96_29
; %bb.28:                               ;   in Loop: Header=BB96_25 Depth=1
	v_add_nc_u64_e32 v[34:35], s[6:7], v[26:27]
	global_load_u16 v4, v[34:35], off
	s_wait_loadcnt 0x0
	v_lshlrev_b32_e32 v32, 16, v4
.LBB96_29:                              ;   in Loop: Header=BB96_25 Depth=1
	s_wait_xcnt 0x0
	s_or_b32 exec_lo, exec_lo, s0
	v_add_nc_u64_e32 v[34:35], s[14:15], v[16:17]
	s_delay_alu instid0(VALU_DEP_1)
	v_cmp_lt_u64_e64 s0, v[34:35], v[6:7]
	s_and_saveexec_b32 s3, s0
	s_cbranch_execz .LBB96_31
; %bb.30:                               ;   in Loop: Header=BB96_25 Depth=1
	v_add_nc_u64_e32 v[30:31], s[6:7], v[18:19]
	global_load_u16 v4, v[30:31], off
	s_wait_loadcnt 0x0
	v_lshlrev_b32_e32 v31, 16, v4
.LBB96_31:                              ;   in Loop: Header=BB96_25 Depth=1
	s_or_b32 exec_lo, exec_lo, s3
	v_add_nc_u64_e32 v[34:35], s[14:15], v[14:15]
	v_mov_b32_e32 v30, 0
	s_delay_alu instid0(VALU_DEP_2)
	v_cmp_lt_u64_e32 vcc_lo, v[34:35], v[6:7]
	s_and_saveexec_b32 s3, vcc_lo
	s_cbranch_execz .LBB96_33
; %bb.32:                               ;   in Loop: Header=BB96_25 Depth=1
	v_add_nc_u64_e32 v[34:35], s[6:7], v[22:23]
	global_load_u16 v4, v[34:35], off
	s_wait_loadcnt 0x0
	v_lshlrev_b32_e32 v30, 16, v4
.LBB96_33:                              ;   in Loop: Header=BB96_25 Depth=1
	s_wait_xcnt 0x0
	s_or_b32 exec_lo, exec_lo, s3
	v_and_b32_e32 v34, 0x7fffffff, v33
                                        ; implicit-def: $vgpr37
                                        ; implicit-def: $vgpr36
	s_mov_b32 s4, exec_lo
	v_cmpx_ngt_f32_e64 0x48000000, |v33|
	s_xor_b32 s19, exec_lo, s4
	s_cbranch_execz .LBB96_35
; %bb.34:                               ;   in Loop: Header=BB96_25 Depth=1
	v_and_or_b32 v4, v34, s16, 0x800000
	v_dual_lshrrev_b32 v35, 23, v34 :: v_dual_mov_b32 v47, v5
	s_delay_alu instid0(VALU_DEP_2) | instskip(SKIP_1) | instid1(VALU_DEP_3)
	v_mul_u64_e32 v[36:37], s[8:9], v[4:5]
	v_mov_b32_e32 v39, v5
	v_add_nc_u32_e32 v35, 0xffffff88, v35
	s_delay_alu instid0(VALU_DEP_1) | instskip(NEXT) | instid1(VALU_DEP_4)
	v_cmp_lt_u32_e64 s3, 63, v35
	v_mov_b32_e32 v38, v37
	s_delay_alu instid0(VALU_DEP_2) | instskip(NEXT) | instid1(VALU_DEP_2)
	v_cndmask_b32_e64 v37, 0, 0xffffffc0, s3
	v_mad_nc_u64_u32 v[38:39], 0x3c439041, v4, v[38:39]
	s_delay_alu instid0(VALU_DEP_1) | instskip(NEXT) | instid1(VALU_DEP_1)
	v_dual_mov_b32 v41, v5 :: v_dual_mov_b32 v40, v39
	v_mad_nc_u64_u32 v[40:41], 0xdb629599, v4, v[40:41]
	s_delay_alu instid0(VALU_DEP_1) | instskip(NEXT) | instid1(VALU_DEP_2)
	v_dual_mov_b32 v43, v5 :: v_dual_mov_b32 v42, v41
	v_cndmask_b32_e64 v36, v40, v36, s3
	s_delay_alu instid0(VALU_DEP_2) | instskip(NEXT) | instid1(VALU_DEP_1)
	v_mad_nc_u64_u32 v[42:43], 0xf534ddc0, v4, v[42:43]
	v_dual_mov_b32 v45, v5 :: v_dual_mov_b32 v44, v43
	s_delay_alu instid0(VALU_DEP_1) | instskip(NEXT) | instid1(VALU_DEP_1)
	v_mad_nc_u64_u32 v[44:45], 0xfc2757d1, v4, v[44:45]
	v_dual_mov_b32 v46, v45 :: v_dual_cndmask_b32 v43, v44, v40, s3
	s_delay_alu instid0(VALU_DEP_1) | instskip(SKIP_1) | instid1(VALU_DEP_2)
	v_mad_nc_u64_u32 v[46:47], 0x4e441529, v4, v[46:47]
	v_add_nc_u32_e32 v35, v37, v35
	v_dual_mov_b32 v49, v5 :: v_dual_mov_b32 v48, v47
	s_delay_alu instid0(VALU_DEP_2) | instskip(NEXT) | instid1(VALU_DEP_2)
	v_cmp_lt_u32_e64 s4, 31, v35
	v_mad_nc_u64_u32 v[48:49], 0xa2f9836e, v4, v[48:49]
	s_delay_alu instid0(VALU_DEP_2) | instskip(NEXT) | instid1(VALU_DEP_1)
	v_cndmask_b32_e64 v37, 0, 0xffffffe0, s4
	v_dual_add_nc_u32 v4, v37, v35 :: v_dual_cndmask_b32 v37, v46, v42, s3
	s_delay_alu instid0(VALU_DEP_3) | instskip(NEXT) | instid1(VALU_DEP_2)
	v_cndmask_b32_e64 v39, v48, v44, s3
	v_cmp_lt_u32_e64 s5, 31, v4
	v_cndmask_b32_e64 v41, v49, v46, s3
	s_delay_alu instid0(VALU_DEP_2) | instskip(NEXT) | instid1(VALU_DEP_1)
	v_cndmask_b32_e64 v35, 0, 0xffffffe0, s5
	v_dual_add_nc_u32 v4, v35, v4 :: v_dual_cndmask_b32 v35, v42, v38, s3
	s_delay_alu instid0(VALU_DEP_3) | instskip(NEXT) | instid1(VALU_DEP_2)
	v_dual_cndmask_b32 v38, v39, v37, s4 :: v_dual_cndmask_b32 v39, v41, v39, s4
	v_dual_cndmask_b32 v37, v37, v43, s4 :: v_dual_sub_nc_u32 v41, 32, v4
	s_delay_alu instid0(VALU_DEP_3) | instskip(SKIP_1) | instid1(VALU_DEP_3)
	v_cndmask_b32_e64 v42, v43, v35, s4
	v_cmp_eq_u32_e64 s3, 0, v4
	v_dual_cndmask_b32 v39, v39, v38, s5 :: v_dual_cndmask_b32 v38, v38, v37, s5
	s_delay_alu instid0(VALU_DEP_1) | instskip(NEXT) | instid1(VALU_DEP_1)
	v_alignbit_b32 v43, v39, v38, v41
	v_dual_cndmask_b32 v37, v37, v42, s5 :: v_dual_cndmask_b32 v4, v43, v39, s3
	s_delay_alu instid0(VALU_DEP_1) | instskip(NEXT) | instid1(VALU_DEP_1)
	v_alignbit_b32 v40, v38, v37, v41
	v_dual_cndmask_b32 v35, v35, v36, s4 :: v_dual_cndmask_b32 v36, v40, v38, s3
	s_delay_alu instid0(VALU_DEP_3) | instskip(NEXT) | instid1(VALU_DEP_2)
	v_bfe_u32 v38, v4, 29, 1
	v_cndmask_b32_e64 v35, v42, v35, s5
	s_delay_alu instid0(VALU_DEP_3) | instskip(NEXT) | instid1(VALU_DEP_3)
	v_alignbit_b32 v39, v4, v36, 30
	v_sub_nc_u32_e32 v40, 0, v38
	s_delay_alu instid0(VALU_DEP_3) | instskip(NEXT) | instid1(VALU_DEP_1)
	v_alignbit_b32 v41, v37, v35, v41
	v_dual_cndmask_b32 v37, v41, v37, s3 :: v_dual_bitop2_b32 v39, v39, v40 bitop3:0x14
	s_delay_alu instid0(VALU_DEP_1) | instskip(NEXT) | instid1(VALU_DEP_2)
	v_clz_i32_u32_e32 v41, v39
	v_alignbit_b32 v36, v36, v37, 30
	v_alignbit_b32 v35, v37, v35, 30
	s_delay_alu instid0(VALU_DEP_3) | instskip(NEXT) | instid1(VALU_DEP_3)
	v_min_u32_e32 v41, 32, v41
	v_xor_b32_e32 v36, v36, v40
	s_delay_alu instid0(VALU_DEP_3) | instskip(SKIP_1) | instid1(VALU_DEP_4)
	v_xor_b32_e32 v35, v35, v40
	v_dual_lshrrev_b32 v40, 29, v4 :: v_dual_lshrrev_b32 v4, 30, v4
	v_dual_sub_nc_u32 v37, 31, v41 :: v_dual_lshlrev_b32 v42, 23, v41
	s_delay_alu instid0(VALU_DEP_1) | instskip(NEXT) | instid1(VALU_DEP_4)
	v_alignbit_b32 v39, v39, v36, v37
	v_alignbit_b32 v35, v36, v35, v37
	s_delay_alu instid0(VALU_DEP_4) | instskip(NEXT) | instid1(VALU_DEP_2)
	v_lshlrev_b32_e32 v36, 31, v40
	v_alignbit_b32 v37, v39, v35, 9
	s_delay_alu instid0(VALU_DEP_2) | instskip(SKIP_1) | instid1(VALU_DEP_3)
	v_dual_lshrrev_b32 v39, 9, v39 :: v_dual_bitop2_b32 v40, 0.5, v36 bitop3:0x54
	v_or_b32_e32 v36, 0x33000000, v36
	v_clz_i32_u32_e32 v43, v37
	s_delay_alu instid0(VALU_DEP_3) | instskip(NEXT) | instid1(VALU_DEP_2)
	v_sub_nc_u32_e32 v40, v40, v42
	v_min_u32_e32 v42, 32, v43
	s_delay_alu instid0(VALU_DEP_1) | instskip(NEXT) | instid1(VALU_DEP_3)
	v_add_lshl_u32 v41, v42, v41, 23
	v_or_b32_e32 v39, v39, v40
	v_not_b32_e32 v40, v42
	s_delay_alu instid0(VALU_DEP_2) | instskip(NEXT) | instid1(VALU_DEP_2)
	v_dual_mul_f32 v43, 0x3fc90fda, v39 :: v_dual_sub_nc_u32 v36, v36, v41
	v_alignbit_b32 v35, v37, v35, v40
	s_delay_alu instid0(VALU_DEP_2) | instskip(NEXT) | instid1(VALU_DEP_2)
	v_fma_f32 v37, 0x3fc90fda, v39, -v43
	v_lshrrev_b32_e32 v35, 9, v35
	s_delay_alu instid0(VALU_DEP_2) | instskip(NEXT) | instid1(VALU_DEP_2)
	v_fmac_f32_e32 v37, 0x33a22168, v39
	v_or_b32_e32 v35, v36, v35
	s_delay_alu instid0(VALU_DEP_1) | instskip(NEXT) | instid1(VALU_DEP_1)
	v_fmac_f32_e32 v37, 0x3fc90fda, v35
	v_dual_add_f32 v36, v43, v37 :: v_dual_add_nc_u32 v37, v38, v4
.LBB96_35:                              ;   in Loop: Header=BB96_25 Depth=1
	s_and_not1_saveexec_b32 s3, s19
; %bb.36:                               ;   in Loop: Header=BB96_25 Depth=1
	v_mul_f32_e64 v4, 0x3f22f983, |v33|
	s_delay_alu instid0(VALU_DEP_1) | instskip(NEXT) | instid1(VALU_DEP_1)
	v_rndne_f32_e32 v4, v4
	v_fma_f32 v36, 0xbfc90fda, v4, |v33|
	v_cvt_i32_f32_e32 v37, v4
	s_delay_alu instid0(VALU_DEP_2) | instskip(NEXT) | instid1(VALU_DEP_1)
	v_fmac_f32_e32 v36, 0xb3a22168, v4
	v_fmac_f32_e32 v36, 0xa7c234c4, v4
; %bb.37:                               ;   in Loop: Header=BB96_25 Depth=1
	s_or_b32 exec_lo, exec_lo, s3
	v_and_b32_e32 v35, 0x7fffffff, v32
                                        ; implicit-def: $vgpr40
                                        ; implicit-def: $vgpr39
	s_mov_b32 s4, exec_lo
	v_cmpx_ngt_f32_e64 0x48000000, |v32|
	s_xor_b32 s19, exec_lo, s4
	s_cbranch_execz .LBB96_39
; %bb.38:                               ;   in Loop: Header=BB96_25 Depth=1
	v_and_or_b32 v4, v35, s16, 0x800000
	v_mov_b32_e32 v49, v5
	s_delay_alu instid0(VALU_DEP_2) | instskip(NEXT) | instid1(VALU_DEP_1)
	v_mul_u64_e32 v[38:39], s[8:9], v[4:5]
	v_dual_mov_b32 v41, v5 :: v_dual_mov_b32 v40, v39
	v_lshrrev_b32_e32 v39, 23, v35
	s_delay_alu instid0(VALU_DEP_2) | instskip(SKIP_1) | instid1(VALU_DEP_3)
	v_mad_nc_u64_u32 v[40:41], 0x3c439041, v4, v[40:41]
	v_mov_b32_e32 v43, v5
	v_add_nc_u32_e32 v39, 0xffffff88, v39
	s_delay_alu instid0(VALU_DEP_1) | instskip(NEXT) | instid1(VALU_DEP_4)
	v_cmp_lt_u32_e64 s3, 63, v39
	v_mov_b32_e32 v42, v41
	s_delay_alu instid0(VALU_DEP_2) | instskip(NEXT) | instid1(VALU_DEP_2)
	v_cndmask_b32_e64 v41, 0, 0xffffffc0, s3
	v_mad_nc_u64_u32 v[42:43], 0xdb629599, v4, v[42:43]
	s_delay_alu instid0(VALU_DEP_1) | instskip(NEXT) | instid1(VALU_DEP_2)
	v_dual_mov_b32 v45, v5 :: v_dual_mov_b32 v44, v43
	v_cndmask_b32_e64 v38, v42, v38, s3
	s_delay_alu instid0(VALU_DEP_2) | instskip(NEXT) | instid1(VALU_DEP_1)
	v_mad_nc_u64_u32 v[44:45], 0xf534ddc0, v4, v[44:45]
	v_dual_mov_b32 v47, v5 :: v_dual_mov_b32 v46, v45
	s_delay_alu instid0(VALU_DEP_1) | instskip(NEXT) | instid1(VALU_DEP_1)
	v_mad_nc_u64_u32 v[46:47], 0xfc2757d1, v4, v[46:47]
	v_mov_b32_e32 v48, v47
	s_delay_alu instid0(VALU_DEP_1) | instskip(SKIP_2) | instid1(VALU_DEP_2)
	v_mad_nc_u64_u32 v[48:49], 0x4e441529, v4, v[48:49]
	v_add_nc_u32_e32 v39, v41, v39
	v_mov_b32_e32 v51, v5
	v_cmp_lt_u32_e64 s4, 31, v39
	s_delay_alu instid0(VALU_DEP_4) | instskip(NEXT) | instid1(VALU_DEP_2)
	v_mov_b32_e32 v50, v49
	v_cndmask_b32_e64 v41, 0, 0xffffffe0, s4
	s_delay_alu instid0(VALU_DEP_2) | instskip(NEXT) | instid1(VALU_DEP_2)
	v_mad_nc_u64_u32 v[50:51], 0xa2f9836e, v4, v[50:51]
	v_dual_add_nc_u32 v4, v41, v39 :: v_dual_cndmask_b32 v41, v48, v44, s3
	s_delay_alu instid0(VALU_DEP_2) | instskip(NEXT) | instid1(VALU_DEP_2)
	v_cndmask_b32_e64 v43, v50, v46, s3
	v_cmp_lt_u32_e64 s5, 31, v4
	s_delay_alu instid0(VALU_DEP_4) | instskip(NEXT) | instid1(VALU_DEP_2)
	v_dual_cndmask_b32 v45, v51, v48, s3 :: v_dual_cndmask_b32 v46, v46, v42, s3
	v_cndmask_b32_e64 v39, 0, 0xffffffe0, s5
	s_delay_alu instid0(VALU_DEP_1) | instskip(SKIP_1) | instid1(VALU_DEP_4)
	v_add_nc_u32_e32 v4, v39, v4
	v_dual_cndmask_b32 v39, v44, v40, s3 :: v_dual_cndmask_b32 v40, v43, v41, s4
	v_cndmask_b32_e64 v43, v45, v43, s4
	s_delay_alu instid0(VALU_DEP_3) | instskip(NEXT) | instid1(VALU_DEP_3)
	v_dual_cndmask_b32 v41, v41, v46, s4 :: v_dual_sub_nc_u32 v44, 32, v4
	v_cndmask_b32_e64 v45, v46, v39, s4
	v_cmp_eq_u32_e64 s3, 0, v4
	s_delay_alu instid0(VALU_DEP_3) | instskip(NEXT) | instid1(VALU_DEP_1)
	v_dual_cndmask_b32 v43, v43, v40, s5 :: v_dual_cndmask_b32 v40, v40, v41, s5
	v_alignbit_b32 v46, v43, v40, v44
	s_delay_alu instid0(VALU_DEP_1) | instskip(NEXT) | instid1(VALU_DEP_1)
	v_dual_cndmask_b32 v41, v41, v45, s5 :: v_dual_cndmask_b32 v4, v46, v43, s3
	v_alignbit_b32 v42, v40, v41, v44
	s_delay_alu instid0(VALU_DEP_1) | instskip(NEXT) | instid1(VALU_DEP_3)
	v_dual_cndmask_b32 v38, v39, v38, s4 :: v_dual_cndmask_b32 v39, v42, v40, s3
	v_bfe_u32 v40, v4, 29, 1
	s_delay_alu instid0(VALU_DEP_2) | instskip(NEXT) | instid1(VALU_DEP_3)
	v_cndmask_b32_e64 v38, v45, v38, s5
	v_alignbit_b32 v42, v4, v39, 30
	s_delay_alu instid0(VALU_DEP_3) | instskip(NEXT) | instid1(VALU_DEP_3)
	v_sub_nc_u32_e32 v43, 0, v40
	v_alignbit_b32 v44, v41, v38, v44
	s_delay_alu instid0(VALU_DEP_1) | instskip(NEXT) | instid1(VALU_DEP_1)
	v_dual_cndmask_b32 v41, v44, v41, s3 :: v_dual_bitop2_b32 v42, v42, v43 bitop3:0x14
	v_clz_i32_u32_e32 v44, v42
	s_delay_alu instid0(VALU_DEP_2) | instskip(SKIP_1) | instid1(VALU_DEP_3)
	v_alignbit_b32 v39, v39, v41, 30
	v_alignbit_b32 v38, v41, v38, 30
	v_min_u32_e32 v44, 32, v44
	s_delay_alu instid0(VALU_DEP_3) | instskip(NEXT) | instid1(VALU_DEP_3)
	v_xor_b32_e32 v39, v39, v43
	v_dual_lshrrev_b32 v43, 29, v4 :: v_dual_bitop2_b32 v38, v38, v43 bitop3:0x14
	v_lshrrev_b32_e32 v4, 30, v4
	s_delay_alu instid0(VALU_DEP_4) | instskip(NEXT) | instid1(VALU_DEP_2)
	v_dual_sub_nc_u32 v41, 31, v44 :: v_dual_lshlrev_b32 v45, 23, v44
	v_add_nc_u32_e32 v40, v40, v4
	s_delay_alu instid0(VALU_DEP_2) | instskip(SKIP_2) | instid1(VALU_DEP_2)
	v_alignbit_b32 v42, v42, v39, v41
	v_alignbit_b32 v38, v39, v38, v41
	v_lshlrev_b32_e32 v39, 31, v43
	v_alignbit_b32 v41, v42, v38, 9
	s_delay_alu instid0(VALU_DEP_2) | instskip(SKIP_1) | instid1(VALU_DEP_3)
	v_dual_lshrrev_b32 v42, 9, v42 :: v_dual_bitop2_b32 v43, 0.5, v39 bitop3:0x54
	v_or_b32_e32 v39, 0x33000000, v39
	v_clz_i32_u32_e32 v46, v41
	s_delay_alu instid0(VALU_DEP_3) | instskip(NEXT) | instid1(VALU_DEP_2)
	v_sub_nc_u32_e32 v43, v43, v45
	v_min_u32_e32 v45, 32, v46
	s_delay_alu instid0(VALU_DEP_1) | instskip(NEXT) | instid1(VALU_DEP_3)
	v_add_lshl_u32 v44, v45, v44, 23
	v_or_b32_e32 v42, v42, v43
	v_not_b32_e32 v43, v45
	s_delay_alu instid0(VALU_DEP_2) | instskip(NEXT) | instid1(VALU_DEP_2)
	v_dual_mul_f32 v46, 0x3fc90fda, v42 :: v_dual_sub_nc_u32 v39, v39, v44
	v_alignbit_b32 v38, v41, v38, v43
	s_delay_alu instid0(VALU_DEP_2) | instskip(NEXT) | instid1(VALU_DEP_2)
	v_fma_f32 v41, 0x3fc90fda, v42, -v46
	v_lshrrev_b32_e32 v38, 9, v38
	s_delay_alu instid0(VALU_DEP_2) | instskip(NEXT) | instid1(VALU_DEP_2)
	v_fmac_f32_e32 v41, 0x33a22168, v42
	v_or_b32_e32 v38, v39, v38
	s_delay_alu instid0(VALU_DEP_1) | instskip(NEXT) | instid1(VALU_DEP_1)
	v_fmac_f32_e32 v41, 0x3fc90fda, v38
	v_add_f32_e32 v39, v46, v41
.LBB96_39:                              ;   in Loop: Header=BB96_25 Depth=1
	s_and_not1_saveexec_b32 s3, s19
; %bb.40:                               ;   in Loop: Header=BB96_25 Depth=1
	v_mul_f32_e64 v4, 0x3f22f983, |v32|
	s_delay_alu instid0(VALU_DEP_1) | instskip(NEXT) | instid1(VALU_DEP_1)
	v_rndne_f32_e32 v4, v4
	v_fma_f32 v39, 0xbfc90fda, v4, |v32|
	v_cvt_i32_f32_e32 v40, v4
	s_delay_alu instid0(VALU_DEP_2) | instskip(NEXT) | instid1(VALU_DEP_1)
	v_fmac_f32_e32 v39, 0xb3a22168, v4
	v_fmac_f32_e32 v39, 0xa7c234c4, v4
; %bb.41:                               ;   in Loop: Header=BB96_25 Depth=1
	s_or_b32 exec_lo, exec_lo, s3
	v_and_b32_e32 v38, 0x7fffffff, v31
                                        ; implicit-def: $vgpr43
                                        ; implicit-def: $vgpr42
	s_mov_b32 s4, exec_lo
	v_cmpx_ngt_f32_e64 0x48000000, |v31|
	s_xor_b32 s19, exec_lo, s4
	s_cbranch_execz .LBB96_43
; %bb.42:                               ;   in Loop: Header=BB96_25 Depth=1
	v_and_or_b32 v4, v38, s16, 0x800000
	v_dual_lshrrev_b32 v41, 23, v38 :: v_dual_mov_b32 v53, v5
	v_mov_b32_e32 v55, v5
	s_delay_alu instid0(VALU_DEP_3) | instskip(SKIP_1) | instid1(VALU_DEP_4)
	v_mul_u64_e32 v[42:43], s[8:9], v[4:5]
	v_mov_b32_e32 v45, v5
	v_add_nc_u32_e32 v41, 0xffffff88, v41
	s_delay_alu instid0(VALU_DEP_1) | instskip(NEXT) | instid1(VALU_DEP_4)
	v_cmp_lt_u32_e64 s3, 63, v41
	v_mov_b32_e32 v44, v43
	s_delay_alu instid0(VALU_DEP_2) | instskip(NEXT) | instid1(VALU_DEP_2)
	v_cndmask_b32_e64 v43, 0, 0xffffffc0, s3
	v_mad_nc_u64_u32 v[44:45], 0x3c439041, v4, v[44:45]
	s_delay_alu instid0(VALU_DEP_2) | instskip(NEXT) | instid1(VALU_DEP_1)
	v_dual_mov_b32 v47, v5 :: v_dual_add_nc_u32 v41, v43, v41
	v_cmp_lt_u32_e64 s4, 31, v41
	s_delay_alu instid0(VALU_DEP_3) | instskip(NEXT) | instid1(VALU_DEP_2)
	v_mov_b32_e32 v46, v45
	v_cndmask_b32_e64 v43, 0, 0xffffffe0, s4
	s_delay_alu instid0(VALU_DEP_2) | instskip(NEXT) | instid1(VALU_DEP_1)
	v_mad_nc_u64_u32 v[46:47], 0xdb629599, v4, v[46:47]
	v_dual_mov_b32 v49, v5 :: v_dual_mov_b32 v48, v47
	s_delay_alu instid0(VALU_DEP_2) | instskip(NEXT) | instid1(VALU_DEP_2)
	v_cndmask_b32_e64 v42, v46, v42, s3
	v_mad_nc_u64_u32 v[48:49], 0xf534ddc0, v4, v[48:49]
	s_delay_alu instid0(VALU_DEP_1) | instskip(NEXT) | instid1(VALU_DEP_1)
	v_dual_mov_b32 v51, v5 :: v_dual_mov_b32 v50, v49
	v_mad_nc_u64_u32 v[50:51], 0xfc2757d1, v4, v[50:51]
	s_delay_alu instid0(VALU_DEP_1) | instskip(NEXT) | instid1(VALU_DEP_1)
	v_dual_mov_b32 v52, v51 :: v_dual_cndmask_b32 v49, v50, v46, s3
	v_mad_nc_u64_u32 v[52:53], 0x4e441529, v4, v[52:53]
	s_delay_alu instid0(VALU_DEP_1) | instskip(NEXT) | instid1(VALU_DEP_1)
	v_mov_b32_e32 v54, v53
	v_mad_nc_u64_u32 v[54:55], 0xa2f9836e, v4, v[54:55]
	s_delay_alu instid0(VALU_DEP_3) | instskip(NEXT) | instid1(VALU_DEP_1)
	v_dual_add_nc_u32 v4, v43, v41 :: v_dual_cndmask_b32 v43, v52, v48, s3
	v_cmp_lt_u32_e64 s5, 31, v4
	s_delay_alu instid0(VALU_DEP_1) | instskip(NEXT) | instid1(VALU_DEP_4)
	v_cndmask_b32_e64 v41, 0, 0xffffffe0, s5
	v_dual_cndmask_b32 v45, v54, v50, s3 :: v_dual_cndmask_b32 v47, v55, v52, s3
	s_delay_alu instid0(VALU_DEP_2) | instskip(NEXT) | instid1(VALU_DEP_2)
	v_add_nc_u32_e32 v4, v41, v4
	v_dual_cndmask_b32 v41, v48, v44, s3 :: v_dual_cndmask_b32 v44, v45, v43, s4
	s_delay_alu instid0(VALU_DEP_3) | instskip(NEXT) | instid1(VALU_DEP_3)
	v_cndmask_b32_e64 v45, v47, v45, s4
	v_dual_cndmask_b32 v43, v43, v49, s4 :: v_dual_sub_nc_u32 v47, 32, v4
	s_delay_alu instid0(VALU_DEP_3) | instskip(SKIP_1) | instid1(VALU_DEP_3)
	v_cndmask_b32_e64 v48, v49, v41, s4
	v_cmp_eq_u32_e64 s3, 0, v4
	v_dual_cndmask_b32 v45, v45, v44, s5 :: v_dual_cndmask_b32 v44, v44, v43, s5
	s_delay_alu instid0(VALU_DEP_1) | instskip(NEXT) | instid1(VALU_DEP_1)
	v_alignbit_b32 v49, v45, v44, v47
	v_dual_cndmask_b32 v43, v43, v48, s5 :: v_dual_cndmask_b32 v4, v49, v45, s3
	s_delay_alu instid0(VALU_DEP_1) | instskip(NEXT) | instid1(VALU_DEP_1)
	v_alignbit_b32 v46, v44, v43, v47
	v_dual_cndmask_b32 v41, v41, v42, s4 :: v_dual_cndmask_b32 v42, v46, v44, s3
	s_delay_alu instid0(VALU_DEP_3) | instskip(NEXT) | instid1(VALU_DEP_2)
	v_bfe_u32 v44, v4, 29, 1
	v_cndmask_b32_e64 v41, v48, v41, s5
	s_delay_alu instid0(VALU_DEP_3) | instskip(NEXT) | instid1(VALU_DEP_3)
	v_alignbit_b32 v45, v4, v42, 30
	v_sub_nc_u32_e32 v46, 0, v44
	s_delay_alu instid0(VALU_DEP_3) | instskip(NEXT) | instid1(VALU_DEP_1)
	v_alignbit_b32 v47, v43, v41, v47
	v_dual_cndmask_b32 v43, v47, v43, s3 :: v_dual_bitop2_b32 v45, v45, v46 bitop3:0x14
	s_delay_alu instid0(VALU_DEP_1) | instskip(NEXT) | instid1(VALU_DEP_2)
	v_clz_i32_u32_e32 v47, v45
	v_alignbit_b32 v42, v42, v43, 30
	v_alignbit_b32 v41, v43, v41, 30
	s_delay_alu instid0(VALU_DEP_3) | instskip(NEXT) | instid1(VALU_DEP_3)
	v_min_u32_e32 v47, 32, v47
	v_xor_b32_e32 v42, v42, v46
	s_delay_alu instid0(VALU_DEP_3) | instskip(NEXT) | instid1(VALU_DEP_3)
	v_dual_lshrrev_b32 v46, 29, v4 :: v_dual_bitop2_b32 v41, v41, v46 bitop3:0x14
	v_dual_lshrrev_b32 v4, 30, v4 :: v_dual_sub_nc_u32 v43, 31, v47
	v_lshlrev_b32_e32 v48, 23, v47
	s_delay_alu instid0(VALU_DEP_2) | instskip(NEXT) | instid1(VALU_DEP_4)
	v_alignbit_b32 v45, v45, v42, v43
	v_alignbit_b32 v41, v42, v41, v43
	v_lshlrev_b32_e32 v42, 31, v46
	s_delay_alu instid0(VALU_DEP_2) | instskip(NEXT) | instid1(VALU_DEP_2)
	v_alignbit_b32 v43, v45, v41, 9
	v_dual_lshrrev_b32 v45, 9, v45 :: v_dual_bitop2_b32 v46, 0.5, v42 bitop3:0x54
	v_or_b32_e32 v42, 0x33000000, v42
	s_delay_alu instid0(VALU_DEP_3) | instskip(NEXT) | instid1(VALU_DEP_3)
	v_clz_i32_u32_e32 v49, v43
	v_sub_nc_u32_e32 v46, v46, v48
	s_delay_alu instid0(VALU_DEP_2) | instskip(NEXT) | instid1(VALU_DEP_1)
	v_min_u32_e32 v48, 32, v49
	v_add_lshl_u32 v47, v48, v47, 23
	s_delay_alu instid0(VALU_DEP_3) | instskip(SKIP_1) | instid1(VALU_DEP_2)
	v_or_b32_e32 v45, v45, v46
	v_not_b32_e32 v46, v48
	v_dual_mul_f32 v49, 0x3fc90fda, v45 :: v_dual_sub_nc_u32 v42, v42, v47
	s_delay_alu instid0(VALU_DEP_2) | instskip(NEXT) | instid1(VALU_DEP_2)
	v_alignbit_b32 v41, v43, v41, v46
	v_fma_f32 v43, 0x3fc90fda, v45, -v49
	s_delay_alu instid0(VALU_DEP_2) | instskip(NEXT) | instid1(VALU_DEP_2)
	v_lshrrev_b32_e32 v41, 9, v41
	v_fmac_f32_e32 v43, 0x33a22168, v45
	s_delay_alu instid0(VALU_DEP_2) | instskip(NEXT) | instid1(VALU_DEP_1)
	v_or_b32_e32 v41, v42, v41
	v_fmac_f32_e32 v43, 0x3fc90fda, v41
	s_delay_alu instid0(VALU_DEP_1)
	v_dual_add_f32 v42, v49, v43 :: v_dual_add_nc_u32 v43, v44, v4
.LBB96_43:                              ;   in Loop: Header=BB96_25 Depth=1
	s_and_not1_saveexec_b32 s3, s19
; %bb.44:                               ;   in Loop: Header=BB96_25 Depth=1
	v_mul_f32_e64 v4, 0x3f22f983, |v31|
	s_delay_alu instid0(VALU_DEP_1) | instskip(NEXT) | instid1(VALU_DEP_1)
	v_rndne_f32_e32 v4, v4
	v_fma_f32 v42, 0xbfc90fda, v4, |v31|
	v_cvt_i32_f32_e32 v43, v4
	s_delay_alu instid0(VALU_DEP_2) | instskip(NEXT) | instid1(VALU_DEP_1)
	v_fmac_f32_e32 v42, 0xb3a22168, v4
	v_fmac_f32_e32 v42, 0xa7c234c4, v4
; %bb.45:                               ;   in Loop: Header=BB96_25 Depth=1
	s_or_b32 exec_lo, exec_lo, s3
	v_and_b32_e32 v41, 0x7fffffff, v30
                                        ; implicit-def: $vgpr44
                                        ; implicit-def: $vgpr4
	s_mov_b32 s4, exec_lo
	v_cmpx_ngt_f32_e64 0x48000000, |v30|
	s_xor_b32 s19, exec_lo, s4
	s_cbranch_execnz .LBB96_51
; %bb.46:                               ;   in Loop: Header=BB96_25 Depth=1
	s_and_not1_saveexec_b32 s3, s19
	s_cbranch_execnz .LBB96_52
.LBB96_47:                              ;   in Loop: Header=BB96_25 Depth=1
	s_or_b32 exec_lo, exec_lo, s3
	s_and_saveexec_b32 s3, s2
	s_delay_alu instid0(SALU_CYCLE_1)
	s_xor_b32 s3, exec_lo, s3
	s_cbranch_execnz .LBB96_53
.LBB96_48:                              ;   in Loop: Header=BB96_25 Depth=1
	s_or_b32 exec_lo, exec_lo, s3
	s_and_saveexec_b32 s2, s1
	s_cbranch_execnz .LBB96_54
.LBB96_49:                              ;   in Loop: Header=BB96_25 Depth=1
	s_or_b32 exec_lo, exec_lo, s2
	s_and_saveexec_b32 s1, s0
	s_cbranch_execnz .LBB96_55
.LBB96_50:                              ;   in Loop: Header=BB96_25 Depth=1
	s_or_b32 exec_lo, exec_lo, s1
	s_and_saveexec_b32 s0, vcc_lo
	s_cbranch_execz .LBB96_24
	s_branch .LBB96_56
.LBB96_51:                              ;   in Loop: Header=BB96_25 Depth=1
	v_and_or_b32 v4, v41, s16, 0x800000
	v_dual_mov_b32 v55, v5 :: v_dual_mov_b32 v57, v5
	s_delay_alu instid0(VALU_DEP_2) | instskip(NEXT) | instid1(VALU_DEP_1)
	v_mul_u64_e32 v[44:45], s[8:9], v[4:5]
	v_dual_mov_b32 v47, v5 :: v_dual_mov_b32 v46, v45
	v_lshrrev_b32_e32 v45, 23, v41
	s_delay_alu instid0(VALU_DEP_2) | instskip(SKIP_1) | instid1(VALU_DEP_3)
	v_mad_nc_u64_u32 v[46:47], 0x3c439041, v4, v[46:47]
	v_mov_b32_e32 v49, v5
	v_add_nc_u32_e32 v45, 0xffffff88, v45
	s_delay_alu instid0(VALU_DEP_1) | instskip(NEXT) | instid1(VALU_DEP_4)
	v_cmp_lt_u32_e64 s3, 63, v45
	v_mov_b32_e32 v48, v47
	s_delay_alu instid0(VALU_DEP_2) | instskip(NEXT) | instid1(VALU_DEP_2)
	v_cndmask_b32_e64 v47, 0, 0xffffffc0, s3
	v_mad_nc_u64_u32 v[48:49], 0xdb629599, v4, v[48:49]
	s_delay_alu instid0(VALU_DEP_2) | instskip(NEXT) | instid1(VALU_DEP_1)
	v_dual_mov_b32 v51, v5 :: v_dual_add_nc_u32 v45, v47, v45
	v_cmp_lt_u32_e64 s4, 31, v45
	s_delay_alu instid0(VALU_DEP_3) | instskip(NEXT) | instid1(VALU_DEP_2)
	v_mov_b32_e32 v50, v49
	v_cndmask_b32_e64 v47, 0, 0xffffffe0, s4
	v_cndmask_b32_e64 v44, v48, v44, s3
	s_delay_alu instid0(VALU_DEP_3) | instskip(NEXT) | instid1(VALU_DEP_1)
	v_mad_nc_u64_u32 v[50:51], 0xf534ddc0, v4, v[50:51]
	v_dual_mov_b32 v53, v5 :: v_dual_mov_b32 v52, v51
	s_delay_alu instid0(VALU_DEP_1) | instskip(NEXT) | instid1(VALU_DEP_1)
	v_mad_nc_u64_u32 v[52:53], 0xfc2757d1, v4, v[52:53]
	v_mov_b32_e32 v54, v53
	s_delay_alu instid0(VALU_DEP_1) | instskip(NEXT) | instid1(VALU_DEP_1)
	v_mad_nc_u64_u32 v[54:55], 0x4e441529, v4, v[54:55]
	v_mov_b32_e32 v56, v55
	s_delay_alu instid0(VALU_DEP_1) | instskip(NEXT) | instid1(VALU_DEP_3)
	v_mad_nc_u64_u32 v[56:57], 0xa2f9836e, v4, v[56:57]
	v_dual_add_nc_u32 v4, v47, v45 :: v_dual_cndmask_b32 v47, v54, v50, s3
	s_delay_alu instid0(VALU_DEP_2) | instskip(NEXT) | instid1(VALU_DEP_2)
	v_cndmask_b32_e64 v49, v56, v52, s3
	v_cmp_lt_u32_e64 s5, 31, v4
	s_delay_alu instid0(VALU_DEP_4) | instskip(NEXT) | instid1(VALU_DEP_2)
	v_dual_cndmask_b32 v51, v57, v54, s3 :: v_dual_cndmask_b32 v52, v52, v48, s3
	v_cndmask_b32_e64 v45, 0, 0xffffffe0, s5
	s_delay_alu instid0(VALU_DEP_1) | instskip(NEXT) | instid1(VALU_DEP_3)
	v_dual_add_nc_u32 v4, v45, v4 :: v_dual_cndmask_b32 v45, v50, v46, s3
	v_dual_cndmask_b32 v46, v49, v47, s4 :: v_dual_cndmask_b32 v49, v51, v49, s4
	s_delay_alu instid0(VALU_DEP_4) | instskip(NEXT) | instid1(VALU_DEP_3)
	v_cndmask_b32_e64 v47, v47, v52, s4
	v_dual_sub_nc_u32 v50, 32, v4 :: v_dual_cndmask_b32 v51, v52, v45, s4
	v_cmp_eq_u32_e64 s3, 0, v4
	s_delay_alu instid0(VALU_DEP_3) | instskip(NEXT) | instid1(VALU_DEP_1)
	v_dual_cndmask_b32 v49, v49, v46, s5 :: v_dual_cndmask_b32 v46, v46, v47, s5
	v_alignbit_b32 v52, v49, v46, v50
	s_delay_alu instid0(VALU_DEP_1) | instskip(NEXT) | instid1(VALU_DEP_1)
	v_dual_cndmask_b32 v47, v47, v51, s5 :: v_dual_cndmask_b32 v4, v52, v49, s3
	v_alignbit_b32 v48, v46, v47, v50
	s_delay_alu instid0(VALU_DEP_1) | instskip(NEXT) | instid1(VALU_DEP_3)
	v_dual_cndmask_b32 v44, v45, v44, s4 :: v_dual_cndmask_b32 v45, v48, v46, s3
	v_bfe_u32 v46, v4, 29, 1
	s_delay_alu instid0(VALU_DEP_2) | instskip(NEXT) | instid1(VALU_DEP_3)
	v_cndmask_b32_e64 v44, v51, v44, s5
	v_alignbit_b32 v48, v4, v45, 30
	s_delay_alu instid0(VALU_DEP_3) | instskip(NEXT) | instid1(VALU_DEP_3)
	v_sub_nc_u32_e32 v49, 0, v46
	v_alignbit_b32 v50, v47, v44, v50
	s_delay_alu instid0(VALU_DEP_1) | instskip(NEXT) | instid1(VALU_DEP_1)
	v_dual_cndmask_b32 v47, v50, v47, s3 :: v_dual_bitop2_b32 v48, v48, v49 bitop3:0x14
	v_clz_i32_u32_e32 v50, v48
	s_delay_alu instid0(VALU_DEP_2) | instskip(SKIP_1) | instid1(VALU_DEP_3)
	v_alignbit_b32 v45, v45, v47, 30
	v_alignbit_b32 v44, v47, v44, 30
	v_min_u32_e32 v50, 32, v50
	s_delay_alu instid0(VALU_DEP_3) | instskip(NEXT) | instid1(VALU_DEP_3)
	v_xor_b32_e32 v45, v45, v49
	v_dual_lshrrev_b32 v49, 29, v4 :: v_dual_bitop2_b32 v44, v44, v49 bitop3:0x14
	s_delay_alu instid0(VALU_DEP_3) | instskip(NEXT) | instid1(VALU_DEP_1)
	v_dual_sub_nc_u32 v47, 31, v50 :: v_dual_lshlrev_b32 v51, 23, v50
	v_alignbit_b32 v48, v48, v45, v47
	s_delay_alu instid0(VALU_DEP_3) | instskip(NEXT) | instid1(VALU_DEP_4)
	v_alignbit_b32 v44, v45, v44, v47
	v_lshlrev_b32_e32 v45, 31, v49
	s_delay_alu instid0(VALU_DEP_2) | instskip(NEXT) | instid1(VALU_DEP_2)
	v_alignbit_b32 v47, v48, v44, 9
	v_dual_lshrrev_b32 v48, 9, v48 :: v_dual_bitop2_b32 v49, 0.5, v45 bitop3:0x54
	v_or_b32_e32 v45, 0x33000000, v45
	s_delay_alu instid0(VALU_DEP_3) | instskip(NEXT) | instid1(VALU_DEP_3)
	v_clz_i32_u32_e32 v52, v47
	v_sub_nc_u32_e32 v49, v49, v51
	s_delay_alu instid0(VALU_DEP_2) | instskip(NEXT) | instid1(VALU_DEP_1)
	v_min_u32_e32 v51, 32, v52
	v_add_lshl_u32 v50, v51, v50, 23
	s_delay_alu instid0(VALU_DEP_3) | instskip(SKIP_1) | instid1(VALU_DEP_2)
	v_or_b32_e32 v48, v48, v49
	v_not_b32_e32 v49, v51
	v_dual_mul_f32 v52, 0x3fc90fda, v48 :: v_dual_sub_nc_u32 v45, v45, v50
	s_delay_alu instid0(VALU_DEP_2) | instskip(NEXT) | instid1(VALU_DEP_2)
	v_alignbit_b32 v44, v47, v44, v49
	v_fma_f32 v47, 0x3fc90fda, v48, -v52
	s_delay_alu instid0(VALU_DEP_2) | instskip(NEXT) | instid1(VALU_DEP_2)
	v_lshrrev_b32_e32 v44, 9, v44
	v_fmac_f32_e32 v47, 0x33a22168, v48
	s_delay_alu instid0(VALU_DEP_2) | instskip(NEXT) | instid1(VALU_DEP_1)
	v_or_b32_e32 v44, v45, v44
	v_fmac_f32_e32 v47, 0x3fc90fda, v44
	v_lshrrev_b32_e32 v44, 30, v4
	s_delay_alu instid0(VALU_DEP_1)
	v_dual_add_nc_u32 v44, v46, v44 :: v_dual_add_f32 v4, v52, v47
	s_and_not1_saveexec_b32 s3, s19
	s_cbranch_execz .LBB96_47
.LBB96_52:                              ;   in Loop: Header=BB96_25 Depth=1
	v_mul_f32_e64 v4, 0x3f22f983, |v30|
	s_delay_alu instid0(VALU_DEP_1) | instskip(NEXT) | instid1(VALU_DEP_1)
	v_rndne_f32_e32 v44, v4
	v_fma_f32 v4, 0xbfc90fda, v44, |v30|
	s_delay_alu instid0(VALU_DEP_1) | instskip(NEXT) | instid1(VALU_DEP_1)
	v_fmac_f32_e32 v4, 0xb3a22168, v44
	v_fmac_f32_e32 v4, 0xa7c234c4, v44
	v_cvt_i32_f32_e32 v44, v44
	s_or_b32 exec_lo, exec_lo, s3
	s_and_saveexec_b32 s3, s2
	s_delay_alu instid0(SALU_CYCLE_1)
	s_xor_b32 s3, exec_lo, s3
	s_cbranch_execz .LBB96_48
.LBB96_53:                              ;   in Loop: Header=BB96_25 Depth=1
	v_dual_mul_f32 v45, v36, v36 :: v_dual_bitop2_b32 v37, 1, v37 bitop3:0x40
	s_delay_alu instid0(VALU_DEP_1) | instskip(SKIP_1) | instid1(VALU_DEP_3)
	v_fmaak_f32 v46, s18, v45, 0xbf039337
	v_fmaak_f32 v47, s17, v45, 0x3ec54587
	v_cmp_eq_u32_e64 s2, 0, v37
	s_delay_alu instid0(VALU_DEP_3) | instskip(NEXT) | instid1(VALU_DEP_1)
	v_fmaak_f32 v46, v45, v46, 0x3f93f425
	v_rcp_f32_e32 v46, v46
	v_nop
	s_delay_alu instid0(TRANS32_DEP_1) | instskip(NEXT) | instid1(VALU_DEP_1)
	v_mul_f32_e32 v46, v47, v46
	v_mul_f32_e32 v45, v45, v46
	s_delay_alu instid0(VALU_DEP_1) | instskip(NEXT) | instid1(VALU_DEP_1)
	v_fma_f32 v46, v45, v36, v36
	v_rcp_f32_e32 v47, v46
	v_sub_f32_e32 v48, v46, v36
	s_delay_alu instid0(VALU_DEP_1) | instskip(NEXT) | instid1(TRANS32_DEP_1)
	v_fma_f32 v36, v45, v36, -v48
	v_fma_f32 v45, v46, -v47, 1.0
	s_delay_alu instid0(VALU_DEP_1) | instskip(NEXT) | instid1(VALU_DEP_1)
	v_fma_f32 v36, v36, -v47, v45
	v_fma_f32 v36, v36, -v47, -v47
	s_delay_alu instid0(VALU_DEP_1) | instskip(SKIP_1) | instid1(VALU_DEP_2)
	v_cndmask_b32_e64 v36, v36, v46, s2
	v_cmp_class_f32_e64 s2, v33, 0x1f8
	v_xor3_b32 v34, v34, v36, v33
	v_add_nc_u64_e32 v[36:37], s[6:7], v[10:11]
	s_delay_alu instid0(VALU_DEP_2) | instskip(NEXT) | instid1(VALU_DEP_1)
	v_cndmask_b32_e64 v33, 0x7fc00000, v34, s2
	v_bfe_u32 v34, v33, 16, 1
	v_cmp_o_f32_e64 s2, v33, v33
	s_delay_alu instid0(VALU_DEP_2) | instskip(NEXT) | instid1(VALU_DEP_1)
	v_add3_u32 v34, v33, v34, 0x7fff
	v_lshrrev_b32_e32 v34, 16, v34
	s_delay_alu instid0(VALU_DEP_1)
	v_cndmask_b32_e64 v33, 0x7fc0, v34, s2
	global_store_b16 v[36:37], v33, off
	s_wait_xcnt 0x0
	s_or_b32 exec_lo, exec_lo, s3
	s_and_saveexec_b32 s2, s1
	s_cbranch_execz .LBB96_49
.LBB96_54:                              ;   in Loop: Header=BB96_25 Depth=1
	v_mul_f32_e32 v33, v39, v39
	s_delay_alu instid0(VALU_DEP_1) | instskip(SKIP_1) | instid1(VALU_DEP_2)
	v_fmaak_f32 v34, s18, v33, 0xbf039337
	v_fmaak_f32 v36, s17, v33, 0x3ec54587
	;; [unrolled: 1-line block ×3, first 2 shown]
	s_delay_alu instid0(VALU_DEP_1) | instskip(SKIP_1) | instid1(TRANS32_DEP_1)
	v_rcp_f32_e32 v34, v34
	v_nop
	v_mul_f32_e32 v34, v36, v34
	s_delay_alu instid0(VALU_DEP_1) | instskip(NEXT) | instid1(VALU_DEP_1)
	v_mul_f32_e32 v33, v33, v34
	v_fma_f32 v34, v33, v39, v39
	s_delay_alu instid0(VALU_DEP_1) | instskip(NEXT) | instid1(VALU_DEP_1)
	v_sub_f32_e32 v37, v34, v39
	v_fma_f32 v33, v33, v39, -v37
	v_rcp_f32_e32 v36, v34
	v_nop
	s_delay_alu instid0(TRANS32_DEP_1) | instskip(NEXT) | instid1(VALU_DEP_1)
	v_fma_f32 v37, v34, -v36, 1.0
	v_fma_f32 v33, v33, -v36, v37
	s_delay_alu instid0(VALU_DEP_1) | instskip(SKIP_1) | instid1(VALU_DEP_1)
	v_fma_f32 v33, v33, -v36, -v36
	v_and_b32_e32 v37, 1, v40
	v_cmp_eq_u32_e64 s1, 0, v37
	s_delay_alu instid0(VALU_DEP_1) | instskip(SKIP_1) | instid1(VALU_DEP_2)
	v_cndmask_b32_e64 v33, v33, v34, s1
	v_cmp_class_f32_e64 s1, v32, 0x1f8
	v_xor3_b32 v33, v35, v33, v32
	s_delay_alu instid0(VALU_DEP_1) | instskip(NEXT) | instid1(VALU_DEP_1)
	v_cndmask_b32_e64 v34, 0x7fc00000, v33, s1
	v_bfe_u32 v32, v34, 16, 1
	v_cmp_o_f32_e64 s1, v34, v34
	s_delay_alu instid0(VALU_DEP_2) | instskip(NEXT) | instid1(VALU_DEP_1)
	v_add3_u32 v32, v34, v32, 0x7fff
	v_lshrrev_b32_e32 v35, 16, v32
	v_add_nc_u64_e32 v[32:33], s[6:7], v[28:29]
	s_delay_alu instid0(VALU_DEP_2)
	v_cndmask_b32_e64 v34, 0x7fc0, v35, s1
	global_store_b16 v[32:33], v34, off
	s_wait_xcnt 0x0
	s_or_b32 exec_lo, exec_lo, s2
	s_and_saveexec_b32 s1, s0
	s_cbranch_execz .LBB96_50
.LBB96_55:                              ;   in Loop: Header=BB96_25 Depth=1
	v_mul_f32_e32 v32, v42, v42
	s_delay_alu instid0(VALU_DEP_1) | instskip(SKIP_1) | instid1(VALU_DEP_2)
	v_fmaak_f32 v33, s18, v32, 0xbf039337
	v_fmaak_f32 v34, s17, v32, 0x3ec54587
	;; [unrolled: 1-line block ×3, first 2 shown]
	s_delay_alu instid0(VALU_DEP_1) | instskip(SKIP_1) | instid1(TRANS32_DEP_1)
	v_rcp_f32_e32 v33, v33
	v_nop
	v_mul_f32_e32 v33, v34, v33
	s_delay_alu instid0(VALU_DEP_1) | instskip(NEXT) | instid1(VALU_DEP_1)
	v_mul_f32_e32 v32, v32, v33
	v_fma_f32 v33, v32, v42, v42
	s_delay_alu instid0(VALU_DEP_1) | instskip(SKIP_1) | instid1(VALU_DEP_1)
	v_rcp_f32_e32 v34, v33
	v_sub_f32_e32 v35, v33, v42
	v_fma_f32 v32, v32, v42, -v35
	s_delay_alu instid0(TRANS32_DEP_1) | instskip(NEXT) | instid1(VALU_DEP_1)
	v_fma_f32 v35, v33, -v34, 1.0
	v_dual_fma_f32 v32, v32, -v34, v35 :: v_dual_bitop2_b32 v35, 1, v43 bitop3:0x40
	s_delay_alu instid0(VALU_DEP_1) | instskip(NEXT) | instid1(VALU_DEP_2)
	v_fma_f32 v32, v32, -v34, -v34
	v_cmp_eq_u32_e64 s0, 0, v35
	s_delay_alu instid0(VALU_DEP_1) | instskip(SKIP_1) | instid1(VALU_DEP_2)
	v_cndmask_b32_e64 v32, v32, v33, s0
	v_cmp_class_f32_e64 s0, v31, 0x1f8
	v_xor3_b32 v32, v38, v32, v31
	s_delay_alu instid0(VALU_DEP_1) | instskip(NEXT) | instid1(VALU_DEP_1)
	v_cndmask_b32_e64 v31, 0x7fc00000, v32, s0
	v_bfe_u32 v32, v31, 16, 1
	v_cmp_o_f32_e64 s0, v31, v31
	s_delay_alu instid0(VALU_DEP_2) | instskip(NEXT) | instid1(VALU_DEP_1)
	v_add3_u32 v32, v31, v32, 0x7fff
	v_lshrrev_b32_e32 v34, 16, v32
	v_add_nc_u64_e32 v[32:33], s[6:7], v[20:21]
	s_delay_alu instid0(VALU_DEP_2)
	v_cndmask_b32_e64 v31, 0x7fc0, v34, s0
	global_store_b16 v[32:33], v31, off
	s_wait_xcnt 0x0
	s_or_b32 exec_lo, exec_lo, s1
	s_and_saveexec_b32 s0, vcc_lo
	s_cbranch_execz .LBB96_24
.LBB96_56:                              ;   in Loop: Header=BB96_25 Depth=1
	v_mul_f32_e32 v31, v4, v4
	s_delay_alu instid0(VALU_DEP_1) | instskip(SKIP_1) | instid1(VALU_DEP_2)
	v_fmaak_f32 v32, s18, v31, 0xbf039337
	v_fmaak_f32 v33, s17, v31, 0x3ec54587
	;; [unrolled: 1-line block ×3, first 2 shown]
	s_delay_alu instid0(VALU_DEP_1) | instskip(SKIP_1) | instid1(TRANS32_DEP_1)
	v_rcp_f32_e32 v32, v32
	v_nop
	v_mul_f32_e32 v32, v33, v32
	s_delay_alu instid0(VALU_DEP_1) | instskip(NEXT) | instid1(VALU_DEP_1)
	v_mul_f32_e32 v31, v31, v32
	v_fma_f32 v32, v31, v4, v4
	s_delay_alu instid0(VALU_DEP_1) | instskip(NEXT) | instid1(VALU_DEP_1)
	v_sub_f32_e32 v34, v32, v4
	v_fma_f32 v4, v31, v4, -v34
	v_rcp_f32_e32 v33, v32
	v_nop
	s_delay_alu instid0(TRANS32_DEP_1) | instskip(NEXT) | instid1(VALU_DEP_1)
	v_fma_f32 v31, v32, -v33, 1.0
	v_dual_fma_f32 v4, v4, -v33, v31 :: v_dual_bitop2_b32 v31, 1, v44 bitop3:0x40
	s_delay_alu instid0(VALU_DEP_1) | instskip(NEXT) | instid1(VALU_DEP_2)
	v_fma_f32 v4, v4, -v33, -v33
	v_cmp_eq_u32_e32 vcc_lo, 0, v31
	s_delay_alu instid0(VALU_DEP_2) | instskip(SKIP_1) | instid1(VALU_DEP_2)
	v_cndmask_b32_e32 v4, v4, v32, vcc_lo
	v_cmp_class_f32_e64 vcc_lo, v30, 0x1f8
	v_xor3_b32 v4, v41, v4, v30
	s_delay_alu instid0(VALU_DEP_1) | instskip(NEXT) | instid1(VALU_DEP_1)
	v_cndmask_b32_e32 v4, 0x7fc00000, v4, vcc_lo
	v_bfe_u32 v30, v4, 16, 1
	v_cmp_o_f32_e32 vcc_lo, v4, v4
	s_delay_alu instid0(VALU_DEP_2) | instskip(NEXT) | instid1(VALU_DEP_1)
	v_add3_u32 v30, v4, v30, 0x7fff
	v_lshrrev_b32_e32 v32, 16, v30
	v_add_nc_u64_e32 v[30:31], s[6:7], v[24:25]
	s_delay_alu instid0(VALU_DEP_2)
	v_cndmask_b32_e32 v4, 0x7fc0, v32, vcc_lo
	global_store_b16 v[30:31], v4, off
	s_branch .LBB96_24
.LBB96_57:
	s_endpgm
	.section	.rodata,"a",@progbits
	.p2align	6, 0x0
	.amdhsa_kernel _ZN2at6native12_GLOBAL__N_125multi_tensor_apply_kernelINS1_18TensorListMetadataILi2EEENS1_14UnaryOpFunctorIN3c108BFloat16ELi2ELi1ELi1EEEJNS0_3TanIfEEEEEvT_T0_DpT1_
		.amdhsa_group_segment_fixed_size 0
		.amdhsa_private_segment_fixed_size 0
		.amdhsa_kernarg_size 3408
		.amdhsa_user_sgpr_count 2
		.amdhsa_user_sgpr_dispatch_ptr 0
		.amdhsa_user_sgpr_queue_ptr 0
		.amdhsa_user_sgpr_kernarg_segment_ptr 1
		.amdhsa_user_sgpr_dispatch_id 0
		.amdhsa_user_sgpr_kernarg_preload_length 0
		.amdhsa_user_sgpr_kernarg_preload_offset 0
		.amdhsa_user_sgpr_private_segment_size 0
		.amdhsa_wavefront_size32 1
		.amdhsa_uses_dynamic_stack 0
		.amdhsa_enable_private_segment 0
		.amdhsa_system_sgpr_workgroup_id_x 1
		.amdhsa_system_sgpr_workgroup_id_y 0
		.amdhsa_system_sgpr_workgroup_id_z 0
		.amdhsa_system_sgpr_workgroup_info 0
		.amdhsa_system_vgpr_workitem_id 0
		.amdhsa_next_free_vgpr 58
		.amdhsa_next_free_sgpr 24
		.amdhsa_named_barrier_count 0
		.amdhsa_reserve_vcc 1
		.amdhsa_float_round_mode_32 0
		.amdhsa_float_round_mode_16_64 0
		.amdhsa_float_denorm_mode_32 3
		.amdhsa_float_denorm_mode_16_64 3
		.amdhsa_fp16_overflow 0
		.amdhsa_memory_ordered 1
		.amdhsa_forward_progress 1
		.amdhsa_inst_pref_size 74
		.amdhsa_round_robin_scheduling 0
		.amdhsa_exception_fp_ieee_invalid_op 0
		.amdhsa_exception_fp_denorm_src 0
		.amdhsa_exception_fp_ieee_div_zero 0
		.amdhsa_exception_fp_ieee_overflow 0
		.amdhsa_exception_fp_ieee_underflow 0
		.amdhsa_exception_fp_ieee_inexact 0
		.amdhsa_exception_int_div_zero 0
	.end_amdhsa_kernel
	.section	.text._ZN2at6native12_GLOBAL__N_125multi_tensor_apply_kernelINS1_18TensorListMetadataILi2EEENS1_14UnaryOpFunctorIN3c108BFloat16ELi2ELi1ELi1EEEJNS0_3TanIfEEEEEvT_T0_DpT1_,"axG",@progbits,_ZN2at6native12_GLOBAL__N_125multi_tensor_apply_kernelINS1_18TensorListMetadataILi2EEENS1_14UnaryOpFunctorIN3c108BFloat16ELi2ELi1ELi1EEEJNS0_3TanIfEEEEEvT_T0_DpT1_,comdat
.Lfunc_end96:
	.size	_ZN2at6native12_GLOBAL__N_125multi_tensor_apply_kernelINS1_18TensorListMetadataILi2EEENS1_14UnaryOpFunctorIN3c108BFloat16ELi2ELi1ELi1EEEJNS0_3TanIfEEEEEvT_T0_DpT1_, .Lfunc_end96-_ZN2at6native12_GLOBAL__N_125multi_tensor_apply_kernelINS1_18TensorListMetadataILi2EEENS1_14UnaryOpFunctorIN3c108BFloat16ELi2ELi1ELi1EEEJNS0_3TanIfEEEEEvT_T0_DpT1_
                                        ; -- End function
	.set _ZN2at6native12_GLOBAL__N_125multi_tensor_apply_kernelINS1_18TensorListMetadataILi2EEENS1_14UnaryOpFunctorIN3c108BFloat16ELi2ELi1ELi1EEEJNS0_3TanIfEEEEEvT_T0_DpT1_.num_vgpr, 58
	.set _ZN2at6native12_GLOBAL__N_125multi_tensor_apply_kernelINS1_18TensorListMetadataILi2EEENS1_14UnaryOpFunctorIN3c108BFloat16ELi2ELi1ELi1EEEJNS0_3TanIfEEEEEvT_T0_DpT1_.num_agpr, 0
	.set _ZN2at6native12_GLOBAL__N_125multi_tensor_apply_kernelINS1_18TensorListMetadataILi2EEENS1_14UnaryOpFunctorIN3c108BFloat16ELi2ELi1ELi1EEEJNS0_3TanIfEEEEEvT_T0_DpT1_.numbered_sgpr, 24
	.set _ZN2at6native12_GLOBAL__N_125multi_tensor_apply_kernelINS1_18TensorListMetadataILi2EEENS1_14UnaryOpFunctorIN3c108BFloat16ELi2ELi1ELi1EEEJNS0_3TanIfEEEEEvT_T0_DpT1_.num_named_barrier, 0
	.set _ZN2at6native12_GLOBAL__N_125multi_tensor_apply_kernelINS1_18TensorListMetadataILi2EEENS1_14UnaryOpFunctorIN3c108BFloat16ELi2ELi1ELi1EEEJNS0_3TanIfEEEEEvT_T0_DpT1_.private_seg_size, 0
	.set _ZN2at6native12_GLOBAL__N_125multi_tensor_apply_kernelINS1_18TensorListMetadataILi2EEENS1_14UnaryOpFunctorIN3c108BFloat16ELi2ELi1ELi1EEEJNS0_3TanIfEEEEEvT_T0_DpT1_.uses_vcc, 1
	.set _ZN2at6native12_GLOBAL__N_125multi_tensor_apply_kernelINS1_18TensorListMetadataILi2EEENS1_14UnaryOpFunctorIN3c108BFloat16ELi2ELi1ELi1EEEJNS0_3TanIfEEEEEvT_T0_DpT1_.uses_flat_scratch, 0
	.set _ZN2at6native12_GLOBAL__N_125multi_tensor_apply_kernelINS1_18TensorListMetadataILi2EEENS1_14UnaryOpFunctorIN3c108BFloat16ELi2ELi1ELi1EEEJNS0_3TanIfEEEEEvT_T0_DpT1_.has_dyn_sized_stack, 0
	.set _ZN2at6native12_GLOBAL__N_125multi_tensor_apply_kernelINS1_18TensorListMetadataILi2EEENS1_14UnaryOpFunctorIN3c108BFloat16ELi2ELi1ELi1EEEJNS0_3TanIfEEEEEvT_T0_DpT1_.has_recursion, 0
	.set _ZN2at6native12_GLOBAL__N_125multi_tensor_apply_kernelINS1_18TensorListMetadataILi2EEENS1_14UnaryOpFunctorIN3c108BFloat16ELi2ELi1ELi1EEEJNS0_3TanIfEEEEEvT_T0_DpT1_.has_indirect_call, 0
	.section	.AMDGPU.csdata,"",@progbits
; Kernel info:
; codeLenInByte = 9376
; TotalNumSgprs: 26
; NumVgprs: 58
; ScratchSize: 0
; MemoryBound: 0
; FloatMode: 240
; IeeeMode: 1
; LDSByteSize: 0 bytes/workgroup (compile time only)
; SGPRBlocks: 0
; VGPRBlocks: 3
; NumSGPRsForWavesPerEU: 26
; NumVGPRsForWavesPerEU: 58
; NamedBarCnt: 0
; Occupancy: 16
; WaveLimiterHint : 0
; COMPUTE_PGM_RSRC2:SCRATCH_EN: 0
; COMPUTE_PGM_RSRC2:USER_SGPR: 2
; COMPUTE_PGM_RSRC2:TRAP_HANDLER: 0
; COMPUTE_PGM_RSRC2:TGID_X_EN: 1
; COMPUTE_PGM_RSRC2:TGID_Y_EN: 0
; COMPUTE_PGM_RSRC2:TGID_Z_EN: 0
; COMPUTE_PGM_RSRC2:TIDIG_COMP_CNT: 0
	.section	.text._ZN2at6native12_GLOBAL__N_125multi_tensor_apply_kernelINS1_18TensorListMetadataILi1EEENS1_14UnaryOpFunctorIdLi1ELi1ELi0EEEJNS0_3TanIdEEEEEvT_T0_DpT1_,"axG",@progbits,_ZN2at6native12_GLOBAL__N_125multi_tensor_apply_kernelINS1_18TensorListMetadataILi1EEENS1_14UnaryOpFunctorIdLi1ELi1ELi0EEEJNS0_3TanIdEEEEEvT_T0_DpT1_,comdat
	.globl	_ZN2at6native12_GLOBAL__N_125multi_tensor_apply_kernelINS1_18TensorListMetadataILi1EEENS1_14UnaryOpFunctorIdLi1ELi1ELi0EEEJNS0_3TanIdEEEEEvT_T0_DpT1_ ; -- Begin function _ZN2at6native12_GLOBAL__N_125multi_tensor_apply_kernelINS1_18TensorListMetadataILi1EEENS1_14UnaryOpFunctorIdLi1ELi1ELi0EEEJNS0_3TanIdEEEEEvT_T0_DpT1_
	.p2align	8
	.type	_ZN2at6native12_GLOBAL__N_125multi_tensor_apply_kernelINS1_18TensorListMetadataILi1EEENS1_14UnaryOpFunctorIdLi1ELi1ELi0EEEJNS0_3TanIdEEEEEvT_T0_DpT1_,@function
_ZN2at6native12_GLOBAL__N_125multi_tensor_apply_kernelINS1_18TensorListMetadataILi1EEENS1_14UnaryOpFunctorIdLi1ELi1ELi0EEEJNS0_3TanIdEEEEEvT_T0_DpT1_: ; @_ZN2at6native12_GLOBAL__N_125multi_tensor_apply_kernelINS1_18TensorListMetadataILi1EEENS1_14UnaryOpFunctorIdLi1ELi1ELi0EEEJNS0_3TanIdEEEEEvT_T0_DpT1_
; %bb.0:
	s_bfe_u32 s2, ttmp6, 0x4000c
	s_and_b32 s3, ttmp6, 15
	s_add_co_i32 s2, s2, 1
	s_getreg_b32 s4, hwreg(HW_REG_IB_STS2, 6, 4)
	s_mul_i32 s2, ttmp9, s2
	s_delay_alu instid0(SALU_CYCLE_1)
	s_add_co_i32 s3, s3, s2
	s_cmp_eq_u32 s4, 0
	s_cselect_b32 s2, ttmp9, s3
	s_mov_b32 s3, 0
	s_load_u8 s8, s[0:1], s2 offset:0x6e0
	s_add_nc_u64 s[4:5], s[0:1], s[2:3]
	s_mul_u64 s[6:7], s[2:3], 3
	s_delay_alu instid0(SALU_CYCLE_1)
	s_add_nc_u64 s[4:5], s[4:5], s[6:7]
	s_load_b32 s10, s[4:5], 0x820
	s_wait_kmcnt 0x0
	s_clause 0x1
	s_load_b64 s[6:7], s[0:1], s8 offset:0x0 scale_offset
	s_load_b64 s[12:13], s[0:1], s8 offset:0x370 scale_offset
	s_ashr_i32 s11, s10, 31
	s_wait_kmcnt 0x0
	s_and_b64 s[4:5], s[6:7], 31
	s_and_b32 s2, s12, 3
	s_lshl_b64 s[8:9], s[10:11], 19
	s_or_b64 s[2:3], s[4:5], s[2:3]
	s_lshl_b64 s[4:5], s[10:11], 16
	s_cmp_eq_u64 s[2:3], 0
	s_sub_nc_u64 s[10:11], s[12:13], s[4:5]
	s_cbranch_scc1 .LBB97_37
; %bb.1:
	v_cmp_lt_i64_e64 s2, s[10:11], 1
	s_and_b32 vcc_lo, exec_lo, s2
	s_cbranch_vccnz .LBB97_36
; %bb.2:
	s_load_b32 s4, s[0:1], 0xd3c
	v_min_i64 v[2:3], 0x10000, s[10:11]
	v_min_u64 v[6:7], 0x10000, s[10:11]
	v_dual_mov_b32 v4, 0 :: v_dual_lshlrev_b32 v10, 3, v0
	s_mov_b32 s25, 0
	s_add_nc_u64 s[2:3], s[6:7], s[8:9]
	s_mov_b32 s5, s25
	s_delay_alu instid0(VALU_DEP_1)
	v_dual_mov_b32 v1, v4 :: v_dual_mov_b32 v11, v4
	s_mov_b32 s23, s25
	v_mov_b64_e32 v[18:19], 0xbf078809a9a29f71
	s_mov_b64 s[12:13], 0x3ff921fb54442d18
	s_mov_b64 s[14:15], 0x3fe45f306dc9c883
	v_add_nc_u64_e32 v[10:11], s[2:3], v[10:11]
	s_mov_b64 s[16:17], 0xbff921fb54442d18
	s_mov_b32 s19, s25
	s_mov_b32 s21, s25
	s_mov_b64 s[26:27], 0
                                        ; implicit-def: $vgpr20_vgpr21
                                        ; implicit-def: $vgpr20_vgpr21
                                        ; implicit-def: $vgpr20_vgpr21
                                        ; implicit-def: $vgpr20_vgpr21
                                        ; implicit-def: $vgpr20_vgpr21
                                        ; implicit-def: $vgpr20_vgpr21
                                        ; implicit-def: $vgpr20_vgpr21
                                        ; implicit-def: $vgpr20_vgpr21
                                        ; implicit-def: $vgpr20_vgpr21
                                        ; implicit-def: $vgpr20_vgpr21
                                        ; implicit-def: $vgpr20_vgpr21
                                        ; implicit-def: $vgpr20_vgpr21
	s_wait_kmcnt 0x0
	s_and_b32 s24, s4, 0xffff
	s_delay_alu instid0(SALU_CYCLE_1)
	v_add_nc_u64_e32 v[8:9], s[24:25], v[0:1]
	v_mov_b32_e32 v17, v4
	s_lshl_b32 s4, s24, 1
	s_mul_i32 s22, s24, 3
	v_add_nc_u64_e32 v[14:15], s[4:5], v[0:1]
	v_add_nc_u64_e32 v[12:13], s[22:23], v[0:1]
	s_lshl_b32 s18, s24, 2
	v_lshlrev_b32_e32 v16, 3, v8
	s_lshl_b32 s20, s24, 5
	s_mul_u64 s[22:23], s[24:25], 24
	s_lshl_b32 s24, s24, 4
	s_delay_alu instid0(VALU_DEP_1)
	v_add_nc_u64_e32 v[16:17], s[2:3], v[16:17]
	s_branch .LBB97_4
.LBB97_3:                               ;   in Loop: Header=BB97_4 Depth=1
	s_wait_xcnt 0x0
	s_or_b32 exec_lo, exec_lo, s3
	s_add_nc_u64 s[26:27], s[26:27], s[18:19]
	v_add_nc_u64_e32 v[10:11], s[20:21], v[10:11]
	v_cmp_ge_i64_e32 vcc_lo, s[26:27], v[2:3]
	v_add_nc_u64_e32 v[16:17], s[20:21], v[16:17]
	s_cbranch_vccnz .LBB97_36
.LBB97_4:                               ; =>This Inner Loop Header: Depth=1
	v_add_nc_u64_e32 v[20:21], s[26:27], v[0:1]
	v_dual_mov_b32 v30, 0 :: v_dual_mov_b32 v31, 0
	s_delay_alu instid0(VALU_DEP_2)
	v_cmp_lt_u64_e64 s4, v[20:21], v[6:7]
	s_and_saveexec_b32 s2, s4
	s_cbranch_execz .LBB97_6
; %bb.5:                                ;   in Loop: Header=BB97_4 Depth=1
	global_load_b64 v[30:31], v[10:11], off
.LBB97_6:                               ;   in Loop: Header=BB97_4 Depth=1
	s_wait_xcnt 0x0
	s_or_b32 exec_lo, exec_lo, s2
	v_add_nc_u64_e32 v[20:21], s[26:27], v[8:9]
	v_dual_mov_b32 v24, 0 :: v_dual_mov_b32 v28, 0
	v_mov_b32_e32 v29, 0
	s_delay_alu instid0(VALU_DEP_3)
	v_cmp_lt_u64_e64 s3, v[20:21], v[6:7]
	s_and_saveexec_b32 s2, s3
	s_cbranch_execz .LBB97_8
; %bb.7:                                ;   in Loop: Header=BB97_4 Depth=1
	global_load_b64 v[28:29], v[16:17], off
.LBB97_8:                               ;   in Loop: Header=BB97_4 Depth=1
	s_wait_xcnt 0x0
	s_or_b32 exec_lo, exec_lo, s2
	v_add_nc_u64_e32 v[20:21], s[26:27], v[14:15]
	v_add_nc_u64_e32 v[26:27], s[24:25], v[10:11]
	v_mov_b32_e32 v25, 0
	s_delay_alu instid0(VALU_DEP_3)
	v_cmp_lt_u64_e64 s2, v[20:21], v[6:7]
	s_and_saveexec_b32 s5, s2
	s_cbranch_execz .LBB97_10
; %bb.9:                                ;   in Loop: Header=BB97_4 Depth=1
	global_load_b64 v[24:25], v[26:27], off
.LBB97_10:                              ;   in Loop: Header=BB97_4 Depth=1
	s_wait_xcnt 0x0
	s_or_b32 exec_lo, exec_lo, s5
	v_add_nc_u64_e32 v[20:21], s[26:27], v[12:13]
	v_mov_b64_e32 v[22:23], 0
	s_delay_alu instid0(VALU_DEP_2)
	v_cmp_lt_u64_e32 vcc_lo, v[20:21], v[6:7]
	v_add_nc_u64_e32 v[20:21], s[22:23], v[10:11]
	s_and_saveexec_b32 s5, vcc_lo
	s_cbranch_execz .LBB97_12
; %bb.11:                               ;   in Loop: Header=BB97_4 Depth=1
	global_load_b64 v[22:23], v[20:21], off
.LBB97_12:                              ;   in Loop: Header=BB97_4 Depth=1
	s_wait_xcnt 0x0
	s_or_b32 exec_lo, exec_lo, s5
	s_delay_alu instid0(SALU_CYCLE_1)
	s_mov_b32 s28, exec_lo
                                        ; implicit-def: $vgpr48
                                        ; implicit-def: $vgpr32_vgpr33
                                        ; implicit-def: $vgpr34_vgpr35
	s_wait_loadcnt 0x0
	v_cmpx_ngt_f64_e64 0x41d00000, |v[30:31]|
	s_xor_b32 s28, exec_lo, s28
	s_cbranch_execz .LBB97_14
; %bb.13:                               ;   in Loop: Header=BB97_4 Depth=1
	v_ldexp_f64 v[32:33], |v[30:31]|, 0xffffff80
	v_cmp_le_f64_e64 s5, 0x7b000000, |v[30:31]|
	v_trig_preop_f64 v[34:35], |v[30:31]|, 0
	v_and_b32_e32 v5, 0x7fffffff, v31
	v_trig_preop_f64 v[36:37], |v[30:31]|, 1
	v_trig_preop_f64 v[46:47], |v[30:31]|, 2
	s_delay_alu instid0(VALU_DEP_3) | instskip(NEXT) | instid1(VALU_DEP_1)
	v_dual_cndmask_b32 v33, v5, v33, s5 :: v_dual_cndmask_b32 v32, v30, v32, s5
	v_mul_f64_e32 v[38:39], v[34:35], v[32:33]
	s_delay_alu instid0(VALU_DEP_4) | instskip(NEXT) | instid1(VALU_DEP_4)
	v_mul_f64_e32 v[40:41], v[36:37], v[32:33]
	v_mul_f64_e32 v[52:53], v[46:47], v[32:33]
	s_delay_alu instid0(VALU_DEP_3) | instskip(NEXT) | instid1(VALU_DEP_3)
	v_fma_f64 v[34:35], v[34:35], v[32:33], -v[38:39]
	v_fma_f64 v[36:37], v[36:37], v[32:33], -v[40:41]
	s_delay_alu instid0(VALU_DEP_3) | instskip(NEXT) | instid1(VALU_DEP_3)
	v_fma_f64 v[32:33], v[46:47], v[32:33], -v[52:53]
	v_add_f64_e32 v[42:43], v[40:41], v[34:35]
	s_delay_alu instid0(VALU_DEP_1) | instskip(SKIP_1) | instid1(VALU_DEP_2)
	v_add_f64_e64 v[44:45], v[42:43], -v[40:41]
	v_add_f64_e32 v[50:51], v[38:39], v[42:43]
	v_add_f64_e64 v[48:49], v[42:43], -v[44:45]
	v_add_f64_e64 v[34:35], v[34:35], -v[44:45]
	s_delay_alu instid0(VALU_DEP_3) | instskip(NEXT) | instid1(VALU_DEP_3)
	v_ldexp_f64 v[44:45], v[50:51], -2
	v_add_f64_e64 v[40:41], v[40:41], -v[48:49]
	v_add_f64_e32 v[48:49], v[52:53], v[36:37]
	s_delay_alu instid0(VALU_DEP_3) | instskip(NEXT) | instid1(VALU_DEP_3)
	v_cmp_neq_f64_e64 s5, 0x7ff00000, |v[44:45]|
	v_add_f64_e32 v[34:35], v[34:35], v[40:41]
	v_fract_f64_e32 v[40:41], v[44:45]
	s_delay_alu instid0(VALU_DEP_1) | instskip(NEXT) | instid1(VALU_DEP_1)
	v_ldexp_f64 v[40:41], v[40:41], 2
	v_dual_add_f64 v[38:39], v[50:51], -v[38:39] :: v_dual_cndmask_b32 v40, 0, v40, s5
	s_delay_alu instid0(VALU_DEP_1) | instskip(SKIP_1) | instid1(VALU_DEP_1)
	v_dual_add_f64 v[38:39], v[42:43], -v[38:39] :: v_dual_cndmask_b32 v41, 0, v41, s5
	v_add_f64_e32 v[42:43], v[48:49], v[34:35]
	v_add_f64_e32 v[44:45], v[38:39], v[42:43]
	v_add_f64_e64 v[54:55], v[42:43], -v[48:49]
	s_delay_alu instid0(VALU_DEP_2) | instskip(NEXT) | instid1(VALU_DEP_2)
	v_add_f64_e32 v[50:51], v[44:45], v[40:41]
	v_add_f64_e64 v[60:61], v[42:43], -v[54:55]
	v_add_f64_e64 v[34:35], v[34:35], -v[54:55]
	;; [unrolled: 1-line block ×3, first 2 shown]
	s_delay_alu instid0(VALU_DEP_4) | instskip(SKIP_1) | instid1(VALU_DEP_3)
	v_cmp_gt_f64_e64 s5, 0, v[50:51]
	v_add_f64_e64 v[50:51], v[48:49], -v[52:53]
	v_add_f64_e64 v[38:39], v[42:43], -v[38:39]
	s_delay_alu instid0(VALU_DEP_3) | instskip(NEXT) | instid1(VALU_DEP_3)
	v_cndmask_b32_e64 v5, 0, 0x40100000, s5
	v_add_f64_e64 v[58:59], v[48:49], -v[50:51]
	v_add_f64_e64 v[36:37], v[36:37], -v[50:51]
	;; [unrolled: 1-line block ×3, first 2 shown]
	s_delay_alu instid0(VALU_DEP_4) | instskip(NEXT) | instid1(VALU_DEP_4)
	v_add_f64_e32 v[40:41], v[40:41], v[4:5]
	v_add_f64_e64 v[50:51], v[52:53], -v[58:59]
	s_delay_alu instid0(VALU_DEP_3) | instskip(NEXT) | instid1(VALU_DEP_3)
	v_add_f64_e32 v[34:35], v[34:35], v[48:49]
	v_add_f64_e32 v[56:57], v[44:45], v[40:41]
	s_delay_alu instid0(VALU_DEP_3) | instskip(NEXT) | instid1(VALU_DEP_2)
	v_add_f64_e32 v[36:37], v[36:37], v[50:51]
	v_cvt_i32_f64_e32 v5, v[56:57]
	s_delay_alu instid0(VALU_DEP_2) | instskip(NEXT) | instid1(VALU_DEP_2)
	v_add_f64_e32 v[34:35], v[36:37], v[34:35]
	v_cvt_f64_i32_e32 v[54:55], v5
	s_delay_alu instid0(VALU_DEP_2) | instskip(NEXT) | instid1(VALU_DEP_2)
	v_add_f64_e32 v[32:33], v[32:33], v[34:35]
	v_add_f64_e64 v[40:41], v[40:41], -v[54:55]
	s_delay_alu instid0(VALU_DEP_2) | instskip(NEXT) | instid1(VALU_DEP_2)
	v_add_f64_e32 v[32:33], v[38:39], v[32:33]
	v_add_f64_e32 v[36:37], v[44:45], v[40:41]
	s_delay_alu instid0(VALU_DEP_1) | instskip(SKIP_1) | instid1(VALU_DEP_2)
	v_add_f64_e64 v[34:35], v[36:37], -v[40:41]
	v_cmp_le_f64_e64 s5, 0.5, v[36:37]
	v_add_f64_e64 v[34:35], v[44:45], -v[34:35]
	s_delay_alu instid0(VALU_DEP_2) | instskip(SKIP_1) | instid1(VALU_DEP_3)
	v_add_co_ci_u32_e64 v48, null, 0, v5, s5
	v_cndmask_b32_e64 v5, 0, 0x3ff00000, s5
	v_add_f64_e32 v[32:33], v[32:33], v[34:35]
	s_delay_alu instid0(VALU_DEP_2) | instskip(NEXT) | instid1(VALU_DEP_1)
	v_add_f64_e64 v[34:35], v[36:37], -v[4:5]
	v_add_f64_e32 v[36:37], v[34:35], v[32:33]
	s_delay_alu instid0(VALU_DEP_1) | instskip(SKIP_1) | instid1(VALU_DEP_2)
	v_mul_f64_e32 v[38:39], 0x3ff921fb54442d18, v[36:37]
	v_add_f64_e64 v[34:35], v[36:37], -v[34:35]
	v_fma_f64 v[40:41], v[36:37], s[12:13], -v[38:39]
	s_delay_alu instid0(VALU_DEP_2) | instskip(NEXT) | instid1(VALU_DEP_2)
	v_add_f64_e64 v[32:33], v[32:33], -v[34:35]
	v_fmac_f64_e32 v[40:41], 0x3c91a62633145c07, v[36:37]
	s_delay_alu instid0(VALU_DEP_1) | instskip(NEXT) | instid1(VALU_DEP_1)
	v_fmac_f64_e32 v[40:41], 0x3ff921fb54442d18, v[32:33]
	v_add_f64_e32 v[32:33], v[38:39], v[40:41]
	s_delay_alu instid0(VALU_DEP_1) | instskip(NEXT) | instid1(VALU_DEP_1)
	v_add_f64_e64 v[34:35], v[32:33], -v[38:39]
	v_add_f64_e64 v[34:35], v[40:41], -v[34:35]
.LBB97_14:                              ;   in Loop: Header=BB97_4 Depth=1
	s_and_not1_saveexec_b32 s5, s28
	s_cbranch_execz .LBB97_16
; %bb.15:                               ;   in Loop: Header=BB97_4 Depth=1
	v_mul_f64_e64 v[32:33], |v[30:31]|, s[14:15]
	s_delay_alu instid0(VALU_DEP_1) | instskip(NEXT) | instid1(VALU_DEP_1)
	v_rndne_f64_e32 v[36:37], v[32:33]
	v_fma_f64 v[32:33], v[36:37], s[16:17], |v[30:31]|
	v_mul_f64_e32 v[34:35], 0xbc91a62633145c00, v[36:37]
	v_cvt_i32_f64_e32 v48, v[36:37]
	s_delay_alu instid0(VALU_DEP_3) | instskip(NEXT) | instid1(VALU_DEP_3)
	v_fmamk_f64 v[42:43], v[36:37], 0xbc91a62633145c00, v[32:33]
	v_add_f64_e32 v[38:39], v[32:33], v[34:35]
	s_delay_alu instid0(VALU_DEP_1) | instskip(NEXT) | instid1(VALU_DEP_3)
	v_add_f64_e64 v[40:41], v[32:33], -v[38:39]
	v_add_f64_e64 v[32:33], v[38:39], -v[42:43]
	s_delay_alu instid0(VALU_DEP_2) | instskip(SKIP_1) | instid1(VALU_DEP_2)
	v_add_f64_e32 v[38:39], v[40:41], v[34:35]
	v_fmamk_f64 v[34:35], v[36:37], 0x3c91a62633145c00, v[34:35]
	v_add_f64_e32 v[32:33], v[32:33], v[38:39]
	s_delay_alu instid0(VALU_DEP_1) | instskip(NEXT) | instid1(VALU_DEP_1)
	v_add_f64_e64 v[34:35], v[32:33], -v[34:35]
	v_fmac_f64_e32 v[34:35], 0xb97b839a252049c0, v[36:37]
	s_delay_alu instid0(VALU_DEP_1) | instskip(NEXT) | instid1(VALU_DEP_1)
	v_add_f64_e32 v[32:33], v[42:43], v[34:35]
	v_add_f64_e64 v[38:39], v[32:33], -v[42:43]
	s_delay_alu instid0(VALU_DEP_1)
	v_add_f64_e64 v[34:35], v[34:35], -v[38:39]
.LBB97_16:                              ;   in Loop: Header=BB97_4 Depth=1
	s_or_b32 exec_lo, exec_lo, s5
	s_delay_alu instid0(SALU_CYCLE_1)
	s_mov_b32 s28, exec_lo
                                        ; implicit-def: $vgpr49
                                        ; implicit-def: $vgpr36_vgpr37
                                        ; implicit-def: $vgpr38_vgpr39
	v_cmpx_ngt_f64_e64 0x41d00000, |v[28:29]|
	s_xor_b32 s28, exec_lo, s28
	s_cbranch_execz .LBB97_18
; %bb.17:                               ;   in Loop: Header=BB97_4 Depth=1
	v_cmp_le_f64_e64 s5, 0x7b000000, |v[28:29]|
	v_ldexp_f64 v[40:41], |v[28:29]|, 0xffffff80
	v_trig_preop_f64 v[36:37], |v[28:29]|, 0
	v_and_b32_e32 v5, 0x7fffffff, v29
	v_trig_preop_f64 v[38:39], |v[28:29]|, 1
	s_delay_alu instid0(VALU_DEP_2) | instskip(NEXT) | instid1(VALU_DEP_1)
	v_dual_cndmask_b32 v41, v5, v41, s5 :: v_dual_cndmask_b32 v40, v28, v40, s5
	v_mul_f64_e32 v[44:45], v[36:37], v[40:41]
	s_delay_alu instid0(VALU_DEP_3) | instskip(NEXT) | instid1(VALU_DEP_2)
	v_mul_f64_e32 v[42:43], v[38:39], v[40:41]
	v_fma_f64 v[36:37], v[36:37], v[40:41], -v[44:45]
	s_delay_alu instid0(VALU_DEP_2) | instskip(NEXT) | instid1(VALU_DEP_2)
	v_fma_f64 v[38:39], v[38:39], v[40:41], -v[42:43]
	v_add_f64_e32 v[46:47], v[42:43], v[36:37]
	s_delay_alu instid0(VALU_DEP_1) | instskip(SKIP_1) | instid1(VALU_DEP_2)
	v_add_f64_e64 v[56:57], v[46:47], -v[42:43]
	v_add_f64_e32 v[50:51], v[44:45], v[46:47]
	v_add_f64_e64 v[36:37], v[36:37], -v[56:57]
	v_add_f64_e64 v[56:57], v[46:47], -v[56:57]
	s_delay_alu instid0(VALU_DEP_3) | instskip(SKIP_1) | instid1(VALU_DEP_3)
	v_ldexp_f64 v[52:53], v[50:51], -2
	v_add_f64_e64 v[44:45], v[50:51], -v[44:45]
	v_add_f64_e64 v[56:57], v[42:43], -v[56:57]
	v_trig_preop_f64 v[42:43], |v[28:29]|, 2
	s_delay_alu instid0(VALU_DEP_4) | instskip(NEXT) | instid1(VALU_DEP_4)
	v_fract_f64_e32 v[54:55], v[52:53]
	v_add_f64_e64 v[44:45], v[46:47], -v[44:45]
	v_cmp_neq_f64_e64 s5, 0x7ff00000, |v[52:53]|
	v_add_f64_e32 v[36:37], v[36:37], v[56:57]
	v_mul_f64_e32 v[56:57], v[42:43], v[40:41]
	s_delay_alu instid0(VALU_DEP_1) | instskip(NEXT) | instid1(VALU_DEP_1)
	v_add_f64_e32 v[58:59], v[56:57], v[38:39]
	v_add_f64_e32 v[60:61], v[58:59], v[36:37]
	s_delay_alu instid0(VALU_DEP_1) | instskip(SKIP_1) | instid1(VALU_DEP_2)
	v_add_f64_e64 v[50:51], v[60:61], -v[58:59]
	v_add_f64_e32 v[46:47], v[44:45], v[60:61]
	v_add_f64_e64 v[36:37], v[36:37], -v[50:51]
	v_add_f64_e64 v[50:51], v[60:61], -v[50:51]
	s_delay_alu instid0(VALU_DEP_3) | instskip(NEXT) | instid1(VALU_DEP_2)
	v_add_f64_e64 v[44:45], v[46:47], -v[44:45]
	v_add_f64_e64 v[50:51], v[58:59], -v[50:51]
	s_delay_alu instid0(VALU_DEP_2) | instskip(NEXT) | instid1(VALU_DEP_2)
	v_add_f64_e64 v[44:45], v[60:61], -v[44:45]
	v_add_f64_e32 v[36:37], v[36:37], v[50:51]
	v_add_f64_e64 v[50:51], v[58:59], -v[56:57]
	s_delay_alu instid0(VALU_DEP_1) | instskip(SKIP_1) | instid1(VALU_DEP_1)
	v_add_f64_e64 v[38:39], v[38:39], -v[50:51]
	v_add_f64_e64 v[50:51], v[58:59], -v[50:51]
	;; [unrolled: 1-line block ×3, first 2 shown]
	s_delay_alu instid0(VALU_DEP_1) | instskip(NEXT) | instid1(VALU_DEP_1)
	v_add_f64_e32 v[38:39], v[38:39], v[50:51]
	v_add_f64_e32 v[36:37], v[38:39], v[36:37]
	v_fma_f64 v[38:39], v[42:43], v[40:41], -v[56:57]
	s_delay_alu instid0(VALU_DEP_1) | instskip(SKIP_1) | instid1(VALU_DEP_1)
	v_add_f64_e32 v[36:37], v[38:39], v[36:37]
	v_ldexp_f64 v[38:39], v[54:55], 2
	v_dual_add_f64 v[36:37], v[44:45], v[36:37] :: v_dual_cndmask_b32 v39, 0, v39, s5
	s_delay_alu instid0(VALU_DEP_2) | instskip(NEXT) | instid1(VALU_DEP_1)
	v_cndmask_b32_e64 v38, 0, v38, s5
	v_add_f64_e32 v[40:41], v[46:47], v[38:39]
	s_delay_alu instid0(VALU_DEP_1) | instskip(NEXT) | instid1(VALU_DEP_1)
	v_cmp_gt_f64_e64 s5, 0, v[40:41]
	v_cndmask_b32_e64 v5, 0, 0x40100000, s5
	s_delay_alu instid0(VALU_DEP_1) | instskip(NEXT) | instid1(VALU_DEP_1)
	v_add_f64_e32 v[38:39], v[38:39], v[4:5]
	v_add_f64_e32 v[40:41], v[46:47], v[38:39]
	s_delay_alu instid0(VALU_DEP_1) | instskip(NEXT) | instid1(VALU_DEP_1)
	v_cvt_i32_f64_e32 v5, v[40:41]
	v_cvt_f64_i32_e32 v[40:41], v5
	s_delay_alu instid0(VALU_DEP_1) | instskip(NEXT) | instid1(VALU_DEP_1)
	v_add_f64_e64 v[38:39], v[38:39], -v[40:41]
	v_add_f64_e32 v[40:41], v[46:47], v[38:39]
	s_delay_alu instid0(VALU_DEP_1) | instskip(SKIP_1) | instid1(VALU_DEP_2)
	v_add_f64_e64 v[38:39], v[40:41], -v[38:39]
	v_cmp_le_f64_e64 s5, 0.5, v[40:41]
	v_add_f64_e64 v[38:39], v[46:47], -v[38:39]
	s_delay_alu instid0(VALU_DEP_2) | instskip(SKIP_1) | instid1(VALU_DEP_3)
	v_add_co_ci_u32_e64 v49, null, 0, v5, s5
	v_cndmask_b32_e64 v5, 0, 0x3ff00000, s5
	v_add_f64_e32 v[36:37], v[36:37], v[38:39]
	s_delay_alu instid0(VALU_DEP_2) | instskip(NEXT) | instid1(VALU_DEP_1)
	v_add_f64_e64 v[38:39], v[40:41], -v[4:5]
	v_add_f64_e32 v[40:41], v[38:39], v[36:37]
	s_delay_alu instid0(VALU_DEP_1) | instskip(NEXT) | instid1(VALU_DEP_1)
	v_add_f64_e64 v[38:39], v[40:41], -v[38:39]
	v_add_f64_e64 v[36:37], v[36:37], -v[38:39]
	v_mul_f64_e32 v[38:39], 0x3ff921fb54442d18, v[40:41]
	s_delay_alu instid0(VALU_DEP_1) | instskip(NEXT) | instid1(VALU_DEP_1)
	v_fma_f64 v[42:43], v[40:41], s[12:13], -v[38:39]
	v_fmac_f64_e32 v[42:43], 0x3c91a62633145c07, v[40:41]
	s_delay_alu instid0(VALU_DEP_1) | instskip(NEXT) | instid1(VALU_DEP_1)
	v_fmac_f64_e32 v[42:43], 0x3ff921fb54442d18, v[36:37]
	v_add_f64_e32 v[36:37], v[38:39], v[42:43]
	s_delay_alu instid0(VALU_DEP_1) | instskip(NEXT) | instid1(VALU_DEP_1)
	v_add_f64_e64 v[38:39], v[36:37], -v[38:39]
	v_add_f64_e64 v[38:39], v[42:43], -v[38:39]
.LBB97_18:                              ;   in Loop: Header=BB97_4 Depth=1
	s_and_not1_saveexec_b32 s5, s28
	s_cbranch_execz .LBB97_20
; %bb.19:                               ;   in Loop: Header=BB97_4 Depth=1
	v_mul_f64_e64 v[36:37], |v[28:29]|, s[14:15]
	s_delay_alu instid0(VALU_DEP_1) | instskip(NEXT) | instid1(VALU_DEP_1)
	v_rndne_f64_e32 v[40:41], v[36:37]
	v_fma_f64 v[36:37], v[40:41], s[16:17], |v[28:29]|
	v_mul_f64_e32 v[38:39], 0xbc91a62633145c00, v[40:41]
	v_cvt_i32_f64_e32 v49, v[40:41]
	s_delay_alu instid0(VALU_DEP_3) | instskip(NEXT) | instid1(VALU_DEP_3)
	v_fmamk_f64 v[46:47], v[40:41], 0xbc91a62633145c00, v[36:37]
	v_add_f64_e32 v[42:43], v[36:37], v[38:39]
	s_delay_alu instid0(VALU_DEP_1) | instskip(NEXT) | instid1(VALU_DEP_3)
	v_add_f64_e64 v[44:45], v[36:37], -v[42:43]
	v_add_f64_e64 v[36:37], v[42:43], -v[46:47]
	s_delay_alu instid0(VALU_DEP_2) | instskip(SKIP_1) | instid1(VALU_DEP_2)
	v_add_f64_e32 v[42:43], v[44:45], v[38:39]
	v_fmamk_f64 v[38:39], v[40:41], 0x3c91a62633145c00, v[38:39]
	v_add_f64_e32 v[36:37], v[36:37], v[42:43]
	s_delay_alu instid0(VALU_DEP_1) | instskip(NEXT) | instid1(VALU_DEP_1)
	v_add_f64_e64 v[38:39], v[36:37], -v[38:39]
	v_fmac_f64_e32 v[38:39], 0xb97b839a252049c0, v[40:41]
	s_delay_alu instid0(VALU_DEP_1) | instskip(NEXT) | instid1(VALU_DEP_1)
	v_add_f64_e32 v[36:37], v[46:47], v[38:39]
	v_add_f64_e64 v[42:43], v[36:37], -v[46:47]
	s_delay_alu instid0(VALU_DEP_1)
	v_add_f64_e64 v[38:39], v[38:39], -v[42:43]
.LBB97_20:                              ;   in Loop: Header=BB97_4 Depth=1
	s_or_b32 exec_lo, exec_lo, s5
	s_delay_alu instid0(SALU_CYCLE_1)
	s_mov_b32 s28, exec_lo
                                        ; implicit-def: $vgpr50
                                        ; implicit-def: $vgpr40_vgpr41
                                        ; implicit-def: $vgpr42_vgpr43
	v_cmpx_ngt_f64_e64 0x41d00000, |v[24:25]|
	s_xor_b32 s28, exec_lo, s28
	s_cbranch_execz .LBB97_22
; %bb.21:                               ;   in Loop: Header=BB97_4 Depth=1
	v_ldexp_f64 v[40:41], |v[24:25]|, 0xffffff80
	v_cmp_le_f64_e64 s5, 0x7b000000, |v[24:25]|
	v_trig_preop_f64 v[42:43], |v[24:25]|, 0
	v_and_b32_e32 v5, 0x7fffffff, v25
	v_trig_preop_f64 v[44:45], |v[24:25]|, 1
	v_trig_preop_f64 v[56:57], |v[24:25]|, 2
	s_delay_alu instid0(VALU_DEP_3) | instskip(NEXT) | instid1(VALU_DEP_1)
	v_dual_cndmask_b32 v41, v5, v41, s5 :: v_dual_cndmask_b32 v40, v24, v40, s5
	v_mul_f64_e32 v[46:47], v[42:43], v[40:41]
	s_delay_alu instid0(VALU_DEP_4) | instskip(NEXT) | instid1(VALU_DEP_4)
	v_mul_f64_e32 v[50:51], v[44:45], v[40:41]
	v_mul_f64_e32 v[62:63], v[56:57], v[40:41]
	s_delay_alu instid0(VALU_DEP_3) | instskip(NEXT) | instid1(VALU_DEP_3)
	v_fma_f64 v[42:43], v[42:43], v[40:41], -v[46:47]
	v_fma_f64 v[44:45], v[44:45], v[40:41], -v[50:51]
	s_delay_alu instid0(VALU_DEP_3) | instskip(NEXT) | instid1(VALU_DEP_3)
	v_fma_f64 v[40:41], v[56:57], v[40:41], -v[62:63]
	v_add_f64_e32 v[52:53], v[50:51], v[42:43]
	s_delay_alu instid0(VALU_DEP_1) | instskip(SKIP_1) | instid1(VALU_DEP_2)
	v_add_f64_e64 v[54:55], v[52:53], -v[50:51]
	v_add_f64_e32 v[60:61], v[46:47], v[52:53]
	v_add_f64_e64 v[58:59], v[52:53], -v[54:55]
	v_add_f64_e64 v[42:43], v[42:43], -v[54:55]
	s_delay_alu instid0(VALU_DEP_3) | instskip(NEXT) | instid1(VALU_DEP_3)
	v_ldexp_f64 v[54:55], v[60:61], -2
	v_add_f64_e64 v[50:51], v[50:51], -v[58:59]
	v_add_f64_e32 v[58:59], v[62:63], v[44:45]
	s_delay_alu instid0(VALU_DEP_3) | instskip(NEXT) | instid1(VALU_DEP_3)
	v_cmp_neq_f64_e64 s5, 0x7ff00000, |v[54:55]|
	v_add_f64_e32 v[42:43], v[42:43], v[50:51]
	v_fract_f64_e32 v[50:51], v[54:55]
	s_delay_alu instid0(VALU_DEP_1) | instskip(NEXT) | instid1(VALU_DEP_1)
	v_ldexp_f64 v[50:51], v[50:51], 2
	v_cndmask_b32_e64 v51, 0, v51, s5
	v_add_f64_e64 v[46:47], v[60:61], -v[46:47]
	s_delay_alu instid0(VALU_DEP_3) | instskip(NEXT) | instid1(VALU_DEP_2)
	v_cndmask_b32_e64 v50, 0, v50, s5
	v_add_f64_e64 v[46:47], v[52:53], -v[46:47]
	v_add_f64_e32 v[52:53], v[58:59], v[42:43]
	s_delay_alu instid0(VALU_DEP_1) | instskip(SKIP_1) | instid1(VALU_DEP_2)
	v_add_f64_e32 v[54:55], v[46:47], v[52:53]
	v_add_f64_e64 v[64:65], v[52:53], -v[58:59]
	v_add_f64_e32 v[60:61], v[54:55], v[50:51]
	s_delay_alu instid0(VALU_DEP_2) | instskip(SKIP_2) | instid1(VALU_DEP_4)
	v_add_f64_e64 v[70:71], v[52:53], -v[64:65]
	v_add_f64_e64 v[42:43], v[42:43], -v[64:65]
	;; [unrolled: 1-line block ×3, first 2 shown]
	v_cmp_gt_f64_e64 s5, 0, v[60:61]
	v_add_f64_e64 v[60:61], v[58:59], -v[62:63]
	s_delay_alu instid0(VALU_DEP_3) | instskip(NEXT) | instid1(VALU_DEP_3)
	v_add_f64_e64 v[46:47], v[52:53], -v[46:47]
	v_cndmask_b32_e64 v5, 0, 0x40100000, s5
	s_delay_alu instid0(VALU_DEP_3) | instskip(SKIP_2) | instid1(VALU_DEP_4)
	v_add_f64_e64 v[68:69], v[58:59], -v[60:61]
	v_add_f64_e64 v[44:45], v[44:45], -v[60:61]
	;; [unrolled: 1-line block ×3, first 2 shown]
	v_add_f64_e32 v[50:51], v[50:51], v[4:5]
	s_delay_alu instid0(VALU_DEP_4) | instskip(NEXT) | instid1(VALU_DEP_3)
	v_add_f64_e64 v[60:61], v[62:63], -v[68:69]
	v_add_f64_e32 v[42:43], v[42:43], v[58:59]
	s_delay_alu instid0(VALU_DEP_3) | instskip(NEXT) | instid1(VALU_DEP_3)
	v_add_f64_e32 v[66:67], v[54:55], v[50:51]
	v_add_f64_e32 v[44:45], v[44:45], v[60:61]
	s_delay_alu instid0(VALU_DEP_2) | instskip(NEXT) | instid1(VALU_DEP_2)
	v_cvt_i32_f64_e32 v66, v[66:67]
	v_add_f64_e32 v[42:43], v[44:45], v[42:43]
	s_delay_alu instid0(VALU_DEP_2) | instskip(NEXT) | instid1(VALU_DEP_2)
	v_cvt_f64_i32_e32 v[64:65], v66
	v_add_f64_e32 v[40:41], v[40:41], v[42:43]
	s_delay_alu instid0(VALU_DEP_2) | instskip(NEXT) | instid1(VALU_DEP_2)
	v_add_f64_e64 v[50:51], v[50:51], -v[64:65]
	v_add_f64_e32 v[40:41], v[46:47], v[40:41]
	s_delay_alu instid0(VALU_DEP_2) | instskip(NEXT) | instid1(VALU_DEP_1)
	v_add_f64_e32 v[44:45], v[54:55], v[50:51]
	v_add_f64_e64 v[42:43], v[44:45], -v[50:51]
	v_cmp_le_f64_e64 s5, 0.5, v[44:45]
	s_delay_alu instid0(VALU_DEP_2) | instskip(NEXT) | instid1(VALU_DEP_2)
	v_add_f64_e64 v[42:43], v[54:55], -v[42:43]
	v_cndmask_b32_e64 v5, 0, 0x3ff00000, s5
	s_delay_alu instid0(VALU_DEP_2) | instskip(NEXT) | instid1(VALU_DEP_2)
	v_add_f64_e32 v[40:41], v[40:41], v[42:43]
	v_add_f64_e64 v[42:43], v[44:45], -v[4:5]
	s_delay_alu instid0(VALU_DEP_1) | instskip(NEXT) | instid1(VALU_DEP_1)
	v_add_f64_e32 v[44:45], v[42:43], v[40:41]
	v_mul_f64_e32 v[46:47], 0x3ff921fb54442d18, v[44:45]
	v_add_f64_e64 v[42:43], v[44:45], -v[42:43]
	s_delay_alu instid0(VALU_DEP_2) | instskip(NEXT) | instid1(VALU_DEP_2)
	v_fma_f64 v[50:51], v[44:45], s[12:13], -v[46:47]
	v_add_f64_e64 v[40:41], v[40:41], -v[42:43]
	s_delay_alu instid0(VALU_DEP_2) | instskip(NEXT) | instid1(VALU_DEP_1)
	v_fmac_f64_e32 v[50:51], 0x3c91a62633145c07, v[44:45]
	v_fmac_f64_e32 v[50:51], 0x3ff921fb54442d18, v[40:41]
	s_delay_alu instid0(VALU_DEP_1) | instskip(NEXT) | instid1(VALU_DEP_1)
	v_add_f64_e32 v[40:41], v[46:47], v[50:51]
	v_add_f64_e64 v[42:43], v[40:41], -v[46:47]
	s_delay_alu instid0(VALU_DEP_1)
	v_add_f64_e64 v[42:43], v[50:51], -v[42:43]
	v_add_co_ci_u32_e64 v50, null, 0, v66, s5
.LBB97_22:                              ;   in Loop: Header=BB97_4 Depth=1
	s_and_not1_saveexec_b32 s5, s28
	s_cbranch_execz .LBB97_24
; %bb.23:                               ;   in Loop: Header=BB97_4 Depth=1
	v_mul_f64_e64 v[40:41], |v[24:25]|, s[14:15]
	s_delay_alu instid0(VALU_DEP_1) | instskip(NEXT) | instid1(VALU_DEP_1)
	v_rndne_f64_e32 v[44:45], v[40:41]
	v_fma_f64 v[40:41], v[44:45], s[16:17], |v[24:25]|
	v_mul_f64_e32 v[42:43], 0xbc91a62633145c00, v[44:45]
	s_delay_alu instid0(VALU_DEP_2) | instskip(NEXT) | instid1(VALU_DEP_2)
	v_fmamk_f64 v[52:53], v[44:45], 0xbc91a62633145c00, v[40:41]
	v_add_f64_e32 v[46:47], v[40:41], v[42:43]
	s_delay_alu instid0(VALU_DEP_1) | instskip(NEXT) | instid1(VALU_DEP_3)
	v_add_f64_e64 v[50:51], v[40:41], -v[46:47]
	v_add_f64_e64 v[40:41], v[46:47], -v[52:53]
	s_delay_alu instid0(VALU_DEP_2) | instskip(SKIP_2) | instid1(VALU_DEP_3)
	v_add_f64_e32 v[46:47], v[50:51], v[42:43]
	v_fmamk_f64 v[42:43], v[44:45], 0x3c91a62633145c00, v[42:43]
	v_cvt_i32_f64_e32 v50, v[44:45]
	v_add_f64_e32 v[40:41], v[40:41], v[46:47]
	s_delay_alu instid0(VALU_DEP_1) | instskip(NEXT) | instid1(VALU_DEP_1)
	v_add_f64_e64 v[42:43], v[40:41], -v[42:43]
	v_fmac_f64_e32 v[42:43], 0xb97b839a252049c0, v[44:45]
	s_delay_alu instid0(VALU_DEP_1) | instskip(NEXT) | instid1(VALU_DEP_1)
	v_add_f64_e32 v[40:41], v[52:53], v[42:43]
	v_add_f64_e64 v[46:47], v[40:41], -v[52:53]
	s_delay_alu instid0(VALU_DEP_1)
	v_add_f64_e64 v[42:43], v[42:43], -v[46:47]
.LBB97_24:                              ;   in Loop: Header=BB97_4 Depth=1
	s_or_b32 exec_lo, exec_lo, s5
	s_delay_alu instid0(SALU_CYCLE_1)
	s_mov_b32 s28, exec_lo
                                        ; implicit-def: $vgpr51
                                        ; implicit-def: $vgpr44_vgpr45
                                        ; implicit-def: $vgpr46_vgpr47
	v_cmpx_ngt_f64_e64 0x41d00000, |v[22:23]|
	s_xor_b32 s28, exec_lo, s28
	s_cbranch_execnz .LBB97_30
; %bb.25:                               ;   in Loop: Header=BB97_4 Depth=1
	s_and_not1_saveexec_b32 s5, s28
	s_cbranch_execnz .LBB97_31
.LBB97_26:                              ;   in Loop: Header=BB97_4 Depth=1
	s_or_b32 exec_lo, exec_lo, s5
	s_and_saveexec_b32 s5, s4
	s_delay_alu instid0(SALU_CYCLE_1)
	s_xor_b32 s28, exec_lo, s5
	s_cbranch_execnz .LBB97_32
.LBB97_27:                              ;   in Loop: Header=BB97_4 Depth=1
	s_or_b32 exec_lo, exec_lo, s28
	s_and_saveexec_b32 s5, s3
	s_cbranch_execnz .LBB97_33
.LBB97_28:                              ;   in Loop: Header=BB97_4 Depth=1
	s_or_b32 exec_lo, exec_lo, s5
	s_and_saveexec_b32 s4, s2
	s_cbranch_execnz .LBB97_34
.LBB97_29:                              ;   in Loop: Header=BB97_4 Depth=1
	s_or_b32 exec_lo, exec_lo, s4
	s_and_saveexec_b32 s3, vcc_lo
	s_cbranch_execz .LBB97_3
	s_branch .LBB97_35
.LBB97_30:                              ;   in Loop: Header=BB97_4 Depth=1
	v_ldexp_f64 v[44:45], |v[22:23]|, 0xffffff80
	v_cmp_le_f64_e64 s5, 0x7b000000, |v[22:23]|
	v_trig_preop_f64 v[46:47], |v[22:23]|, 0
	v_and_b32_e32 v5, 0x7fffffff, v23
	v_trig_preop_f64 v[52:53], |v[22:23]|, 1
	v_trig_preop_f64 v[62:63], |v[22:23]|, 2
	s_delay_alu instid0(VALU_DEP_3) | instskip(NEXT) | instid1(VALU_DEP_1)
	v_dual_cndmask_b32 v45, v5, v45, s5 :: v_dual_cndmask_b32 v44, v22, v44, s5
	v_mul_f64_e32 v[54:55], v[46:47], v[44:45]
	s_delay_alu instid0(VALU_DEP_4) | instskip(NEXT) | instid1(VALU_DEP_4)
	v_mul_f64_e32 v[56:57], v[52:53], v[44:45]
	v_mul_f64_e32 v[68:69], v[62:63], v[44:45]
	s_delay_alu instid0(VALU_DEP_3) | instskip(NEXT) | instid1(VALU_DEP_3)
	v_fma_f64 v[46:47], v[46:47], v[44:45], -v[54:55]
	v_fma_f64 v[52:53], v[52:53], v[44:45], -v[56:57]
	s_delay_alu instid0(VALU_DEP_3) | instskip(NEXT) | instid1(VALU_DEP_3)
	v_fma_f64 v[44:45], v[62:63], v[44:45], -v[68:69]
	v_add_f64_e32 v[58:59], v[56:57], v[46:47]
	s_delay_alu instid0(VALU_DEP_1) | instskip(SKIP_1) | instid1(VALU_DEP_2)
	v_add_f64_e64 v[60:61], v[58:59], -v[56:57]
	v_add_f64_e32 v[66:67], v[54:55], v[58:59]
	v_add_f64_e64 v[64:65], v[58:59], -v[60:61]
	v_add_f64_e64 v[46:47], v[46:47], -v[60:61]
	s_delay_alu instid0(VALU_DEP_3) | instskip(NEXT) | instid1(VALU_DEP_3)
	v_ldexp_f64 v[60:61], v[66:67], -2
	v_add_f64_e64 v[56:57], v[56:57], -v[64:65]
	v_add_f64_e32 v[64:65], v[68:69], v[52:53]
	s_delay_alu instid0(VALU_DEP_3) | instskip(NEXT) | instid1(VALU_DEP_3)
	v_cmp_neq_f64_e64 s5, 0x7ff00000, |v[60:61]|
	v_add_f64_e32 v[46:47], v[46:47], v[56:57]
	v_fract_f64_e32 v[56:57], v[60:61]
	s_delay_alu instid0(VALU_DEP_1) | instskip(NEXT) | instid1(VALU_DEP_1)
	v_ldexp_f64 v[56:57], v[56:57], 2
	v_dual_add_f64 v[54:55], v[66:67], -v[54:55] :: v_dual_cndmask_b32 v56, 0, v56, s5
	s_delay_alu instid0(VALU_DEP_1) | instskip(SKIP_1) | instid1(VALU_DEP_1)
	v_dual_add_f64 v[54:55], v[58:59], -v[54:55] :: v_dual_cndmask_b32 v57, 0, v57, s5
	v_add_f64_e32 v[58:59], v[64:65], v[46:47]
	v_add_f64_e32 v[60:61], v[54:55], v[58:59]
	v_add_f64_e64 v[70:71], v[58:59], -v[64:65]
	s_delay_alu instid0(VALU_DEP_2) | instskip(NEXT) | instid1(VALU_DEP_2)
	v_add_f64_e32 v[66:67], v[60:61], v[56:57]
	v_add_f64_e64 v[76:77], v[58:59], -v[70:71]
	v_add_f64_e64 v[46:47], v[46:47], -v[70:71]
	;; [unrolled: 1-line block ×3, first 2 shown]
	s_delay_alu instid0(VALU_DEP_4) | instskip(SKIP_1) | instid1(VALU_DEP_3)
	v_cmp_gt_f64_e64 s5, 0, v[66:67]
	v_add_f64_e64 v[66:67], v[64:65], -v[68:69]
	v_add_f64_e64 v[54:55], v[58:59], -v[54:55]
	s_delay_alu instid0(VALU_DEP_3) | instskip(NEXT) | instid1(VALU_DEP_3)
	v_cndmask_b32_e64 v5, 0, 0x40100000, s5
	v_add_f64_e64 v[74:75], v[64:65], -v[66:67]
	v_add_f64_e64 v[52:53], v[52:53], -v[66:67]
	;; [unrolled: 1-line block ×3, first 2 shown]
	s_delay_alu instid0(VALU_DEP_4) | instskip(NEXT) | instid1(VALU_DEP_4)
	v_add_f64_e32 v[56:57], v[56:57], v[4:5]
	v_add_f64_e64 v[66:67], v[68:69], -v[74:75]
	s_delay_alu instid0(VALU_DEP_3) | instskip(NEXT) | instid1(VALU_DEP_3)
	v_add_f64_e32 v[46:47], v[46:47], v[64:65]
	v_add_f64_e32 v[72:73], v[60:61], v[56:57]
	s_delay_alu instid0(VALU_DEP_3) | instskip(NEXT) | instid1(VALU_DEP_2)
	v_add_f64_e32 v[52:53], v[52:53], v[66:67]
	v_cvt_i32_f64_e32 v5, v[72:73]
	s_delay_alu instid0(VALU_DEP_2) | instskip(NEXT) | instid1(VALU_DEP_2)
	v_add_f64_e32 v[46:47], v[52:53], v[46:47]
	v_cvt_f64_i32_e32 v[70:71], v5
	s_delay_alu instid0(VALU_DEP_2) | instskip(NEXT) | instid1(VALU_DEP_2)
	v_add_f64_e32 v[44:45], v[44:45], v[46:47]
	v_add_f64_e64 v[56:57], v[56:57], -v[70:71]
	s_delay_alu instid0(VALU_DEP_2) | instskip(NEXT) | instid1(VALU_DEP_2)
	v_add_f64_e32 v[44:45], v[54:55], v[44:45]
	v_add_f64_e32 v[52:53], v[60:61], v[56:57]
	s_delay_alu instid0(VALU_DEP_1) | instskip(SKIP_1) | instid1(VALU_DEP_2)
	v_add_f64_e64 v[46:47], v[52:53], -v[56:57]
	v_cmp_le_f64_e64 s5, 0.5, v[52:53]
	v_add_f64_e64 v[46:47], v[60:61], -v[46:47]
	s_delay_alu instid0(VALU_DEP_2) | instskip(SKIP_1) | instid1(VALU_DEP_3)
	v_add_co_ci_u32_e64 v51, null, 0, v5, s5
	v_cndmask_b32_e64 v5, 0, 0x3ff00000, s5
	v_add_f64_e32 v[44:45], v[44:45], v[46:47]
	s_delay_alu instid0(VALU_DEP_2) | instskip(NEXT) | instid1(VALU_DEP_1)
	v_add_f64_e64 v[46:47], v[52:53], -v[4:5]
	v_add_f64_e32 v[52:53], v[46:47], v[44:45]
	s_delay_alu instid0(VALU_DEP_1) | instskip(SKIP_1) | instid1(VALU_DEP_2)
	v_mul_f64_e32 v[54:55], 0x3ff921fb54442d18, v[52:53]
	v_add_f64_e64 v[46:47], v[52:53], -v[46:47]
	v_fma_f64 v[56:57], v[52:53], s[12:13], -v[54:55]
	s_delay_alu instid0(VALU_DEP_2) | instskip(NEXT) | instid1(VALU_DEP_2)
	v_add_f64_e64 v[44:45], v[44:45], -v[46:47]
	v_fmac_f64_e32 v[56:57], 0x3c91a62633145c07, v[52:53]
	s_delay_alu instid0(VALU_DEP_1) | instskip(NEXT) | instid1(VALU_DEP_1)
	v_fmac_f64_e32 v[56:57], 0x3ff921fb54442d18, v[44:45]
	v_add_f64_e32 v[44:45], v[54:55], v[56:57]
	s_delay_alu instid0(VALU_DEP_1) | instskip(NEXT) | instid1(VALU_DEP_1)
	v_add_f64_e64 v[46:47], v[44:45], -v[54:55]
	v_add_f64_e64 v[46:47], v[56:57], -v[46:47]
	s_and_not1_saveexec_b32 s5, s28
	s_cbranch_execz .LBB97_26
.LBB97_31:                              ;   in Loop: Header=BB97_4 Depth=1
	v_mul_f64_e64 v[44:45], |v[22:23]|, s[14:15]
	s_delay_alu instid0(VALU_DEP_1) | instskip(NEXT) | instid1(VALU_DEP_1)
	v_rndne_f64_e32 v[52:53], v[44:45]
	v_fma_f64 v[44:45], v[52:53], s[16:17], |v[22:23]|
	v_mul_f64_e32 v[46:47], 0xbc91a62633145c00, v[52:53]
	v_cvt_i32_f64_e32 v51, v[52:53]
	s_delay_alu instid0(VALU_DEP_3) | instskip(NEXT) | instid1(VALU_DEP_3)
	v_fmamk_f64 v[58:59], v[52:53], 0xbc91a62633145c00, v[44:45]
	v_add_f64_e32 v[54:55], v[44:45], v[46:47]
	s_delay_alu instid0(VALU_DEP_1) | instskip(NEXT) | instid1(VALU_DEP_3)
	v_add_f64_e64 v[56:57], v[44:45], -v[54:55]
	v_add_f64_e64 v[44:45], v[54:55], -v[58:59]
	s_delay_alu instid0(VALU_DEP_2) | instskip(SKIP_1) | instid1(VALU_DEP_2)
	v_add_f64_e32 v[54:55], v[56:57], v[46:47]
	v_fmamk_f64 v[46:47], v[52:53], 0x3c91a62633145c00, v[46:47]
	v_add_f64_e32 v[44:45], v[44:45], v[54:55]
	s_delay_alu instid0(VALU_DEP_1) | instskip(NEXT) | instid1(VALU_DEP_1)
	v_add_f64_e64 v[46:47], v[44:45], -v[46:47]
	v_fmac_f64_e32 v[46:47], 0xb97b839a252049c0, v[52:53]
	s_delay_alu instid0(VALU_DEP_1) | instskip(NEXT) | instid1(VALU_DEP_1)
	v_add_f64_e32 v[44:45], v[58:59], v[46:47]
	v_add_f64_e64 v[54:55], v[44:45], -v[58:59]
	s_delay_alu instid0(VALU_DEP_1) | instskip(SKIP_2) | instid1(SALU_CYCLE_1)
	v_add_f64_e64 v[46:47], v[46:47], -v[54:55]
	s_or_b32 exec_lo, exec_lo, s5
	s_and_saveexec_b32 s5, s4
	s_xor_b32 s28, exec_lo, s5
	s_cbranch_execz .LBB97_27
.LBB97_32:                              ;   in Loop: Header=BB97_4 Depth=1
	s_delay_alu instid0(VALU_DEP_4) | instskip(SKIP_1) | instid1(VALU_DEP_2)
	v_dual_add_f64 v[54:55], v[34:35], v[34:35] :: v_dual_bitop2_b32 v5, 1, v48 bitop3:0x40
	v_cmp_class_f64_e64 s5, v[30:31], 0x1f8
	v_cmp_eq_u32_e64 s4, 0, v5
	v_mul_f64_e32 v[52:53], v[32:33], v[32:33]
	s_delay_alu instid0(VALU_DEP_1) | instskip(NEXT) | instid1(VALU_DEP_1)
	v_fma_f64 v[56:57], v[32:33], v[32:33], -v[52:53]
	v_fmac_f64_e32 v[56:57], v[32:33], v[54:55]
	s_delay_alu instid0(VALU_DEP_1) | instskip(NEXT) | instid1(VALU_DEP_1)
	v_add_f64_e32 v[52:53], v[52:53], v[56:57]
	v_fmamk_f64 v[54:55], v[52:53], 0x3ef5e089c751c08c, v[18:19]
	s_delay_alu instid0(VALU_DEP_1) | instskip(NEXT) | instid1(VALU_DEP_1)
	v_fmaak_f64 v[54:55], v[52:53], v[54:55], 0x3f17746f90a8aae0
	v_fmaak_f64 v[54:55], v[52:53], v[54:55], 0xbefbb44da6fbf144
	s_delay_alu instid0(VALU_DEP_1) | instskip(NEXT) | instid1(VALU_DEP_1)
	v_fmaak_f64 v[54:55], v[52:53], v[54:55], 0x3f21e634a7943acf
	v_fmaak_f64 v[54:55], v[52:53], v[54:55], 0x3f2d250fdeb68feb
	;; [unrolled: 3-line block ×6, first 2 shown]
	s_delay_alu instid0(VALU_DEP_1) | instskip(NEXT) | instid1(VALU_DEP_1)
	v_mul_f64_e32 v[52:53], v[52:53], v[54:55]
	v_mul_f64_e32 v[54:55], v[32:33], v[52:53]
	s_delay_alu instid0(VALU_DEP_1) | instskip(SKIP_1) | instid1(VALU_DEP_2)
	v_add_f64_e32 v[56:57], v[32:33], v[54:55]
	v_fma_f64 v[52:53], v[32:33], v[52:53], -v[54:55]
	v_add_f64_e64 v[32:33], v[56:57], -v[32:33]
	s_delay_alu instid0(VALU_DEP_2) | instskip(NEXT) | instid1(VALU_DEP_2)
	v_add_f64_e32 v[34:35], v[34:35], v[52:53]
	v_add_f64_e64 v[32:33], v[54:55], -v[32:33]
	s_delay_alu instid0(VALU_DEP_1) | instskip(NEXT) | instid1(VALU_DEP_1)
	v_add_f64_e32 v[32:33], v[34:35], v[32:33]
	v_add_f64_e32 v[34:35], v[56:57], v[32:33]
	s_delay_alu instid0(VALU_DEP_1) | instskip(SKIP_1) | instid1(TRANS32_DEP_1)
	v_rcp_f64_e32 v[52:53], v[34:35]
	v_nop
	v_fma_f64 v[54:55], -v[34:35], v[52:53], 1.0
	s_delay_alu instid0(VALU_DEP_1) | instskip(NEXT) | instid1(VALU_DEP_1)
	v_fmac_f64_e32 v[52:53], v[54:55], v[52:53]
	v_fma_f64 v[54:55], -v[34:35], v[52:53], 1.0
	s_delay_alu instid0(VALU_DEP_1) | instskip(SKIP_1) | instid1(VALU_DEP_2)
	v_fmac_f64_e32 v[52:53], v[54:55], v[52:53]
	v_add_f64_e64 v[54:55], v[34:35], -v[56:57]
	v_mul_f64_e32 v[56:57], v[34:35], v[52:53]
	s_delay_alu instid0(VALU_DEP_2) | instskip(NEXT) | instid1(VALU_DEP_2)
	v_add_f64_e64 v[32:33], v[32:33], -v[54:55]
	v_fma_f64 v[54:55], v[52:53], v[34:35], -v[56:57]
	s_delay_alu instid0(VALU_DEP_1) | instskip(NEXT) | instid1(VALU_DEP_1)
	v_fmac_f64_e32 v[54:55], v[52:53], v[32:33]
	v_add_f64_e32 v[32:33], v[56:57], v[54:55]
	s_delay_alu instid0(VALU_DEP_1) | instskip(SKIP_1) | instid1(VALU_DEP_2)
	v_add_f64_e64 v[58:59], -v[32:33], 1.0
	v_add_f64_e64 v[56:57], v[32:33], -v[56:57]
	v_add_f64_e64 v[60:61], -v[58:59], 1.0
	s_delay_alu instid0(VALU_DEP_2) | instskip(NEXT) | instid1(VALU_DEP_2)
	v_add_f64_e64 v[54:55], v[56:57], -v[54:55]
	v_add_f64_e64 v[32:33], v[60:61], -v[32:33]
	s_delay_alu instid0(VALU_DEP_1) | instskip(NEXT) | instid1(VALU_DEP_1)
	v_add_f64_e32 v[32:33], v[54:55], v[32:33]
	v_add_f64_e32 v[32:33], v[58:59], v[32:33]
	s_delay_alu instid0(VALU_DEP_1) | instskip(NEXT) | instid1(VALU_DEP_1)
	v_mul_f64_e32 v[32:33], v[52:53], v[32:33]
	v_add_f64_e32 v[32:33], v[52:53], v[32:33]
	s_delay_alu instid0(VALU_DEP_1) | instskip(NEXT) | instid1(VALU_DEP_1)
	v_xor_b32_e32 v30, 0x80000000, v33
	v_dual_cndmask_b32 v5, v32, v34, s4 :: v_dual_cndmask_b32 v30, v30, v35, s4
	s_delay_alu instid0(VALU_DEP_1) | instskip(NEXT) | instid1(VALU_DEP_2)
	v_bitop3_b32 v31, v30, v31, 0x80000000 bitop3:0x78
	v_cndmask_b32_e64 v30, 0, v5, s5
	s_delay_alu instid0(VALU_DEP_2)
	v_cndmask_b32_e64 v31, 0x7ff80000, v31, s5
	global_store_b64 v[10:11], v[30:31], off
	s_wait_xcnt 0x0
	s_or_b32 exec_lo, exec_lo, s28
	s_and_saveexec_b32 s5, s3
	s_cbranch_execz .LBB97_28
.LBB97_33:                              ;   in Loop: Header=BB97_4 Depth=1
	v_mul_f64_e32 v[30:31], v[36:37], v[36:37]
	s_delay_alu instid0(VALU_DEP_4) | instskip(SKIP_1) | instid1(VALU_DEP_2)
	v_dual_add_f64 v[32:33], v[38:39], v[38:39] :: v_dual_bitop2_b32 v5, 1, v49 bitop3:0x40
	v_cmp_class_f64_e64 s4, v[28:29], 0x1f8
	v_cmp_eq_u32_e64 s3, 0, v5
	s_delay_alu instid0(VALU_DEP_4) | instskip(NEXT) | instid1(VALU_DEP_1)
	v_fma_f64 v[34:35], v[36:37], v[36:37], -v[30:31]
	v_fmac_f64_e32 v[34:35], v[36:37], v[32:33]
	s_delay_alu instid0(VALU_DEP_1) | instskip(NEXT) | instid1(VALU_DEP_1)
	v_add_f64_e32 v[30:31], v[30:31], v[34:35]
	v_fmamk_f64 v[32:33], v[30:31], 0x3ef5e089c751c08c, v[18:19]
	s_delay_alu instid0(VALU_DEP_1) | instskip(NEXT) | instid1(VALU_DEP_1)
	v_fmaak_f64 v[32:33], v[30:31], v[32:33], 0x3f17746f90a8aae0
	v_fmaak_f64 v[32:33], v[30:31], v[32:33], 0xbefbb44da6fbf144
	s_delay_alu instid0(VALU_DEP_1) | instskip(NEXT) | instid1(VALU_DEP_1)
	v_fmaak_f64 v[32:33], v[30:31], v[32:33], 0x3f21e634a7943acf
	v_fmaak_f64 v[32:33], v[30:31], v[32:33], 0x3f2d250fdeb68feb
	;; [unrolled: 3-line block ×6, first 2 shown]
	s_delay_alu instid0(VALU_DEP_1) | instskip(NEXT) | instid1(VALU_DEP_1)
	v_mul_f64_e32 v[30:31], v[30:31], v[32:33]
	v_mul_f64_e32 v[32:33], v[36:37], v[30:31]
	s_delay_alu instid0(VALU_DEP_1) | instskip(SKIP_1) | instid1(VALU_DEP_2)
	v_add_f64_e32 v[34:35], v[36:37], v[32:33]
	v_fma_f64 v[30:31], v[36:37], v[30:31], -v[32:33]
	v_add_f64_e64 v[36:37], v[34:35], -v[36:37]
	s_delay_alu instid0(VALU_DEP_2) | instskip(NEXT) | instid1(VALU_DEP_2)
	v_add_f64_e32 v[30:31], v[38:39], v[30:31]
	v_add_f64_e64 v[32:33], v[32:33], -v[36:37]
	s_delay_alu instid0(VALU_DEP_1) | instskip(NEXT) | instid1(VALU_DEP_1)
	v_add_f64_e32 v[30:31], v[30:31], v[32:33]
	v_add_f64_e32 v[32:33], v[34:35], v[30:31]
	s_delay_alu instid0(VALU_DEP_1) | instskip(SKIP_1) | instid1(VALU_DEP_1)
	v_rcp_f64_e32 v[36:37], v[32:33]
	v_add_f64_e64 v[34:35], v[32:33], -v[34:35]
	v_add_f64_e64 v[30:31], v[30:31], -v[34:35]
	s_delay_alu instid0(TRANS32_DEP_1) | instskip(NEXT) | instid1(VALU_DEP_1)
	v_fma_f64 v[38:39], -v[32:33], v[36:37], 1.0
	v_fmac_f64_e32 v[36:37], v[38:39], v[36:37]
	s_delay_alu instid0(VALU_DEP_1) | instskip(NEXT) | instid1(VALU_DEP_1)
	v_fma_f64 v[38:39], -v[32:33], v[36:37], 1.0
	v_fmac_f64_e32 v[36:37], v[38:39], v[36:37]
	s_delay_alu instid0(VALU_DEP_1) | instskip(NEXT) | instid1(VALU_DEP_1)
	v_mul_f64_e32 v[38:39], v[32:33], v[36:37]
	v_fma_f64 v[34:35], v[36:37], v[32:33], -v[38:39]
	s_delay_alu instid0(VALU_DEP_1) | instskip(NEXT) | instid1(VALU_DEP_1)
	v_fmac_f64_e32 v[34:35], v[36:37], v[30:31]
	v_add_f64_e32 v[30:31], v[38:39], v[34:35]
	s_delay_alu instid0(VALU_DEP_1) | instskip(SKIP_1) | instid1(VALU_DEP_2)
	v_add_f64_e64 v[52:53], -v[30:31], 1.0
	v_add_f64_e64 v[38:39], v[30:31], -v[38:39]
	v_add_f64_e64 v[54:55], -v[52:53], 1.0
	s_delay_alu instid0(VALU_DEP_2) | instskip(NEXT) | instid1(VALU_DEP_2)
	v_add_f64_e64 v[34:35], v[38:39], -v[34:35]
	v_add_f64_e64 v[30:31], v[54:55], -v[30:31]
	s_delay_alu instid0(VALU_DEP_1) | instskip(NEXT) | instid1(VALU_DEP_1)
	v_add_f64_e32 v[30:31], v[34:35], v[30:31]
	v_add_f64_e32 v[30:31], v[52:53], v[30:31]
	s_delay_alu instid0(VALU_DEP_1) | instskip(NEXT) | instid1(VALU_DEP_1)
	v_mul_f64_e32 v[30:31], v[36:37], v[30:31]
	v_add_f64_e32 v[30:31], v[36:37], v[30:31]
	s_delay_alu instid0(VALU_DEP_1) | instskip(NEXT) | instid1(VALU_DEP_1)
	v_xor_b32_e32 v28, 0x80000000, v31
	v_dual_cndmask_b32 v5, v30, v32, s3 :: v_dual_cndmask_b32 v28, v28, v33, s3
	s_delay_alu instid0(VALU_DEP_1) | instskip(NEXT) | instid1(VALU_DEP_2)
	v_bitop3_b32 v29, v28, v29, 0x80000000 bitop3:0x78
	v_cndmask_b32_e64 v28, 0, v5, s4
	s_delay_alu instid0(VALU_DEP_2)
	v_cndmask_b32_e64 v29, 0x7ff80000, v29, s4
	global_store_b64 v[16:17], v[28:29], off
	s_wait_xcnt 0x0
	s_or_b32 exec_lo, exec_lo, s5
	s_and_saveexec_b32 s4, s2
	s_cbranch_execz .LBB97_29
.LBB97_34:                              ;   in Loop: Header=BB97_4 Depth=1
	v_dual_mul_f64 v[28:29], v[40:41], v[40:41] :: v_dual_bitop2_b32 v5, 1, v50 bitop3:0x40
	v_cmp_class_f64_e64 s3, v[24:25], 0x1f8
	s_delay_alu instid0(VALU_DEP_4) | instskip(NEXT) | instid1(VALU_DEP_3)
	v_add_f64_e32 v[30:31], v[42:43], v[42:43]
	v_cmp_eq_u32_e64 s2, 0, v5
	s_delay_alu instid0(VALU_DEP_4) | instskip(NEXT) | instid1(VALU_DEP_1)
	v_fma_f64 v[32:33], v[40:41], v[40:41], -v[28:29]
	v_fmac_f64_e32 v[32:33], v[40:41], v[30:31]
	s_delay_alu instid0(VALU_DEP_1) | instskip(NEXT) | instid1(VALU_DEP_1)
	v_add_f64_e32 v[28:29], v[28:29], v[32:33]
	v_fmamk_f64 v[30:31], v[28:29], 0x3ef5e089c751c08c, v[18:19]
	s_delay_alu instid0(VALU_DEP_1) | instskip(NEXT) | instid1(VALU_DEP_1)
	v_fmaak_f64 v[30:31], v[28:29], v[30:31], 0x3f17746f90a8aae0
	v_fmaak_f64 v[30:31], v[28:29], v[30:31], 0xbefbb44da6fbf144
	s_delay_alu instid0(VALU_DEP_1) | instskip(NEXT) | instid1(VALU_DEP_1)
	v_fmaak_f64 v[30:31], v[28:29], v[30:31], 0x3f21e634a7943acf
	v_fmaak_f64 v[30:31], v[28:29], v[30:31], 0x3f2d250fdeb68feb
	;; [unrolled: 3-line block ×6, first 2 shown]
	s_delay_alu instid0(VALU_DEP_1) | instskip(NEXT) | instid1(VALU_DEP_1)
	v_mul_f64_e32 v[28:29], v[28:29], v[30:31]
	v_mul_f64_e32 v[30:31], v[40:41], v[28:29]
	s_delay_alu instid0(VALU_DEP_1) | instskip(SKIP_1) | instid1(VALU_DEP_2)
	v_add_f64_e32 v[32:33], v[40:41], v[30:31]
	v_fma_f64 v[28:29], v[40:41], v[28:29], -v[30:31]
	v_add_f64_e64 v[34:35], v[32:33], -v[40:41]
	s_delay_alu instid0(VALU_DEP_2) | instskip(NEXT) | instid1(VALU_DEP_2)
	v_add_f64_e32 v[28:29], v[42:43], v[28:29]
	v_add_f64_e64 v[30:31], v[30:31], -v[34:35]
	s_delay_alu instid0(VALU_DEP_1) | instskip(NEXT) | instid1(VALU_DEP_1)
	v_add_f64_e32 v[28:29], v[28:29], v[30:31]
	v_add_f64_e32 v[30:31], v[32:33], v[28:29]
	s_delay_alu instid0(VALU_DEP_1) | instskip(SKIP_1) | instid1(VALU_DEP_1)
	v_rcp_f64_e32 v[34:35], v[30:31]
	v_add_f64_e64 v[32:33], v[30:31], -v[32:33]
	v_add_f64_e64 v[28:29], v[28:29], -v[32:33]
	s_delay_alu instid0(TRANS32_DEP_1) | instskip(NEXT) | instid1(VALU_DEP_1)
	v_fma_f64 v[36:37], -v[30:31], v[34:35], 1.0
	v_fmac_f64_e32 v[34:35], v[36:37], v[34:35]
	s_delay_alu instid0(VALU_DEP_1) | instskip(NEXT) | instid1(VALU_DEP_1)
	v_fma_f64 v[36:37], -v[30:31], v[34:35], 1.0
	v_fmac_f64_e32 v[34:35], v[36:37], v[34:35]
	s_delay_alu instid0(VALU_DEP_1) | instskip(NEXT) | instid1(VALU_DEP_1)
	v_mul_f64_e32 v[36:37], v[30:31], v[34:35]
	v_fma_f64 v[32:33], v[34:35], v[30:31], -v[36:37]
	s_delay_alu instid0(VALU_DEP_1) | instskip(NEXT) | instid1(VALU_DEP_1)
	v_fmac_f64_e32 v[32:33], v[34:35], v[28:29]
	v_add_f64_e32 v[28:29], v[36:37], v[32:33]
	s_delay_alu instid0(VALU_DEP_1) | instskip(SKIP_1) | instid1(VALU_DEP_2)
	v_add_f64_e64 v[38:39], -v[28:29], 1.0
	v_add_f64_e64 v[36:37], v[28:29], -v[36:37]
	v_add_f64_e64 v[40:41], -v[38:39], 1.0
	s_delay_alu instid0(VALU_DEP_2) | instskip(NEXT) | instid1(VALU_DEP_2)
	v_add_f64_e64 v[32:33], v[36:37], -v[32:33]
	v_add_f64_e64 v[28:29], v[40:41], -v[28:29]
	s_delay_alu instid0(VALU_DEP_1) | instskip(NEXT) | instid1(VALU_DEP_1)
	v_add_f64_e32 v[28:29], v[32:33], v[28:29]
	v_add_f64_e32 v[28:29], v[38:39], v[28:29]
	s_delay_alu instid0(VALU_DEP_1) | instskip(NEXT) | instid1(VALU_DEP_1)
	v_mul_f64_e32 v[28:29], v[34:35], v[28:29]
	v_add_f64_e32 v[28:29], v[34:35], v[28:29]
	s_delay_alu instid0(VALU_DEP_1) | instskip(NEXT) | instid1(VALU_DEP_2)
	v_xor_b32_e32 v24, 0x80000000, v29
	v_cndmask_b32_e64 v5, v28, v30, s2
	s_delay_alu instid0(VALU_DEP_2) | instskip(NEXT) | instid1(VALU_DEP_1)
	v_cndmask_b32_e64 v24, v24, v31, s2
	v_bitop3_b32 v25, v24, v25, 0x80000000 bitop3:0x78
	s_delay_alu instid0(VALU_DEP_3) | instskip(NEXT) | instid1(VALU_DEP_2)
	v_cndmask_b32_e64 v24, 0, v5, s3
	v_cndmask_b32_e64 v25, 0x7ff80000, v25, s3
	global_store_b64 v[26:27], v[24:25], off
	s_wait_xcnt 0x0
	s_or_b32 exec_lo, exec_lo, s4
	s_and_saveexec_b32 s3, vcc_lo
	s_cbranch_execz .LBB97_3
.LBB97_35:                              ;   in Loop: Header=BB97_4 Depth=1
	v_dual_mul_f64 v[24:25], v[44:45], v[44:45] :: v_dual_bitop2_b32 v5, 1, v51 bitop3:0x40
	v_cmp_class_f64_e64 s2, v[22:23], 0x1f8
	s_delay_alu instid0(VALU_DEP_3) | instskip(NEXT) | instid1(VALU_DEP_3)
	v_add_f64_e32 v[26:27], v[46:47], v[46:47]
	v_cmp_eq_u32_e32 vcc_lo, 0, v5
	s_delay_alu instid0(VALU_DEP_4) | instskip(NEXT) | instid1(VALU_DEP_1)
	v_fma_f64 v[28:29], v[44:45], v[44:45], -v[24:25]
	v_fmac_f64_e32 v[28:29], v[44:45], v[26:27]
	s_delay_alu instid0(VALU_DEP_1) | instskip(NEXT) | instid1(VALU_DEP_1)
	v_add_f64_e32 v[24:25], v[24:25], v[28:29]
	v_fmamk_f64 v[26:27], v[24:25], 0x3ef5e089c751c08c, v[18:19]
	s_delay_alu instid0(VALU_DEP_1) | instskip(NEXT) | instid1(VALU_DEP_1)
	v_fmaak_f64 v[26:27], v[24:25], v[26:27], 0x3f17746f90a8aae0
	v_fmaak_f64 v[26:27], v[24:25], v[26:27], 0xbefbb44da6fbf144
	s_delay_alu instid0(VALU_DEP_1) | instskip(NEXT) | instid1(VALU_DEP_1)
	v_fmaak_f64 v[26:27], v[24:25], v[26:27], 0x3f21e634a7943acf
	v_fmaak_f64 v[26:27], v[24:25], v[26:27], 0x3f2d250fdeb68feb
	;; [unrolled: 3-line block ×6, first 2 shown]
	s_delay_alu instid0(VALU_DEP_1) | instskip(NEXT) | instid1(VALU_DEP_1)
	v_mul_f64_e32 v[24:25], v[24:25], v[26:27]
	v_mul_f64_e32 v[26:27], v[44:45], v[24:25]
	s_delay_alu instid0(VALU_DEP_1) | instskip(SKIP_1) | instid1(VALU_DEP_2)
	v_add_f64_e32 v[28:29], v[44:45], v[26:27]
	v_fma_f64 v[24:25], v[44:45], v[24:25], -v[26:27]
	v_add_f64_e64 v[30:31], v[28:29], -v[44:45]
	s_delay_alu instid0(VALU_DEP_2) | instskip(NEXT) | instid1(VALU_DEP_2)
	v_add_f64_e32 v[24:25], v[46:47], v[24:25]
	v_add_f64_e64 v[26:27], v[26:27], -v[30:31]
	s_delay_alu instid0(VALU_DEP_1) | instskip(NEXT) | instid1(VALU_DEP_1)
	v_add_f64_e32 v[24:25], v[24:25], v[26:27]
	v_add_f64_e32 v[26:27], v[28:29], v[24:25]
	s_delay_alu instid0(VALU_DEP_1) | instskip(SKIP_1) | instid1(VALU_DEP_1)
	v_rcp_f64_e32 v[30:31], v[26:27]
	v_add_f64_e64 v[28:29], v[26:27], -v[28:29]
	v_add_f64_e64 v[24:25], v[24:25], -v[28:29]
	s_delay_alu instid0(TRANS32_DEP_1) | instskip(NEXT) | instid1(VALU_DEP_1)
	v_fma_f64 v[32:33], -v[26:27], v[30:31], 1.0
	v_fmac_f64_e32 v[30:31], v[32:33], v[30:31]
	s_delay_alu instid0(VALU_DEP_1) | instskip(NEXT) | instid1(VALU_DEP_1)
	v_fma_f64 v[32:33], -v[26:27], v[30:31], 1.0
	v_fmac_f64_e32 v[30:31], v[32:33], v[30:31]
	s_delay_alu instid0(VALU_DEP_1) | instskip(NEXT) | instid1(VALU_DEP_1)
	v_mul_f64_e32 v[32:33], v[26:27], v[30:31]
	v_fma_f64 v[28:29], v[30:31], v[26:27], -v[32:33]
	s_delay_alu instid0(VALU_DEP_1) | instskip(NEXT) | instid1(VALU_DEP_1)
	v_fmac_f64_e32 v[28:29], v[30:31], v[24:25]
	v_add_f64_e32 v[24:25], v[32:33], v[28:29]
	s_delay_alu instid0(VALU_DEP_1) | instskip(SKIP_1) | instid1(VALU_DEP_2)
	v_add_f64_e64 v[34:35], -v[24:25], 1.0
	v_add_f64_e64 v[32:33], v[24:25], -v[32:33]
	v_add_f64_e64 v[36:37], -v[34:35], 1.0
	s_delay_alu instid0(VALU_DEP_2) | instskip(NEXT) | instid1(VALU_DEP_2)
	v_add_f64_e64 v[28:29], v[32:33], -v[28:29]
	v_add_f64_e64 v[24:25], v[36:37], -v[24:25]
	s_delay_alu instid0(VALU_DEP_1) | instskip(NEXT) | instid1(VALU_DEP_1)
	v_add_f64_e32 v[24:25], v[28:29], v[24:25]
	v_add_f64_e32 v[24:25], v[34:35], v[24:25]
	s_delay_alu instid0(VALU_DEP_1) | instskip(NEXT) | instid1(VALU_DEP_1)
	v_mul_f64_e32 v[24:25], v[30:31], v[24:25]
	v_add_f64_e32 v[24:25], v[30:31], v[24:25]
	s_delay_alu instid0(VALU_DEP_1) | instskip(NEXT) | instid1(VALU_DEP_1)
	v_xor_b32_e32 v22, 0x80000000, v25
	v_dual_cndmask_b32 v5, v24, v26 :: v_dual_cndmask_b32 v22, v22, v27
	s_delay_alu instid0(VALU_DEP_1) | instskip(NEXT) | instid1(VALU_DEP_2)
	v_bitop3_b32 v23, v22, v23, 0x80000000 bitop3:0x78
	v_cndmask_b32_e64 v22, 0, v5, s2
	s_delay_alu instid0(VALU_DEP_2)
	v_cndmask_b32_e64 v23, 0x7ff80000, v23, s2
	global_store_b64 v[20:21], v[22:23], off
	s_branch .LBB97_3
.LBB97_36:
	s_cbranch_execz .LBB97_38
	s_branch .LBB97_57
.LBB97_37:
.LBB97_38:
	v_min_i64 v[10:11], 0x10000, s[10:11]
	v_dual_mov_b32 v12, 0 :: v_dual_lshlrev_b32 v2, 2, v0
	s_mov_b32 s2, exec_lo
	s_delay_alu instid0(VALU_DEP_1) | instskip(NEXT) | instid1(VALU_DEP_1)
	v_mov_b32_e32 v3, v12
	v_cmpx_lt_i64_e64 v[2:3], v[10:11]
	s_cbranch_execz .LBB97_57
; %bb.39:
	s_load_b32 s2, s[0:1], 0xd3c
	v_dual_mov_b32 v3, v12 :: v_dual_lshlrev_b32 v2, 5, v0
	s_wait_xcnt 0x0
	s_add_nc_u64 s[0:1], s[6:7], s[8:9]
	v_mov_b64_e32 v[14:15], 0xbf078809a9a29f71
	v_mov_b32_e32 v1, v12
	s_mov_b32 s15, 0
	v_add_nc_u64_e32 v[2:3], s[0:1], v[2:3]
	s_mov_b64 s[8:9], 0x3ff921fb54442d18
	s_mov_b64 s[10:11], 0x3fe45f306dc9c883
	;; [unrolled: 1-line block ×3, first 2 shown]
	s_mov_b32 s17, s15
	s_mov_b32 s7, s15
	s_delay_alu instid0(VALU_DEP_1) | instskip(SKIP_2) | instid1(SALU_CYCLE_1)
	v_add_nc_u64_e32 v[16:17], 16, v[2:3]
                                        ; implicit-def: $vgpr2_vgpr3
                                        ; implicit-def: $vgpr2_vgpr3
	;; [unrolled: 1-line block ×12, first 2 shown]
	s_wait_kmcnt 0x0
	s_and_b32 s14, s2, 0xffff
	s_lshl_b32 s16, s14, 5
	s_branch .LBB97_41
.LBB97_40:                              ;   in Loop: Header=BB97_41 Depth=1
	s_or_b32 exec_lo, exec_lo, s0
	v_mul_f64_e32 v[34:35], v[28:29], v[28:29]
	v_mul_f64_e32 v[42:43], v[20:21], v[20:21]
	v_cmp_class_f64_e64 s2, v[4:5], 0x1f8
	v_mul_f64_e32 v[44:45], v[32:33], v[32:33]
	v_dual_add_f64 v[46:47], v[26:27], v[26:27] :: v_dual_bitop2_b32 v13, 1, v40 bitop3:0x40
	v_mul_f64_e32 v[36:37], v[24:25], v[24:25]
	v_add_f64_e32 v[54:55], v[18:19], v[18:19]
	v_cmp_class_f64_e64 s0, v[6:7], 0x1f8
	v_add_f64_e32 v[58:59], v[30:31], v[30:31]
	v_add_f64_e32 v[50:51], v[22:23], v[22:23]
	v_cmp_eq_u32_e32 vcc_lo, 0, v13
	v_cmp_class_f64_e64 s4, v[2:3], 0x1f8
	v_cmp_class_f64_e64 s6, v[8:9], 0x1f8
	v_add_nc_u64_e32 v[0:1], s[14:15], v[0:1]
	v_fma_f64 v[48:49], v[28:29], v[28:29], -v[34:35]
	v_fma_f64 v[56:57], v[20:21], v[20:21], -v[42:43]
	;; [unrolled: 1-line block ×4, first 2 shown]
	s_delay_alu instid0(VALU_DEP_4) | instskip(NEXT) | instid1(VALU_DEP_4)
	v_fmac_f64_e32 v[48:49], v[28:29], v[46:47]
	v_fmac_f64_e32 v[56:57], v[20:21], v[54:55]
	s_delay_alu instid0(VALU_DEP_4) | instskip(NEXT) | instid1(VALU_DEP_4)
	v_fmac_f64_e32 v[60:61], v[32:33], v[58:59]
	v_fmac_f64_e32 v[52:53], v[24:25], v[50:51]
	s_delay_alu instid0(VALU_DEP_4) | instskip(NEXT) | instid1(VALU_DEP_4)
	v_add_f64_e32 v[34:35], v[34:35], v[48:49]
	v_add_f64_e32 v[42:43], v[42:43], v[56:57]
	s_delay_alu instid0(VALU_DEP_4) | instskip(NEXT) | instid1(VALU_DEP_4)
	v_add_f64_e32 v[44:45], v[44:45], v[60:61]
	v_add_f64_e32 v[36:37], v[36:37], v[52:53]
	s_delay_alu instid0(VALU_DEP_4) | instskip(NEXT) | instid1(VALU_DEP_4)
	v_fmamk_f64 v[46:47], v[34:35], 0x3ef5e089c751c08c, v[14:15]
	v_fmamk_f64 v[50:51], v[42:43], 0x3ef5e089c751c08c, v[14:15]
	s_delay_alu instid0(VALU_DEP_4) | instskip(NEXT) | instid1(VALU_DEP_4)
	v_fmamk_f64 v[52:53], v[44:45], 0x3ef5e089c751c08c, v[14:15]
	v_fmamk_f64 v[48:49], v[36:37], 0x3ef5e089c751c08c, v[14:15]
	s_delay_alu instid0(VALU_DEP_4) | instskip(NEXT) | instid1(VALU_DEP_4)
	v_fmaak_f64 v[46:47], v[34:35], v[46:47], 0x3f17746f90a8aae0
	v_fmaak_f64 v[50:51], v[42:43], v[50:51], 0x3f17746f90a8aae0
	s_delay_alu instid0(VALU_DEP_4) | instskip(NEXT) | instid1(VALU_DEP_4)
	v_fmaak_f64 v[52:53], v[44:45], v[52:53], 0x3f17746f90a8aae0
	v_fmaak_f64 v[48:49], v[36:37], v[48:49], 0x3f17746f90a8aae0
	;; [unrolled: 3-line block ×23, first 2 shown]
	s_delay_alu instid0(VALU_DEP_3) | instskip(NEXT) | instid1(VALU_DEP_3)
	v_fmaak_f64 v[48:49], v[36:37], v[48:49], 0x3fd55555555554ee
	v_mul_f64_e32 v[34:35], v[34:35], v[46:47]
	v_fmaak_f64 v[46:47], v[44:45], v[52:53], 0x3fd55555555554ee
	s_delay_alu instid0(VALU_DEP_4) | instskip(NEXT) | instid1(VALU_DEP_4)
	v_mul_f64_e32 v[42:43], v[42:43], v[50:51]
	v_mul_f64_e32 v[36:37], v[36:37], v[48:49]
	s_delay_alu instid0(VALU_DEP_3) | instskip(NEXT) | instid1(VALU_DEP_3)
	v_mul_f64_e32 v[44:45], v[44:45], v[46:47]
	v_mul_f64_e32 v[50:51], v[20:21], v[42:43]
	s_delay_alu instid0(VALU_DEP_3) | instskip(NEXT) | instid1(VALU_DEP_3)
	v_mul_f64_e32 v[48:49], v[24:25], v[36:37]
	v_mul_f64_e32 v[52:53], v[32:33], v[44:45]
	s_delay_alu instid0(VALU_DEP_3) | instskip(SKIP_1) | instid1(VALU_DEP_4)
	v_add_f64_e32 v[58:59], v[20:21], v[50:51]
	v_fma_f64 v[42:43], v[20:21], v[42:43], -v[50:51]
	v_add_f64_e32 v[56:57], v[24:25], v[48:49]
	v_fma_f64 v[36:37], v[24:25], v[36:37], -v[48:49]
	;; [unrolled: 2-line block ×3, first 2 shown]
	v_add_f64_e64 v[20:21], v[58:59], -v[20:21]
	v_add_f64_e32 v[18:19], v[18:19], v[42:43]
	v_add_f64_e64 v[24:25], v[56:57], -v[24:25]
	v_add_f64_e32 v[22:23], v[22:23], v[36:37]
	;; [unrolled: 2-line block ×3, first 2 shown]
	v_add_f64_e64 v[20:21], v[50:51], -v[20:21]
	v_add_f64_e64 v[24:25], v[48:49], -v[24:25]
	s_delay_alu instid0(VALU_DEP_4) | instskip(NEXT) | instid1(VALU_DEP_3)
	v_add_f64_e64 v[32:33], v[52:53], -v[32:33]
	v_add_f64_e32 v[18:19], v[18:19], v[20:21]
	s_delay_alu instid0(VALU_DEP_3) | instskip(NEXT) | instid1(VALU_DEP_3)
	v_add_f64_e32 v[22:23], v[22:23], v[24:25]
	v_add_f64_e32 v[20:21], v[30:31], v[32:33]
	s_delay_alu instid0(VALU_DEP_3) | instskip(NEXT) | instid1(VALU_DEP_2)
	v_add_f64_e32 v[30:31], v[58:59], v[18:19]
	v_add_f64_e32 v[32:33], v[60:61], v[20:21]
	v_mul_f64_e32 v[46:47], v[28:29], v[34:35]
	s_delay_alu instid0(VALU_DEP_3) | instskip(NEXT) | instid1(VALU_DEP_2)
	v_rcp_f64_e32 v[42:43], v[30:31]
	v_rcp_f64_e32 v[44:45], v[32:33]
	s_delay_alu instid0(VALU_DEP_1) | instskip(SKIP_1) | instid1(TRANS32_DEP_2)
	v_add_f64_e32 v[54:55], v[28:29], v[46:47]
	v_fma_f64 v[34:35], v[28:29], v[34:35], -v[46:47]
	v_fma_f64 v[50:51], -v[30:31], v[42:43], 1.0
	s_delay_alu instid0(VALU_DEP_3) | instskip(NEXT) | instid1(VALU_DEP_3)
	v_add_f64_e64 v[28:29], v[54:55], -v[28:29]
	v_add_f64_e32 v[26:27], v[26:27], v[34:35]
	s_delay_alu instid0(TRANS32_DEP_1) | instskip(NEXT) | instid1(VALU_DEP_4)
	v_fma_f64 v[52:53], -v[32:33], v[44:45], 1.0
	v_fmac_f64_e32 v[42:43], v[50:51], v[42:43]
	s_delay_alu instid0(VALU_DEP_4) | instskip(NEXT) | instid1(VALU_DEP_3)
	v_add_f64_e64 v[28:29], v[46:47], -v[28:29]
	v_fmac_f64_e32 v[44:45], v[52:53], v[44:45]
	s_delay_alu instid0(VALU_DEP_3) | instskip(NEXT) | instid1(VALU_DEP_3)
	v_fma_f64 v[50:51], -v[30:31], v[42:43], 1.0
	v_add_f64_e32 v[26:27], v[26:27], v[28:29]
	v_add_f64_e32 v[28:29], v[56:57], v[22:23]
	s_delay_alu instid0(VALU_DEP_4) | instskip(NEXT) | instid1(VALU_DEP_4)
	v_fma_f64 v[52:53], -v[32:33], v[44:45], 1.0
	v_fmac_f64_e32 v[42:43], v[50:51], v[42:43]
	s_delay_alu instid0(VALU_DEP_4) | instskip(NEXT) | instid1(VALU_DEP_4)
	v_add_f64_e32 v[24:25], v[54:55], v[26:27]
	v_rcp_f64_e32 v[36:37], v[28:29]
	v_add_f64_e64 v[50:51], v[28:29], -v[56:57]
	s_delay_alu instid0(VALU_DEP_4) | instskip(NEXT) | instid1(VALU_DEP_4)
	v_fmac_f64_e32 v[44:45], v[52:53], v[44:45]
	v_mul_f64_e32 v[56:57], v[30:31], v[42:43]
	s_delay_alu instid0(VALU_DEP_4) | instskip(NEXT) | instid1(VALU_DEP_3)
	v_rcp_f64_e32 v[34:35], v[24:25]
	v_add_f64_e64 v[22:23], v[22:23], -v[50:51]
	s_delay_alu instid0(TRANS32_DEP_2) | instskip(NEXT) | instid1(TRANS32_DEP_1)
	v_fma_f64 v[48:49], -v[28:29], v[36:37], 1.0
	v_fma_f64 v[46:47], -v[24:25], v[34:35], 1.0
	s_delay_alu instid0(VALU_DEP_2) | instskip(NEXT) | instid1(VALU_DEP_2)
	v_fmac_f64_e32 v[36:37], v[48:49], v[36:37]
	v_fmac_f64_e32 v[34:35], v[46:47], v[34:35]
	s_delay_alu instid0(VALU_DEP_2) | instskip(NEXT) | instid1(VALU_DEP_2)
	v_fma_f64 v[48:49], -v[28:29], v[36:37], 1.0
	v_fma_f64 v[46:47], -v[24:25], v[34:35], 1.0
	s_delay_alu instid0(VALU_DEP_2) | instskip(NEXT) | instid1(VALU_DEP_2)
	v_fmac_f64_e32 v[36:37], v[48:49], v[36:37]
	v_fmac_f64_e32 v[34:35], v[46:47], v[34:35]
	v_add_f64_e64 v[46:47], v[24:25], -v[54:55]
	s_delay_alu instid0(VALU_DEP_3)
	v_mul_f64_e32 v[52:53], v[28:29], v[36:37]
	v_add_f64_e64 v[54:55], v[30:31], -v[58:59]
	v_add_f64_e64 v[58:59], v[32:33], -v[60:61]
	v_mul_f64_e32 v[60:61], v[32:33], v[44:45]
	v_mul_f64_e32 v[48:49], v[24:25], v[34:35]
	v_add_f64_e64 v[26:27], v[26:27], -v[46:47]
	v_fma_f64 v[50:51], v[36:37], v[28:29], -v[52:53]
	v_add_f64_e64 v[18:19], v[18:19], -v[54:55]
	v_fma_f64 v[54:55], v[42:43], v[30:31], -v[56:57]
	;; [unrolled: 2-line block ×3, first 2 shown]
	v_fma_f64 v[46:47], v[34:35], v[24:25], -v[48:49]
	v_fmac_f64_e32 v[50:51], v[36:37], v[22:23]
	v_fmac_f64_e32 v[54:55], v[42:43], v[18:19]
	s_delay_alu instid0(VALU_DEP_4) | instskip(NEXT) | instid1(VALU_DEP_4)
	v_fmac_f64_e32 v[58:59], v[44:45], v[20:21]
	v_fmac_f64_e32 v[46:47], v[34:35], v[26:27]
	s_delay_alu instid0(VALU_DEP_4) | instskip(NEXT) | instid1(VALU_DEP_4)
	v_add_f64_e32 v[20:21], v[52:53], v[50:51]
	v_add_f64_e32 v[22:23], v[56:57], v[54:55]
	s_delay_alu instid0(VALU_DEP_4) | instskip(NEXT) | instid1(VALU_DEP_4)
	v_add_f64_e32 v[26:27], v[60:61], v[58:59]
	v_add_f64_e32 v[18:19], v[48:49], v[46:47]
	s_delay_alu instid0(VALU_DEP_4)
	v_add_f64_e64 v[64:65], -v[20:21], 1.0
	v_add_f64_e64 v[52:53], v[20:21], -v[52:53]
	v_add_f64_e64 v[66:67], -v[22:23], 1.0
	v_add_f64_e64 v[56:57], v[22:23], -v[56:57]
	;; [unrolled: 2-line block ×4, first 2 shown]
	v_add_f64_e64 v[72:73], -v[64:65], 1.0
	v_add_f64_e64 v[74:75], -v[66:67], 1.0
	;; [unrolled: 1-line block ×4, first 2 shown]
	v_add_f64_e64 v[46:47], v[48:49], -v[46:47]
	v_add_f64_e64 v[48:49], v[52:53], -v[50:51]
	;; [unrolled: 1-line block ×8, first 2 shown]
	v_add_f64_e32 v[20:21], v[48:49], v[20:21]
	v_add_f64_e32 v[22:23], v[50:51], v[22:23]
	s_delay_alu instid0(VALU_DEP_4) | instskip(NEXT) | instid1(VALU_DEP_4)
	v_add_f64_e32 v[26:27], v[52:53], v[26:27]
	v_add_f64_e32 v[18:19], v[46:47], v[18:19]
	s_delay_alu instid0(VALU_DEP_4) | instskip(NEXT) | instid1(VALU_DEP_4)
	;; [unrolled: 3-line block ×4, first 2 shown]
	v_mul_f64_e32 v[20:21], v[36:37], v[20:21]
	v_mul_f64_e32 v[22:23], v[42:43], v[22:23]
	s_delay_alu instid0(VALU_DEP_4) | instskip(NEXT) | instid1(VALU_DEP_4)
	v_mul_f64_e32 v[26:27], v[44:45], v[26:27]
	v_mul_f64_e32 v[18:19], v[34:35], v[18:19]
	s_delay_alu instid0(VALU_DEP_4) | instskip(NEXT) | instid1(VALU_DEP_4)
	v_add_f64_e32 v[20:21], v[36:37], v[20:21]
	v_dual_add_f64 v[22:23], v[42:43], v[22:23] :: v_dual_bitop2_b32 v36, 1, v41 bitop3:0x40
	s_delay_alu instid0(VALU_DEP_4) | instskip(NEXT) | instid1(VALU_DEP_2)
	v_add_f64_e32 v[26:27], v[44:45], v[26:27]
	v_cmp_eq_u32_e64 s5, 0, v36
	v_add_f64_e32 v[18:19], v[34:35], v[18:19]
	v_and_b32_e32 v35, 1, v38
	v_and_b32_e32 v34, 1, v39
	v_xor_b32_e32 v8, 0x80000000, v21
	v_xor_b32_e32 v21, 0x80000000, v23
	s_delay_alu instid0(VALU_DEP_4) | instskip(NEXT) | instid1(VALU_DEP_4)
	v_cmp_eq_u32_e64 s3, 0, v35
	v_cmp_eq_u32_e64 s1, 0, v34
	s_delay_alu instid0(VALU_DEP_2) | instskip(SKIP_1) | instid1(VALU_DEP_3)
	v_cndmask_b32_e64 v4, v22, v30, s3
	v_xor_b32_e32 v22, 0x80000000, v27
	v_dual_cndmask_b32 v21, v21, v31, s3 :: v_dual_cndmask_b32 v6, v20, v28, s1
	v_cndmask_b32_e64 v20, v26, v32, s5
	s_delay_alu instid0(VALU_DEP_3) | instskip(SKIP_3) | instid1(VALU_DEP_2)
	v_cndmask_b32_e64 v22, v22, v33, s5
	v_cndmask_b32_e32 v13, v18, v24, vcc_lo
	v_xor_b32_e32 v2, 0x80000000, v19
	v_lshlrev_b64_e32 v[18:19], 2, v[0:1]
	v_cndmask_b32_e32 v23, v2, v25, vcc_lo
	s_delay_alu instid0(VALU_DEP_4) | instskip(SKIP_2) | instid1(VALU_DEP_4)
	v_cndmask_b32_e64 v2, 0, v13, s0
	v_dual_cndmask_b32 v13, v8, v29, s1 :: v_dual_cndmask_b32 v8, 0, v6, s2
	v_cndmask_b32_e64 v6, 0, v4, s4
	v_bitop3_b32 v7, v23, v7, 0x80000000 bitop3:0x78
	v_cndmask_b32_e64 v4, 0, v20, s6
	s_delay_alu instid0(VALU_DEP_4)
	v_bitop3_b32 v5, v13, v5, 0x80000000 bitop3:0x78
	v_bitop3_b32 v13, v21, v3, 0x80000000 bitop3:0x78
	;; [unrolled: 1-line block ×3, first 2 shown]
	v_cndmask_b32_e64 v3, 0x7ff80000, v7, s0
	v_cmp_ge_i64_e32 vcc_lo, v[18:19], v[10:11]
	v_cndmask_b32_e64 v9, 0x7ff80000, v5, s2
	v_cndmask_b32_e64 v7, 0x7ff80000, v13, s4
	;; [unrolled: 1-line block ×3, first 2 shown]
	s_clause 0x1
	global_store_b128 v[16:17], v[6:9], off offset:-16
	global_store_b128 v[16:17], v[2:5], off
	s_wait_xcnt 0x0
	v_add_nc_u64_e32 v[16:17], s[16:17], v[16:17]
	s_or_b32 s7, vcc_lo, s7
	s_delay_alu instid0(SALU_CYCLE_1)
	s_and_not1_b32 exec_lo, exec_lo, s7
	s_cbranch_execz .LBB97_57
.LBB97_41:                              ; =>This Inner Loop Header: Depth=1
	s_clause 0x1
	global_load_b128 v[2:5], v[16:17], off offset:-16
	global_load_b128 v[6:9], v[16:17], off
                                        ; implicit-def: $vgpr38
                                        ; implicit-def: $vgpr20_vgpr21
                                        ; implicit-def: $vgpr18_vgpr19
	s_wait_loadcnt 0x1
	v_cmp_ngt_f64_e64 s0, 0x41d00000, |v[2:3]|
	s_wait_xcnt 0x0
	s_and_saveexec_b32 s1, s0
	s_delay_alu instid0(SALU_CYCLE_1)
	s_xor_b32 s0, exec_lo, s1
	s_cbranch_execz .LBB97_43
; %bb.42:                               ;   in Loop: Header=BB97_41 Depth=1
	v_ldexp_f64 v[18:19], |v[2:3]|, 0xffffff80
	v_cmp_le_f64_e64 vcc_lo, 0x7b000000, |v[2:3]|
	v_trig_preop_f64 v[20:21], |v[2:3]|, 0
	v_and_b32_e32 v13, 0x7fffffff, v3
	v_trig_preop_f64 v[22:23], |v[2:3]|, 1
	v_trig_preop_f64 v[32:33], |v[2:3]|, 2
	s_delay_alu instid0(VALU_DEP_3) | instskip(NEXT) | instid1(VALU_DEP_1)
	v_dual_cndmask_b32 v19, v13, v19 :: v_dual_cndmask_b32 v18, v2, v18
	v_mul_f64_e32 v[24:25], v[20:21], v[18:19]
	s_delay_alu instid0(VALU_DEP_4) | instskip(NEXT) | instid1(VALU_DEP_4)
	v_mul_f64_e32 v[26:27], v[22:23], v[18:19]
	v_mul_f64_e32 v[38:39], v[32:33], v[18:19]
	s_delay_alu instid0(VALU_DEP_3) | instskip(NEXT) | instid1(VALU_DEP_3)
	v_fma_f64 v[20:21], v[20:21], v[18:19], -v[24:25]
	v_fma_f64 v[22:23], v[22:23], v[18:19], -v[26:27]
	s_delay_alu instid0(VALU_DEP_3) | instskip(NEXT) | instid1(VALU_DEP_3)
	v_fma_f64 v[18:19], v[32:33], v[18:19], -v[38:39]
	v_add_f64_e32 v[28:29], v[26:27], v[20:21]
	s_delay_alu instid0(VALU_DEP_1) | instskip(SKIP_1) | instid1(VALU_DEP_2)
	v_add_f64_e64 v[30:31], v[28:29], -v[26:27]
	v_add_f64_e32 v[36:37], v[24:25], v[28:29]
	v_add_f64_e64 v[34:35], v[28:29], -v[30:31]
	v_add_f64_e64 v[20:21], v[20:21], -v[30:31]
	s_delay_alu instid0(VALU_DEP_3) | instskip(NEXT) | instid1(VALU_DEP_3)
	v_ldexp_f64 v[30:31], v[36:37], -2
	v_add_f64_e64 v[26:27], v[26:27], -v[34:35]
	v_add_f64_e32 v[34:35], v[38:39], v[22:23]
	s_delay_alu instid0(VALU_DEP_3) | instskip(NEXT) | instid1(VALU_DEP_3)
	v_cmp_neq_f64_e64 vcc_lo, 0x7ff00000, |v[30:31]|
	v_add_f64_e32 v[20:21], v[20:21], v[26:27]
	v_fract_f64_e32 v[26:27], v[30:31]
	s_delay_alu instid0(VALU_DEP_1) | instskip(NEXT) | instid1(VALU_DEP_1)
	v_ldexp_f64 v[26:27], v[26:27], 2
	v_dual_add_f64 v[24:25], v[36:37], -v[24:25] :: v_dual_cndmask_b32 v26, 0, v26, vcc_lo
	s_delay_alu instid0(VALU_DEP_1) | instskip(SKIP_1) | instid1(VALU_DEP_1)
	v_dual_add_f64 v[24:25], v[28:29], -v[24:25] :: v_dual_cndmask_b32 v27, 0, v27, vcc_lo
	v_add_f64_e32 v[28:29], v[34:35], v[20:21]
	v_add_f64_e32 v[30:31], v[24:25], v[28:29]
	v_add_f64_e64 v[40:41], v[28:29], -v[34:35]
	s_delay_alu instid0(VALU_DEP_2) | instskip(NEXT) | instid1(VALU_DEP_2)
	v_add_f64_e32 v[36:37], v[30:31], v[26:27]
	v_add_f64_e64 v[46:47], v[28:29], -v[40:41]
	v_add_f64_e64 v[20:21], v[20:21], -v[40:41]
	v_add_f64_e64 v[24:25], v[30:31], -v[24:25]
	s_delay_alu instid0(VALU_DEP_4) | instskip(SKIP_1) | instid1(VALU_DEP_3)
	v_cmp_gt_f64_e32 vcc_lo, 0, v[36:37]
	v_add_f64_e64 v[36:37], v[34:35], -v[38:39]
	v_add_f64_e64 v[24:25], v[28:29], -v[24:25]
	v_cndmask_b32_e64 v13, 0, 0x40100000, vcc_lo
	s_delay_alu instid0(VALU_DEP_3) | instskip(SKIP_2) | instid1(VALU_DEP_4)
	v_add_f64_e64 v[44:45], v[34:35], -v[36:37]
	v_add_f64_e64 v[22:23], v[22:23], -v[36:37]
	;; [unrolled: 1-line block ×3, first 2 shown]
	v_add_f64_e32 v[26:27], v[26:27], v[12:13]
	s_delay_alu instid0(VALU_DEP_4) | instskip(NEXT) | instid1(VALU_DEP_3)
	v_add_f64_e64 v[36:37], v[38:39], -v[44:45]
	v_add_f64_e32 v[20:21], v[20:21], v[34:35]
	s_delay_alu instid0(VALU_DEP_3) | instskip(NEXT) | instid1(VALU_DEP_3)
	v_add_f64_e32 v[42:43], v[30:31], v[26:27]
	v_add_f64_e32 v[22:23], v[22:23], v[36:37]
	s_delay_alu instid0(VALU_DEP_2) | instskip(NEXT) | instid1(VALU_DEP_2)
	v_cvt_i32_f64_e32 v13, v[42:43]
	v_add_f64_e32 v[20:21], v[22:23], v[20:21]
	s_delay_alu instid0(VALU_DEP_2) | instskip(NEXT) | instid1(VALU_DEP_2)
	v_cvt_f64_i32_e32 v[40:41], v13
	v_add_f64_e32 v[18:19], v[18:19], v[20:21]
	s_delay_alu instid0(VALU_DEP_2) | instskip(NEXT) | instid1(VALU_DEP_2)
	v_add_f64_e64 v[26:27], v[26:27], -v[40:41]
	v_add_f64_e32 v[18:19], v[24:25], v[18:19]
	s_delay_alu instid0(VALU_DEP_2) | instskip(NEXT) | instid1(VALU_DEP_1)
	v_add_f64_e32 v[22:23], v[30:31], v[26:27]
	v_add_f64_e64 v[20:21], v[22:23], -v[26:27]
	v_cmp_le_f64_e32 vcc_lo, 0.5, v[22:23]
	s_delay_alu instid0(VALU_DEP_2) | instskip(SKIP_2) | instid1(VALU_DEP_3)
	v_add_f64_e64 v[20:21], v[30:31], -v[20:21]
	v_add_co_ci_u32_e64 v38, null, 0, v13, vcc_lo
	v_cndmask_b32_e64 v13, 0, 0x3ff00000, vcc_lo
	v_add_f64_e32 v[18:19], v[18:19], v[20:21]
	s_delay_alu instid0(VALU_DEP_2) | instskip(NEXT) | instid1(VALU_DEP_1)
	v_add_f64_e64 v[20:21], v[22:23], -v[12:13]
	v_add_f64_e32 v[22:23], v[20:21], v[18:19]
	s_delay_alu instid0(VALU_DEP_1) | instskip(SKIP_1) | instid1(VALU_DEP_2)
	v_mul_f64_e32 v[24:25], 0x3ff921fb54442d18, v[22:23]
	v_add_f64_e64 v[20:21], v[22:23], -v[20:21]
	v_fma_f64 v[26:27], v[22:23], s[8:9], -v[24:25]
	s_delay_alu instid0(VALU_DEP_2) | instskip(NEXT) | instid1(VALU_DEP_2)
	v_add_f64_e64 v[18:19], v[18:19], -v[20:21]
	v_fmac_f64_e32 v[26:27], 0x3c91a62633145c07, v[22:23]
	s_delay_alu instid0(VALU_DEP_1) | instskip(NEXT) | instid1(VALU_DEP_1)
	v_fmac_f64_e32 v[26:27], 0x3ff921fb54442d18, v[18:19]
	v_add_f64_e32 v[20:21], v[24:25], v[26:27]
	s_delay_alu instid0(VALU_DEP_1) | instskip(NEXT) | instid1(VALU_DEP_1)
	v_add_f64_e64 v[18:19], v[20:21], -v[24:25]
	v_add_f64_e64 v[18:19], v[26:27], -v[18:19]
.LBB97_43:                              ;   in Loop: Header=BB97_41 Depth=1
	s_and_not1_saveexec_b32 s0, s0
	s_cbranch_execz .LBB97_45
; %bb.44:                               ;   in Loop: Header=BB97_41 Depth=1
	v_mul_f64_e64 v[18:19], |v[2:3]|, s[10:11]
	s_delay_alu instid0(VALU_DEP_1) | instskip(NEXT) | instid1(VALU_DEP_1)
	v_rndne_f64_e32 v[22:23], v[18:19]
	v_fma_f64 v[18:19], v[22:23], s[12:13], |v[2:3]|
	v_mul_f64_e32 v[20:21], 0xbc91a62633145c00, v[22:23]
	v_cvt_i32_f64_e32 v38, v[22:23]
	s_delay_alu instid0(VALU_DEP_2) | instskip(NEXT) | instid1(VALU_DEP_1)
	v_add_f64_e32 v[24:25], v[18:19], v[20:21]
	v_add_f64_e64 v[26:27], v[18:19], -v[24:25]
	v_fmamk_f64 v[18:19], v[22:23], 0xbc91a62633145c00, v[18:19]
	s_delay_alu instid0(VALU_DEP_1) | instskip(NEXT) | instid1(VALU_DEP_3)
	v_add_f64_e64 v[24:25], v[24:25], -v[18:19]
	v_add_f64_e32 v[26:27], v[26:27], v[20:21]
	v_fmamk_f64 v[20:21], v[22:23], 0x3c91a62633145c00, v[20:21]
	s_delay_alu instid0(VALU_DEP_2) | instskip(NEXT) | instid1(VALU_DEP_1)
	v_add_f64_e32 v[24:25], v[24:25], v[26:27]
	v_add_f64_e64 v[24:25], v[24:25], -v[20:21]
	s_delay_alu instid0(VALU_DEP_1) | instskip(NEXT) | instid1(VALU_DEP_1)
	v_fmac_f64_e32 v[24:25], 0xb97b839a252049c0, v[22:23]
	v_add_f64_e32 v[20:21], v[18:19], v[24:25]
	s_delay_alu instid0(VALU_DEP_1) | instskip(NEXT) | instid1(VALU_DEP_1)
	v_add_f64_e64 v[18:19], v[20:21], -v[18:19]
	v_add_f64_e64 v[18:19], v[24:25], -v[18:19]
.LBB97_45:                              ;   in Loop: Header=BB97_41 Depth=1
	s_or_b32 exec_lo, exec_lo, s0
	v_cmp_ngt_f64_e64 s0, 0x41d00000, |v[4:5]|
                                        ; implicit-def: $vgpr39
                                        ; implicit-def: $vgpr24_vgpr25
                                        ; implicit-def: $vgpr22_vgpr23
	s_and_saveexec_b32 s1, s0
	s_delay_alu instid0(SALU_CYCLE_1)
	s_xor_b32 s0, exec_lo, s1
	s_cbranch_execz .LBB97_47
; %bb.46:                               ;   in Loop: Header=BB97_41 Depth=1
	v_ldexp_f64 v[22:23], |v[4:5]|, 0xffffff80
	v_cmp_le_f64_e64 vcc_lo, 0x7b000000, |v[4:5]|
	v_trig_preop_f64 v[24:25], |v[4:5]|, 0
	v_and_b32_e32 v13, 0x7fffffff, v5
	v_trig_preop_f64 v[26:27], |v[4:5]|, 1
	v_trig_preop_f64 v[36:37], |v[4:5]|, 2
	s_delay_alu instid0(VALU_DEP_3) | instskip(NEXT) | instid1(VALU_DEP_1)
	v_dual_cndmask_b32 v23, v13, v23 :: v_dual_cndmask_b32 v22, v4, v22
	v_mul_f64_e32 v[28:29], v[24:25], v[22:23]
	s_delay_alu instid0(VALU_DEP_4) | instskip(NEXT) | instid1(VALU_DEP_4)
	v_mul_f64_e32 v[30:31], v[26:27], v[22:23]
	v_mul_f64_e32 v[44:45], v[36:37], v[22:23]
	s_delay_alu instid0(VALU_DEP_3) | instskip(NEXT) | instid1(VALU_DEP_3)
	v_fma_f64 v[24:25], v[24:25], v[22:23], -v[28:29]
	v_fma_f64 v[26:27], v[26:27], v[22:23], -v[30:31]
	s_delay_alu instid0(VALU_DEP_3) | instskip(NEXT) | instid1(VALU_DEP_3)
	v_fma_f64 v[22:23], v[36:37], v[22:23], -v[44:45]
	v_add_f64_e32 v[32:33], v[30:31], v[24:25]
	s_delay_alu instid0(VALU_DEP_1) | instskip(SKIP_1) | instid1(VALU_DEP_2)
	v_add_f64_e64 v[34:35], v[32:33], -v[30:31]
	v_add_f64_e32 v[42:43], v[28:29], v[32:33]
	v_add_f64_e64 v[40:41], v[32:33], -v[34:35]
	v_add_f64_e64 v[24:25], v[24:25], -v[34:35]
	s_delay_alu instid0(VALU_DEP_3) | instskip(NEXT) | instid1(VALU_DEP_3)
	v_ldexp_f64 v[34:35], v[42:43], -2
	v_add_f64_e64 v[30:31], v[30:31], -v[40:41]
	v_add_f64_e32 v[40:41], v[44:45], v[26:27]
	s_delay_alu instid0(VALU_DEP_3) | instskip(NEXT) | instid1(VALU_DEP_3)
	v_cmp_neq_f64_e64 vcc_lo, 0x7ff00000, |v[34:35]|
	v_add_f64_e32 v[24:25], v[24:25], v[30:31]
	v_fract_f64_e32 v[30:31], v[34:35]
	s_delay_alu instid0(VALU_DEP_1) | instskip(NEXT) | instid1(VALU_DEP_1)
	v_ldexp_f64 v[30:31], v[30:31], 2
	v_dual_add_f64 v[28:29], v[42:43], -v[28:29] :: v_dual_cndmask_b32 v30, 0, v30, vcc_lo
	s_delay_alu instid0(VALU_DEP_1) | instskip(SKIP_1) | instid1(VALU_DEP_1)
	v_dual_add_f64 v[28:29], v[32:33], -v[28:29] :: v_dual_cndmask_b32 v31, 0, v31, vcc_lo
	v_add_f64_e32 v[32:33], v[40:41], v[24:25]
	v_add_f64_e32 v[34:35], v[28:29], v[32:33]
	v_add_f64_e64 v[46:47], v[32:33], -v[40:41]
	s_delay_alu instid0(VALU_DEP_2) | instskip(NEXT) | instid1(VALU_DEP_2)
	v_add_f64_e32 v[42:43], v[34:35], v[30:31]
	v_add_f64_e64 v[52:53], v[32:33], -v[46:47]
	v_add_f64_e64 v[24:25], v[24:25], -v[46:47]
	;; [unrolled: 1-line block ×3, first 2 shown]
	s_delay_alu instid0(VALU_DEP_4) | instskip(SKIP_1) | instid1(VALU_DEP_3)
	v_cmp_gt_f64_e32 vcc_lo, 0, v[42:43]
	v_add_f64_e64 v[42:43], v[40:41], -v[44:45]
	v_add_f64_e64 v[28:29], v[32:33], -v[28:29]
	v_cndmask_b32_e64 v13, 0, 0x40100000, vcc_lo
	s_delay_alu instid0(VALU_DEP_3) | instskip(SKIP_2) | instid1(VALU_DEP_4)
	v_add_f64_e64 v[50:51], v[40:41], -v[42:43]
	v_add_f64_e64 v[26:27], v[26:27], -v[42:43]
	;; [unrolled: 1-line block ×3, first 2 shown]
	v_add_f64_e32 v[30:31], v[30:31], v[12:13]
	s_delay_alu instid0(VALU_DEP_4) | instskip(NEXT) | instid1(VALU_DEP_3)
	v_add_f64_e64 v[42:43], v[44:45], -v[50:51]
	v_add_f64_e32 v[24:25], v[24:25], v[40:41]
	s_delay_alu instid0(VALU_DEP_3) | instskip(NEXT) | instid1(VALU_DEP_3)
	v_add_f64_e32 v[48:49], v[34:35], v[30:31]
	v_add_f64_e32 v[26:27], v[26:27], v[42:43]
	s_delay_alu instid0(VALU_DEP_2) | instskip(NEXT) | instid1(VALU_DEP_2)
	v_cvt_i32_f64_e32 v13, v[48:49]
	v_add_f64_e32 v[24:25], v[26:27], v[24:25]
	s_delay_alu instid0(VALU_DEP_2) | instskip(NEXT) | instid1(VALU_DEP_2)
	v_cvt_f64_i32_e32 v[46:47], v13
	v_add_f64_e32 v[22:23], v[22:23], v[24:25]
	s_delay_alu instid0(VALU_DEP_2) | instskip(NEXT) | instid1(VALU_DEP_2)
	v_add_f64_e64 v[30:31], v[30:31], -v[46:47]
	v_add_f64_e32 v[22:23], v[28:29], v[22:23]
	s_delay_alu instid0(VALU_DEP_2) | instskip(NEXT) | instid1(VALU_DEP_1)
	v_add_f64_e32 v[26:27], v[34:35], v[30:31]
	v_add_f64_e64 v[24:25], v[26:27], -v[30:31]
	v_cmp_le_f64_e32 vcc_lo, 0.5, v[26:27]
	s_delay_alu instid0(VALU_DEP_2) | instskip(SKIP_2) | instid1(VALU_DEP_3)
	v_add_f64_e64 v[24:25], v[34:35], -v[24:25]
	v_add_co_ci_u32_e64 v39, null, 0, v13, vcc_lo
	v_cndmask_b32_e64 v13, 0, 0x3ff00000, vcc_lo
	v_add_f64_e32 v[22:23], v[22:23], v[24:25]
	s_delay_alu instid0(VALU_DEP_2) | instskip(NEXT) | instid1(VALU_DEP_1)
	v_add_f64_e64 v[24:25], v[26:27], -v[12:13]
	v_add_f64_e32 v[26:27], v[24:25], v[22:23]
	s_delay_alu instid0(VALU_DEP_1) | instskip(SKIP_1) | instid1(VALU_DEP_2)
	v_mul_f64_e32 v[28:29], 0x3ff921fb54442d18, v[26:27]
	v_add_f64_e64 v[24:25], v[26:27], -v[24:25]
	v_fma_f64 v[30:31], v[26:27], s[8:9], -v[28:29]
	s_delay_alu instid0(VALU_DEP_2) | instskip(NEXT) | instid1(VALU_DEP_2)
	v_add_f64_e64 v[22:23], v[22:23], -v[24:25]
	v_fmac_f64_e32 v[30:31], 0x3c91a62633145c07, v[26:27]
	s_delay_alu instid0(VALU_DEP_1) | instskip(NEXT) | instid1(VALU_DEP_1)
	v_fmac_f64_e32 v[30:31], 0x3ff921fb54442d18, v[22:23]
	v_add_f64_e32 v[24:25], v[28:29], v[30:31]
	s_delay_alu instid0(VALU_DEP_1) | instskip(NEXT) | instid1(VALU_DEP_1)
	v_add_f64_e64 v[22:23], v[24:25], -v[28:29]
	v_add_f64_e64 v[22:23], v[30:31], -v[22:23]
.LBB97_47:                              ;   in Loop: Header=BB97_41 Depth=1
	s_and_not1_saveexec_b32 s0, s0
	s_cbranch_execz .LBB97_49
; %bb.48:                               ;   in Loop: Header=BB97_41 Depth=1
	v_mul_f64_e64 v[22:23], |v[4:5]|, s[10:11]
	s_delay_alu instid0(VALU_DEP_1) | instskip(NEXT) | instid1(VALU_DEP_1)
	v_rndne_f64_e32 v[26:27], v[22:23]
	v_fma_f64 v[22:23], v[26:27], s[12:13], |v[4:5]|
	v_mul_f64_e32 v[24:25], 0xbc91a62633145c00, v[26:27]
	v_cvt_i32_f64_e32 v39, v[26:27]
	s_delay_alu instid0(VALU_DEP_2) | instskip(NEXT) | instid1(VALU_DEP_1)
	v_add_f64_e32 v[28:29], v[22:23], v[24:25]
	v_add_f64_e64 v[30:31], v[22:23], -v[28:29]
	v_fmamk_f64 v[22:23], v[26:27], 0xbc91a62633145c00, v[22:23]
	s_delay_alu instid0(VALU_DEP_1) | instskip(NEXT) | instid1(VALU_DEP_3)
	v_add_f64_e64 v[28:29], v[28:29], -v[22:23]
	v_add_f64_e32 v[30:31], v[30:31], v[24:25]
	v_fmamk_f64 v[24:25], v[26:27], 0x3c91a62633145c00, v[24:25]
	s_delay_alu instid0(VALU_DEP_2) | instskip(NEXT) | instid1(VALU_DEP_1)
	v_add_f64_e32 v[28:29], v[28:29], v[30:31]
	v_add_f64_e64 v[28:29], v[28:29], -v[24:25]
	s_delay_alu instid0(VALU_DEP_1) | instskip(NEXT) | instid1(VALU_DEP_1)
	v_fmac_f64_e32 v[28:29], 0xb97b839a252049c0, v[26:27]
	v_add_f64_e32 v[24:25], v[22:23], v[28:29]
	s_delay_alu instid0(VALU_DEP_1) | instskip(NEXT) | instid1(VALU_DEP_1)
	v_add_f64_e64 v[22:23], v[24:25], -v[22:23]
	v_add_f64_e64 v[22:23], v[28:29], -v[22:23]
.LBB97_49:                              ;   in Loop: Header=BB97_41 Depth=1
	s_or_b32 exec_lo, exec_lo, s0
	s_wait_loadcnt 0x0
	v_cmp_ngt_f64_e64 s0, 0x41d00000, |v[6:7]|
                                        ; implicit-def: $vgpr40
                                        ; implicit-def: $vgpr28_vgpr29
                                        ; implicit-def: $vgpr26_vgpr27
	s_and_saveexec_b32 s1, s0
	s_delay_alu instid0(SALU_CYCLE_1)
	s_xor_b32 s0, exec_lo, s1
	s_cbranch_execz .LBB97_51
; %bb.50:                               ;   in Loop: Header=BB97_41 Depth=1
	v_ldexp_f64 v[26:27], |v[6:7]|, 0xffffff80
	v_cmp_le_f64_e64 vcc_lo, 0x7b000000, |v[6:7]|
	v_trig_preop_f64 v[28:29], |v[6:7]|, 0
	v_and_b32_e32 v13, 0x7fffffff, v7
	v_trig_preop_f64 v[30:31], |v[6:7]|, 1
	v_trig_preop_f64 v[42:43], |v[6:7]|, 2
	s_delay_alu instid0(VALU_DEP_3) | instskip(NEXT) | instid1(VALU_DEP_1)
	v_dual_cndmask_b32 v27, v13, v27 :: v_dual_cndmask_b32 v26, v6, v26
	v_mul_f64_e32 v[32:33], v[28:29], v[26:27]
	s_delay_alu instid0(VALU_DEP_4) | instskip(NEXT) | instid1(VALU_DEP_4)
	v_mul_f64_e32 v[34:35], v[30:31], v[26:27]
	v_mul_f64_e32 v[48:49], v[42:43], v[26:27]
	s_delay_alu instid0(VALU_DEP_3) | instskip(NEXT) | instid1(VALU_DEP_3)
	v_fma_f64 v[28:29], v[28:29], v[26:27], -v[32:33]
	v_fma_f64 v[30:31], v[30:31], v[26:27], -v[34:35]
	s_delay_alu instid0(VALU_DEP_3) | instskip(NEXT) | instid1(VALU_DEP_3)
	v_fma_f64 v[26:27], v[42:43], v[26:27], -v[48:49]
	v_add_f64_e32 v[36:37], v[34:35], v[28:29]
	s_delay_alu instid0(VALU_DEP_1) | instskip(SKIP_1) | instid1(VALU_DEP_2)
	v_add_f64_e64 v[40:41], v[36:37], -v[34:35]
	v_add_f64_e32 v[46:47], v[32:33], v[36:37]
	v_add_f64_e64 v[44:45], v[36:37], -v[40:41]
	v_add_f64_e64 v[28:29], v[28:29], -v[40:41]
	s_delay_alu instid0(VALU_DEP_3) | instskip(SKIP_1) | instid1(VALU_DEP_4)
	v_ldexp_f64 v[40:41], v[46:47], -2
	v_add_f64_e64 v[32:33], v[46:47], -v[32:33]
	v_add_f64_e64 v[34:35], v[34:35], -v[44:45]
	v_add_f64_e32 v[44:45], v[48:49], v[30:31]
	s_delay_alu instid0(VALU_DEP_4) | instskip(NEXT) | instid1(VALU_DEP_3)
	v_cmp_neq_f64_e64 vcc_lo, 0x7ff00000, |v[40:41]|
	v_add_f64_e32 v[28:29], v[28:29], v[34:35]
	v_fract_f64_e32 v[34:35], v[40:41]
	s_delay_alu instid0(VALU_DEP_1) | instskip(NEXT) | instid1(VALU_DEP_1)
	v_ldexp_f64 v[34:35], v[34:35], 2
	v_dual_add_f64 v[32:33], v[36:37], -v[32:33] :: v_dual_cndmask_b32 v35, 0, v35, vcc_lo
	s_delay_alu instid0(VALU_DEP_2) | instskip(NEXT) | instid1(VALU_DEP_1)
	v_dual_add_f64 v[36:37], v[44:45], v[28:29] :: v_dual_cndmask_b32 v34, 0, v34, vcc_lo
	v_add_f64_e32 v[40:41], v[32:33], v[36:37]
	v_add_f64_e64 v[50:51], v[36:37], -v[44:45]
	s_delay_alu instid0(VALU_DEP_2) | instskip(NEXT) | instid1(VALU_DEP_2)
	v_add_f64_e32 v[46:47], v[40:41], v[34:35]
	v_add_f64_e64 v[56:57], v[36:37], -v[50:51]
	v_add_f64_e64 v[28:29], v[28:29], -v[50:51]
	;; [unrolled: 1-line block ×3, first 2 shown]
	s_delay_alu instid0(VALU_DEP_4) | instskip(SKIP_1) | instid1(VALU_DEP_3)
	v_cmp_gt_f64_e32 vcc_lo, 0, v[46:47]
	v_add_f64_e64 v[46:47], v[44:45], -v[48:49]
	v_add_f64_e64 v[32:33], v[36:37], -v[32:33]
	v_cndmask_b32_e64 v13, 0, 0x40100000, vcc_lo
	s_delay_alu instid0(VALU_DEP_3) | instskip(SKIP_2) | instid1(VALU_DEP_4)
	v_add_f64_e64 v[54:55], v[44:45], -v[46:47]
	v_add_f64_e64 v[30:31], v[30:31], -v[46:47]
	;; [unrolled: 1-line block ×3, first 2 shown]
	v_add_f64_e32 v[34:35], v[34:35], v[12:13]
	s_delay_alu instid0(VALU_DEP_4) | instskip(NEXT) | instid1(VALU_DEP_3)
	v_add_f64_e64 v[46:47], v[48:49], -v[54:55]
	v_add_f64_e32 v[28:29], v[28:29], v[44:45]
	s_delay_alu instid0(VALU_DEP_3) | instskip(NEXT) | instid1(VALU_DEP_3)
	v_add_f64_e32 v[52:53], v[40:41], v[34:35]
	v_add_f64_e32 v[30:31], v[30:31], v[46:47]
	s_delay_alu instid0(VALU_DEP_2) | instskip(NEXT) | instid1(VALU_DEP_2)
	v_cvt_i32_f64_e32 v13, v[52:53]
	v_add_f64_e32 v[28:29], v[30:31], v[28:29]
	s_delay_alu instid0(VALU_DEP_2) | instskip(NEXT) | instid1(VALU_DEP_2)
	v_cvt_f64_i32_e32 v[50:51], v13
	v_add_f64_e32 v[26:27], v[26:27], v[28:29]
	s_delay_alu instid0(VALU_DEP_2) | instskip(NEXT) | instid1(VALU_DEP_2)
	v_add_f64_e64 v[34:35], v[34:35], -v[50:51]
	v_add_f64_e32 v[26:27], v[32:33], v[26:27]
	s_delay_alu instid0(VALU_DEP_2) | instskip(NEXT) | instid1(VALU_DEP_1)
	v_add_f64_e32 v[30:31], v[40:41], v[34:35]
	v_add_f64_e64 v[28:29], v[30:31], -v[34:35]
	v_cmp_le_f64_e32 vcc_lo, 0.5, v[30:31]
	s_delay_alu instid0(VALU_DEP_2) | instskip(SKIP_2) | instid1(VALU_DEP_3)
	v_add_f64_e64 v[28:29], v[40:41], -v[28:29]
	v_add_co_ci_u32_e64 v40, null, 0, v13, vcc_lo
	v_cndmask_b32_e64 v13, 0, 0x3ff00000, vcc_lo
	v_add_f64_e32 v[26:27], v[26:27], v[28:29]
	s_delay_alu instid0(VALU_DEP_2) | instskip(NEXT) | instid1(VALU_DEP_1)
	v_add_f64_e64 v[28:29], v[30:31], -v[12:13]
	v_add_f64_e32 v[30:31], v[28:29], v[26:27]
	s_delay_alu instid0(VALU_DEP_1) | instskip(SKIP_1) | instid1(VALU_DEP_2)
	v_mul_f64_e32 v[32:33], 0x3ff921fb54442d18, v[30:31]
	v_add_f64_e64 v[28:29], v[30:31], -v[28:29]
	v_fma_f64 v[34:35], v[30:31], s[8:9], -v[32:33]
	s_delay_alu instid0(VALU_DEP_2) | instskip(NEXT) | instid1(VALU_DEP_2)
	v_add_f64_e64 v[26:27], v[26:27], -v[28:29]
	v_fmac_f64_e32 v[34:35], 0x3c91a62633145c07, v[30:31]
	s_delay_alu instid0(VALU_DEP_1) | instskip(NEXT) | instid1(VALU_DEP_1)
	v_fmac_f64_e32 v[34:35], 0x3ff921fb54442d18, v[26:27]
	v_add_f64_e32 v[28:29], v[32:33], v[34:35]
	s_delay_alu instid0(VALU_DEP_1) | instskip(NEXT) | instid1(VALU_DEP_1)
	v_add_f64_e64 v[26:27], v[28:29], -v[32:33]
	v_add_f64_e64 v[26:27], v[34:35], -v[26:27]
.LBB97_51:                              ;   in Loop: Header=BB97_41 Depth=1
	s_and_not1_saveexec_b32 s0, s0
	s_cbranch_execz .LBB97_53
; %bb.52:                               ;   in Loop: Header=BB97_41 Depth=1
	v_mul_f64_e64 v[26:27], |v[6:7]|, s[10:11]
	s_delay_alu instid0(VALU_DEP_1) | instskip(NEXT) | instid1(VALU_DEP_1)
	v_rndne_f64_e32 v[30:31], v[26:27]
	v_fma_f64 v[26:27], v[30:31], s[12:13], |v[6:7]|
	v_mul_f64_e32 v[28:29], 0xbc91a62633145c00, v[30:31]
	v_cvt_i32_f64_e32 v40, v[30:31]
	s_delay_alu instid0(VALU_DEP_2) | instskip(NEXT) | instid1(VALU_DEP_1)
	v_add_f64_e32 v[32:33], v[26:27], v[28:29]
	v_add_f64_e64 v[34:35], v[26:27], -v[32:33]
	v_fmamk_f64 v[26:27], v[30:31], 0xbc91a62633145c00, v[26:27]
	s_delay_alu instid0(VALU_DEP_1) | instskip(NEXT) | instid1(VALU_DEP_3)
	v_add_f64_e64 v[32:33], v[32:33], -v[26:27]
	v_add_f64_e32 v[34:35], v[34:35], v[28:29]
	v_fmamk_f64 v[28:29], v[30:31], 0x3c91a62633145c00, v[28:29]
	s_delay_alu instid0(VALU_DEP_2) | instskip(NEXT) | instid1(VALU_DEP_1)
	v_add_f64_e32 v[32:33], v[32:33], v[34:35]
	v_add_f64_e64 v[32:33], v[32:33], -v[28:29]
	s_delay_alu instid0(VALU_DEP_1) | instskip(NEXT) | instid1(VALU_DEP_1)
	v_fmac_f64_e32 v[32:33], 0xb97b839a252049c0, v[30:31]
	v_add_f64_e32 v[28:29], v[26:27], v[32:33]
	s_delay_alu instid0(VALU_DEP_1) | instskip(NEXT) | instid1(VALU_DEP_1)
	v_add_f64_e64 v[26:27], v[28:29], -v[26:27]
	v_add_f64_e64 v[26:27], v[32:33], -v[26:27]
.LBB97_53:                              ;   in Loop: Header=BB97_41 Depth=1
	s_or_b32 exec_lo, exec_lo, s0
	v_cmp_ngt_f64_e64 s0, 0x41d00000, |v[8:9]|
                                        ; implicit-def: $vgpr41
                                        ; implicit-def: $vgpr32_vgpr33
                                        ; implicit-def: $vgpr30_vgpr31
	s_and_saveexec_b32 s1, s0
	s_delay_alu instid0(SALU_CYCLE_1)
	s_xor_b32 s0, exec_lo, s1
	s_cbranch_execz .LBB97_55
; %bb.54:                               ;   in Loop: Header=BB97_41 Depth=1
	v_ldexp_f64 v[30:31], |v[8:9]|, 0xffffff80
	v_cmp_le_f64_e64 vcc_lo, 0x7b000000, |v[8:9]|
	v_trig_preop_f64 v[32:33], |v[8:9]|, 0
	v_and_b32_e32 v13, 0x7fffffff, v9
	v_trig_preop_f64 v[34:35], |v[8:9]|, 1
	v_trig_preop_f64 v[48:49], |v[8:9]|, 2
	s_delay_alu instid0(VALU_DEP_3) | instskip(NEXT) | instid1(VALU_DEP_1)
	v_dual_cndmask_b32 v31, v13, v31 :: v_dual_cndmask_b32 v30, v8, v30
	v_mul_f64_e32 v[36:37], v[32:33], v[30:31]
	s_delay_alu instid0(VALU_DEP_4) | instskip(NEXT) | instid1(VALU_DEP_4)
	v_mul_f64_e32 v[42:43], v[34:35], v[30:31]
	v_mul_f64_e32 v[54:55], v[48:49], v[30:31]
	s_delay_alu instid0(VALU_DEP_3) | instskip(NEXT) | instid1(VALU_DEP_3)
	v_fma_f64 v[32:33], v[32:33], v[30:31], -v[36:37]
	v_fma_f64 v[34:35], v[34:35], v[30:31], -v[42:43]
	s_delay_alu instid0(VALU_DEP_3) | instskip(NEXT) | instid1(VALU_DEP_3)
	v_fma_f64 v[30:31], v[48:49], v[30:31], -v[54:55]
	v_add_f64_e32 v[44:45], v[42:43], v[32:33]
	s_delay_alu instid0(VALU_DEP_1) | instskip(SKIP_1) | instid1(VALU_DEP_2)
	v_add_f64_e64 v[46:47], v[44:45], -v[42:43]
	v_add_f64_e32 v[52:53], v[36:37], v[44:45]
	v_add_f64_e64 v[50:51], v[44:45], -v[46:47]
	v_add_f64_e64 v[32:33], v[32:33], -v[46:47]
	s_delay_alu instid0(VALU_DEP_3) | instskip(NEXT) | instid1(VALU_DEP_3)
	v_ldexp_f64 v[46:47], v[52:53], -2
	v_add_f64_e64 v[42:43], v[42:43], -v[50:51]
	v_add_f64_e32 v[50:51], v[54:55], v[34:35]
	s_delay_alu instid0(VALU_DEP_3) | instskip(NEXT) | instid1(VALU_DEP_3)
	v_cmp_neq_f64_e64 vcc_lo, 0x7ff00000, |v[46:47]|
	v_add_f64_e32 v[32:33], v[32:33], v[42:43]
	v_fract_f64_e32 v[42:43], v[46:47]
	s_delay_alu instid0(VALU_DEP_1) | instskip(NEXT) | instid1(VALU_DEP_1)
	v_ldexp_f64 v[42:43], v[42:43], 2
	v_dual_add_f64 v[36:37], v[52:53], -v[36:37] :: v_dual_cndmask_b32 v42, 0, v42, vcc_lo
	s_delay_alu instid0(VALU_DEP_1) | instskip(SKIP_1) | instid1(VALU_DEP_1)
	v_dual_add_f64 v[36:37], v[44:45], -v[36:37] :: v_dual_cndmask_b32 v43, 0, v43, vcc_lo
	v_add_f64_e32 v[44:45], v[50:51], v[32:33]
	v_add_f64_e32 v[46:47], v[36:37], v[44:45]
	v_add_f64_e64 v[56:57], v[44:45], -v[50:51]
	s_delay_alu instid0(VALU_DEP_2) | instskip(NEXT) | instid1(VALU_DEP_2)
	v_add_f64_e32 v[52:53], v[46:47], v[42:43]
	v_add_f64_e64 v[62:63], v[44:45], -v[56:57]
	v_add_f64_e64 v[32:33], v[32:33], -v[56:57]
	;; [unrolled: 1-line block ×3, first 2 shown]
	s_delay_alu instid0(VALU_DEP_4) | instskip(SKIP_1) | instid1(VALU_DEP_3)
	v_cmp_gt_f64_e32 vcc_lo, 0, v[52:53]
	v_add_f64_e64 v[52:53], v[50:51], -v[54:55]
	v_add_f64_e64 v[36:37], v[44:45], -v[36:37]
	v_cndmask_b32_e64 v13, 0, 0x40100000, vcc_lo
	s_delay_alu instid0(VALU_DEP_3) | instskip(SKIP_2) | instid1(VALU_DEP_4)
	v_add_f64_e64 v[60:61], v[50:51], -v[52:53]
	v_add_f64_e64 v[34:35], v[34:35], -v[52:53]
	;; [unrolled: 1-line block ×3, first 2 shown]
	v_add_f64_e32 v[42:43], v[42:43], v[12:13]
	s_delay_alu instid0(VALU_DEP_4) | instskip(NEXT) | instid1(VALU_DEP_3)
	v_add_f64_e64 v[52:53], v[54:55], -v[60:61]
	v_add_f64_e32 v[32:33], v[32:33], v[50:51]
	s_delay_alu instid0(VALU_DEP_3) | instskip(NEXT) | instid1(VALU_DEP_3)
	v_add_f64_e32 v[58:59], v[46:47], v[42:43]
	v_add_f64_e32 v[34:35], v[34:35], v[52:53]
	s_delay_alu instid0(VALU_DEP_2) | instskip(NEXT) | instid1(VALU_DEP_2)
	v_cvt_i32_f64_e32 v13, v[58:59]
	v_add_f64_e32 v[32:33], v[34:35], v[32:33]
	s_delay_alu instid0(VALU_DEP_2) | instskip(NEXT) | instid1(VALU_DEP_2)
	v_cvt_f64_i32_e32 v[56:57], v13
	v_add_f64_e32 v[30:31], v[30:31], v[32:33]
	s_delay_alu instid0(VALU_DEP_2) | instskip(NEXT) | instid1(VALU_DEP_2)
	v_add_f64_e64 v[42:43], v[42:43], -v[56:57]
	v_add_f64_e32 v[30:31], v[36:37], v[30:31]
	s_delay_alu instid0(VALU_DEP_2) | instskip(NEXT) | instid1(VALU_DEP_1)
	v_add_f64_e32 v[34:35], v[46:47], v[42:43]
	v_add_f64_e64 v[32:33], v[34:35], -v[42:43]
	v_cmp_le_f64_e32 vcc_lo, 0.5, v[34:35]
	s_delay_alu instid0(VALU_DEP_2) | instskip(SKIP_2) | instid1(VALU_DEP_3)
	v_add_f64_e64 v[32:33], v[46:47], -v[32:33]
	v_add_co_ci_u32_e64 v41, null, 0, v13, vcc_lo
	v_cndmask_b32_e64 v13, 0, 0x3ff00000, vcc_lo
	v_add_f64_e32 v[30:31], v[30:31], v[32:33]
	s_delay_alu instid0(VALU_DEP_2) | instskip(NEXT) | instid1(VALU_DEP_1)
	v_add_f64_e64 v[32:33], v[34:35], -v[12:13]
	v_add_f64_e32 v[34:35], v[32:33], v[30:31]
	s_delay_alu instid0(VALU_DEP_1) | instskip(SKIP_1) | instid1(VALU_DEP_2)
	v_mul_f64_e32 v[36:37], 0x3ff921fb54442d18, v[34:35]
	v_add_f64_e64 v[32:33], v[34:35], -v[32:33]
	v_fma_f64 v[42:43], v[34:35], s[8:9], -v[36:37]
	s_delay_alu instid0(VALU_DEP_2) | instskip(NEXT) | instid1(VALU_DEP_2)
	v_add_f64_e64 v[30:31], v[30:31], -v[32:33]
	v_fmac_f64_e32 v[42:43], 0x3c91a62633145c07, v[34:35]
	s_delay_alu instid0(VALU_DEP_1) | instskip(NEXT) | instid1(VALU_DEP_1)
	v_fmac_f64_e32 v[42:43], 0x3ff921fb54442d18, v[30:31]
	v_add_f64_e32 v[32:33], v[36:37], v[42:43]
	s_delay_alu instid0(VALU_DEP_1) | instskip(NEXT) | instid1(VALU_DEP_1)
	v_add_f64_e64 v[30:31], v[32:33], -v[36:37]
	v_add_f64_e64 v[30:31], v[42:43], -v[30:31]
.LBB97_55:                              ;   in Loop: Header=BB97_41 Depth=1
	s_and_not1_saveexec_b32 s0, s0
	s_cbranch_execz .LBB97_40
; %bb.56:                               ;   in Loop: Header=BB97_41 Depth=1
	v_mul_f64_e64 v[30:31], |v[8:9]|, s[10:11]
	s_delay_alu instid0(VALU_DEP_1) | instskip(NEXT) | instid1(VALU_DEP_1)
	v_rndne_f64_e32 v[34:35], v[30:31]
	v_fma_f64 v[30:31], v[34:35], s[12:13], |v[8:9]|
	v_mul_f64_e32 v[32:33], 0xbc91a62633145c00, v[34:35]
	v_cvt_i32_f64_e32 v41, v[34:35]
	s_delay_alu instid0(VALU_DEP_2) | instskip(NEXT) | instid1(VALU_DEP_1)
	v_add_f64_e32 v[36:37], v[30:31], v[32:33]
	v_add_f64_e64 v[42:43], v[30:31], -v[36:37]
	v_fmamk_f64 v[30:31], v[34:35], 0xbc91a62633145c00, v[30:31]
	s_delay_alu instid0(VALU_DEP_1) | instskip(NEXT) | instid1(VALU_DEP_3)
	v_add_f64_e64 v[36:37], v[36:37], -v[30:31]
	v_add_f64_e32 v[42:43], v[42:43], v[32:33]
	v_fmamk_f64 v[32:33], v[34:35], 0x3c91a62633145c00, v[32:33]
	s_delay_alu instid0(VALU_DEP_2) | instskip(NEXT) | instid1(VALU_DEP_1)
	v_add_f64_e32 v[36:37], v[36:37], v[42:43]
	v_add_f64_e64 v[36:37], v[36:37], -v[32:33]
	s_delay_alu instid0(VALU_DEP_1) | instskip(NEXT) | instid1(VALU_DEP_1)
	v_fmac_f64_e32 v[36:37], 0xb97b839a252049c0, v[34:35]
	v_add_f64_e32 v[32:33], v[30:31], v[36:37]
	s_delay_alu instid0(VALU_DEP_1) | instskip(NEXT) | instid1(VALU_DEP_1)
	v_add_f64_e64 v[30:31], v[32:33], -v[30:31]
	v_add_f64_e64 v[30:31], v[36:37], -v[30:31]
	s_branch .LBB97_40
.LBB97_57:
	s_sendmsg sendmsg(MSG_DEALLOC_VGPRS)
	s_endpgm
	.section	.rodata,"a",@progbits
	.p2align	6, 0x0
	.amdhsa_kernel _ZN2at6native12_GLOBAL__N_125multi_tensor_apply_kernelINS1_18TensorListMetadataILi1EEENS1_14UnaryOpFunctorIdLi1ELi1ELi0EEEJNS0_3TanIdEEEEEvT_T0_DpT1_
		.amdhsa_group_segment_fixed_size 0
		.amdhsa_private_segment_fixed_size 0
		.amdhsa_kernarg_size 3632
		.amdhsa_user_sgpr_count 2
		.amdhsa_user_sgpr_dispatch_ptr 0
		.amdhsa_user_sgpr_queue_ptr 0
		.amdhsa_user_sgpr_kernarg_segment_ptr 1
		.amdhsa_user_sgpr_dispatch_id 0
		.amdhsa_user_sgpr_kernarg_preload_length 0
		.amdhsa_user_sgpr_kernarg_preload_offset 0
		.amdhsa_user_sgpr_private_segment_size 0
		.amdhsa_wavefront_size32 1
		.amdhsa_uses_dynamic_stack 0
		.amdhsa_enable_private_segment 0
		.amdhsa_system_sgpr_workgroup_id_x 1
		.amdhsa_system_sgpr_workgroup_id_y 0
		.amdhsa_system_sgpr_workgroup_id_z 0
		.amdhsa_system_sgpr_workgroup_info 0
		.amdhsa_system_vgpr_workitem_id 0
		.amdhsa_next_free_vgpr 78
		.amdhsa_next_free_sgpr 29
		.amdhsa_named_barrier_count 0
		.amdhsa_reserve_vcc 1
		.amdhsa_float_round_mode_32 0
		.amdhsa_float_round_mode_16_64 0
		.amdhsa_float_denorm_mode_32 3
		.amdhsa_float_denorm_mode_16_64 3
		.amdhsa_fp16_overflow 0
		.amdhsa_memory_ordered 1
		.amdhsa_forward_progress 1
		.amdhsa_inst_pref_size 91
		.amdhsa_round_robin_scheduling 0
		.amdhsa_exception_fp_ieee_invalid_op 0
		.amdhsa_exception_fp_denorm_src 0
		.amdhsa_exception_fp_ieee_div_zero 0
		.amdhsa_exception_fp_ieee_overflow 0
		.amdhsa_exception_fp_ieee_underflow 0
		.amdhsa_exception_fp_ieee_inexact 0
		.amdhsa_exception_int_div_zero 0
	.end_amdhsa_kernel
	.section	.text._ZN2at6native12_GLOBAL__N_125multi_tensor_apply_kernelINS1_18TensorListMetadataILi1EEENS1_14UnaryOpFunctorIdLi1ELi1ELi0EEEJNS0_3TanIdEEEEEvT_T0_DpT1_,"axG",@progbits,_ZN2at6native12_GLOBAL__N_125multi_tensor_apply_kernelINS1_18TensorListMetadataILi1EEENS1_14UnaryOpFunctorIdLi1ELi1ELi0EEEJNS0_3TanIdEEEEEvT_T0_DpT1_,comdat
.Lfunc_end97:
	.size	_ZN2at6native12_GLOBAL__N_125multi_tensor_apply_kernelINS1_18TensorListMetadataILi1EEENS1_14UnaryOpFunctorIdLi1ELi1ELi0EEEJNS0_3TanIdEEEEEvT_T0_DpT1_, .Lfunc_end97-_ZN2at6native12_GLOBAL__N_125multi_tensor_apply_kernelINS1_18TensorListMetadataILi1EEENS1_14UnaryOpFunctorIdLi1ELi1ELi0EEEJNS0_3TanIdEEEEEvT_T0_DpT1_
                                        ; -- End function
	.set _ZN2at6native12_GLOBAL__N_125multi_tensor_apply_kernelINS1_18TensorListMetadataILi1EEENS1_14UnaryOpFunctorIdLi1ELi1ELi0EEEJNS0_3TanIdEEEEEvT_T0_DpT1_.num_vgpr, 78
	.set _ZN2at6native12_GLOBAL__N_125multi_tensor_apply_kernelINS1_18TensorListMetadataILi1EEENS1_14UnaryOpFunctorIdLi1ELi1ELi0EEEJNS0_3TanIdEEEEEvT_T0_DpT1_.num_agpr, 0
	.set _ZN2at6native12_GLOBAL__N_125multi_tensor_apply_kernelINS1_18TensorListMetadataILi1EEENS1_14UnaryOpFunctorIdLi1ELi1ELi0EEEJNS0_3TanIdEEEEEvT_T0_DpT1_.numbered_sgpr, 29
	.set _ZN2at6native12_GLOBAL__N_125multi_tensor_apply_kernelINS1_18TensorListMetadataILi1EEENS1_14UnaryOpFunctorIdLi1ELi1ELi0EEEJNS0_3TanIdEEEEEvT_T0_DpT1_.num_named_barrier, 0
	.set _ZN2at6native12_GLOBAL__N_125multi_tensor_apply_kernelINS1_18TensorListMetadataILi1EEENS1_14UnaryOpFunctorIdLi1ELi1ELi0EEEJNS0_3TanIdEEEEEvT_T0_DpT1_.private_seg_size, 0
	.set _ZN2at6native12_GLOBAL__N_125multi_tensor_apply_kernelINS1_18TensorListMetadataILi1EEENS1_14UnaryOpFunctorIdLi1ELi1ELi0EEEJNS0_3TanIdEEEEEvT_T0_DpT1_.uses_vcc, 1
	.set _ZN2at6native12_GLOBAL__N_125multi_tensor_apply_kernelINS1_18TensorListMetadataILi1EEENS1_14UnaryOpFunctorIdLi1ELi1ELi0EEEJNS0_3TanIdEEEEEvT_T0_DpT1_.uses_flat_scratch, 0
	.set _ZN2at6native12_GLOBAL__N_125multi_tensor_apply_kernelINS1_18TensorListMetadataILi1EEENS1_14UnaryOpFunctorIdLi1ELi1ELi0EEEJNS0_3TanIdEEEEEvT_T0_DpT1_.has_dyn_sized_stack, 0
	.set _ZN2at6native12_GLOBAL__N_125multi_tensor_apply_kernelINS1_18TensorListMetadataILi1EEENS1_14UnaryOpFunctorIdLi1ELi1ELi0EEEJNS0_3TanIdEEEEEvT_T0_DpT1_.has_recursion, 0
	.set _ZN2at6native12_GLOBAL__N_125multi_tensor_apply_kernelINS1_18TensorListMetadataILi1EEENS1_14UnaryOpFunctorIdLi1ELi1ELi0EEEJNS0_3TanIdEEEEEvT_T0_DpT1_.has_indirect_call, 0
	.section	.AMDGPU.csdata,"",@progbits
; Kernel info:
; codeLenInByte = 11544
; TotalNumSgprs: 31
; NumVgprs: 78
; ScratchSize: 0
; MemoryBound: 0
; FloatMode: 240
; IeeeMode: 1
; LDSByteSize: 0 bytes/workgroup (compile time only)
; SGPRBlocks: 0
; VGPRBlocks: 4
; NumSGPRsForWavesPerEU: 31
; NumVGPRsForWavesPerEU: 78
; NamedBarCnt: 0
; Occupancy: 12
; WaveLimiterHint : 0
; COMPUTE_PGM_RSRC2:SCRATCH_EN: 0
; COMPUTE_PGM_RSRC2:USER_SGPR: 2
; COMPUTE_PGM_RSRC2:TRAP_HANDLER: 0
; COMPUTE_PGM_RSRC2:TGID_X_EN: 1
; COMPUTE_PGM_RSRC2:TGID_Y_EN: 0
; COMPUTE_PGM_RSRC2:TGID_Z_EN: 0
; COMPUTE_PGM_RSRC2:TIDIG_COMP_CNT: 0
	.section	.text._ZN2at6native12_GLOBAL__N_125multi_tensor_apply_kernelINS1_18TensorListMetadataILi1EEENS1_14UnaryOpFunctorIfLi1ELi1ELi0EEEJNS0_3TanIfEEEEEvT_T0_DpT1_,"axG",@progbits,_ZN2at6native12_GLOBAL__N_125multi_tensor_apply_kernelINS1_18TensorListMetadataILi1EEENS1_14UnaryOpFunctorIfLi1ELi1ELi0EEEJNS0_3TanIfEEEEEvT_T0_DpT1_,comdat
	.globl	_ZN2at6native12_GLOBAL__N_125multi_tensor_apply_kernelINS1_18TensorListMetadataILi1EEENS1_14UnaryOpFunctorIfLi1ELi1ELi0EEEJNS0_3TanIfEEEEEvT_T0_DpT1_ ; -- Begin function _ZN2at6native12_GLOBAL__N_125multi_tensor_apply_kernelINS1_18TensorListMetadataILi1EEENS1_14UnaryOpFunctorIfLi1ELi1ELi0EEEJNS0_3TanIfEEEEEvT_T0_DpT1_
	.p2align	8
	.type	_ZN2at6native12_GLOBAL__N_125multi_tensor_apply_kernelINS1_18TensorListMetadataILi1EEENS1_14UnaryOpFunctorIfLi1ELi1ELi0EEEJNS0_3TanIfEEEEEvT_T0_DpT1_,@function
_ZN2at6native12_GLOBAL__N_125multi_tensor_apply_kernelINS1_18TensorListMetadataILi1EEENS1_14UnaryOpFunctorIfLi1ELi1ELi0EEEJNS0_3TanIfEEEEEvT_T0_DpT1_: ; @_ZN2at6native12_GLOBAL__N_125multi_tensor_apply_kernelINS1_18TensorListMetadataILi1EEENS1_14UnaryOpFunctorIfLi1ELi1ELi0EEEJNS0_3TanIfEEEEEvT_T0_DpT1_
; %bb.0:
	s_bfe_u32 s2, ttmp6, 0x4000c
	s_and_b32 s3, ttmp6, 15
	s_add_co_i32 s2, s2, 1
	s_getreg_b32 s4, hwreg(HW_REG_IB_STS2, 6, 4)
	s_mul_i32 s2, ttmp9, s2
	s_delay_alu instid0(SALU_CYCLE_1)
	s_add_co_i32 s3, s3, s2
	s_cmp_eq_u32 s4, 0
	s_cselect_b32 s2, ttmp9, s3
	s_mov_b32 s3, 0
	s_load_u8 s10, s[0:1], s2 offset:0x6e0
	s_add_nc_u64 s[4:5], s[0:1], s[2:3]
	s_mul_u64 s[6:7], s[2:3], 3
	s_delay_alu instid0(SALU_CYCLE_1)
	s_add_nc_u64 s[4:5], s[4:5], s[6:7]
	s_load_b32 s6, s[4:5], 0x820
	s_wait_kmcnt 0x0
	s_clause 0x1
	s_load_b64 s[8:9], s[0:1], s10 offset:0x0 scale_offset
	s_load_b64 s[12:13], s[0:1], s10 offset:0x370 scale_offset
	s_ashr_i32 s7, s6, 31
	s_wait_kmcnt 0x0
	s_and_b64 s[4:5], s[8:9], 15
	s_and_b32 s2, s12, 3
	s_lshl_b64 s[10:11], s[6:7], 18
	s_or_b64 s[2:3], s[4:5], s[2:3]
	s_lshl_b64 s[4:5], s[6:7], 16
	s_cmp_eq_u64 s[2:3], 0
	s_sub_nc_u64 s[12:13], s[12:13], s[4:5]
	s_cbranch_scc1 .LBB98_37
; %bb.1:
	v_cmp_lt_i64_e64 s2, s[12:13], 1
	s_and_b32 vcc_lo, exec_lo, s2
	s_cbranch_vccnz .LBB98_36
; %bb.2:
	s_load_b32 s4, s[0:1], 0xd3c
	v_min_i64 v[2:3], 0x10000, s[12:13]
	v_min_u64 v[4:5], 0x10000, s[12:13]
	v_dual_mov_b32 v7, 0 :: v_dual_lshlrev_b32 v6, 2, v0
	s_mov_b32 s21, 0
	s_add_nc_u64 s[2:3], s[8:9], s[10:11]
	s_mov_b32 s5, s21
	s_delay_alu instid0(VALU_DEP_1)
	v_mov_b32_e32 v1, v7
	v_add_nc_u64_e32 v[10:11], s[2:3], v[6:7]
	s_mov_b32 s7, s21
	s_mov_b32 s15, s21
	;; [unrolled: 1-line block ×3, first 2 shown]
	s_mov_b64 s[22:23], 0xfe5163ab
	s_mov_b64 s[24:25], 0
	s_mov_b32 s26, 0x7fffff
	s_mov_b32 s27, 0xbc8cedd3
	;; [unrolled: 1-line block ×3, first 2 shown]
	s_wait_kmcnt 0x0
	s_and_b32 s20, s4, 0xffff
	s_delay_alu instid0(SALU_CYCLE_1)
	v_add_nc_u64_e32 v[8:9], s[20:21], v[0:1]
	s_lshl_b32 s4, s20, 1
	s_mul_i32 s6, s20, 3
	s_lshl_b32 s14, s20, 2
	s_lshl_b32 s16, s20, 4
	s_mul_u64 s[18:19], s[20:21], 12
	s_lshl_b32 s20, s20, 3
	v_lshlrev_b32_e32 v6, 2, v8
	v_add_nc_u64_e32 v[12:13], s[6:7], v[0:1]
	v_add_nc_u64_e32 v[14:15], s[4:5], v[0:1]
	s_delay_alu instid0(VALU_DEP_3)
	v_add_nc_u64_e32 v[16:17], s[2:3], v[6:7]
	s_branch .LBB98_4
.LBB98_3:                               ;   in Loop: Header=BB98_4 Depth=1
	s_wait_xcnt 0x0
	s_or_b32 exec_lo, exec_lo, s2
	s_add_nc_u64 s[24:25], s[24:25], s[14:15]
	v_add_nc_u64_e32 v[10:11], s[16:17], v[10:11]
	v_cmp_ge_i64_e32 vcc_lo, s[24:25], v[2:3]
	v_add_nc_u64_e32 v[16:17], s[16:17], v[16:17]
	s_cbranch_vccnz .LBB98_36
.LBB98_4:                               ; =>This Inner Loop Header: Depth=1
	v_add_nc_u64_e32 v[18:19], s[24:25], v[0:1]
	v_mov_b32_e32 v25, 0
	s_delay_alu instid0(VALU_DEP_2)
	v_cmp_lt_u64_e64 s4, v[18:19], v[4:5]
	s_and_saveexec_b32 s2, s4
	s_cbranch_execz .LBB98_6
; %bb.5:                                ;   in Loop: Header=BB98_4 Depth=1
	global_load_b32 v25, v[10:11], off
.LBB98_6:                               ;   in Loop: Header=BB98_4 Depth=1
	s_wait_xcnt 0x0
	s_or_b32 exec_lo, exec_lo, s2
	v_add_nc_u64_e32 v[18:19], s[24:25], v[8:9]
	v_dual_mov_b32 v23, 0 :: v_dual_mov_b32 v24, 0
	s_delay_alu instid0(VALU_DEP_2)
	v_cmp_lt_u64_e64 s3, v[18:19], v[4:5]
	s_and_saveexec_b32 s2, s3
	s_cbranch_execz .LBB98_8
; %bb.7:                                ;   in Loop: Header=BB98_4 Depth=1
	global_load_b32 v24, v[16:17], off
.LBB98_8:                               ;   in Loop: Header=BB98_4 Depth=1
	s_wait_xcnt 0x0
	s_or_b32 exec_lo, exec_lo, s2
	v_add_nc_u64_e32 v[18:19], s[24:25], v[14:15]
	v_add_nc_u64_e32 v[20:21], s[20:21], v[10:11]
	s_delay_alu instid0(VALU_DEP_2)
	v_cmp_lt_u64_e64 s2, v[18:19], v[4:5]
	s_and_saveexec_b32 s5, s2
	s_cbranch_execz .LBB98_10
; %bb.9:                                ;   in Loop: Header=BB98_4 Depth=1
	global_load_b32 v23, v[20:21], off
.LBB98_10:                              ;   in Loop: Header=BB98_4 Depth=1
	s_wait_xcnt 0x0
	s_or_b32 exec_lo, exec_lo, s5
	v_add_nc_u64_e32 v[18:19], s[24:25], v[12:13]
	v_mov_b32_e32 v22, 0
	s_delay_alu instid0(VALU_DEP_2)
	v_cmp_lt_u64_e32 vcc_lo, v[18:19], v[4:5]
	v_add_nc_u64_e32 v[18:19], s[18:19], v[10:11]
	s_and_saveexec_b32 s5, vcc_lo
	s_cbranch_execz .LBB98_12
; %bb.11:                               ;   in Loop: Header=BB98_4 Depth=1
	global_load_b32 v22, v[18:19], off
.LBB98_12:                              ;   in Loop: Header=BB98_4 Depth=1
	s_wait_xcnt 0x0
	s_or_b32 exec_lo, exec_lo, s5
	s_wait_loadcnt 0x0
	v_and_b32_e32 v26, 0x7fffffff, v25
                                        ; implicit-def: $vgpr28
                                        ; implicit-def: $vgpr27
	s_mov_b32 s6, exec_lo
	v_cmpx_ngt_f32_e64 0x48000000, |v25|
	s_xor_b32 s29, exec_lo, s6
	s_cbranch_execz .LBB98_14
; %bb.13:                               ;   in Loop: Header=BB98_4 Depth=1
	v_and_or_b32 v6, v26, s26, 0x800000
	v_dual_lshrrev_b32 v27, 23, v26 :: v_dual_mov_b32 v39, v7
	v_mov_b32_e32 v41, v7
	s_delay_alu instid0(VALU_DEP_3) | instskip(SKIP_1) | instid1(VALU_DEP_4)
	v_mul_u64_e32 v[28:29], s[22:23], v[6:7]
	v_mov_b32_e32 v31, v7
	v_add_nc_u32_e32 v27, 0xffffff88, v27
	s_delay_alu instid0(VALU_DEP_1) | instskip(NEXT) | instid1(VALU_DEP_4)
	v_cmp_lt_u32_e64 s5, 63, v27
	v_mov_b32_e32 v30, v29
	s_delay_alu instid0(VALU_DEP_2) | instskip(NEXT) | instid1(VALU_DEP_2)
	v_cndmask_b32_e64 v29, 0, 0xffffffc0, s5
	v_mad_nc_u64_u32 v[30:31], 0x3c439041, v6, v[30:31]
	s_delay_alu instid0(VALU_DEP_2) | instskip(NEXT) | instid1(VALU_DEP_1)
	v_dual_mov_b32 v33, v7 :: v_dual_add_nc_u32 v27, v29, v27
	v_cmp_lt_u32_e64 s6, 31, v27
	s_delay_alu instid0(VALU_DEP_3) | instskip(NEXT) | instid1(VALU_DEP_2)
	v_mov_b32_e32 v32, v31
	v_cndmask_b32_e64 v29, 0, 0xffffffe0, s6
	s_delay_alu instid0(VALU_DEP_2) | instskip(NEXT) | instid1(VALU_DEP_1)
	v_mad_nc_u64_u32 v[32:33], 0xdb629599, v6, v[32:33]
	v_dual_mov_b32 v35, v7 :: v_dual_mov_b32 v34, v33
	s_delay_alu instid0(VALU_DEP_2) | instskip(NEXT) | instid1(VALU_DEP_2)
	v_cndmask_b32_e64 v28, v32, v28, s5
	v_mad_nc_u64_u32 v[34:35], 0xf534ddc0, v6, v[34:35]
	s_delay_alu instid0(VALU_DEP_1) | instskip(NEXT) | instid1(VALU_DEP_1)
	v_dual_mov_b32 v37, v7 :: v_dual_mov_b32 v36, v35
	v_mad_nc_u64_u32 v[36:37], 0xfc2757d1, v6, v[36:37]
	s_delay_alu instid0(VALU_DEP_1) | instskip(NEXT) | instid1(VALU_DEP_1)
	v_dual_mov_b32 v38, v37 :: v_dual_cndmask_b32 v35, v36, v32, s5
	v_mad_nc_u64_u32 v[38:39], 0x4e441529, v6, v[38:39]
	s_delay_alu instid0(VALU_DEP_1) | instskip(NEXT) | instid1(VALU_DEP_1)
	v_mov_b32_e32 v40, v39
	v_mad_nc_u64_u32 v[40:41], 0xa2f9836e, v6, v[40:41]
	s_delay_alu instid0(VALU_DEP_3) | instskip(NEXT) | instid1(VALU_DEP_1)
	v_dual_add_nc_u32 v6, v29, v27 :: v_dual_cndmask_b32 v29, v38, v34, s5
	v_cmp_lt_u32_e64 s7, 31, v6
	s_delay_alu instid0(VALU_DEP_1) | instskip(NEXT) | instid1(VALU_DEP_4)
	v_cndmask_b32_e64 v27, 0, 0xffffffe0, s7
	v_dual_cndmask_b32 v31, v40, v36, s5 :: v_dual_cndmask_b32 v33, v41, v38, s5
	s_delay_alu instid0(VALU_DEP_2) | instskip(NEXT) | instid1(VALU_DEP_2)
	v_add_nc_u32_e32 v6, v27, v6
	v_dual_cndmask_b32 v27, v34, v30, s5 :: v_dual_cndmask_b32 v30, v31, v29, s6
	s_delay_alu instid0(VALU_DEP_3) | instskip(NEXT) | instid1(VALU_DEP_3)
	v_cndmask_b32_e64 v31, v33, v31, s6
	v_dual_cndmask_b32 v29, v29, v35, s6 :: v_dual_sub_nc_u32 v33, 32, v6
	s_delay_alu instid0(VALU_DEP_3) | instskip(SKIP_1) | instid1(VALU_DEP_3)
	v_cndmask_b32_e64 v34, v35, v27, s6
	v_cmp_eq_u32_e64 s5, 0, v6
	v_dual_cndmask_b32 v31, v31, v30, s7 :: v_dual_cndmask_b32 v30, v30, v29, s7
	s_delay_alu instid0(VALU_DEP_1) | instskip(NEXT) | instid1(VALU_DEP_1)
	v_alignbit_b32 v35, v31, v30, v33
	v_dual_cndmask_b32 v29, v29, v34, s7 :: v_dual_cndmask_b32 v6, v35, v31, s5
	s_delay_alu instid0(VALU_DEP_1) | instskip(NEXT) | instid1(VALU_DEP_1)
	v_alignbit_b32 v32, v30, v29, v33
	v_dual_cndmask_b32 v27, v27, v28, s6 :: v_dual_cndmask_b32 v28, v32, v30, s5
	s_delay_alu instid0(VALU_DEP_3) | instskip(NEXT) | instid1(VALU_DEP_2)
	v_bfe_u32 v30, v6, 29, 1
	v_cndmask_b32_e64 v27, v34, v27, s7
	s_delay_alu instid0(VALU_DEP_3) | instskip(NEXT) | instid1(VALU_DEP_3)
	v_alignbit_b32 v31, v6, v28, 30
	v_sub_nc_u32_e32 v32, 0, v30
	s_delay_alu instid0(VALU_DEP_3) | instskip(NEXT) | instid1(VALU_DEP_1)
	v_alignbit_b32 v33, v29, v27, v33
	v_dual_cndmask_b32 v29, v33, v29, s5 :: v_dual_bitop2_b32 v31, v31, v32 bitop3:0x14
	s_delay_alu instid0(VALU_DEP_1) | instskip(NEXT) | instid1(VALU_DEP_2)
	v_clz_i32_u32_e32 v33, v31
	v_alignbit_b32 v28, v28, v29, 30
	v_alignbit_b32 v27, v29, v27, 30
	s_delay_alu instid0(VALU_DEP_3) | instskip(NEXT) | instid1(VALU_DEP_3)
	v_min_u32_e32 v33, 32, v33
	v_xor_b32_e32 v28, v28, v32
	s_delay_alu instid0(VALU_DEP_3) | instskip(NEXT) | instid1(VALU_DEP_3)
	v_dual_lshrrev_b32 v32, 29, v6 :: v_dual_bitop2_b32 v27, v27, v32 bitop3:0x14
	v_dual_lshrrev_b32 v6, 30, v6 :: v_dual_sub_nc_u32 v29, 31, v33
	v_lshlrev_b32_e32 v34, 23, v33
	s_delay_alu instid0(VALU_DEP_2) | instskip(NEXT) | instid1(VALU_DEP_4)
	v_alignbit_b32 v31, v31, v28, v29
	v_alignbit_b32 v27, v28, v27, v29
	v_lshlrev_b32_e32 v28, 31, v32
	s_delay_alu instid0(VALU_DEP_2) | instskip(NEXT) | instid1(VALU_DEP_2)
	v_alignbit_b32 v29, v31, v27, 9
	v_dual_lshrrev_b32 v31, 9, v31 :: v_dual_bitop2_b32 v32, 0.5, v28 bitop3:0x54
	v_or_b32_e32 v28, 0x33000000, v28
	s_delay_alu instid0(VALU_DEP_3) | instskip(NEXT) | instid1(VALU_DEP_3)
	v_clz_i32_u32_e32 v35, v29
	v_sub_nc_u32_e32 v32, v32, v34
	s_delay_alu instid0(VALU_DEP_2) | instskip(NEXT) | instid1(VALU_DEP_1)
	v_min_u32_e32 v34, 32, v35
	v_add_lshl_u32 v33, v34, v33, 23
	s_delay_alu instid0(VALU_DEP_3) | instskip(SKIP_1) | instid1(VALU_DEP_2)
	v_or_b32_e32 v31, v31, v32
	v_not_b32_e32 v32, v34
	v_dual_mul_f32 v35, 0x3fc90fda, v31 :: v_dual_sub_nc_u32 v28, v28, v33
	s_delay_alu instid0(VALU_DEP_2) | instskip(NEXT) | instid1(VALU_DEP_2)
	v_alignbit_b32 v27, v29, v27, v32
	v_fma_f32 v29, 0x3fc90fda, v31, -v35
	s_delay_alu instid0(VALU_DEP_2) | instskip(NEXT) | instid1(VALU_DEP_2)
	v_lshrrev_b32_e32 v27, 9, v27
	v_fmac_f32_e32 v29, 0x33a22168, v31
	s_delay_alu instid0(VALU_DEP_2) | instskip(NEXT) | instid1(VALU_DEP_1)
	v_dual_add_nc_u32 v28, v30, v6 :: v_dual_bitop2_b32 v27, v28, v27 bitop3:0x54
	v_fmac_f32_e32 v29, 0x3fc90fda, v27
	s_delay_alu instid0(VALU_DEP_1)
	v_add_f32_e32 v27, v35, v29
.LBB98_14:                              ;   in Loop: Header=BB98_4 Depth=1
	s_and_not1_saveexec_b32 s5, s29
; %bb.15:                               ;   in Loop: Header=BB98_4 Depth=1
	v_mul_f32_e64 v6, 0x3f22f983, |v25|
	s_delay_alu instid0(VALU_DEP_1) | instskip(NEXT) | instid1(VALU_DEP_1)
	v_rndne_f32_e32 v6, v6
	v_fma_f32 v27, 0xbfc90fda, v6, |v25|
	v_cvt_i32_f32_e32 v28, v6
	s_delay_alu instid0(VALU_DEP_2) | instskip(NEXT) | instid1(VALU_DEP_1)
	v_fmac_f32_e32 v27, 0xb3a22168, v6
	v_fmac_f32_e32 v27, 0xa7c234c4, v6
; %bb.16:                               ;   in Loop: Header=BB98_4 Depth=1
	s_or_b32 exec_lo, exec_lo, s5
	v_and_b32_e32 v29, 0x7fffffff, v24
                                        ; implicit-def: $vgpr31
                                        ; implicit-def: $vgpr30
	s_mov_b32 s6, exec_lo
	v_cmpx_ngt_f32_e64 0x48000000, |v24|
	s_xor_b32 s29, exec_lo, s6
	s_cbranch_execz .LBB98_18
; %bb.17:                               ;   in Loop: Header=BB98_4 Depth=1
	v_and_or_b32 v6, v29, s26, 0x800000
	v_dual_mov_b32 v41, v7 :: v_dual_mov_b32 v43, v7
	s_delay_alu instid0(VALU_DEP_2) | instskip(NEXT) | instid1(VALU_DEP_1)
	v_mul_u64_e32 v[30:31], s[22:23], v[6:7]
	v_dual_mov_b32 v33, v7 :: v_dual_mov_b32 v32, v31
	v_lshrrev_b32_e32 v31, 23, v29
	s_delay_alu instid0(VALU_DEP_2) | instskip(SKIP_1) | instid1(VALU_DEP_3)
	v_mad_nc_u64_u32 v[32:33], 0x3c439041, v6, v[32:33]
	v_mov_b32_e32 v35, v7
	v_add_nc_u32_e32 v31, 0xffffff88, v31
	s_delay_alu instid0(VALU_DEP_1) | instskip(NEXT) | instid1(VALU_DEP_4)
	v_cmp_lt_u32_e64 s5, 63, v31
	v_mov_b32_e32 v34, v33
	s_delay_alu instid0(VALU_DEP_2) | instskip(NEXT) | instid1(VALU_DEP_2)
	v_cndmask_b32_e64 v33, 0, 0xffffffc0, s5
	v_mad_nc_u64_u32 v[34:35], 0xdb629599, v6, v[34:35]
	s_delay_alu instid0(VALU_DEP_2) | instskip(NEXT) | instid1(VALU_DEP_1)
	v_dual_mov_b32 v37, v7 :: v_dual_add_nc_u32 v31, v33, v31
	v_cmp_lt_u32_e64 s6, 31, v31
	s_delay_alu instid0(VALU_DEP_3) | instskip(NEXT) | instid1(VALU_DEP_2)
	v_mov_b32_e32 v36, v35
	v_cndmask_b32_e64 v33, 0, 0xffffffe0, s6
	v_cndmask_b32_e64 v30, v34, v30, s5
	s_delay_alu instid0(VALU_DEP_3) | instskip(NEXT) | instid1(VALU_DEP_1)
	v_mad_nc_u64_u32 v[36:37], 0xf534ddc0, v6, v[36:37]
	v_dual_mov_b32 v39, v7 :: v_dual_mov_b32 v38, v37
	s_delay_alu instid0(VALU_DEP_1) | instskip(NEXT) | instid1(VALU_DEP_1)
	v_mad_nc_u64_u32 v[38:39], 0xfc2757d1, v6, v[38:39]
	v_mov_b32_e32 v40, v39
	s_delay_alu instid0(VALU_DEP_1) | instskip(NEXT) | instid1(VALU_DEP_1)
	v_mad_nc_u64_u32 v[40:41], 0x4e441529, v6, v[40:41]
	v_mov_b32_e32 v42, v41
	s_delay_alu instid0(VALU_DEP_1) | instskip(NEXT) | instid1(VALU_DEP_3)
	v_mad_nc_u64_u32 v[42:43], 0xa2f9836e, v6, v[42:43]
	v_dual_add_nc_u32 v6, v33, v31 :: v_dual_cndmask_b32 v33, v40, v36, s5
	s_delay_alu instid0(VALU_DEP_2) | instskip(NEXT) | instid1(VALU_DEP_2)
	v_cndmask_b32_e64 v35, v42, v38, s5
	v_cmp_lt_u32_e64 s7, 31, v6
	s_delay_alu instid0(VALU_DEP_4) | instskip(NEXT) | instid1(VALU_DEP_2)
	v_dual_cndmask_b32 v37, v43, v40, s5 :: v_dual_cndmask_b32 v38, v38, v34, s5
	v_cndmask_b32_e64 v31, 0, 0xffffffe0, s7
	s_delay_alu instid0(VALU_DEP_1) | instskip(NEXT) | instid1(VALU_DEP_3)
	v_dual_add_nc_u32 v6, v31, v6 :: v_dual_cndmask_b32 v31, v36, v32, s5
	v_dual_cndmask_b32 v32, v35, v33, s6 :: v_dual_cndmask_b32 v35, v37, v35, s6
	s_delay_alu instid0(VALU_DEP_4) | instskip(NEXT) | instid1(VALU_DEP_3)
	v_cndmask_b32_e64 v33, v33, v38, s6
	v_dual_sub_nc_u32 v36, 32, v6 :: v_dual_cndmask_b32 v37, v38, v31, s6
	v_cmp_eq_u32_e64 s5, 0, v6
	s_delay_alu instid0(VALU_DEP_3) | instskip(NEXT) | instid1(VALU_DEP_1)
	v_dual_cndmask_b32 v35, v35, v32, s7 :: v_dual_cndmask_b32 v32, v32, v33, s7
	v_alignbit_b32 v38, v35, v32, v36
	s_delay_alu instid0(VALU_DEP_1) | instskip(NEXT) | instid1(VALU_DEP_1)
	v_dual_cndmask_b32 v33, v33, v37, s7 :: v_dual_cndmask_b32 v6, v38, v35, s5
	v_alignbit_b32 v34, v32, v33, v36
	s_delay_alu instid0(VALU_DEP_1) | instskip(NEXT) | instid1(VALU_DEP_3)
	v_dual_cndmask_b32 v30, v31, v30, s6 :: v_dual_cndmask_b32 v31, v34, v32, s5
	v_bfe_u32 v32, v6, 29, 1
	s_delay_alu instid0(VALU_DEP_2) | instskip(NEXT) | instid1(VALU_DEP_3)
	v_cndmask_b32_e64 v30, v37, v30, s7
	v_alignbit_b32 v34, v6, v31, 30
	s_delay_alu instid0(VALU_DEP_3) | instskip(NEXT) | instid1(VALU_DEP_3)
	v_sub_nc_u32_e32 v35, 0, v32
	v_alignbit_b32 v36, v33, v30, v36
	s_delay_alu instid0(VALU_DEP_1) | instskip(NEXT) | instid1(VALU_DEP_1)
	v_dual_cndmask_b32 v33, v36, v33, s5 :: v_dual_bitop2_b32 v34, v34, v35 bitop3:0x14
	v_clz_i32_u32_e32 v36, v34
	s_delay_alu instid0(VALU_DEP_2) | instskip(SKIP_1) | instid1(VALU_DEP_3)
	v_alignbit_b32 v31, v31, v33, 30
	v_alignbit_b32 v30, v33, v30, 30
	v_min_u32_e32 v36, 32, v36
	s_delay_alu instid0(VALU_DEP_3) | instskip(NEXT) | instid1(VALU_DEP_3)
	v_xor_b32_e32 v31, v31, v35
	v_dual_lshrrev_b32 v35, 29, v6 :: v_dual_bitop2_b32 v30, v30, v35 bitop3:0x14
	s_delay_alu instid0(VALU_DEP_3) | instskip(NEXT) | instid1(VALU_DEP_1)
	v_dual_sub_nc_u32 v33, 31, v36 :: v_dual_lshlrev_b32 v37, 23, v36
	v_alignbit_b32 v34, v34, v31, v33
	s_delay_alu instid0(VALU_DEP_3) | instskip(NEXT) | instid1(VALU_DEP_4)
	v_alignbit_b32 v30, v31, v30, v33
	v_lshlrev_b32_e32 v31, 31, v35
	s_delay_alu instid0(VALU_DEP_2) | instskip(NEXT) | instid1(VALU_DEP_2)
	v_alignbit_b32 v33, v34, v30, 9
	v_dual_lshrrev_b32 v34, 9, v34 :: v_dual_bitop2_b32 v35, 0.5, v31 bitop3:0x54
	v_or_b32_e32 v31, 0x33000000, v31
	s_delay_alu instid0(VALU_DEP_3) | instskip(NEXT) | instid1(VALU_DEP_3)
	v_clz_i32_u32_e32 v38, v33
	v_sub_nc_u32_e32 v35, v35, v37
	s_delay_alu instid0(VALU_DEP_2) | instskip(NEXT) | instid1(VALU_DEP_1)
	v_min_u32_e32 v37, 32, v38
	v_add_lshl_u32 v36, v37, v36, 23
	s_delay_alu instid0(VALU_DEP_3) | instskip(SKIP_1) | instid1(VALU_DEP_2)
	v_or_b32_e32 v34, v34, v35
	v_not_b32_e32 v35, v37
	v_dual_mul_f32 v38, 0x3fc90fda, v34 :: v_dual_sub_nc_u32 v31, v31, v36
	s_delay_alu instid0(VALU_DEP_2) | instskip(NEXT) | instid1(VALU_DEP_2)
	v_alignbit_b32 v30, v33, v30, v35
	v_fma_f32 v33, 0x3fc90fda, v34, -v38
	s_delay_alu instid0(VALU_DEP_2) | instskip(NEXT) | instid1(VALU_DEP_2)
	v_lshrrev_b32_e32 v30, 9, v30
	v_fmac_f32_e32 v33, 0x33a22168, v34
	s_delay_alu instid0(VALU_DEP_2) | instskip(NEXT) | instid1(VALU_DEP_1)
	v_or_b32_e32 v30, v31, v30
	v_fmac_f32_e32 v33, 0x3fc90fda, v30
	s_delay_alu instid0(VALU_DEP_1) | instskip(NEXT) | instid1(VALU_DEP_1)
	v_dual_lshrrev_b32 v6, 30, v6 :: v_dual_add_f32 v30, v38, v33
	v_add_nc_u32_e32 v31, v32, v6
.LBB98_18:                              ;   in Loop: Header=BB98_4 Depth=1
	s_and_not1_saveexec_b32 s5, s29
; %bb.19:                               ;   in Loop: Header=BB98_4 Depth=1
	v_mul_f32_e64 v6, 0x3f22f983, |v24|
	s_delay_alu instid0(VALU_DEP_1) | instskip(NEXT) | instid1(VALU_DEP_1)
	v_rndne_f32_e32 v6, v6
	v_fma_f32 v30, 0xbfc90fda, v6, |v24|
	v_cvt_i32_f32_e32 v31, v6
	s_delay_alu instid0(VALU_DEP_2) | instskip(NEXT) | instid1(VALU_DEP_1)
	v_fmac_f32_e32 v30, 0xb3a22168, v6
	v_fmac_f32_e32 v30, 0xa7c234c4, v6
; %bb.20:                               ;   in Loop: Header=BB98_4 Depth=1
	s_or_b32 exec_lo, exec_lo, s5
	v_and_b32_e32 v32, 0x7fffffff, v23
                                        ; implicit-def: $vgpr34
                                        ; implicit-def: $vgpr33
	s_mov_b32 s6, exec_lo
	v_cmpx_ngt_f32_e64 0x48000000, |v23|
	s_xor_b32 s29, exec_lo, s6
	s_cbranch_execz .LBB98_22
; %bb.21:                               ;   in Loop: Header=BB98_4 Depth=1
	v_and_or_b32 v6, v32, s26, 0x800000
	v_dual_lshrrev_b32 v33, 23, v32 :: v_dual_mov_b32 v45, v7
	s_delay_alu instid0(VALU_DEP_2) | instskip(SKIP_1) | instid1(VALU_DEP_3)
	v_mul_u64_e32 v[34:35], s[22:23], v[6:7]
	v_mov_b32_e32 v37, v7
	v_add_nc_u32_e32 v33, 0xffffff88, v33
	s_delay_alu instid0(VALU_DEP_1) | instskip(NEXT) | instid1(VALU_DEP_4)
	v_cmp_lt_u32_e64 s5, 63, v33
	v_mov_b32_e32 v36, v35
	s_delay_alu instid0(VALU_DEP_2) | instskip(NEXT) | instid1(VALU_DEP_2)
	v_cndmask_b32_e64 v35, 0, 0xffffffc0, s5
	v_mad_nc_u64_u32 v[36:37], 0x3c439041, v6, v[36:37]
	s_delay_alu instid0(VALU_DEP_1) | instskip(NEXT) | instid1(VALU_DEP_1)
	v_dual_mov_b32 v39, v7 :: v_dual_mov_b32 v38, v37
	v_mad_nc_u64_u32 v[38:39], 0xdb629599, v6, v[38:39]
	s_delay_alu instid0(VALU_DEP_1) | instskip(NEXT) | instid1(VALU_DEP_2)
	v_dual_mov_b32 v41, v7 :: v_dual_mov_b32 v40, v39
	v_cndmask_b32_e64 v34, v38, v34, s5
	s_delay_alu instid0(VALU_DEP_2) | instskip(NEXT) | instid1(VALU_DEP_1)
	v_mad_nc_u64_u32 v[40:41], 0xf534ddc0, v6, v[40:41]
	v_dual_mov_b32 v43, v7 :: v_dual_mov_b32 v42, v41
	s_delay_alu instid0(VALU_DEP_1) | instskip(NEXT) | instid1(VALU_DEP_1)
	v_mad_nc_u64_u32 v[42:43], 0xfc2757d1, v6, v[42:43]
	v_dual_mov_b32 v44, v43 :: v_dual_cndmask_b32 v41, v42, v38, s5
	s_delay_alu instid0(VALU_DEP_1) | instskip(SKIP_1) | instid1(VALU_DEP_2)
	v_mad_nc_u64_u32 v[44:45], 0x4e441529, v6, v[44:45]
	v_add_nc_u32_e32 v33, v35, v33
	v_dual_mov_b32 v47, v7 :: v_dual_mov_b32 v46, v45
	s_delay_alu instid0(VALU_DEP_2) | instskip(NEXT) | instid1(VALU_DEP_2)
	v_cmp_lt_u32_e64 s6, 31, v33
	v_mad_nc_u64_u32 v[46:47], 0xa2f9836e, v6, v[46:47]
	s_delay_alu instid0(VALU_DEP_2) | instskip(NEXT) | instid1(VALU_DEP_1)
	v_cndmask_b32_e64 v35, 0, 0xffffffe0, s6
	v_dual_add_nc_u32 v6, v35, v33 :: v_dual_cndmask_b32 v35, v44, v40, s5
	s_delay_alu instid0(VALU_DEP_3) | instskip(NEXT) | instid1(VALU_DEP_2)
	v_cndmask_b32_e64 v37, v46, v42, s5
	v_cmp_lt_u32_e64 s7, 31, v6
	v_cndmask_b32_e64 v39, v47, v44, s5
	s_delay_alu instid0(VALU_DEP_2) | instskip(NEXT) | instid1(VALU_DEP_1)
	v_cndmask_b32_e64 v33, 0, 0xffffffe0, s7
	v_dual_add_nc_u32 v6, v33, v6 :: v_dual_cndmask_b32 v33, v40, v36, s5
	s_delay_alu instid0(VALU_DEP_3) | instskip(NEXT) | instid1(VALU_DEP_2)
	v_dual_cndmask_b32 v36, v37, v35, s6 :: v_dual_cndmask_b32 v37, v39, v37, s6
	v_dual_cndmask_b32 v35, v35, v41, s6 :: v_dual_sub_nc_u32 v39, 32, v6
	s_delay_alu instid0(VALU_DEP_3) | instskip(SKIP_1) | instid1(VALU_DEP_3)
	v_cndmask_b32_e64 v40, v41, v33, s6
	v_cmp_eq_u32_e64 s5, 0, v6
	v_dual_cndmask_b32 v37, v37, v36, s7 :: v_dual_cndmask_b32 v36, v36, v35, s7
	s_delay_alu instid0(VALU_DEP_1) | instskip(NEXT) | instid1(VALU_DEP_1)
	v_alignbit_b32 v41, v37, v36, v39
	v_dual_cndmask_b32 v35, v35, v40, s7 :: v_dual_cndmask_b32 v6, v41, v37, s5
	s_delay_alu instid0(VALU_DEP_1) | instskip(NEXT) | instid1(VALU_DEP_1)
	v_alignbit_b32 v38, v36, v35, v39
	v_dual_cndmask_b32 v33, v33, v34, s6 :: v_dual_cndmask_b32 v34, v38, v36, s5
	s_delay_alu instid0(VALU_DEP_3) | instskip(NEXT) | instid1(VALU_DEP_2)
	v_bfe_u32 v36, v6, 29, 1
	v_cndmask_b32_e64 v33, v40, v33, s7
	s_delay_alu instid0(VALU_DEP_3) | instskip(NEXT) | instid1(VALU_DEP_3)
	v_alignbit_b32 v37, v6, v34, 30
	v_sub_nc_u32_e32 v38, 0, v36
	s_delay_alu instid0(VALU_DEP_3) | instskip(NEXT) | instid1(VALU_DEP_1)
	v_alignbit_b32 v39, v35, v33, v39
	v_dual_cndmask_b32 v35, v39, v35, s5 :: v_dual_bitop2_b32 v37, v37, v38 bitop3:0x14
	s_delay_alu instid0(VALU_DEP_1) | instskip(NEXT) | instid1(VALU_DEP_2)
	v_clz_i32_u32_e32 v39, v37
	v_alignbit_b32 v34, v34, v35, 30
	v_alignbit_b32 v33, v35, v33, 30
	s_delay_alu instid0(VALU_DEP_3) | instskip(NEXT) | instid1(VALU_DEP_3)
	v_min_u32_e32 v39, 32, v39
	v_xor_b32_e32 v34, v34, v38
	s_delay_alu instid0(VALU_DEP_3) | instskip(SKIP_1) | instid1(VALU_DEP_4)
	v_xor_b32_e32 v33, v33, v38
	v_dual_lshrrev_b32 v38, 29, v6 :: v_dual_lshrrev_b32 v6, 30, v6
	v_dual_sub_nc_u32 v35, 31, v39 :: v_dual_lshlrev_b32 v40, 23, v39
	s_delay_alu instid0(VALU_DEP_1) | instskip(NEXT) | instid1(VALU_DEP_4)
	v_alignbit_b32 v37, v37, v34, v35
	v_alignbit_b32 v33, v34, v33, v35
	s_delay_alu instid0(VALU_DEP_4) | instskip(NEXT) | instid1(VALU_DEP_2)
	v_lshlrev_b32_e32 v34, 31, v38
	v_alignbit_b32 v35, v37, v33, 9
	s_delay_alu instid0(VALU_DEP_2) | instskip(SKIP_1) | instid1(VALU_DEP_3)
	v_dual_lshrrev_b32 v37, 9, v37 :: v_dual_bitop2_b32 v38, 0.5, v34 bitop3:0x54
	v_or_b32_e32 v34, 0x33000000, v34
	v_clz_i32_u32_e32 v41, v35
	s_delay_alu instid0(VALU_DEP_3) | instskip(NEXT) | instid1(VALU_DEP_2)
	v_sub_nc_u32_e32 v38, v38, v40
	v_min_u32_e32 v40, 32, v41
	s_delay_alu instid0(VALU_DEP_1) | instskip(NEXT) | instid1(VALU_DEP_3)
	v_add_lshl_u32 v39, v40, v39, 23
	v_or_b32_e32 v37, v37, v38
	v_not_b32_e32 v38, v40
	s_delay_alu instid0(VALU_DEP_2) | instskip(NEXT) | instid1(VALU_DEP_2)
	v_dual_mul_f32 v41, 0x3fc90fda, v37 :: v_dual_sub_nc_u32 v34, v34, v39
	v_alignbit_b32 v33, v35, v33, v38
	s_delay_alu instid0(VALU_DEP_2) | instskip(NEXT) | instid1(VALU_DEP_2)
	v_fma_f32 v35, 0x3fc90fda, v37, -v41
	v_lshrrev_b32_e32 v33, 9, v33
	s_delay_alu instid0(VALU_DEP_2) | instskip(NEXT) | instid1(VALU_DEP_2)
	v_fmac_f32_e32 v35, 0x33a22168, v37
	v_dual_add_nc_u32 v34, v36, v6 :: v_dual_bitop2_b32 v33, v34, v33 bitop3:0x54
	s_delay_alu instid0(VALU_DEP_1) | instskip(NEXT) | instid1(VALU_DEP_1)
	v_fmac_f32_e32 v35, 0x3fc90fda, v33
	v_add_f32_e32 v33, v41, v35
.LBB98_22:                              ;   in Loop: Header=BB98_4 Depth=1
	s_and_not1_saveexec_b32 s5, s29
; %bb.23:                               ;   in Loop: Header=BB98_4 Depth=1
	v_mul_f32_e64 v6, 0x3f22f983, |v23|
	s_delay_alu instid0(VALU_DEP_1) | instskip(NEXT) | instid1(VALU_DEP_1)
	v_rndne_f32_e32 v6, v6
	v_fma_f32 v33, 0xbfc90fda, v6, |v23|
	v_cvt_i32_f32_e32 v34, v6
	s_delay_alu instid0(VALU_DEP_2) | instskip(NEXT) | instid1(VALU_DEP_1)
	v_fmac_f32_e32 v33, 0xb3a22168, v6
	v_fmac_f32_e32 v33, 0xa7c234c4, v6
; %bb.24:                               ;   in Loop: Header=BB98_4 Depth=1
	s_or_b32 exec_lo, exec_lo, s5
	v_and_b32_e32 v35, 0x7fffffff, v22
                                        ; implicit-def: $vgpr36
                                        ; implicit-def: $vgpr6
	s_mov_b32 s6, exec_lo
	v_cmpx_ngt_f32_e64 0x48000000, |v22|
	s_xor_b32 s29, exec_lo, s6
	s_cbranch_execnz .LBB98_30
; %bb.25:                               ;   in Loop: Header=BB98_4 Depth=1
	s_and_not1_saveexec_b32 s5, s29
	s_cbranch_execnz .LBB98_31
.LBB98_26:                              ;   in Loop: Header=BB98_4 Depth=1
	s_or_b32 exec_lo, exec_lo, s5
	s_and_saveexec_b32 s5, s4
	s_delay_alu instid0(SALU_CYCLE_1)
	s_xor_b32 s5, exec_lo, s5
	s_cbranch_execnz .LBB98_32
.LBB98_27:                              ;   in Loop: Header=BB98_4 Depth=1
	s_or_b32 exec_lo, exec_lo, s5
	s_and_saveexec_b32 s4, s3
	s_cbranch_execnz .LBB98_33
.LBB98_28:                              ;   in Loop: Header=BB98_4 Depth=1
	s_or_b32 exec_lo, exec_lo, s4
	s_and_saveexec_b32 s3, s2
	s_cbranch_execnz .LBB98_34
.LBB98_29:                              ;   in Loop: Header=BB98_4 Depth=1
	s_or_b32 exec_lo, exec_lo, s3
	s_and_saveexec_b32 s2, vcc_lo
	s_cbranch_execz .LBB98_3
	s_branch .LBB98_35
.LBB98_30:                              ;   in Loop: Header=BB98_4 Depth=1
	v_and_or_b32 v6, v35, s26, 0x800000
	v_mov_b32_e32 v47, v7
	s_delay_alu instid0(VALU_DEP_2) | instskip(NEXT) | instid1(VALU_DEP_1)
	v_mul_u64_e32 v[36:37], s[22:23], v[6:7]
	v_dual_mov_b32 v39, v7 :: v_dual_mov_b32 v38, v37
	v_lshrrev_b32_e32 v37, 23, v35
	s_delay_alu instid0(VALU_DEP_2) | instskip(SKIP_1) | instid1(VALU_DEP_3)
	v_mad_nc_u64_u32 v[38:39], 0x3c439041, v6, v[38:39]
	v_mov_b32_e32 v41, v7
	v_add_nc_u32_e32 v37, 0xffffff88, v37
	s_delay_alu instid0(VALU_DEP_1) | instskip(NEXT) | instid1(VALU_DEP_4)
	v_cmp_lt_u32_e64 s5, 63, v37
	v_mov_b32_e32 v40, v39
	s_delay_alu instid0(VALU_DEP_2) | instskip(NEXT) | instid1(VALU_DEP_2)
	v_cndmask_b32_e64 v39, 0, 0xffffffc0, s5
	v_mad_nc_u64_u32 v[40:41], 0xdb629599, v6, v[40:41]
	s_delay_alu instid0(VALU_DEP_1) | instskip(NEXT) | instid1(VALU_DEP_2)
	v_dual_mov_b32 v43, v7 :: v_dual_mov_b32 v42, v41
	v_cndmask_b32_e64 v36, v40, v36, s5
	s_delay_alu instid0(VALU_DEP_2) | instskip(NEXT) | instid1(VALU_DEP_1)
	v_mad_nc_u64_u32 v[42:43], 0xf534ddc0, v6, v[42:43]
	v_dual_mov_b32 v45, v7 :: v_dual_mov_b32 v44, v43
	s_delay_alu instid0(VALU_DEP_1) | instskip(NEXT) | instid1(VALU_DEP_1)
	v_mad_nc_u64_u32 v[44:45], 0xfc2757d1, v6, v[44:45]
	v_mov_b32_e32 v46, v45
	s_delay_alu instid0(VALU_DEP_1) | instskip(SKIP_2) | instid1(VALU_DEP_2)
	v_mad_nc_u64_u32 v[46:47], 0x4e441529, v6, v[46:47]
	v_add_nc_u32_e32 v37, v39, v37
	v_mov_b32_e32 v49, v7
	v_cmp_lt_u32_e64 s6, 31, v37
	s_delay_alu instid0(VALU_DEP_4) | instskip(NEXT) | instid1(VALU_DEP_2)
	v_mov_b32_e32 v48, v47
	v_cndmask_b32_e64 v39, 0, 0xffffffe0, s6
	s_delay_alu instid0(VALU_DEP_2) | instskip(NEXT) | instid1(VALU_DEP_2)
	v_mad_nc_u64_u32 v[48:49], 0xa2f9836e, v6, v[48:49]
	v_dual_add_nc_u32 v6, v39, v37 :: v_dual_cndmask_b32 v39, v46, v42, s5
	s_delay_alu instid0(VALU_DEP_2) | instskip(NEXT) | instid1(VALU_DEP_2)
	v_cndmask_b32_e64 v41, v48, v44, s5
	v_cmp_lt_u32_e64 s7, 31, v6
	s_delay_alu instid0(VALU_DEP_4) | instskip(NEXT) | instid1(VALU_DEP_2)
	v_dual_cndmask_b32 v43, v49, v46, s5 :: v_dual_cndmask_b32 v44, v44, v40, s5
	v_cndmask_b32_e64 v37, 0, 0xffffffe0, s7
	s_delay_alu instid0(VALU_DEP_1) | instskip(SKIP_1) | instid1(VALU_DEP_4)
	v_add_nc_u32_e32 v6, v37, v6
	v_dual_cndmask_b32 v37, v42, v38, s5 :: v_dual_cndmask_b32 v38, v41, v39, s6
	v_cndmask_b32_e64 v41, v43, v41, s6
	s_delay_alu instid0(VALU_DEP_3) | instskip(NEXT) | instid1(VALU_DEP_3)
	v_dual_cndmask_b32 v39, v39, v44, s6 :: v_dual_sub_nc_u32 v42, 32, v6
	v_cndmask_b32_e64 v43, v44, v37, s6
	v_cmp_eq_u32_e64 s5, 0, v6
	s_delay_alu instid0(VALU_DEP_3) | instskip(NEXT) | instid1(VALU_DEP_1)
	v_dual_cndmask_b32 v41, v41, v38, s7 :: v_dual_cndmask_b32 v38, v38, v39, s7
	v_alignbit_b32 v44, v41, v38, v42
	s_delay_alu instid0(VALU_DEP_1) | instskip(NEXT) | instid1(VALU_DEP_1)
	v_dual_cndmask_b32 v39, v39, v43, s7 :: v_dual_cndmask_b32 v6, v44, v41, s5
	v_alignbit_b32 v40, v38, v39, v42
	s_delay_alu instid0(VALU_DEP_1) | instskip(NEXT) | instid1(VALU_DEP_3)
	v_dual_cndmask_b32 v36, v37, v36, s6 :: v_dual_cndmask_b32 v37, v40, v38, s5
	v_bfe_u32 v38, v6, 29, 1
	s_delay_alu instid0(VALU_DEP_2) | instskip(NEXT) | instid1(VALU_DEP_3)
	v_cndmask_b32_e64 v36, v43, v36, s7
	v_alignbit_b32 v40, v6, v37, 30
	s_delay_alu instid0(VALU_DEP_3) | instskip(NEXT) | instid1(VALU_DEP_3)
	v_sub_nc_u32_e32 v41, 0, v38
	v_alignbit_b32 v42, v39, v36, v42
	s_delay_alu instid0(VALU_DEP_1) | instskip(NEXT) | instid1(VALU_DEP_1)
	v_dual_cndmask_b32 v39, v42, v39, s5 :: v_dual_bitop2_b32 v40, v40, v41 bitop3:0x14
	v_clz_i32_u32_e32 v42, v40
	s_delay_alu instid0(VALU_DEP_2) | instskip(SKIP_1) | instid1(VALU_DEP_3)
	v_alignbit_b32 v37, v37, v39, 30
	v_alignbit_b32 v36, v39, v36, 30
	v_min_u32_e32 v42, 32, v42
	s_delay_alu instid0(VALU_DEP_3) | instskip(NEXT) | instid1(VALU_DEP_3)
	v_xor_b32_e32 v37, v37, v41
	v_dual_lshrrev_b32 v41, 29, v6 :: v_dual_bitop2_b32 v36, v36, v41 bitop3:0x14
	s_delay_alu instid0(VALU_DEP_3) | instskip(NEXT) | instid1(VALU_DEP_1)
	v_dual_sub_nc_u32 v39, 31, v42 :: v_dual_lshlrev_b32 v43, 23, v42
	v_alignbit_b32 v40, v40, v37, v39
	s_delay_alu instid0(VALU_DEP_3) | instskip(NEXT) | instid1(VALU_DEP_4)
	v_alignbit_b32 v36, v37, v36, v39
	v_lshlrev_b32_e32 v37, 31, v41
	s_delay_alu instid0(VALU_DEP_2) | instskip(NEXT) | instid1(VALU_DEP_2)
	v_alignbit_b32 v39, v40, v36, 9
	v_dual_lshrrev_b32 v40, 9, v40 :: v_dual_bitop2_b32 v41, 0.5, v37 bitop3:0x54
	v_or_b32_e32 v37, 0x33000000, v37
	s_delay_alu instid0(VALU_DEP_3) | instskip(NEXT) | instid1(VALU_DEP_3)
	v_clz_i32_u32_e32 v44, v39
	v_sub_nc_u32_e32 v41, v41, v43
	s_delay_alu instid0(VALU_DEP_2) | instskip(NEXT) | instid1(VALU_DEP_1)
	v_min_u32_e32 v43, 32, v44
	v_add_lshl_u32 v42, v43, v42, 23
	s_delay_alu instid0(VALU_DEP_3) | instskip(SKIP_1) | instid1(VALU_DEP_2)
	v_or_b32_e32 v40, v40, v41
	v_not_b32_e32 v41, v43
	v_dual_mul_f32 v44, 0x3fc90fda, v40 :: v_dual_sub_nc_u32 v37, v37, v42
	s_delay_alu instid0(VALU_DEP_2) | instskip(NEXT) | instid1(VALU_DEP_2)
	v_alignbit_b32 v36, v39, v36, v41
	v_fma_f32 v39, 0x3fc90fda, v40, -v44
	s_delay_alu instid0(VALU_DEP_2) | instskip(NEXT) | instid1(VALU_DEP_2)
	v_lshrrev_b32_e32 v36, 9, v36
	v_fmac_f32_e32 v39, 0x33a22168, v40
	s_delay_alu instid0(VALU_DEP_2) | instskip(NEXT) | instid1(VALU_DEP_1)
	v_or_b32_e32 v36, v37, v36
	v_dual_fmac_f32 v39, 0x3fc90fda, v36 :: v_dual_lshrrev_b32 v36, 30, v6
	s_delay_alu instid0(VALU_DEP_1)
	v_dual_add_nc_u32 v36, v38, v36 :: v_dual_add_f32 v6, v44, v39
	s_and_not1_saveexec_b32 s5, s29
	s_cbranch_execz .LBB98_26
.LBB98_31:                              ;   in Loop: Header=BB98_4 Depth=1
	v_mul_f32_e64 v6, 0x3f22f983, |v22|
	s_delay_alu instid0(VALU_DEP_1) | instskip(NEXT) | instid1(VALU_DEP_1)
	v_rndne_f32_e32 v36, v6
	v_fma_f32 v6, 0xbfc90fda, v36, |v22|
	s_delay_alu instid0(VALU_DEP_1) | instskip(NEXT) | instid1(VALU_DEP_1)
	v_fmac_f32_e32 v6, 0xb3a22168, v36
	v_fmac_f32_e32 v6, 0xa7c234c4, v36
	v_cvt_i32_f32_e32 v36, v36
	s_or_b32 exec_lo, exec_lo, s5
	s_and_saveexec_b32 s5, s4
	s_delay_alu instid0(SALU_CYCLE_1)
	s_xor_b32 s5, exec_lo, s5
	s_cbranch_execz .LBB98_27
.LBB98_32:                              ;   in Loop: Header=BB98_4 Depth=1
	v_dual_mul_f32 v37, v27, v27 :: v_dual_bitop2_b32 v28, 1, v28 bitop3:0x40
	s_delay_alu instid0(VALU_DEP_1) | instskip(SKIP_1) | instid1(VALU_DEP_3)
	v_fmaak_f32 v38, s28, v37, 0xbf039337
	v_fmaak_f32 v39, s27, v37, 0x3ec54587
	v_cmp_eq_u32_e64 s4, 0, v28
	s_delay_alu instid0(VALU_DEP_3) | instskip(NEXT) | instid1(VALU_DEP_1)
	v_fmaak_f32 v38, v37, v38, 0x3f93f425
	v_rcp_f32_e32 v38, v38
	v_nop
	s_delay_alu instid0(TRANS32_DEP_1) | instskip(NEXT) | instid1(VALU_DEP_1)
	v_mul_f32_e32 v38, v39, v38
	v_mul_f32_e32 v37, v37, v38
	s_delay_alu instid0(VALU_DEP_1) | instskip(NEXT) | instid1(VALU_DEP_1)
	v_fma_f32 v38, v37, v27, v27
	v_rcp_f32_e32 v39, v38
	v_sub_f32_e32 v40, v38, v27
	s_delay_alu instid0(VALU_DEP_1) | instskip(NEXT) | instid1(TRANS32_DEP_1)
	v_fma_f32 v27, v37, v27, -v40
	v_fma_f32 v37, v38, -v39, 1.0
	s_delay_alu instid0(VALU_DEP_1) | instskip(NEXT) | instid1(VALU_DEP_1)
	v_fma_f32 v27, v27, -v39, v37
	v_fma_f32 v27, v27, -v39, -v39
	s_delay_alu instid0(VALU_DEP_1) | instskip(SKIP_1) | instid1(VALU_DEP_2)
	v_cndmask_b32_e64 v27, v27, v38, s4
	v_cmp_class_f32_e64 s4, v25, 0x1f8
	v_xor3_b32 v26, v26, v25, v27
	s_delay_alu instid0(VALU_DEP_1)
	v_cndmask_b32_e64 v25, 0x7fc00000, v26, s4
	global_store_b32 v[10:11], v25, off
	s_wait_xcnt 0x0
	s_or_b32 exec_lo, exec_lo, s5
	s_and_saveexec_b32 s4, s3
	s_cbranch_execz .LBB98_28
.LBB98_33:                              ;   in Loop: Header=BB98_4 Depth=1
	v_mul_f32_e32 v25, v30, v30
	s_delay_alu instid0(VALU_DEP_1) | instskip(SKIP_1) | instid1(VALU_DEP_2)
	v_fmaak_f32 v26, s28, v25, 0xbf039337
	v_fmaak_f32 v27, s27, v25, 0x3ec54587
	;; [unrolled: 1-line block ×3, first 2 shown]
	s_delay_alu instid0(VALU_DEP_1) | instskip(SKIP_1) | instid1(TRANS32_DEP_1)
	v_rcp_f32_e32 v26, v26
	v_nop
	v_mul_f32_e32 v26, v27, v26
	s_delay_alu instid0(VALU_DEP_1) | instskip(NEXT) | instid1(VALU_DEP_1)
	v_mul_f32_e32 v25, v25, v26
	v_fma_f32 v26, v25, v30, v30
	s_delay_alu instid0(VALU_DEP_1) | instskip(NEXT) | instid1(VALU_DEP_1)
	v_sub_f32_e32 v28, v26, v30
	v_fma_f32 v25, v25, v30, -v28
	v_rcp_f32_e32 v27, v26
	v_nop
	s_delay_alu instid0(TRANS32_DEP_1) | instskip(NEXT) | instid1(VALU_DEP_1)
	v_fma_f32 v28, v26, -v27, 1.0
	v_fma_f32 v25, v25, -v27, v28
	v_and_b32_e32 v28, 1, v31
	s_delay_alu instid0(VALU_DEP_2) | instskip(NEXT) | instid1(VALU_DEP_2)
	v_fma_f32 v25, v25, -v27, -v27
	v_cmp_eq_u32_e64 s3, 0, v28
	s_delay_alu instid0(VALU_DEP_1) | instskip(SKIP_1) | instid1(VALU_DEP_2)
	v_cndmask_b32_e64 v25, v25, v26, s3
	v_cmp_class_f32_e64 s3, v24, 0x1f8
	v_xor3_b32 v25, v29, v24, v25
	s_delay_alu instid0(VALU_DEP_1)
	v_cndmask_b32_e64 v24, 0x7fc00000, v25, s3
	global_store_b32 v[16:17], v24, off
	s_wait_xcnt 0x0
	s_or_b32 exec_lo, exec_lo, s4
	s_and_saveexec_b32 s3, s2
	s_cbranch_execz .LBB98_29
.LBB98_34:                              ;   in Loop: Header=BB98_4 Depth=1
	v_mul_f32_e32 v24, v33, v33
	s_delay_alu instid0(VALU_DEP_1) | instskip(SKIP_1) | instid1(VALU_DEP_2)
	v_fmaak_f32 v25, s28, v24, 0xbf039337
	v_fmaak_f32 v26, s27, v24, 0x3ec54587
	;; [unrolled: 1-line block ×3, first 2 shown]
	s_delay_alu instid0(VALU_DEP_1) | instskip(SKIP_1) | instid1(TRANS32_DEP_1)
	v_rcp_f32_e32 v25, v25
	v_nop
	v_mul_f32_e32 v25, v26, v25
	s_delay_alu instid0(VALU_DEP_1) | instskip(NEXT) | instid1(VALU_DEP_1)
	v_mul_f32_e32 v24, v24, v25
	v_fma_f32 v25, v24, v33, v33
	s_delay_alu instid0(VALU_DEP_1) | instskip(NEXT) | instid1(VALU_DEP_1)
	v_sub_f32_e32 v27, v25, v33
	v_fma_f32 v24, v24, v33, -v27
	v_rcp_f32_e32 v26, v25
	v_nop
	s_delay_alu instid0(TRANS32_DEP_1) | instskip(NEXT) | instid1(VALU_DEP_1)
	v_fma_f32 v27, v25, -v26, 1.0
	v_fma_f32 v24, v24, -v26, v27
	v_and_b32_e32 v27, 1, v34
	s_delay_alu instid0(VALU_DEP_2) | instskip(NEXT) | instid1(VALU_DEP_2)
	v_fma_f32 v24, v24, -v26, -v26
	v_cmp_eq_u32_e64 s2, 0, v27
	s_delay_alu instid0(VALU_DEP_1) | instskip(SKIP_1) | instid1(VALU_DEP_2)
	v_cndmask_b32_e64 v24, v24, v25, s2
	v_cmp_class_f32_e64 s2, v23, 0x1f8
	v_xor3_b32 v24, v32, v23, v24
	s_delay_alu instid0(VALU_DEP_1)
	v_cndmask_b32_e64 v23, 0x7fc00000, v24, s2
	global_store_b32 v[20:21], v23, off
	s_wait_xcnt 0x0
	s_or_b32 exec_lo, exec_lo, s3
	s_and_saveexec_b32 s2, vcc_lo
	s_cbranch_execz .LBB98_3
.LBB98_35:                              ;   in Loop: Header=BB98_4 Depth=1
	v_mul_f32_e32 v20, v6, v6
	s_delay_alu instid0(VALU_DEP_1) | instskip(SKIP_1) | instid1(VALU_DEP_2)
	v_fmaak_f32 v21, s28, v20, 0xbf039337
	v_fmaak_f32 v23, s27, v20, 0x3ec54587
	;; [unrolled: 1-line block ×3, first 2 shown]
	s_delay_alu instid0(VALU_DEP_1) | instskip(SKIP_1) | instid1(TRANS32_DEP_1)
	v_rcp_f32_e32 v21, v21
	v_nop
	v_mul_f32_e32 v21, v23, v21
	s_delay_alu instid0(VALU_DEP_1) | instskip(NEXT) | instid1(VALU_DEP_1)
	v_mul_f32_e32 v20, v20, v21
	v_fma_f32 v21, v20, v6, v6
	s_delay_alu instid0(VALU_DEP_1) | instskip(NEXT) | instid1(VALU_DEP_1)
	v_sub_f32_e32 v24, v21, v6
	v_fma_f32 v6, v20, v6, -v24
	v_rcp_f32_e32 v23, v21
	v_nop
	s_delay_alu instid0(TRANS32_DEP_1) | instskip(NEXT) | instid1(VALU_DEP_1)
	v_fma_f32 v20, v21, -v23, 1.0
	v_dual_fma_f32 v6, v6, -v23, v20 :: v_dual_bitop2_b32 v20, 1, v36 bitop3:0x40
	s_delay_alu instid0(VALU_DEP_1) | instskip(NEXT) | instid1(VALU_DEP_2)
	v_fma_f32 v6, v6, -v23, -v23
	v_cmp_eq_u32_e32 vcc_lo, 0, v20
	s_delay_alu instid0(VALU_DEP_2) | instskip(SKIP_1) | instid1(VALU_DEP_2)
	v_cndmask_b32_e32 v6, v6, v21, vcc_lo
	v_cmp_class_f32_e64 vcc_lo, v22, 0x1f8
	v_xor3_b32 v6, v35, v22, v6
	s_delay_alu instid0(VALU_DEP_1)
	v_cndmask_b32_e32 v6, 0x7fc00000, v6, vcc_lo
	global_store_b32 v[18:19], v6, off
	s_branch .LBB98_3
.LBB98_36:
	s_cbranch_execz .LBB98_38
	s_branch .LBB98_57
.LBB98_37:
.LBB98_38:
	v_min_i64 v[6:7], 0x10000, s[12:13]
	v_dual_mov_b32 v9, 0 :: v_dual_lshlrev_b32 v8, 2, v0
	s_mov_b32 s2, exec_lo
	s_delay_alu instid0(VALU_DEP_1)
	v_cmpx_lt_i64_e64 v[8:9], v[6:7]
	s_cbranch_execz .LBB98_57
; %bb.39:
	s_load_b32 s2, s[0:1], 0xd3c
	v_dual_mov_b32 v1, v9 :: v_dual_lshlrev_b32 v8, 4, v0
	s_wait_xcnt 0x0
	s_add_nc_u64 s[0:1], s[8:9], s[10:11]
	s_mov_b32 s3, 0
	s_mov_b32 s8, 0x7fffff
	v_add_nc_u64_e32 v[2:3], s[0:1], v[8:9]
	s_mov_b64 s[4:5], 0xfe5163ab
	s_mov_b32 s9, 0xbc8cedd3
	s_mov_b32 s10, 0x3c971480
	;; [unrolled: 1-line block ×4, first 2 shown]
	s_delay_alu instid0(VALU_DEP_1) | instskip(SKIP_2) | instid1(SALU_CYCLE_1)
	v_add_nc_u64_e32 v[10:11], 8, v[2:3]
	s_wait_kmcnt 0x0
	s_and_b32 s2, s2, 0xffff
	s_lshl_b32 s6, s2, 4
	s_branch .LBB98_41
.LBB98_40:                              ;   in Loop: Header=BB98_41 Depth=1
	s_or_b32 exec_lo, exec_lo, s0
	v_dual_mul_f32 v23, v19, v19 :: v_dual_mul_f32 v24, v16, v16
	v_mul_f32_e32 v25, v14, v14
	v_mul_f32_e32 v26, v22, v22
	v_add_nc_u64_e32 v[0:1], s[2:3], v[0:1]
	s_delay_alu instid0(VALU_DEP_4) | instskip(NEXT) | instid1(VALU_DEP_3)
	v_dual_fmaak_f32 v27, s10, v23, 0xbf039337 :: v_dual_fmaak_f32 v28, s10, v24, 0xbf039337
	v_dual_fmaak_f32 v29, s10, v25, 0xbf039337 :: v_dual_fmaak_f32 v30, s10, v26, 0xbf039337
	v_dual_fmaak_f32 v31, s9, v23, 0x3ec54587 :: v_dual_fmaak_f32 v32, s9, v24, 0x3ec54587
	s_delay_alu instid0(VALU_DEP_3) | instskip(NEXT) | instid1(VALU_DEP_3)
	v_dual_fmaak_f32 v27, v23, v27, 0x3f93f425 :: v_dual_fmaak_f32 v28, v24, v28, 0x3f93f425
	v_dual_fmaak_f32 v29, v25, v29, 0x3f93f425 :: v_dual_fmaak_f32 v30, v26, v30, 0x3f93f425
	;; [unrolled: 1-line block ×3, first 2 shown]
	s_delay_alu instid0(VALU_DEP_3) | instskip(NEXT) | instid1(VALU_DEP_3)
	v_rcp_f32_e32 v27, v27
	v_rcp_f32_e32 v28, v28
	s_delay_alu instid0(VALU_DEP_2) | instskip(SKIP_3) | instid1(TRANS32_DEP_2)
	v_rcp_f32_e32 v29, v29
	v_rcp_f32_e32 v30, v30
	v_and_b32_e32 v21, 1, v21
	v_dual_mul_f32 v27, v31, v27 :: v_dual_bitop2_b32 v13, 1, v13 bitop3:0x40
	v_dual_mul_f32 v28, v32, v28 :: v_dual_mul_f32 v29, v33, v29
	s_delay_alu instid0(TRANS32_DEP_1) | instskip(NEXT) | instid1(VALU_DEP_4)
	v_mul_f32_e32 v30, v34, v30
	v_cmp_eq_u32_e32 vcc_lo, 0, v21
	s_delay_alu instid0(VALU_DEP_3) | instskip(NEXT) | instid1(VALU_DEP_3)
	v_dual_mul_f32 v23, v23, v27 :: v_dual_mul_f32 v24, v24, v28
	v_dual_mul_f32 v25, v25, v29 :: v_dual_mul_f32 v26, v26, v30
	s_delay_alu instid0(VALU_DEP_2) | instskip(NEXT) | instid1(VALU_DEP_2)
	v_dual_fma_f32 v27, v23, v19, v19 :: v_dual_bitop2_b32 v17, 1, v17 bitop3:0x40
	v_dual_fma_f32 v28, v24, v16, v16 :: v_dual_fma_f32 v29, v25, v14, v14
	s_delay_alu instid0(VALU_DEP_3) | instskip(NEXT) | instid1(VALU_DEP_3)
	v_fma_f32 v30, v26, v22, v22
	v_rcp_f32_e32 v32, v27
	v_sub_f32_e32 v31, v27, v19
	s_delay_alu instid0(VALU_DEP_3) | instskip(SKIP_2) | instid1(VALU_DEP_2)
	v_rcp_f32_e32 v34, v28
	v_rcp_f32_e32 v36, v29
	v_dual_sub_f32 v33, v28, v16 :: v_dual_sub_f32 v35, v29, v14
	v_dual_fma_f32 v19, v23, v19, -v31 :: v_dual_sub_f32 v37, v30, v22
	s_delay_alu instid0(TRANS32_DEP_3) | instskip(SKIP_1) | instid1(VALU_DEP_3)
	v_fma_f32 v23, v27, -v32, 1.0
	v_rcp_f32_e32 v38, v30
	v_fma_f32 v16, v24, v16, -v33
	v_fma_f32 v24, v28, -v34, 1.0
	v_fma_f32 v14, v25, v14, -v35
	v_dual_fma_f32 v22, v26, v22, -v37 :: v_dual_fma_f32 v19, v19, -v32, v23
	v_fma_f32 v23, v29, -v36, 1.0
	s_delay_alu instid0(VALU_DEP_4) | instskip(SKIP_1) | instid1(VALU_DEP_3)
	v_fma_f32 v16, v16, -v34, v24
	v_fma_f32 v24, v30, -v38, 1.0
	v_fma_f32 v14, v14, -v36, v23
	s_delay_alu instid0(VALU_DEP_3) | instskip(NEXT) | instid1(VALU_DEP_1)
	v_dual_fma_f32 v19, v19, -v32, -v32 :: v_dual_fma_f32 v16, v16, -v34, -v34
	v_dual_fma_f32 v22, v22, -v38, v24 :: v_dual_cndmask_b32 v19, v19, v27, vcc_lo
	v_cmp_eq_u32_e32 vcc_lo, 0, v17
	s_delay_alu instid0(VALU_DEP_2) | instskip(SKIP_1) | instid1(VALU_DEP_4)
	v_fma_f32 v17, v22, -v38, -v38
	v_fma_f32 v14, v14, -v36, -v36
	v_xor3_b32 v18, v18, v4, v19
	v_cndmask_b32_e32 v16, v16, v28, vcc_lo
	v_cmp_eq_u32_e32 vcc_lo, 0, v13
	v_and_b32_e32 v8, 1, v8
	s_delay_alu instid0(VALU_DEP_3) | instskip(SKIP_1) | instid1(VALU_DEP_3)
	v_xor3_b32 v15, v15, v3, v16
	v_cndmask_b32_e32 v13, v14, v29, vcc_lo
	v_cmp_eq_u32_e32 vcc_lo, 0, v8
	s_delay_alu instid0(VALU_DEP_2) | instskip(SKIP_3) | instid1(VALU_DEP_3)
	v_xor3_b32 v14, v12, v2, v13
	v_cndmask_b32_e32 v8, v17, v30, vcc_lo
	v_cmp_class_f32_e64 vcc_lo, v4, 0x1f8
	v_lshlrev_b64_e32 v[12:13], 2, v[0:1]
	v_xor3_b32 v8, v20, v5, v8
	v_cndmask_b32_e32 v4, 0x7fc00000, v18, vcc_lo
	v_cmp_class_f32_e64 vcc_lo, v3, 0x1f8
	v_cndmask_b32_e32 v3, 0x7fc00000, v15, vcc_lo
	v_cmp_class_f32_e64 vcc_lo, v2, 0x1f8
	;; [unrolled: 2-line block ×3, first 2 shown]
	v_cndmask_b32_e32 v5, 0x7fc00000, v8, vcc_lo
	v_cmp_ge_i64_e32 vcc_lo, v[12:13], v[6:7]
	global_store_b128 v[10:11], v[2:5], off offset:-8
	s_wait_xcnt 0x0
	v_add_nc_u64_e32 v[10:11], s[6:7], v[10:11]
	s_or_b32 s11, vcc_lo, s11
	s_delay_alu instid0(SALU_CYCLE_1)
	s_and_not1_b32 exec_lo, exec_lo, s11
	s_cbranch_execz .LBB98_57
.LBB98_41:                              ; =>This Inner Loop Header: Depth=1
	global_load_b128 v[2:5], v[10:11], off offset:-8
                                        ; implicit-def: $vgpr13
                                        ; implicit-def: $vgpr14
	s_mov_b32 s1, exec_lo
	s_wait_loadcnt 0x0
	v_and_b32_e32 v12, 0x7fffffff, v2
	s_wait_xcnt 0x0
	v_cmpx_ngt_f32_e64 0x48000000, |v2|
	s_xor_b32 s12, exec_lo, s1
	s_cbranch_execz .LBB98_43
; %bb.42:                               ;   in Loop: Header=BB98_41 Depth=1
	v_and_or_b32 v8, v12, s8, 0x800000
	v_dual_lshrrev_b32 v13, 23, v12 :: v_dual_mov_b32 v25, v9
	v_mov_b32_e32 v27, v9
	s_delay_alu instid0(VALU_DEP_3) | instskip(SKIP_1) | instid1(VALU_DEP_4)
	v_mul_u64_e32 v[14:15], s[4:5], v[8:9]
	v_mov_b32_e32 v17, v9
	v_add_nc_u32_e32 v13, 0xffffff88, v13
	s_delay_alu instid0(VALU_DEP_1) | instskip(NEXT) | instid1(VALU_DEP_4)
	v_cmp_lt_u32_e32 vcc_lo, 63, v13
	v_mov_b32_e32 v16, v15
	v_cndmask_b32_e64 v15, 0, 0xffffffc0, vcc_lo
	s_delay_alu instid0(VALU_DEP_2) | instskip(NEXT) | instid1(VALU_DEP_2)
	v_mad_nc_u64_u32 v[16:17], 0x3c439041, v8, v[16:17]
	v_dual_mov_b32 v19, v9 :: v_dual_add_nc_u32 v13, v15, v13
	s_delay_alu instid0(VALU_DEP_1) | instskip(NEXT) | instid1(VALU_DEP_3)
	v_cmp_lt_u32_e64 s0, 31, v13
	v_mov_b32_e32 v18, v17
	s_delay_alu instid0(VALU_DEP_2) | instskip(NEXT) | instid1(VALU_DEP_2)
	v_cndmask_b32_e64 v15, 0, 0xffffffe0, s0
	v_mad_nc_u64_u32 v[18:19], 0xdb629599, v8, v[18:19]
	s_delay_alu instid0(VALU_DEP_1) | instskip(NEXT) | instid1(VALU_DEP_2)
	v_dual_mov_b32 v21, v9 :: v_dual_mov_b32 v20, v19
	v_cndmask_b32_e32 v14, v18, v14, vcc_lo
	s_delay_alu instid0(VALU_DEP_2) | instskip(NEXT) | instid1(VALU_DEP_1)
	v_mad_nc_u64_u32 v[20:21], 0xf534ddc0, v8, v[20:21]
	v_dual_mov_b32 v23, v9 :: v_dual_mov_b32 v22, v21
	s_delay_alu instid0(VALU_DEP_1) | instskip(NEXT) | instid1(VALU_DEP_1)
	v_mad_nc_u64_u32 v[22:23], 0xfc2757d1, v8, v[22:23]
	v_dual_mov_b32 v24, v23 :: v_dual_cndmask_b32 v21, v22, v18
	s_delay_alu instid0(VALU_DEP_1) | instskip(NEXT) | instid1(VALU_DEP_1)
	v_mad_nc_u64_u32 v[24:25], 0x4e441529, v8, v[24:25]
	v_mov_b32_e32 v26, v25
	s_delay_alu instid0(VALU_DEP_1) | instskip(NEXT) | instid1(VALU_DEP_3)
	v_mad_nc_u64_u32 v[26:27], 0xa2f9836e, v8, v[26:27]
	v_dual_cndmask_b32 v15, v24, v20 :: v_dual_add_nc_u32 v8, v15, v13
	s_delay_alu instid0(VALU_DEP_1) | instskip(NEXT) | instid1(VALU_DEP_1)
	v_cmp_lt_u32_e64 s1, 31, v8
	v_cndmask_b32_e64 v13, 0, 0xffffffe0, s1
	s_delay_alu instid0(VALU_DEP_4) | instskip(NEXT) | instid1(VALU_DEP_2)
	v_dual_cndmask_b32 v17, v26, v22, vcc_lo :: v_dual_cndmask_b32 v19, v27, v24, vcc_lo
	v_add_nc_u32_e32 v8, v13, v8
	s_delay_alu instid0(VALU_DEP_2) | instskip(NEXT) | instid1(VALU_DEP_3)
	v_dual_cndmask_b32 v13, v20, v16, vcc_lo :: v_dual_cndmask_b32 v16, v17, v15, s0
	v_cndmask_b32_e64 v17, v19, v17, s0
	s_delay_alu instid0(VALU_DEP_3) | instskip(NEXT) | instid1(VALU_DEP_3)
	v_dual_cndmask_b32 v15, v15, v21, s0 :: v_dual_sub_nc_u32 v19, 32, v8
	v_cndmask_b32_e64 v20, v21, v13, s0
	v_cmp_eq_u32_e32 vcc_lo, 0, v8
	s_delay_alu instid0(VALU_DEP_3) | instskip(NEXT) | instid1(VALU_DEP_1)
	v_dual_cndmask_b32 v17, v17, v16, s1 :: v_dual_cndmask_b32 v16, v16, v15, s1
	v_alignbit_b32 v21, v17, v16, v19
	s_delay_alu instid0(VALU_DEP_1) | instskip(NEXT) | instid1(VALU_DEP_1)
	v_dual_cndmask_b32 v15, v15, v20, s1 :: v_dual_cndmask_b32 v8, v21, v17, vcc_lo
	v_alignbit_b32 v18, v16, v15, v19
	s_delay_alu instid0(VALU_DEP_1) | instskip(NEXT) | instid1(VALU_DEP_3)
	v_dual_cndmask_b32 v13, v13, v14, s0 :: v_dual_cndmask_b32 v14, v18, v16, vcc_lo
	v_bfe_u32 v16, v8, 29, 1
	s_delay_alu instid0(VALU_DEP_2) | instskip(NEXT) | instid1(VALU_DEP_3)
	v_cndmask_b32_e64 v13, v20, v13, s1
	v_alignbit_b32 v17, v8, v14, 30
	s_delay_alu instid0(VALU_DEP_3) | instskip(NEXT) | instid1(VALU_DEP_3)
	v_sub_nc_u32_e32 v18, 0, v16
	v_alignbit_b32 v19, v15, v13, v19
	s_delay_alu instid0(VALU_DEP_1) | instskip(NEXT) | instid1(VALU_DEP_1)
	v_dual_cndmask_b32 v15, v19, v15, vcc_lo :: v_dual_bitop2_b32 v17, v17, v18 bitop3:0x14
	v_clz_i32_u32_e32 v19, v17
	s_delay_alu instid0(VALU_DEP_2) | instskip(SKIP_1) | instid1(VALU_DEP_3)
	v_alignbit_b32 v14, v14, v15, 30
	v_alignbit_b32 v13, v15, v13, 30
	v_min_u32_e32 v19, 32, v19
	s_delay_alu instid0(VALU_DEP_3) | instskip(NEXT) | instid1(VALU_DEP_3)
	v_xor_b32_e32 v14, v14, v18
	v_dual_lshrrev_b32 v18, 29, v8 :: v_dual_bitop2_b32 v13, v13, v18 bitop3:0x14
	s_delay_alu instid0(VALU_DEP_3) | instskip(SKIP_1) | instid1(VALU_DEP_2)
	v_dual_lshrrev_b32 v8, 30, v8 :: v_dual_sub_nc_u32 v15, 31, v19
	v_lshlrev_b32_e32 v20, 23, v19
	v_alignbit_b32 v17, v17, v14, v15
	s_delay_alu instid0(VALU_DEP_4) | instskip(SKIP_1) | instid1(VALU_DEP_2)
	v_alignbit_b32 v13, v14, v13, v15
	v_lshlrev_b32_e32 v14, 31, v18
	v_alignbit_b32 v15, v17, v13, 9
	s_delay_alu instid0(VALU_DEP_2) | instskip(SKIP_1) | instid1(VALU_DEP_3)
	v_dual_lshrrev_b32 v17, 9, v17 :: v_dual_bitop2_b32 v18, 0.5, v14 bitop3:0x54
	v_or_b32_e32 v14, 0x33000000, v14
	v_clz_i32_u32_e32 v21, v15
	s_delay_alu instid0(VALU_DEP_3) | instskip(NEXT) | instid1(VALU_DEP_2)
	v_sub_nc_u32_e32 v18, v18, v20
	v_min_u32_e32 v20, 32, v21
	s_delay_alu instid0(VALU_DEP_1) | instskip(NEXT) | instid1(VALU_DEP_3)
	v_add_lshl_u32 v19, v20, v19, 23
	v_or_b32_e32 v17, v17, v18
	v_not_b32_e32 v18, v20
	s_delay_alu instid0(VALU_DEP_2) | instskip(NEXT) | instid1(VALU_DEP_2)
	v_dual_mul_f32 v21, 0x3fc90fda, v17 :: v_dual_sub_nc_u32 v14, v14, v19
	v_alignbit_b32 v13, v15, v13, v18
	s_delay_alu instid0(VALU_DEP_2) | instskip(NEXT) | instid1(VALU_DEP_2)
	v_fma_f32 v15, 0x3fc90fda, v17, -v21
	v_lshrrev_b32_e32 v13, 9, v13
	s_delay_alu instid0(VALU_DEP_2) | instskip(NEXT) | instid1(VALU_DEP_2)
	v_fmac_f32_e32 v15, 0x33a22168, v17
	v_or_b32_e32 v13, v14, v13
	s_delay_alu instid0(VALU_DEP_1) | instskip(NEXT) | instid1(VALU_DEP_1)
	v_fmac_f32_e32 v15, 0x3fc90fda, v13
	v_dual_add_f32 v14, v21, v15 :: v_dual_add_nc_u32 v13, v16, v8
.LBB98_43:                              ;   in Loop: Header=BB98_41 Depth=1
	s_and_not1_saveexec_b32 s0, s12
; %bb.44:                               ;   in Loop: Header=BB98_41 Depth=1
	v_mul_f32_e64 v8, 0x3f22f983, |v2|
	s_delay_alu instid0(VALU_DEP_1) | instskip(NEXT) | instid1(VALU_DEP_1)
	v_rndne_f32_e32 v8, v8
	v_fma_f32 v14, 0xbfc90fda, v8, |v2|
	v_cvt_i32_f32_e32 v13, v8
	s_delay_alu instid0(VALU_DEP_2) | instskip(NEXT) | instid1(VALU_DEP_1)
	v_fmac_f32_e32 v14, 0xb3a22168, v8
	v_fmac_f32_e32 v14, 0xa7c234c4, v8
; %bb.45:                               ;   in Loop: Header=BB98_41 Depth=1
	s_or_b32 exec_lo, exec_lo, s0
	v_and_b32_e32 v15, 0x7fffffff, v3
                                        ; implicit-def: $vgpr17
                                        ; implicit-def: $vgpr16
	s_mov_b32 s1, exec_lo
	v_cmpx_ngt_f32_e64 0x48000000, |v3|
	s_xor_b32 s12, exec_lo, s1
	s_cbranch_execz .LBB98_47
; %bb.46:                               ;   in Loop: Header=BB98_41 Depth=1
	v_and_or_b32 v8, v15, s8, 0x800000
	v_dual_mov_b32 v27, v9 :: v_dual_mov_b32 v29, v9
	s_delay_alu instid0(VALU_DEP_2) | instskip(NEXT) | instid1(VALU_DEP_1)
	v_mul_u64_e32 v[16:17], s[4:5], v[8:9]
	v_dual_mov_b32 v19, v9 :: v_dual_mov_b32 v18, v17
	v_lshrrev_b32_e32 v17, 23, v15
	s_delay_alu instid0(VALU_DEP_2) | instskip(SKIP_1) | instid1(VALU_DEP_3)
	v_mad_nc_u64_u32 v[18:19], 0x3c439041, v8, v[18:19]
	v_mov_b32_e32 v21, v9
	v_add_nc_u32_e32 v17, 0xffffff88, v17
	s_delay_alu instid0(VALU_DEP_1) | instskip(NEXT) | instid1(VALU_DEP_4)
	v_cmp_lt_u32_e32 vcc_lo, 63, v17
	v_mov_b32_e32 v20, v19
	v_cndmask_b32_e64 v19, 0, 0xffffffc0, vcc_lo
	s_delay_alu instid0(VALU_DEP_2) | instskip(NEXT) | instid1(VALU_DEP_2)
	v_mad_nc_u64_u32 v[20:21], 0xdb629599, v8, v[20:21]
	v_dual_mov_b32 v23, v9 :: v_dual_add_nc_u32 v17, v19, v17
	s_delay_alu instid0(VALU_DEP_1) | instskip(NEXT) | instid1(VALU_DEP_3)
	v_cmp_lt_u32_e64 s0, 31, v17
	v_mov_b32_e32 v22, v21
	s_delay_alu instid0(VALU_DEP_2) | instskip(SKIP_1) | instid1(VALU_DEP_3)
	v_cndmask_b32_e64 v19, 0, 0xffffffe0, s0
	v_cndmask_b32_e32 v16, v20, v16, vcc_lo
	v_mad_nc_u64_u32 v[22:23], 0xf534ddc0, v8, v[22:23]
	s_delay_alu instid0(VALU_DEP_1) | instskip(NEXT) | instid1(VALU_DEP_1)
	v_dual_mov_b32 v25, v9 :: v_dual_mov_b32 v24, v23
	v_mad_nc_u64_u32 v[24:25], 0xfc2757d1, v8, v[24:25]
	s_delay_alu instid0(VALU_DEP_1) | instskip(NEXT) | instid1(VALU_DEP_1)
	v_mov_b32_e32 v26, v25
	v_mad_nc_u64_u32 v[26:27], 0x4e441529, v8, v[26:27]
	s_delay_alu instid0(VALU_DEP_1) | instskip(NEXT) | instid1(VALU_DEP_1)
	v_mov_b32_e32 v28, v27
	v_mad_nc_u64_u32 v[28:29], 0xa2f9836e, v8, v[28:29]
	s_delay_alu instid0(VALU_DEP_3) | instskip(NEXT) | instid1(VALU_DEP_2)
	v_dual_cndmask_b32 v19, v26, v22 :: v_dual_add_nc_u32 v8, v19, v17
	v_cndmask_b32_e32 v21, v28, v24, vcc_lo
	s_delay_alu instid0(VALU_DEP_2) | instskip(NEXT) | instid1(VALU_DEP_4)
	v_cmp_lt_u32_e64 s1, 31, v8
	v_dual_cndmask_b32 v23, v29, v26 :: v_dual_cndmask_b32 v24, v24, v20
	s_delay_alu instid0(VALU_DEP_2) | instskip(NEXT) | instid1(VALU_DEP_1)
	v_cndmask_b32_e64 v17, 0, 0xffffffe0, s1
	v_dual_cndmask_b32 v17, v22, v18 :: v_dual_add_nc_u32 v8, v17, v8
	s_delay_alu instid0(VALU_DEP_3) | instskip(NEXT) | instid1(VALU_DEP_4)
	v_dual_cndmask_b32 v18, v21, v19, s0 :: v_dual_cndmask_b32 v21, v23, v21, s0
	v_cndmask_b32_e64 v19, v19, v24, s0
	s_delay_alu instid0(VALU_DEP_3) | instskip(SKIP_1) | instid1(VALU_DEP_3)
	v_dual_sub_nc_u32 v22, 32, v8 :: v_dual_cndmask_b32 v23, v24, v17, s0
	v_cmp_eq_u32_e32 vcc_lo, 0, v8
	v_dual_cndmask_b32 v21, v21, v18, s1 :: v_dual_cndmask_b32 v18, v18, v19, s1
	s_delay_alu instid0(VALU_DEP_1) | instskip(NEXT) | instid1(VALU_DEP_1)
	v_alignbit_b32 v24, v21, v18, v22
	v_dual_cndmask_b32 v19, v19, v23, s1 :: v_dual_cndmask_b32 v8, v24, v21, vcc_lo
	s_delay_alu instid0(VALU_DEP_1) | instskip(NEXT) | instid1(VALU_DEP_1)
	v_alignbit_b32 v20, v18, v19, v22
	v_dual_cndmask_b32 v16, v17, v16, s0 :: v_dual_cndmask_b32 v17, v20, v18, vcc_lo
	s_delay_alu instid0(VALU_DEP_3) | instskip(NEXT) | instid1(VALU_DEP_2)
	v_bfe_u32 v18, v8, 29, 1
	v_cndmask_b32_e64 v16, v23, v16, s1
	s_delay_alu instid0(VALU_DEP_3) | instskip(NEXT) | instid1(VALU_DEP_3)
	v_alignbit_b32 v20, v8, v17, 30
	v_sub_nc_u32_e32 v21, 0, v18
	s_delay_alu instid0(VALU_DEP_3) | instskip(NEXT) | instid1(VALU_DEP_1)
	v_alignbit_b32 v22, v19, v16, v22
	v_dual_cndmask_b32 v19, v22, v19, vcc_lo :: v_dual_bitop2_b32 v20, v20, v21 bitop3:0x14
	s_delay_alu instid0(VALU_DEP_1) | instskip(NEXT) | instid1(VALU_DEP_2)
	v_clz_i32_u32_e32 v22, v20
	v_alignbit_b32 v17, v17, v19, 30
	v_alignbit_b32 v16, v19, v16, 30
	s_delay_alu instid0(VALU_DEP_3) | instskip(NEXT) | instid1(VALU_DEP_3)
	v_min_u32_e32 v22, 32, v22
	v_xor_b32_e32 v17, v17, v21
	s_delay_alu instid0(VALU_DEP_3) | instskip(NEXT) | instid1(VALU_DEP_3)
	v_dual_lshrrev_b32 v21, 29, v8 :: v_dual_bitop2_b32 v16, v16, v21 bitop3:0x14
	v_dual_sub_nc_u32 v19, 31, v22 :: v_dual_lshlrev_b32 v23, 23, v22
	s_delay_alu instid0(VALU_DEP_1) | instskip(NEXT) | instid1(VALU_DEP_3)
	v_alignbit_b32 v20, v20, v17, v19
	v_alignbit_b32 v16, v17, v16, v19
	s_delay_alu instid0(VALU_DEP_4) | instskip(NEXT) | instid1(VALU_DEP_2)
	v_lshlrev_b32_e32 v17, 31, v21
	v_alignbit_b32 v19, v20, v16, 9
	s_delay_alu instid0(VALU_DEP_2) | instskip(SKIP_1) | instid1(VALU_DEP_3)
	v_dual_lshrrev_b32 v20, 9, v20 :: v_dual_bitop2_b32 v21, 0.5, v17 bitop3:0x54
	v_or_b32_e32 v17, 0x33000000, v17
	v_clz_i32_u32_e32 v24, v19
	s_delay_alu instid0(VALU_DEP_3) | instskip(NEXT) | instid1(VALU_DEP_2)
	v_sub_nc_u32_e32 v21, v21, v23
	v_min_u32_e32 v23, 32, v24
	s_delay_alu instid0(VALU_DEP_1) | instskip(NEXT) | instid1(VALU_DEP_3)
	v_add_lshl_u32 v22, v23, v22, 23
	v_or_b32_e32 v20, v20, v21
	v_not_b32_e32 v21, v23
	s_delay_alu instid0(VALU_DEP_2) | instskip(NEXT) | instid1(VALU_DEP_2)
	v_dual_mul_f32 v24, 0x3fc90fda, v20 :: v_dual_sub_nc_u32 v17, v17, v22
	v_alignbit_b32 v16, v19, v16, v21
	s_delay_alu instid0(VALU_DEP_2) | instskip(NEXT) | instid1(VALU_DEP_2)
	v_fma_f32 v19, 0x3fc90fda, v20, -v24
	v_lshrrev_b32_e32 v16, 9, v16
	s_delay_alu instid0(VALU_DEP_2) | instskip(NEXT) | instid1(VALU_DEP_2)
	v_fmac_f32_e32 v19, 0x33a22168, v20
	v_or_b32_e32 v16, v17, v16
	s_delay_alu instid0(VALU_DEP_1) | instskip(NEXT) | instid1(VALU_DEP_1)
	v_fmac_f32_e32 v19, 0x3fc90fda, v16
	v_dual_lshrrev_b32 v8, 30, v8 :: v_dual_add_f32 v16, v24, v19
	s_delay_alu instid0(VALU_DEP_1)
	v_add_nc_u32_e32 v17, v18, v8
.LBB98_47:                              ;   in Loop: Header=BB98_41 Depth=1
	s_and_not1_saveexec_b32 s0, s12
; %bb.48:                               ;   in Loop: Header=BB98_41 Depth=1
	v_mul_f32_e64 v8, 0x3f22f983, |v3|
	s_delay_alu instid0(VALU_DEP_1) | instskip(NEXT) | instid1(VALU_DEP_1)
	v_rndne_f32_e32 v8, v8
	v_fma_f32 v16, 0xbfc90fda, v8, |v3|
	v_cvt_i32_f32_e32 v17, v8
	s_delay_alu instid0(VALU_DEP_2) | instskip(NEXT) | instid1(VALU_DEP_1)
	v_fmac_f32_e32 v16, 0xb3a22168, v8
	v_fmac_f32_e32 v16, 0xa7c234c4, v8
; %bb.49:                               ;   in Loop: Header=BB98_41 Depth=1
	s_or_b32 exec_lo, exec_lo, s0
	v_and_b32_e32 v18, 0x7fffffff, v4
                                        ; implicit-def: $vgpr21
                                        ; implicit-def: $vgpr19
	s_mov_b32 s1, exec_lo
	v_cmpx_ngt_f32_e64 0x48000000, |v4|
	s_xor_b32 s12, exec_lo, s1
	s_cbranch_execz .LBB98_51
; %bb.50:                               ;   in Loop: Header=BB98_41 Depth=1
	v_and_or_b32 v8, v18, s8, 0x800000
	v_dual_lshrrev_b32 v19, 23, v18 :: v_dual_mov_b32 v31, v9
	s_delay_alu instid0(VALU_DEP_2) | instskip(SKIP_1) | instid1(VALU_DEP_3)
	v_mul_u64_e32 v[20:21], s[4:5], v[8:9]
	v_mov_b32_e32 v23, v9
	v_add_nc_u32_e32 v19, 0xffffff88, v19
	s_delay_alu instid0(VALU_DEP_1) | instskip(NEXT) | instid1(VALU_DEP_4)
	v_cmp_lt_u32_e32 vcc_lo, 63, v19
	v_mov_b32_e32 v22, v21
	v_cndmask_b32_e64 v21, 0, 0xffffffc0, vcc_lo
	s_delay_alu instid0(VALU_DEP_2) | instskip(NEXT) | instid1(VALU_DEP_1)
	v_mad_nc_u64_u32 v[22:23], 0x3c439041, v8, v[22:23]
	v_dual_mov_b32 v25, v9 :: v_dual_mov_b32 v24, v23
	s_delay_alu instid0(VALU_DEP_1) | instskip(NEXT) | instid1(VALU_DEP_1)
	v_mad_nc_u64_u32 v[24:25], 0xdb629599, v8, v[24:25]
	v_dual_mov_b32 v27, v9 :: v_dual_mov_b32 v26, v25
	s_delay_alu instid0(VALU_DEP_2) | instskip(NEXT) | instid1(VALU_DEP_2)
	v_cndmask_b32_e32 v20, v24, v20, vcc_lo
	v_mad_nc_u64_u32 v[26:27], 0xf534ddc0, v8, v[26:27]
	s_delay_alu instid0(VALU_DEP_1) | instskip(NEXT) | instid1(VALU_DEP_1)
	v_dual_mov_b32 v29, v9 :: v_dual_mov_b32 v28, v27
	v_mad_nc_u64_u32 v[28:29], 0xfc2757d1, v8, v[28:29]
	s_delay_alu instid0(VALU_DEP_1) | instskip(NEXT) | instid1(VALU_DEP_1)
	v_dual_mov_b32 v30, v29 :: v_dual_cndmask_b32 v27, v28, v24
	v_mad_nc_u64_u32 v[30:31], 0x4e441529, v8, v[30:31]
	v_add_nc_u32_e32 v19, v21, v19
	s_delay_alu instid0(VALU_DEP_2) | instskip(NEXT) | instid1(VALU_DEP_2)
	v_dual_mov_b32 v33, v9 :: v_dual_mov_b32 v32, v31
	v_cmp_lt_u32_e64 s0, 31, v19
	s_delay_alu instid0(VALU_DEP_2) | instskip(NEXT) | instid1(VALU_DEP_2)
	v_mad_nc_u64_u32 v[32:33], 0xa2f9836e, v8, v[32:33]
	v_cndmask_b32_e64 v21, 0, 0xffffffe0, s0
	s_delay_alu instid0(VALU_DEP_1) | instskip(NEXT) | instid1(VALU_DEP_3)
	v_dual_cndmask_b32 v21, v30, v26 :: v_dual_add_nc_u32 v8, v21, v19
	v_cndmask_b32_e32 v23, v32, v28, vcc_lo
	s_delay_alu instid0(VALU_DEP_2) | instskip(SKIP_1) | instid1(VALU_DEP_2)
	v_cmp_lt_u32_e64 s1, 31, v8
	v_cndmask_b32_e32 v25, v33, v30, vcc_lo
	v_cndmask_b32_e64 v19, 0, 0xffffffe0, s1
	s_delay_alu instid0(VALU_DEP_1) | instskip(NEXT) | instid1(VALU_DEP_3)
	v_dual_cndmask_b32 v19, v26, v22 :: v_dual_add_nc_u32 v8, v19, v8
	v_dual_cndmask_b32 v22, v23, v21, s0 :: v_dual_cndmask_b32 v23, v25, v23, s0
	s_delay_alu instid0(VALU_DEP_2) | instskip(NEXT) | instid1(VALU_DEP_3)
	v_dual_cndmask_b32 v21, v21, v27, s0 :: v_dual_sub_nc_u32 v25, 32, v8
	v_cndmask_b32_e64 v26, v27, v19, s0
	v_cmp_eq_u32_e32 vcc_lo, 0, v8
	s_delay_alu instid0(VALU_DEP_3) | instskip(NEXT) | instid1(VALU_DEP_1)
	v_dual_cndmask_b32 v23, v23, v22, s1 :: v_dual_cndmask_b32 v22, v22, v21, s1
	v_alignbit_b32 v27, v23, v22, v25
	s_delay_alu instid0(VALU_DEP_1) | instskip(NEXT) | instid1(VALU_DEP_1)
	v_dual_cndmask_b32 v21, v21, v26, s1 :: v_dual_cndmask_b32 v8, v27, v23, vcc_lo
	v_alignbit_b32 v24, v22, v21, v25
	s_delay_alu instid0(VALU_DEP_1) | instskip(NEXT) | instid1(VALU_DEP_3)
	v_dual_cndmask_b32 v19, v19, v20, s0 :: v_dual_cndmask_b32 v20, v24, v22, vcc_lo
	v_bfe_u32 v22, v8, 29, 1
	s_delay_alu instid0(VALU_DEP_2) | instskip(NEXT) | instid1(VALU_DEP_3)
	v_cndmask_b32_e64 v19, v26, v19, s1
	v_alignbit_b32 v23, v8, v20, 30
	s_delay_alu instid0(VALU_DEP_3) | instskip(NEXT) | instid1(VALU_DEP_3)
	v_sub_nc_u32_e32 v24, 0, v22
	v_alignbit_b32 v25, v21, v19, v25
	s_delay_alu instid0(VALU_DEP_1) | instskip(NEXT) | instid1(VALU_DEP_1)
	v_dual_cndmask_b32 v21, v25, v21, vcc_lo :: v_dual_bitop2_b32 v23, v23, v24 bitop3:0x14
	v_clz_i32_u32_e32 v25, v23
	s_delay_alu instid0(VALU_DEP_2) | instskip(SKIP_1) | instid1(VALU_DEP_3)
	v_alignbit_b32 v20, v20, v21, 30
	v_alignbit_b32 v19, v21, v19, 30
	v_min_u32_e32 v25, 32, v25
	s_delay_alu instid0(VALU_DEP_3) | instskip(NEXT) | instid1(VALU_DEP_3)
	v_xor_b32_e32 v20, v20, v24
	v_xor_b32_e32 v19, v19, v24
	v_dual_lshrrev_b32 v24, 29, v8 :: v_dual_lshrrev_b32 v8, 30, v8
	s_delay_alu instid0(VALU_DEP_4) | instskip(NEXT) | instid1(VALU_DEP_1)
	v_dual_sub_nc_u32 v21, 31, v25 :: v_dual_lshlrev_b32 v26, 23, v25
	v_alignbit_b32 v23, v23, v20, v21
	s_delay_alu instid0(VALU_DEP_4) | instskip(NEXT) | instid1(VALU_DEP_4)
	v_alignbit_b32 v19, v20, v19, v21
	v_lshlrev_b32_e32 v20, 31, v24
	s_delay_alu instid0(VALU_DEP_2) | instskip(NEXT) | instid1(VALU_DEP_2)
	v_alignbit_b32 v21, v23, v19, 9
	v_dual_lshrrev_b32 v23, 9, v23 :: v_dual_bitop2_b32 v24, 0.5, v20 bitop3:0x54
	v_or_b32_e32 v20, 0x33000000, v20
	s_delay_alu instid0(VALU_DEP_3) | instskip(NEXT) | instid1(VALU_DEP_3)
	v_clz_i32_u32_e32 v27, v21
	v_sub_nc_u32_e32 v24, v24, v26
	s_delay_alu instid0(VALU_DEP_2) | instskip(NEXT) | instid1(VALU_DEP_1)
	v_min_u32_e32 v26, 32, v27
	v_add_lshl_u32 v25, v26, v25, 23
	s_delay_alu instid0(VALU_DEP_3) | instskip(SKIP_1) | instid1(VALU_DEP_2)
	v_or_b32_e32 v23, v23, v24
	v_not_b32_e32 v24, v26
	v_dual_mul_f32 v27, 0x3fc90fda, v23 :: v_dual_sub_nc_u32 v20, v20, v25
	s_delay_alu instid0(VALU_DEP_2) | instskip(NEXT) | instid1(VALU_DEP_2)
	v_alignbit_b32 v19, v21, v19, v24
	v_fma_f32 v21, 0x3fc90fda, v23, -v27
	s_delay_alu instid0(VALU_DEP_2) | instskip(NEXT) | instid1(VALU_DEP_2)
	v_lshrrev_b32_e32 v19, 9, v19
	v_fmac_f32_e32 v21, 0x33a22168, v23
	s_delay_alu instid0(VALU_DEP_2) | instskip(NEXT) | instid1(VALU_DEP_1)
	v_or_b32_e32 v19, v20, v19
	v_fmac_f32_e32 v21, 0x3fc90fda, v19
	s_delay_alu instid0(VALU_DEP_1)
	v_dual_add_f32 v19, v27, v21 :: v_dual_add_nc_u32 v21, v22, v8
.LBB98_51:                              ;   in Loop: Header=BB98_41 Depth=1
	s_and_not1_saveexec_b32 s0, s12
; %bb.52:                               ;   in Loop: Header=BB98_41 Depth=1
	v_mul_f32_e64 v8, 0x3f22f983, |v4|
	s_delay_alu instid0(VALU_DEP_1) | instskip(NEXT) | instid1(VALU_DEP_1)
	v_rndne_f32_e32 v8, v8
	v_fma_f32 v19, 0xbfc90fda, v8, |v4|
	v_cvt_i32_f32_e32 v21, v8
	s_delay_alu instid0(VALU_DEP_2) | instskip(NEXT) | instid1(VALU_DEP_1)
	v_fmac_f32_e32 v19, 0xb3a22168, v8
	v_fmac_f32_e32 v19, 0xa7c234c4, v8
; %bb.53:                               ;   in Loop: Header=BB98_41 Depth=1
	s_or_b32 exec_lo, exec_lo, s0
	v_and_b32_e32 v20, 0x7fffffff, v5
                                        ; implicit-def: $vgpr8
                                        ; implicit-def: $vgpr22
	s_mov_b32 s1, exec_lo
	v_cmpx_ngt_f32_e64 0x48000000, |v5|
	s_xor_b32 s12, exec_lo, s1
	s_cbranch_execz .LBB98_55
; %bb.54:                               ;   in Loop: Header=BB98_41 Depth=1
	v_and_or_b32 v8, v20, s8, 0x800000
	v_mov_b32_e32 v33, v9
	s_delay_alu instid0(VALU_DEP_2) | instskip(NEXT) | instid1(VALU_DEP_1)
	v_mul_u64_e32 v[22:23], s[4:5], v[8:9]
	v_dual_mov_b32 v25, v9 :: v_dual_mov_b32 v24, v23
	v_lshrrev_b32_e32 v23, 23, v20
	s_delay_alu instid0(VALU_DEP_2) | instskip(SKIP_1) | instid1(VALU_DEP_3)
	v_mad_nc_u64_u32 v[24:25], 0x3c439041, v8, v[24:25]
	v_mov_b32_e32 v27, v9
	v_add_nc_u32_e32 v23, 0xffffff88, v23
	s_delay_alu instid0(VALU_DEP_1) | instskip(NEXT) | instid1(VALU_DEP_4)
	v_cmp_lt_u32_e32 vcc_lo, 63, v23
	v_mov_b32_e32 v26, v25
	v_cndmask_b32_e64 v25, 0, 0xffffffc0, vcc_lo
	s_delay_alu instid0(VALU_DEP_2) | instskip(NEXT) | instid1(VALU_DEP_1)
	v_mad_nc_u64_u32 v[26:27], 0xdb629599, v8, v[26:27]
	v_dual_mov_b32 v29, v9 :: v_dual_mov_b32 v28, v27
	s_delay_alu instid0(VALU_DEP_2) | instskip(NEXT) | instid1(VALU_DEP_2)
	v_cndmask_b32_e32 v22, v26, v22, vcc_lo
	v_mad_nc_u64_u32 v[28:29], 0xf534ddc0, v8, v[28:29]
	s_delay_alu instid0(VALU_DEP_1) | instskip(NEXT) | instid1(VALU_DEP_1)
	v_dual_mov_b32 v31, v9 :: v_dual_mov_b32 v30, v29
	v_mad_nc_u64_u32 v[30:31], 0xfc2757d1, v8, v[30:31]
	s_delay_alu instid0(VALU_DEP_1) | instskip(NEXT) | instid1(VALU_DEP_1)
	v_mov_b32_e32 v32, v31
	v_mad_nc_u64_u32 v[32:33], 0x4e441529, v8, v[32:33]
	v_add_nc_u32_e32 v23, v25, v23
	v_mov_b32_e32 v35, v9
	s_delay_alu instid0(VALU_DEP_2) | instskip(NEXT) | instid1(VALU_DEP_4)
	v_cmp_lt_u32_e64 s0, 31, v23
	v_mov_b32_e32 v34, v33
	s_delay_alu instid0(VALU_DEP_2) | instskip(NEXT) | instid1(VALU_DEP_2)
	v_cndmask_b32_e64 v25, 0, 0xffffffe0, s0
	v_mad_nc_u64_u32 v[34:35], 0xa2f9836e, v8, v[34:35]
	s_delay_alu instid0(VALU_DEP_2) | instskip(NEXT) | instid1(VALU_DEP_2)
	v_dual_cndmask_b32 v25, v32, v28 :: v_dual_add_nc_u32 v8, v25, v23
	v_cndmask_b32_e32 v27, v34, v30, vcc_lo
	s_delay_alu instid0(VALU_DEP_2) | instskip(NEXT) | instid1(VALU_DEP_4)
	v_cmp_lt_u32_e64 s1, 31, v8
	v_dual_cndmask_b32 v29, v35, v32 :: v_dual_cndmask_b32 v30, v30, v26
	s_delay_alu instid0(VALU_DEP_2) | instskip(NEXT) | instid1(VALU_DEP_1)
	v_cndmask_b32_e64 v23, 0, 0xffffffe0, s1
	v_add_nc_u32_e32 v8, v23, v8
	v_dual_cndmask_b32 v23, v28, v24, vcc_lo :: v_dual_cndmask_b32 v24, v27, v25, s0
	s_delay_alu instid0(VALU_DEP_4) | instskip(NEXT) | instid1(VALU_DEP_3)
	v_cndmask_b32_e64 v27, v29, v27, s0
	v_dual_cndmask_b32 v25, v25, v30, s0 :: v_dual_sub_nc_u32 v28, 32, v8
	s_delay_alu instid0(VALU_DEP_3) | instskip(SKIP_1) | instid1(VALU_DEP_3)
	v_cndmask_b32_e64 v29, v30, v23, s0
	v_cmp_eq_u32_e32 vcc_lo, 0, v8
	v_dual_cndmask_b32 v27, v27, v24, s1 :: v_dual_cndmask_b32 v24, v24, v25, s1
	s_delay_alu instid0(VALU_DEP_1) | instskip(NEXT) | instid1(VALU_DEP_1)
	v_alignbit_b32 v30, v27, v24, v28
	v_dual_cndmask_b32 v25, v25, v29, s1 :: v_dual_cndmask_b32 v8, v30, v27, vcc_lo
	s_delay_alu instid0(VALU_DEP_1) | instskip(NEXT) | instid1(VALU_DEP_1)
	v_alignbit_b32 v26, v24, v25, v28
	v_dual_cndmask_b32 v22, v23, v22, s0 :: v_dual_cndmask_b32 v23, v26, v24, vcc_lo
	s_delay_alu instid0(VALU_DEP_3) | instskip(NEXT) | instid1(VALU_DEP_2)
	v_bfe_u32 v24, v8, 29, 1
	v_cndmask_b32_e64 v22, v29, v22, s1
	s_delay_alu instid0(VALU_DEP_3) | instskip(NEXT) | instid1(VALU_DEP_3)
	v_alignbit_b32 v26, v8, v23, 30
	v_sub_nc_u32_e32 v27, 0, v24
	s_delay_alu instid0(VALU_DEP_3) | instskip(NEXT) | instid1(VALU_DEP_1)
	v_alignbit_b32 v28, v25, v22, v28
	v_dual_cndmask_b32 v25, v28, v25, vcc_lo :: v_dual_bitop2_b32 v26, v26, v27 bitop3:0x14
	s_delay_alu instid0(VALU_DEP_1) | instskip(NEXT) | instid1(VALU_DEP_2)
	v_clz_i32_u32_e32 v28, v26
	v_alignbit_b32 v23, v23, v25, 30
	v_alignbit_b32 v22, v25, v22, 30
	s_delay_alu instid0(VALU_DEP_3) | instskip(NEXT) | instid1(VALU_DEP_3)
	v_min_u32_e32 v28, 32, v28
	v_xor_b32_e32 v23, v23, v27
	s_delay_alu instid0(VALU_DEP_3) | instskip(SKIP_1) | instid1(VALU_DEP_4)
	v_dual_lshrrev_b32 v27, 29, v8 :: v_dual_bitop2_b32 v22, v22, v27 bitop3:0x14
	v_lshrrev_b32_e32 v8, 30, v8
	v_dual_sub_nc_u32 v25, 31, v28 :: v_dual_lshlrev_b32 v29, 23, v28
	s_delay_alu instid0(VALU_DEP_2) | instskip(NEXT) | instid1(VALU_DEP_2)
	v_add_nc_u32_e32 v8, v24, v8
	v_alignbit_b32 v26, v26, v23, v25
	v_alignbit_b32 v22, v23, v22, v25
	v_lshlrev_b32_e32 v23, 31, v27
	s_delay_alu instid0(VALU_DEP_2) | instskip(NEXT) | instid1(VALU_DEP_2)
	v_alignbit_b32 v25, v26, v22, 9
	v_dual_lshrrev_b32 v26, 9, v26 :: v_dual_bitop2_b32 v27, 0.5, v23 bitop3:0x54
	v_or_b32_e32 v23, 0x33000000, v23
	s_delay_alu instid0(VALU_DEP_3) | instskip(NEXT) | instid1(VALU_DEP_3)
	v_clz_i32_u32_e32 v30, v25
	v_sub_nc_u32_e32 v27, v27, v29
	s_delay_alu instid0(VALU_DEP_2) | instskip(NEXT) | instid1(VALU_DEP_1)
	v_min_u32_e32 v29, 32, v30
	v_add_lshl_u32 v28, v29, v28, 23
	s_delay_alu instid0(VALU_DEP_3) | instskip(SKIP_1) | instid1(VALU_DEP_2)
	v_or_b32_e32 v26, v26, v27
	v_not_b32_e32 v27, v29
	v_dual_mul_f32 v30, 0x3fc90fda, v26 :: v_dual_sub_nc_u32 v23, v23, v28
	s_delay_alu instid0(VALU_DEP_2) | instskip(NEXT) | instid1(VALU_DEP_2)
	v_alignbit_b32 v22, v25, v22, v27
	v_fma_f32 v25, 0x3fc90fda, v26, -v30
	s_delay_alu instid0(VALU_DEP_2) | instskip(NEXT) | instid1(VALU_DEP_2)
	v_lshrrev_b32_e32 v22, 9, v22
	v_fmac_f32_e32 v25, 0x33a22168, v26
	s_delay_alu instid0(VALU_DEP_2) | instskip(NEXT) | instid1(VALU_DEP_1)
	v_or_b32_e32 v22, v23, v22
	v_fmac_f32_e32 v25, 0x3fc90fda, v22
	s_delay_alu instid0(VALU_DEP_1)
	v_add_f32_e32 v22, v30, v25
.LBB98_55:                              ;   in Loop: Header=BB98_41 Depth=1
	s_and_not1_saveexec_b32 s0, s12
	s_cbranch_execz .LBB98_40
; %bb.56:                               ;   in Loop: Header=BB98_41 Depth=1
	v_mul_f32_e64 v8, 0x3f22f983, |v5|
	s_delay_alu instid0(VALU_DEP_1) | instskip(NEXT) | instid1(VALU_DEP_1)
	v_rndne_f32_e32 v8, v8
	v_fma_f32 v22, 0xbfc90fda, v8, |v5|
	s_delay_alu instid0(VALU_DEP_1) | instskip(NEXT) | instid1(VALU_DEP_1)
	v_fmac_f32_e32 v22, 0xb3a22168, v8
	v_fmac_f32_e32 v22, 0xa7c234c4, v8
	v_cvt_i32_f32_e32 v8, v8
	s_branch .LBB98_40
.LBB98_57:
	s_endpgm
	.section	.rodata,"a",@progbits
	.p2align	6, 0x0
	.amdhsa_kernel _ZN2at6native12_GLOBAL__N_125multi_tensor_apply_kernelINS1_18TensorListMetadataILi1EEENS1_14UnaryOpFunctorIfLi1ELi1ELi0EEEJNS0_3TanIfEEEEEvT_T0_DpT1_
		.amdhsa_group_segment_fixed_size 0
		.amdhsa_private_segment_fixed_size 0
		.amdhsa_kernarg_size 3632
		.amdhsa_user_sgpr_count 2
		.amdhsa_user_sgpr_dispatch_ptr 0
		.amdhsa_user_sgpr_queue_ptr 0
		.amdhsa_user_sgpr_kernarg_segment_ptr 1
		.amdhsa_user_sgpr_dispatch_id 0
		.amdhsa_user_sgpr_kernarg_preload_length 0
		.amdhsa_user_sgpr_kernarg_preload_offset 0
		.amdhsa_user_sgpr_private_segment_size 0
		.amdhsa_wavefront_size32 1
		.amdhsa_uses_dynamic_stack 0
		.amdhsa_enable_private_segment 0
		.amdhsa_system_sgpr_workgroup_id_x 1
		.amdhsa_system_sgpr_workgroup_id_y 0
		.amdhsa_system_sgpr_workgroup_id_z 0
		.amdhsa_system_sgpr_workgroup_info 0
		.amdhsa_system_vgpr_workitem_id 0
		.amdhsa_next_free_vgpr 50
		.amdhsa_next_free_sgpr 30
		.amdhsa_named_barrier_count 0
		.amdhsa_reserve_vcc 1
		.amdhsa_float_round_mode_32 0
		.amdhsa_float_round_mode_16_64 0
		.amdhsa_float_denorm_mode_32 3
		.amdhsa_float_denorm_mode_16_64 3
		.amdhsa_fp16_overflow 0
		.amdhsa_memory_ordered 1
		.amdhsa_forward_progress 1
		.amdhsa_inst_pref_size 69
		.amdhsa_round_robin_scheduling 0
		.amdhsa_exception_fp_ieee_invalid_op 0
		.amdhsa_exception_fp_denorm_src 0
		.amdhsa_exception_fp_ieee_div_zero 0
		.amdhsa_exception_fp_ieee_overflow 0
		.amdhsa_exception_fp_ieee_underflow 0
		.amdhsa_exception_fp_ieee_inexact 0
		.amdhsa_exception_int_div_zero 0
	.end_amdhsa_kernel
	.section	.text._ZN2at6native12_GLOBAL__N_125multi_tensor_apply_kernelINS1_18TensorListMetadataILi1EEENS1_14UnaryOpFunctorIfLi1ELi1ELi0EEEJNS0_3TanIfEEEEEvT_T0_DpT1_,"axG",@progbits,_ZN2at6native12_GLOBAL__N_125multi_tensor_apply_kernelINS1_18TensorListMetadataILi1EEENS1_14UnaryOpFunctorIfLi1ELi1ELi0EEEJNS0_3TanIfEEEEEvT_T0_DpT1_,comdat
.Lfunc_end98:
	.size	_ZN2at6native12_GLOBAL__N_125multi_tensor_apply_kernelINS1_18TensorListMetadataILi1EEENS1_14UnaryOpFunctorIfLi1ELi1ELi0EEEJNS0_3TanIfEEEEEvT_T0_DpT1_, .Lfunc_end98-_ZN2at6native12_GLOBAL__N_125multi_tensor_apply_kernelINS1_18TensorListMetadataILi1EEENS1_14UnaryOpFunctorIfLi1ELi1ELi0EEEJNS0_3TanIfEEEEEvT_T0_DpT1_
                                        ; -- End function
	.set _ZN2at6native12_GLOBAL__N_125multi_tensor_apply_kernelINS1_18TensorListMetadataILi1EEENS1_14UnaryOpFunctorIfLi1ELi1ELi0EEEJNS0_3TanIfEEEEEvT_T0_DpT1_.num_vgpr, 50
	.set _ZN2at6native12_GLOBAL__N_125multi_tensor_apply_kernelINS1_18TensorListMetadataILi1EEENS1_14UnaryOpFunctorIfLi1ELi1ELi0EEEJNS0_3TanIfEEEEEvT_T0_DpT1_.num_agpr, 0
	.set _ZN2at6native12_GLOBAL__N_125multi_tensor_apply_kernelINS1_18TensorListMetadataILi1EEENS1_14UnaryOpFunctorIfLi1ELi1ELi0EEEJNS0_3TanIfEEEEEvT_T0_DpT1_.numbered_sgpr, 30
	.set _ZN2at6native12_GLOBAL__N_125multi_tensor_apply_kernelINS1_18TensorListMetadataILi1EEENS1_14UnaryOpFunctorIfLi1ELi1ELi0EEEJNS0_3TanIfEEEEEvT_T0_DpT1_.num_named_barrier, 0
	.set _ZN2at6native12_GLOBAL__N_125multi_tensor_apply_kernelINS1_18TensorListMetadataILi1EEENS1_14UnaryOpFunctorIfLi1ELi1ELi0EEEJNS0_3TanIfEEEEEvT_T0_DpT1_.private_seg_size, 0
	.set _ZN2at6native12_GLOBAL__N_125multi_tensor_apply_kernelINS1_18TensorListMetadataILi1EEENS1_14UnaryOpFunctorIfLi1ELi1ELi0EEEJNS0_3TanIfEEEEEvT_T0_DpT1_.uses_vcc, 1
	.set _ZN2at6native12_GLOBAL__N_125multi_tensor_apply_kernelINS1_18TensorListMetadataILi1EEENS1_14UnaryOpFunctorIfLi1ELi1ELi0EEEJNS0_3TanIfEEEEEvT_T0_DpT1_.uses_flat_scratch, 0
	.set _ZN2at6native12_GLOBAL__N_125multi_tensor_apply_kernelINS1_18TensorListMetadataILi1EEENS1_14UnaryOpFunctorIfLi1ELi1ELi0EEEJNS0_3TanIfEEEEEvT_T0_DpT1_.has_dyn_sized_stack, 0
	.set _ZN2at6native12_GLOBAL__N_125multi_tensor_apply_kernelINS1_18TensorListMetadataILi1EEENS1_14UnaryOpFunctorIfLi1ELi1ELi0EEEJNS0_3TanIfEEEEEvT_T0_DpT1_.has_recursion, 0
	.set _ZN2at6native12_GLOBAL__N_125multi_tensor_apply_kernelINS1_18TensorListMetadataILi1EEENS1_14UnaryOpFunctorIfLi1ELi1ELi0EEEJNS0_3TanIfEEEEEvT_T0_DpT1_.has_indirect_call, 0
	.section	.AMDGPU.csdata,"",@progbits
; Kernel info:
; codeLenInByte = 8776
; TotalNumSgprs: 32
; NumVgprs: 50
; ScratchSize: 0
; MemoryBound: 0
; FloatMode: 240
; IeeeMode: 1
; LDSByteSize: 0 bytes/workgroup (compile time only)
; SGPRBlocks: 0
; VGPRBlocks: 3
; NumSGPRsForWavesPerEU: 32
; NumVGPRsForWavesPerEU: 50
; NamedBarCnt: 0
; Occupancy: 16
; WaveLimiterHint : 0
; COMPUTE_PGM_RSRC2:SCRATCH_EN: 0
; COMPUTE_PGM_RSRC2:USER_SGPR: 2
; COMPUTE_PGM_RSRC2:TRAP_HANDLER: 0
; COMPUTE_PGM_RSRC2:TGID_X_EN: 1
; COMPUTE_PGM_RSRC2:TGID_Y_EN: 0
; COMPUTE_PGM_RSRC2:TGID_Z_EN: 0
; COMPUTE_PGM_RSRC2:TIDIG_COMP_CNT: 0
	.section	.text._ZN2at6native12_GLOBAL__N_125multi_tensor_apply_kernelINS1_18TensorListMetadataILi1EEENS1_14UnaryOpFunctorIN3c107complexIdEELi1ELi1ELi0EEEJNS0_3TanIS8_EEEEEvT_T0_DpT1_,"axG",@progbits,_ZN2at6native12_GLOBAL__N_125multi_tensor_apply_kernelINS1_18TensorListMetadataILi1EEENS1_14UnaryOpFunctorIN3c107complexIdEELi1ELi1ELi0EEEJNS0_3TanIS8_EEEEEvT_T0_DpT1_,comdat
	.globl	_ZN2at6native12_GLOBAL__N_125multi_tensor_apply_kernelINS1_18TensorListMetadataILi1EEENS1_14UnaryOpFunctorIN3c107complexIdEELi1ELi1ELi0EEEJNS0_3TanIS8_EEEEEvT_T0_DpT1_ ; -- Begin function _ZN2at6native12_GLOBAL__N_125multi_tensor_apply_kernelINS1_18TensorListMetadataILi1EEENS1_14UnaryOpFunctorIN3c107complexIdEELi1ELi1ELi0EEEJNS0_3TanIS8_EEEEEvT_T0_DpT1_
	.p2align	8
	.type	_ZN2at6native12_GLOBAL__N_125multi_tensor_apply_kernelINS1_18TensorListMetadataILi1EEENS1_14UnaryOpFunctorIN3c107complexIdEELi1ELi1ELi0EEEJNS0_3TanIS8_EEEEEvT_T0_DpT1_,@function
_ZN2at6native12_GLOBAL__N_125multi_tensor_apply_kernelINS1_18TensorListMetadataILi1EEENS1_14UnaryOpFunctorIN3c107complexIdEELi1ELi1ELi0EEEJNS0_3TanIS8_EEEEEvT_T0_DpT1_: ; @_ZN2at6native12_GLOBAL__N_125multi_tensor_apply_kernelINS1_18TensorListMetadataILi1EEENS1_14UnaryOpFunctorIN3c107complexIdEELi1ELi1ELi0EEEJNS0_3TanIS8_EEEEEvT_T0_DpT1_
; %bb.0:
	s_bfe_u32 s2, ttmp6, 0x4000c
	s_and_b32 s3, ttmp6, 15
	s_add_co_i32 s2, s2, 1
	s_getreg_b32 s4, hwreg(HW_REG_IB_STS2, 6, 4)
	s_mul_i32 s2, ttmp9, s2
	s_delay_alu instid0(SALU_CYCLE_1)
	s_add_co_i32 s3, s3, s2
	s_cmp_eq_u32 s4, 0
	s_cselect_b32 s2, ttmp9, s3
	s_mov_b32 s3, 0
	s_load_u8 s10, s[0:1], s2 offset:0x6e0
	s_add_nc_u64 s[4:5], s[0:1], s[2:3]
	s_mul_u64 s[6:7], s[2:3], 3
	s_delay_alu instid0(SALU_CYCLE_1)
	s_add_nc_u64 s[4:5], s[4:5], s[6:7]
	s_load_b32 s6, s[4:5], 0x820
	s_wait_kmcnt 0x0
	s_clause 0x1
	s_load_b64 s[8:9], s[0:1], s10 offset:0x0 scale_offset
	s_load_b64 s[12:13], s[0:1], s10 offset:0x370 scale_offset
	s_ashr_i32 s7, s6, 31
	s_wait_xcnt 0x0
	s_lshl_b64 s[10:11], s[6:7], 20
	s_wait_kmcnt 0x0
	s_and_b32 s2, s12, 3
	s_add_nc_u64 s[14:15], s[8:9], s[10:11]
	s_delay_alu instid0(SALU_CYCLE_1) | instskip(NEXT) | instid1(SALU_CYCLE_1)
	s_and_b64 s[4:5], s[14:15], 63
	s_or_b64 s[2:3], s[4:5], s[2:3]
	s_lshl_b64 s[4:5], s[6:7], 16
	s_cmp_eq_u64 s[2:3], 0
	s_sub_nc_u64 s[12:13], s[12:13], s[4:5]
	s_cbranch_scc1 .LBB99_173
; %bb.1:
	v_cmp_lt_i64_e64 s2, s[12:13], 1
	s_and_b32 vcc_lo, exec_lo, s2
	s_cbranch_vccnz .LBB99_172
; %bb.2:
	s_load_b32 s2, s[0:1], 0xd3c
	v_min_i64 v[22:23], 0x10000, s[12:13]
	v_min_u64 v[26:27], 0x10000, s[12:13]
	v_dual_mov_b32 v24, 0 :: v_dual_lshlrev_b32 v28, 4, v0
	s_mov_b32 s3, 0
	v_mov_b64_e32 v[30:31], 0xbf078809a9a29f71
	s_mov_b32 s5, s3
	s_delay_alu instid0(VALU_DEP_2)
	v_dual_mov_b32 v29, v24 :: v_dual_mov_b32 v1, v24
	s_mov_b32 s7, s3
	v_mov_b64_e32 v[32:33], 0x3e928af3fca7ab0c
	v_mov_b64_e32 v[46:47], 0x3e21eeb69037ab78
	;; [unrolled: 1-line block ×3, first 2 shown]
	s_mov_b64 s[16:17], 0x3ff921fb54442d18
	s_mov_b64 s[18:19], 0x3fe45f306dc9c883
	;; [unrolled: 1-line block ×4, first 2 shown]
	s_mov_b32 s25, s3
	s_mov_b64 s[28:29], 0x408633ce8fb9f87e
	s_wait_kmcnt 0x0
	s_and_b32 s2, s2, 0xffff
	s_mov_b64 s[30:31], 0xbff71547652b82fe
	v_mad_nc_u64_u32 v[34:35], s2, 48, v[28:29]
	s_lshl_b32 s4, s2, 1
	s_mul_i32 s6, s2, 3
	v_add_nc_u64_e32 v[36:37], s[2:3], v[0:1]
	s_lshl_b32 s24, s2, 2
	s_lshl_b32 s26, s2, 6
	;; [unrolled: 1-line block ×3, first 2 shown]
	v_add_nc_u64_e32 v[38:39], s[6:7], v[0:1]
	v_add_nc_u64_e32 v[40:41], s[2:3], v[28:29]
	;; [unrolled: 1-line block ×3, first 2 shown]
	v_dual_lshlrev_b32 v44, 4, v36 :: v_dual_bitop2_b32 v34, 8, v34 bitop3:0x54
	v_mov_b32_e32 v45, v24
	s_mov_b32 s27, s3
	s_mov_b64 s[34:35], 0
	s_delay_alu instid0(VALU_DEP_4)
	v_or_b32_e32 v40, 8, v40
	s_mov_b32 s33, 0x3ff00000
                                        ; implicit-def: $vgpr2_vgpr3
                                        ; implicit-def: $vgpr2_vgpr3
	;; [unrolled: 1-line block ×27, first 2 shown]
	s_branch .LBB99_4
.LBB99_3:                               ;   in Loop: Header=BB99_4 Depth=1
	s_wait_xcnt 0x0
	s_or_b32 exec_lo, exec_lo, s2
	s_add_nc_u64 s[34:35], s[34:35], s[24:25]
	s_add_nc_u64 s[14:15], s[14:15], s[26:27]
	v_cmp_ge_i64_e32 vcc_lo, s[34:35], v[22:23]
	s_cbranch_vccnz .LBB99_172
.LBB99_4:                               ; =>This Inner Loop Header: Depth=1
	v_add_nc_u64_e32 v[2:3], s[34:35], v[0:1]
	v_mov_b64_e32 v[20:21], 0
	v_add_nc_u64_e32 v[50:51], s[14:15], v[28:29]
	v_mov_b64_e32 v[12:13], 0
	v_mov_b64_e32 v[10:11], 0
	v_cmp_lt_u64_e64 s2, v[2:3], v[26:27]
	s_and_saveexec_b32 s3, s2
	s_cbranch_execz .LBB99_6
; %bb.5:                                ;   in Loop: Header=BB99_4 Depth=1
	global_load_b128 v[10:13], v[50:51], off
.LBB99_6:                               ;   in Loop: Header=BB99_4 Depth=1
	s_wait_xcnt 0x0
	s_or_b32 exec_lo, exec_lo, s3
	v_add_nc_u64_e32 v[2:3], s[34:35], v[36:37]
	v_add_nc_u64_e32 v[52:53], s[14:15], v[44:45]
	v_mov_b64_e32 v[18:19], 0
	s_delay_alu instid0(VALU_DEP_3)
	v_cmp_lt_u64_e64 s3, v[2:3], v[26:27]
	s_and_saveexec_b32 s4, s3
	s_cbranch_execz .LBB99_8
; %bb.7:                                ;   in Loop: Header=BB99_4 Depth=1
	global_load_b128 v[18:21], v[52:53], off
.LBB99_8:                               ;   in Loop: Header=BB99_4 Depth=1
	s_wait_xcnt 0x0
	s_or_b32 exec_lo, exec_lo, s4
	v_add_nc_u64_e32 v[2:3], s[34:35], v[42:43]
	v_mov_b64_e32 v[4:5], 0
	v_add_nc_u64_e32 v[54:55], s[14:15], v[40:41]
	v_mov_b64_e32 v[16:17], 0
	v_mov_b64_e32 v[14:15], 0
	v_cmp_lt_u64_e64 s4, v[2:3], v[26:27]
	s_and_saveexec_b32 s5, s4
	s_cbranch_execz .LBB99_10
; %bb.9:                                ;   in Loop: Header=BB99_4 Depth=1
	global_load_b128 v[14:17], v[54:55], off offset:-8
.LBB99_10:                              ;   in Loop: Header=BB99_4 Depth=1
	s_wait_xcnt 0x0
	s_or_b32 exec_lo, exec_lo, s5
	v_add_nc_u64_e32 v[2:3], s[34:35], v[38:39]
	v_add_nc_u64_e32 v[56:57], s[14:15], v[34:35]
	s_delay_alu instid0(VALU_DEP_2)
	v_cmp_lt_u64_e64 s5, v[2:3], v[26:27]
	v_mov_b64_e32 v[2:3], 0
	s_and_saveexec_b32 s6, s5
	s_cbranch_execz .LBB99_12
; %bb.11:                               ;   in Loop: Header=BB99_4 Depth=1
	global_load_b128 v[2:5], v[56:57], off offset:-8
.LBB99_12:                              ;   in Loop: Header=BB99_4 Depth=1
	s_wait_xcnt 0x0
	s_or_b32 exec_lo, exec_lo, s6
	s_wait_loadcnt 0x0
	v_xor_b32_e32 v9, 0x80000000, v13
	v_mov_b32_e32 v8, v12
	s_mov_b32 s6, exec_lo
	s_delay_alu instid0(VALU_DEP_2) | instskip(NEXT) | instid1(VALU_DEP_1)
	v_and_b32_e32 v6, 0x7fffffff, v9
	v_cmpx_gt_u32_e32 0x7ff00000, v6
	s_xor_b32 s7, exec_lo, s6
	s_cbranch_execz .LBB99_34
; %bb.13:                               ;   in Loop: Header=BB99_4 Depth=1
	v_cmp_class_f64_e64 s6, v[10:11], 0x1f8
	s_and_saveexec_b32 s36, s6
	s_delay_alu instid0(SALU_CYCLE_1)
	s_xor_b32 s36, exec_lo, s36
	s_cbranch_execz .LBB99_31
; %bb.14:                               ;   in Loop: Header=BB99_4 Depth=1
	s_mov_b32 s6, exec_lo
	v_cmpx_gt_u32_e32 0x40360000, v6
	s_xor_b32 s37, exec_lo, s6
	s_cbranch_execz .LBB99_20
; %bb.15:                               ;   in Loop: Header=BB99_4 Depth=1
	v_cmp_ngt_f64_e64 s6, 0x41d00000, |v[10:11]|
                                        ; implicit-def: $vgpr8
                                        ; implicit-def: $vgpr6_vgpr7
                                        ; implicit-def: $vgpr58_vgpr59
	s_and_saveexec_b32 s38, s6
	s_delay_alu instid0(SALU_CYCLE_1)
	s_xor_b32 s6, exec_lo, s38
	s_cbranch_execz .LBB99_17
; %bb.16:                               ;   in Loop: Header=BB99_4 Depth=1
	v_ldexp_f64 v[6:7], |v[10:11]|, 0xffffff80
	v_cmp_le_f64_e64 vcc_lo, 0x7b000000, |v[10:11]|
	v_trig_preop_f64 v[58:59], |v[10:11]|, 0
	v_and_b32_e32 v8, 0x7fffffff, v11
	v_trig_preop_f64 v[60:61], |v[10:11]|, 1
	v_trig_preop_f64 v[70:71], |v[10:11]|, 2
	s_delay_alu instid0(VALU_DEP_3) | instskip(NEXT) | instid1(VALU_DEP_1)
	v_dual_cndmask_b32 v7, v8, v7 :: v_dual_cndmask_b32 v6, v10, v6
	v_mul_f64_e32 v[62:63], v[58:59], v[6:7]
	s_delay_alu instid0(VALU_DEP_4) | instskip(NEXT) | instid1(VALU_DEP_4)
	v_mul_f64_e32 v[64:65], v[60:61], v[6:7]
	v_mul_f64_e32 v[76:77], v[70:71], v[6:7]
	s_delay_alu instid0(VALU_DEP_3) | instskip(NEXT) | instid1(VALU_DEP_3)
	v_fma_f64 v[58:59], v[58:59], v[6:7], -v[62:63]
	v_fma_f64 v[60:61], v[60:61], v[6:7], -v[64:65]
	s_delay_alu instid0(VALU_DEP_3) | instskip(NEXT) | instid1(VALU_DEP_3)
	v_fma_f64 v[6:7], v[70:71], v[6:7], -v[76:77]
	v_add_f64_e32 v[66:67], v[64:65], v[58:59]
	s_delay_alu instid0(VALU_DEP_1) | instskip(SKIP_1) | instid1(VALU_DEP_2)
	v_add_f64_e64 v[68:69], v[66:67], -v[64:65]
	v_add_f64_e32 v[74:75], v[62:63], v[66:67]
	v_add_f64_e64 v[72:73], v[66:67], -v[68:69]
	v_add_f64_e64 v[58:59], v[58:59], -v[68:69]
	s_delay_alu instid0(VALU_DEP_3) | instskip(NEXT) | instid1(VALU_DEP_3)
	v_ldexp_f64 v[68:69], v[74:75], -2
	v_add_f64_e64 v[64:65], v[64:65], -v[72:73]
	v_add_f64_e32 v[72:73], v[76:77], v[60:61]
	s_delay_alu instid0(VALU_DEP_3) | instskip(NEXT) | instid1(VALU_DEP_3)
	v_cmp_neq_f64_e64 vcc_lo, 0x7ff00000, |v[68:69]|
	v_add_f64_e32 v[58:59], v[58:59], v[64:65]
	v_fract_f64_e32 v[64:65], v[68:69]
	s_delay_alu instid0(VALU_DEP_1) | instskip(NEXT) | instid1(VALU_DEP_1)
	v_ldexp_f64 v[64:65], v[64:65], 2
	v_dual_add_f64 v[62:63], v[74:75], -v[62:63] :: v_dual_cndmask_b32 v65, 0, v65, vcc_lo
	s_delay_alu instid0(VALU_DEP_1) | instskip(SKIP_1) | instid1(VALU_DEP_1)
	v_dual_add_f64 v[62:63], v[66:67], -v[62:63] :: v_dual_cndmask_b32 v64, 0, v64, vcc_lo
	v_add_f64_e32 v[66:67], v[72:73], v[58:59]
	v_add_f64_e32 v[68:69], v[62:63], v[66:67]
	v_add_f64_e64 v[78:79], v[66:67], -v[72:73]
	s_delay_alu instid0(VALU_DEP_2) | instskip(NEXT) | instid1(VALU_DEP_2)
	v_add_f64_e32 v[74:75], v[68:69], v[64:65]
	v_add_f64_e64 v[84:85], v[66:67], -v[78:79]
	v_add_f64_e64 v[58:59], v[58:59], -v[78:79]
	;; [unrolled: 1-line block ×3, first 2 shown]
	s_delay_alu instid0(VALU_DEP_4) | instskip(SKIP_1) | instid1(VALU_DEP_3)
	v_cmp_gt_f64_e32 vcc_lo, 0, v[74:75]
	v_add_f64_e64 v[74:75], v[72:73], -v[76:77]
	v_add_f64_e64 v[62:63], v[66:67], -v[62:63]
	v_cndmask_b32_e64 v25, 0, 0x40100000, vcc_lo
	s_delay_alu instid0(VALU_DEP_3) | instskip(SKIP_2) | instid1(VALU_DEP_4)
	v_add_f64_e64 v[82:83], v[72:73], -v[74:75]
	v_add_f64_e64 v[60:61], v[60:61], -v[74:75]
	;; [unrolled: 1-line block ×3, first 2 shown]
	v_add_f64_e32 v[64:65], v[64:65], v[24:25]
	s_delay_alu instid0(VALU_DEP_4) | instskip(NEXT) | instid1(VALU_DEP_3)
	v_add_f64_e64 v[74:75], v[76:77], -v[82:83]
	v_add_f64_e32 v[58:59], v[58:59], v[72:73]
	s_delay_alu instid0(VALU_DEP_3) | instskip(NEXT) | instid1(VALU_DEP_3)
	v_add_f64_e32 v[80:81], v[68:69], v[64:65]
	v_add_f64_e32 v[60:61], v[60:61], v[74:75]
	s_delay_alu instid0(VALU_DEP_2) | instskip(NEXT) | instid1(VALU_DEP_2)
	v_cvt_i32_f64_e32 v8, v[80:81]
	v_add_f64_e32 v[58:59], v[60:61], v[58:59]
	s_delay_alu instid0(VALU_DEP_2) | instskip(NEXT) | instid1(VALU_DEP_2)
	v_cvt_f64_i32_e32 v[78:79], v8
	v_add_f64_e32 v[6:7], v[6:7], v[58:59]
	s_delay_alu instid0(VALU_DEP_2) | instskip(NEXT) | instid1(VALU_DEP_2)
	v_add_f64_e64 v[64:65], v[64:65], -v[78:79]
	v_add_f64_e32 v[6:7], v[62:63], v[6:7]
	s_delay_alu instid0(VALU_DEP_2) | instskip(NEXT) | instid1(VALU_DEP_1)
	v_add_f64_e32 v[60:61], v[68:69], v[64:65]
	v_add_f64_e64 v[58:59], v[60:61], -v[64:65]
	v_cmp_le_f64_e32 vcc_lo, 0.5, v[60:61]
	s_delay_alu instid0(VALU_DEP_2) | instskip(SKIP_2) | instid1(VALU_DEP_3)
	v_add_f64_e64 v[58:59], v[68:69], -v[58:59]
	v_cndmask_b32_e64 v25, 0, 0x3ff00000, vcc_lo
	v_add_co_ci_u32_e64 v8, null, 0, v8, vcc_lo
	v_add_f64_e32 v[6:7], v[6:7], v[58:59]
	s_delay_alu instid0(VALU_DEP_3) | instskip(NEXT) | instid1(VALU_DEP_1)
	v_add_f64_e64 v[58:59], v[60:61], -v[24:25]
	v_add_f64_e32 v[60:61], v[58:59], v[6:7]
	s_delay_alu instid0(VALU_DEP_1) | instskip(SKIP_1) | instid1(VALU_DEP_2)
	v_mul_f64_e32 v[62:63], 0x3ff921fb54442d18, v[60:61]
	v_add_f64_e64 v[58:59], v[60:61], -v[58:59]
	v_fma_f64 v[64:65], v[60:61], s[16:17], -v[62:63]
	s_delay_alu instid0(VALU_DEP_2) | instskip(NEXT) | instid1(VALU_DEP_2)
	v_add_f64_e64 v[6:7], v[6:7], -v[58:59]
	v_fmac_f64_e32 v[64:65], 0x3c91a62633145c07, v[60:61]
	s_delay_alu instid0(VALU_DEP_1) | instskip(NEXT) | instid1(VALU_DEP_1)
	v_fmac_f64_e32 v[64:65], 0x3ff921fb54442d18, v[6:7]
	v_add_f64_e32 v[6:7], v[62:63], v[64:65]
	s_delay_alu instid0(VALU_DEP_1) | instskip(NEXT) | instid1(VALU_DEP_1)
	v_add_f64_e64 v[58:59], v[6:7], -v[62:63]
	v_add_f64_e64 v[58:59], v[64:65], -v[58:59]
.LBB99_17:                              ;   in Loop: Header=BB99_4 Depth=1
	s_and_not1_saveexec_b32 s6, s6
	s_cbranch_execz .LBB99_19
; %bb.18:                               ;   in Loop: Header=BB99_4 Depth=1
	v_mul_f64_e64 v[6:7], |v[10:11]|, s[18:19]
	s_delay_alu instid0(VALU_DEP_1) | instskip(NEXT) | instid1(VALU_DEP_1)
	v_rndne_f64_e32 v[60:61], v[6:7]
	v_fma_f64 v[6:7], v[60:61], s[20:21], |v[10:11]|
	v_mul_f64_e32 v[58:59], 0xbc91a62633145c00, v[60:61]
	v_cvt_i32_f64_e32 v8, v[60:61]
	s_delay_alu instid0(VALU_DEP_3) | instskip(NEXT) | instid1(VALU_DEP_3)
	v_fmamk_f64 v[66:67], v[60:61], 0xbc91a62633145c00, v[6:7]
	v_add_f64_e32 v[62:63], v[6:7], v[58:59]
	s_delay_alu instid0(VALU_DEP_1) | instskip(NEXT) | instid1(VALU_DEP_3)
	v_add_f64_e64 v[64:65], v[6:7], -v[62:63]
	v_add_f64_e64 v[6:7], v[62:63], -v[66:67]
	s_delay_alu instid0(VALU_DEP_2) | instskip(SKIP_1) | instid1(VALU_DEP_2)
	v_add_f64_e32 v[62:63], v[64:65], v[58:59]
	v_fmamk_f64 v[58:59], v[60:61], 0x3c91a62633145c00, v[58:59]
	v_add_f64_e32 v[6:7], v[6:7], v[62:63]
	s_delay_alu instid0(VALU_DEP_1) | instskip(NEXT) | instid1(VALU_DEP_1)
	v_add_f64_e64 v[58:59], v[6:7], -v[58:59]
	v_fmac_f64_e32 v[58:59], 0xb97b839a252049c0, v[60:61]
	s_delay_alu instid0(VALU_DEP_1) | instskip(NEXT) | instid1(VALU_DEP_1)
	v_add_f64_e32 v[6:7], v[66:67], v[58:59]
	v_add_f64_e64 v[62:63], v[6:7], -v[66:67]
	s_delay_alu instid0(VALU_DEP_1)
	v_add_f64_e64 v[58:59], v[58:59], -v[62:63]
.LBB99_19:                              ;   in Loop: Header=BB99_4 Depth=1
	s_or_b32 exec_lo, exec_lo, s6
	v_add_f64_e64 v[60:61], |v[12:13]|, s[22:23]
	v_cmp_nge_f64_e64 vcc_lo, |v[12:13]|, s[28:29]
	v_mul_f64_e32 v[78:79], v[6:7], v[6:7]
	s_delay_alu instid0(VALU_DEP_4) | instskip(NEXT) | instid1(VALU_DEP_1)
	v_dual_add_f64 v[80:81], v[58:59], v[58:59] :: v_dual_bitop2_b32 v8, 1, v8 bitop3:0x40
	v_cmp_eq_u32_e64 s6, 0, v8
	v_add_f64_e64 v[62:63], v[60:61], -|v[12:13]|
	s_delay_alu instid0(VALU_DEP_4) | instskip(NEXT) | instid1(VALU_DEP_2)
	v_fma_f64 v[82:83], v[6:7], v[6:7], -v[78:79]
	v_add_f64_e64 v[64:65], v[62:63], -v[60:61]
	v_add_f64_e32 v[62:63], 0x3fe62e42fefa39ef, v[62:63]
	s_delay_alu instid0(VALU_DEP_3) | instskip(NEXT) | instid1(VALU_DEP_3)
	v_fmac_f64_e32 v[82:83], v[6:7], v[80:81]
	v_add_f64_e64 v[64:65], |v[12:13]|, v[64:65]
	s_delay_alu instid0(VALU_DEP_2) | instskip(NEXT) | instid1(VALU_DEP_2)
	v_add_f64_e32 v[78:79], v[78:79], v[82:83]
	v_add_f64_e64 v[62:63], v[64:65], -v[62:63]
	s_delay_alu instid0(VALU_DEP_2) | instskip(NEXT) | instid1(VALU_DEP_1)
	v_fmamk_f64 v[82:83], v[78:79], 0x3ef5e089c751c08c, v[30:31]
	v_fmaak_f64 v[82:83], v[78:79], v[82:83], 0x3f17746f90a8aae0
	s_delay_alu instid0(VALU_DEP_1) | instskip(NEXT) | instid1(VALU_DEP_4)
	v_fmaak_f64 v[82:83], v[78:79], v[82:83], 0xbefbb44da6fbf144
	v_add_f64_e32 v[62:63], 0xbc7abc9e3b39803f, v[62:63]
	s_delay_alu instid0(VALU_DEP_1) | instskip(NEXT) | instid1(VALU_DEP_1)
	v_add_f64_e32 v[64:65], v[60:61], v[62:63]
	v_mul_f64_e32 v[66:67], 0x3ff71547652b82fe, v[64:65]
	v_add_f64_e64 v[60:61], v[60:61], -v[64:65]
	s_delay_alu instid0(VALU_DEP_2) | instskip(NEXT) | instid1(VALU_DEP_2)
	v_rndne_f64_e32 v[66:67], v[66:67]
	v_add_f64_e32 v[60:61], v[62:63], v[60:61]
	s_delay_alu instid0(VALU_DEP_2) | instskip(SKIP_2) | instid1(VALU_DEP_3)
	v_fmac_f64_e32 v[64:65], 0xbfe62e42fefa3000, v[66:67]
	v_mul_f64_e32 v[62:63], 0xbd53de6af278e000, v[66:67]
	v_cvt_i32_f64_e32 v10, v[66:67]
	v_add_f64_e32 v[68:69], v[60:61], v[64:65]
	s_delay_alu instid0(VALU_DEP_1) | instskip(SKIP_1) | instid1(VALU_DEP_2)
	v_add_f64_e32 v[70:71], v[68:69], v[62:63]
	v_add_f64_e64 v[64:65], v[64:65], -v[68:69]
	v_add_f64_e64 v[68:69], v[68:69], -v[70:71]
	s_delay_alu instid0(VALU_DEP_2) | instskip(NEXT) | instid1(VALU_DEP_2)
	v_add_f64_e32 v[60:61], v[60:61], v[64:65]
	v_add_f64_e32 v[62:63], v[68:69], v[62:63]
	s_delay_alu instid0(VALU_DEP_1) | instskip(SKIP_1) | instid1(VALU_DEP_2)
	v_add_f64_e32 v[60:61], v[60:61], v[62:63]
	v_mul_f64_e32 v[62:63], 0xbac9cc01f97b57a0, v[66:67]
	v_add_f64_e32 v[64:65], v[70:71], v[60:61]
	s_delay_alu instid0(VALU_DEP_1) | instskip(SKIP_1) | instid1(VALU_DEP_2)
	v_add_f64_e32 v[68:69], v[64:65], v[62:63]
	v_add_f64_e64 v[70:71], v[70:71], -v[64:65]
	v_add_f64_e64 v[64:65], v[64:65], -v[68:69]
	s_delay_alu instid0(VALU_DEP_2) | instskip(NEXT) | instid1(VALU_DEP_2)
	v_add_f64_e32 v[60:61], v[60:61], v[70:71]
	v_add_f64_e32 v[62:63], v[64:65], v[62:63]
	s_delay_alu instid0(VALU_DEP_1) | instskip(NEXT) | instid1(VALU_DEP_1)
	v_add_f64_e32 v[60:61], v[60:61], v[62:63]
	v_add_f64_e32 v[62:63], v[68:69], v[60:61]
	s_delay_alu instid0(VALU_DEP_1) | instskip(SKIP_1) | instid1(VALU_DEP_2)
	v_add_f64_e64 v[64:65], v[68:69], -v[62:63]
	v_mul_f64_e32 v[68:69], v[62:63], v[62:63]
	v_add_f64_e32 v[60:61], v[60:61], v[64:65]
	s_delay_alu instid0(VALU_DEP_2) | instskip(NEXT) | instid1(VALU_DEP_2)
	v_fma_f64 v[64:65], v[62:63], v[62:63], -v[68:69]
	v_add_f64_e32 v[70:71], v[60:61], v[60:61]
	s_delay_alu instid0(VALU_DEP_1) | instskip(SKIP_1) | instid1(VALU_DEP_1)
	v_fmac_f64_e32 v[64:65], v[62:63], v[70:71]
	v_fmamk_f64 v[70:71], v[62:63], 0x3e5ade156a5dcb37, v[32:33]
	v_fmaak_f64 v[70:71], v[62:63], v[70:71], 0x3ec71dee623fde64
	s_delay_alu instid0(VALU_DEP_1) | instskip(NEXT) | instid1(VALU_DEP_1)
	v_fmaak_f64 v[70:71], v[62:63], v[70:71], 0x3efa01997c89e6b0
	v_fmaak_f64 v[70:71], v[62:63], v[70:71], 0x3f2a01a014761f6e
	s_delay_alu instid0(VALU_DEP_1) | instskip(SKIP_1) | instid1(VALU_DEP_2)
	v_fmaak_f64 v[70:71], v[62:63], v[70:71], 0x3f56c16c1852b7b0
	v_add_f64_e32 v[72:73], v[68:69], v[64:65]
	v_fmaak_f64 v[70:71], v[62:63], v[70:71], 0x3f81111111122322
	s_delay_alu instid0(VALU_DEP_1) | instskip(NEXT) | instid1(VALU_DEP_1)
	v_fmaak_f64 v[70:71], v[62:63], v[70:71], 0x3fa55555555502a1
	v_fmaak_f64 v[70:71], v[62:63], v[70:71], 0x3fc5555555555511
	s_delay_alu instid0(VALU_DEP_1) | instskip(SKIP_1) | instid1(VALU_DEP_2)
	v_fmaak_f64 v[70:71], v[62:63], v[70:71], 0x3fe000000000000b
	v_add_f64_e64 v[68:69], v[72:73], -v[68:69]
	v_mul_f64_e32 v[74:75], v[72:73], v[70:71]
	s_delay_alu instid0(VALU_DEP_2) | instskip(NEXT) | instid1(VALU_DEP_2)
	v_add_f64_e64 v[64:65], v[64:65], -v[68:69]
	v_fma_f64 v[68:69], v[72:73], v[70:71], -v[74:75]
	s_delay_alu instid0(VALU_DEP_1) | instskip(NEXT) | instid1(VALU_DEP_1)
	v_fmac_f64_e32 v[68:69], v[64:65], v[70:71]
	v_add_f64_e32 v[64:65], v[74:75], v[68:69]
	s_delay_alu instid0(VALU_DEP_1) | instskip(SKIP_1) | instid1(VALU_DEP_2)
	v_add_f64_e32 v[70:71], v[62:63], v[64:65]
	v_add_f64_e64 v[72:73], v[64:65], -v[74:75]
	v_add_f64_e64 v[62:63], v[70:71], -v[62:63]
	s_delay_alu instid0(VALU_DEP_2) | instskip(NEXT) | instid1(VALU_DEP_2)
	v_add_f64_e64 v[68:69], v[68:69], -v[72:73]
	v_add_f64_e64 v[62:63], v[64:65], -v[62:63]
	s_delay_alu instid0(VALU_DEP_2) | instskip(NEXT) | instid1(VALU_DEP_1)
	v_add_f64_e32 v[60:61], v[60:61], v[68:69]
	v_add_f64_e32 v[60:61], v[60:61], v[62:63]
	s_delay_alu instid0(VALU_DEP_1) | instskip(NEXT) | instid1(VALU_DEP_1)
	v_add_f64_e32 v[62:63], v[70:71], v[60:61]
	v_add_f64_e32 v[64:65], 1.0, v[62:63]
	v_add_f64_e64 v[68:69], v[62:63], -v[70:71]
	s_delay_alu instid0(VALU_DEP_2) | instskip(NEXT) | instid1(VALU_DEP_2)
	v_add_f64_e32 v[70:71], -1.0, v[64:65]
	v_add_f64_e64 v[60:61], v[60:61], -v[68:69]
	s_delay_alu instid0(VALU_DEP_2) | instskip(NEXT) | instid1(VALU_DEP_1)
	v_add_f64_e64 v[62:63], v[62:63], -v[70:71]
	v_add_f64_e32 v[60:61], v[60:61], v[62:63]
	s_delay_alu instid0(VALU_DEP_1) | instskip(NEXT) | instid1(VALU_DEP_1)
	v_add_f64_e32 v[62:63], v[64:65], v[60:61]
	v_ldexp_f64 v[66:67], v[62:63], v10
	v_add_f64_e64 v[62:63], v[62:63], -v[64:65]
	s_delay_alu instid0(VALU_DEP_2) | instskip(NEXT) | instid1(VALU_DEP_1)
	v_rcp_f64_e32 v[68:69], v[66:67]
	v_add_f64_e64 v[60:61], v[60:61], -v[62:63]
	s_delay_alu instid0(VALU_DEP_1) | instskip(NEXT) | instid1(TRANS32_DEP_1)
	v_ldexp_f64 v[60:61], v[60:61], v10
	v_fma_f64 v[70:71], -v[66:67], v[68:69], 1.0
	s_delay_alu instid0(VALU_DEP_1) | instskip(NEXT) | instid1(VALU_DEP_1)
	v_fmac_f64_e32 v[68:69], v[70:71], v[68:69]
	v_fma_f64 v[70:71], -v[66:67], v[68:69], 1.0
	s_delay_alu instid0(VALU_DEP_1) | instskip(NEXT) | instid1(VALU_DEP_1)
	v_fmac_f64_e32 v[68:69], v[70:71], v[68:69]
	v_mul_f64_e32 v[62:63], v[66:67], v[68:69]
	s_delay_alu instid0(VALU_DEP_1) | instskip(NEXT) | instid1(VALU_DEP_1)
	v_fma_f64 v[64:65], v[68:69], v[66:67], -v[62:63]
	v_fmac_f64_e32 v[64:65], v[68:69], v[60:61]
	s_delay_alu instid0(VALU_DEP_1) | instskip(NEXT) | instid1(VALU_DEP_1)
	v_add_f64_e32 v[70:71], v[62:63], v[64:65]
	v_add_f64_e64 v[72:73], -v[70:71], 1.0
	v_add_f64_e64 v[62:63], v[70:71], -v[62:63]
	s_delay_alu instid0(VALU_DEP_2) | instskip(NEXT) | instid1(VALU_DEP_2)
	v_add_f64_e64 v[74:75], -v[72:73], 1.0
	v_add_f64_e64 v[62:63], v[62:63], -v[64:65]
	s_delay_alu instid0(VALU_DEP_2) | instskip(NEXT) | instid1(VALU_DEP_1)
	v_add_f64_e64 v[64:65], v[74:75], -v[70:71]
	v_add_f64_e32 v[62:63], v[62:63], v[64:65]
	s_delay_alu instid0(VALU_DEP_1) | instskip(NEXT) | instid1(VALU_DEP_1)
	v_add_f64_e32 v[64:65], v[72:73], v[62:63]
	v_mul_f64_e32 v[70:71], v[68:69], v[64:65]
	v_add_f64_e64 v[72:73], v[72:73], -v[64:65]
	s_delay_alu instid0(VALU_DEP_2) | instskip(NEXT) | instid1(VALU_DEP_2)
	v_mul_f64_e32 v[74:75], v[66:67], v[70:71]
	v_add_f64_e32 v[62:63], v[62:63], v[72:73]
	s_delay_alu instid0(VALU_DEP_2) | instskip(NEXT) | instid1(VALU_DEP_1)
	v_fma_f64 v[76:77], v[70:71], v[66:67], -v[74:75]
	v_fmac_f64_e32 v[76:77], v[70:71], v[60:61]
	s_delay_alu instid0(VALU_DEP_1) | instskip(NEXT) | instid1(VALU_DEP_1)
	v_add_f64_e32 v[84:85], v[74:75], v[76:77]
	v_add_f64_e64 v[80:81], v[64:65], -v[84:85]
	v_add_f64_e64 v[72:73], v[84:85], -v[74:75]
	v_fmaak_f64 v[74:75], v[78:79], v[82:83], 0x3f21e634a7943acf
	s_delay_alu instid0(VALU_DEP_1) | instskip(NEXT) | instid1(VALU_DEP_1)
	v_fmaak_f64 v[74:75], v[78:79], v[74:75], 0x3f2d250fdeb68feb
	v_fmaak_f64 v[74:75], v[78:79], v[74:75], 0x3f437fd9b58c4d95
	s_delay_alu instid0(VALU_DEP_1) | instskip(NEXT) | instid1(VALU_DEP_1)
	v_fmaak_f64 v[74:75], v[78:79], v[74:75], 0x3f57d5af15120e2c
	v_fmaak_f64 v[74:75], v[78:79], v[74:75], 0x3f6d6d93e09491df
	v_add_f64_e64 v[64:65], v[64:65], -v[80:81]
	v_add_f64_e64 v[72:73], v[72:73], -v[76:77]
	s_delay_alu instid0(VALU_DEP_2) | instskip(NEXT) | instid1(VALU_DEP_1)
	v_add_f64_e64 v[64:65], v[64:65], -v[84:85]
	v_add_f64_e32 v[62:63], v[62:63], v[64:65]
	v_fmaak_f64 v[64:65], v[78:79], v[74:75], 0x3f8226e12033784d
	v_add_f64_e32 v[74:75], v[68:69], v[70:71]
	s_delay_alu instid0(VALU_DEP_2) | instskip(NEXT) | instid1(VALU_DEP_1)
	v_fmaak_f64 v[64:65], v[78:79], v[64:65], 0x3f9664f49ac36ae2
	v_fmaak_f64 v[64:65], v[78:79], v[64:65], 0x3faba1ba1b451c21
	s_delay_alu instid0(VALU_DEP_1) | instskip(NEXT) | instid1(VALU_DEP_1)
	v_fmaak_f64 v[64:65], v[78:79], v[64:65], 0x3fc11111111185b7
	v_fmaak_f64 v[64:65], v[78:79], v[64:65], 0x3fd55555555554ee
	v_add_f64_e32 v[62:63], v[72:73], v[62:63]
	v_add_f64_e64 v[72:73], v[74:75], -v[68:69]
	s_delay_alu instid0(VALU_DEP_3) | instskip(NEXT) | instid1(VALU_DEP_3)
	v_mul_f64_e32 v[64:65], v[78:79], v[64:65]
	v_add_f64_e32 v[62:63], v[80:81], v[62:63]
	s_delay_alu instid0(VALU_DEP_3) | instskip(NEXT) | instid1(VALU_DEP_3)
	v_add_f64_e64 v[70:71], v[70:71], -v[72:73]
	v_mul_f64_e32 v[76:77], v[6:7], v[64:65]
	s_delay_alu instid0(VALU_DEP_3) | instskip(NEXT) | instid1(VALU_DEP_2)
	v_mul_f64_e32 v[62:63], v[68:69], v[62:63]
	v_add_f64_e32 v[68:69], v[6:7], v[76:77]
	v_fma_f64 v[64:65], v[6:7], v[64:65], -v[76:77]
	s_delay_alu instid0(VALU_DEP_3) | instskip(NEXT) | instid1(VALU_DEP_3)
	v_add_f64_e32 v[62:63], v[70:71], v[62:63]
	v_add_f64_e64 v[6:7], v[68:69], -v[6:7]
	s_delay_alu instid0(VALU_DEP_3) | instskip(NEXT) | instid1(VALU_DEP_3)
	v_add_f64_e32 v[58:59], v[58:59], v[64:65]
	v_add_f64_e32 v[70:71], v[74:75], v[62:63]
	s_delay_alu instid0(VALU_DEP_3) | instskip(NEXT) | instid1(VALU_DEP_2)
	v_add_f64_e64 v[6:7], v[76:77], -v[6:7]
	v_ldexp_f64 v[64:65], v[70:71], -2
	v_add_f64_e64 v[70:71], v[70:71], -v[74:75]
	s_delay_alu instid0(VALU_DEP_3) | instskip(NEXT) | instid1(VALU_DEP_3)
	v_add_f64_e32 v[6:7], v[58:59], v[6:7]
	v_add_f64_e64 v[58:59], v[66:67], -v[64:65]
	s_delay_alu instid0(VALU_DEP_3) | instskip(NEXT) | instid1(VALU_DEP_3)
	v_add_f64_e64 v[62:63], v[62:63], -v[70:71]
	v_add_f64_e32 v[72:73], v[68:69], v[6:7]
	s_delay_alu instid0(VALU_DEP_3) | instskip(NEXT) | instid1(VALU_DEP_3)
	v_add_f64_e64 v[66:67], v[66:67], -v[58:59]
	v_ldexp_f64 v[62:63], v[62:63], -2
	s_delay_alu instid0(VALU_DEP_3) | instskip(NEXT) | instid1(VALU_DEP_2)
	v_rcp_f64_e32 v[74:75], v[72:73]
	v_add_f64_e64 v[64:65], v[66:67], -v[64:65]
	s_delay_alu instid0(TRANS32_DEP_1) | instskip(NEXT) | instid1(VALU_DEP_2)
	v_fma_f64 v[66:67], -v[72:73], v[74:75], 1.0
	v_add_f64_e32 v[60:61], v[60:61], v[64:65]
	s_delay_alu instid0(VALU_DEP_2) | instskip(NEXT) | instid1(VALU_DEP_2)
	v_fmac_f64_e32 v[74:75], v[66:67], v[74:75]
	v_add_f64_e64 v[60:61], v[60:61], -v[62:63]
	s_delay_alu instid0(VALU_DEP_2) | instskip(NEXT) | instid1(VALU_DEP_2)
	v_fma_f64 v[62:63], -v[72:73], v[74:75], 1.0
	v_add_f64_e32 v[58:59], v[58:59], v[60:61]
	s_delay_alu instid0(VALU_DEP_2) | instskip(NEXT) | instid1(VALU_DEP_2)
	v_fmac_f64_e32 v[74:75], v[62:63], v[74:75]
	v_cndmask_b32_e32 v10, 0x7ff00000, v59, vcc_lo
	s_delay_alu instid0(VALU_DEP_3) | instskip(SKIP_3) | instid1(VALU_DEP_2)
	v_cndmask_b32_e32 v25, 0, v58, vcc_lo
	v_cmp_gt_f64_e64 vcc_lo, 0x3e400000, |v[12:13]|
	v_and_b32_e32 v13, 0x7fffffff, v13
	v_add_f64_e64 v[58:59], v[72:73], -v[68:69]
	v_dual_mul_f64 v[60:61], v[72:73], v[74:75] :: v_dual_cndmask_b32 v10, v10, v13, vcc_lo
	s_delay_alu instid0(VALU_DEP_2) | instskip(NEXT) | instid1(VALU_DEP_2)
	v_dual_add_f64 v[6:7], v[6:7], -v[58:59] :: v_dual_cndmask_b32 v12, v25, v12, vcc_lo
	v_bfi_b32 v13, 0x7fffffff, v10, v9
	s_delay_alu instid0(VALU_DEP_3) | instskip(NEXT) | instid1(VALU_DEP_2)
	v_fma_f64 v[58:59], v[74:75], v[72:73], -v[60:61]
	v_fma_f64 v[62:63], v[12:13], v[12:13], 1.0
	s_delay_alu instid0(VALU_DEP_2) | instskip(NEXT) | instid1(VALU_DEP_2)
	v_fmac_f64_e32 v[58:59], v[74:75], v[6:7]
	v_cmp_gt_f64_e32 vcc_lo, 0x10000000, v[62:63]
	v_cndmask_b32_e64 v9, 0, 0x100, vcc_lo
	s_delay_alu instid0(VALU_DEP_1) | instskip(NEXT) | instid1(VALU_DEP_4)
	v_ldexp_f64 v[6:7], v[62:63], v9
	v_add_f64_e32 v[62:63], v[60:61], v[58:59]
	s_delay_alu instid0(VALU_DEP_2) | instskip(NEXT) | instid1(VALU_DEP_1)
	v_rsq_f64_e32 v[64:65], v[6:7]
	v_add_f64_e64 v[66:67], -v[62:63], 1.0
	v_add_f64_e64 v[60:61], v[62:63], -v[60:61]
	s_delay_alu instid0(VALU_DEP_2) | instskip(NEXT) | instid1(VALU_DEP_2)
	v_add_f64_e64 v[70:71], -v[66:67], 1.0
	v_add_f64_e64 v[58:59], v[60:61], -v[58:59]
	s_delay_alu instid0(TRANS32_DEP_1) | instskip(SKIP_1) | instid1(VALU_DEP_4)
	v_mul_f64_e32 v[68:69], v[6:7], v[64:65]
	v_mul_f64_e32 v[64:65], 0.5, v[64:65]
	v_add_f64_e64 v[60:61], v[70:71], -v[62:63]
	s_delay_alu instid0(VALU_DEP_2) | instskip(NEXT) | instid1(VALU_DEP_2)
	v_fma_f64 v[76:77], -v[64:65], v[68:69], 0.5
	v_add_f64_e32 v[58:59], v[58:59], v[60:61]
	s_delay_alu instid0(VALU_DEP_2) | instskip(SKIP_1) | instid1(VALU_DEP_3)
	v_fmac_f64_e32 v[68:69], v[68:69], v[76:77]
	v_fmac_f64_e32 v[64:65], v[64:65], v[76:77]
	v_add_f64_e32 v[58:59], v[66:67], v[58:59]
	s_delay_alu instid0(VALU_DEP_3) | instskip(NEXT) | instid1(VALU_DEP_2)
	v_fma_f64 v[60:61], -v[68:69], v[68:69], v[6:7]
	v_mul_f64_e32 v[58:59], v[74:75], v[58:59]
	s_delay_alu instid0(VALU_DEP_2) | instskip(NEXT) | instid1(VALU_DEP_2)
	v_fmac_f64_e32 v[68:69], v[60:61], v[64:65]
	v_add_f64_e32 v[58:59], v[74:75], v[58:59]
	s_delay_alu instid0(VALU_DEP_2) | instskip(NEXT) | instid1(VALU_DEP_2)
	v_fma_f64 v[60:61], -v[68:69], v[68:69], v[6:7]
	v_xor_b32_e32 v9, 0x80000000, v59
	s_delay_alu instid0(VALU_DEP_1) | instskip(NEXT) | instid1(VALU_DEP_3)
	v_dual_cndmask_b32 v10, v58, v72, s6 :: v_dual_cndmask_b32 v8, v9, v73, s6
	v_fmac_f64_e32 v[68:69], v[60:61], v[64:65]
	v_cndmask_b32_e64 v9, 0, 0xffffff80, vcc_lo
	v_cmp_class_f64_e64 vcc_lo, v[6:7], 0x260
	s_delay_alu instid0(VALU_DEP_4) | instskip(NEXT) | instid1(VALU_DEP_1)
	v_bitop3_b32 v11, v8, v11, 0x80000000 bitop3:0x78
	v_fma_f64 v[58:59], v[10:11], v[10:11], 1.0
	s_delay_alu instid0(VALU_DEP_4) | instskip(NEXT) | instid1(VALU_DEP_1)
	v_ldexp_f64 v[8:9], v[68:69], v9
	v_dual_cndmask_b32 v7, v9, v7 :: v_dual_cndmask_b32 v6, v8, v6
	s_delay_alu instid0(VALU_DEP_3) | instskip(NEXT) | instid1(VALU_DEP_2)
	v_mul_f64_e32 v[8:9], v[12:13], v[58:59]
	v_mul_f64_e32 v[6:7], v[6:7], v[58:59]
	s_delay_alu instid0(VALU_DEP_2) | instskip(NEXT) | instid1(VALU_DEP_2)
	v_fma_f64 v[58:59], v[12:13], v[8:9], 1.0
	v_mul_f64_e32 v[6:7], v[12:13], v[6:7]
	s_delay_alu instid0(VALU_DEP_2) | instskip(NEXT) | instid1(VALU_DEP_2)
	v_div_scale_f64 v[12:13], null, v[58:59], v[58:59], v[10:11]
	v_div_scale_f64 v[8:9], null, v[58:59], v[58:59], v[6:7]
	v_div_scale_f64 v[68:69], vcc_lo, v[6:7], v[58:59], v[6:7]
	s_delay_alu instid0(VALU_DEP_3) | instskip(NEXT) | instid1(VALU_DEP_2)
	v_rcp_f64_e32 v[62:63], v[12:13]
	v_rcp_f64_e32 v[60:61], v[8:9]
	s_delay_alu instid0(TRANS32_DEP_2) | instskip(NEXT) | instid1(TRANS32_DEP_1)
	v_fma_f64 v[66:67], -v[12:13], v[62:63], 1.0
	v_fma_f64 v[64:65], -v[8:9], v[60:61], 1.0
	s_delay_alu instid0(VALU_DEP_2) | instskip(NEXT) | instid1(VALU_DEP_2)
	v_fmac_f64_e32 v[62:63], v[62:63], v[66:67]
	v_fmac_f64_e32 v[60:61], v[60:61], v[64:65]
	s_delay_alu instid0(VALU_DEP_2) | instskip(NEXT) | instid1(VALU_DEP_2)
	v_fma_f64 v[66:67], -v[12:13], v[62:63], 1.0
	v_fma_f64 v[64:65], -v[8:9], v[60:61], 1.0
	s_delay_alu instid0(VALU_DEP_2) | instskip(NEXT) | instid1(VALU_DEP_2)
	v_fmac_f64_e32 v[62:63], v[62:63], v[66:67]
	v_fmac_f64_e32 v[60:61], v[60:61], v[64:65]
	v_div_scale_f64 v[64:65], s6, v[10:11], v[58:59], v[10:11]
	s_delay_alu instid0(VALU_DEP_2) | instskip(NEXT) | instid1(VALU_DEP_2)
	v_mul_f64_e32 v[66:67], v[68:69], v[60:61]
	v_mul_f64_e32 v[70:71], v[64:65], v[62:63]
	s_delay_alu instid0(VALU_DEP_2) | instskip(NEXT) | instid1(VALU_DEP_2)
	v_fma_f64 v[8:9], -v[8:9], v[66:67], v[68:69]
	v_fma_f64 v[12:13], -v[12:13], v[70:71], v[64:65]
	s_delay_alu instid0(VALU_DEP_2) | instskip(SKIP_1) | instid1(VALU_DEP_2)
	v_div_fmas_f64 v[8:9], v[8:9], v[60:61], v[66:67]
	s_mov_b32 vcc_lo, s6
	v_div_fmas_f64 v[12:13], v[12:13], v[62:63], v[70:71]
	s_delay_alu instid0(VALU_DEP_2) | instskip(NEXT) | instid1(VALU_DEP_2)
	v_div_fixup_f64 v[8:9], v[8:9], v[58:59], v[6:7]
	v_div_fixup_f64 v[6:7], v[12:13], v[58:59], v[10:11]
                                        ; implicit-def: $vgpr10_vgpr11
.LBB99_20:                              ;   in Loop: Header=BB99_4 Depth=1
	s_and_not1_saveexec_b32 s6, s37
	s_cbranch_execz .LBB99_23
; %bb.21:                               ;   in Loop: Header=BB99_4 Depth=1
	v_cmp_ngt_f64_e64 s37, 0x41d00000, |v[10:11]|
                                        ; implicit-def: $vgpr8
                                        ; implicit-def: $vgpr6_vgpr7
                                        ; implicit-def: $vgpr58_vgpr59
	s_and_saveexec_b32 s38, s37
	s_delay_alu instid0(SALU_CYCLE_1)
	s_xor_b32 s38, exec_lo, s38
	s_cbranch_execz .LBB99_24
; %bb.22:                               ;   in Loop: Header=BB99_4 Depth=1
	v_ldexp_f64 v[6:7], |v[10:11]|, 0xffffff80
	v_cmp_le_f64_e64 vcc_lo, 0x7b000000, |v[10:11]|
	v_trig_preop_f64 v[58:59], |v[10:11]|, 0
	v_and_b32_e32 v8, 0x7fffffff, v11
	v_trig_preop_f64 v[60:61], |v[10:11]|, 1
	v_trig_preop_f64 v[70:71], |v[10:11]|, 2
	s_delay_alu instid0(VALU_DEP_3) | instskip(NEXT) | instid1(VALU_DEP_1)
	v_dual_cndmask_b32 v7, v8, v7 :: v_dual_cndmask_b32 v6, v10, v6
	v_mul_f64_e32 v[62:63], v[58:59], v[6:7]
	s_delay_alu instid0(VALU_DEP_4) | instskip(NEXT) | instid1(VALU_DEP_4)
	v_mul_f64_e32 v[64:65], v[60:61], v[6:7]
	v_mul_f64_e32 v[76:77], v[70:71], v[6:7]
	s_delay_alu instid0(VALU_DEP_3) | instskip(NEXT) | instid1(VALU_DEP_3)
	v_fma_f64 v[58:59], v[58:59], v[6:7], -v[62:63]
	v_fma_f64 v[60:61], v[60:61], v[6:7], -v[64:65]
	s_delay_alu instid0(VALU_DEP_3) | instskip(NEXT) | instid1(VALU_DEP_3)
	v_fma_f64 v[6:7], v[70:71], v[6:7], -v[76:77]
	v_add_f64_e32 v[66:67], v[64:65], v[58:59]
	s_delay_alu instid0(VALU_DEP_1) | instskip(SKIP_1) | instid1(VALU_DEP_2)
	v_add_f64_e64 v[68:69], v[66:67], -v[64:65]
	v_add_f64_e32 v[74:75], v[62:63], v[66:67]
	v_add_f64_e64 v[72:73], v[66:67], -v[68:69]
	v_add_f64_e64 v[58:59], v[58:59], -v[68:69]
	s_delay_alu instid0(VALU_DEP_3) | instskip(NEXT) | instid1(VALU_DEP_3)
	v_ldexp_f64 v[68:69], v[74:75], -2
	v_add_f64_e64 v[64:65], v[64:65], -v[72:73]
	v_add_f64_e32 v[72:73], v[76:77], v[60:61]
	s_delay_alu instid0(VALU_DEP_3) | instskip(NEXT) | instid1(VALU_DEP_3)
	v_cmp_neq_f64_e64 vcc_lo, 0x7ff00000, |v[68:69]|
	v_add_f64_e32 v[58:59], v[58:59], v[64:65]
	v_fract_f64_e32 v[64:65], v[68:69]
	s_delay_alu instid0(VALU_DEP_1) | instskip(NEXT) | instid1(VALU_DEP_1)
	v_ldexp_f64 v[64:65], v[64:65], 2
	v_dual_add_f64 v[62:63], v[74:75], -v[62:63] :: v_dual_cndmask_b32 v65, 0, v65, vcc_lo
	s_delay_alu instid0(VALU_DEP_1) | instskip(SKIP_1) | instid1(VALU_DEP_1)
	v_dual_add_f64 v[62:63], v[66:67], -v[62:63] :: v_dual_cndmask_b32 v64, 0, v64, vcc_lo
	v_add_f64_e32 v[66:67], v[72:73], v[58:59]
	v_add_f64_e32 v[68:69], v[62:63], v[66:67]
	v_add_f64_e64 v[78:79], v[66:67], -v[72:73]
	s_delay_alu instid0(VALU_DEP_2) | instskip(NEXT) | instid1(VALU_DEP_2)
	v_add_f64_e32 v[74:75], v[68:69], v[64:65]
	v_add_f64_e64 v[84:85], v[66:67], -v[78:79]
	v_add_f64_e64 v[58:59], v[58:59], -v[78:79]
	;; [unrolled: 1-line block ×3, first 2 shown]
	s_delay_alu instid0(VALU_DEP_4) | instskip(SKIP_1) | instid1(VALU_DEP_3)
	v_cmp_gt_f64_e32 vcc_lo, 0, v[74:75]
	v_add_f64_e64 v[74:75], v[72:73], -v[76:77]
	v_add_f64_e64 v[62:63], v[66:67], -v[62:63]
	v_cndmask_b32_e64 v25, 0, 0x40100000, vcc_lo
	s_delay_alu instid0(VALU_DEP_3) | instskip(SKIP_2) | instid1(VALU_DEP_4)
	v_add_f64_e64 v[82:83], v[72:73], -v[74:75]
	v_add_f64_e64 v[60:61], v[60:61], -v[74:75]
	;; [unrolled: 1-line block ×3, first 2 shown]
	v_add_f64_e32 v[64:65], v[64:65], v[24:25]
	s_delay_alu instid0(VALU_DEP_4) | instskip(NEXT) | instid1(VALU_DEP_3)
	v_add_f64_e64 v[74:75], v[76:77], -v[82:83]
	v_add_f64_e32 v[58:59], v[58:59], v[72:73]
	s_delay_alu instid0(VALU_DEP_3) | instskip(NEXT) | instid1(VALU_DEP_3)
	v_add_f64_e32 v[80:81], v[68:69], v[64:65]
	v_add_f64_e32 v[60:61], v[60:61], v[74:75]
	s_delay_alu instid0(VALU_DEP_2) | instskip(NEXT) | instid1(VALU_DEP_2)
	v_cvt_i32_f64_e32 v8, v[80:81]
	v_add_f64_e32 v[58:59], v[60:61], v[58:59]
	s_delay_alu instid0(VALU_DEP_2) | instskip(NEXT) | instid1(VALU_DEP_2)
	v_cvt_f64_i32_e32 v[78:79], v8
	v_add_f64_e32 v[6:7], v[6:7], v[58:59]
	s_delay_alu instid0(VALU_DEP_2) | instskip(NEXT) | instid1(VALU_DEP_2)
	v_add_f64_e64 v[64:65], v[64:65], -v[78:79]
	v_add_f64_e32 v[6:7], v[62:63], v[6:7]
	s_delay_alu instid0(VALU_DEP_2) | instskip(NEXT) | instid1(VALU_DEP_1)
	v_add_f64_e32 v[60:61], v[68:69], v[64:65]
	v_add_f64_e64 v[58:59], v[60:61], -v[64:65]
	v_cmp_le_f64_e32 vcc_lo, 0.5, v[60:61]
	s_delay_alu instid0(VALU_DEP_2) | instskip(SKIP_2) | instid1(VALU_DEP_3)
	v_add_f64_e64 v[58:59], v[68:69], -v[58:59]
	v_cndmask_b32_e64 v25, 0, 0x3ff00000, vcc_lo
	v_add_co_ci_u32_e64 v8, null, 0, v8, vcc_lo
	v_add_f64_e32 v[6:7], v[6:7], v[58:59]
	s_delay_alu instid0(VALU_DEP_3) | instskip(NEXT) | instid1(VALU_DEP_1)
	v_add_f64_e64 v[58:59], v[60:61], -v[24:25]
	v_add_f64_e32 v[60:61], v[58:59], v[6:7]
	s_delay_alu instid0(VALU_DEP_1) | instskip(SKIP_1) | instid1(VALU_DEP_2)
	v_mul_f64_e32 v[62:63], 0x3ff921fb54442d18, v[60:61]
	v_add_f64_e64 v[58:59], v[60:61], -v[58:59]
	v_fma_f64 v[64:65], v[60:61], s[16:17], -v[62:63]
	s_delay_alu instid0(VALU_DEP_2) | instskip(NEXT) | instid1(VALU_DEP_2)
	v_add_f64_e64 v[6:7], v[6:7], -v[58:59]
	v_fmac_f64_e32 v[64:65], 0x3c91a62633145c07, v[60:61]
	s_delay_alu instid0(VALU_DEP_1) | instskip(NEXT) | instid1(VALU_DEP_1)
	v_fmac_f64_e32 v[64:65], 0x3ff921fb54442d18, v[6:7]
	v_add_f64_e32 v[6:7], v[62:63], v[64:65]
	s_delay_alu instid0(VALU_DEP_1) | instskip(NEXT) | instid1(VALU_DEP_1)
	v_add_f64_e64 v[58:59], v[6:7], -v[62:63]
	v_add_f64_e64 v[58:59], v[64:65], -v[58:59]
	s_and_not1_saveexec_b32 s38, s38
	s_cbranch_execz .LBB99_26
	s_branch .LBB99_25
.LBB99_23:                              ;   in Loop: Header=BB99_4 Depth=1
	s_or_b32 exec_lo, exec_lo, s6
                                        ; implicit-def: $vgpr10_vgpr11
	s_and_not1_saveexec_b32 s6, s36
	s_cbranch_execnz .LBB99_32
	s_branch .LBB99_33
.LBB99_24:                              ;   in Loop: Header=BB99_4 Depth=1
	s_and_not1_saveexec_b32 s38, s38
	s_cbranch_execz .LBB99_26
.LBB99_25:                              ;   in Loop: Header=BB99_4 Depth=1
	v_mul_f64_e64 v[6:7], |v[10:11]|, s[18:19]
	s_delay_alu instid0(VALU_DEP_1) | instskip(NEXT) | instid1(VALU_DEP_1)
	v_rndne_f64_e32 v[60:61], v[6:7]
	v_fma_f64 v[6:7], v[60:61], s[20:21], |v[10:11]|
	v_mul_f64_e32 v[58:59], 0xbc91a62633145c00, v[60:61]
	v_cvt_i32_f64_e32 v8, v[60:61]
	s_delay_alu instid0(VALU_DEP_3) | instskip(NEXT) | instid1(VALU_DEP_3)
	v_fmamk_f64 v[66:67], v[60:61], 0xbc91a62633145c00, v[6:7]
	v_add_f64_e32 v[62:63], v[6:7], v[58:59]
	s_delay_alu instid0(VALU_DEP_1) | instskip(NEXT) | instid1(VALU_DEP_3)
	v_add_f64_e64 v[64:65], v[6:7], -v[62:63]
	v_add_f64_e64 v[6:7], v[62:63], -v[66:67]
	s_delay_alu instid0(VALU_DEP_2) | instskip(SKIP_1) | instid1(VALU_DEP_2)
	v_add_f64_e32 v[62:63], v[64:65], v[58:59]
	v_fmamk_f64 v[58:59], v[60:61], 0x3c91a62633145c00, v[58:59]
	v_add_f64_e32 v[6:7], v[6:7], v[62:63]
	s_delay_alu instid0(VALU_DEP_1) | instskip(NEXT) | instid1(VALU_DEP_1)
	v_add_f64_e64 v[58:59], v[6:7], -v[58:59]
	v_fmac_f64_e32 v[58:59], 0xb97b839a252049c0, v[60:61]
	s_delay_alu instid0(VALU_DEP_1) | instskip(NEXT) | instid1(VALU_DEP_1)
	v_add_f64_e32 v[6:7], v[66:67], v[58:59]
	v_add_f64_e64 v[62:63], v[6:7], -v[66:67]
	s_delay_alu instid0(VALU_DEP_1)
	v_add_f64_e64 v[58:59], v[58:59], -v[62:63]
.LBB99_26:                              ;   in Loop: Header=BB99_4 Depth=1
	s_or_b32 exec_lo, exec_lo, s38
                                        ; implicit-def: $vgpr64
                                        ; implicit-def: $vgpr60_vgpr61
                                        ; implicit-def: $vgpr62_vgpr63
	s_and_saveexec_b32 s38, s37
	s_delay_alu instid0(SALU_CYCLE_1)
	s_xor_b32 s37, exec_lo, s38
	s_cbranch_execz .LBB99_28
; %bb.27:                               ;   in Loop: Header=BB99_4 Depth=1
	v_ldexp_f64 v[60:61], |v[10:11]|, 0xffffff80
	v_cmp_le_f64_e64 vcc_lo, 0x7b000000, |v[10:11]|
	v_trig_preop_f64 v[62:63], |v[10:11]|, 0
	v_and_b32_e32 v25, 0x7fffffff, v11
	v_trig_preop_f64 v[64:65], |v[10:11]|, 1
	v_trig_preop_f64 v[74:75], |v[10:11]|, 2
	s_delay_alu instid0(VALU_DEP_3) | instskip(NEXT) | instid1(VALU_DEP_1)
	v_dual_cndmask_b32 v61, v25, v61 :: v_dual_cndmask_b32 v60, v10, v60
	v_mul_f64_e32 v[66:67], v[62:63], v[60:61]
	s_delay_alu instid0(VALU_DEP_4) | instskip(NEXT) | instid1(VALU_DEP_4)
	v_mul_f64_e32 v[68:69], v[64:65], v[60:61]
	v_mul_f64_e32 v[80:81], v[74:75], v[60:61]
	s_delay_alu instid0(VALU_DEP_3) | instskip(NEXT) | instid1(VALU_DEP_3)
	v_fma_f64 v[62:63], v[62:63], v[60:61], -v[66:67]
	v_fma_f64 v[64:65], v[64:65], v[60:61], -v[68:69]
	s_delay_alu instid0(VALU_DEP_3) | instskip(NEXT) | instid1(VALU_DEP_3)
	v_fma_f64 v[60:61], v[74:75], v[60:61], -v[80:81]
	v_add_f64_e32 v[70:71], v[68:69], v[62:63]
	s_delay_alu instid0(VALU_DEP_1) | instskip(SKIP_1) | instid1(VALU_DEP_2)
	v_add_f64_e64 v[72:73], v[70:71], -v[68:69]
	v_add_f64_e32 v[78:79], v[66:67], v[70:71]
	v_add_f64_e64 v[76:77], v[70:71], -v[72:73]
	v_add_f64_e64 v[62:63], v[62:63], -v[72:73]
	s_delay_alu instid0(VALU_DEP_3) | instskip(NEXT) | instid1(VALU_DEP_3)
	v_ldexp_f64 v[72:73], v[78:79], -2
	v_add_f64_e64 v[68:69], v[68:69], -v[76:77]
	v_add_f64_e32 v[76:77], v[80:81], v[64:65]
	s_delay_alu instid0(VALU_DEP_3) | instskip(NEXT) | instid1(VALU_DEP_3)
	v_cmp_neq_f64_e64 vcc_lo, 0x7ff00000, |v[72:73]|
	v_add_f64_e32 v[62:63], v[62:63], v[68:69]
	v_fract_f64_e32 v[68:69], v[72:73]
	s_delay_alu instid0(VALU_DEP_1) | instskip(NEXT) | instid1(VALU_DEP_1)
	v_ldexp_f64 v[68:69], v[68:69], 2
	v_dual_add_f64 v[66:67], v[78:79], -v[66:67] :: v_dual_cndmask_b32 v68, 0, v68, vcc_lo
	s_delay_alu instid0(VALU_DEP_1) | instskip(SKIP_1) | instid1(VALU_DEP_1)
	v_dual_add_f64 v[66:67], v[70:71], -v[66:67] :: v_dual_cndmask_b32 v69, 0, v69, vcc_lo
	v_add_f64_e32 v[70:71], v[76:77], v[62:63]
	v_add_f64_e32 v[72:73], v[66:67], v[70:71]
	v_add_f64_e64 v[82:83], v[70:71], -v[76:77]
	s_delay_alu instid0(VALU_DEP_2) | instskip(NEXT) | instid1(VALU_DEP_2)
	v_add_f64_e32 v[78:79], v[72:73], v[68:69]
	v_add_f64_e64 v[88:89], v[70:71], -v[82:83]
	v_add_f64_e64 v[62:63], v[62:63], -v[82:83]
	;; [unrolled: 1-line block ×3, first 2 shown]
	s_delay_alu instid0(VALU_DEP_4) | instskip(SKIP_2) | instid1(VALU_DEP_2)
	v_cmp_gt_f64_e32 vcc_lo, 0, v[78:79]
	v_add_f64_e64 v[78:79], v[76:77], -v[80:81]
	v_cndmask_b32_e64 v25, 0, 0x40100000, vcc_lo
	v_add_f64_e64 v[86:87], v[76:77], -v[78:79]
	v_add_f64_e64 v[64:65], v[64:65], -v[78:79]
	;; [unrolled: 1-line block ×3, first 2 shown]
	s_delay_alu instid0(VALU_DEP_4) | instskip(NEXT) | instid1(VALU_DEP_4)
	v_add_f64_e32 v[68:69], v[68:69], v[24:25]
	v_add_f64_e64 v[78:79], v[80:81], -v[86:87]
	s_delay_alu instid0(VALU_DEP_3) | instskip(NEXT) | instid1(VALU_DEP_3)
	v_add_f64_e32 v[62:63], v[62:63], v[76:77]
	v_add_f64_e32 v[84:85], v[72:73], v[68:69]
	s_delay_alu instid0(VALU_DEP_3) | instskip(NEXT) | instid1(VALU_DEP_2)
	v_add_f64_e32 v[64:65], v[64:65], v[78:79]
	v_cvt_i32_f64_e32 v25, v[84:85]
	s_delay_alu instid0(VALU_DEP_2) | instskip(SKIP_1) | instid1(VALU_DEP_3)
	v_add_f64_e32 v[62:63], v[64:65], v[62:63]
	v_add_f64_e64 v[64:65], v[70:71], -v[66:67]
	v_cvt_f64_i32_e32 v[82:83], v25
	s_delay_alu instid0(VALU_DEP_3) | instskip(NEXT) | instid1(VALU_DEP_2)
	v_add_f64_e32 v[60:61], v[60:61], v[62:63]
	v_add_f64_e64 v[68:69], v[68:69], -v[82:83]
	s_delay_alu instid0(VALU_DEP_2) | instskip(NEXT) | instid1(VALU_DEP_2)
	v_add_f64_e32 v[60:61], v[64:65], v[60:61]
	v_add_f64_e32 v[74:75], v[72:73], v[68:69]
	s_delay_alu instid0(VALU_DEP_1) | instskip(SKIP_1) | instid1(VALU_DEP_2)
	v_add_f64_e64 v[62:63], v[74:75], -v[68:69]
	v_cmp_le_f64_e32 vcc_lo, 0.5, v[74:75]
	v_add_f64_e64 v[62:63], v[72:73], -v[62:63]
	v_add_co_ci_u32_e64 v64, null, 0, v25, vcc_lo
	v_cndmask_b32_e64 v25, 0, 0x3ff00000, vcc_lo
	s_delay_alu instid0(VALU_DEP_3) | instskip(NEXT) | instid1(VALU_DEP_2)
	v_add_f64_e32 v[60:61], v[60:61], v[62:63]
	v_add_f64_e64 v[62:63], v[74:75], -v[24:25]
	s_delay_alu instid0(VALU_DEP_1) | instskip(NEXT) | instid1(VALU_DEP_1)
	v_add_f64_e32 v[66:67], v[62:63], v[60:61]
	v_mul_f64_e32 v[68:69], 0x3ff921fb54442d18, v[66:67]
	v_add_f64_e64 v[62:63], v[66:67], -v[62:63]
	s_delay_alu instid0(VALU_DEP_2) | instskip(NEXT) | instid1(VALU_DEP_2)
	v_fma_f64 v[70:71], v[66:67], s[16:17], -v[68:69]
	v_add_f64_e64 v[60:61], v[60:61], -v[62:63]
	s_delay_alu instid0(VALU_DEP_2) | instskip(NEXT) | instid1(VALU_DEP_1)
	v_fmac_f64_e32 v[70:71], 0x3c91a62633145c07, v[66:67]
	v_fmac_f64_e32 v[70:71], 0x3ff921fb54442d18, v[60:61]
	s_delay_alu instid0(VALU_DEP_1) | instskip(NEXT) | instid1(VALU_DEP_1)
	v_add_f64_e32 v[60:61], v[68:69], v[70:71]
	v_add_f64_e64 v[62:63], v[60:61], -v[68:69]
	s_delay_alu instid0(VALU_DEP_1)
	v_add_f64_e64 v[62:63], v[70:71], -v[62:63]
	s_and_not1_saveexec_b32 s37, s37
	s_cbranch_execnz .LBB99_29
	s_branch .LBB99_30
.LBB99_28:                              ;   in Loop: Header=BB99_4 Depth=1
	s_and_not1_saveexec_b32 s37, s37
	s_cbranch_execz .LBB99_30
.LBB99_29:                              ;   in Loop: Header=BB99_4 Depth=1
	v_mul_f64_e64 v[60:61], |v[10:11]|, s[18:19]
	s_delay_alu instid0(VALU_DEP_1) | instskip(NEXT) | instid1(VALU_DEP_1)
	v_rndne_f64_e32 v[64:65], v[60:61]
	v_fma_f64 v[60:61], v[64:65], s[20:21], |v[10:11]|
	v_mul_f64_e32 v[62:63], 0xbc91a62633145c00, v[64:65]
	s_delay_alu instid0(VALU_DEP_2) | instskip(NEXT) | instid1(VALU_DEP_2)
	v_fmamk_f64 v[70:71], v[64:65], 0xbc91a62633145c00, v[60:61]
	v_add_f64_e32 v[66:67], v[60:61], v[62:63]
	s_delay_alu instid0(VALU_DEP_1) | instskip(NEXT) | instid1(VALU_DEP_3)
	v_add_f64_e64 v[68:69], v[60:61], -v[66:67]
	v_add_f64_e64 v[60:61], v[66:67], -v[70:71]
	s_delay_alu instid0(VALU_DEP_2) | instskip(SKIP_1) | instid1(VALU_DEP_2)
	v_add_f64_e32 v[66:67], v[68:69], v[62:63]
	v_fmamk_f64 v[62:63], v[64:65], 0x3c91a62633145c00, v[62:63]
	v_add_f64_e32 v[60:61], v[60:61], v[66:67]
	s_delay_alu instid0(VALU_DEP_1) | instskip(NEXT) | instid1(VALU_DEP_1)
	v_add_f64_e64 v[62:63], v[60:61], -v[62:63]
	v_fmac_f64_e32 v[62:63], 0xb97b839a252049c0, v[64:65]
	v_cvt_i32_f64_e32 v64, v[64:65]
	s_delay_alu instid0(VALU_DEP_2) | instskip(NEXT) | instid1(VALU_DEP_1)
	v_add_f64_e32 v[60:61], v[70:71], v[62:63]
	v_add_f64_e64 v[66:67], v[60:61], -v[70:71]
	s_delay_alu instid0(VALU_DEP_1)
	v_add_f64_e64 v[62:63], v[62:63], -v[66:67]
.LBB99_30:                              ;   in Loop: Header=BB99_4 Depth=1
	s_or_b32 exec_lo, exec_lo, s37
	v_dual_mul_f64 v[66:67], v[6:7], v[6:7] :: v_dual_bitop2_b32 v10, 1, v8 bitop3:0x40
	s_delay_alu instid0(VALU_DEP_2) | instskip(NEXT) | instid1(VALU_DEP_3)
	v_mul_f64_e32 v[78:79], 0.5, v[58:59]
	v_mul_f64_e32 v[90:91], 0.5, v[62:63]
	v_mul_f64_e64 v[72:73], |v[12:13]|, s[30:31]
	v_lshlrev_b32_e32 v8, 30, v8
	v_cmp_eq_u32_e32 vcc_lo, 0, v10
	s_delay_alu instid0(VALU_DEP_2) | instskip(SKIP_4) | instid1(VALU_DEP_2)
	v_xor_b32_e32 v8, v8, v11
	v_mul_f64_e32 v[70:71], 0.5, v[66:67]
	v_mul_f64_e64 v[80:81], v[6:7], -v[66:67]
	v_fmamk_f64 v[86:87], v[66:67], 0x3de5e0b2f9a43bb8, v[48:49]
	v_rndne_f64_e32 v[72:73], v[72:73]
	v_fmaak_f64 v[86:87], v[66:67], v[86:87], 0x3ec71de3796cde01
	s_delay_alu instid0(VALU_DEP_1) | instskip(NEXT) | instid1(VALU_DEP_1)
	v_fmaak_f64 v[86:87], v[66:67], v[86:87], 0xbf2a01a019e83e5c
	v_fmaak_f64 v[86:87], v[66:67], v[86:87], 0x3f81111111110bb3
	v_add_f64_e64 v[76:77], -v[70:71], 1.0
	s_delay_alu instid0(VALU_DEP_2) | instskip(SKIP_2) | instid1(VALU_DEP_4)
	v_fmac_f64_e32 v[78:79], v[80:81], v[86:87]
	v_fma_f64 v[88:89], v[72:73], s[22:23], -|v[12:13]|
	v_cvt_i32_f64_e32 v25, v[72:73]
	v_add_f64_e64 v[84:85], -v[76:77], 1.0
	s_delay_alu instid0(VALU_DEP_4) | instskip(NEXT) | instid1(VALU_DEP_4)
	v_fma_f64 v[78:79], v[66:67], v[78:79], -v[58:59]
	v_fmac_f64_e32 v[88:89], 0xbc7abc9e3b39803f, v[72:73]
	s_delay_alu instid0(VALU_DEP_3) | instskip(NEXT) | instid1(VALU_DEP_3)
	v_add_f64_e64 v[70:71], v[84:85], -v[70:71]
	v_fmac_f64_e32 v[78:79], 0xbfc5555555555555, v[80:81]
	s_delay_alu instid0(VALU_DEP_2) | instskip(NEXT) | instid1(VALU_DEP_2)
	v_fma_f64 v[58:59], v[6:7], -v[58:59], v[70:71]
	v_add_f64_e64 v[6:7], v[6:7], -v[78:79]
	v_mul_f64_e32 v[68:69], v[60:61], v[60:61]
	s_delay_alu instid0(VALU_DEP_1) | instskip(SKIP_1) | instid1(VALU_DEP_1)
	v_mul_f64_e64 v[92:93], v[60:61], -v[68:69]
	v_fmamk_f64 v[94:95], v[68:69], 0x3de5e0b2f9a43bb8, v[48:49]
	v_fmaak_f64 v[84:85], v[68:69], v[94:95], 0x3ec71de3796cde01
	v_fmamk_f64 v[94:95], v[66:67], 0xbda907db46cc5e42, v[46:47]
	s_delay_alu instid0(VALU_DEP_2) | instskip(NEXT) | instid1(VALU_DEP_2)
	v_fmaak_f64 v[84:85], v[68:69], v[84:85], 0xbf2a01a019e83e5c
	v_fmaak_f64 v[70:71], v[66:67], v[94:95], 0xbe927e4fa17f65f6
	s_delay_alu instid0(VALU_DEP_2) | instskip(NEXT) | instid1(VALU_DEP_2)
	v_fmaak_f64 v[84:85], v[68:69], v[84:85], 0x3f81111111110bb3
	v_fmaak_f64 v[70:71], v[66:67], v[70:71], 0x3efa01a019f4ec90
	s_delay_alu instid0(VALU_DEP_1) | instskip(NEXT) | instid1(VALU_DEP_3)
	v_fmaak_f64 v[70:71], v[66:67], v[70:71], 0xbf56c16c16c16967
	v_fmac_f64_e32 v[90:91], v[92:93], v[84:85]
	v_mul_f64_e32 v[84:85], v[66:67], v[66:67]
	s_delay_alu instid0(VALU_DEP_3) | instskip(NEXT) | instid1(VALU_DEP_1)
	v_fmaak_f64 v[66:67], v[66:67], v[70:71], 0x3fa5555555555555
	v_fmac_f64_e32 v[58:59], v[84:85], v[66:67]
	s_delay_alu instid0(VALU_DEP_1) | instskip(NEXT) | instid1(VALU_DEP_1)
	v_add_f64_e32 v[58:59], v[76:77], v[58:59]
	v_dual_mul_f64 v[74:75], 0.5, v[68:69] :: v_dual_cndmask_b32 v6, v58, v6, vcc_lo
	s_delay_alu instid0(VALU_DEP_2) | instskip(NEXT) | instid1(VALU_DEP_1)
	v_cndmask_b32_e32 v7, v59, v7, vcc_lo
	v_bitop3_b32 v7, v7, v8, 0x80000000 bitop3:0x78
	s_delay_alu instid0(VALU_DEP_1) | instskip(NEXT) | instid1(VALU_DEP_1)
	v_dual_mul_f64 v[6:7], 4.0, v[6:7] :: v_dual_bitop2_b32 v8, 1, v64 bitop3:0x40
	v_cmp_eq_u32_e32 vcc_lo, 0, v8
	v_add_f64_e64 v[82:83], -v[74:75], 1.0
	s_delay_alu instid0(VALU_DEP_1) | instskip(NEXT) | instid1(VALU_DEP_1)
	v_add_f64_e64 v[86:87], -v[82:83], 1.0
	v_add_f64_e64 v[74:75], v[86:87], -v[74:75]
	v_fmamk_f64 v[86:87], v[88:89], 0x3e5ade156a5dcb37, v[32:33]
	s_delay_alu instid0(VALU_DEP_1) | instskip(NEXT) | instid1(VALU_DEP_1)
	v_fmaak_f64 v[86:87], v[88:89], v[86:87], 0x3ec71dee623fde64
	v_fmaak_f64 v[86:87], v[88:89], v[86:87], 0x3efa01997c89e6b0
	s_delay_alu instid0(VALU_DEP_1) | instskip(SKIP_2) | instid1(VALU_DEP_3)
	v_fmaak_f64 v[70:71], v[88:89], v[86:87], 0x3f2a01a014761f6e
	v_fma_f64 v[86:87], v[68:69], v[90:91], -v[62:63]
	v_fmamk_f64 v[90:91], v[68:69], 0xbda907db46cc5e42, v[46:47]
	v_fmaak_f64 v[66:67], v[88:89], v[70:71], 0x3f56c16c1852b7b0
	s_delay_alu instid0(VALU_DEP_2) | instskip(SKIP_1) | instid1(VALU_DEP_3)
	v_fmaak_f64 v[70:71], v[68:69], v[90:91], 0xbe927e4fa17f65f6
	v_fma_f64 v[62:63], v[60:61], -v[62:63], v[74:75]
	v_fmaak_f64 v[66:67], v[88:89], v[66:67], 0x3f81111111122322
	s_delay_alu instid0(VALU_DEP_3) | instskip(NEXT) | instid1(VALU_DEP_2)
	v_fmaak_f64 v[70:71], v[68:69], v[70:71], 0x3efa01a019f4ec90
	v_fmaak_f64 v[66:67], v[88:89], v[66:67], 0x3fa55555555502a1
	s_delay_alu instid0(VALU_DEP_2) | instskip(NEXT) | instid1(VALU_DEP_2)
	v_fmaak_f64 v[70:71], v[68:69], v[70:71], 0xbf56c16c16c16967
	v_fmaak_f64 v[66:67], v[88:89], v[66:67], 0x3fc5555555555511
	v_fmac_f64_e32 v[86:87], 0xbfc5555555555555, v[92:93]
	s_delay_alu instid0(VALU_DEP_2) | instskip(NEXT) | instid1(VALU_DEP_1)
	v_fmaak_f64 v[66:67], v[88:89], v[66:67], 0x3fe000000000000b
	v_fma_f64 v[66:67], v[88:89], v[66:67], 1.0
	s_delay_alu instid0(VALU_DEP_3) | instskip(NEXT) | instid1(VALU_DEP_2)
	v_add_f64_e64 v[60:61], v[60:61], -v[86:87]
	v_fma_f64 v[10:11], v[88:89], v[66:67], 1.0
	s_delay_alu instid0(VALU_DEP_2) | instskip(NEXT) | instid1(VALU_DEP_2)
	v_xor_b32_e32 v59, 0x80000000, v61
	v_ldexp_f64 v[10:11], v[10:11], v25
	v_mul_f64_e32 v[94:95], v[68:69], v[68:69]
	v_fmaak_f64 v[68:69], v[68:69], v[70:71], 0x3fa5555555555555
	v_bfi_b32 v25, 0x7fffffff, s33, v9
	s_delay_alu instid0(VALU_DEP_2) | instskip(NEXT) | instid1(VALU_DEP_1)
	v_fmac_f64_e32 v[62:63], v[94:95], v[68:69]
	v_add_f64_e32 v[62:63], v[82:83], v[62:63]
	s_delay_alu instid0(VALU_DEP_1) | instskip(NEXT) | instid1(VALU_DEP_2)
	v_dual_cndmask_b32 v8, v59, v63 :: v_dual_lshlrev_b32 v59, 30, v64
	v_cndmask_b32_e32 v58, v60, v62, vcc_lo
	v_cmp_nlt_f64_e64 vcc_lo, 0x4090cc00, |v[12:13]|
	s_delay_alu instid0(VALU_DEP_3) | instskip(SKIP_1) | instid1(VALU_DEP_2)
	v_bitop3_b32 v59, v8, v59, 0x80000000 bitop3:0x78
	v_mov_b64_e32 v[8:9], v[24:25]
	v_mul_f64_e32 v[6:7], v[6:7], v[58:59]
	v_dual_cndmask_b32 v11, 0, v11 :: v_dual_cndmask_b32 v10, 0, v10
	s_delay_alu instid0(VALU_DEP_1) | instskip(NEXT) | instid1(VALU_DEP_1)
	v_mul_f64_e32 v[6:7], v[10:11], v[6:7]
	v_mul_f64_e32 v[6:7], v[10:11], v[6:7]
	s_or_b32 exec_lo, exec_lo, s6
                                        ; implicit-def: $vgpr10_vgpr11
.LBB99_31:                              ;   in Loop: Header=BB99_4 Depth=1
	s_and_not1_saveexec_b32 s6, s36
	s_cbranch_execz .LBB99_33
.LBB99_32:                              ;   in Loop: Header=BB99_4 Depth=1
	v_add_f64_e64 v[6:7], v[10:11], -v[10:11]
	s_delay_alu instid0(VALU_DEP_1)
	v_mov_b64_e32 v[8:9], v[6:7]
.LBB99_33:                              ;   in Loop: Header=BB99_4 Depth=1
	s_or_b32 exec_lo, exec_lo, s6
                                        ; implicit-def: $vgpr10_vgpr11
.LBB99_34:                              ;   in Loop: Header=BB99_4 Depth=1
	s_and_not1_saveexec_b32 s36, s7
	s_cbranch_execz .LBB99_50
; %bb.35:                               ;   in Loop: Header=BB99_4 Depth=1
	s_delay_alu instid0(VALU_DEP_1) | instskip(SKIP_1) | instid1(VALU_DEP_1)
	v_and_or_b32 v6, 0xfffff, v9, v8
	s_mov_b32 s6, exec_lo
	v_cmpx_ne_u32_e32 0, v6
	s_xor_b32 s6, exec_lo, s6
	s_cbranch_execz .LBB99_37
; %bb.36:                               ;   in Loop: Header=BB99_4 Depth=1
	v_mul_f64_e64 v[6:7], v[10:11], -v[12:13]
	v_cmp_eq_f64_e32 vcc_lo, 0, v[10:11]
	s_delay_alu instid0(VALU_DEP_2)
	v_dual_cndmask_b32 v7, v7, v11 :: v_dual_cndmask_b32 v6, v6, v10
                                        ; implicit-def: $vgpr10_vgpr11
.LBB99_37:                              ;   in Loop: Header=BB99_4 Depth=1
	s_and_not1_saveexec_b32 s37, s6
	s_cbranch_execz .LBB99_49
; %bb.38:                               ;   in Loop: Header=BB99_4 Depth=1
	s_mov_b32 s38, exec_lo
	v_cmpx_neq_f64_e64 0x7ff00000, |v[10:11]|
	s_cbranch_execz .LBB99_48
; %bb.39:                               ;   in Loop: Header=BB99_4 Depth=1
	v_cmp_ngt_f64_e64 s6, 0x41d00000, |v[10:11]|
	v_trig_preop_f64 v[62:63], |v[10:11]|, 0
	v_trig_preop_f64 v[60:61], |v[10:11]|, 1
	v_ldexp_f64 v[64:65], |v[10:11]|, 0xffffff80
	v_trig_preop_f64 v[58:59], |v[10:11]|, 2
	v_and_b32_e32 v73, 0x7fffffff, v11
                                        ; implicit-def: $vgpr72
                                        ; implicit-def: $vgpr6_vgpr7
                                        ; implicit-def: $vgpr12_vgpr13
	s_and_saveexec_b32 s7, s6
	s_delay_alu instid0(SALU_CYCLE_1)
	s_xor_b32 s7, exec_lo, s7
	s_cbranch_execz .LBB99_41
; %bb.40:                               ;   in Loop: Header=BB99_4 Depth=1
	v_cmp_le_f64_e64 vcc_lo, 0x7b000000, |v[10:11]|
	s_delay_alu instid0(VALU_DEP_4) | instskip(NEXT) | instid1(VALU_DEP_1)
	v_dual_cndmask_b32 v7, v73, v65 :: v_dual_cndmask_b32 v6, v10, v64
	v_mul_f64_e32 v[12:13], v[62:63], v[6:7]
	v_mul_f64_e32 v[66:67], v[60:61], v[6:7]
	;; [unrolled: 1-line block ×3, first 2 shown]
	s_delay_alu instid0(VALU_DEP_3) | instskip(NEXT) | instid1(VALU_DEP_3)
	v_fma_f64 v[68:69], v[62:63], v[6:7], -v[12:13]
	v_fma_f64 v[82:83], v[60:61], v[6:7], -v[66:67]
	s_delay_alu instid0(VALU_DEP_3) | instskip(NEXT) | instid1(VALU_DEP_3)
	v_fma_f64 v[6:7], v[58:59], v[6:7], -v[80:81]
	v_add_f64_e32 v[70:71], v[66:67], v[68:69]
	s_delay_alu instid0(VALU_DEP_1) | instskip(SKIP_1) | instid1(VALU_DEP_2)
	v_add_f64_e64 v[74:75], v[70:71], -v[66:67]
	v_add_f64_e32 v[78:79], v[12:13], v[70:71]
	v_add_f64_e64 v[76:77], v[70:71], -v[74:75]
	v_add_f64_e64 v[68:69], v[68:69], -v[74:75]
	s_delay_alu instid0(VALU_DEP_3) | instskip(NEXT) | instid1(VALU_DEP_3)
	v_ldexp_f64 v[74:75], v[78:79], -2
	v_add_f64_e64 v[66:67], v[66:67], -v[76:77]
	v_add_f64_e32 v[76:77], v[80:81], v[82:83]
	s_delay_alu instid0(VALU_DEP_3) | instskip(NEXT) | instid1(VALU_DEP_3)
	v_cmp_neq_f64_e64 vcc_lo, 0x7ff00000, |v[74:75]|
	v_add_f64_e32 v[66:67], v[68:69], v[66:67]
	v_fract_f64_e32 v[68:69], v[74:75]
	s_delay_alu instid0(VALU_DEP_1) | instskip(NEXT) | instid1(VALU_DEP_1)
	v_ldexp_f64 v[68:69], v[68:69], 2
	v_cndmask_b32_e32 v69, 0, v69, vcc_lo
	v_add_f64_e64 v[12:13], v[78:79], -v[12:13]
	s_delay_alu instid0(VALU_DEP_3) | instskip(NEXT) | instid1(VALU_DEP_2)
	v_cndmask_b32_e32 v68, 0, v68, vcc_lo
	v_add_f64_e64 v[12:13], v[70:71], -v[12:13]
	v_add_f64_e32 v[70:71], v[76:77], v[66:67]
	s_delay_alu instid0(VALU_DEP_1) | instskip(SKIP_1) | instid1(VALU_DEP_2)
	v_add_f64_e32 v[74:75], v[12:13], v[70:71]
	v_add_f64_e64 v[84:85], v[70:71], -v[76:77]
	v_add_f64_e32 v[78:79], v[74:75], v[68:69]
	s_delay_alu instid0(VALU_DEP_2) | instskip(SKIP_2) | instid1(VALU_DEP_4)
	v_add_f64_e64 v[90:91], v[70:71], -v[84:85]
	v_add_f64_e64 v[66:67], v[66:67], -v[84:85]
	;; [unrolled: 1-line block ×3, first 2 shown]
	v_cmp_gt_f64_e32 vcc_lo, 0, v[78:79]
	v_add_f64_e64 v[78:79], v[76:77], -v[80:81]
	s_delay_alu instid0(VALU_DEP_3) | instskip(SKIP_1) | instid1(VALU_DEP_3)
	v_add_f64_e64 v[12:13], v[70:71], -v[12:13]
	v_cndmask_b32_e64 v25, 0, 0x40100000, vcc_lo
	v_add_f64_e64 v[88:89], v[76:77], -v[78:79]
	v_add_f64_e64 v[78:79], v[82:83], -v[78:79]
	;; [unrolled: 1-line block ×3, first 2 shown]
	s_delay_alu instid0(VALU_DEP_4) | instskip(NEXT) | instid1(VALU_DEP_4)
	v_add_f64_e32 v[68:69], v[68:69], v[24:25]
	v_add_f64_e64 v[82:83], v[80:81], -v[88:89]
	s_delay_alu instid0(VALU_DEP_3) | instskip(NEXT) | instid1(VALU_DEP_3)
	v_add_f64_e32 v[66:67], v[66:67], v[76:77]
	v_add_f64_e32 v[86:87], v[74:75], v[68:69]
	s_delay_alu instid0(VALU_DEP_3) | instskip(NEXT) | instid1(VALU_DEP_2)
	v_add_f64_e32 v[78:79], v[78:79], v[82:83]
	v_cvt_i32_f64_e32 v25, v[86:87]
	s_delay_alu instid0(VALU_DEP_2) | instskip(NEXT) | instid1(VALU_DEP_2)
	v_add_f64_e32 v[66:67], v[78:79], v[66:67]
	v_cvt_f64_i32_e32 v[84:85], v25
	s_delay_alu instid0(VALU_DEP_2) | instskip(NEXT) | instid1(VALU_DEP_2)
	v_add_f64_e32 v[6:7], v[6:7], v[66:67]
	v_add_f64_e64 v[68:69], v[68:69], -v[84:85]
	s_delay_alu instid0(VALU_DEP_2) | instskip(NEXT) | instid1(VALU_DEP_2)
	v_add_f64_e32 v[6:7], v[12:13], v[6:7]
	v_add_f64_e32 v[76:77], v[74:75], v[68:69]
	s_delay_alu instid0(VALU_DEP_1) | instskip(SKIP_1) | instid1(VALU_DEP_2)
	v_add_f64_e64 v[66:67], v[76:77], -v[68:69]
	v_cmp_le_f64_e32 vcc_lo, 0.5, v[76:77]
	v_add_f64_e64 v[12:13], v[74:75], -v[66:67]
	v_add_co_ci_u32_e64 v72, null, 0, v25, vcc_lo
	v_cndmask_b32_e64 v25, 0, 0x3ff00000, vcc_lo
	s_delay_alu instid0(VALU_DEP_3) | instskip(NEXT) | instid1(VALU_DEP_2)
	v_add_f64_e32 v[6:7], v[6:7], v[12:13]
	v_add_f64_e64 v[12:13], v[76:77], -v[24:25]
	s_delay_alu instid0(VALU_DEP_1) | instskip(NEXT) | instid1(VALU_DEP_1)
	v_add_f64_e32 v[66:67], v[12:13], v[6:7]
	v_mul_f64_e32 v[68:69], 0x3ff921fb54442d18, v[66:67]
	v_add_f64_e64 v[12:13], v[66:67], -v[12:13]
	s_delay_alu instid0(VALU_DEP_2) | instskip(NEXT) | instid1(VALU_DEP_2)
	v_fma_f64 v[70:71], v[66:67], s[16:17], -v[68:69]
	v_add_f64_e64 v[6:7], v[6:7], -v[12:13]
	s_delay_alu instid0(VALU_DEP_2) | instskip(NEXT) | instid1(VALU_DEP_1)
	v_fmac_f64_e32 v[70:71], 0x3c91a62633145c07, v[66:67]
	v_fmac_f64_e32 v[70:71], 0x3ff921fb54442d18, v[6:7]
	s_delay_alu instid0(VALU_DEP_1) | instskip(NEXT) | instid1(VALU_DEP_1)
	v_add_f64_e32 v[6:7], v[68:69], v[70:71]
	v_add_f64_e64 v[12:13], v[6:7], -v[68:69]
	s_delay_alu instid0(VALU_DEP_1)
	v_add_f64_e64 v[12:13], v[70:71], -v[12:13]
.LBB99_41:                              ;   in Loop: Header=BB99_4 Depth=1
	s_or_saveexec_b32 s7, s7
	v_mul_f64_e64 v[66:67], |v[10:11]|, s[18:19]
	s_delay_alu instid0(VALU_DEP_1)
	v_rndne_f64_e32 v[70:71], v[66:67]
	s_xor_b32 exec_lo, exec_lo, s7
	s_cbranch_execz .LBB99_43
; %bb.42:                               ;   in Loop: Header=BB99_4 Depth=1
	s_delay_alu instid0(VALU_DEP_1) | instskip(SKIP_2) | instid1(VALU_DEP_3)
	v_fma_f64 v[6:7], v[70:71], s[20:21], |v[10:11]|
	v_mul_f64_e32 v[12:13], 0xbc91a62633145c00, v[70:71]
	v_cvt_i32_f64_e32 v72, v[70:71]
	v_fmamk_f64 v[74:75], v[70:71], 0xbc91a62633145c00, v[6:7]
	s_delay_alu instid0(VALU_DEP_3) | instskip(NEXT) | instid1(VALU_DEP_1)
	v_add_f64_e32 v[66:67], v[6:7], v[12:13]
	v_add_f64_e64 v[68:69], v[6:7], -v[66:67]
	s_delay_alu instid0(VALU_DEP_3) | instskip(NEXT) | instid1(VALU_DEP_2)
	v_add_f64_e64 v[6:7], v[66:67], -v[74:75]
	v_add_f64_e32 v[66:67], v[68:69], v[12:13]
	v_fmamk_f64 v[12:13], v[70:71], 0x3c91a62633145c00, v[12:13]
	s_delay_alu instid0(VALU_DEP_2) | instskip(NEXT) | instid1(VALU_DEP_1)
	v_add_f64_e32 v[6:7], v[6:7], v[66:67]
	v_add_f64_e64 v[12:13], v[6:7], -v[12:13]
	s_delay_alu instid0(VALU_DEP_1) | instskip(NEXT) | instid1(VALU_DEP_1)
	v_fmac_f64_e32 v[12:13], 0xb97b839a252049c0, v[70:71]
	v_add_f64_e32 v[6:7], v[74:75], v[12:13]
	s_delay_alu instid0(VALU_DEP_1) | instskip(NEXT) | instid1(VALU_DEP_1)
	v_add_f64_e64 v[66:67], v[6:7], -v[74:75]
	v_add_f64_e64 v[12:13], v[12:13], -v[66:67]
.LBB99_43:                              ;   in Loop: Header=BB99_4 Depth=1
	s_or_b32 exec_lo, exec_lo, s7
                                        ; implicit-def: $vgpr74
                                        ; implicit-def: $vgpr66_vgpr67
                                        ; implicit-def: $vgpr68_vgpr69
	s_and_saveexec_b32 s7, s6
	s_delay_alu instid0(SALU_CYCLE_1)
	s_xor_b32 s6, exec_lo, s7
	s_cbranch_execz .LBB99_45
; %bb.44:                               ;   in Loop: Header=BB99_4 Depth=1
	v_cmp_le_f64_e64 vcc_lo, 0x7b000000, |v[10:11]|
	v_dual_cndmask_b32 v65, v73, v65 :: v_dual_cndmask_b32 v64, v10, v64
	s_delay_alu instid0(VALU_DEP_1) | instskip(SKIP_2) | instid1(VALU_DEP_3)
	v_mul_f64_e32 v[66:67], v[62:63], v[64:65]
	v_mul_f64_e32 v[68:69], v[60:61], v[64:65]
	;; [unrolled: 1-line block ×3, first 2 shown]
	v_fma_f64 v[62:63], v[62:63], v[64:65], -v[66:67]
	s_delay_alu instid0(VALU_DEP_3) | instskip(NEXT) | instid1(VALU_DEP_3)
	v_fma_f64 v[60:61], v[60:61], v[64:65], -v[68:69]
	v_fma_f64 v[58:59], v[58:59], v[64:65], -v[80:81]
	s_delay_alu instid0(VALU_DEP_3) | instskip(NEXT) | instid1(VALU_DEP_1)
	v_add_f64_e32 v[70:71], v[68:69], v[62:63]
	v_add_f64_e64 v[74:75], v[70:71], -v[68:69]
	v_add_f64_e32 v[78:79], v[66:67], v[70:71]
	s_delay_alu instid0(VALU_DEP_2) | instskip(SKIP_1) | instid1(VALU_DEP_3)
	v_add_f64_e64 v[76:77], v[70:71], -v[74:75]
	v_add_f64_e64 v[62:63], v[62:63], -v[74:75]
	v_ldexp_f64 v[74:75], v[78:79], -2
	v_add_f64_e64 v[66:67], v[78:79], -v[66:67]
	s_delay_alu instid0(VALU_DEP_4) | instskip(SKIP_1) | instid1(VALU_DEP_4)
	v_add_f64_e64 v[68:69], v[68:69], -v[76:77]
	v_add_f64_e32 v[76:77], v[80:81], v[60:61]
	v_cmp_neq_f64_e64 vcc_lo, 0x7ff00000, |v[74:75]|
	s_delay_alu instid0(VALU_DEP_3) | instskip(SKIP_1) | instid1(VALU_DEP_1)
	v_add_f64_e32 v[62:63], v[62:63], v[68:69]
	v_fract_f64_e32 v[68:69], v[74:75]
	v_ldexp_f64 v[68:69], v[68:69], 2
	s_delay_alu instid0(VALU_DEP_1) | instskip(NEXT) | instid1(VALU_DEP_2)
	v_dual_add_f64 v[66:67], v[70:71], -v[66:67] :: v_dual_cndmask_b32 v69, 0, v69, vcc_lo
	v_dual_add_f64 v[70:71], v[76:77], v[62:63] :: v_dual_cndmask_b32 v68, 0, v68, vcc_lo
	s_delay_alu instid0(VALU_DEP_1) | instskip(SKIP_1) | instid1(VALU_DEP_2)
	v_add_f64_e32 v[74:75], v[66:67], v[70:71]
	v_add_f64_e64 v[82:83], v[70:71], -v[76:77]
	v_add_f64_e32 v[78:79], v[74:75], v[68:69]
	s_delay_alu instid0(VALU_DEP_2) | instskip(SKIP_2) | instid1(VALU_DEP_4)
	v_add_f64_e64 v[88:89], v[70:71], -v[82:83]
	v_add_f64_e64 v[62:63], v[62:63], -v[82:83]
	;; [unrolled: 1-line block ×3, first 2 shown]
	v_cmp_gt_f64_e32 vcc_lo, 0, v[78:79]
	v_add_f64_e64 v[78:79], v[76:77], -v[80:81]
	s_delay_alu instid0(VALU_DEP_3) | instskip(SKIP_1) | instid1(VALU_DEP_3)
	v_add_f64_e64 v[64:65], v[70:71], -v[64:65]
                                        ; implicit-def: $vgpr70_vgpr71
	v_cndmask_b32_e64 v25, 0, 0x40100000, vcc_lo
	v_add_f64_e64 v[86:87], v[76:77], -v[78:79]
	v_add_f64_e64 v[60:61], v[60:61], -v[78:79]
	;; [unrolled: 1-line block ×3, first 2 shown]
	s_delay_alu instid0(VALU_DEP_4) | instskip(NEXT) | instid1(VALU_DEP_4)
	v_add_f64_e32 v[68:69], v[68:69], v[24:25]
	v_add_f64_e64 v[78:79], v[80:81], -v[86:87]
	s_delay_alu instid0(VALU_DEP_3) | instskip(NEXT) | instid1(VALU_DEP_3)
	v_add_f64_e32 v[62:63], v[62:63], v[76:77]
	v_add_f64_e32 v[84:85], v[74:75], v[68:69]
	s_delay_alu instid0(VALU_DEP_3) | instskip(NEXT) | instid1(VALU_DEP_2)
	v_add_f64_e32 v[60:61], v[60:61], v[78:79]
	v_cvt_i32_f64_e32 v25, v[84:85]
	s_delay_alu instid0(VALU_DEP_2) | instskip(NEXT) | instid1(VALU_DEP_2)
	v_add_f64_e32 v[60:61], v[60:61], v[62:63]
	v_cvt_f64_i32_e32 v[82:83], v25
	s_delay_alu instid0(VALU_DEP_2) | instskip(NEXT) | instid1(VALU_DEP_2)
	v_add_f64_e32 v[58:59], v[58:59], v[60:61]
	v_add_f64_e64 v[68:69], v[68:69], -v[82:83]
	s_delay_alu instid0(VALU_DEP_2) | instskip(NEXT) | instid1(VALU_DEP_2)
	v_add_f64_e32 v[58:59], v[64:65], v[58:59]
	v_add_f64_e32 v[62:63], v[74:75], v[68:69]
	s_delay_alu instid0(VALU_DEP_1) | instskip(SKIP_1) | instid1(VALU_DEP_2)
	v_add_f64_e64 v[60:61], v[62:63], -v[68:69]
	v_cmp_le_f64_e32 vcc_lo, 0.5, v[62:63]
	v_add_f64_e64 v[60:61], v[74:75], -v[60:61]
	v_add_co_ci_u32_e64 v74, null, 0, v25, vcc_lo
	v_cndmask_b32_e64 v25, 0, 0x3ff00000, vcc_lo
	s_delay_alu instid0(VALU_DEP_3) | instskip(NEXT) | instid1(VALU_DEP_2)
	v_add_f64_e32 v[58:59], v[58:59], v[60:61]
	v_add_f64_e64 v[60:61], v[62:63], -v[24:25]
	s_delay_alu instid0(VALU_DEP_1) | instskip(NEXT) | instid1(VALU_DEP_1)
	v_add_f64_e32 v[62:63], v[60:61], v[58:59]
	v_mul_f64_e32 v[64:65], 0x3ff921fb54442d18, v[62:63]
	v_add_f64_e64 v[60:61], v[62:63], -v[60:61]
	s_delay_alu instid0(VALU_DEP_2) | instskip(NEXT) | instid1(VALU_DEP_2)
	v_fma_f64 v[68:69], v[62:63], s[16:17], -v[64:65]
	v_add_f64_e64 v[58:59], v[58:59], -v[60:61]
	s_delay_alu instid0(VALU_DEP_2) | instskip(NEXT) | instid1(VALU_DEP_1)
	v_fmac_f64_e32 v[68:69], 0x3c91a62633145c07, v[62:63]
	v_fmac_f64_e32 v[68:69], 0x3ff921fb54442d18, v[58:59]
	s_delay_alu instid0(VALU_DEP_1) | instskip(NEXT) | instid1(VALU_DEP_1)
	v_add_f64_e32 v[66:67], v[64:65], v[68:69]
	v_add_f64_e64 v[58:59], v[66:67], -v[64:65]
	s_delay_alu instid0(VALU_DEP_1)
	v_add_f64_e64 v[68:69], v[68:69], -v[58:59]
	s_and_not1_saveexec_b32 s6, s6
	s_cbranch_execnz .LBB99_46
	s_branch .LBB99_47
.LBB99_45:                              ;   in Loop: Header=BB99_4 Depth=1
	s_and_not1_saveexec_b32 s6, s6
	s_cbranch_execz .LBB99_47
.LBB99_46:                              ;   in Loop: Header=BB99_4 Depth=1
	s_delay_alu instid0(VALU_DEP_1) | instskip(SKIP_2) | instid1(VALU_DEP_2)
	v_fma_f64 v[58:59], v[70:71], s[20:21], |v[10:11]|
	v_mul_f64_e32 v[60:61], 0xbc91a62633145c00, v[70:71]
	v_cvt_i32_f64_e32 v74, v[70:71]
	v_add_f64_e32 v[62:63], v[58:59], v[60:61]
	s_delay_alu instid0(VALU_DEP_1) | instskip(SKIP_1) | instid1(VALU_DEP_1)
	v_add_f64_e64 v[64:65], v[58:59], -v[62:63]
	v_fmamk_f64 v[58:59], v[70:71], 0xbc91a62633145c00, v[58:59]
	v_add_f64_e64 v[62:63], v[62:63], -v[58:59]
	s_delay_alu instid0(VALU_DEP_3) | instskip(SKIP_1) | instid1(VALU_DEP_2)
	v_add_f64_e32 v[64:65], v[64:65], v[60:61]
	v_fmamk_f64 v[60:61], v[70:71], 0x3c91a62633145c00, v[60:61]
	v_add_f64_e32 v[62:63], v[62:63], v[64:65]
	s_delay_alu instid0(VALU_DEP_1) | instskip(NEXT) | instid1(VALU_DEP_1)
	v_add_f64_e64 v[60:61], v[62:63], -v[60:61]
	v_fmac_f64_e32 v[60:61], 0xb97b839a252049c0, v[70:71]
	s_delay_alu instid0(VALU_DEP_1) | instskip(NEXT) | instid1(VALU_DEP_1)
	v_add_f64_e32 v[66:67], v[58:59], v[60:61]
	v_add_f64_e64 v[58:59], v[66:67], -v[58:59]
	s_delay_alu instid0(VALU_DEP_1)
	v_add_f64_e64 v[68:69], v[60:61], -v[58:59]
.LBB99_47:                              ;   in Loop: Header=BB99_4 Depth=1
	s_or_b32 exec_lo, exec_lo, s6
	v_dual_mul_f64 v[58:59], v[6:7], v[6:7] :: v_dual_bitop2_b32 v25, 1, v72 bitop3:0x40
	s_delay_alu instid0(VALU_DEP_2)
	v_mul_f64_e32 v[86:87], 0.5, v[68:69]
	v_cmp_class_f64_e64 s6, v[10:11], 0x1f8
	v_and_b32_e32 v10, 1, v74
	v_mul_f64_e32 v[60:61], v[66:67], v[66:67]
	v_cmp_eq_u32_e32 vcc_lo, 0, v25
	v_mul_f64_e32 v[78:79], 0.5, v[12:13]
	s_delay_alu instid0(VALU_DEP_4)
	v_cmp_eq_u32_e64 s7, 0, v10
	v_lshlrev_b32_e32 v10, 30, v74
	v_mul_f64_e32 v[62:63], 0.5, v[58:59]
	v_mul_f64_e64 v[80:81], v[6:7], -v[58:59]
	v_fmamk_f64 v[84:85], v[58:59], 0x3de5e0b2f9a43bb8, v[48:49]
	v_mul_f64_e64 v[88:89], v[66:67], -v[60:61]
	v_fmamk_f64 v[90:91], v[60:61], 0x3de5e0b2f9a43bb8, v[48:49]
	s_delay_alu instid0(VALU_DEP_3) | instskip(NEXT) | instid1(VALU_DEP_2)
	v_fmaak_f64 v[84:85], v[58:59], v[84:85], 0x3ec71de3796cde01
	v_fmaak_f64 v[90:91], v[60:61], v[90:91], 0x3ec71de3796cde01
	s_delay_alu instid0(VALU_DEP_2) | instskip(NEXT) | instid1(VALU_DEP_1)
	v_fmaak_f64 v[84:85], v[58:59], v[84:85], 0xbf2a01a019e83e5c
	v_fmaak_f64 v[84:85], v[58:59], v[84:85], 0x3f81111111110bb3
	v_add_f64_e64 v[70:71], -v[62:63], 1.0
	s_delay_alu instid0(VALU_DEP_2) | instskip(SKIP_1) | instid1(VALU_DEP_3)
	v_fmac_f64_e32 v[78:79], v[80:81], v[84:85]
	v_mul_f64_e32 v[84:85], v[58:59], v[58:59]
	v_add_f64_e64 v[82:83], -v[70:71], 1.0
	s_delay_alu instid0(VALU_DEP_3) | instskip(NEXT) | instid1(VALU_DEP_2)
	v_fma_f64 v[78:79], v[58:59], v[78:79], -v[12:13]
	v_add_f64_e64 v[62:63], v[82:83], -v[62:63]
	v_fmaak_f64 v[82:83], v[60:61], v[90:91], 0xbf2a01a019e83e5c
	s_delay_alu instid0(VALU_DEP_3) | instskip(NEXT) | instid1(VALU_DEP_2)
	v_fmac_f64_e32 v[78:79], 0xbfc5555555555555, v[80:81]
	v_fmaak_f64 v[82:83], v[60:61], v[82:83], 0x3f81111111110bb3
	s_delay_alu instid0(VALU_DEP_1) | instskip(SKIP_2) | instid1(VALU_DEP_2)
	v_fmac_f64_e32 v[86:87], v[88:89], v[82:83]
	v_fmamk_f64 v[82:83], v[58:59], 0xbda907db46cc5e42, v[46:47]
	v_fma_f64 v[12:13], v[6:7], -v[12:13], v[62:63]
	v_fmaak_f64 v[62:63], v[58:59], v[82:83], 0xbe927e4fa17f65f6
	v_add_f64_e64 v[6:7], v[6:7], -v[78:79]
	s_delay_alu instid0(VALU_DEP_2) | instskip(NEXT) | instid1(VALU_DEP_1)
	v_fmaak_f64 v[62:63], v[58:59], v[62:63], 0x3efa01a019f4ec90
	v_fmaak_f64 v[62:63], v[58:59], v[62:63], 0xbf56c16c16c16967
	s_delay_alu instid0(VALU_DEP_1) | instskip(NEXT) | instid1(VALU_DEP_1)
	v_fmaak_f64 v[58:59], v[58:59], v[62:63], 0x3fa5555555555555
	v_fmac_f64_e32 v[12:13], v[84:85], v[58:59]
	s_delay_alu instid0(VALU_DEP_1) | instskip(NEXT) | instid1(VALU_DEP_1)
	v_add_f64_e32 v[12:13], v[70:71], v[12:13]
	v_dual_cndmask_b32 v6, v12, v6, vcc_lo :: v_dual_lshlrev_b32 v12, 30, v72
	v_mul_f64_e32 v[64:65], 0.5, v[60:61]
	v_fma_f64 v[82:83], v[60:61], v[86:87], -v[68:69]
	v_fmamk_f64 v[86:87], v[60:61], 0xbda907db46cc5e42, v[46:47]
	v_mul_f64_e32 v[90:91], v[60:61], v[60:61]
	v_dual_cndmask_b32 v6, 0, v6, s6 :: v_dual_bitop2_b32 v11, v12, v11 bitop3:0x14
	v_cndmask_b32_e32 v7, v13, v7, vcc_lo
	s_delay_alu instid0(VALU_DEP_4) | instskip(NEXT) | instid1(VALU_DEP_2)
	v_fmaak_f64 v[62:63], v[60:61], v[86:87], 0xbe927e4fa17f65f6
	v_bitop3_b32 v7, v7, v11, 0x80000000 bitop3:0x78
	s_delay_alu instid0(VALU_DEP_2) | instskip(NEXT) | instid1(VALU_DEP_2)
	v_fmaak_f64 v[58:59], v[60:61], v[62:63], 0x3efa01a019f4ec90
	v_cndmask_b32_e64 v7, 0x7ff80000, v7, s6
	s_delay_alu instid0(VALU_DEP_2) | instskip(NEXT) | instid1(VALU_DEP_1)
	v_fmaak_f64 v[58:59], v[60:61], v[58:59], 0xbf56c16c16c16967
	v_fmaak_f64 v[58:59], v[60:61], v[58:59], 0x3fa5555555555555
	v_add_f64_e64 v[76:77], -v[64:65], 1.0
	v_fmac_f64_e32 v[82:83], 0xbfc5555555555555, v[88:89]
	s_delay_alu instid0(VALU_DEP_2) | instskip(NEXT) | instid1(VALU_DEP_1)
	v_add_f64_e64 v[92:93], -v[76:77], 1.0
	v_add_f64_e64 v[64:65], v[92:93], -v[64:65]
	s_delay_alu instid0(VALU_DEP_1) | instskip(NEXT) | instid1(VALU_DEP_1)
	v_fma_f64 v[64:65], v[66:67], -v[68:69], v[64:65]
	v_fmac_f64_e32 v[64:65], v[90:91], v[58:59]
	v_add_f64_e64 v[58:59], v[66:67], -v[82:83]
	s_delay_alu instid0(VALU_DEP_2) | instskip(NEXT) | instid1(VALU_DEP_2)
	v_add_f64_e32 v[60:61], v[76:77], v[64:65]
	v_xor_b32_e32 v25, 0x80000000, v59
	s_delay_alu instid0(VALU_DEP_1) | instskip(NEXT) | instid1(VALU_DEP_1)
	v_dual_cndmask_b32 v13, v25, v61, s7 :: v_dual_cndmask_b32 v12, v58, v60, s7
	v_bitop3_b32 v11, v13, v10, 0x80000000 bitop3:0x78
	s_delay_alu instid0(VALU_DEP_2) | instskip(NEXT) | instid1(VALU_DEP_2)
	v_cndmask_b32_e64 v10, 0, v12, s6
	v_cndmask_b32_e64 v11, 0x7ff80000, v11, s6
	s_delay_alu instid0(VALU_DEP_1)
	v_mul_f64_e32 v[10:11], v[6:7], v[10:11]
.LBB99_48:                              ;   in Loop: Header=BB99_4 Depth=1
	s_or_b32 exec_lo, exec_lo, s38
	s_delay_alu instid0(VALU_DEP_1) | instskip(SKIP_1) | instid1(VALU_DEP_2)
	v_bfi_b32 v25, 0x7fffffff, 0, v11
	v_add_nc_u32_e32 v9, -2.0, v9
	v_mov_b64_e32 v[6:7], v[24:25]
.LBB99_49:                              ;   in Loop: Header=BB99_4 Depth=1
	s_or_b32 exec_lo, exec_lo, s37
.LBB99_50:                              ;   in Loop: Header=BB99_4 Depth=1
	s_delay_alu instid0(SALU_CYCLE_1) | instskip(SKIP_3) | instid1(VALU_DEP_2)
	s_or_b32 exec_lo, exec_lo, s36
	v_xor_b32_e32 v13, 0x80000000, v21
	v_mov_b32_e32 v12, v20
	s_mov_b32 s6, exec_lo
	v_and_b32_e32 v10, 0x7fffffff, v13
	s_delay_alu instid0(VALU_DEP_1)
	v_cmpx_gt_u32_e32 0x7ff00000, v10
	s_xor_b32 s7, exec_lo, s6
	s_cbranch_execz .LBB99_72
; %bb.51:                               ;   in Loop: Header=BB99_4 Depth=1
	v_cmp_class_f64_e64 s6, v[18:19], 0x1f8
	s_and_saveexec_b32 s36, s6
	s_delay_alu instid0(SALU_CYCLE_1)
	s_xor_b32 s36, exec_lo, s36
	s_cbranch_execz .LBB99_69
; %bb.52:                               ;   in Loop: Header=BB99_4 Depth=1
	s_mov_b32 s6, exec_lo
	v_cmpx_gt_u32_e32 0x40360000, v10
	s_xor_b32 s37, exec_lo, s6
	s_cbranch_execz .LBB99_58
; %bb.53:                               ;   in Loop: Header=BB99_4 Depth=1
	v_cmp_ngt_f64_e64 s6, 0x41d00000, |v[18:19]|
                                        ; implicit-def: $vgpr12
                                        ; implicit-def: $vgpr10_vgpr11
                                        ; implicit-def: $vgpr58_vgpr59
	s_and_saveexec_b32 s38, s6
	s_delay_alu instid0(SALU_CYCLE_1)
	s_xor_b32 s6, exec_lo, s38
	s_cbranch_execz .LBB99_55
; %bb.54:                               ;   in Loop: Header=BB99_4 Depth=1
	v_ldexp_f64 v[10:11], |v[18:19]|, 0xffffff80
	v_cmp_le_f64_e64 vcc_lo, 0x7b000000, |v[18:19]|
	v_trig_preop_f64 v[58:59], |v[18:19]|, 0
	v_and_b32_e32 v12, 0x7fffffff, v19
	v_trig_preop_f64 v[60:61], |v[18:19]|, 1
	v_trig_preop_f64 v[70:71], |v[18:19]|, 2
	s_delay_alu instid0(VALU_DEP_3) | instskip(NEXT) | instid1(VALU_DEP_1)
	v_dual_cndmask_b32 v11, v12, v11 :: v_dual_cndmask_b32 v10, v18, v10
	v_mul_f64_e32 v[62:63], v[58:59], v[10:11]
	s_delay_alu instid0(VALU_DEP_4) | instskip(NEXT) | instid1(VALU_DEP_4)
	v_mul_f64_e32 v[64:65], v[60:61], v[10:11]
	v_mul_f64_e32 v[76:77], v[70:71], v[10:11]
	s_delay_alu instid0(VALU_DEP_3) | instskip(NEXT) | instid1(VALU_DEP_3)
	v_fma_f64 v[58:59], v[58:59], v[10:11], -v[62:63]
	v_fma_f64 v[60:61], v[60:61], v[10:11], -v[64:65]
	s_delay_alu instid0(VALU_DEP_3) | instskip(NEXT) | instid1(VALU_DEP_3)
	v_fma_f64 v[10:11], v[70:71], v[10:11], -v[76:77]
	v_add_f64_e32 v[66:67], v[64:65], v[58:59]
	s_delay_alu instid0(VALU_DEP_1) | instskip(SKIP_1) | instid1(VALU_DEP_2)
	v_add_f64_e64 v[68:69], v[66:67], -v[64:65]
	v_add_f64_e32 v[74:75], v[62:63], v[66:67]
	v_add_f64_e64 v[72:73], v[66:67], -v[68:69]
	v_add_f64_e64 v[58:59], v[58:59], -v[68:69]
	s_delay_alu instid0(VALU_DEP_3) | instskip(NEXT) | instid1(VALU_DEP_3)
	v_ldexp_f64 v[68:69], v[74:75], -2
	v_add_f64_e64 v[64:65], v[64:65], -v[72:73]
	v_add_f64_e32 v[72:73], v[76:77], v[60:61]
	s_delay_alu instid0(VALU_DEP_3) | instskip(NEXT) | instid1(VALU_DEP_3)
	v_cmp_neq_f64_e64 vcc_lo, 0x7ff00000, |v[68:69]|
	v_add_f64_e32 v[58:59], v[58:59], v[64:65]
	v_fract_f64_e32 v[64:65], v[68:69]
	s_delay_alu instid0(VALU_DEP_1) | instskip(NEXT) | instid1(VALU_DEP_1)
	v_ldexp_f64 v[64:65], v[64:65], 2
	v_dual_add_f64 v[62:63], v[74:75], -v[62:63] :: v_dual_cndmask_b32 v65, 0, v65, vcc_lo
	s_delay_alu instid0(VALU_DEP_1) | instskip(SKIP_1) | instid1(VALU_DEP_1)
	v_dual_add_f64 v[62:63], v[66:67], -v[62:63] :: v_dual_cndmask_b32 v64, 0, v64, vcc_lo
	v_add_f64_e32 v[66:67], v[72:73], v[58:59]
	v_add_f64_e32 v[68:69], v[62:63], v[66:67]
	v_add_f64_e64 v[78:79], v[66:67], -v[72:73]
	s_delay_alu instid0(VALU_DEP_2) | instskip(NEXT) | instid1(VALU_DEP_2)
	v_add_f64_e32 v[74:75], v[68:69], v[64:65]
	v_add_f64_e64 v[84:85], v[66:67], -v[78:79]
	v_add_f64_e64 v[58:59], v[58:59], -v[78:79]
	;; [unrolled: 1-line block ×3, first 2 shown]
	s_delay_alu instid0(VALU_DEP_4) | instskip(SKIP_1) | instid1(VALU_DEP_3)
	v_cmp_gt_f64_e32 vcc_lo, 0, v[74:75]
	v_add_f64_e64 v[74:75], v[72:73], -v[76:77]
	v_add_f64_e64 v[62:63], v[66:67], -v[62:63]
	v_cndmask_b32_e64 v25, 0, 0x40100000, vcc_lo
	s_delay_alu instid0(VALU_DEP_3) | instskip(SKIP_2) | instid1(VALU_DEP_4)
	v_add_f64_e64 v[82:83], v[72:73], -v[74:75]
	v_add_f64_e64 v[60:61], v[60:61], -v[74:75]
	v_add_f64_e64 v[72:73], v[72:73], -v[84:85]
	v_add_f64_e32 v[64:65], v[64:65], v[24:25]
	s_delay_alu instid0(VALU_DEP_4) | instskip(NEXT) | instid1(VALU_DEP_3)
	v_add_f64_e64 v[74:75], v[76:77], -v[82:83]
	v_add_f64_e32 v[58:59], v[58:59], v[72:73]
	s_delay_alu instid0(VALU_DEP_3) | instskip(NEXT) | instid1(VALU_DEP_3)
	v_add_f64_e32 v[80:81], v[68:69], v[64:65]
	v_add_f64_e32 v[60:61], v[60:61], v[74:75]
	s_delay_alu instid0(VALU_DEP_2) | instskip(NEXT) | instid1(VALU_DEP_2)
	v_cvt_i32_f64_e32 v12, v[80:81]
	v_add_f64_e32 v[58:59], v[60:61], v[58:59]
	s_delay_alu instid0(VALU_DEP_2) | instskip(NEXT) | instid1(VALU_DEP_2)
	v_cvt_f64_i32_e32 v[78:79], v12
	v_add_f64_e32 v[10:11], v[10:11], v[58:59]
	s_delay_alu instid0(VALU_DEP_2) | instskip(NEXT) | instid1(VALU_DEP_2)
	v_add_f64_e64 v[64:65], v[64:65], -v[78:79]
	v_add_f64_e32 v[10:11], v[62:63], v[10:11]
	s_delay_alu instid0(VALU_DEP_2) | instskip(NEXT) | instid1(VALU_DEP_1)
	v_add_f64_e32 v[60:61], v[68:69], v[64:65]
	v_add_f64_e64 v[58:59], v[60:61], -v[64:65]
	v_cmp_le_f64_e32 vcc_lo, 0.5, v[60:61]
	s_delay_alu instid0(VALU_DEP_2) | instskip(SKIP_2) | instid1(VALU_DEP_3)
	v_add_f64_e64 v[58:59], v[68:69], -v[58:59]
	v_cndmask_b32_e64 v25, 0, 0x3ff00000, vcc_lo
	v_add_co_ci_u32_e64 v12, null, 0, v12, vcc_lo
	v_add_f64_e32 v[10:11], v[10:11], v[58:59]
	s_delay_alu instid0(VALU_DEP_3) | instskip(NEXT) | instid1(VALU_DEP_1)
	v_add_f64_e64 v[58:59], v[60:61], -v[24:25]
	v_add_f64_e32 v[60:61], v[58:59], v[10:11]
	s_delay_alu instid0(VALU_DEP_1) | instskip(SKIP_1) | instid1(VALU_DEP_2)
	v_mul_f64_e32 v[62:63], 0x3ff921fb54442d18, v[60:61]
	v_add_f64_e64 v[58:59], v[60:61], -v[58:59]
	v_fma_f64 v[64:65], v[60:61], s[16:17], -v[62:63]
	s_delay_alu instid0(VALU_DEP_2) | instskip(NEXT) | instid1(VALU_DEP_2)
	v_add_f64_e64 v[10:11], v[10:11], -v[58:59]
	v_fmac_f64_e32 v[64:65], 0x3c91a62633145c07, v[60:61]
	s_delay_alu instid0(VALU_DEP_1) | instskip(NEXT) | instid1(VALU_DEP_1)
	v_fmac_f64_e32 v[64:65], 0x3ff921fb54442d18, v[10:11]
	v_add_f64_e32 v[10:11], v[62:63], v[64:65]
	s_delay_alu instid0(VALU_DEP_1) | instskip(NEXT) | instid1(VALU_DEP_1)
	v_add_f64_e64 v[58:59], v[10:11], -v[62:63]
	v_add_f64_e64 v[58:59], v[64:65], -v[58:59]
.LBB99_55:                              ;   in Loop: Header=BB99_4 Depth=1
	s_and_not1_saveexec_b32 s6, s6
	s_cbranch_execz .LBB99_57
; %bb.56:                               ;   in Loop: Header=BB99_4 Depth=1
	v_mul_f64_e64 v[10:11], |v[18:19]|, s[18:19]
	s_delay_alu instid0(VALU_DEP_1) | instskip(NEXT) | instid1(VALU_DEP_1)
	v_rndne_f64_e32 v[60:61], v[10:11]
	v_fma_f64 v[10:11], v[60:61], s[20:21], |v[18:19]|
	v_mul_f64_e32 v[58:59], 0xbc91a62633145c00, v[60:61]
	v_cvt_i32_f64_e32 v12, v[60:61]
	s_delay_alu instid0(VALU_DEP_3) | instskip(NEXT) | instid1(VALU_DEP_3)
	v_fmamk_f64 v[66:67], v[60:61], 0xbc91a62633145c00, v[10:11]
	v_add_f64_e32 v[62:63], v[10:11], v[58:59]
	s_delay_alu instid0(VALU_DEP_1) | instskip(NEXT) | instid1(VALU_DEP_3)
	v_add_f64_e64 v[64:65], v[10:11], -v[62:63]
	v_add_f64_e64 v[10:11], v[62:63], -v[66:67]
	s_delay_alu instid0(VALU_DEP_2) | instskip(SKIP_1) | instid1(VALU_DEP_2)
	v_add_f64_e32 v[62:63], v[64:65], v[58:59]
	v_fmamk_f64 v[58:59], v[60:61], 0x3c91a62633145c00, v[58:59]
	v_add_f64_e32 v[10:11], v[10:11], v[62:63]
	s_delay_alu instid0(VALU_DEP_1) | instskip(NEXT) | instid1(VALU_DEP_1)
	v_add_f64_e64 v[58:59], v[10:11], -v[58:59]
	v_fmac_f64_e32 v[58:59], 0xb97b839a252049c0, v[60:61]
	s_delay_alu instid0(VALU_DEP_1) | instskip(NEXT) | instid1(VALU_DEP_1)
	v_add_f64_e32 v[10:11], v[66:67], v[58:59]
	v_add_f64_e64 v[62:63], v[10:11], -v[66:67]
	s_delay_alu instid0(VALU_DEP_1)
	v_add_f64_e64 v[58:59], v[58:59], -v[62:63]
.LBB99_57:                              ;   in Loop: Header=BB99_4 Depth=1
	s_or_b32 exec_lo, exec_lo, s6
	v_add_f64_e64 v[60:61], |v[20:21]|, s[22:23]
	v_cmp_nge_f64_e64 vcc_lo, |v[20:21]|, s[28:29]
	v_mul_f64_e32 v[78:79], v[10:11], v[10:11]
	s_delay_alu instid0(VALU_DEP_4) | instskip(NEXT) | instid1(VALU_DEP_1)
	v_dual_add_f64 v[80:81], v[58:59], v[58:59] :: v_dual_bitop2_b32 v12, 1, v12 bitop3:0x40
	v_cmp_eq_u32_e64 s6, 0, v12
	v_add_f64_e64 v[62:63], v[60:61], -|v[20:21]|
	s_delay_alu instid0(VALU_DEP_4) | instskip(NEXT) | instid1(VALU_DEP_2)
	v_fma_f64 v[82:83], v[10:11], v[10:11], -v[78:79]
	v_add_f64_e64 v[64:65], v[62:63], -v[60:61]
	v_add_f64_e32 v[62:63], 0x3fe62e42fefa39ef, v[62:63]
	s_delay_alu instid0(VALU_DEP_3) | instskip(NEXT) | instid1(VALU_DEP_3)
	v_fmac_f64_e32 v[82:83], v[10:11], v[80:81]
	v_add_f64_e64 v[64:65], |v[20:21]|, v[64:65]
	s_delay_alu instid0(VALU_DEP_2) | instskip(NEXT) | instid1(VALU_DEP_2)
	v_add_f64_e32 v[78:79], v[78:79], v[82:83]
	v_add_f64_e64 v[62:63], v[64:65], -v[62:63]
	s_delay_alu instid0(VALU_DEP_2) | instskip(NEXT) | instid1(VALU_DEP_1)
	v_fmamk_f64 v[82:83], v[78:79], 0x3ef5e089c751c08c, v[30:31]
	v_fmaak_f64 v[82:83], v[78:79], v[82:83], 0x3f17746f90a8aae0
	s_delay_alu instid0(VALU_DEP_1) | instskip(NEXT) | instid1(VALU_DEP_4)
	v_fmaak_f64 v[82:83], v[78:79], v[82:83], 0xbefbb44da6fbf144
	v_add_f64_e32 v[62:63], 0xbc7abc9e3b39803f, v[62:63]
	s_delay_alu instid0(VALU_DEP_1) | instskip(NEXT) | instid1(VALU_DEP_1)
	v_add_f64_e32 v[64:65], v[60:61], v[62:63]
	v_mul_f64_e32 v[66:67], 0x3ff71547652b82fe, v[64:65]
	v_add_f64_e64 v[60:61], v[60:61], -v[64:65]
	s_delay_alu instid0(VALU_DEP_2) | instskip(NEXT) | instid1(VALU_DEP_2)
	v_rndne_f64_e32 v[66:67], v[66:67]
	v_add_f64_e32 v[60:61], v[62:63], v[60:61]
	s_delay_alu instid0(VALU_DEP_2) | instskip(SKIP_2) | instid1(VALU_DEP_3)
	v_fmac_f64_e32 v[64:65], 0xbfe62e42fefa3000, v[66:67]
	v_mul_f64_e32 v[62:63], 0xbd53de6af278e000, v[66:67]
	v_cvt_i32_f64_e32 v18, v[66:67]
	v_add_f64_e32 v[68:69], v[60:61], v[64:65]
	s_delay_alu instid0(VALU_DEP_1) | instskip(SKIP_1) | instid1(VALU_DEP_2)
	v_add_f64_e32 v[70:71], v[68:69], v[62:63]
	v_add_f64_e64 v[64:65], v[64:65], -v[68:69]
	v_add_f64_e64 v[68:69], v[68:69], -v[70:71]
	s_delay_alu instid0(VALU_DEP_2) | instskip(NEXT) | instid1(VALU_DEP_2)
	v_add_f64_e32 v[60:61], v[60:61], v[64:65]
	v_add_f64_e32 v[62:63], v[68:69], v[62:63]
	s_delay_alu instid0(VALU_DEP_1) | instskip(SKIP_1) | instid1(VALU_DEP_2)
	v_add_f64_e32 v[60:61], v[60:61], v[62:63]
	v_mul_f64_e32 v[62:63], 0xbac9cc01f97b57a0, v[66:67]
	v_add_f64_e32 v[64:65], v[70:71], v[60:61]
	s_delay_alu instid0(VALU_DEP_1) | instskip(SKIP_1) | instid1(VALU_DEP_2)
	v_add_f64_e32 v[68:69], v[64:65], v[62:63]
	v_add_f64_e64 v[70:71], v[70:71], -v[64:65]
	v_add_f64_e64 v[64:65], v[64:65], -v[68:69]
	s_delay_alu instid0(VALU_DEP_2) | instskip(NEXT) | instid1(VALU_DEP_2)
	v_add_f64_e32 v[60:61], v[60:61], v[70:71]
	v_add_f64_e32 v[62:63], v[64:65], v[62:63]
	s_delay_alu instid0(VALU_DEP_1) | instskip(NEXT) | instid1(VALU_DEP_1)
	v_add_f64_e32 v[60:61], v[60:61], v[62:63]
	v_add_f64_e32 v[62:63], v[68:69], v[60:61]
	s_delay_alu instid0(VALU_DEP_1) | instskip(SKIP_1) | instid1(VALU_DEP_2)
	v_add_f64_e64 v[64:65], v[68:69], -v[62:63]
	v_mul_f64_e32 v[68:69], v[62:63], v[62:63]
	v_add_f64_e32 v[60:61], v[60:61], v[64:65]
	s_delay_alu instid0(VALU_DEP_2) | instskip(NEXT) | instid1(VALU_DEP_2)
	v_fma_f64 v[64:65], v[62:63], v[62:63], -v[68:69]
	v_add_f64_e32 v[70:71], v[60:61], v[60:61]
	s_delay_alu instid0(VALU_DEP_1) | instskip(SKIP_1) | instid1(VALU_DEP_1)
	v_fmac_f64_e32 v[64:65], v[62:63], v[70:71]
	v_fmamk_f64 v[70:71], v[62:63], 0x3e5ade156a5dcb37, v[32:33]
	v_fmaak_f64 v[70:71], v[62:63], v[70:71], 0x3ec71dee623fde64
	s_delay_alu instid0(VALU_DEP_1) | instskip(NEXT) | instid1(VALU_DEP_1)
	v_fmaak_f64 v[70:71], v[62:63], v[70:71], 0x3efa01997c89e6b0
	v_fmaak_f64 v[70:71], v[62:63], v[70:71], 0x3f2a01a014761f6e
	s_delay_alu instid0(VALU_DEP_1) | instskip(SKIP_1) | instid1(VALU_DEP_2)
	v_fmaak_f64 v[70:71], v[62:63], v[70:71], 0x3f56c16c1852b7b0
	v_add_f64_e32 v[72:73], v[68:69], v[64:65]
	v_fmaak_f64 v[70:71], v[62:63], v[70:71], 0x3f81111111122322
	s_delay_alu instid0(VALU_DEP_1) | instskip(NEXT) | instid1(VALU_DEP_1)
	v_fmaak_f64 v[70:71], v[62:63], v[70:71], 0x3fa55555555502a1
	v_fmaak_f64 v[70:71], v[62:63], v[70:71], 0x3fc5555555555511
	s_delay_alu instid0(VALU_DEP_1) | instskip(SKIP_1) | instid1(VALU_DEP_2)
	v_fmaak_f64 v[70:71], v[62:63], v[70:71], 0x3fe000000000000b
	v_add_f64_e64 v[68:69], v[72:73], -v[68:69]
	v_mul_f64_e32 v[74:75], v[72:73], v[70:71]
	s_delay_alu instid0(VALU_DEP_2) | instskip(NEXT) | instid1(VALU_DEP_2)
	v_add_f64_e64 v[64:65], v[64:65], -v[68:69]
	v_fma_f64 v[68:69], v[72:73], v[70:71], -v[74:75]
	s_delay_alu instid0(VALU_DEP_1) | instskip(NEXT) | instid1(VALU_DEP_1)
	v_fmac_f64_e32 v[68:69], v[64:65], v[70:71]
	v_add_f64_e32 v[64:65], v[74:75], v[68:69]
	s_delay_alu instid0(VALU_DEP_1) | instskip(SKIP_1) | instid1(VALU_DEP_2)
	v_add_f64_e32 v[70:71], v[62:63], v[64:65]
	v_add_f64_e64 v[72:73], v[64:65], -v[74:75]
	v_add_f64_e64 v[62:63], v[70:71], -v[62:63]
	s_delay_alu instid0(VALU_DEP_2) | instskip(NEXT) | instid1(VALU_DEP_2)
	v_add_f64_e64 v[68:69], v[68:69], -v[72:73]
	v_add_f64_e64 v[62:63], v[64:65], -v[62:63]
	s_delay_alu instid0(VALU_DEP_2) | instskip(NEXT) | instid1(VALU_DEP_1)
	v_add_f64_e32 v[60:61], v[60:61], v[68:69]
	v_add_f64_e32 v[60:61], v[60:61], v[62:63]
	s_delay_alu instid0(VALU_DEP_1) | instskip(NEXT) | instid1(VALU_DEP_1)
	v_add_f64_e32 v[62:63], v[70:71], v[60:61]
	v_add_f64_e32 v[64:65], 1.0, v[62:63]
	v_add_f64_e64 v[68:69], v[62:63], -v[70:71]
	s_delay_alu instid0(VALU_DEP_2) | instskip(NEXT) | instid1(VALU_DEP_2)
	v_add_f64_e32 v[70:71], -1.0, v[64:65]
	v_add_f64_e64 v[60:61], v[60:61], -v[68:69]
	s_delay_alu instid0(VALU_DEP_2) | instskip(NEXT) | instid1(VALU_DEP_1)
	v_add_f64_e64 v[62:63], v[62:63], -v[70:71]
	v_add_f64_e32 v[60:61], v[60:61], v[62:63]
	s_delay_alu instid0(VALU_DEP_1) | instskip(NEXT) | instid1(VALU_DEP_1)
	v_add_f64_e32 v[62:63], v[64:65], v[60:61]
	v_ldexp_f64 v[66:67], v[62:63], v18
	v_add_f64_e64 v[62:63], v[62:63], -v[64:65]
	s_delay_alu instid0(VALU_DEP_2) | instskip(NEXT) | instid1(VALU_DEP_1)
	v_rcp_f64_e32 v[68:69], v[66:67]
	v_add_f64_e64 v[60:61], v[60:61], -v[62:63]
	s_delay_alu instid0(VALU_DEP_1) | instskip(NEXT) | instid1(TRANS32_DEP_1)
	v_ldexp_f64 v[60:61], v[60:61], v18
	v_fma_f64 v[70:71], -v[66:67], v[68:69], 1.0
	s_delay_alu instid0(VALU_DEP_1) | instskip(NEXT) | instid1(VALU_DEP_1)
	v_fmac_f64_e32 v[68:69], v[70:71], v[68:69]
	v_fma_f64 v[70:71], -v[66:67], v[68:69], 1.0
	s_delay_alu instid0(VALU_DEP_1) | instskip(NEXT) | instid1(VALU_DEP_1)
	v_fmac_f64_e32 v[68:69], v[70:71], v[68:69]
	v_mul_f64_e32 v[62:63], v[66:67], v[68:69]
	s_delay_alu instid0(VALU_DEP_1) | instskip(NEXT) | instid1(VALU_DEP_1)
	v_fma_f64 v[64:65], v[68:69], v[66:67], -v[62:63]
	v_fmac_f64_e32 v[64:65], v[68:69], v[60:61]
	s_delay_alu instid0(VALU_DEP_1) | instskip(NEXT) | instid1(VALU_DEP_1)
	v_add_f64_e32 v[70:71], v[62:63], v[64:65]
	v_add_f64_e64 v[72:73], -v[70:71], 1.0
	v_add_f64_e64 v[62:63], v[70:71], -v[62:63]
	s_delay_alu instid0(VALU_DEP_2) | instskip(NEXT) | instid1(VALU_DEP_2)
	v_add_f64_e64 v[74:75], -v[72:73], 1.0
	v_add_f64_e64 v[62:63], v[62:63], -v[64:65]
	s_delay_alu instid0(VALU_DEP_2) | instskip(NEXT) | instid1(VALU_DEP_1)
	v_add_f64_e64 v[64:65], v[74:75], -v[70:71]
	v_add_f64_e32 v[62:63], v[62:63], v[64:65]
	s_delay_alu instid0(VALU_DEP_1) | instskip(NEXT) | instid1(VALU_DEP_1)
	v_add_f64_e32 v[64:65], v[72:73], v[62:63]
	v_mul_f64_e32 v[70:71], v[68:69], v[64:65]
	v_add_f64_e64 v[72:73], v[72:73], -v[64:65]
	s_delay_alu instid0(VALU_DEP_2) | instskip(NEXT) | instid1(VALU_DEP_2)
	v_mul_f64_e32 v[74:75], v[66:67], v[70:71]
	v_add_f64_e32 v[62:63], v[62:63], v[72:73]
	s_delay_alu instid0(VALU_DEP_2) | instskip(NEXT) | instid1(VALU_DEP_1)
	v_fma_f64 v[76:77], v[70:71], v[66:67], -v[74:75]
	v_fmac_f64_e32 v[76:77], v[70:71], v[60:61]
	s_delay_alu instid0(VALU_DEP_1) | instskip(NEXT) | instid1(VALU_DEP_1)
	v_add_f64_e32 v[84:85], v[74:75], v[76:77]
	v_add_f64_e64 v[80:81], v[64:65], -v[84:85]
	v_add_f64_e64 v[72:73], v[84:85], -v[74:75]
	v_fmaak_f64 v[74:75], v[78:79], v[82:83], 0x3f21e634a7943acf
	s_delay_alu instid0(VALU_DEP_1) | instskip(NEXT) | instid1(VALU_DEP_1)
	v_fmaak_f64 v[74:75], v[78:79], v[74:75], 0x3f2d250fdeb68feb
	v_fmaak_f64 v[74:75], v[78:79], v[74:75], 0x3f437fd9b58c4d95
	s_delay_alu instid0(VALU_DEP_1) | instskip(NEXT) | instid1(VALU_DEP_1)
	v_fmaak_f64 v[74:75], v[78:79], v[74:75], 0x3f57d5af15120e2c
	v_fmaak_f64 v[74:75], v[78:79], v[74:75], 0x3f6d6d93e09491df
	v_add_f64_e64 v[64:65], v[64:65], -v[80:81]
	v_add_f64_e64 v[72:73], v[72:73], -v[76:77]
	s_delay_alu instid0(VALU_DEP_2) | instskip(NEXT) | instid1(VALU_DEP_1)
	v_add_f64_e64 v[64:65], v[64:65], -v[84:85]
	v_add_f64_e32 v[62:63], v[62:63], v[64:65]
	v_fmaak_f64 v[64:65], v[78:79], v[74:75], 0x3f8226e12033784d
	v_add_f64_e32 v[74:75], v[68:69], v[70:71]
	s_delay_alu instid0(VALU_DEP_2) | instskip(NEXT) | instid1(VALU_DEP_1)
	v_fmaak_f64 v[64:65], v[78:79], v[64:65], 0x3f9664f49ac36ae2
	v_fmaak_f64 v[64:65], v[78:79], v[64:65], 0x3faba1ba1b451c21
	s_delay_alu instid0(VALU_DEP_1) | instskip(NEXT) | instid1(VALU_DEP_1)
	v_fmaak_f64 v[64:65], v[78:79], v[64:65], 0x3fc11111111185b7
	v_fmaak_f64 v[64:65], v[78:79], v[64:65], 0x3fd55555555554ee
	v_add_f64_e32 v[62:63], v[72:73], v[62:63]
	v_add_f64_e64 v[72:73], v[74:75], -v[68:69]
	s_delay_alu instid0(VALU_DEP_3) | instskip(NEXT) | instid1(VALU_DEP_3)
	v_mul_f64_e32 v[64:65], v[78:79], v[64:65]
	v_add_f64_e32 v[62:63], v[80:81], v[62:63]
	s_delay_alu instid0(VALU_DEP_3) | instskip(NEXT) | instid1(VALU_DEP_3)
	v_add_f64_e64 v[70:71], v[70:71], -v[72:73]
	v_mul_f64_e32 v[76:77], v[10:11], v[64:65]
	s_delay_alu instid0(VALU_DEP_3) | instskip(NEXT) | instid1(VALU_DEP_2)
	v_mul_f64_e32 v[62:63], v[68:69], v[62:63]
	v_add_f64_e32 v[68:69], v[10:11], v[76:77]
	v_fma_f64 v[64:65], v[10:11], v[64:65], -v[76:77]
	s_delay_alu instid0(VALU_DEP_3) | instskip(NEXT) | instid1(VALU_DEP_3)
	v_add_f64_e32 v[62:63], v[70:71], v[62:63]
	v_add_f64_e64 v[10:11], v[68:69], -v[10:11]
	s_delay_alu instid0(VALU_DEP_3) | instskip(NEXT) | instid1(VALU_DEP_3)
	v_add_f64_e32 v[58:59], v[58:59], v[64:65]
	v_add_f64_e32 v[70:71], v[74:75], v[62:63]
	s_delay_alu instid0(VALU_DEP_3) | instskip(NEXT) | instid1(VALU_DEP_2)
	v_add_f64_e64 v[10:11], v[76:77], -v[10:11]
	v_ldexp_f64 v[64:65], v[70:71], -2
	v_add_f64_e64 v[70:71], v[70:71], -v[74:75]
	s_delay_alu instid0(VALU_DEP_3) | instskip(NEXT) | instid1(VALU_DEP_3)
	v_add_f64_e32 v[10:11], v[58:59], v[10:11]
	v_add_f64_e64 v[58:59], v[66:67], -v[64:65]
	s_delay_alu instid0(VALU_DEP_3) | instskip(NEXT) | instid1(VALU_DEP_3)
	v_add_f64_e64 v[62:63], v[62:63], -v[70:71]
	v_add_f64_e32 v[72:73], v[68:69], v[10:11]
	s_delay_alu instid0(VALU_DEP_3) | instskip(NEXT) | instid1(VALU_DEP_3)
	v_add_f64_e64 v[66:67], v[66:67], -v[58:59]
	v_ldexp_f64 v[62:63], v[62:63], -2
	s_delay_alu instid0(VALU_DEP_3) | instskip(NEXT) | instid1(VALU_DEP_2)
	v_rcp_f64_e32 v[74:75], v[72:73]
	v_add_f64_e64 v[64:65], v[66:67], -v[64:65]
	s_delay_alu instid0(TRANS32_DEP_1) | instskip(NEXT) | instid1(VALU_DEP_2)
	v_fma_f64 v[66:67], -v[72:73], v[74:75], 1.0
	v_add_f64_e32 v[60:61], v[60:61], v[64:65]
	s_delay_alu instid0(VALU_DEP_2) | instskip(NEXT) | instid1(VALU_DEP_2)
	v_fmac_f64_e32 v[74:75], v[66:67], v[74:75]
	v_add_f64_e64 v[60:61], v[60:61], -v[62:63]
	s_delay_alu instid0(VALU_DEP_2) | instskip(NEXT) | instid1(VALU_DEP_2)
	v_fma_f64 v[62:63], -v[72:73], v[74:75], 1.0
	v_add_f64_e32 v[58:59], v[58:59], v[60:61]
	s_delay_alu instid0(VALU_DEP_2) | instskip(NEXT) | instid1(VALU_DEP_2)
	v_fmac_f64_e32 v[74:75], v[62:63], v[74:75]
	v_cndmask_b32_e32 v18, 0x7ff00000, v59, vcc_lo
	s_delay_alu instid0(VALU_DEP_3) | instskip(SKIP_3) | instid1(VALU_DEP_2)
	v_cndmask_b32_e32 v25, 0, v58, vcc_lo
	v_cmp_gt_f64_e64 vcc_lo, 0x3e400000, |v[20:21]|
	v_and_b32_e32 v21, 0x7fffffff, v21
	v_add_f64_e64 v[58:59], v[72:73], -v[68:69]
	v_dual_mul_f64 v[60:61], v[72:73], v[74:75] :: v_dual_cndmask_b32 v18, v18, v21, vcc_lo
	s_delay_alu instid0(VALU_DEP_2) | instskip(NEXT) | instid1(VALU_DEP_2)
	v_dual_add_f64 v[10:11], v[10:11], -v[58:59] :: v_dual_cndmask_b32 v20, v25, v20, vcc_lo
	v_bfi_b32 v21, 0x7fffffff, v18, v13
	s_delay_alu instid0(VALU_DEP_3) | instskip(NEXT) | instid1(VALU_DEP_2)
	v_fma_f64 v[58:59], v[74:75], v[72:73], -v[60:61]
	v_fma_f64 v[62:63], v[20:21], v[20:21], 1.0
	s_delay_alu instid0(VALU_DEP_2) | instskip(NEXT) | instid1(VALU_DEP_2)
	v_fmac_f64_e32 v[58:59], v[74:75], v[10:11]
	v_cmp_gt_f64_e32 vcc_lo, 0x10000000, v[62:63]
	v_cndmask_b32_e64 v13, 0, 0x100, vcc_lo
	s_delay_alu instid0(VALU_DEP_1) | instskip(NEXT) | instid1(VALU_DEP_4)
	v_ldexp_f64 v[10:11], v[62:63], v13
	v_add_f64_e32 v[62:63], v[60:61], v[58:59]
	s_delay_alu instid0(VALU_DEP_2) | instskip(NEXT) | instid1(VALU_DEP_1)
	v_rsq_f64_e32 v[64:65], v[10:11]
	v_add_f64_e64 v[66:67], -v[62:63], 1.0
	v_add_f64_e64 v[60:61], v[62:63], -v[60:61]
	s_delay_alu instid0(VALU_DEP_2) | instskip(NEXT) | instid1(VALU_DEP_2)
	v_add_f64_e64 v[70:71], -v[66:67], 1.0
	v_add_f64_e64 v[58:59], v[60:61], -v[58:59]
	s_delay_alu instid0(TRANS32_DEP_1) | instskip(SKIP_1) | instid1(VALU_DEP_4)
	v_mul_f64_e32 v[68:69], v[10:11], v[64:65]
	v_mul_f64_e32 v[64:65], 0.5, v[64:65]
	v_add_f64_e64 v[60:61], v[70:71], -v[62:63]
	s_delay_alu instid0(VALU_DEP_2) | instskip(NEXT) | instid1(VALU_DEP_2)
	v_fma_f64 v[76:77], -v[64:65], v[68:69], 0.5
	v_add_f64_e32 v[58:59], v[58:59], v[60:61]
	s_delay_alu instid0(VALU_DEP_2) | instskip(SKIP_1) | instid1(VALU_DEP_3)
	v_fmac_f64_e32 v[68:69], v[68:69], v[76:77]
	v_fmac_f64_e32 v[64:65], v[64:65], v[76:77]
	v_add_f64_e32 v[58:59], v[66:67], v[58:59]
	s_delay_alu instid0(VALU_DEP_3) | instskip(NEXT) | instid1(VALU_DEP_2)
	v_fma_f64 v[60:61], -v[68:69], v[68:69], v[10:11]
	v_mul_f64_e32 v[58:59], v[74:75], v[58:59]
	s_delay_alu instid0(VALU_DEP_2) | instskip(NEXT) | instid1(VALU_DEP_2)
	v_fmac_f64_e32 v[68:69], v[60:61], v[64:65]
	v_add_f64_e32 v[58:59], v[74:75], v[58:59]
	s_delay_alu instid0(VALU_DEP_2) | instskip(NEXT) | instid1(VALU_DEP_2)
	v_fma_f64 v[60:61], -v[68:69], v[68:69], v[10:11]
	v_xor_b32_e32 v13, 0x80000000, v59
	s_delay_alu instid0(VALU_DEP_1) | instskip(NEXT) | instid1(VALU_DEP_3)
	v_dual_cndmask_b32 v18, v58, v72, s6 :: v_dual_cndmask_b32 v12, v13, v73, s6
	v_fmac_f64_e32 v[68:69], v[60:61], v[64:65]
	v_cndmask_b32_e64 v13, 0, 0xffffff80, vcc_lo
	v_cmp_class_f64_e64 vcc_lo, v[10:11], 0x260
	s_delay_alu instid0(VALU_DEP_4) | instskip(NEXT) | instid1(VALU_DEP_1)
	v_bitop3_b32 v19, v12, v19, 0x80000000 bitop3:0x78
	v_fma_f64 v[58:59], v[18:19], v[18:19], 1.0
	s_delay_alu instid0(VALU_DEP_4) | instskip(NEXT) | instid1(VALU_DEP_1)
	v_ldexp_f64 v[12:13], v[68:69], v13
	v_dual_cndmask_b32 v11, v13, v11 :: v_dual_cndmask_b32 v10, v12, v10
	s_delay_alu instid0(VALU_DEP_3) | instskip(NEXT) | instid1(VALU_DEP_2)
	v_mul_f64_e32 v[12:13], v[20:21], v[58:59]
	v_mul_f64_e32 v[10:11], v[10:11], v[58:59]
	s_delay_alu instid0(VALU_DEP_2) | instskip(NEXT) | instid1(VALU_DEP_2)
	v_fma_f64 v[58:59], v[20:21], v[12:13], 1.0
	v_mul_f64_e32 v[10:11], v[20:21], v[10:11]
	s_delay_alu instid0(VALU_DEP_2) | instskip(NEXT) | instid1(VALU_DEP_2)
	v_div_scale_f64 v[20:21], null, v[58:59], v[58:59], v[18:19]
	v_div_scale_f64 v[12:13], null, v[58:59], v[58:59], v[10:11]
	v_div_scale_f64 v[68:69], vcc_lo, v[10:11], v[58:59], v[10:11]
	s_delay_alu instid0(VALU_DEP_3) | instskip(NEXT) | instid1(VALU_DEP_2)
	v_rcp_f64_e32 v[62:63], v[20:21]
	v_rcp_f64_e32 v[60:61], v[12:13]
	s_delay_alu instid0(TRANS32_DEP_2) | instskip(NEXT) | instid1(TRANS32_DEP_1)
	v_fma_f64 v[66:67], -v[20:21], v[62:63], 1.0
	v_fma_f64 v[64:65], -v[12:13], v[60:61], 1.0
	s_delay_alu instid0(VALU_DEP_2) | instskip(NEXT) | instid1(VALU_DEP_2)
	v_fmac_f64_e32 v[62:63], v[62:63], v[66:67]
	v_fmac_f64_e32 v[60:61], v[60:61], v[64:65]
	s_delay_alu instid0(VALU_DEP_2) | instskip(NEXT) | instid1(VALU_DEP_2)
	v_fma_f64 v[66:67], -v[20:21], v[62:63], 1.0
	v_fma_f64 v[64:65], -v[12:13], v[60:61], 1.0
	s_delay_alu instid0(VALU_DEP_2) | instskip(NEXT) | instid1(VALU_DEP_2)
	v_fmac_f64_e32 v[62:63], v[62:63], v[66:67]
	v_fmac_f64_e32 v[60:61], v[60:61], v[64:65]
	v_div_scale_f64 v[64:65], s6, v[18:19], v[58:59], v[18:19]
	s_delay_alu instid0(VALU_DEP_2) | instskip(NEXT) | instid1(VALU_DEP_2)
	v_mul_f64_e32 v[66:67], v[68:69], v[60:61]
	v_mul_f64_e32 v[70:71], v[64:65], v[62:63]
	s_delay_alu instid0(VALU_DEP_2) | instskip(NEXT) | instid1(VALU_DEP_2)
	v_fma_f64 v[12:13], -v[12:13], v[66:67], v[68:69]
	v_fma_f64 v[20:21], -v[20:21], v[70:71], v[64:65]
	s_delay_alu instid0(VALU_DEP_2) | instskip(SKIP_1) | instid1(VALU_DEP_2)
	v_div_fmas_f64 v[12:13], v[12:13], v[60:61], v[66:67]
	s_mov_b32 vcc_lo, s6
	v_div_fmas_f64 v[20:21], v[20:21], v[62:63], v[70:71]
	s_delay_alu instid0(VALU_DEP_2) | instskip(NEXT) | instid1(VALU_DEP_2)
	v_div_fixup_f64 v[12:13], v[12:13], v[58:59], v[10:11]
	v_div_fixup_f64 v[10:11], v[20:21], v[58:59], v[18:19]
                                        ; implicit-def: $vgpr18_vgpr19
.LBB99_58:                              ;   in Loop: Header=BB99_4 Depth=1
	s_and_not1_saveexec_b32 s6, s37
	s_cbranch_execz .LBB99_68
; %bb.59:                               ;   in Loop: Header=BB99_4 Depth=1
	v_cmp_ngt_f64_e64 s37, 0x41d00000, |v[18:19]|
                                        ; implicit-def: $vgpr12
                                        ; implicit-def: $vgpr10_vgpr11
                                        ; implicit-def: $vgpr58_vgpr59
	s_and_saveexec_b32 s38, s37
	s_delay_alu instid0(SALU_CYCLE_1)
	s_xor_b32 s38, exec_lo, s38
	s_cbranch_execz .LBB99_61
; %bb.60:                               ;   in Loop: Header=BB99_4 Depth=1
	v_ldexp_f64 v[10:11], |v[18:19]|, 0xffffff80
	v_cmp_le_f64_e64 vcc_lo, 0x7b000000, |v[18:19]|
	v_trig_preop_f64 v[58:59], |v[18:19]|, 0
	v_and_b32_e32 v12, 0x7fffffff, v19
	v_trig_preop_f64 v[60:61], |v[18:19]|, 1
	v_trig_preop_f64 v[70:71], |v[18:19]|, 2
	s_delay_alu instid0(VALU_DEP_3) | instskip(NEXT) | instid1(VALU_DEP_1)
	v_dual_cndmask_b32 v11, v12, v11 :: v_dual_cndmask_b32 v10, v18, v10
	v_mul_f64_e32 v[62:63], v[58:59], v[10:11]
	s_delay_alu instid0(VALU_DEP_4) | instskip(NEXT) | instid1(VALU_DEP_4)
	v_mul_f64_e32 v[64:65], v[60:61], v[10:11]
	v_mul_f64_e32 v[76:77], v[70:71], v[10:11]
	s_delay_alu instid0(VALU_DEP_3) | instskip(NEXT) | instid1(VALU_DEP_3)
	v_fma_f64 v[58:59], v[58:59], v[10:11], -v[62:63]
	v_fma_f64 v[60:61], v[60:61], v[10:11], -v[64:65]
	s_delay_alu instid0(VALU_DEP_3) | instskip(NEXT) | instid1(VALU_DEP_3)
	v_fma_f64 v[10:11], v[70:71], v[10:11], -v[76:77]
	v_add_f64_e32 v[66:67], v[64:65], v[58:59]
	s_delay_alu instid0(VALU_DEP_1) | instskip(SKIP_1) | instid1(VALU_DEP_2)
	v_add_f64_e64 v[68:69], v[66:67], -v[64:65]
	v_add_f64_e32 v[74:75], v[62:63], v[66:67]
	v_add_f64_e64 v[72:73], v[66:67], -v[68:69]
	v_add_f64_e64 v[58:59], v[58:59], -v[68:69]
	s_delay_alu instid0(VALU_DEP_3) | instskip(NEXT) | instid1(VALU_DEP_3)
	v_ldexp_f64 v[68:69], v[74:75], -2
	v_add_f64_e64 v[64:65], v[64:65], -v[72:73]
	v_add_f64_e32 v[72:73], v[76:77], v[60:61]
	s_delay_alu instid0(VALU_DEP_3) | instskip(NEXT) | instid1(VALU_DEP_3)
	v_cmp_neq_f64_e64 vcc_lo, 0x7ff00000, |v[68:69]|
	v_add_f64_e32 v[58:59], v[58:59], v[64:65]
	v_fract_f64_e32 v[64:65], v[68:69]
	s_delay_alu instid0(VALU_DEP_1) | instskip(NEXT) | instid1(VALU_DEP_1)
	v_ldexp_f64 v[64:65], v[64:65], 2
	v_dual_add_f64 v[62:63], v[74:75], -v[62:63] :: v_dual_cndmask_b32 v65, 0, v65, vcc_lo
	s_delay_alu instid0(VALU_DEP_1) | instskip(SKIP_1) | instid1(VALU_DEP_1)
	v_dual_add_f64 v[62:63], v[66:67], -v[62:63] :: v_dual_cndmask_b32 v64, 0, v64, vcc_lo
	v_add_f64_e32 v[66:67], v[72:73], v[58:59]
	v_add_f64_e32 v[68:69], v[62:63], v[66:67]
	v_add_f64_e64 v[78:79], v[66:67], -v[72:73]
	s_delay_alu instid0(VALU_DEP_2) | instskip(NEXT) | instid1(VALU_DEP_2)
	v_add_f64_e32 v[74:75], v[68:69], v[64:65]
	v_add_f64_e64 v[84:85], v[66:67], -v[78:79]
	v_add_f64_e64 v[58:59], v[58:59], -v[78:79]
	;; [unrolled: 1-line block ×3, first 2 shown]
	s_delay_alu instid0(VALU_DEP_4) | instskip(SKIP_1) | instid1(VALU_DEP_3)
	v_cmp_gt_f64_e32 vcc_lo, 0, v[74:75]
	v_add_f64_e64 v[74:75], v[72:73], -v[76:77]
	v_add_f64_e64 v[62:63], v[66:67], -v[62:63]
	v_cndmask_b32_e64 v25, 0, 0x40100000, vcc_lo
	s_delay_alu instid0(VALU_DEP_3) | instskip(SKIP_2) | instid1(VALU_DEP_4)
	v_add_f64_e64 v[82:83], v[72:73], -v[74:75]
	v_add_f64_e64 v[60:61], v[60:61], -v[74:75]
	;; [unrolled: 1-line block ×3, first 2 shown]
	v_add_f64_e32 v[64:65], v[64:65], v[24:25]
	s_delay_alu instid0(VALU_DEP_4) | instskip(NEXT) | instid1(VALU_DEP_3)
	v_add_f64_e64 v[74:75], v[76:77], -v[82:83]
	v_add_f64_e32 v[58:59], v[58:59], v[72:73]
	s_delay_alu instid0(VALU_DEP_3) | instskip(NEXT) | instid1(VALU_DEP_3)
	v_add_f64_e32 v[80:81], v[68:69], v[64:65]
	v_add_f64_e32 v[60:61], v[60:61], v[74:75]
	s_delay_alu instid0(VALU_DEP_2) | instskip(NEXT) | instid1(VALU_DEP_2)
	v_cvt_i32_f64_e32 v12, v[80:81]
	v_add_f64_e32 v[58:59], v[60:61], v[58:59]
	s_delay_alu instid0(VALU_DEP_2) | instskip(NEXT) | instid1(VALU_DEP_2)
	v_cvt_f64_i32_e32 v[78:79], v12
	v_add_f64_e32 v[10:11], v[10:11], v[58:59]
	s_delay_alu instid0(VALU_DEP_2) | instskip(NEXT) | instid1(VALU_DEP_2)
	v_add_f64_e64 v[64:65], v[64:65], -v[78:79]
	v_add_f64_e32 v[10:11], v[62:63], v[10:11]
	s_delay_alu instid0(VALU_DEP_2) | instskip(NEXT) | instid1(VALU_DEP_1)
	v_add_f64_e32 v[60:61], v[68:69], v[64:65]
	v_add_f64_e64 v[58:59], v[60:61], -v[64:65]
	v_cmp_le_f64_e32 vcc_lo, 0.5, v[60:61]
	s_delay_alu instid0(VALU_DEP_2) | instskip(SKIP_2) | instid1(VALU_DEP_3)
	v_add_f64_e64 v[58:59], v[68:69], -v[58:59]
	v_cndmask_b32_e64 v25, 0, 0x3ff00000, vcc_lo
	v_add_co_ci_u32_e64 v12, null, 0, v12, vcc_lo
	v_add_f64_e32 v[10:11], v[10:11], v[58:59]
	s_delay_alu instid0(VALU_DEP_3) | instskip(NEXT) | instid1(VALU_DEP_1)
	v_add_f64_e64 v[58:59], v[60:61], -v[24:25]
	v_add_f64_e32 v[60:61], v[58:59], v[10:11]
	s_delay_alu instid0(VALU_DEP_1) | instskip(SKIP_1) | instid1(VALU_DEP_2)
	v_mul_f64_e32 v[62:63], 0x3ff921fb54442d18, v[60:61]
	v_add_f64_e64 v[58:59], v[60:61], -v[58:59]
	v_fma_f64 v[64:65], v[60:61], s[16:17], -v[62:63]
	s_delay_alu instid0(VALU_DEP_2) | instskip(NEXT) | instid1(VALU_DEP_2)
	v_add_f64_e64 v[10:11], v[10:11], -v[58:59]
	v_fmac_f64_e32 v[64:65], 0x3c91a62633145c07, v[60:61]
	s_delay_alu instid0(VALU_DEP_1) | instskip(NEXT) | instid1(VALU_DEP_1)
	v_fmac_f64_e32 v[64:65], 0x3ff921fb54442d18, v[10:11]
	v_add_f64_e32 v[10:11], v[62:63], v[64:65]
	s_delay_alu instid0(VALU_DEP_1) | instskip(NEXT) | instid1(VALU_DEP_1)
	v_add_f64_e64 v[58:59], v[10:11], -v[62:63]
	v_add_f64_e64 v[58:59], v[64:65], -v[58:59]
	s_and_not1_saveexec_b32 s38, s38
	s_cbranch_execz .LBB99_63
	s_branch .LBB99_62
.LBB99_61:                              ;   in Loop: Header=BB99_4 Depth=1
	s_and_not1_saveexec_b32 s38, s38
	s_cbranch_execz .LBB99_63
.LBB99_62:                              ;   in Loop: Header=BB99_4 Depth=1
	v_mul_f64_e64 v[10:11], |v[18:19]|, s[18:19]
	s_delay_alu instid0(VALU_DEP_1) | instskip(NEXT) | instid1(VALU_DEP_1)
	v_rndne_f64_e32 v[60:61], v[10:11]
	v_fma_f64 v[10:11], v[60:61], s[20:21], |v[18:19]|
	v_mul_f64_e32 v[58:59], 0xbc91a62633145c00, v[60:61]
	v_cvt_i32_f64_e32 v12, v[60:61]
	s_delay_alu instid0(VALU_DEP_3) | instskip(NEXT) | instid1(VALU_DEP_3)
	v_fmamk_f64 v[66:67], v[60:61], 0xbc91a62633145c00, v[10:11]
	v_add_f64_e32 v[62:63], v[10:11], v[58:59]
	s_delay_alu instid0(VALU_DEP_1) | instskip(NEXT) | instid1(VALU_DEP_3)
	v_add_f64_e64 v[64:65], v[10:11], -v[62:63]
	v_add_f64_e64 v[10:11], v[62:63], -v[66:67]
	s_delay_alu instid0(VALU_DEP_2) | instskip(SKIP_1) | instid1(VALU_DEP_2)
	v_add_f64_e32 v[62:63], v[64:65], v[58:59]
	v_fmamk_f64 v[58:59], v[60:61], 0x3c91a62633145c00, v[58:59]
	v_add_f64_e32 v[10:11], v[10:11], v[62:63]
	s_delay_alu instid0(VALU_DEP_1) | instskip(NEXT) | instid1(VALU_DEP_1)
	v_add_f64_e64 v[58:59], v[10:11], -v[58:59]
	v_fmac_f64_e32 v[58:59], 0xb97b839a252049c0, v[60:61]
	s_delay_alu instid0(VALU_DEP_1) | instskip(NEXT) | instid1(VALU_DEP_1)
	v_add_f64_e32 v[10:11], v[66:67], v[58:59]
	v_add_f64_e64 v[62:63], v[10:11], -v[66:67]
	s_delay_alu instid0(VALU_DEP_1)
	v_add_f64_e64 v[58:59], v[58:59], -v[62:63]
.LBB99_63:                              ;   in Loop: Header=BB99_4 Depth=1
	s_or_b32 exec_lo, exec_lo, s38
                                        ; implicit-def: $vgpr64
                                        ; implicit-def: $vgpr60_vgpr61
                                        ; implicit-def: $vgpr62_vgpr63
	s_and_saveexec_b32 s38, s37
	s_delay_alu instid0(SALU_CYCLE_1)
	s_xor_b32 s37, exec_lo, s38
	s_cbranch_execz .LBB99_65
; %bb.64:                               ;   in Loop: Header=BB99_4 Depth=1
	v_ldexp_f64 v[60:61], |v[18:19]|, 0xffffff80
	v_cmp_le_f64_e64 vcc_lo, 0x7b000000, |v[18:19]|
	v_trig_preop_f64 v[62:63], |v[18:19]|, 0
	v_and_b32_e32 v25, 0x7fffffff, v19
	v_trig_preop_f64 v[64:65], |v[18:19]|, 1
	v_trig_preop_f64 v[74:75], |v[18:19]|, 2
	s_delay_alu instid0(VALU_DEP_3) | instskip(NEXT) | instid1(VALU_DEP_1)
	v_dual_cndmask_b32 v61, v25, v61 :: v_dual_cndmask_b32 v60, v18, v60
	v_mul_f64_e32 v[66:67], v[62:63], v[60:61]
	s_delay_alu instid0(VALU_DEP_4) | instskip(NEXT) | instid1(VALU_DEP_4)
	v_mul_f64_e32 v[68:69], v[64:65], v[60:61]
	v_mul_f64_e32 v[80:81], v[74:75], v[60:61]
	s_delay_alu instid0(VALU_DEP_3) | instskip(NEXT) | instid1(VALU_DEP_3)
	v_fma_f64 v[62:63], v[62:63], v[60:61], -v[66:67]
	v_fma_f64 v[64:65], v[64:65], v[60:61], -v[68:69]
	s_delay_alu instid0(VALU_DEP_3) | instskip(NEXT) | instid1(VALU_DEP_3)
	v_fma_f64 v[60:61], v[74:75], v[60:61], -v[80:81]
	v_add_f64_e32 v[70:71], v[68:69], v[62:63]
	s_delay_alu instid0(VALU_DEP_1) | instskip(SKIP_1) | instid1(VALU_DEP_2)
	v_add_f64_e64 v[72:73], v[70:71], -v[68:69]
	v_add_f64_e32 v[78:79], v[66:67], v[70:71]
	v_add_f64_e64 v[76:77], v[70:71], -v[72:73]
	v_add_f64_e64 v[62:63], v[62:63], -v[72:73]
	s_delay_alu instid0(VALU_DEP_3) | instskip(NEXT) | instid1(VALU_DEP_3)
	v_ldexp_f64 v[72:73], v[78:79], -2
	v_add_f64_e64 v[68:69], v[68:69], -v[76:77]
	v_add_f64_e32 v[76:77], v[80:81], v[64:65]
	s_delay_alu instid0(VALU_DEP_3) | instskip(NEXT) | instid1(VALU_DEP_3)
	v_cmp_neq_f64_e64 vcc_lo, 0x7ff00000, |v[72:73]|
	v_add_f64_e32 v[62:63], v[62:63], v[68:69]
	v_fract_f64_e32 v[68:69], v[72:73]
	s_delay_alu instid0(VALU_DEP_1) | instskip(NEXT) | instid1(VALU_DEP_1)
	v_ldexp_f64 v[68:69], v[68:69], 2
	v_dual_add_f64 v[66:67], v[78:79], -v[66:67] :: v_dual_cndmask_b32 v68, 0, v68, vcc_lo
	s_delay_alu instid0(VALU_DEP_1) | instskip(SKIP_1) | instid1(VALU_DEP_1)
	v_dual_add_f64 v[66:67], v[70:71], -v[66:67] :: v_dual_cndmask_b32 v69, 0, v69, vcc_lo
	v_add_f64_e32 v[70:71], v[76:77], v[62:63]
	v_add_f64_e32 v[72:73], v[66:67], v[70:71]
	v_add_f64_e64 v[82:83], v[70:71], -v[76:77]
	s_delay_alu instid0(VALU_DEP_2) | instskip(NEXT) | instid1(VALU_DEP_2)
	v_add_f64_e32 v[78:79], v[72:73], v[68:69]
	v_add_f64_e64 v[88:89], v[70:71], -v[82:83]
	v_add_f64_e64 v[62:63], v[62:63], -v[82:83]
	;; [unrolled: 1-line block ×3, first 2 shown]
	s_delay_alu instid0(VALU_DEP_4) | instskip(SKIP_2) | instid1(VALU_DEP_2)
	v_cmp_gt_f64_e32 vcc_lo, 0, v[78:79]
	v_add_f64_e64 v[78:79], v[76:77], -v[80:81]
	v_cndmask_b32_e64 v25, 0, 0x40100000, vcc_lo
	v_add_f64_e64 v[86:87], v[76:77], -v[78:79]
	v_add_f64_e64 v[64:65], v[64:65], -v[78:79]
	v_add_f64_e64 v[76:77], v[76:77], -v[88:89]
	s_delay_alu instid0(VALU_DEP_4) | instskip(NEXT) | instid1(VALU_DEP_4)
	v_add_f64_e32 v[68:69], v[68:69], v[24:25]
	v_add_f64_e64 v[78:79], v[80:81], -v[86:87]
	s_delay_alu instid0(VALU_DEP_3) | instskip(NEXT) | instid1(VALU_DEP_3)
	v_add_f64_e32 v[62:63], v[62:63], v[76:77]
	v_add_f64_e32 v[84:85], v[72:73], v[68:69]
	s_delay_alu instid0(VALU_DEP_3) | instskip(NEXT) | instid1(VALU_DEP_2)
	v_add_f64_e32 v[64:65], v[64:65], v[78:79]
	v_cvt_i32_f64_e32 v25, v[84:85]
	s_delay_alu instid0(VALU_DEP_2) | instskip(SKIP_1) | instid1(VALU_DEP_3)
	v_add_f64_e32 v[62:63], v[64:65], v[62:63]
	v_add_f64_e64 v[64:65], v[70:71], -v[66:67]
	v_cvt_f64_i32_e32 v[82:83], v25
	s_delay_alu instid0(VALU_DEP_3) | instskip(NEXT) | instid1(VALU_DEP_2)
	v_add_f64_e32 v[60:61], v[60:61], v[62:63]
	v_add_f64_e64 v[68:69], v[68:69], -v[82:83]
	s_delay_alu instid0(VALU_DEP_2) | instskip(NEXT) | instid1(VALU_DEP_2)
	v_add_f64_e32 v[60:61], v[64:65], v[60:61]
	v_add_f64_e32 v[74:75], v[72:73], v[68:69]
	s_delay_alu instid0(VALU_DEP_1) | instskip(SKIP_1) | instid1(VALU_DEP_2)
	v_add_f64_e64 v[62:63], v[74:75], -v[68:69]
	v_cmp_le_f64_e32 vcc_lo, 0.5, v[74:75]
	v_add_f64_e64 v[62:63], v[72:73], -v[62:63]
	v_add_co_ci_u32_e64 v64, null, 0, v25, vcc_lo
	v_cndmask_b32_e64 v25, 0, 0x3ff00000, vcc_lo
	s_delay_alu instid0(VALU_DEP_3) | instskip(NEXT) | instid1(VALU_DEP_2)
	v_add_f64_e32 v[60:61], v[60:61], v[62:63]
	v_add_f64_e64 v[62:63], v[74:75], -v[24:25]
	s_delay_alu instid0(VALU_DEP_1) | instskip(NEXT) | instid1(VALU_DEP_1)
	v_add_f64_e32 v[66:67], v[62:63], v[60:61]
	v_mul_f64_e32 v[68:69], 0x3ff921fb54442d18, v[66:67]
	v_add_f64_e64 v[62:63], v[66:67], -v[62:63]
	s_delay_alu instid0(VALU_DEP_2) | instskip(NEXT) | instid1(VALU_DEP_2)
	v_fma_f64 v[70:71], v[66:67], s[16:17], -v[68:69]
	v_add_f64_e64 v[60:61], v[60:61], -v[62:63]
	s_delay_alu instid0(VALU_DEP_2) | instskip(NEXT) | instid1(VALU_DEP_1)
	v_fmac_f64_e32 v[70:71], 0x3c91a62633145c07, v[66:67]
	v_fmac_f64_e32 v[70:71], 0x3ff921fb54442d18, v[60:61]
	s_delay_alu instid0(VALU_DEP_1) | instskip(NEXT) | instid1(VALU_DEP_1)
	v_add_f64_e32 v[60:61], v[68:69], v[70:71]
	v_add_f64_e64 v[62:63], v[60:61], -v[68:69]
	s_delay_alu instid0(VALU_DEP_1)
	v_add_f64_e64 v[62:63], v[70:71], -v[62:63]
	s_and_not1_saveexec_b32 s37, s37
	s_cbranch_execnz .LBB99_66
	s_branch .LBB99_67
.LBB99_65:                              ;   in Loop: Header=BB99_4 Depth=1
	s_and_not1_saveexec_b32 s37, s37
	s_cbranch_execz .LBB99_67
.LBB99_66:                              ;   in Loop: Header=BB99_4 Depth=1
	v_mul_f64_e64 v[60:61], |v[18:19]|, s[18:19]
	s_delay_alu instid0(VALU_DEP_1) | instskip(NEXT) | instid1(VALU_DEP_1)
	v_rndne_f64_e32 v[64:65], v[60:61]
	v_fma_f64 v[60:61], v[64:65], s[20:21], |v[18:19]|
	v_mul_f64_e32 v[62:63], 0xbc91a62633145c00, v[64:65]
	s_delay_alu instid0(VALU_DEP_2) | instskip(NEXT) | instid1(VALU_DEP_2)
	v_fmamk_f64 v[70:71], v[64:65], 0xbc91a62633145c00, v[60:61]
	v_add_f64_e32 v[66:67], v[60:61], v[62:63]
	s_delay_alu instid0(VALU_DEP_1) | instskip(NEXT) | instid1(VALU_DEP_3)
	v_add_f64_e64 v[68:69], v[60:61], -v[66:67]
	v_add_f64_e64 v[60:61], v[66:67], -v[70:71]
	s_delay_alu instid0(VALU_DEP_2) | instskip(SKIP_1) | instid1(VALU_DEP_2)
	v_add_f64_e32 v[66:67], v[68:69], v[62:63]
	v_fmamk_f64 v[62:63], v[64:65], 0x3c91a62633145c00, v[62:63]
	v_add_f64_e32 v[60:61], v[60:61], v[66:67]
	s_delay_alu instid0(VALU_DEP_1) | instskip(NEXT) | instid1(VALU_DEP_1)
	v_add_f64_e64 v[62:63], v[60:61], -v[62:63]
	v_fmac_f64_e32 v[62:63], 0xb97b839a252049c0, v[64:65]
	v_cvt_i32_f64_e32 v64, v[64:65]
	s_delay_alu instid0(VALU_DEP_2) | instskip(NEXT) | instid1(VALU_DEP_1)
	v_add_f64_e32 v[60:61], v[70:71], v[62:63]
	v_add_f64_e64 v[66:67], v[60:61], -v[70:71]
	s_delay_alu instid0(VALU_DEP_1)
	v_add_f64_e64 v[62:63], v[62:63], -v[66:67]
.LBB99_67:                              ;   in Loop: Header=BB99_4 Depth=1
	s_or_b32 exec_lo, exec_lo, s37
	v_dual_mul_f64 v[66:67], v[10:11], v[10:11] :: v_dual_bitop2_b32 v18, 1, v12 bitop3:0x40
	s_delay_alu instid0(VALU_DEP_2) | instskip(NEXT) | instid1(VALU_DEP_3)
	v_mul_f64_e32 v[78:79], 0.5, v[58:59]
	v_mul_f64_e32 v[90:91], 0.5, v[62:63]
	v_mul_f64_e64 v[72:73], |v[20:21]|, s[30:31]
	v_lshlrev_b32_e32 v12, 30, v12
	v_cmp_eq_u32_e32 vcc_lo, 0, v18
	s_delay_alu instid0(VALU_DEP_2) | instskip(SKIP_4) | instid1(VALU_DEP_2)
	v_xor_b32_e32 v12, v12, v19
	v_mul_f64_e32 v[70:71], 0.5, v[66:67]
	v_mul_f64_e64 v[80:81], v[10:11], -v[66:67]
	v_fmamk_f64 v[86:87], v[66:67], 0x3de5e0b2f9a43bb8, v[48:49]
	v_rndne_f64_e32 v[72:73], v[72:73]
	v_fmaak_f64 v[86:87], v[66:67], v[86:87], 0x3ec71de3796cde01
	s_delay_alu instid0(VALU_DEP_1) | instskip(NEXT) | instid1(VALU_DEP_1)
	v_fmaak_f64 v[86:87], v[66:67], v[86:87], 0xbf2a01a019e83e5c
	v_fmaak_f64 v[86:87], v[66:67], v[86:87], 0x3f81111111110bb3
	v_add_f64_e64 v[76:77], -v[70:71], 1.0
	s_delay_alu instid0(VALU_DEP_2) | instskip(SKIP_2) | instid1(VALU_DEP_4)
	v_fmac_f64_e32 v[78:79], v[80:81], v[86:87]
	v_fma_f64 v[88:89], v[72:73], s[22:23], -|v[20:21]|
	v_cvt_i32_f64_e32 v25, v[72:73]
	v_add_f64_e64 v[84:85], -v[76:77], 1.0
	s_delay_alu instid0(VALU_DEP_4) | instskip(NEXT) | instid1(VALU_DEP_4)
	v_fma_f64 v[78:79], v[66:67], v[78:79], -v[58:59]
	v_fmac_f64_e32 v[88:89], 0xbc7abc9e3b39803f, v[72:73]
	s_delay_alu instid0(VALU_DEP_3) | instskip(NEXT) | instid1(VALU_DEP_3)
	v_add_f64_e64 v[70:71], v[84:85], -v[70:71]
	v_fmac_f64_e32 v[78:79], 0xbfc5555555555555, v[80:81]
	s_delay_alu instid0(VALU_DEP_2) | instskip(NEXT) | instid1(VALU_DEP_2)
	v_fma_f64 v[58:59], v[10:11], -v[58:59], v[70:71]
	v_add_f64_e64 v[10:11], v[10:11], -v[78:79]
	v_mul_f64_e32 v[68:69], v[60:61], v[60:61]
	s_delay_alu instid0(VALU_DEP_1) | instskip(SKIP_1) | instid1(VALU_DEP_1)
	v_mul_f64_e64 v[92:93], v[60:61], -v[68:69]
	v_fmamk_f64 v[94:95], v[68:69], 0x3de5e0b2f9a43bb8, v[48:49]
	v_fmaak_f64 v[84:85], v[68:69], v[94:95], 0x3ec71de3796cde01
	v_fmamk_f64 v[94:95], v[66:67], 0xbda907db46cc5e42, v[46:47]
	s_delay_alu instid0(VALU_DEP_2) | instskip(NEXT) | instid1(VALU_DEP_2)
	v_fmaak_f64 v[84:85], v[68:69], v[84:85], 0xbf2a01a019e83e5c
	v_fmaak_f64 v[70:71], v[66:67], v[94:95], 0xbe927e4fa17f65f6
	s_delay_alu instid0(VALU_DEP_2) | instskip(NEXT) | instid1(VALU_DEP_2)
	v_fmaak_f64 v[84:85], v[68:69], v[84:85], 0x3f81111111110bb3
	v_fmaak_f64 v[70:71], v[66:67], v[70:71], 0x3efa01a019f4ec90
	s_delay_alu instid0(VALU_DEP_1) | instskip(NEXT) | instid1(VALU_DEP_3)
	v_fmaak_f64 v[70:71], v[66:67], v[70:71], 0xbf56c16c16c16967
	v_fmac_f64_e32 v[90:91], v[92:93], v[84:85]
	v_mul_f64_e32 v[84:85], v[66:67], v[66:67]
	s_delay_alu instid0(VALU_DEP_3) | instskip(NEXT) | instid1(VALU_DEP_1)
	v_fmaak_f64 v[66:67], v[66:67], v[70:71], 0x3fa5555555555555
	v_fmac_f64_e32 v[58:59], v[84:85], v[66:67]
	s_delay_alu instid0(VALU_DEP_1) | instskip(NEXT) | instid1(VALU_DEP_1)
	v_add_f64_e32 v[58:59], v[76:77], v[58:59]
	v_dual_mul_f64 v[74:75], 0.5, v[68:69] :: v_dual_cndmask_b32 v10, v58, v10, vcc_lo
	s_delay_alu instid0(VALU_DEP_2) | instskip(NEXT) | instid1(VALU_DEP_1)
	v_cndmask_b32_e32 v11, v59, v11, vcc_lo
	v_bitop3_b32 v11, v11, v12, 0x80000000 bitop3:0x78
	s_delay_alu instid0(VALU_DEP_1) | instskip(NEXT) | instid1(VALU_DEP_1)
	v_dual_mul_f64 v[10:11], 4.0, v[10:11] :: v_dual_bitop2_b32 v12, 1, v64 bitop3:0x40
	v_cmp_eq_u32_e32 vcc_lo, 0, v12
	v_add_f64_e64 v[82:83], -v[74:75], 1.0
	s_delay_alu instid0(VALU_DEP_1) | instskip(NEXT) | instid1(VALU_DEP_1)
	v_add_f64_e64 v[86:87], -v[82:83], 1.0
	v_add_f64_e64 v[74:75], v[86:87], -v[74:75]
	v_fmamk_f64 v[86:87], v[88:89], 0x3e5ade156a5dcb37, v[32:33]
	s_delay_alu instid0(VALU_DEP_1) | instskip(NEXT) | instid1(VALU_DEP_1)
	v_fmaak_f64 v[86:87], v[88:89], v[86:87], 0x3ec71dee623fde64
	v_fmaak_f64 v[86:87], v[88:89], v[86:87], 0x3efa01997c89e6b0
	s_delay_alu instid0(VALU_DEP_1) | instskip(SKIP_2) | instid1(VALU_DEP_3)
	v_fmaak_f64 v[70:71], v[88:89], v[86:87], 0x3f2a01a014761f6e
	v_fma_f64 v[86:87], v[68:69], v[90:91], -v[62:63]
	v_fmamk_f64 v[90:91], v[68:69], 0xbda907db46cc5e42, v[46:47]
	v_fmaak_f64 v[66:67], v[88:89], v[70:71], 0x3f56c16c1852b7b0
	s_delay_alu instid0(VALU_DEP_2) | instskip(SKIP_1) | instid1(VALU_DEP_3)
	v_fmaak_f64 v[70:71], v[68:69], v[90:91], 0xbe927e4fa17f65f6
	v_fma_f64 v[62:63], v[60:61], -v[62:63], v[74:75]
	v_fmaak_f64 v[66:67], v[88:89], v[66:67], 0x3f81111111122322
	s_delay_alu instid0(VALU_DEP_3) | instskip(NEXT) | instid1(VALU_DEP_2)
	v_fmaak_f64 v[70:71], v[68:69], v[70:71], 0x3efa01a019f4ec90
	v_fmaak_f64 v[66:67], v[88:89], v[66:67], 0x3fa55555555502a1
	s_delay_alu instid0(VALU_DEP_2) | instskip(NEXT) | instid1(VALU_DEP_2)
	v_fmaak_f64 v[70:71], v[68:69], v[70:71], 0xbf56c16c16c16967
	v_fmaak_f64 v[66:67], v[88:89], v[66:67], 0x3fc5555555555511
	v_fmac_f64_e32 v[86:87], 0xbfc5555555555555, v[92:93]
	s_delay_alu instid0(VALU_DEP_2) | instskip(NEXT) | instid1(VALU_DEP_1)
	v_fmaak_f64 v[66:67], v[88:89], v[66:67], 0x3fe000000000000b
	v_fma_f64 v[66:67], v[88:89], v[66:67], 1.0
	s_delay_alu instid0(VALU_DEP_3) | instskip(NEXT) | instid1(VALU_DEP_2)
	v_add_f64_e64 v[60:61], v[60:61], -v[86:87]
	v_fma_f64 v[18:19], v[88:89], v[66:67], 1.0
	s_delay_alu instid0(VALU_DEP_2) | instskip(NEXT) | instid1(VALU_DEP_2)
	v_xor_b32_e32 v59, 0x80000000, v61
	v_ldexp_f64 v[18:19], v[18:19], v25
	v_mul_f64_e32 v[94:95], v[68:69], v[68:69]
	v_fmaak_f64 v[68:69], v[68:69], v[70:71], 0x3fa5555555555555
	v_bfi_b32 v25, 0x7fffffff, s33, v13
	s_delay_alu instid0(VALU_DEP_2) | instskip(NEXT) | instid1(VALU_DEP_1)
	v_fmac_f64_e32 v[62:63], v[94:95], v[68:69]
	v_add_f64_e32 v[62:63], v[82:83], v[62:63]
	s_delay_alu instid0(VALU_DEP_1) | instskip(NEXT) | instid1(VALU_DEP_2)
	v_dual_cndmask_b32 v12, v59, v63 :: v_dual_lshlrev_b32 v59, 30, v64
	v_cndmask_b32_e32 v58, v60, v62, vcc_lo
	v_cmp_nlt_f64_e64 vcc_lo, 0x4090cc00, |v[20:21]|
	s_delay_alu instid0(VALU_DEP_3) | instskip(SKIP_1) | instid1(VALU_DEP_2)
	v_bitop3_b32 v59, v12, v59, 0x80000000 bitop3:0x78
	v_mov_b64_e32 v[12:13], v[24:25]
	v_mul_f64_e32 v[10:11], v[10:11], v[58:59]
	v_dual_cndmask_b32 v19, 0, v19 :: v_dual_cndmask_b32 v18, 0, v18
	s_delay_alu instid0(VALU_DEP_1) | instskip(NEXT) | instid1(VALU_DEP_1)
	v_mul_f64_e32 v[10:11], v[18:19], v[10:11]
	v_mul_f64_e32 v[10:11], v[18:19], v[10:11]
.LBB99_68:                              ;   in Loop: Header=BB99_4 Depth=1
	s_or_b32 exec_lo, exec_lo, s6
                                        ; implicit-def: $vgpr18_vgpr19
.LBB99_69:                              ;   in Loop: Header=BB99_4 Depth=1
	s_and_not1_saveexec_b32 s6, s36
	s_cbranch_execz .LBB99_71
; %bb.70:                               ;   in Loop: Header=BB99_4 Depth=1
	v_add_f64_e64 v[10:11], v[18:19], -v[18:19]
	s_delay_alu instid0(VALU_DEP_1)
	v_mov_b64_e32 v[12:13], v[10:11]
.LBB99_71:                              ;   in Loop: Header=BB99_4 Depth=1
	s_or_b32 exec_lo, exec_lo, s6
                                        ; implicit-def: $vgpr18_vgpr19
.LBB99_72:                              ;   in Loop: Header=BB99_4 Depth=1
	s_and_not1_saveexec_b32 s36, s7
	s_cbranch_execz .LBB99_88
; %bb.73:                               ;   in Loop: Header=BB99_4 Depth=1
	s_delay_alu instid0(VALU_DEP_1) | instskip(SKIP_1) | instid1(VALU_DEP_1)
	v_and_or_b32 v10, 0xfffff, v13, v12
	s_mov_b32 s6, exec_lo
	v_cmpx_ne_u32_e32 0, v10
	s_xor_b32 s6, exec_lo, s6
	s_cbranch_execz .LBB99_75
; %bb.74:                               ;   in Loop: Header=BB99_4 Depth=1
	v_mul_f64_e64 v[10:11], v[18:19], -v[20:21]
	v_cmp_eq_f64_e32 vcc_lo, 0, v[18:19]
	s_delay_alu instid0(VALU_DEP_2)
	v_dual_cndmask_b32 v11, v11, v19 :: v_dual_cndmask_b32 v10, v10, v18
                                        ; implicit-def: $vgpr18_vgpr19
.LBB99_75:                              ;   in Loop: Header=BB99_4 Depth=1
	s_and_not1_saveexec_b32 s37, s6
	s_cbranch_execz .LBB99_87
; %bb.76:                               ;   in Loop: Header=BB99_4 Depth=1
	s_mov_b32 s38, exec_lo
	v_cmpx_neq_f64_e64 0x7ff00000, |v[18:19]|
	s_cbranch_execz .LBB99_86
; %bb.77:                               ;   in Loop: Header=BB99_4 Depth=1
	v_cmp_ngt_f64_e64 s6, 0x41d00000, |v[18:19]|
	v_trig_preop_f64 v[62:63], |v[18:19]|, 0
	v_trig_preop_f64 v[60:61], |v[18:19]|, 1
	v_ldexp_f64 v[64:65], |v[18:19]|, 0xffffff80
	v_trig_preop_f64 v[58:59], |v[18:19]|, 2
	v_and_b32_e32 v73, 0x7fffffff, v19
                                        ; implicit-def: $vgpr72
                                        ; implicit-def: $vgpr10_vgpr11
                                        ; implicit-def: $vgpr20_vgpr21
	s_and_saveexec_b32 s7, s6
	s_delay_alu instid0(SALU_CYCLE_1)
	s_xor_b32 s7, exec_lo, s7
	s_cbranch_execz .LBB99_79
; %bb.78:                               ;   in Loop: Header=BB99_4 Depth=1
	v_cmp_le_f64_e64 vcc_lo, 0x7b000000, |v[18:19]|
	s_delay_alu instid0(VALU_DEP_4) | instskip(NEXT) | instid1(VALU_DEP_1)
	v_dual_cndmask_b32 v11, v73, v65 :: v_dual_cndmask_b32 v10, v18, v64
	v_mul_f64_e32 v[20:21], v[62:63], v[10:11]
	v_mul_f64_e32 v[66:67], v[60:61], v[10:11]
	;; [unrolled: 1-line block ×3, first 2 shown]
	s_delay_alu instid0(VALU_DEP_3) | instskip(NEXT) | instid1(VALU_DEP_3)
	v_fma_f64 v[68:69], v[62:63], v[10:11], -v[20:21]
	v_fma_f64 v[82:83], v[60:61], v[10:11], -v[66:67]
	s_delay_alu instid0(VALU_DEP_3) | instskip(NEXT) | instid1(VALU_DEP_3)
	v_fma_f64 v[10:11], v[58:59], v[10:11], -v[80:81]
	v_add_f64_e32 v[70:71], v[66:67], v[68:69]
	s_delay_alu instid0(VALU_DEP_1) | instskip(SKIP_1) | instid1(VALU_DEP_2)
	v_add_f64_e64 v[74:75], v[70:71], -v[66:67]
	v_add_f64_e32 v[78:79], v[20:21], v[70:71]
	v_add_f64_e64 v[76:77], v[70:71], -v[74:75]
	v_add_f64_e64 v[68:69], v[68:69], -v[74:75]
	s_delay_alu instid0(VALU_DEP_3) | instskip(NEXT) | instid1(VALU_DEP_3)
	v_ldexp_f64 v[74:75], v[78:79], -2
	v_add_f64_e64 v[66:67], v[66:67], -v[76:77]
	v_add_f64_e32 v[76:77], v[80:81], v[82:83]
	s_delay_alu instid0(VALU_DEP_3) | instskip(NEXT) | instid1(VALU_DEP_3)
	v_cmp_neq_f64_e64 vcc_lo, 0x7ff00000, |v[74:75]|
	v_add_f64_e32 v[66:67], v[68:69], v[66:67]
	v_fract_f64_e32 v[68:69], v[74:75]
	s_delay_alu instid0(VALU_DEP_1) | instskip(NEXT) | instid1(VALU_DEP_1)
	v_ldexp_f64 v[68:69], v[68:69], 2
	v_cndmask_b32_e32 v69, 0, v69, vcc_lo
	v_add_f64_e64 v[20:21], v[78:79], -v[20:21]
	s_delay_alu instid0(VALU_DEP_3) | instskip(NEXT) | instid1(VALU_DEP_2)
	v_cndmask_b32_e32 v68, 0, v68, vcc_lo
	v_add_f64_e64 v[20:21], v[70:71], -v[20:21]
	v_add_f64_e32 v[70:71], v[76:77], v[66:67]
	s_delay_alu instid0(VALU_DEP_1) | instskip(SKIP_1) | instid1(VALU_DEP_2)
	v_add_f64_e32 v[74:75], v[20:21], v[70:71]
	v_add_f64_e64 v[84:85], v[70:71], -v[76:77]
	v_add_f64_e32 v[78:79], v[74:75], v[68:69]
	s_delay_alu instid0(VALU_DEP_2) | instskip(SKIP_2) | instid1(VALU_DEP_4)
	v_add_f64_e64 v[90:91], v[70:71], -v[84:85]
	v_add_f64_e64 v[66:67], v[66:67], -v[84:85]
	;; [unrolled: 1-line block ×3, first 2 shown]
	v_cmp_gt_f64_e32 vcc_lo, 0, v[78:79]
	v_add_f64_e64 v[78:79], v[76:77], -v[80:81]
	s_delay_alu instid0(VALU_DEP_3) | instskip(SKIP_1) | instid1(VALU_DEP_3)
	v_add_f64_e64 v[20:21], v[70:71], -v[20:21]
	v_cndmask_b32_e64 v25, 0, 0x40100000, vcc_lo
	v_add_f64_e64 v[88:89], v[76:77], -v[78:79]
	v_add_f64_e64 v[78:79], v[82:83], -v[78:79]
	;; [unrolled: 1-line block ×3, first 2 shown]
	s_delay_alu instid0(VALU_DEP_4) | instskip(NEXT) | instid1(VALU_DEP_4)
	v_add_f64_e32 v[68:69], v[68:69], v[24:25]
	v_add_f64_e64 v[82:83], v[80:81], -v[88:89]
	s_delay_alu instid0(VALU_DEP_3) | instskip(NEXT) | instid1(VALU_DEP_3)
	v_add_f64_e32 v[66:67], v[66:67], v[76:77]
	v_add_f64_e32 v[86:87], v[74:75], v[68:69]
	s_delay_alu instid0(VALU_DEP_3) | instskip(NEXT) | instid1(VALU_DEP_2)
	v_add_f64_e32 v[78:79], v[78:79], v[82:83]
	v_cvt_i32_f64_e32 v25, v[86:87]
	s_delay_alu instid0(VALU_DEP_2) | instskip(NEXT) | instid1(VALU_DEP_2)
	v_add_f64_e32 v[66:67], v[78:79], v[66:67]
	v_cvt_f64_i32_e32 v[84:85], v25
	s_delay_alu instid0(VALU_DEP_2) | instskip(NEXT) | instid1(VALU_DEP_2)
	v_add_f64_e32 v[10:11], v[10:11], v[66:67]
	v_add_f64_e64 v[68:69], v[68:69], -v[84:85]
	s_delay_alu instid0(VALU_DEP_2) | instskip(NEXT) | instid1(VALU_DEP_2)
	v_add_f64_e32 v[10:11], v[20:21], v[10:11]
	v_add_f64_e32 v[76:77], v[74:75], v[68:69]
	s_delay_alu instid0(VALU_DEP_1) | instskip(SKIP_1) | instid1(VALU_DEP_2)
	v_add_f64_e64 v[66:67], v[76:77], -v[68:69]
	v_cmp_le_f64_e32 vcc_lo, 0.5, v[76:77]
	v_add_f64_e64 v[20:21], v[74:75], -v[66:67]
	v_add_co_ci_u32_e64 v72, null, 0, v25, vcc_lo
	v_cndmask_b32_e64 v25, 0, 0x3ff00000, vcc_lo
	s_delay_alu instid0(VALU_DEP_3) | instskip(NEXT) | instid1(VALU_DEP_2)
	v_add_f64_e32 v[10:11], v[10:11], v[20:21]
	v_add_f64_e64 v[20:21], v[76:77], -v[24:25]
	s_delay_alu instid0(VALU_DEP_1) | instskip(NEXT) | instid1(VALU_DEP_1)
	v_add_f64_e32 v[66:67], v[20:21], v[10:11]
	v_mul_f64_e32 v[68:69], 0x3ff921fb54442d18, v[66:67]
	v_add_f64_e64 v[20:21], v[66:67], -v[20:21]
	s_delay_alu instid0(VALU_DEP_2) | instskip(NEXT) | instid1(VALU_DEP_2)
	v_fma_f64 v[70:71], v[66:67], s[16:17], -v[68:69]
	v_add_f64_e64 v[10:11], v[10:11], -v[20:21]
	s_delay_alu instid0(VALU_DEP_2) | instskip(NEXT) | instid1(VALU_DEP_1)
	v_fmac_f64_e32 v[70:71], 0x3c91a62633145c07, v[66:67]
	v_fmac_f64_e32 v[70:71], 0x3ff921fb54442d18, v[10:11]
	s_delay_alu instid0(VALU_DEP_1) | instskip(NEXT) | instid1(VALU_DEP_1)
	v_add_f64_e32 v[10:11], v[68:69], v[70:71]
	v_add_f64_e64 v[20:21], v[10:11], -v[68:69]
	s_delay_alu instid0(VALU_DEP_1)
	v_add_f64_e64 v[20:21], v[70:71], -v[20:21]
.LBB99_79:                              ;   in Loop: Header=BB99_4 Depth=1
	s_or_saveexec_b32 s7, s7
	v_mul_f64_e64 v[66:67], |v[18:19]|, s[18:19]
	s_delay_alu instid0(VALU_DEP_1)
	v_rndne_f64_e32 v[70:71], v[66:67]
	s_xor_b32 exec_lo, exec_lo, s7
	s_cbranch_execz .LBB99_81
; %bb.80:                               ;   in Loop: Header=BB99_4 Depth=1
	s_delay_alu instid0(VALU_DEP_1) | instskip(SKIP_2) | instid1(VALU_DEP_3)
	v_fma_f64 v[10:11], v[70:71], s[20:21], |v[18:19]|
	v_mul_f64_e32 v[20:21], 0xbc91a62633145c00, v[70:71]
	v_cvt_i32_f64_e32 v72, v[70:71]
	v_fmamk_f64 v[74:75], v[70:71], 0xbc91a62633145c00, v[10:11]
	s_delay_alu instid0(VALU_DEP_3) | instskip(NEXT) | instid1(VALU_DEP_1)
	v_add_f64_e32 v[66:67], v[10:11], v[20:21]
	v_add_f64_e64 v[68:69], v[10:11], -v[66:67]
	s_delay_alu instid0(VALU_DEP_3) | instskip(NEXT) | instid1(VALU_DEP_2)
	v_add_f64_e64 v[10:11], v[66:67], -v[74:75]
	v_add_f64_e32 v[66:67], v[68:69], v[20:21]
	v_fmamk_f64 v[20:21], v[70:71], 0x3c91a62633145c00, v[20:21]
	s_delay_alu instid0(VALU_DEP_2) | instskip(NEXT) | instid1(VALU_DEP_1)
	v_add_f64_e32 v[10:11], v[10:11], v[66:67]
	v_add_f64_e64 v[20:21], v[10:11], -v[20:21]
	s_delay_alu instid0(VALU_DEP_1) | instskip(NEXT) | instid1(VALU_DEP_1)
	v_fmac_f64_e32 v[20:21], 0xb97b839a252049c0, v[70:71]
	v_add_f64_e32 v[10:11], v[74:75], v[20:21]
	s_delay_alu instid0(VALU_DEP_1) | instskip(NEXT) | instid1(VALU_DEP_1)
	v_add_f64_e64 v[66:67], v[10:11], -v[74:75]
	v_add_f64_e64 v[20:21], v[20:21], -v[66:67]
.LBB99_81:                              ;   in Loop: Header=BB99_4 Depth=1
	s_or_b32 exec_lo, exec_lo, s7
                                        ; implicit-def: $vgpr74
                                        ; implicit-def: $vgpr66_vgpr67
                                        ; implicit-def: $vgpr68_vgpr69
	s_and_saveexec_b32 s7, s6
	s_delay_alu instid0(SALU_CYCLE_1)
	s_xor_b32 s6, exec_lo, s7
	s_cbranch_execz .LBB99_83
; %bb.82:                               ;   in Loop: Header=BB99_4 Depth=1
	v_cmp_le_f64_e64 vcc_lo, 0x7b000000, |v[18:19]|
	v_dual_cndmask_b32 v65, v73, v65 :: v_dual_cndmask_b32 v64, v18, v64
	s_delay_alu instid0(VALU_DEP_1) | instskip(SKIP_2) | instid1(VALU_DEP_3)
	v_mul_f64_e32 v[66:67], v[62:63], v[64:65]
	v_mul_f64_e32 v[68:69], v[60:61], v[64:65]
	;; [unrolled: 1-line block ×3, first 2 shown]
	v_fma_f64 v[62:63], v[62:63], v[64:65], -v[66:67]
	s_delay_alu instid0(VALU_DEP_3) | instskip(NEXT) | instid1(VALU_DEP_3)
	v_fma_f64 v[60:61], v[60:61], v[64:65], -v[68:69]
	v_fma_f64 v[58:59], v[58:59], v[64:65], -v[80:81]
	s_delay_alu instid0(VALU_DEP_3) | instskip(NEXT) | instid1(VALU_DEP_1)
	v_add_f64_e32 v[70:71], v[68:69], v[62:63]
	v_add_f64_e64 v[74:75], v[70:71], -v[68:69]
	v_add_f64_e32 v[78:79], v[66:67], v[70:71]
	s_delay_alu instid0(VALU_DEP_2) | instskip(SKIP_1) | instid1(VALU_DEP_3)
	v_add_f64_e64 v[76:77], v[70:71], -v[74:75]
	v_add_f64_e64 v[62:63], v[62:63], -v[74:75]
	v_ldexp_f64 v[74:75], v[78:79], -2
	v_add_f64_e64 v[66:67], v[78:79], -v[66:67]
	s_delay_alu instid0(VALU_DEP_4) | instskip(SKIP_1) | instid1(VALU_DEP_4)
	v_add_f64_e64 v[68:69], v[68:69], -v[76:77]
	v_add_f64_e32 v[76:77], v[80:81], v[60:61]
	v_cmp_neq_f64_e64 vcc_lo, 0x7ff00000, |v[74:75]|
	s_delay_alu instid0(VALU_DEP_3) | instskip(SKIP_1) | instid1(VALU_DEP_1)
	v_add_f64_e32 v[62:63], v[62:63], v[68:69]
	v_fract_f64_e32 v[68:69], v[74:75]
	v_ldexp_f64 v[68:69], v[68:69], 2
	s_delay_alu instid0(VALU_DEP_1) | instskip(NEXT) | instid1(VALU_DEP_2)
	v_dual_add_f64 v[66:67], v[70:71], -v[66:67] :: v_dual_cndmask_b32 v69, 0, v69, vcc_lo
	v_dual_add_f64 v[70:71], v[76:77], v[62:63] :: v_dual_cndmask_b32 v68, 0, v68, vcc_lo
	s_delay_alu instid0(VALU_DEP_1) | instskip(SKIP_1) | instid1(VALU_DEP_2)
	v_add_f64_e32 v[74:75], v[66:67], v[70:71]
	v_add_f64_e64 v[82:83], v[70:71], -v[76:77]
	v_add_f64_e32 v[78:79], v[74:75], v[68:69]
	s_delay_alu instid0(VALU_DEP_2) | instskip(SKIP_2) | instid1(VALU_DEP_4)
	v_add_f64_e64 v[88:89], v[70:71], -v[82:83]
	v_add_f64_e64 v[62:63], v[62:63], -v[82:83]
	;; [unrolled: 1-line block ×3, first 2 shown]
	v_cmp_gt_f64_e32 vcc_lo, 0, v[78:79]
	v_add_f64_e64 v[78:79], v[76:77], -v[80:81]
	s_delay_alu instid0(VALU_DEP_3) | instskip(SKIP_1) | instid1(VALU_DEP_3)
	v_add_f64_e64 v[64:65], v[70:71], -v[64:65]
                                        ; implicit-def: $vgpr70_vgpr71
	v_cndmask_b32_e64 v25, 0, 0x40100000, vcc_lo
	v_add_f64_e64 v[86:87], v[76:77], -v[78:79]
	v_add_f64_e64 v[60:61], v[60:61], -v[78:79]
	v_add_f64_e64 v[76:77], v[76:77], -v[88:89]
	s_delay_alu instid0(VALU_DEP_4) | instskip(NEXT) | instid1(VALU_DEP_4)
	v_add_f64_e32 v[68:69], v[68:69], v[24:25]
	v_add_f64_e64 v[78:79], v[80:81], -v[86:87]
	s_delay_alu instid0(VALU_DEP_3) | instskip(NEXT) | instid1(VALU_DEP_3)
	v_add_f64_e32 v[62:63], v[62:63], v[76:77]
	v_add_f64_e32 v[84:85], v[74:75], v[68:69]
	s_delay_alu instid0(VALU_DEP_3) | instskip(NEXT) | instid1(VALU_DEP_2)
	v_add_f64_e32 v[60:61], v[60:61], v[78:79]
	v_cvt_i32_f64_e32 v25, v[84:85]
	s_delay_alu instid0(VALU_DEP_2) | instskip(NEXT) | instid1(VALU_DEP_2)
	v_add_f64_e32 v[60:61], v[60:61], v[62:63]
	v_cvt_f64_i32_e32 v[82:83], v25
	s_delay_alu instid0(VALU_DEP_2) | instskip(NEXT) | instid1(VALU_DEP_2)
	v_add_f64_e32 v[58:59], v[58:59], v[60:61]
	v_add_f64_e64 v[68:69], v[68:69], -v[82:83]
	s_delay_alu instid0(VALU_DEP_2) | instskip(NEXT) | instid1(VALU_DEP_2)
	v_add_f64_e32 v[58:59], v[64:65], v[58:59]
	v_add_f64_e32 v[62:63], v[74:75], v[68:69]
	s_delay_alu instid0(VALU_DEP_1) | instskip(SKIP_1) | instid1(VALU_DEP_2)
	v_add_f64_e64 v[60:61], v[62:63], -v[68:69]
	v_cmp_le_f64_e32 vcc_lo, 0.5, v[62:63]
	v_add_f64_e64 v[60:61], v[74:75], -v[60:61]
	v_add_co_ci_u32_e64 v74, null, 0, v25, vcc_lo
	v_cndmask_b32_e64 v25, 0, 0x3ff00000, vcc_lo
	s_delay_alu instid0(VALU_DEP_3) | instskip(NEXT) | instid1(VALU_DEP_2)
	v_add_f64_e32 v[58:59], v[58:59], v[60:61]
	v_add_f64_e64 v[60:61], v[62:63], -v[24:25]
	s_delay_alu instid0(VALU_DEP_1) | instskip(NEXT) | instid1(VALU_DEP_1)
	v_add_f64_e32 v[62:63], v[60:61], v[58:59]
	v_mul_f64_e32 v[64:65], 0x3ff921fb54442d18, v[62:63]
	v_add_f64_e64 v[60:61], v[62:63], -v[60:61]
	s_delay_alu instid0(VALU_DEP_2) | instskip(NEXT) | instid1(VALU_DEP_2)
	v_fma_f64 v[68:69], v[62:63], s[16:17], -v[64:65]
	v_add_f64_e64 v[58:59], v[58:59], -v[60:61]
	s_delay_alu instid0(VALU_DEP_2) | instskip(NEXT) | instid1(VALU_DEP_1)
	v_fmac_f64_e32 v[68:69], 0x3c91a62633145c07, v[62:63]
	v_fmac_f64_e32 v[68:69], 0x3ff921fb54442d18, v[58:59]
	s_delay_alu instid0(VALU_DEP_1) | instskip(NEXT) | instid1(VALU_DEP_1)
	v_add_f64_e32 v[66:67], v[64:65], v[68:69]
	v_add_f64_e64 v[58:59], v[66:67], -v[64:65]
	s_delay_alu instid0(VALU_DEP_1)
	v_add_f64_e64 v[68:69], v[68:69], -v[58:59]
	s_and_not1_saveexec_b32 s6, s6
	s_cbranch_execnz .LBB99_84
	s_branch .LBB99_85
.LBB99_83:                              ;   in Loop: Header=BB99_4 Depth=1
	s_and_not1_saveexec_b32 s6, s6
	s_cbranch_execz .LBB99_85
.LBB99_84:                              ;   in Loop: Header=BB99_4 Depth=1
	s_delay_alu instid0(VALU_DEP_1) | instskip(SKIP_2) | instid1(VALU_DEP_2)
	v_fma_f64 v[58:59], v[70:71], s[20:21], |v[18:19]|
	v_mul_f64_e32 v[60:61], 0xbc91a62633145c00, v[70:71]
	v_cvt_i32_f64_e32 v74, v[70:71]
	v_add_f64_e32 v[62:63], v[58:59], v[60:61]
	s_delay_alu instid0(VALU_DEP_1) | instskip(SKIP_1) | instid1(VALU_DEP_1)
	v_add_f64_e64 v[64:65], v[58:59], -v[62:63]
	v_fmamk_f64 v[58:59], v[70:71], 0xbc91a62633145c00, v[58:59]
	v_add_f64_e64 v[62:63], v[62:63], -v[58:59]
	s_delay_alu instid0(VALU_DEP_3) | instskip(SKIP_1) | instid1(VALU_DEP_2)
	v_add_f64_e32 v[64:65], v[64:65], v[60:61]
	v_fmamk_f64 v[60:61], v[70:71], 0x3c91a62633145c00, v[60:61]
	v_add_f64_e32 v[62:63], v[62:63], v[64:65]
	s_delay_alu instid0(VALU_DEP_1) | instskip(NEXT) | instid1(VALU_DEP_1)
	v_add_f64_e64 v[60:61], v[62:63], -v[60:61]
	v_fmac_f64_e32 v[60:61], 0xb97b839a252049c0, v[70:71]
	s_delay_alu instid0(VALU_DEP_1) | instskip(NEXT) | instid1(VALU_DEP_1)
	v_add_f64_e32 v[66:67], v[58:59], v[60:61]
	v_add_f64_e64 v[58:59], v[66:67], -v[58:59]
	s_delay_alu instid0(VALU_DEP_1)
	v_add_f64_e64 v[68:69], v[60:61], -v[58:59]
.LBB99_85:                              ;   in Loop: Header=BB99_4 Depth=1
	s_or_b32 exec_lo, exec_lo, s6
	v_dual_mul_f64 v[58:59], v[10:11], v[10:11] :: v_dual_bitop2_b32 v25, 1, v72 bitop3:0x40
	s_delay_alu instid0(VALU_DEP_2)
	v_mul_f64_e32 v[86:87], 0.5, v[68:69]
	v_cmp_class_f64_e64 s6, v[18:19], 0x1f8
	v_and_b32_e32 v18, 1, v74
	v_mul_f64_e32 v[60:61], v[66:67], v[66:67]
	v_cmp_eq_u32_e32 vcc_lo, 0, v25
	v_mul_f64_e32 v[78:79], 0.5, v[20:21]
	s_delay_alu instid0(VALU_DEP_4)
	v_cmp_eq_u32_e64 s7, 0, v18
	v_lshlrev_b32_e32 v18, 30, v74
	v_mul_f64_e32 v[62:63], 0.5, v[58:59]
	v_mul_f64_e64 v[80:81], v[10:11], -v[58:59]
	v_fmamk_f64 v[84:85], v[58:59], 0x3de5e0b2f9a43bb8, v[48:49]
	v_mul_f64_e64 v[88:89], v[66:67], -v[60:61]
	v_fmamk_f64 v[90:91], v[60:61], 0x3de5e0b2f9a43bb8, v[48:49]
	s_delay_alu instid0(VALU_DEP_3) | instskip(NEXT) | instid1(VALU_DEP_2)
	v_fmaak_f64 v[84:85], v[58:59], v[84:85], 0x3ec71de3796cde01
	v_fmaak_f64 v[90:91], v[60:61], v[90:91], 0x3ec71de3796cde01
	s_delay_alu instid0(VALU_DEP_2) | instskip(NEXT) | instid1(VALU_DEP_1)
	v_fmaak_f64 v[84:85], v[58:59], v[84:85], 0xbf2a01a019e83e5c
	v_fmaak_f64 v[84:85], v[58:59], v[84:85], 0x3f81111111110bb3
	v_add_f64_e64 v[70:71], -v[62:63], 1.0
	s_delay_alu instid0(VALU_DEP_2) | instskip(SKIP_1) | instid1(VALU_DEP_3)
	v_fmac_f64_e32 v[78:79], v[80:81], v[84:85]
	v_mul_f64_e32 v[84:85], v[58:59], v[58:59]
	v_add_f64_e64 v[82:83], -v[70:71], 1.0
	s_delay_alu instid0(VALU_DEP_3) | instskip(NEXT) | instid1(VALU_DEP_2)
	v_fma_f64 v[78:79], v[58:59], v[78:79], -v[20:21]
	v_add_f64_e64 v[62:63], v[82:83], -v[62:63]
	v_fmaak_f64 v[82:83], v[60:61], v[90:91], 0xbf2a01a019e83e5c
	s_delay_alu instid0(VALU_DEP_3) | instskip(NEXT) | instid1(VALU_DEP_2)
	v_fmac_f64_e32 v[78:79], 0xbfc5555555555555, v[80:81]
	v_fmaak_f64 v[82:83], v[60:61], v[82:83], 0x3f81111111110bb3
	s_delay_alu instid0(VALU_DEP_1) | instskip(SKIP_2) | instid1(VALU_DEP_2)
	v_fmac_f64_e32 v[86:87], v[88:89], v[82:83]
	v_fmamk_f64 v[82:83], v[58:59], 0xbda907db46cc5e42, v[46:47]
	v_fma_f64 v[20:21], v[10:11], -v[20:21], v[62:63]
	v_fmaak_f64 v[62:63], v[58:59], v[82:83], 0xbe927e4fa17f65f6
	v_add_f64_e64 v[10:11], v[10:11], -v[78:79]
	s_delay_alu instid0(VALU_DEP_2) | instskip(NEXT) | instid1(VALU_DEP_1)
	v_fmaak_f64 v[62:63], v[58:59], v[62:63], 0x3efa01a019f4ec90
	v_fmaak_f64 v[62:63], v[58:59], v[62:63], 0xbf56c16c16c16967
	s_delay_alu instid0(VALU_DEP_1) | instskip(NEXT) | instid1(VALU_DEP_1)
	v_fmaak_f64 v[58:59], v[58:59], v[62:63], 0x3fa5555555555555
	v_fmac_f64_e32 v[20:21], v[84:85], v[58:59]
	s_delay_alu instid0(VALU_DEP_1) | instskip(NEXT) | instid1(VALU_DEP_1)
	v_add_f64_e32 v[20:21], v[70:71], v[20:21]
	v_dual_cndmask_b32 v10, v20, v10, vcc_lo :: v_dual_lshlrev_b32 v20, 30, v72
	v_mul_f64_e32 v[64:65], 0.5, v[60:61]
	v_fma_f64 v[82:83], v[60:61], v[86:87], -v[68:69]
	v_fmamk_f64 v[86:87], v[60:61], 0xbda907db46cc5e42, v[46:47]
	v_mul_f64_e32 v[90:91], v[60:61], v[60:61]
	v_dual_cndmask_b32 v10, 0, v10, s6 :: v_dual_bitop2_b32 v19, v20, v19 bitop3:0x14
	v_cndmask_b32_e32 v11, v21, v11, vcc_lo
	s_delay_alu instid0(VALU_DEP_4) | instskip(NEXT) | instid1(VALU_DEP_2)
	v_fmaak_f64 v[62:63], v[60:61], v[86:87], 0xbe927e4fa17f65f6
	v_bitop3_b32 v11, v11, v19, 0x80000000 bitop3:0x78
	s_delay_alu instid0(VALU_DEP_2) | instskip(NEXT) | instid1(VALU_DEP_2)
	v_fmaak_f64 v[58:59], v[60:61], v[62:63], 0x3efa01a019f4ec90
	v_cndmask_b32_e64 v11, 0x7ff80000, v11, s6
	s_delay_alu instid0(VALU_DEP_2) | instskip(NEXT) | instid1(VALU_DEP_1)
	v_fmaak_f64 v[58:59], v[60:61], v[58:59], 0xbf56c16c16c16967
	v_fmaak_f64 v[58:59], v[60:61], v[58:59], 0x3fa5555555555555
	v_add_f64_e64 v[76:77], -v[64:65], 1.0
	v_fmac_f64_e32 v[82:83], 0xbfc5555555555555, v[88:89]
	s_delay_alu instid0(VALU_DEP_2) | instskip(NEXT) | instid1(VALU_DEP_1)
	v_add_f64_e64 v[92:93], -v[76:77], 1.0
	v_add_f64_e64 v[64:65], v[92:93], -v[64:65]
	s_delay_alu instid0(VALU_DEP_1) | instskip(NEXT) | instid1(VALU_DEP_1)
	v_fma_f64 v[64:65], v[66:67], -v[68:69], v[64:65]
	v_fmac_f64_e32 v[64:65], v[90:91], v[58:59]
	v_add_f64_e64 v[58:59], v[66:67], -v[82:83]
	s_delay_alu instid0(VALU_DEP_2) | instskip(NEXT) | instid1(VALU_DEP_2)
	v_add_f64_e32 v[60:61], v[76:77], v[64:65]
	v_xor_b32_e32 v25, 0x80000000, v59
	s_delay_alu instid0(VALU_DEP_1) | instskip(NEXT) | instid1(VALU_DEP_1)
	v_dual_cndmask_b32 v21, v25, v61, s7 :: v_dual_cndmask_b32 v20, v58, v60, s7
	v_bitop3_b32 v19, v21, v18, 0x80000000 bitop3:0x78
	s_delay_alu instid0(VALU_DEP_2) | instskip(NEXT) | instid1(VALU_DEP_2)
	v_cndmask_b32_e64 v18, 0, v20, s6
	v_cndmask_b32_e64 v19, 0x7ff80000, v19, s6
	s_delay_alu instid0(VALU_DEP_1)
	v_mul_f64_e32 v[18:19], v[10:11], v[18:19]
.LBB99_86:                              ;   in Loop: Header=BB99_4 Depth=1
	s_or_b32 exec_lo, exec_lo, s38
	s_delay_alu instid0(VALU_DEP_1) | instskip(SKIP_1) | instid1(VALU_DEP_2)
	v_bfi_b32 v25, 0x7fffffff, 0, v19
	v_add_nc_u32_e32 v13, -2.0, v13
	v_mov_b64_e32 v[10:11], v[24:25]
.LBB99_87:                              ;   in Loop: Header=BB99_4 Depth=1
	s_or_b32 exec_lo, exec_lo, s37
.LBB99_88:                              ;   in Loop: Header=BB99_4 Depth=1
	s_delay_alu instid0(SALU_CYCLE_1) | instskip(SKIP_3) | instid1(VALU_DEP_2)
	s_or_b32 exec_lo, exec_lo, s36
	v_xor_b32_e32 v21, 0x80000000, v17
	v_mov_b32_e32 v20, v16
	s_mov_b32 s6, exec_lo
	v_and_b32_e32 v18, 0x7fffffff, v21
	s_delay_alu instid0(VALU_DEP_1)
	v_cmpx_gt_u32_e32 0x7ff00000, v18
	s_xor_b32 s7, exec_lo, s6
	s_cbranch_execz .LBB99_110
; %bb.89:                               ;   in Loop: Header=BB99_4 Depth=1
	v_cmp_class_f64_e64 s6, v[14:15], 0x1f8
	s_and_saveexec_b32 s36, s6
	s_delay_alu instid0(SALU_CYCLE_1)
	s_xor_b32 s36, exec_lo, s36
	s_cbranch_execz .LBB99_107
; %bb.90:                               ;   in Loop: Header=BB99_4 Depth=1
	s_mov_b32 s6, exec_lo
	v_cmpx_gt_u32_e32 0x40360000, v18
	s_xor_b32 s37, exec_lo, s6
	s_cbranch_execz .LBB99_96
; %bb.91:                               ;   in Loop: Header=BB99_4 Depth=1
	v_cmp_ngt_f64_e64 s6, 0x41d00000, |v[14:15]|
                                        ; implicit-def: $vgpr20
                                        ; implicit-def: $vgpr18_vgpr19
                                        ; implicit-def: $vgpr58_vgpr59
	s_and_saveexec_b32 s38, s6
	s_delay_alu instid0(SALU_CYCLE_1)
	s_xor_b32 s6, exec_lo, s38
	s_cbranch_execz .LBB99_93
; %bb.92:                               ;   in Loop: Header=BB99_4 Depth=1
	v_ldexp_f64 v[18:19], |v[14:15]|, 0xffffff80
	v_cmp_le_f64_e64 vcc_lo, 0x7b000000, |v[14:15]|
	v_trig_preop_f64 v[58:59], |v[14:15]|, 0
	v_and_b32_e32 v20, 0x7fffffff, v15
	v_trig_preop_f64 v[60:61], |v[14:15]|, 1
	v_trig_preop_f64 v[70:71], |v[14:15]|, 2
	s_delay_alu instid0(VALU_DEP_3) | instskip(NEXT) | instid1(VALU_DEP_1)
	v_dual_cndmask_b32 v19, v20, v19 :: v_dual_cndmask_b32 v18, v14, v18
	v_mul_f64_e32 v[62:63], v[58:59], v[18:19]
	s_delay_alu instid0(VALU_DEP_4) | instskip(NEXT) | instid1(VALU_DEP_4)
	v_mul_f64_e32 v[64:65], v[60:61], v[18:19]
	v_mul_f64_e32 v[76:77], v[70:71], v[18:19]
	s_delay_alu instid0(VALU_DEP_3) | instskip(NEXT) | instid1(VALU_DEP_3)
	v_fma_f64 v[58:59], v[58:59], v[18:19], -v[62:63]
	v_fma_f64 v[60:61], v[60:61], v[18:19], -v[64:65]
	s_delay_alu instid0(VALU_DEP_3) | instskip(NEXT) | instid1(VALU_DEP_3)
	v_fma_f64 v[18:19], v[70:71], v[18:19], -v[76:77]
	v_add_f64_e32 v[66:67], v[64:65], v[58:59]
	s_delay_alu instid0(VALU_DEP_1) | instskip(SKIP_1) | instid1(VALU_DEP_2)
	v_add_f64_e64 v[68:69], v[66:67], -v[64:65]
	v_add_f64_e32 v[74:75], v[62:63], v[66:67]
	v_add_f64_e64 v[72:73], v[66:67], -v[68:69]
	v_add_f64_e64 v[58:59], v[58:59], -v[68:69]
	s_delay_alu instid0(VALU_DEP_3) | instskip(NEXT) | instid1(VALU_DEP_3)
	v_ldexp_f64 v[68:69], v[74:75], -2
	v_add_f64_e64 v[64:65], v[64:65], -v[72:73]
	v_add_f64_e32 v[72:73], v[76:77], v[60:61]
	s_delay_alu instid0(VALU_DEP_3) | instskip(NEXT) | instid1(VALU_DEP_3)
	v_cmp_neq_f64_e64 vcc_lo, 0x7ff00000, |v[68:69]|
	v_add_f64_e32 v[58:59], v[58:59], v[64:65]
	v_fract_f64_e32 v[64:65], v[68:69]
	s_delay_alu instid0(VALU_DEP_1) | instskip(NEXT) | instid1(VALU_DEP_1)
	v_ldexp_f64 v[64:65], v[64:65], 2
	v_dual_add_f64 v[62:63], v[74:75], -v[62:63] :: v_dual_cndmask_b32 v65, 0, v65, vcc_lo
	s_delay_alu instid0(VALU_DEP_1) | instskip(SKIP_1) | instid1(VALU_DEP_1)
	v_dual_add_f64 v[62:63], v[66:67], -v[62:63] :: v_dual_cndmask_b32 v64, 0, v64, vcc_lo
	v_add_f64_e32 v[66:67], v[72:73], v[58:59]
	v_add_f64_e32 v[68:69], v[62:63], v[66:67]
	v_add_f64_e64 v[78:79], v[66:67], -v[72:73]
	s_delay_alu instid0(VALU_DEP_2) | instskip(NEXT) | instid1(VALU_DEP_2)
	v_add_f64_e32 v[74:75], v[68:69], v[64:65]
	v_add_f64_e64 v[84:85], v[66:67], -v[78:79]
	v_add_f64_e64 v[58:59], v[58:59], -v[78:79]
	;; [unrolled: 1-line block ×3, first 2 shown]
	s_delay_alu instid0(VALU_DEP_4) | instskip(SKIP_1) | instid1(VALU_DEP_3)
	v_cmp_gt_f64_e32 vcc_lo, 0, v[74:75]
	v_add_f64_e64 v[74:75], v[72:73], -v[76:77]
	v_add_f64_e64 v[62:63], v[66:67], -v[62:63]
	v_cndmask_b32_e64 v25, 0, 0x40100000, vcc_lo
	s_delay_alu instid0(VALU_DEP_3) | instskip(SKIP_2) | instid1(VALU_DEP_4)
	v_add_f64_e64 v[82:83], v[72:73], -v[74:75]
	v_add_f64_e64 v[60:61], v[60:61], -v[74:75]
	;; [unrolled: 1-line block ×3, first 2 shown]
	v_add_f64_e32 v[64:65], v[64:65], v[24:25]
	s_delay_alu instid0(VALU_DEP_4) | instskip(NEXT) | instid1(VALU_DEP_3)
	v_add_f64_e64 v[74:75], v[76:77], -v[82:83]
	v_add_f64_e32 v[58:59], v[58:59], v[72:73]
	s_delay_alu instid0(VALU_DEP_3) | instskip(NEXT) | instid1(VALU_DEP_3)
	v_add_f64_e32 v[80:81], v[68:69], v[64:65]
	v_add_f64_e32 v[60:61], v[60:61], v[74:75]
	s_delay_alu instid0(VALU_DEP_2) | instskip(NEXT) | instid1(VALU_DEP_2)
	v_cvt_i32_f64_e32 v20, v[80:81]
	v_add_f64_e32 v[58:59], v[60:61], v[58:59]
	s_delay_alu instid0(VALU_DEP_2) | instskip(NEXT) | instid1(VALU_DEP_2)
	v_cvt_f64_i32_e32 v[78:79], v20
	v_add_f64_e32 v[18:19], v[18:19], v[58:59]
	s_delay_alu instid0(VALU_DEP_2) | instskip(NEXT) | instid1(VALU_DEP_2)
	v_add_f64_e64 v[64:65], v[64:65], -v[78:79]
	v_add_f64_e32 v[18:19], v[62:63], v[18:19]
	s_delay_alu instid0(VALU_DEP_2) | instskip(NEXT) | instid1(VALU_DEP_1)
	v_add_f64_e32 v[60:61], v[68:69], v[64:65]
	v_add_f64_e64 v[58:59], v[60:61], -v[64:65]
	v_cmp_le_f64_e32 vcc_lo, 0.5, v[60:61]
	s_delay_alu instid0(VALU_DEP_2) | instskip(SKIP_2) | instid1(VALU_DEP_3)
	v_add_f64_e64 v[58:59], v[68:69], -v[58:59]
	v_cndmask_b32_e64 v25, 0, 0x3ff00000, vcc_lo
	v_add_co_ci_u32_e64 v20, null, 0, v20, vcc_lo
	v_add_f64_e32 v[18:19], v[18:19], v[58:59]
	s_delay_alu instid0(VALU_DEP_3) | instskip(NEXT) | instid1(VALU_DEP_1)
	v_add_f64_e64 v[58:59], v[60:61], -v[24:25]
	v_add_f64_e32 v[60:61], v[58:59], v[18:19]
	s_delay_alu instid0(VALU_DEP_1) | instskip(SKIP_1) | instid1(VALU_DEP_2)
	v_mul_f64_e32 v[62:63], 0x3ff921fb54442d18, v[60:61]
	v_add_f64_e64 v[58:59], v[60:61], -v[58:59]
	v_fma_f64 v[64:65], v[60:61], s[16:17], -v[62:63]
	s_delay_alu instid0(VALU_DEP_2) | instskip(NEXT) | instid1(VALU_DEP_2)
	v_add_f64_e64 v[18:19], v[18:19], -v[58:59]
	v_fmac_f64_e32 v[64:65], 0x3c91a62633145c07, v[60:61]
	s_delay_alu instid0(VALU_DEP_1) | instskip(NEXT) | instid1(VALU_DEP_1)
	v_fmac_f64_e32 v[64:65], 0x3ff921fb54442d18, v[18:19]
	v_add_f64_e32 v[18:19], v[62:63], v[64:65]
	s_delay_alu instid0(VALU_DEP_1) | instskip(NEXT) | instid1(VALU_DEP_1)
	v_add_f64_e64 v[58:59], v[18:19], -v[62:63]
	v_add_f64_e64 v[58:59], v[64:65], -v[58:59]
.LBB99_93:                              ;   in Loop: Header=BB99_4 Depth=1
	s_and_not1_saveexec_b32 s6, s6
	s_cbranch_execz .LBB99_95
; %bb.94:                               ;   in Loop: Header=BB99_4 Depth=1
	v_mul_f64_e64 v[18:19], |v[14:15]|, s[18:19]
	s_delay_alu instid0(VALU_DEP_1) | instskip(NEXT) | instid1(VALU_DEP_1)
	v_rndne_f64_e32 v[60:61], v[18:19]
	v_fma_f64 v[18:19], v[60:61], s[20:21], |v[14:15]|
	v_mul_f64_e32 v[58:59], 0xbc91a62633145c00, v[60:61]
	v_cvt_i32_f64_e32 v20, v[60:61]
	s_delay_alu instid0(VALU_DEP_3) | instskip(NEXT) | instid1(VALU_DEP_3)
	v_fmamk_f64 v[66:67], v[60:61], 0xbc91a62633145c00, v[18:19]
	v_add_f64_e32 v[62:63], v[18:19], v[58:59]
	s_delay_alu instid0(VALU_DEP_1) | instskip(NEXT) | instid1(VALU_DEP_3)
	v_add_f64_e64 v[64:65], v[18:19], -v[62:63]
	v_add_f64_e64 v[18:19], v[62:63], -v[66:67]
	s_delay_alu instid0(VALU_DEP_2) | instskip(SKIP_1) | instid1(VALU_DEP_2)
	v_add_f64_e32 v[62:63], v[64:65], v[58:59]
	v_fmamk_f64 v[58:59], v[60:61], 0x3c91a62633145c00, v[58:59]
	v_add_f64_e32 v[18:19], v[18:19], v[62:63]
	s_delay_alu instid0(VALU_DEP_1) | instskip(NEXT) | instid1(VALU_DEP_1)
	v_add_f64_e64 v[58:59], v[18:19], -v[58:59]
	v_fmac_f64_e32 v[58:59], 0xb97b839a252049c0, v[60:61]
	s_delay_alu instid0(VALU_DEP_1) | instskip(NEXT) | instid1(VALU_DEP_1)
	v_add_f64_e32 v[18:19], v[66:67], v[58:59]
	v_add_f64_e64 v[62:63], v[18:19], -v[66:67]
	s_delay_alu instid0(VALU_DEP_1)
	v_add_f64_e64 v[58:59], v[58:59], -v[62:63]
.LBB99_95:                              ;   in Loop: Header=BB99_4 Depth=1
	s_or_b32 exec_lo, exec_lo, s6
	v_add_f64_e64 v[60:61], |v[16:17]|, s[22:23]
	v_cmp_nge_f64_e64 vcc_lo, |v[16:17]|, s[28:29]
	v_mul_f64_e32 v[78:79], v[18:19], v[18:19]
	s_delay_alu instid0(VALU_DEP_4) | instskip(NEXT) | instid1(VALU_DEP_4)
	v_add_f64_e32 v[80:81], v[58:59], v[58:59]
	v_add_f64_e64 v[62:63], v[60:61], -|v[16:17]|
	s_delay_alu instid0(VALU_DEP_3) | instskip(NEXT) | instid1(VALU_DEP_2)
	v_fma_f64 v[82:83], v[18:19], v[18:19], -v[78:79]
	v_add_f64_e64 v[64:65], v[62:63], -v[60:61]
	v_add_f64_e32 v[62:63], 0x3fe62e42fefa39ef, v[62:63]
	s_delay_alu instid0(VALU_DEP_3) | instskip(NEXT) | instid1(VALU_DEP_3)
	v_fmac_f64_e32 v[82:83], v[18:19], v[80:81]
	v_add_f64_e64 v[64:65], |v[16:17]|, v[64:65]
	s_delay_alu instid0(VALU_DEP_2) | instskip(NEXT) | instid1(VALU_DEP_2)
	v_add_f64_e32 v[78:79], v[78:79], v[82:83]
	v_add_f64_e64 v[62:63], v[64:65], -v[62:63]
	s_delay_alu instid0(VALU_DEP_2) | instskip(NEXT) | instid1(VALU_DEP_1)
	v_fmamk_f64 v[82:83], v[78:79], 0x3ef5e089c751c08c, v[30:31]
	v_fmaak_f64 v[82:83], v[78:79], v[82:83], 0x3f17746f90a8aae0
	s_delay_alu instid0(VALU_DEP_1) | instskip(NEXT) | instid1(VALU_DEP_4)
	v_fmaak_f64 v[82:83], v[78:79], v[82:83], 0xbefbb44da6fbf144
	v_add_f64_e32 v[62:63], 0xbc7abc9e3b39803f, v[62:63]
	s_delay_alu instid0(VALU_DEP_1) | instskip(NEXT) | instid1(VALU_DEP_1)
	v_add_f64_e32 v[64:65], v[60:61], v[62:63]
	v_mul_f64_e32 v[66:67], 0x3ff71547652b82fe, v[64:65]
	v_add_f64_e64 v[60:61], v[60:61], -v[64:65]
	s_delay_alu instid0(VALU_DEP_2) | instskip(NEXT) | instid1(VALU_DEP_2)
	v_rndne_f64_e32 v[66:67], v[66:67]
	v_add_f64_e32 v[60:61], v[62:63], v[60:61]
	s_delay_alu instid0(VALU_DEP_2) | instskip(SKIP_2) | instid1(VALU_DEP_3)
	v_fmac_f64_e32 v[64:65], 0xbfe62e42fefa3000, v[66:67]
	v_mul_f64_e32 v[62:63], 0xbd53de6af278e000, v[66:67]
	v_cvt_i32_f64_e32 v14, v[66:67]
	v_add_f64_e32 v[68:69], v[60:61], v[64:65]
	s_delay_alu instid0(VALU_DEP_1) | instskip(SKIP_1) | instid1(VALU_DEP_2)
	v_add_f64_e32 v[70:71], v[68:69], v[62:63]
	v_add_f64_e64 v[64:65], v[64:65], -v[68:69]
	v_add_f64_e64 v[68:69], v[68:69], -v[70:71]
	s_delay_alu instid0(VALU_DEP_2) | instskip(NEXT) | instid1(VALU_DEP_2)
	v_add_f64_e32 v[60:61], v[60:61], v[64:65]
	v_add_f64_e32 v[62:63], v[68:69], v[62:63]
	s_delay_alu instid0(VALU_DEP_1) | instskip(SKIP_1) | instid1(VALU_DEP_2)
	v_add_f64_e32 v[60:61], v[60:61], v[62:63]
	v_mul_f64_e32 v[62:63], 0xbac9cc01f97b57a0, v[66:67]
	v_add_f64_e32 v[64:65], v[70:71], v[60:61]
	s_delay_alu instid0(VALU_DEP_1) | instskip(SKIP_1) | instid1(VALU_DEP_2)
	v_add_f64_e32 v[68:69], v[64:65], v[62:63]
	v_add_f64_e64 v[70:71], v[70:71], -v[64:65]
	v_add_f64_e64 v[64:65], v[64:65], -v[68:69]
	s_delay_alu instid0(VALU_DEP_2) | instskip(NEXT) | instid1(VALU_DEP_2)
	v_add_f64_e32 v[60:61], v[60:61], v[70:71]
	v_add_f64_e32 v[62:63], v[64:65], v[62:63]
	s_delay_alu instid0(VALU_DEP_1) | instskip(NEXT) | instid1(VALU_DEP_1)
	v_add_f64_e32 v[60:61], v[60:61], v[62:63]
	v_add_f64_e32 v[62:63], v[68:69], v[60:61]
	s_delay_alu instid0(VALU_DEP_1) | instskip(SKIP_1) | instid1(VALU_DEP_2)
	v_add_f64_e64 v[64:65], v[68:69], -v[62:63]
	v_mul_f64_e32 v[68:69], v[62:63], v[62:63]
	v_add_f64_e32 v[60:61], v[60:61], v[64:65]
	s_delay_alu instid0(VALU_DEP_2) | instskip(NEXT) | instid1(VALU_DEP_2)
	v_fma_f64 v[64:65], v[62:63], v[62:63], -v[68:69]
	v_add_f64_e32 v[70:71], v[60:61], v[60:61]
	s_delay_alu instid0(VALU_DEP_1) | instskip(SKIP_1) | instid1(VALU_DEP_1)
	v_fmac_f64_e32 v[64:65], v[62:63], v[70:71]
	v_fmamk_f64 v[70:71], v[62:63], 0x3e5ade156a5dcb37, v[32:33]
	v_fmaak_f64 v[70:71], v[62:63], v[70:71], 0x3ec71dee623fde64
	s_delay_alu instid0(VALU_DEP_1) | instskip(NEXT) | instid1(VALU_DEP_1)
	v_fmaak_f64 v[70:71], v[62:63], v[70:71], 0x3efa01997c89e6b0
	v_fmaak_f64 v[70:71], v[62:63], v[70:71], 0x3f2a01a014761f6e
	s_delay_alu instid0(VALU_DEP_1) | instskip(SKIP_1) | instid1(VALU_DEP_2)
	v_fmaak_f64 v[70:71], v[62:63], v[70:71], 0x3f56c16c1852b7b0
	v_add_f64_e32 v[72:73], v[68:69], v[64:65]
	v_fmaak_f64 v[70:71], v[62:63], v[70:71], 0x3f81111111122322
	s_delay_alu instid0(VALU_DEP_1) | instskip(NEXT) | instid1(VALU_DEP_1)
	v_fmaak_f64 v[70:71], v[62:63], v[70:71], 0x3fa55555555502a1
	v_fmaak_f64 v[70:71], v[62:63], v[70:71], 0x3fc5555555555511
	s_delay_alu instid0(VALU_DEP_1) | instskip(SKIP_1) | instid1(VALU_DEP_2)
	v_fmaak_f64 v[70:71], v[62:63], v[70:71], 0x3fe000000000000b
	v_add_f64_e64 v[68:69], v[72:73], -v[68:69]
	v_mul_f64_e32 v[74:75], v[72:73], v[70:71]
	s_delay_alu instid0(VALU_DEP_2) | instskip(NEXT) | instid1(VALU_DEP_2)
	v_add_f64_e64 v[64:65], v[64:65], -v[68:69]
	v_fma_f64 v[68:69], v[72:73], v[70:71], -v[74:75]
	s_delay_alu instid0(VALU_DEP_1) | instskip(NEXT) | instid1(VALU_DEP_1)
	v_fmac_f64_e32 v[68:69], v[64:65], v[70:71]
	v_add_f64_e32 v[64:65], v[74:75], v[68:69]
	s_delay_alu instid0(VALU_DEP_1) | instskip(SKIP_1) | instid1(VALU_DEP_2)
	v_add_f64_e32 v[70:71], v[62:63], v[64:65]
	v_add_f64_e64 v[72:73], v[64:65], -v[74:75]
	v_add_f64_e64 v[62:63], v[70:71], -v[62:63]
	s_delay_alu instid0(VALU_DEP_2) | instskip(NEXT) | instid1(VALU_DEP_2)
	v_add_f64_e64 v[68:69], v[68:69], -v[72:73]
	v_add_f64_e64 v[62:63], v[64:65], -v[62:63]
	s_delay_alu instid0(VALU_DEP_2) | instskip(NEXT) | instid1(VALU_DEP_1)
	v_add_f64_e32 v[60:61], v[60:61], v[68:69]
	v_add_f64_e32 v[60:61], v[60:61], v[62:63]
	s_delay_alu instid0(VALU_DEP_1) | instskip(NEXT) | instid1(VALU_DEP_1)
	v_add_f64_e32 v[62:63], v[70:71], v[60:61]
	v_add_f64_e32 v[64:65], 1.0, v[62:63]
	v_add_f64_e64 v[68:69], v[62:63], -v[70:71]
	s_delay_alu instid0(VALU_DEP_2) | instskip(NEXT) | instid1(VALU_DEP_2)
	v_add_f64_e32 v[70:71], -1.0, v[64:65]
	v_add_f64_e64 v[60:61], v[60:61], -v[68:69]
	s_delay_alu instid0(VALU_DEP_2) | instskip(NEXT) | instid1(VALU_DEP_1)
	v_add_f64_e64 v[62:63], v[62:63], -v[70:71]
	v_add_f64_e32 v[60:61], v[60:61], v[62:63]
	s_delay_alu instid0(VALU_DEP_1) | instskip(NEXT) | instid1(VALU_DEP_1)
	v_add_f64_e32 v[62:63], v[64:65], v[60:61]
	v_ldexp_f64 v[66:67], v[62:63], v14
	v_add_f64_e64 v[62:63], v[62:63], -v[64:65]
	s_delay_alu instid0(VALU_DEP_2) | instskip(NEXT) | instid1(VALU_DEP_1)
	v_rcp_f64_e32 v[68:69], v[66:67]
	v_add_f64_e64 v[60:61], v[60:61], -v[62:63]
	s_delay_alu instid0(VALU_DEP_1) | instskip(NEXT) | instid1(TRANS32_DEP_1)
	v_ldexp_f64 v[60:61], v[60:61], v14
	v_fma_f64 v[70:71], -v[66:67], v[68:69], 1.0
	s_delay_alu instid0(VALU_DEP_1) | instskip(NEXT) | instid1(VALU_DEP_1)
	v_fmac_f64_e32 v[68:69], v[70:71], v[68:69]
	v_fma_f64 v[70:71], -v[66:67], v[68:69], 1.0
	s_delay_alu instid0(VALU_DEP_1) | instskip(NEXT) | instid1(VALU_DEP_1)
	v_fmac_f64_e32 v[68:69], v[70:71], v[68:69]
	v_mul_f64_e32 v[62:63], v[66:67], v[68:69]
	s_delay_alu instid0(VALU_DEP_1) | instskip(NEXT) | instid1(VALU_DEP_1)
	v_fma_f64 v[64:65], v[68:69], v[66:67], -v[62:63]
	v_fmac_f64_e32 v[64:65], v[68:69], v[60:61]
	s_delay_alu instid0(VALU_DEP_1) | instskip(NEXT) | instid1(VALU_DEP_1)
	v_add_f64_e32 v[70:71], v[62:63], v[64:65]
	v_add_f64_e64 v[72:73], -v[70:71], 1.0
	v_add_f64_e64 v[62:63], v[70:71], -v[62:63]
	s_delay_alu instid0(VALU_DEP_2) | instskip(NEXT) | instid1(VALU_DEP_2)
	v_add_f64_e64 v[74:75], -v[72:73], 1.0
	v_add_f64_e64 v[62:63], v[62:63], -v[64:65]
	s_delay_alu instid0(VALU_DEP_2) | instskip(NEXT) | instid1(VALU_DEP_1)
	v_add_f64_e64 v[64:65], v[74:75], -v[70:71]
	v_add_f64_e32 v[62:63], v[62:63], v[64:65]
	s_delay_alu instid0(VALU_DEP_1) | instskip(NEXT) | instid1(VALU_DEP_1)
	v_add_f64_e32 v[64:65], v[72:73], v[62:63]
	v_mul_f64_e32 v[70:71], v[68:69], v[64:65]
	v_add_f64_e64 v[72:73], v[72:73], -v[64:65]
	s_delay_alu instid0(VALU_DEP_2) | instskip(NEXT) | instid1(VALU_DEP_2)
	v_mul_f64_e32 v[74:75], v[66:67], v[70:71]
	v_add_f64_e32 v[62:63], v[62:63], v[72:73]
	s_delay_alu instid0(VALU_DEP_2) | instskip(NEXT) | instid1(VALU_DEP_1)
	v_fma_f64 v[76:77], v[70:71], v[66:67], -v[74:75]
	v_fmac_f64_e32 v[76:77], v[70:71], v[60:61]
	s_delay_alu instid0(VALU_DEP_1) | instskip(NEXT) | instid1(VALU_DEP_1)
	v_add_f64_e32 v[84:85], v[74:75], v[76:77]
	v_add_f64_e64 v[80:81], v[64:65], -v[84:85]
	v_add_f64_e64 v[72:73], v[84:85], -v[74:75]
	v_fmaak_f64 v[74:75], v[78:79], v[82:83], 0x3f21e634a7943acf
	s_delay_alu instid0(VALU_DEP_1) | instskip(NEXT) | instid1(VALU_DEP_1)
	v_fmaak_f64 v[74:75], v[78:79], v[74:75], 0x3f2d250fdeb68feb
	v_fmaak_f64 v[74:75], v[78:79], v[74:75], 0x3f437fd9b58c4d95
	s_delay_alu instid0(VALU_DEP_1) | instskip(NEXT) | instid1(VALU_DEP_1)
	v_fmaak_f64 v[74:75], v[78:79], v[74:75], 0x3f57d5af15120e2c
	v_fmaak_f64 v[74:75], v[78:79], v[74:75], 0x3f6d6d93e09491df
	v_add_f64_e64 v[64:65], v[64:65], -v[80:81]
	v_add_f64_e64 v[72:73], v[72:73], -v[76:77]
	s_delay_alu instid0(VALU_DEP_2) | instskip(NEXT) | instid1(VALU_DEP_1)
	v_add_f64_e64 v[64:65], v[64:65], -v[84:85]
	v_add_f64_e32 v[62:63], v[62:63], v[64:65]
	v_fmaak_f64 v[64:65], v[78:79], v[74:75], 0x3f8226e12033784d
	v_add_f64_e32 v[74:75], v[68:69], v[70:71]
	s_delay_alu instid0(VALU_DEP_2) | instskip(NEXT) | instid1(VALU_DEP_1)
	v_fmaak_f64 v[64:65], v[78:79], v[64:65], 0x3f9664f49ac36ae2
	v_fmaak_f64 v[64:65], v[78:79], v[64:65], 0x3faba1ba1b451c21
	s_delay_alu instid0(VALU_DEP_1) | instskip(NEXT) | instid1(VALU_DEP_1)
	v_fmaak_f64 v[64:65], v[78:79], v[64:65], 0x3fc11111111185b7
	v_fmaak_f64 v[64:65], v[78:79], v[64:65], 0x3fd55555555554ee
	v_add_f64_e32 v[62:63], v[72:73], v[62:63]
	v_add_f64_e64 v[72:73], v[74:75], -v[68:69]
	s_delay_alu instid0(VALU_DEP_3) | instskip(NEXT) | instid1(VALU_DEP_3)
	v_mul_f64_e32 v[64:65], v[78:79], v[64:65]
	v_add_f64_e32 v[62:63], v[80:81], v[62:63]
	s_delay_alu instid0(VALU_DEP_3) | instskip(NEXT) | instid1(VALU_DEP_3)
	v_add_f64_e64 v[70:71], v[70:71], -v[72:73]
	v_mul_f64_e32 v[76:77], v[18:19], v[64:65]
	s_delay_alu instid0(VALU_DEP_3) | instskip(NEXT) | instid1(VALU_DEP_2)
	v_mul_f64_e32 v[62:63], v[68:69], v[62:63]
	v_add_f64_e32 v[68:69], v[18:19], v[76:77]
	v_fma_f64 v[64:65], v[18:19], v[64:65], -v[76:77]
	s_delay_alu instid0(VALU_DEP_3) | instskip(NEXT) | instid1(VALU_DEP_3)
	v_add_f64_e32 v[62:63], v[70:71], v[62:63]
	v_add_f64_e64 v[18:19], v[68:69], -v[18:19]
	s_delay_alu instid0(VALU_DEP_3) | instskip(NEXT) | instid1(VALU_DEP_3)
	v_add_f64_e32 v[58:59], v[58:59], v[64:65]
	v_add_f64_e32 v[70:71], v[74:75], v[62:63]
	s_delay_alu instid0(VALU_DEP_3) | instskip(NEXT) | instid1(VALU_DEP_2)
	v_add_f64_e64 v[18:19], v[76:77], -v[18:19]
	v_ldexp_f64 v[64:65], v[70:71], -2
	v_add_f64_e64 v[70:71], v[70:71], -v[74:75]
	s_delay_alu instid0(VALU_DEP_3) | instskip(NEXT) | instid1(VALU_DEP_3)
	v_add_f64_e32 v[18:19], v[58:59], v[18:19]
	v_add_f64_e64 v[58:59], v[66:67], -v[64:65]
	s_delay_alu instid0(VALU_DEP_3) | instskip(NEXT) | instid1(VALU_DEP_3)
	v_add_f64_e64 v[62:63], v[62:63], -v[70:71]
	v_add_f64_e32 v[72:73], v[68:69], v[18:19]
	s_delay_alu instid0(VALU_DEP_3) | instskip(NEXT) | instid1(VALU_DEP_3)
	v_add_f64_e64 v[66:67], v[66:67], -v[58:59]
	v_ldexp_f64 v[62:63], v[62:63], -2
	s_delay_alu instid0(VALU_DEP_3) | instskip(NEXT) | instid1(VALU_DEP_2)
	v_rcp_f64_e32 v[74:75], v[72:73]
	v_add_f64_e64 v[64:65], v[66:67], -v[64:65]
	s_delay_alu instid0(TRANS32_DEP_1) | instskip(NEXT) | instid1(VALU_DEP_2)
	v_fma_f64 v[66:67], -v[72:73], v[74:75], 1.0
	v_add_f64_e32 v[60:61], v[60:61], v[64:65]
	s_delay_alu instid0(VALU_DEP_2) | instskip(NEXT) | instid1(VALU_DEP_2)
	v_fmac_f64_e32 v[74:75], v[66:67], v[74:75]
	v_add_f64_e64 v[60:61], v[60:61], -v[62:63]
	s_delay_alu instid0(VALU_DEP_2) | instskip(NEXT) | instid1(VALU_DEP_2)
	v_fma_f64 v[62:63], -v[72:73], v[74:75], 1.0
	v_add_f64_e32 v[58:59], v[58:59], v[60:61]
	s_delay_alu instid0(VALU_DEP_2) | instskip(NEXT) | instid1(VALU_DEP_2)
	v_fmac_f64_e32 v[74:75], v[62:63], v[74:75]
	v_cndmask_b32_e32 v14, 0x7ff00000, v59, vcc_lo
	s_delay_alu instid0(VALU_DEP_3) | instskip(SKIP_3) | instid1(VALU_DEP_2)
	v_cndmask_b32_e32 v25, 0, v58, vcc_lo
	v_cmp_gt_f64_e64 vcc_lo, 0x3e400000, |v[16:17]|
	v_and_b32_e32 v17, 0x7fffffff, v17
	v_add_f64_e64 v[58:59], v[72:73], -v[68:69]
	v_dual_mul_f64 v[60:61], v[72:73], v[74:75] :: v_dual_cndmask_b32 v14, v14, v17, vcc_lo
	s_delay_alu instid0(VALU_DEP_2) | instskip(NEXT) | instid1(VALU_DEP_2)
	v_dual_add_f64 v[18:19], v[18:19], -v[58:59] :: v_dual_cndmask_b32 v16, v25, v16, vcc_lo
	v_bfi_b32 v17, 0x7fffffff, v14, v21
	s_delay_alu instid0(VALU_DEP_3) | instskip(NEXT) | instid1(VALU_DEP_2)
	v_fma_f64 v[58:59], v[74:75], v[72:73], -v[60:61]
	v_fma_f64 v[62:63], v[16:17], v[16:17], 1.0
	s_delay_alu instid0(VALU_DEP_2) | instskip(NEXT) | instid1(VALU_DEP_2)
	v_fmac_f64_e32 v[58:59], v[74:75], v[18:19]
	v_cmp_gt_f64_e32 vcc_lo, 0x10000000, v[62:63]
	v_cndmask_b32_e64 v14, 0, 0x100, vcc_lo
	v_cndmask_b32_e64 v21, 0, 0xffffff80, vcc_lo
	s_delay_alu instid0(VALU_DEP_2) | instskip(SKIP_1) | instid1(VALU_DEP_1)
	v_ldexp_f64 v[18:19], v[62:63], v14
	v_dual_add_f64 v[62:63], v[60:61], v[58:59] :: v_dual_bitop2_b32 v14, 1, v20 bitop3:0x40
	v_cmp_eq_u32_e64 s6, 0, v14
	s_delay_alu instid0(VALU_DEP_3) | instskip(NEXT) | instid1(VALU_DEP_2)
	v_rsq_f64_e32 v[64:65], v[18:19]
	v_add_f64_e64 v[66:67], -v[62:63], 1.0
	v_add_f64_e64 v[60:61], v[62:63], -v[60:61]
	v_cmp_class_f64_e64 vcc_lo, v[18:19], 0x260
	s_delay_alu instid0(VALU_DEP_3) | instskip(NEXT) | instid1(VALU_DEP_3)
	v_add_f64_e64 v[70:71], -v[66:67], 1.0
	v_add_f64_e64 v[58:59], v[60:61], -v[58:59]
	s_delay_alu instid0(TRANS32_DEP_1) | instskip(SKIP_1) | instid1(VALU_DEP_4)
	v_mul_f64_e32 v[68:69], v[18:19], v[64:65]
	v_mul_f64_e32 v[64:65], 0.5, v[64:65]
	v_add_f64_e64 v[60:61], v[70:71], -v[62:63]
	s_delay_alu instid0(VALU_DEP_2) | instskip(NEXT) | instid1(VALU_DEP_2)
	v_fma_f64 v[76:77], -v[64:65], v[68:69], 0.5
	v_add_f64_e32 v[58:59], v[58:59], v[60:61]
	s_delay_alu instid0(VALU_DEP_2) | instskip(SKIP_1) | instid1(VALU_DEP_3)
	v_fmac_f64_e32 v[68:69], v[68:69], v[76:77]
	v_fmac_f64_e32 v[64:65], v[64:65], v[76:77]
	v_add_f64_e32 v[58:59], v[66:67], v[58:59]
	s_delay_alu instid0(VALU_DEP_3) | instskip(NEXT) | instid1(VALU_DEP_2)
	v_fma_f64 v[60:61], -v[68:69], v[68:69], v[18:19]
	v_mul_f64_e32 v[58:59], v[74:75], v[58:59]
	s_delay_alu instid0(VALU_DEP_2) | instskip(NEXT) | instid1(VALU_DEP_2)
	v_fmac_f64_e32 v[68:69], v[60:61], v[64:65]
	v_add_f64_e32 v[58:59], v[74:75], v[58:59]
	s_delay_alu instid0(VALU_DEP_2) | instskip(NEXT) | instid1(VALU_DEP_2)
	v_fma_f64 v[60:61], -v[68:69], v[68:69], v[18:19]
	v_xor_b32_e32 v20, 0x80000000, v59
	s_delay_alu instid0(VALU_DEP_1) | instskip(NEXT) | instid1(VALU_DEP_3)
	v_dual_cndmask_b32 v14, v58, v72, s6 :: v_dual_cndmask_b32 v20, v20, v73, s6
	v_fmac_f64_e32 v[68:69], v[60:61], v[64:65]
	s_delay_alu instid0(VALU_DEP_2) | instskip(NEXT) | instid1(VALU_DEP_1)
	v_bitop3_b32 v15, v20, v15, 0x80000000 bitop3:0x78
	v_fma_f64 v[58:59], v[14:15], v[14:15], 1.0
	s_delay_alu instid0(VALU_DEP_3) | instskip(NEXT) | instid1(VALU_DEP_1)
	v_ldexp_f64 v[20:21], v[68:69], v21
	v_dual_cndmask_b32 v19, v21, v19 :: v_dual_cndmask_b32 v18, v20, v18
	s_delay_alu instid0(VALU_DEP_3) | instskip(NEXT) | instid1(VALU_DEP_2)
	v_mul_f64_e32 v[20:21], v[16:17], v[58:59]
	v_mul_f64_e32 v[18:19], v[18:19], v[58:59]
	s_delay_alu instid0(VALU_DEP_2) | instskip(NEXT) | instid1(VALU_DEP_2)
	v_fma_f64 v[58:59], v[16:17], v[20:21], 1.0
	v_mul_f64_e32 v[16:17], v[16:17], v[18:19]
	s_delay_alu instid0(VALU_DEP_2) | instskip(NEXT) | instid1(VALU_DEP_2)
	v_div_scale_f64 v[20:21], null, v[58:59], v[58:59], v[14:15]
	v_div_scale_f64 v[18:19], null, v[58:59], v[58:59], v[16:17]
	v_div_scale_f64 v[68:69], vcc_lo, v[16:17], v[58:59], v[16:17]
	s_delay_alu instid0(VALU_DEP_3) | instskip(NEXT) | instid1(VALU_DEP_2)
	v_rcp_f64_e32 v[62:63], v[20:21]
	v_rcp_f64_e32 v[60:61], v[18:19]
	s_delay_alu instid0(TRANS32_DEP_2) | instskip(NEXT) | instid1(TRANS32_DEP_1)
	v_fma_f64 v[66:67], -v[20:21], v[62:63], 1.0
	v_fma_f64 v[64:65], -v[18:19], v[60:61], 1.0
	s_delay_alu instid0(VALU_DEP_2) | instskip(NEXT) | instid1(VALU_DEP_2)
	v_fmac_f64_e32 v[62:63], v[62:63], v[66:67]
	v_fmac_f64_e32 v[60:61], v[60:61], v[64:65]
	s_delay_alu instid0(VALU_DEP_2) | instskip(NEXT) | instid1(VALU_DEP_2)
	v_fma_f64 v[66:67], -v[20:21], v[62:63], 1.0
	v_fma_f64 v[64:65], -v[18:19], v[60:61], 1.0
	s_delay_alu instid0(VALU_DEP_2) | instskip(NEXT) | instid1(VALU_DEP_2)
	v_fmac_f64_e32 v[62:63], v[62:63], v[66:67]
	v_fmac_f64_e32 v[60:61], v[60:61], v[64:65]
	v_div_scale_f64 v[64:65], s6, v[14:15], v[58:59], v[14:15]
	s_delay_alu instid0(VALU_DEP_2) | instskip(NEXT) | instid1(VALU_DEP_2)
	v_mul_f64_e32 v[66:67], v[68:69], v[60:61]
	v_mul_f64_e32 v[70:71], v[64:65], v[62:63]
	s_delay_alu instid0(VALU_DEP_2) | instskip(NEXT) | instid1(VALU_DEP_2)
	v_fma_f64 v[18:19], -v[18:19], v[66:67], v[68:69]
	v_fma_f64 v[20:21], -v[20:21], v[70:71], v[64:65]
	s_delay_alu instid0(VALU_DEP_2) | instskip(SKIP_1) | instid1(VALU_DEP_2)
	v_div_fmas_f64 v[18:19], v[18:19], v[60:61], v[66:67]
	s_mov_b32 vcc_lo, s6
	v_div_fmas_f64 v[60:61], v[20:21], v[62:63], v[70:71]
	s_delay_alu instid0(VALU_DEP_2) | instskip(NEXT) | instid1(VALU_DEP_2)
	v_div_fixup_f64 v[20:21], v[18:19], v[58:59], v[16:17]
	v_div_fixup_f64 v[18:19], v[60:61], v[58:59], v[14:15]
                                        ; implicit-def: $vgpr14_vgpr15
.LBB99_96:                              ;   in Loop: Header=BB99_4 Depth=1
	s_and_not1_saveexec_b32 s6, s37
	s_cbranch_execz .LBB99_106
; %bb.97:                               ;   in Loop: Header=BB99_4 Depth=1
	v_cmp_ngt_f64_e64 s37, 0x41d00000, |v[14:15]|
                                        ; implicit-def: $vgpr20
                                        ; implicit-def: $vgpr18_vgpr19
                                        ; implicit-def: $vgpr58_vgpr59
	s_and_saveexec_b32 s38, s37
	s_delay_alu instid0(SALU_CYCLE_1)
	s_xor_b32 s38, exec_lo, s38
	s_cbranch_execz .LBB99_99
; %bb.98:                               ;   in Loop: Header=BB99_4 Depth=1
	v_ldexp_f64 v[18:19], |v[14:15]|, 0xffffff80
	v_cmp_le_f64_e64 vcc_lo, 0x7b000000, |v[14:15]|
	v_trig_preop_f64 v[58:59], |v[14:15]|, 0
	v_and_b32_e32 v20, 0x7fffffff, v15
	v_trig_preop_f64 v[60:61], |v[14:15]|, 1
	v_trig_preop_f64 v[70:71], |v[14:15]|, 2
	s_delay_alu instid0(VALU_DEP_3) | instskip(NEXT) | instid1(VALU_DEP_1)
	v_dual_cndmask_b32 v19, v20, v19 :: v_dual_cndmask_b32 v18, v14, v18
	v_mul_f64_e32 v[62:63], v[58:59], v[18:19]
	s_delay_alu instid0(VALU_DEP_4) | instskip(NEXT) | instid1(VALU_DEP_4)
	v_mul_f64_e32 v[64:65], v[60:61], v[18:19]
	v_mul_f64_e32 v[76:77], v[70:71], v[18:19]
	s_delay_alu instid0(VALU_DEP_3) | instskip(NEXT) | instid1(VALU_DEP_3)
	v_fma_f64 v[58:59], v[58:59], v[18:19], -v[62:63]
	v_fma_f64 v[60:61], v[60:61], v[18:19], -v[64:65]
	s_delay_alu instid0(VALU_DEP_3) | instskip(NEXT) | instid1(VALU_DEP_3)
	v_fma_f64 v[18:19], v[70:71], v[18:19], -v[76:77]
	v_add_f64_e32 v[66:67], v[64:65], v[58:59]
	s_delay_alu instid0(VALU_DEP_1) | instskip(SKIP_1) | instid1(VALU_DEP_2)
	v_add_f64_e64 v[68:69], v[66:67], -v[64:65]
	v_add_f64_e32 v[74:75], v[62:63], v[66:67]
	v_add_f64_e64 v[72:73], v[66:67], -v[68:69]
	v_add_f64_e64 v[58:59], v[58:59], -v[68:69]
	s_delay_alu instid0(VALU_DEP_3) | instskip(NEXT) | instid1(VALU_DEP_3)
	v_ldexp_f64 v[68:69], v[74:75], -2
	v_add_f64_e64 v[64:65], v[64:65], -v[72:73]
	v_add_f64_e32 v[72:73], v[76:77], v[60:61]
	s_delay_alu instid0(VALU_DEP_3) | instskip(NEXT) | instid1(VALU_DEP_3)
	v_cmp_neq_f64_e64 vcc_lo, 0x7ff00000, |v[68:69]|
	v_add_f64_e32 v[58:59], v[58:59], v[64:65]
	v_fract_f64_e32 v[64:65], v[68:69]
	s_delay_alu instid0(VALU_DEP_1) | instskip(NEXT) | instid1(VALU_DEP_1)
	v_ldexp_f64 v[64:65], v[64:65], 2
	v_dual_add_f64 v[62:63], v[74:75], -v[62:63] :: v_dual_cndmask_b32 v65, 0, v65, vcc_lo
	s_delay_alu instid0(VALU_DEP_1) | instskip(SKIP_1) | instid1(VALU_DEP_1)
	v_dual_add_f64 v[62:63], v[66:67], -v[62:63] :: v_dual_cndmask_b32 v64, 0, v64, vcc_lo
	v_add_f64_e32 v[66:67], v[72:73], v[58:59]
	v_add_f64_e32 v[68:69], v[62:63], v[66:67]
	v_add_f64_e64 v[78:79], v[66:67], -v[72:73]
	s_delay_alu instid0(VALU_DEP_2) | instskip(NEXT) | instid1(VALU_DEP_2)
	v_add_f64_e32 v[74:75], v[68:69], v[64:65]
	v_add_f64_e64 v[84:85], v[66:67], -v[78:79]
	v_add_f64_e64 v[58:59], v[58:59], -v[78:79]
	;; [unrolled: 1-line block ×3, first 2 shown]
	s_delay_alu instid0(VALU_DEP_4) | instskip(SKIP_1) | instid1(VALU_DEP_3)
	v_cmp_gt_f64_e32 vcc_lo, 0, v[74:75]
	v_add_f64_e64 v[74:75], v[72:73], -v[76:77]
	v_add_f64_e64 v[62:63], v[66:67], -v[62:63]
	v_cndmask_b32_e64 v25, 0, 0x40100000, vcc_lo
	s_delay_alu instid0(VALU_DEP_3) | instskip(SKIP_2) | instid1(VALU_DEP_4)
	v_add_f64_e64 v[82:83], v[72:73], -v[74:75]
	v_add_f64_e64 v[60:61], v[60:61], -v[74:75]
	;; [unrolled: 1-line block ×3, first 2 shown]
	v_add_f64_e32 v[64:65], v[64:65], v[24:25]
	s_delay_alu instid0(VALU_DEP_4) | instskip(NEXT) | instid1(VALU_DEP_3)
	v_add_f64_e64 v[74:75], v[76:77], -v[82:83]
	v_add_f64_e32 v[58:59], v[58:59], v[72:73]
	s_delay_alu instid0(VALU_DEP_3) | instskip(NEXT) | instid1(VALU_DEP_3)
	v_add_f64_e32 v[80:81], v[68:69], v[64:65]
	v_add_f64_e32 v[60:61], v[60:61], v[74:75]
	s_delay_alu instid0(VALU_DEP_2) | instskip(NEXT) | instid1(VALU_DEP_2)
	v_cvt_i32_f64_e32 v20, v[80:81]
	v_add_f64_e32 v[58:59], v[60:61], v[58:59]
	s_delay_alu instid0(VALU_DEP_2) | instskip(NEXT) | instid1(VALU_DEP_2)
	v_cvt_f64_i32_e32 v[78:79], v20
	v_add_f64_e32 v[18:19], v[18:19], v[58:59]
	s_delay_alu instid0(VALU_DEP_2) | instskip(NEXT) | instid1(VALU_DEP_2)
	v_add_f64_e64 v[64:65], v[64:65], -v[78:79]
	v_add_f64_e32 v[18:19], v[62:63], v[18:19]
	s_delay_alu instid0(VALU_DEP_2) | instskip(NEXT) | instid1(VALU_DEP_1)
	v_add_f64_e32 v[60:61], v[68:69], v[64:65]
	v_add_f64_e64 v[58:59], v[60:61], -v[64:65]
	v_cmp_le_f64_e32 vcc_lo, 0.5, v[60:61]
	s_delay_alu instid0(VALU_DEP_2) | instskip(SKIP_2) | instid1(VALU_DEP_3)
	v_add_f64_e64 v[58:59], v[68:69], -v[58:59]
	v_cndmask_b32_e64 v25, 0, 0x3ff00000, vcc_lo
	v_add_co_ci_u32_e64 v20, null, 0, v20, vcc_lo
	v_add_f64_e32 v[18:19], v[18:19], v[58:59]
	s_delay_alu instid0(VALU_DEP_3) | instskip(NEXT) | instid1(VALU_DEP_1)
	v_add_f64_e64 v[58:59], v[60:61], -v[24:25]
	v_add_f64_e32 v[60:61], v[58:59], v[18:19]
	s_delay_alu instid0(VALU_DEP_1) | instskip(SKIP_1) | instid1(VALU_DEP_2)
	v_mul_f64_e32 v[62:63], 0x3ff921fb54442d18, v[60:61]
	v_add_f64_e64 v[58:59], v[60:61], -v[58:59]
	v_fma_f64 v[64:65], v[60:61], s[16:17], -v[62:63]
	s_delay_alu instid0(VALU_DEP_2) | instskip(NEXT) | instid1(VALU_DEP_2)
	v_add_f64_e64 v[18:19], v[18:19], -v[58:59]
	v_fmac_f64_e32 v[64:65], 0x3c91a62633145c07, v[60:61]
	s_delay_alu instid0(VALU_DEP_1) | instskip(NEXT) | instid1(VALU_DEP_1)
	v_fmac_f64_e32 v[64:65], 0x3ff921fb54442d18, v[18:19]
	v_add_f64_e32 v[18:19], v[62:63], v[64:65]
	s_delay_alu instid0(VALU_DEP_1) | instskip(NEXT) | instid1(VALU_DEP_1)
	v_add_f64_e64 v[58:59], v[18:19], -v[62:63]
	v_add_f64_e64 v[58:59], v[64:65], -v[58:59]
	s_and_not1_saveexec_b32 s38, s38
	s_cbranch_execz .LBB99_101
	s_branch .LBB99_100
.LBB99_99:                              ;   in Loop: Header=BB99_4 Depth=1
	s_and_not1_saveexec_b32 s38, s38
	s_cbranch_execz .LBB99_101
.LBB99_100:                             ;   in Loop: Header=BB99_4 Depth=1
	v_mul_f64_e64 v[18:19], |v[14:15]|, s[18:19]
	s_delay_alu instid0(VALU_DEP_1) | instskip(NEXT) | instid1(VALU_DEP_1)
	v_rndne_f64_e32 v[60:61], v[18:19]
	v_fma_f64 v[18:19], v[60:61], s[20:21], |v[14:15]|
	v_mul_f64_e32 v[58:59], 0xbc91a62633145c00, v[60:61]
	v_cvt_i32_f64_e32 v20, v[60:61]
	s_delay_alu instid0(VALU_DEP_3) | instskip(NEXT) | instid1(VALU_DEP_3)
	v_fmamk_f64 v[66:67], v[60:61], 0xbc91a62633145c00, v[18:19]
	v_add_f64_e32 v[62:63], v[18:19], v[58:59]
	s_delay_alu instid0(VALU_DEP_1) | instskip(NEXT) | instid1(VALU_DEP_3)
	v_add_f64_e64 v[64:65], v[18:19], -v[62:63]
	v_add_f64_e64 v[18:19], v[62:63], -v[66:67]
	s_delay_alu instid0(VALU_DEP_2) | instskip(SKIP_1) | instid1(VALU_DEP_2)
	v_add_f64_e32 v[62:63], v[64:65], v[58:59]
	v_fmamk_f64 v[58:59], v[60:61], 0x3c91a62633145c00, v[58:59]
	v_add_f64_e32 v[18:19], v[18:19], v[62:63]
	s_delay_alu instid0(VALU_DEP_1) | instskip(NEXT) | instid1(VALU_DEP_1)
	v_add_f64_e64 v[58:59], v[18:19], -v[58:59]
	v_fmac_f64_e32 v[58:59], 0xb97b839a252049c0, v[60:61]
	s_delay_alu instid0(VALU_DEP_1) | instskip(NEXT) | instid1(VALU_DEP_1)
	v_add_f64_e32 v[18:19], v[66:67], v[58:59]
	v_add_f64_e64 v[62:63], v[18:19], -v[66:67]
	s_delay_alu instid0(VALU_DEP_1)
	v_add_f64_e64 v[58:59], v[58:59], -v[62:63]
.LBB99_101:                             ;   in Loop: Header=BB99_4 Depth=1
	s_or_b32 exec_lo, exec_lo, s38
                                        ; implicit-def: $vgpr64
                                        ; implicit-def: $vgpr60_vgpr61
                                        ; implicit-def: $vgpr62_vgpr63
	s_and_saveexec_b32 s38, s37
	s_delay_alu instid0(SALU_CYCLE_1)
	s_xor_b32 s37, exec_lo, s38
	s_cbranch_execz .LBB99_103
; %bb.102:                              ;   in Loop: Header=BB99_4 Depth=1
	v_ldexp_f64 v[60:61], |v[14:15]|, 0xffffff80
	v_cmp_le_f64_e64 vcc_lo, 0x7b000000, |v[14:15]|
	v_trig_preop_f64 v[62:63], |v[14:15]|, 0
	v_and_b32_e32 v25, 0x7fffffff, v15
	v_trig_preop_f64 v[64:65], |v[14:15]|, 1
	v_trig_preop_f64 v[74:75], |v[14:15]|, 2
	s_delay_alu instid0(VALU_DEP_3) | instskip(NEXT) | instid1(VALU_DEP_1)
	v_dual_cndmask_b32 v61, v25, v61 :: v_dual_cndmask_b32 v60, v14, v60
	v_mul_f64_e32 v[66:67], v[62:63], v[60:61]
	s_delay_alu instid0(VALU_DEP_4) | instskip(NEXT) | instid1(VALU_DEP_4)
	v_mul_f64_e32 v[68:69], v[64:65], v[60:61]
	v_mul_f64_e32 v[80:81], v[74:75], v[60:61]
	s_delay_alu instid0(VALU_DEP_3) | instskip(NEXT) | instid1(VALU_DEP_3)
	v_fma_f64 v[62:63], v[62:63], v[60:61], -v[66:67]
	v_fma_f64 v[64:65], v[64:65], v[60:61], -v[68:69]
	s_delay_alu instid0(VALU_DEP_3) | instskip(NEXT) | instid1(VALU_DEP_3)
	v_fma_f64 v[60:61], v[74:75], v[60:61], -v[80:81]
	v_add_f64_e32 v[70:71], v[68:69], v[62:63]
	s_delay_alu instid0(VALU_DEP_1) | instskip(SKIP_1) | instid1(VALU_DEP_2)
	v_add_f64_e64 v[72:73], v[70:71], -v[68:69]
	v_add_f64_e32 v[78:79], v[66:67], v[70:71]
	v_add_f64_e64 v[76:77], v[70:71], -v[72:73]
	v_add_f64_e64 v[62:63], v[62:63], -v[72:73]
	s_delay_alu instid0(VALU_DEP_3) | instskip(NEXT) | instid1(VALU_DEP_3)
	v_ldexp_f64 v[72:73], v[78:79], -2
	v_add_f64_e64 v[68:69], v[68:69], -v[76:77]
	v_add_f64_e32 v[76:77], v[80:81], v[64:65]
	s_delay_alu instid0(VALU_DEP_3) | instskip(NEXT) | instid1(VALU_DEP_3)
	v_cmp_neq_f64_e64 vcc_lo, 0x7ff00000, |v[72:73]|
	v_add_f64_e32 v[62:63], v[62:63], v[68:69]
	v_fract_f64_e32 v[68:69], v[72:73]
	s_delay_alu instid0(VALU_DEP_1) | instskip(NEXT) | instid1(VALU_DEP_1)
	v_ldexp_f64 v[68:69], v[68:69], 2
	v_dual_add_f64 v[66:67], v[78:79], -v[66:67] :: v_dual_cndmask_b32 v68, 0, v68, vcc_lo
	s_delay_alu instid0(VALU_DEP_1) | instskip(SKIP_1) | instid1(VALU_DEP_1)
	v_dual_add_f64 v[66:67], v[70:71], -v[66:67] :: v_dual_cndmask_b32 v69, 0, v69, vcc_lo
	v_add_f64_e32 v[70:71], v[76:77], v[62:63]
	v_add_f64_e32 v[72:73], v[66:67], v[70:71]
	v_add_f64_e64 v[82:83], v[70:71], -v[76:77]
	s_delay_alu instid0(VALU_DEP_2) | instskip(NEXT) | instid1(VALU_DEP_2)
	v_add_f64_e32 v[78:79], v[72:73], v[68:69]
	v_add_f64_e64 v[88:89], v[70:71], -v[82:83]
	v_add_f64_e64 v[62:63], v[62:63], -v[82:83]
	;; [unrolled: 1-line block ×3, first 2 shown]
	s_delay_alu instid0(VALU_DEP_4) | instskip(SKIP_2) | instid1(VALU_DEP_2)
	v_cmp_gt_f64_e32 vcc_lo, 0, v[78:79]
	v_add_f64_e64 v[78:79], v[76:77], -v[80:81]
	v_cndmask_b32_e64 v25, 0, 0x40100000, vcc_lo
	v_add_f64_e64 v[86:87], v[76:77], -v[78:79]
	v_add_f64_e64 v[64:65], v[64:65], -v[78:79]
	;; [unrolled: 1-line block ×3, first 2 shown]
	s_delay_alu instid0(VALU_DEP_4) | instskip(NEXT) | instid1(VALU_DEP_4)
	v_add_f64_e32 v[68:69], v[68:69], v[24:25]
	v_add_f64_e64 v[78:79], v[80:81], -v[86:87]
	s_delay_alu instid0(VALU_DEP_3) | instskip(NEXT) | instid1(VALU_DEP_3)
	v_add_f64_e32 v[62:63], v[62:63], v[76:77]
	v_add_f64_e32 v[84:85], v[72:73], v[68:69]
	s_delay_alu instid0(VALU_DEP_3) | instskip(NEXT) | instid1(VALU_DEP_2)
	v_add_f64_e32 v[64:65], v[64:65], v[78:79]
	v_cvt_i32_f64_e32 v25, v[84:85]
	s_delay_alu instid0(VALU_DEP_2) | instskip(SKIP_1) | instid1(VALU_DEP_3)
	v_add_f64_e32 v[62:63], v[64:65], v[62:63]
	v_add_f64_e64 v[64:65], v[70:71], -v[66:67]
	v_cvt_f64_i32_e32 v[82:83], v25
	s_delay_alu instid0(VALU_DEP_3) | instskip(NEXT) | instid1(VALU_DEP_2)
	v_add_f64_e32 v[60:61], v[60:61], v[62:63]
	v_add_f64_e64 v[68:69], v[68:69], -v[82:83]
	s_delay_alu instid0(VALU_DEP_2) | instskip(NEXT) | instid1(VALU_DEP_2)
	v_add_f64_e32 v[60:61], v[64:65], v[60:61]
	v_add_f64_e32 v[74:75], v[72:73], v[68:69]
	s_delay_alu instid0(VALU_DEP_1) | instskip(SKIP_1) | instid1(VALU_DEP_2)
	v_add_f64_e64 v[62:63], v[74:75], -v[68:69]
	v_cmp_le_f64_e32 vcc_lo, 0.5, v[74:75]
	v_add_f64_e64 v[62:63], v[72:73], -v[62:63]
	v_add_co_ci_u32_e64 v64, null, 0, v25, vcc_lo
	v_cndmask_b32_e64 v25, 0, 0x3ff00000, vcc_lo
	s_delay_alu instid0(VALU_DEP_3) | instskip(NEXT) | instid1(VALU_DEP_2)
	v_add_f64_e32 v[60:61], v[60:61], v[62:63]
	v_add_f64_e64 v[62:63], v[74:75], -v[24:25]
	s_delay_alu instid0(VALU_DEP_1) | instskip(NEXT) | instid1(VALU_DEP_1)
	v_add_f64_e32 v[66:67], v[62:63], v[60:61]
	v_mul_f64_e32 v[68:69], 0x3ff921fb54442d18, v[66:67]
	v_add_f64_e64 v[62:63], v[66:67], -v[62:63]
	s_delay_alu instid0(VALU_DEP_2) | instskip(NEXT) | instid1(VALU_DEP_2)
	v_fma_f64 v[70:71], v[66:67], s[16:17], -v[68:69]
	v_add_f64_e64 v[60:61], v[60:61], -v[62:63]
	s_delay_alu instid0(VALU_DEP_2) | instskip(NEXT) | instid1(VALU_DEP_1)
	v_fmac_f64_e32 v[70:71], 0x3c91a62633145c07, v[66:67]
	v_fmac_f64_e32 v[70:71], 0x3ff921fb54442d18, v[60:61]
	s_delay_alu instid0(VALU_DEP_1) | instskip(NEXT) | instid1(VALU_DEP_1)
	v_add_f64_e32 v[60:61], v[68:69], v[70:71]
	v_add_f64_e64 v[62:63], v[60:61], -v[68:69]
	s_delay_alu instid0(VALU_DEP_1)
	v_add_f64_e64 v[62:63], v[70:71], -v[62:63]
	s_and_not1_saveexec_b32 s37, s37
	s_cbranch_execnz .LBB99_104
	s_branch .LBB99_105
.LBB99_103:                             ;   in Loop: Header=BB99_4 Depth=1
	s_and_not1_saveexec_b32 s37, s37
	s_cbranch_execz .LBB99_105
.LBB99_104:                             ;   in Loop: Header=BB99_4 Depth=1
	v_mul_f64_e64 v[60:61], |v[14:15]|, s[18:19]
	s_delay_alu instid0(VALU_DEP_1) | instskip(NEXT) | instid1(VALU_DEP_1)
	v_rndne_f64_e32 v[64:65], v[60:61]
	v_fma_f64 v[60:61], v[64:65], s[20:21], |v[14:15]|
	v_mul_f64_e32 v[62:63], 0xbc91a62633145c00, v[64:65]
	s_delay_alu instid0(VALU_DEP_2) | instskip(NEXT) | instid1(VALU_DEP_2)
	v_fmamk_f64 v[70:71], v[64:65], 0xbc91a62633145c00, v[60:61]
	v_add_f64_e32 v[66:67], v[60:61], v[62:63]
	s_delay_alu instid0(VALU_DEP_1) | instskip(NEXT) | instid1(VALU_DEP_3)
	v_add_f64_e64 v[68:69], v[60:61], -v[66:67]
	v_add_f64_e64 v[60:61], v[66:67], -v[70:71]
	s_delay_alu instid0(VALU_DEP_2) | instskip(SKIP_1) | instid1(VALU_DEP_2)
	v_add_f64_e32 v[66:67], v[68:69], v[62:63]
	v_fmamk_f64 v[62:63], v[64:65], 0x3c91a62633145c00, v[62:63]
	v_add_f64_e32 v[60:61], v[60:61], v[66:67]
	s_delay_alu instid0(VALU_DEP_1) | instskip(NEXT) | instid1(VALU_DEP_1)
	v_add_f64_e64 v[62:63], v[60:61], -v[62:63]
	v_fmac_f64_e32 v[62:63], 0xb97b839a252049c0, v[64:65]
	v_cvt_i32_f64_e32 v64, v[64:65]
	s_delay_alu instid0(VALU_DEP_2) | instskip(NEXT) | instid1(VALU_DEP_1)
	v_add_f64_e32 v[60:61], v[70:71], v[62:63]
	v_add_f64_e64 v[66:67], v[60:61], -v[70:71]
	s_delay_alu instid0(VALU_DEP_1)
	v_add_f64_e64 v[62:63], v[62:63], -v[66:67]
.LBB99_105:                             ;   in Loop: Header=BB99_4 Depth=1
	s_or_b32 exec_lo, exec_lo, s37
	v_dual_mul_f64 v[66:67], v[18:19], v[18:19] :: v_dual_bitop2_b32 v14, 1, v20 bitop3:0x40
	s_delay_alu instid0(VALU_DEP_2) | instskip(NEXT) | instid1(VALU_DEP_3)
	v_mul_f64_e32 v[78:79], 0.5, v[58:59]
	v_mul_f64_e32 v[90:91], 0.5, v[62:63]
	v_mul_f64_e64 v[72:73], |v[16:17]|, s[30:31]
	v_lshlrev_b32_e32 v20, 30, v20
	v_cmp_eq_u32_e32 vcc_lo, 0, v14
	s_delay_alu instid0(VALU_DEP_2) | instskip(SKIP_4) | instid1(VALU_DEP_2)
	v_xor_b32_e32 v15, v20, v15
	v_mul_f64_e32 v[70:71], 0.5, v[66:67]
	v_mul_f64_e64 v[80:81], v[18:19], -v[66:67]
	v_fmamk_f64 v[86:87], v[66:67], 0x3de5e0b2f9a43bb8, v[48:49]
	v_rndne_f64_e32 v[72:73], v[72:73]
	v_fmaak_f64 v[86:87], v[66:67], v[86:87], 0x3ec71de3796cde01
	s_delay_alu instid0(VALU_DEP_1) | instskip(NEXT) | instid1(VALU_DEP_1)
	v_fmaak_f64 v[86:87], v[66:67], v[86:87], 0xbf2a01a019e83e5c
	v_fmaak_f64 v[86:87], v[66:67], v[86:87], 0x3f81111111110bb3
	v_add_f64_e64 v[76:77], -v[70:71], 1.0
	s_delay_alu instid0(VALU_DEP_2) | instskip(SKIP_2) | instid1(VALU_DEP_4)
	v_fmac_f64_e32 v[78:79], v[80:81], v[86:87]
	v_fma_f64 v[88:89], v[72:73], s[22:23], -|v[16:17]|
	v_cvt_i32_f64_e32 v20, v[72:73]
	v_add_f64_e64 v[84:85], -v[76:77], 1.0
	s_delay_alu instid0(VALU_DEP_4) | instskip(NEXT) | instid1(VALU_DEP_4)
	v_fma_f64 v[78:79], v[66:67], v[78:79], -v[58:59]
	v_fmac_f64_e32 v[88:89], 0xbc7abc9e3b39803f, v[72:73]
	s_delay_alu instid0(VALU_DEP_3) | instskip(NEXT) | instid1(VALU_DEP_3)
	v_add_f64_e64 v[70:71], v[84:85], -v[70:71]
	v_fmac_f64_e32 v[78:79], 0xbfc5555555555555, v[80:81]
	s_delay_alu instid0(VALU_DEP_2) | instskip(NEXT) | instid1(VALU_DEP_2)
	v_fma_f64 v[58:59], v[18:19], -v[58:59], v[70:71]
	v_add_f64_e64 v[18:19], v[18:19], -v[78:79]
	v_mul_f64_e32 v[68:69], v[60:61], v[60:61]
	s_delay_alu instid0(VALU_DEP_1) | instskip(SKIP_1) | instid1(VALU_DEP_1)
	v_mul_f64_e64 v[92:93], v[60:61], -v[68:69]
	v_fmamk_f64 v[94:95], v[68:69], 0x3de5e0b2f9a43bb8, v[48:49]
	v_fmaak_f64 v[84:85], v[68:69], v[94:95], 0x3ec71de3796cde01
	v_fmamk_f64 v[94:95], v[66:67], 0xbda907db46cc5e42, v[46:47]
	s_delay_alu instid0(VALU_DEP_2) | instskip(NEXT) | instid1(VALU_DEP_2)
	v_fmaak_f64 v[84:85], v[68:69], v[84:85], 0xbf2a01a019e83e5c
	v_fmaak_f64 v[70:71], v[66:67], v[94:95], 0xbe927e4fa17f65f6
	s_delay_alu instid0(VALU_DEP_2) | instskip(NEXT) | instid1(VALU_DEP_2)
	v_fmaak_f64 v[84:85], v[68:69], v[84:85], 0x3f81111111110bb3
	v_fmaak_f64 v[70:71], v[66:67], v[70:71], 0x3efa01a019f4ec90
	s_delay_alu instid0(VALU_DEP_1) | instskip(NEXT) | instid1(VALU_DEP_3)
	v_fmaak_f64 v[70:71], v[66:67], v[70:71], 0xbf56c16c16c16967
	v_fmac_f64_e32 v[90:91], v[92:93], v[84:85]
	v_mul_f64_e32 v[84:85], v[66:67], v[66:67]
	s_delay_alu instid0(VALU_DEP_3) | instskip(NEXT) | instid1(VALU_DEP_1)
	v_fmaak_f64 v[66:67], v[66:67], v[70:71], 0x3fa5555555555555
	v_fmac_f64_e32 v[58:59], v[84:85], v[66:67]
	s_delay_alu instid0(VALU_DEP_1) | instskip(NEXT) | instid1(VALU_DEP_1)
	v_add_f64_e32 v[58:59], v[76:77], v[58:59]
	v_dual_mul_f64 v[74:75], 0.5, v[68:69] :: v_dual_cndmask_b32 v14, v58, v18, vcc_lo
	s_delay_alu instid0(VALU_DEP_2) | instskip(NEXT) | instid1(VALU_DEP_1)
	v_cndmask_b32_e32 v25, v59, v19, vcc_lo
	v_bitop3_b32 v15, v25, v15, 0x80000000 bitop3:0x78
	s_delay_alu instid0(VALU_DEP_1) | instskip(NEXT) | instid1(VALU_DEP_1)
	v_dual_mul_f64 v[14:15], 4.0, v[14:15] :: v_dual_bitop2_b32 v25, 1, v64 bitop3:0x40
	v_cmp_eq_u32_e32 vcc_lo, 0, v25
	v_add_f64_e64 v[82:83], -v[74:75], 1.0
	s_delay_alu instid0(VALU_DEP_1) | instskip(NEXT) | instid1(VALU_DEP_1)
	v_add_f64_e64 v[86:87], -v[82:83], 1.0
	v_add_f64_e64 v[74:75], v[86:87], -v[74:75]
	v_fmamk_f64 v[86:87], v[88:89], 0x3e5ade156a5dcb37, v[32:33]
	s_delay_alu instid0(VALU_DEP_1) | instskip(NEXT) | instid1(VALU_DEP_1)
	v_fmaak_f64 v[86:87], v[88:89], v[86:87], 0x3ec71dee623fde64
	v_fmaak_f64 v[86:87], v[88:89], v[86:87], 0x3efa01997c89e6b0
	s_delay_alu instid0(VALU_DEP_1) | instskip(SKIP_2) | instid1(VALU_DEP_3)
	v_fmaak_f64 v[70:71], v[88:89], v[86:87], 0x3f2a01a014761f6e
	v_fma_f64 v[86:87], v[68:69], v[90:91], -v[62:63]
	v_fmamk_f64 v[90:91], v[68:69], 0xbda907db46cc5e42, v[46:47]
	v_fmaak_f64 v[66:67], v[88:89], v[70:71], 0x3f56c16c1852b7b0
	s_delay_alu instid0(VALU_DEP_2) | instskip(SKIP_1) | instid1(VALU_DEP_3)
	v_fmaak_f64 v[70:71], v[68:69], v[90:91], 0xbe927e4fa17f65f6
	v_fma_f64 v[62:63], v[60:61], -v[62:63], v[74:75]
	v_fmaak_f64 v[66:67], v[88:89], v[66:67], 0x3f81111111122322
	s_delay_alu instid0(VALU_DEP_3) | instskip(NEXT) | instid1(VALU_DEP_2)
	v_fmaak_f64 v[70:71], v[68:69], v[70:71], 0x3efa01a019f4ec90
	v_fmaak_f64 v[66:67], v[88:89], v[66:67], 0x3fa55555555502a1
	s_delay_alu instid0(VALU_DEP_2) | instskip(NEXT) | instid1(VALU_DEP_2)
	v_fmaak_f64 v[70:71], v[68:69], v[70:71], 0xbf56c16c16c16967
	v_fmaak_f64 v[66:67], v[88:89], v[66:67], 0x3fc5555555555511
	v_fmac_f64_e32 v[86:87], 0xbfc5555555555555, v[92:93]
	s_delay_alu instid0(VALU_DEP_2) | instskip(NEXT) | instid1(VALU_DEP_1)
	v_fmaak_f64 v[66:67], v[88:89], v[66:67], 0x3fe000000000000b
	v_fma_f64 v[66:67], v[88:89], v[66:67], 1.0
	s_delay_alu instid0(VALU_DEP_3) | instskip(NEXT) | instid1(VALU_DEP_2)
	v_add_f64_e64 v[60:61], v[60:61], -v[86:87]
	v_fma_f64 v[18:19], v[88:89], v[66:67], 1.0
	s_delay_alu instid0(VALU_DEP_2) | instskip(NEXT) | instid1(VALU_DEP_2)
	v_xor_b32_e32 v59, 0x80000000, v61
	v_ldexp_f64 v[18:19], v[18:19], v20
	v_mul_f64_e32 v[94:95], v[68:69], v[68:69]
	v_fmaak_f64 v[68:69], v[68:69], v[70:71], 0x3fa5555555555555
	s_delay_alu instid0(VALU_DEP_1) | instskip(NEXT) | instid1(VALU_DEP_1)
	v_fmac_f64_e32 v[62:63], v[94:95], v[68:69]
	v_add_f64_e32 v[62:63], v[82:83], v[62:63]
	s_delay_alu instid0(VALU_DEP_1) | instskip(NEXT) | instid1(VALU_DEP_2)
	v_dual_cndmask_b32 v25, v59, v63, vcc_lo :: v_dual_lshlrev_b32 v59, 30, v64
	v_cndmask_b32_e32 v58, v60, v62, vcc_lo
	v_cmp_nlt_f64_e64 vcc_lo, 0x4090cc00, |v[16:17]|
	s_delay_alu instid0(VALU_DEP_3) | instskip(SKIP_1) | instid1(VALU_DEP_2)
	v_bitop3_b32 v59, v25, v59, 0x80000000 bitop3:0x78
	v_bfi_b32 v25, 0x7fffffff, s33, v21
	v_mul_f64_e32 v[14:15], v[14:15], v[58:59]
	s_delay_alu instid0(VALU_DEP_2) | instskip(SKIP_1) | instid1(VALU_DEP_1)
	v_mov_b64_e32 v[20:21], v[24:25]
	v_dual_cndmask_b32 v17, 0, v19 :: v_dual_cndmask_b32 v16, 0, v18
	v_mul_f64_e32 v[14:15], v[16:17], v[14:15]
	s_delay_alu instid0(VALU_DEP_1)
	v_mul_f64_e32 v[18:19], v[16:17], v[14:15]
.LBB99_106:                             ;   in Loop: Header=BB99_4 Depth=1
	s_or_b32 exec_lo, exec_lo, s6
                                        ; implicit-def: $vgpr14_vgpr15
.LBB99_107:                             ;   in Loop: Header=BB99_4 Depth=1
	s_and_not1_saveexec_b32 s6, s36
	s_cbranch_execz .LBB99_109
; %bb.108:                              ;   in Loop: Header=BB99_4 Depth=1
	v_add_f64_e64 v[18:19], v[14:15], -v[14:15]
	s_delay_alu instid0(VALU_DEP_1)
	v_mov_b64_e32 v[20:21], v[18:19]
.LBB99_109:                             ;   in Loop: Header=BB99_4 Depth=1
	s_or_b32 exec_lo, exec_lo, s6
                                        ; implicit-def: $vgpr14_vgpr15
.LBB99_110:                             ;   in Loop: Header=BB99_4 Depth=1
	s_and_not1_saveexec_b32 s36, s7
	s_cbranch_execz .LBB99_126
; %bb.111:                              ;   in Loop: Header=BB99_4 Depth=1
	s_delay_alu instid0(VALU_DEP_1) | instskip(SKIP_1) | instid1(VALU_DEP_1)
	v_and_or_b32 v18, 0xfffff, v21, v20
	s_mov_b32 s6, exec_lo
	v_cmpx_ne_u32_e32 0, v18
	s_xor_b32 s6, exec_lo, s6
	s_cbranch_execz .LBB99_113
; %bb.112:                              ;   in Loop: Header=BB99_4 Depth=1
	v_mul_f64_e64 v[16:17], v[14:15], -v[16:17]
	v_cmp_eq_f64_e32 vcc_lo, 0, v[14:15]
	s_delay_alu instid0(VALU_DEP_2)
	v_dual_cndmask_b32 v19, v17, v15 :: v_dual_cndmask_b32 v18, v16, v14
                                        ; implicit-def: $vgpr14_vgpr15
.LBB99_113:                             ;   in Loop: Header=BB99_4 Depth=1
	s_and_not1_saveexec_b32 s37, s6
	s_cbranch_execz .LBB99_125
; %bb.114:                              ;   in Loop: Header=BB99_4 Depth=1
	s_mov_b32 s38, exec_lo
	v_cmpx_neq_f64_e64 0x7ff00000, |v[14:15]|
	s_cbranch_execz .LBB99_124
; %bb.115:                              ;   in Loop: Header=BB99_4 Depth=1
	v_cmp_ngt_f64_e64 s6, 0x41d00000, |v[14:15]|
	v_trig_preop_f64 v[62:63], |v[14:15]|, 0
	v_trig_preop_f64 v[60:61], |v[14:15]|, 1
	v_ldexp_f64 v[64:65], |v[14:15]|, 0xffffff80
	v_trig_preop_f64 v[58:59], |v[14:15]|, 2
	v_and_b32_e32 v73, 0x7fffffff, v15
                                        ; implicit-def: $vgpr72
                                        ; implicit-def: $vgpr16_vgpr17
                                        ; implicit-def: $vgpr18_vgpr19
	s_and_saveexec_b32 s7, s6
	s_delay_alu instid0(SALU_CYCLE_1)
	s_xor_b32 s7, exec_lo, s7
	s_cbranch_execz .LBB99_117
; %bb.116:                              ;   in Loop: Header=BB99_4 Depth=1
	v_cmp_le_f64_e64 vcc_lo, 0x7b000000, |v[14:15]|
	s_delay_alu instid0(VALU_DEP_4) | instskip(NEXT) | instid1(VALU_DEP_1)
	v_dual_cndmask_b32 v17, v73, v65 :: v_dual_cndmask_b32 v16, v14, v64
	v_mul_f64_e32 v[18:19], v[62:63], v[16:17]
	v_mul_f64_e32 v[66:67], v[60:61], v[16:17]
	v_mul_f64_e32 v[80:81], v[58:59], v[16:17]
	s_delay_alu instid0(VALU_DEP_3) | instskip(NEXT) | instid1(VALU_DEP_3)
	v_fma_f64 v[68:69], v[62:63], v[16:17], -v[18:19]
	v_fma_f64 v[82:83], v[60:61], v[16:17], -v[66:67]
	s_delay_alu instid0(VALU_DEP_3) | instskip(NEXT) | instid1(VALU_DEP_3)
	v_fma_f64 v[16:17], v[58:59], v[16:17], -v[80:81]
	v_add_f64_e32 v[70:71], v[66:67], v[68:69]
	s_delay_alu instid0(VALU_DEP_1) | instskip(SKIP_1) | instid1(VALU_DEP_2)
	v_add_f64_e64 v[74:75], v[70:71], -v[66:67]
	v_add_f64_e32 v[78:79], v[18:19], v[70:71]
	v_add_f64_e64 v[76:77], v[70:71], -v[74:75]
	v_add_f64_e64 v[68:69], v[68:69], -v[74:75]
	s_delay_alu instid0(VALU_DEP_3) | instskip(SKIP_1) | instid1(VALU_DEP_4)
	v_ldexp_f64 v[74:75], v[78:79], -2
	v_add_f64_e64 v[18:19], v[78:79], -v[18:19]
	v_add_f64_e64 v[66:67], v[66:67], -v[76:77]
	v_add_f64_e32 v[76:77], v[80:81], v[82:83]
	s_delay_alu instid0(VALU_DEP_4) | instskip(NEXT) | instid1(VALU_DEP_4)
	v_cmp_neq_f64_e64 vcc_lo, 0x7ff00000, |v[74:75]|
	v_add_f64_e64 v[18:19], v[70:71], -v[18:19]
	s_delay_alu instid0(VALU_DEP_4) | instskip(SKIP_1) | instid1(VALU_DEP_2)
	v_add_f64_e32 v[66:67], v[68:69], v[66:67]
	v_fract_f64_e32 v[68:69], v[74:75]
	v_add_f64_e32 v[70:71], v[76:77], v[66:67]
	s_delay_alu instid0(VALU_DEP_2) | instskip(NEXT) | instid1(VALU_DEP_1)
	v_ldexp_f64 v[68:69], v[68:69], 2
	v_dual_add_f64 v[74:75], v[18:19], v[70:71] :: v_dual_cndmask_b32 v69, 0, v69, vcc_lo
	s_delay_alu instid0(VALU_DEP_2) | instskip(SKIP_1) | instid1(VALU_DEP_2)
	v_cndmask_b32_e32 v68, 0, v68, vcc_lo
	v_add_f64_e64 v[84:85], v[70:71], -v[76:77]
	v_add_f64_e32 v[78:79], v[74:75], v[68:69]
	v_add_f64_e64 v[18:19], v[74:75], -v[18:19]
	s_delay_alu instid0(VALU_DEP_3) | instskip(SKIP_1) | instid1(VALU_DEP_4)
	v_add_f64_e64 v[90:91], v[70:71], -v[84:85]
	v_add_f64_e64 v[66:67], v[66:67], -v[84:85]
	v_cmp_gt_f64_e32 vcc_lo, 0, v[78:79]
	v_add_f64_e64 v[78:79], v[76:77], -v[80:81]
	v_add_f64_e64 v[18:19], v[70:71], -v[18:19]
	v_cndmask_b32_e64 v25, 0, 0x40100000, vcc_lo
	s_delay_alu instid0(VALU_DEP_3) | instskip(SKIP_2) | instid1(VALU_DEP_4)
	v_add_f64_e64 v[88:89], v[76:77], -v[78:79]
	v_add_f64_e64 v[78:79], v[82:83], -v[78:79]
	;; [unrolled: 1-line block ×3, first 2 shown]
	v_add_f64_e32 v[68:69], v[68:69], v[24:25]
	s_delay_alu instid0(VALU_DEP_4) | instskip(NEXT) | instid1(VALU_DEP_3)
	v_add_f64_e64 v[82:83], v[80:81], -v[88:89]
	v_add_f64_e32 v[66:67], v[66:67], v[76:77]
	s_delay_alu instid0(VALU_DEP_3) | instskip(NEXT) | instid1(VALU_DEP_3)
	v_add_f64_e32 v[86:87], v[74:75], v[68:69]
	v_add_f64_e32 v[78:79], v[78:79], v[82:83]
	s_delay_alu instid0(VALU_DEP_2) | instskip(NEXT) | instid1(VALU_DEP_2)
	v_cvt_i32_f64_e32 v25, v[86:87]
	v_add_f64_e32 v[66:67], v[78:79], v[66:67]
	s_delay_alu instid0(VALU_DEP_2) | instskip(NEXT) | instid1(VALU_DEP_2)
	v_cvt_f64_i32_e32 v[84:85], v25
	v_add_f64_e32 v[16:17], v[16:17], v[66:67]
	s_delay_alu instid0(VALU_DEP_2) | instskip(NEXT) | instid1(VALU_DEP_2)
	v_add_f64_e64 v[68:69], v[68:69], -v[84:85]
	v_add_f64_e32 v[16:17], v[18:19], v[16:17]
	s_delay_alu instid0(VALU_DEP_2) | instskip(NEXT) | instid1(VALU_DEP_1)
	v_add_f64_e32 v[76:77], v[74:75], v[68:69]
	v_add_f64_e64 v[66:67], v[76:77], -v[68:69]
	v_cmp_le_f64_e32 vcc_lo, 0.5, v[76:77]
	s_delay_alu instid0(VALU_DEP_2) | instskip(SKIP_2) | instid1(VALU_DEP_3)
	v_add_f64_e64 v[18:19], v[74:75], -v[66:67]
	v_add_co_ci_u32_e64 v72, null, 0, v25, vcc_lo
	v_cndmask_b32_e64 v25, 0, 0x3ff00000, vcc_lo
	v_add_f64_e32 v[16:17], v[16:17], v[18:19]
	s_delay_alu instid0(VALU_DEP_2) | instskip(NEXT) | instid1(VALU_DEP_1)
	v_add_f64_e64 v[18:19], v[76:77], -v[24:25]
	v_add_f64_e32 v[66:67], v[18:19], v[16:17]
	s_delay_alu instid0(VALU_DEP_1) | instskip(SKIP_1) | instid1(VALU_DEP_2)
	v_mul_f64_e32 v[68:69], 0x3ff921fb54442d18, v[66:67]
	v_add_f64_e64 v[18:19], v[66:67], -v[18:19]
	v_fma_f64 v[70:71], v[66:67], s[16:17], -v[68:69]
	s_delay_alu instid0(VALU_DEP_2) | instskip(NEXT) | instid1(VALU_DEP_2)
	v_add_f64_e64 v[16:17], v[16:17], -v[18:19]
	v_fmac_f64_e32 v[70:71], 0x3c91a62633145c07, v[66:67]
	s_delay_alu instid0(VALU_DEP_1) | instskip(NEXT) | instid1(VALU_DEP_1)
	v_fmac_f64_e32 v[70:71], 0x3ff921fb54442d18, v[16:17]
	v_add_f64_e32 v[16:17], v[68:69], v[70:71]
	s_delay_alu instid0(VALU_DEP_1) | instskip(NEXT) | instid1(VALU_DEP_1)
	v_add_f64_e64 v[18:19], v[16:17], -v[68:69]
	v_add_f64_e64 v[18:19], v[70:71], -v[18:19]
.LBB99_117:                             ;   in Loop: Header=BB99_4 Depth=1
	s_or_saveexec_b32 s7, s7
	v_mul_f64_e64 v[66:67], |v[14:15]|, s[18:19]
	s_delay_alu instid0(VALU_DEP_1)
	v_rndne_f64_e32 v[70:71], v[66:67]
	s_xor_b32 exec_lo, exec_lo, s7
	s_cbranch_execz .LBB99_119
; %bb.118:                              ;   in Loop: Header=BB99_4 Depth=1
	s_delay_alu instid0(VALU_DEP_1) | instskip(SKIP_2) | instid1(VALU_DEP_3)
	v_fma_f64 v[16:17], v[70:71], s[20:21], |v[14:15]|
	v_mul_f64_e32 v[18:19], 0xbc91a62633145c00, v[70:71]
	v_cvt_i32_f64_e32 v72, v[70:71]
	v_fmamk_f64 v[74:75], v[70:71], 0xbc91a62633145c00, v[16:17]
	s_delay_alu instid0(VALU_DEP_3) | instskip(NEXT) | instid1(VALU_DEP_1)
	v_add_f64_e32 v[66:67], v[16:17], v[18:19]
	v_add_f64_e64 v[68:69], v[16:17], -v[66:67]
	s_delay_alu instid0(VALU_DEP_3) | instskip(NEXT) | instid1(VALU_DEP_2)
	v_add_f64_e64 v[16:17], v[66:67], -v[74:75]
	v_add_f64_e32 v[66:67], v[68:69], v[18:19]
	v_fmamk_f64 v[18:19], v[70:71], 0x3c91a62633145c00, v[18:19]
	s_delay_alu instid0(VALU_DEP_2) | instskip(NEXT) | instid1(VALU_DEP_1)
	v_add_f64_e32 v[16:17], v[16:17], v[66:67]
	v_add_f64_e64 v[18:19], v[16:17], -v[18:19]
	s_delay_alu instid0(VALU_DEP_1) | instskip(NEXT) | instid1(VALU_DEP_1)
	v_fmac_f64_e32 v[18:19], 0xb97b839a252049c0, v[70:71]
	v_add_f64_e32 v[16:17], v[74:75], v[18:19]
	s_delay_alu instid0(VALU_DEP_1) | instskip(NEXT) | instid1(VALU_DEP_1)
	v_add_f64_e64 v[66:67], v[16:17], -v[74:75]
	v_add_f64_e64 v[18:19], v[18:19], -v[66:67]
.LBB99_119:                             ;   in Loop: Header=BB99_4 Depth=1
	s_or_b32 exec_lo, exec_lo, s7
                                        ; implicit-def: $vgpr74
                                        ; implicit-def: $vgpr66_vgpr67
                                        ; implicit-def: $vgpr68_vgpr69
	s_and_saveexec_b32 s7, s6
	s_delay_alu instid0(SALU_CYCLE_1)
	s_xor_b32 s6, exec_lo, s7
	s_cbranch_execz .LBB99_121
; %bb.120:                              ;   in Loop: Header=BB99_4 Depth=1
	v_cmp_le_f64_e64 vcc_lo, 0x7b000000, |v[14:15]|
	v_dual_cndmask_b32 v65, v73, v65 :: v_dual_cndmask_b32 v64, v14, v64
	s_delay_alu instid0(VALU_DEP_1) | instskip(SKIP_2) | instid1(VALU_DEP_3)
	v_mul_f64_e32 v[66:67], v[62:63], v[64:65]
	v_mul_f64_e32 v[68:69], v[60:61], v[64:65]
	;; [unrolled: 1-line block ×3, first 2 shown]
	v_fma_f64 v[62:63], v[62:63], v[64:65], -v[66:67]
	s_delay_alu instid0(VALU_DEP_3) | instskip(NEXT) | instid1(VALU_DEP_3)
	v_fma_f64 v[60:61], v[60:61], v[64:65], -v[68:69]
	v_fma_f64 v[58:59], v[58:59], v[64:65], -v[80:81]
	s_delay_alu instid0(VALU_DEP_3) | instskip(NEXT) | instid1(VALU_DEP_1)
	v_add_f64_e32 v[70:71], v[68:69], v[62:63]
	v_add_f64_e64 v[74:75], v[70:71], -v[68:69]
	v_add_f64_e32 v[78:79], v[66:67], v[70:71]
	s_delay_alu instid0(VALU_DEP_2) | instskip(SKIP_1) | instid1(VALU_DEP_3)
	v_add_f64_e64 v[76:77], v[70:71], -v[74:75]
	v_add_f64_e64 v[62:63], v[62:63], -v[74:75]
	v_ldexp_f64 v[74:75], v[78:79], -2
	v_add_f64_e64 v[66:67], v[78:79], -v[66:67]
	s_delay_alu instid0(VALU_DEP_4) | instskip(SKIP_1) | instid1(VALU_DEP_4)
	v_add_f64_e64 v[68:69], v[68:69], -v[76:77]
	v_add_f64_e32 v[76:77], v[80:81], v[60:61]
	v_cmp_neq_f64_e64 vcc_lo, 0x7ff00000, |v[74:75]|
	s_delay_alu instid0(VALU_DEP_3) | instskip(SKIP_1) | instid1(VALU_DEP_1)
	v_add_f64_e32 v[62:63], v[62:63], v[68:69]
	v_fract_f64_e32 v[68:69], v[74:75]
	v_ldexp_f64 v[68:69], v[68:69], 2
	s_delay_alu instid0(VALU_DEP_1) | instskip(NEXT) | instid1(VALU_DEP_2)
	v_dual_add_f64 v[66:67], v[70:71], -v[66:67] :: v_dual_cndmask_b32 v69, 0, v69, vcc_lo
	v_dual_add_f64 v[70:71], v[76:77], v[62:63] :: v_dual_cndmask_b32 v68, 0, v68, vcc_lo
	s_delay_alu instid0(VALU_DEP_1) | instskip(SKIP_1) | instid1(VALU_DEP_2)
	v_add_f64_e32 v[74:75], v[66:67], v[70:71]
	v_add_f64_e64 v[82:83], v[70:71], -v[76:77]
	v_add_f64_e32 v[78:79], v[74:75], v[68:69]
	s_delay_alu instid0(VALU_DEP_2) | instskip(SKIP_2) | instid1(VALU_DEP_4)
	v_add_f64_e64 v[88:89], v[70:71], -v[82:83]
	v_add_f64_e64 v[62:63], v[62:63], -v[82:83]
	v_add_f64_e64 v[64:65], v[74:75], -v[66:67]
	v_cmp_gt_f64_e32 vcc_lo, 0, v[78:79]
	v_add_f64_e64 v[78:79], v[76:77], -v[80:81]
	s_delay_alu instid0(VALU_DEP_3) | instskip(SKIP_1) | instid1(VALU_DEP_3)
	v_add_f64_e64 v[64:65], v[70:71], -v[64:65]
                                        ; implicit-def: $vgpr70_vgpr71
	v_cndmask_b32_e64 v25, 0, 0x40100000, vcc_lo
	v_add_f64_e64 v[86:87], v[76:77], -v[78:79]
	v_add_f64_e64 v[60:61], v[60:61], -v[78:79]
	;; [unrolled: 1-line block ×3, first 2 shown]
	s_delay_alu instid0(VALU_DEP_4) | instskip(NEXT) | instid1(VALU_DEP_4)
	v_add_f64_e32 v[68:69], v[68:69], v[24:25]
	v_add_f64_e64 v[78:79], v[80:81], -v[86:87]
	s_delay_alu instid0(VALU_DEP_3) | instskip(NEXT) | instid1(VALU_DEP_3)
	v_add_f64_e32 v[62:63], v[62:63], v[76:77]
	v_add_f64_e32 v[84:85], v[74:75], v[68:69]
	s_delay_alu instid0(VALU_DEP_3) | instskip(NEXT) | instid1(VALU_DEP_2)
	v_add_f64_e32 v[60:61], v[60:61], v[78:79]
	v_cvt_i32_f64_e32 v25, v[84:85]
	s_delay_alu instid0(VALU_DEP_2) | instskip(NEXT) | instid1(VALU_DEP_2)
	v_add_f64_e32 v[60:61], v[60:61], v[62:63]
	v_cvt_f64_i32_e32 v[82:83], v25
	s_delay_alu instid0(VALU_DEP_2) | instskip(NEXT) | instid1(VALU_DEP_2)
	v_add_f64_e32 v[58:59], v[58:59], v[60:61]
	v_add_f64_e64 v[68:69], v[68:69], -v[82:83]
	s_delay_alu instid0(VALU_DEP_2) | instskip(NEXT) | instid1(VALU_DEP_2)
	v_add_f64_e32 v[58:59], v[64:65], v[58:59]
	v_add_f64_e32 v[62:63], v[74:75], v[68:69]
	s_delay_alu instid0(VALU_DEP_1) | instskip(SKIP_1) | instid1(VALU_DEP_2)
	v_add_f64_e64 v[60:61], v[62:63], -v[68:69]
	v_cmp_le_f64_e32 vcc_lo, 0.5, v[62:63]
	v_add_f64_e64 v[60:61], v[74:75], -v[60:61]
	v_add_co_ci_u32_e64 v74, null, 0, v25, vcc_lo
	v_cndmask_b32_e64 v25, 0, 0x3ff00000, vcc_lo
	s_delay_alu instid0(VALU_DEP_3) | instskip(NEXT) | instid1(VALU_DEP_2)
	v_add_f64_e32 v[58:59], v[58:59], v[60:61]
	v_add_f64_e64 v[60:61], v[62:63], -v[24:25]
	s_delay_alu instid0(VALU_DEP_1) | instskip(NEXT) | instid1(VALU_DEP_1)
	v_add_f64_e32 v[62:63], v[60:61], v[58:59]
	v_mul_f64_e32 v[64:65], 0x3ff921fb54442d18, v[62:63]
	v_add_f64_e64 v[60:61], v[62:63], -v[60:61]
	s_delay_alu instid0(VALU_DEP_2) | instskip(NEXT) | instid1(VALU_DEP_2)
	v_fma_f64 v[68:69], v[62:63], s[16:17], -v[64:65]
	v_add_f64_e64 v[58:59], v[58:59], -v[60:61]
	s_delay_alu instid0(VALU_DEP_2) | instskip(NEXT) | instid1(VALU_DEP_1)
	v_fmac_f64_e32 v[68:69], 0x3c91a62633145c07, v[62:63]
	v_fmac_f64_e32 v[68:69], 0x3ff921fb54442d18, v[58:59]
	s_delay_alu instid0(VALU_DEP_1) | instskip(NEXT) | instid1(VALU_DEP_1)
	v_add_f64_e32 v[66:67], v[64:65], v[68:69]
	v_add_f64_e64 v[58:59], v[66:67], -v[64:65]
	s_delay_alu instid0(VALU_DEP_1)
	v_add_f64_e64 v[68:69], v[68:69], -v[58:59]
	s_and_not1_saveexec_b32 s6, s6
	s_cbranch_execnz .LBB99_122
	s_branch .LBB99_123
.LBB99_121:                             ;   in Loop: Header=BB99_4 Depth=1
	s_and_not1_saveexec_b32 s6, s6
	s_cbranch_execz .LBB99_123
.LBB99_122:                             ;   in Loop: Header=BB99_4 Depth=1
	s_delay_alu instid0(VALU_DEP_1) | instskip(SKIP_2) | instid1(VALU_DEP_2)
	v_fma_f64 v[58:59], v[70:71], s[20:21], |v[14:15]|
	v_mul_f64_e32 v[60:61], 0xbc91a62633145c00, v[70:71]
	v_cvt_i32_f64_e32 v74, v[70:71]
	v_add_f64_e32 v[62:63], v[58:59], v[60:61]
	s_delay_alu instid0(VALU_DEP_1) | instskip(SKIP_1) | instid1(VALU_DEP_1)
	v_add_f64_e64 v[64:65], v[58:59], -v[62:63]
	v_fmamk_f64 v[58:59], v[70:71], 0xbc91a62633145c00, v[58:59]
	v_add_f64_e64 v[62:63], v[62:63], -v[58:59]
	s_delay_alu instid0(VALU_DEP_3) | instskip(SKIP_1) | instid1(VALU_DEP_2)
	v_add_f64_e32 v[64:65], v[64:65], v[60:61]
	v_fmamk_f64 v[60:61], v[70:71], 0x3c91a62633145c00, v[60:61]
	v_add_f64_e32 v[62:63], v[62:63], v[64:65]
	s_delay_alu instid0(VALU_DEP_1) | instskip(NEXT) | instid1(VALU_DEP_1)
	v_add_f64_e64 v[60:61], v[62:63], -v[60:61]
	v_fmac_f64_e32 v[60:61], 0xb97b839a252049c0, v[70:71]
	s_delay_alu instid0(VALU_DEP_1) | instskip(NEXT) | instid1(VALU_DEP_1)
	v_add_f64_e32 v[66:67], v[58:59], v[60:61]
	v_add_f64_e64 v[58:59], v[66:67], -v[58:59]
	s_delay_alu instid0(VALU_DEP_1)
	v_add_f64_e64 v[68:69], v[60:61], -v[58:59]
.LBB99_123:                             ;   in Loop: Header=BB99_4 Depth=1
	s_or_b32 exec_lo, exec_lo, s6
	v_mul_f64_e32 v[58:59], v[16:17], v[16:17]
	v_dual_mul_f64 v[60:61], v[66:67], v[66:67] :: v_dual_bitop2_b32 v25, 1, v72 bitop3:0x40
	v_cmp_class_f64_e64 s6, v[14:15], 0x1f8
	v_and_b32_e32 v14, 1, v74
	v_mul_f64_e32 v[78:79], 0.5, v[18:19]
	v_mul_f64_e32 v[86:87], 0.5, v[68:69]
	v_cmp_eq_u32_e32 vcc_lo, 0, v25
	s_delay_alu instid0(VALU_DEP_4)
	v_cmp_eq_u32_e64 s7, 0, v14
	v_lshlrev_b32_e32 v14, 30, v74
	v_mul_f64_e32 v[62:63], 0.5, v[58:59]
	v_mul_f64_e32 v[64:65], 0.5, v[60:61]
	v_mul_f64_e64 v[80:81], v[16:17], -v[58:59]
	v_fmamk_f64 v[84:85], v[58:59], 0x3de5e0b2f9a43bb8, v[48:49]
	v_mul_f64_e64 v[88:89], v[66:67], -v[60:61]
	v_fmamk_f64 v[90:91], v[60:61], 0x3de5e0b2f9a43bb8, v[48:49]
	s_delay_alu instid0(VALU_DEP_3) | instskip(NEXT) | instid1(VALU_DEP_2)
	v_fmaak_f64 v[84:85], v[58:59], v[84:85], 0x3ec71de3796cde01
	v_fmaak_f64 v[90:91], v[60:61], v[90:91], 0x3ec71de3796cde01
	s_delay_alu instid0(VALU_DEP_2) | instskip(NEXT) | instid1(VALU_DEP_1)
	v_fmaak_f64 v[84:85], v[58:59], v[84:85], 0xbf2a01a019e83e5c
	v_fmaak_f64 v[84:85], v[58:59], v[84:85], 0x3f81111111110bb3
	v_add_f64_e64 v[70:71], -v[62:63], 1.0
	v_add_f64_e64 v[76:77], -v[64:65], 1.0
	s_delay_alu instid0(VALU_DEP_3) | instskip(SKIP_1) | instid1(VALU_DEP_4)
	v_fmac_f64_e32 v[78:79], v[80:81], v[84:85]
	v_mul_f64_e32 v[84:85], v[58:59], v[58:59]
	v_add_f64_e64 v[82:83], -v[70:71], 1.0
	s_delay_alu instid0(VALU_DEP_4) | instskip(NEXT) | instid1(VALU_DEP_4)
	v_add_f64_e64 v[92:93], -v[76:77], 1.0
	v_fma_f64 v[78:79], v[58:59], v[78:79], -v[18:19]
	s_delay_alu instid0(VALU_DEP_3) | instskip(SKIP_1) | instid1(VALU_DEP_4)
	v_add_f64_e64 v[62:63], v[82:83], -v[62:63]
	v_fmaak_f64 v[82:83], v[60:61], v[90:91], 0xbf2a01a019e83e5c
	v_add_f64_e64 v[64:65], v[92:93], -v[64:65]
	v_mul_f64_e32 v[90:91], v[60:61], v[60:61]
	v_fmac_f64_e32 v[78:79], 0xbfc5555555555555, v[80:81]
	s_delay_alu instid0(VALU_DEP_4) | instskip(NEXT) | instid1(VALU_DEP_1)
	v_fmaak_f64 v[82:83], v[60:61], v[82:83], 0x3f81111111110bb3
	v_fmac_f64_e32 v[86:87], v[88:89], v[82:83]
	v_fmamk_f64 v[82:83], v[58:59], 0xbda907db46cc5e42, v[46:47]
	v_fma_f64 v[18:19], v[16:17], -v[18:19], v[62:63]
	s_delay_alu instid0(VALU_DEP_2) | instskip(SKIP_2) | instid1(VALU_DEP_3)
	v_fmaak_f64 v[62:63], v[58:59], v[82:83], 0xbe927e4fa17f65f6
	v_fma_f64 v[64:65], v[66:67], -v[68:69], v[64:65]
	v_add_f64_e64 v[16:17], v[16:17], -v[78:79]
	v_fmaak_f64 v[62:63], v[58:59], v[62:63], 0x3efa01a019f4ec90
	v_fma_f64 v[82:83], v[60:61], v[86:87], -v[68:69]
	s_delay_alu instid0(VALU_DEP_2) | instskip(SKIP_1) | instid1(VALU_DEP_2)
	v_fmaak_f64 v[62:63], v[58:59], v[62:63], 0xbf56c16c16c16967
	v_fmamk_f64 v[86:87], v[60:61], 0xbda907db46cc5e42, v[46:47]
	v_fmaak_f64 v[58:59], v[58:59], v[62:63], 0x3fa5555555555555
	s_delay_alu instid0(VALU_DEP_2) | instskip(NEXT) | instid1(VALU_DEP_2)
	v_fmaak_f64 v[62:63], v[60:61], v[86:87], 0xbe927e4fa17f65f6
	v_fmac_f64_e32 v[18:19], v[84:85], v[58:59]
	s_delay_alu instid0(VALU_DEP_2) | instskip(NEXT) | instid1(VALU_DEP_1)
	v_fmaak_f64 v[58:59], v[60:61], v[62:63], 0x3efa01a019f4ec90
	v_fmaak_f64 v[58:59], v[60:61], v[58:59], 0xbf56c16c16c16967
	s_delay_alu instid0(VALU_DEP_1) | instskip(SKIP_1) | instid1(VALU_DEP_2)
	v_fmaak_f64 v[58:59], v[60:61], v[58:59], 0x3fa5555555555555
	v_fmac_f64_e32 v[82:83], 0xbfc5555555555555, v[88:89]
	v_fmac_f64_e32 v[64:65], v[90:91], v[58:59]
	v_add_f64_e32 v[18:19], v[70:71], v[18:19]
	s_delay_alu instid0(VALU_DEP_3) | instskip(NEXT) | instid1(VALU_DEP_3)
	v_add_f64_e64 v[58:59], v[66:67], -v[82:83]
	v_add_f64_e32 v[60:61], v[76:77], v[64:65]
	s_delay_alu instid0(VALU_DEP_3) | instskip(NEXT) | instid1(VALU_DEP_4)
	v_cndmask_b32_e32 v16, v18, v16, vcc_lo
	v_dual_cndmask_b32 v17, v19, v17 :: v_dual_lshlrev_b32 v18, 30, v72
	s_delay_alu instid0(VALU_DEP_1) | instskip(NEXT) | instid1(VALU_DEP_1)
	v_xor_b32_e32 v15, v18, v15
	v_bitop3_b32 v15, v17, v15, 0x80000000 bitop3:0x78
	v_xor_b32_e32 v25, 0x80000000, v59
	s_delay_alu instid0(VALU_DEP_2) | instskip(NEXT) | instid1(VALU_DEP_2)
	v_cndmask_b32_e64 v15, 0x7ff80000, v15, s6
	v_dual_cndmask_b32 v19, v25, v61, s7 :: v_dual_cndmask_b32 v18, v58, v60, s7
	s_delay_alu instid0(VALU_DEP_1) | instskip(NEXT) | instid1(VALU_DEP_2)
	v_bitop3_b32 v17, v19, v14, 0x80000000 bitop3:0x78
	v_dual_cndmask_b32 v14, 0, v16, s6 :: v_dual_cndmask_b32 v16, 0, v18, s6
	s_delay_alu instid0(VALU_DEP_2) | instskip(NEXT) | instid1(VALU_DEP_1)
	v_cndmask_b32_e64 v17, 0x7ff80000, v17, s6
	v_mul_f64_e32 v[14:15], v[14:15], v[16:17]
.LBB99_124:                             ;   in Loop: Header=BB99_4 Depth=1
	s_or_b32 exec_lo, exec_lo, s38
	s_delay_alu instid0(VALU_DEP_1) | instskip(SKIP_1) | instid1(VALU_DEP_2)
	v_bfi_b32 v25, 0x7fffffff, 0, v15
	v_add_nc_u32_e32 v21, -2.0, v21
	v_mov_b64_e32 v[18:19], v[24:25]
.LBB99_125:                             ;   in Loop: Header=BB99_4 Depth=1
	s_or_b32 exec_lo, exec_lo, s37
.LBB99_126:                             ;   in Loop: Header=BB99_4 Depth=1
	s_delay_alu instid0(SALU_CYCLE_1) | instskip(SKIP_3) | instid1(VALU_DEP_2)
	s_or_b32 exec_lo, exec_lo, s36
	v_xor_b32_e32 v17, 0x80000000, v5
	v_mov_b32_e32 v16, v4
	s_mov_b32 s6, exec_lo
	v_and_b32_e32 v14, 0x7fffffff, v17
	s_delay_alu instid0(VALU_DEP_1)
	v_cmpx_gt_u32_e32 0x7ff00000, v14
	s_xor_b32 s7, exec_lo, s6
	s_cbranch_execz .LBB99_137
; %bb.127:                              ;   in Loop: Header=BB99_4 Depth=1
	v_cmp_class_f64_e64 s6, v[2:3], 0x1f8
	s_and_saveexec_b32 s36, s6
	s_delay_alu instid0(SALU_CYCLE_1)
	s_xor_b32 s36, exec_lo, s36
	s_cbranch_execz .LBB99_164
; %bb.128:                              ;   in Loop: Header=BB99_4 Depth=1
	s_mov_b32 s6, exec_lo
	v_cmpx_gt_u32_e32 0x40360000, v14
	s_xor_b32 s37, exec_lo, s6
	s_cbranch_execz .LBB99_134
; %bb.129:                              ;   in Loop: Header=BB99_4 Depth=1
	v_cmp_ngt_f64_e64 s6, 0x41d00000, |v[2:3]|
                                        ; implicit-def: $vgpr16
                                        ; implicit-def: $vgpr14_vgpr15
                                        ; implicit-def: $vgpr58_vgpr59
	s_and_saveexec_b32 s38, s6
	s_delay_alu instid0(SALU_CYCLE_1)
	s_xor_b32 s6, exec_lo, s38
	s_cbranch_execz .LBB99_131
; %bb.130:                              ;   in Loop: Header=BB99_4 Depth=1
	v_ldexp_f64 v[14:15], |v[2:3]|, 0xffffff80
	v_cmp_le_f64_e64 vcc_lo, 0x7b000000, |v[2:3]|
	v_trig_preop_f64 v[58:59], |v[2:3]|, 0
	v_and_b32_e32 v16, 0x7fffffff, v3
	v_trig_preop_f64 v[60:61], |v[2:3]|, 1
	v_trig_preop_f64 v[70:71], |v[2:3]|, 2
	s_delay_alu instid0(VALU_DEP_3) | instskip(NEXT) | instid1(VALU_DEP_1)
	v_dual_cndmask_b32 v15, v16, v15 :: v_dual_cndmask_b32 v14, v2, v14
	v_mul_f64_e32 v[62:63], v[58:59], v[14:15]
	s_delay_alu instid0(VALU_DEP_4) | instskip(NEXT) | instid1(VALU_DEP_4)
	v_mul_f64_e32 v[64:65], v[60:61], v[14:15]
	v_mul_f64_e32 v[76:77], v[70:71], v[14:15]
	s_delay_alu instid0(VALU_DEP_3) | instskip(NEXT) | instid1(VALU_DEP_3)
	v_fma_f64 v[58:59], v[58:59], v[14:15], -v[62:63]
	v_fma_f64 v[60:61], v[60:61], v[14:15], -v[64:65]
	s_delay_alu instid0(VALU_DEP_3) | instskip(NEXT) | instid1(VALU_DEP_3)
	v_fma_f64 v[14:15], v[70:71], v[14:15], -v[76:77]
	v_add_f64_e32 v[66:67], v[64:65], v[58:59]
	s_delay_alu instid0(VALU_DEP_1) | instskip(SKIP_1) | instid1(VALU_DEP_2)
	v_add_f64_e64 v[68:69], v[66:67], -v[64:65]
	v_add_f64_e32 v[74:75], v[62:63], v[66:67]
	v_add_f64_e64 v[72:73], v[66:67], -v[68:69]
	v_add_f64_e64 v[58:59], v[58:59], -v[68:69]
	s_delay_alu instid0(VALU_DEP_3) | instskip(NEXT) | instid1(VALU_DEP_3)
	v_ldexp_f64 v[68:69], v[74:75], -2
	v_add_f64_e64 v[64:65], v[64:65], -v[72:73]
	v_add_f64_e32 v[72:73], v[76:77], v[60:61]
	s_delay_alu instid0(VALU_DEP_3) | instskip(NEXT) | instid1(VALU_DEP_3)
	v_cmp_neq_f64_e64 vcc_lo, 0x7ff00000, |v[68:69]|
	v_add_f64_e32 v[58:59], v[58:59], v[64:65]
	v_fract_f64_e32 v[64:65], v[68:69]
	s_delay_alu instid0(VALU_DEP_1) | instskip(NEXT) | instid1(VALU_DEP_1)
	v_ldexp_f64 v[64:65], v[64:65], 2
	v_dual_add_f64 v[62:63], v[74:75], -v[62:63] :: v_dual_cndmask_b32 v65, 0, v65, vcc_lo
	s_delay_alu instid0(VALU_DEP_1) | instskip(SKIP_1) | instid1(VALU_DEP_1)
	v_dual_add_f64 v[62:63], v[66:67], -v[62:63] :: v_dual_cndmask_b32 v64, 0, v64, vcc_lo
	v_add_f64_e32 v[66:67], v[72:73], v[58:59]
	v_add_f64_e32 v[68:69], v[62:63], v[66:67]
	v_add_f64_e64 v[78:79], v[66:67], -v[72:73]
	s_delay_alu instid0(VALU_DEP_2) | instskip(NEXT) | instid1(VALU_DEP_2)
	v_add_f64_e32 v[74:75], v[68:69], v[64:65]
	v_add_f64_e64 v[84:85], v[66:67], -v[78:79]
	v_add_f64_e64 v[58:59], v[58:59], -v[78:79]
	;; [unrolled: 1-line block ×3, first 2 shown]
	s_delay_alu instid0(VALU_DEP_4) | instskip(SKIP_1) | instid1(VALU_DEP_3)
	v_cmp_gt_f64_e32 vcc_lo, 0, v[74:75]
	v_add_f64_e64 v[74:75], v[72:73], -v[76:77]
	v_add_f64_e64 v[62:63], v[66:67], -v[62:63]
	v_cndmask_b32_e64 v25, 0, 0x40100000, vcc_lo
	s_delay_alu instid0(VALU_DEP_3) | instskip(SKIP_2) | instid1(VALU_DEP_4)
	v_add_f64_e64 v[82:83], v[72:73], -v[74:75]
	v_add_f64_e64 v[60:61], v[60:61], -v[74:75]
	;; [unrolled: 1-line block ×3, first 2 shown]
	v_add_f64_e32 v[64:65], v[64:65], v[24:25]
	s_delay_alu instid0(VALU_DEP_4) | instskip(NEXT) | instid1(VALU_DEP_3)
	v_add_f64_e64 v[74:75], v[76:77], -v[82:83]
	v_add_f64_e32 v[58:59], v[58:59], v[72:73]
	s_delay_alu instid0(VALU_DEP_3) | instskip(NEXT) | instid1(VALU_DEP_3)
	v_add_f64_e32 v[80:81], v[68:69], v[64:65]
	v_add_f64_e32 v[60:61], v[60:61], v[74:75]
	s_delay_alu instid0(VALU_DEP_2) | instskip(NEXT) | instid1(VALU_DEP_2)
	v_cvt_i32_f64_e32 v16, v[80:81]
	v_add_f64_e32 v[58:59], v[60:61], v[58:59]
	s_delay_alu instid0(VALU_DEP_2) | instskip(NEXT) | instid1(VALU_DEP_2)
	v_cvt_f64_i32_e32 v[78:79], v16
	v_add_f64_e32 v[14:15], v[14:15], v[58:59]
	s_delay_alu instid0(VALU_DEP_2) | instskip(NEXT) | instid1(VALU_DEP_2)
	v_add_f64_e64 v[64:65], v[64:65], -v[78:79]
	v_add_f64_e32 v[14:15], v[62:63], v[14:15]
	s_delay_alu instid0(VALU_DEP_2) | instskip(NEXT) | instid1(VALU_DEP_1)
	v_add_f64_e32 v[60:61], v[68:69], v[64:65]
	v_add_f64_e64 v[58:59], v[60:61], -v[64:65]
	v_cmp_le_f64_e32 vcc_lo, 0.5, v[60:61]
	s_delay_alu instid0(VALU_DEP_2) | instskip(SKIP_2) | instid1(VALU_DEP_3)
	v_add_f64_e64 v[58:59], v[68:69], -v[58:59]
	v_cndmask_b32_e64 v25, 0, 0x3ff00000, vcc_lo
	v_add_co_ci_u32_e64 v16, null, 0, v16, vcc_lo
	v_add_f64_e32 v[14:15], v[14:15], v[58:59]
	s_delay_alu instid0(VALU_DEP_3) | instskip(NEXT) | instid1(VALU_DEP_1)
	v_add_f64_e64 v[58:59], v[60:61], -v[24:25]
	v_add_f64_e32 v[60:61], v[58:59], v[14:15]
	s_delay_alu instid0(VALU_DEP_1) | instskip(SKIP_1) | instid1(VALU_DEP_2)
	v_mul_f64_e32 v[62:63], 0x3ff921fb54442d18, v[60:61]
	v_add_f64_e64 v[58:59], v[60:61], -v[58:59]
	v_fma_f64 v[64:65], v[60:61], s[16:17], -v[62:63]
	s_delay_alu instid0(VALU_DEP_2) | instskip(NEXT) | instid1(VALU_DEP_2)
	v_add_f64_e64 v[14:15], v[14:15], -v[58:59]
	v_fmac_f64_e32 v[64:65], 0x3c91a62633145c07, v[60:61]
	s_delay_alu instid0(VALU_DEP_1) | instskip(NEXT) | instid1(VALU_DEP_1)
	v_fmac_f64_e32 v[64:65], 0x3ff921fb54442d18, v[14:15]
	v_add_f64_e32 v[14:15], v[62:63], v[64:65]
	s_delay_alu instid0(VALU_DEP_1) | instskip(NEXT) | instid1(VALU_DEP_1)
	v_add_f64_e64 v[58:59], v[14:15], -v[62:63]
	v_add_f64_e64 v[58:59], v[64:65], -v[58:59]
.LBB99_131:                             ;   in Loop: Header=BB99_4 Depth=1
	s_and_not1_saveexec_b32 s6, s6
	s_cbranch_execz .LBB99_133
; %bb.132:                              ;   in Loop: Header=BB99_4 Depth=1
	v_mul_f64_e64 v[14:15], |v[2:3]|, s[18:19]
	s_delay_alu instid0(VALU_DEP_1) | instskip(NEXT) | instid1(VALU_DEP_1)
	v_rndne_f64_e32 v[60:61], v[14:15]
	v_fma_f64 v[14:15], v[60:61], s[20:21], |v[2:3]|
	v_mul_f64_e32 v[58:59], 0xbc91a62633145c00, v[60:61]
	v_cvt_i32_f64_e32 v16, v[60:61]
	s_delay_alu instid0(VALU_DEP_3) | instskip(NEXT) | instid1(VALU_DEP_3)
	v_fmamk_f64 v[66:67], v[60:61], 0xbc91a62633145c00, v[14:15]
	v_add_f64_e32 v[62:63], v[14:15], v[58:59]
	s_delay_alu instid0(VALU_DEP_1) | instskip(NEXT) | instid1(VALU_DEP_3)
	v_add_f64_e64 v[64:65], v[14:15], -v[62:63]
	v_add_f64_e64 v[14:15], v[62:63], -v[66:67]
	s_delay_alu instid0(VALU_DEP_2) | instskip(SKIP_1) | instid1(VALU_DEP_2)
	v_add_f64_e32 v[62:63], v[64:65], v[58:59]
	v_fmamk_f64 v[58:59], v[60:61], 0x3c91a62633145c00, v[58:59]
	v_add_f64_e32 v[14:15], v[14:15], v[62:63]
	s_delay_alu instid0(VALU_DEP_1) | instskip(NEXT) | instid1(VALU_DEP_1)
	v_add_f64_e64 v[58:59], v[14:15], -v[58:59]
	v_fmac_f64_e32 v[58:59], 0xb97b839a252049c0, v[60:61]
	s_delay_alu instid0(VALU_DEP_1) | instskip(NEXT) | instid1(VALU_DEP_1)
	v_add_f64_e32 v[14:15], v[66:67], v[58:59]
	v_add_f64_e64 v[62:63], v[14:15], -v[66:67]
	s_delay_alu instid0(VALU_DEP_1)
	v_add_f64_e64 v[58:59], v[58:59], -v[62:63]
.LBB99_133:                             ;   in Loop: Header=BB99_4 Depth=1
	s_or_b32 exec_lo, exec_lo, s6
	v_add_f64_e64 v[60:61], |v[4:5]|, s[22:23]
	v_cmp_nge_f64_e64 vcc_lo, |v[4:5]|, s[28:29]
	v_mul_f64_e32 v[78:79], v[14:15], v[14:15]
	s_delay_alu instid0(VALU_DEP_4) | instskip(NEXT) | instid1(VALU_DEP_4)
	v_add_f64_e32 v[80:81], v[58:59], v[58:59]
	v_add_f64_e64 v[62:63], v[60:61], -|v[4:5]|
	s_delay_alu instid0(VALU_DEP_3) | instskip(NEXT) | instid1(VALU_DEP_2)
	v_fma_f64 v[82:83], v[14:15], v[14:15], -v[78:79]
	v_add_f64_e64 v[64:65], v[62:63], -v[60:61]
	v_add_f64_e32 v[62:63], 0x3fe62e42fefa39ef, v[62:63]
	s_delay_alu instid0(VALU_DEP_3) | instskip(NEXT) | instid1(VALU_DEP_3)
	v_fmac_f64_e32 v[82:83], v[14:15], v[80:81]
	v_add_f64_e64 v[64:65], |v[4:5]|, v[64:65]
	s_delay_alu instid0(VALU_DEP_2) | instskip(NEXT) | instid1(VALU_DEP_2)
	v_add_f64_e32 v[78:79], v[78:79], v[82:83]
	v_add_f64_e64 v[62:63], v[64:65], -v[62:63]
	s_delay_alu instid0(VALU_DEP_2) | instskip(NEXT) | instid1(VALU_DEP_1)
	v_fmamk_f64 v[82:83], v[78:79], 0x3ef5e089c751c08c, v[30:31]
	v_fmaak_f64 v[82:83], v[78:79], v[82:83], 0x3f17746f90a8aae0
	s_delay_alu instid0(VALU_DEP_1) | instskip(NEXT) | instid1(VALU_DEP_4)
	v_fmaak_f64 v[82:83], v[78:79], v[82:83], 0xbefbb44da6fbf144
	v_add_f64_e32 v[62:63], 0xbc7abc9e3b39803f, v[62:63]
	s_delay_alu instid0(VALU_DEP_1) | instskip(NEXT) | instid1(VALU_DEP_1)
	v_add_f64_e32 v[64:65], v[60:61], v[62:63]
	v_mul_f64_e32 v[66:67], 0x3ff71547652b82fe, v[64:65]
	v_add_f64_e64 v[60:61], v[60:61], -v[64:65]
	s_delay_alu instid0(VALU_DEP_2) | instskip(NEXT) | instid1(VALU_DEP_2)
	v_rndne_f64_e32 v[66:67], v[66:67]
	v_add_f64_e32 v[60:61], v[62:63], v[60:61]
	s_delay_alu instid0(VALU_DEP_2) | instskip(SKIP_2) | instid1(VALU_DEP_3)
	v_fmac_f64_e32 v[64:65], 0xbfe62e42fefa3000, v[66:67]
	v_mul_f64_e32 v[62:63], 0xbd53de6af278e000, v[66:67]
	v_cvt_i32_f64_e32 v2, v[66:67]
	v_add_f64_e32 v[68:69], v[60:61], v[64:65]
	s_delay_alu instid0(VALU_DEP_1) | instskip(SKIP_1) | instid1(VALU_DEP_2)
	v_add_f64_e32 v[70:71], v[68:69], v[62:63]
	v_add_f64_e64 v[64:65], v[64:65], -v[68:69]
	v_add_f64_e64 v[68:69], v[68:69], -v[70:71]
	s_delay_alu instid0(VALU_DEP_2) | instskip(NEXT) | instid1(VALU_DEP_2)
	v_add_f64_e32 v[60:61], v[60:61], v[64:65]
	v_add_f64_e32 v[62:63], v[68:69], v[62:63]
	s_delay_alu instid0(VALU_DEP_1) | instskip(SKIP_1) | instid1(VALU_DEP_2)
	v_add_f64_e32 v[60:61], v[60:61], v[62:63]
	v_mul_f64_e32 v[62:63], 0xbac9cc01f97b57a0, v[66:67]
	v_add_f64_e32 v[64:65], v[70:71], v[60:61]
	s_delay_alu instid0(VALU_DEP_1) | instskip(SKIP_1) | instid1(VALU_DEP_2)
	v_add_f64_e32 v[68:69], v[64:65], v[62:63]
	v_add_f64_e64 v[70:71], v[70:71], -v[64:65]
	v_add_f64_e64 v[64:65], v[64:65], -v[68:69]
	s_delay_alu instid0(VALU_DEP_2) | instskip(NEXT) | instid1(VALU_DEP_2)
	v_add_f64_e32 v[60:61], v[60:61], v[70:71]
	v_add_f64_e32 v[62:63], v[64:65], v[62:63]
	s_delay_alu instid0(VALU_DEP_1) | instskip(NEXT) | instid1(VALU_DEP_1)
	v_add_f64_e32 v[60:61], v[60:61], v[62:63]
	v_add_f64_e32 v[62:63], v[68:69], v[60:61]
	s_delay_alu instid0(VALU_DEP_1) | instskip(SKIP_1) | instid1(VALU_DEP_2)
	v_add_f64_e64 v[64:65], v[68:69], -v[62:63]
	v_mul_f64_e32 v[68:69], v[62:63], v[62:63]
	v_add_f64_e32 v[60:61], v[60:61], v[64:65]
	s_delay_alu instid0(VALU_DEP_2) | instskip(NEXT) | instid1(VALU_DEP_2)
	v_fma_f64 v[64:65], v[62:63], v[62:63], -v[68:69]
	v_add_f64_e32 v[70:71], v[60:61], v[60:61]
	s_delay_alu instid0(VALU_DEP_1) | instskip(SKIP_1) | instid1(VALU_DEP_1)
	v_fmac_f64_e32 v[64:65], v[62:63], v[70:71]
	v_fmamk_f64 v[70:71], v[62:63], 0x3e5ade156a5dcb37, v[32:33]
	v_fmaak_f64 v[70:71], v[62:63], v[70:71], 0x3ec71dee623fde64
	s_delay_alu instid0(VALU_DEP_1) | instskip(NEXT) | instid1(VALU_DEP_1)
	v_fmaak_f64 v[70:71], v[62:63], v[70:71], 0x3efa01997c89e6b0
	v_fmaak_f64 v[70:71], v[62:63], v[70:71], 0x3f2a01a014761f6e
	s_delay_alu instid0(VALU_DEP_1) | instskip(SKIP_1) | instid1(VALU_DEP_2)
	v_fmaak_f64 v[70:71], v[62:63], v[70:71], 0x3f56c16c1852b7b0
	v_add_f64_e32 v[72:73], v[68:69], v[64:65]
	v_fmaak_f64 v[70:71], v[62:63], v[70:71], 0x3f81111111122322
	s_delay_alu instid0(VALU_DEP_1) | instskip(NEXT) | instid1(VALU_DEP_1)
	v_fmaak_f64 v[70:71], v[62:63], v[70:71], 0x3fa55555555502a1
	v_fmaak_f64 v[70:71], v[62:63], v[70:71], 0x3fc5555555555511
	s_delay_alu instid0(VALU_DEP_1) | instskip(SKIP_1) | instid1(VALU_DEP_2)
	v_fmaak_f64 v[70:71], v[62:63], v[70:71], 0x3fe000000000000b
	v_add_f64_e64 v[68:69], v[72:73], -v[68:69]
	v_mul_f64_e32 v[74:75], v[72:73], v[70:71]
	s_delay_alu instid0(VALU_DEP_2) | instskip(NEXT) | instid1(VALU_DEP_2)
	v_add_f64_e64 v[64:65], v[64:65], -v[68:69]
	v_fma_f64 v[68:69], v[72:73], v[70:71], -v[74:75]
	s_delay_alu instid0(VALU_DEP_1) | instskip(NEXT) | instid1(VALU_DEP_1)
	v_fmac_f64_e32 v[68:69], v[64:65], v[70:71]
	v_add_f64_e32 v[64:65], v[74:75], v[68:69]
	s_delay_alu instid0(VALU_DEP_1) | instskip(SKIP_1) | instid1(VALU_DEP_2)
	v_add_f64_e32 v[70:71], v[62:63], v[64:65]
	v_add_f64_e64 v[72:73], v[64:65], -v[74:75]
	v_add_f64_e64 v[62:63], v[70:71], -v[62:63]
	s_delay_alu instid0(VALU_DEP_2) | instskip(NEXT) | instid1(VALU_DEP_2)
	v_add_f64_e64 v[68:69], v[68:69], -v[72:73]
	v_add_f64_e64 v[62:63], v[64:65], -v[62:63]
	s_delay_alu instid0(VALU_DEP_2) | instskip(NEXT) | instid1(VALU_DEP_1)
	v_add_f64_e32 v[60:61], v[60:61], v[68:69]
	v_add_f64_e32 v[60:61], v[60:61], v[62:63]
	s_delay_alu instid0(VALU_DEP_1) | instskip(NEXT) | instid1(VALU_DEP_1)
	v_add_f64_e32 v[62:63], v[70:71], v[60:61]
	v_add_f64_e32 v[64:65], 1.0, v[62:63]
	v_add_f64_e64 v[68:69], v[62:63], -v[70:71]
	s_delay_alu instid0(VALU_DEP_2) | instskip(NEXT) | instid1(VALU_DEP_2)
	v_add_f64_e32 v[70:71], -1.0, v[64:65]
	v_add_f64_e64 v[60:61], v[60:61], -v[68:69]
	s_delay_alu instid0(VALU_DEP_2) | instskip(NEXT) | instid1(VALU_DEP_1)
	v_add_f64_e64 v[62:63], v[62:63], -v[70:71]
	v_add_f64_e32 v[60:61], v[60:61], v[62:63]
	s_delay_alu instid0(VALU_DEP_1) | instskip(NEXT) | instid1(VALU_DEP_1)
	v_add_f64_e32 v[62:63], v[64:65], v[60:61]
	v_ldexp_f64 v[66:67], v[62:63], v2
	v_add_f64_e64 v[62:63], v[62:63], -v[64:65]
	s_delay_alu instid0(VALU_DEP_2) | instskip(NEXT) | instid1(VALU_DEP_1)
	v_rcp_f64_e32 v[68:69], v[66:67]
	v_add_f64_e64 v[60:61], v[60:61], -v[62:63]
	s_delay_alu instid0(VALU_DEP_1) | instskip(NEXT) | instid1(TRANS32_DEP_1)
	v_ldexp_f64 v[60:61], v[60:61], v2
	v_fma_f64 v[70:71], -v[66:67], v[68:69], 1.0
	s_delay_alu instid0(VALU_DEP_1) | instskip(NEXT) | instid1(VALU_DEP_1)
	v_fmac_f64_e32 v[68:69], v[70:71], v[68:69]
	v_fma_f64 v[70:71], -v[66:67], v[68:69], 1.0
	s_delay_alu instid0(VALU_DEP_1) | instskip(NEXT) | instid1(VALU_DEP_1)
	v_fmac_f64_e32 v[68:69], v[70:71], v[68:69]
	v_mul_f64_e32 v[62:63], v[66:67], v[68:69]
	s_delay_alu instid0(VALU_DEP_1) | instskip(NEXT) | instid1(VALU_DEP_1)
	v_fma_f64 v[64:65], v[68:69], v[66:67], -v[62:63]
	v_fmac_f64_e32 v[64:65], v[68:69], v[60:61]
	s_delay_alu instid0(VALU_DEP_1) | instskip(NEXT) | instid1(VALU_DEP_1)
	v_add_f64_e32 v[70:71], v[62:63], v[64:65]
	v_add_f64_e64 v[72:73], -v[70:71], 1.0
	v_add_f64_e64 v[62:63], v[70:71], -v[62:63]
	s_delay_alu instid0(VALU_DEP_2) | instskip(NEXT) | instid1(VALU_DEP_2)
	v_add_f64_e64 v[74:75], -v[72:73], 1.0
	v_add_f64_e64 v[62:63], v[62:63], -v[64:65]
	s_delay_alu instid0(VALU_DEP_2) | instskip(NEXT) | instid1(VALU_DEP_1)
	v_add_f64_e64 v[64:65], v[74:75], -v[70:71]
	v_add_f64_e32 v[62:63], v[62:63], v[64:65]
	s_delay_alu instid0(VALU_DEP_1) | instskip(NEXT) | instid1(VALU_DEP_1)
	v_add_f64_e32 v[64:65], v[72:73], v[62:63]
	v_mul_f64_e32 v[70:71], v[68:69], v[64:65]
	v_add_f64_e64 v[72:73], v[72:73], -v[64:65]
	s_delay_alu instid0(VALU_DEP_2) | instskip(NEXT) | instid1(VALU_DEP_2)
	v_mul_f64_e32 v[74:75], v[66:67], v[70:71]
	v_add_f64_e32 v[62:63], v[62:63], v[72:73]
	s_delay_alu instid0(VALU_DEP_2) | instskip(NEXT) | instid1(VALU_DEP_1)
	v_fma_f64 v[76:77], v[70:71], v[66:67], -v[74:75]
	v_fmac_f64_e32 v[76:77], v[70:71], v[60:61]
	s_delay_alu instid0(VALU_DEP_1) | instskip(NEXT) | instid1(VALU_DEP_1)
	v_add_f64_e32 v[84:85], v[74:75], v[76:77]
	v_add_f64_e64 v[80:81], v[64:65], -v[84:85]
	v_add_f64_e64 v[72:73], v[84:85], -v[74:75]
	v_fmaak_f64 v[74:75], v[78:79], v[82:83], 0x3f21e634a7943acf
	s_delay_alu instid0(VALU_DEP_1) | instskip(NEXT) | instid1(VALU_DEP_1)
	v_fmaak_f64 v[74:75], v[78:79], v[74:75], 0x3f2d250fdeb68feb
	v_fmaak_f64 v[74:75], v[78:79], v[74:75], 0x3f437fd9b58c4d95
	s_delay_alu instid0(VALU_DEP_1) | instskip(NEXT) | instid1(VALU_DEP_1)
	v_fmaak_f64 v[74:75], v[78:79], v[74:75], 0x3f57d5af15120e2c
	v_fmaak_f64 v[74:75], v[78:79], v[74:75], 0x3f6d6d93e09491df
	v_add_f64_e64 v[64:65], v[64:65], -v[80:81]
	v_add_f64_e64 v[72:73], v[72:73], -v[76:77]
	s_delay_alu instid0(VALU_DEP_2) | instskip(NEXT) | instid1(VALU_DEP_1)
	v_add_f64_e64 v[64:65], v[64:65], -v[84:85]
	v_add_f64_e32 v[62:63], v[62:63], v[64:65]
	v_fmaak_f64 v[64:65], v[78:79], v[74:75], 0x3f8226e12033784d
	v_add_f64_e32 v[74:75], v[68:69], v[70:71]
	s_delay_alu instid0(VALU_DEP_2) | instskip(NEXT) | instid1(VALU_DEP_1)
	v_fmaak_f64 v[64:65], v[78:79], v[64:65], 0x3f9664f49ac36ae2
	v_fmaak_f64 v[64:65], v[78:79], v[64:65], 0x3faba1ba1b451c21
	s_delay_alu instid0(VALU_DEP_1) | instskip(NEXT) | instid1(VALU_DEP_1)
	v_fmaak_f64 v[64:65], v[78:79], v[64:65], 0x3fc11111111185b7
	v_fmaak_f64 v[64:65], v[78:79], v[64:65], 0x3fd55555555554ee
	v_add_f64_e32 v[62:63], v[72:73], v[62:63]
	v_add_f64_e64 v[72:73], v[74:75], -v[68:69]
	s_delay_alu instid0(VALU_DEP_3) | instskip(NEXT) | instid1(VALU_DEP_3)
	v_mul_f64_e32 v[64:65], v[78:79], v[64:65]
	v_add_f64_e32 v[62:63], v[80:81], v[62:63]
	s_delay_alu instid0(VALU_DEP_3) | instskip(NEXT) | instid1(VALU_DEP_3)
	v_add_f64_e64 v[70:71], v[70:71], -v[72:73]
	v_mul_f64_e32 v[76:77], v[14:15], v[64:65]
	s_delay_alu instid0(VALU_DEP_3) | instskip(NEXT) | instid1(VALU_DEP_2)
	v_mul_f64_e32 v[62:63], v[68:69], v[62:63]
	v_add_f64_e32 v[68:69], v[14:15], v[76:77]
	v_fma_f64 v[64:65], v[14:15], v[64:65], -v[76:77]
	s_delay_alu instid0(VALU_DEP_3) | instskip(NEXT) | instid1(VALU_DEP_3)
	v_add_f64_e32 v[62:63], v[70:71], v[62:63]
	v_add_f64_e64 v[14:15], v[68:69], -v[14:15]
	s_delay_alu instid0(VALU_DEP_3) | instskip(NEXT) | instid1(VALU_DEP_3)
	v_add_f64_e32 v[58:59], v[58:59], v[64:65]
	v_add_f64_e32 v[70:71], v[74:75], v[62:63]
	s_delay_alu instid0(VALU_DEP_3) | instskip(NEXT) | instid1(VALU_DEP_2)
	v_add_f64_e64 v[14:15], v[76:77], -v[14:15]
	v_ldexp_f64 v[64:65], v[70:71], -2
	v_add_f64_e64 v[70:71], v[70:71], -v[74:75]
	s_delay_alu instid0(VALU_DEP_3) | instskip(NEXT) | instid1(VALU_DEP_3)
	v_add_f64_e32 v[14:15], v[58:59], v[14:15]
	v_add_f64_e64 v[58:59], v[66:67], -v[64:65]
	s_delay_alu instid0(VALU_DEP_3) | instskip(NEXT) | instid1(VALU_DEP_3)
	v_add_f64_e64 v[62:63], v[62:63], -v[70:71]
	v_add_f64_e32 v[72:73], v[68:69], v[14:15]
	s_delay_alu instid0(VALU_DEP_3) | instskip(NEXT) | instid1(VALU_DEP_3)
	v_add_f64_e64 v[66:67], v[66:67], -v[58:59]
	v_ldexp_f64 v[62:63], v[62:63], -2
	s_delay_alu instid0(VALU_DEP_3) | instskip(NEXT) | instid1(VALU_DEP_2)
	v_rcp_f64_e32 v[74:75], v[72:73]
	v_add_f64_e64 v[64:65], v[66:67], -v[64:65]
	s_delay_alu instid0(TRANS32_DEP_1) | instskip(NEXT) | instid1(VALU_DEP_2)
	v_fma_f64 v[66:67], -v[72:73], v[74:75], 1.0
	v_add_f64_e32 v[60:61], v[60:61], v[64:65]
	s_delay_alu instid0(VALU_DEP_2) | instskip(NEXT) | instid1(VALU_DEP_2)
	v_fmac_f64_e32 v[74:75], v[66:67], v[74:75]
	v_add_f64_e64 v[60:61], v[60:61], -v[62:63]
	s_delay_alu instid0(VALU_DEP_2) | instskip(NEXT) | instid1(VALU_DEP_2)
	v_fma_f64 v[62:63], -v[72:73], v[74:75], 1.0
	v_add_f64_e32 v[58:59], v[58:59], v[60:61]
	s_delay_alu instid0(VALU_DEP_2) | instskip(NEXT) | instid1(VALU_DEP_2)
	v_fmac_f64_e32 v[74:75], v[62:63], v[74:75]
	v_cndmask_b32_e32 v2, 0x7ff00000, v59, vcc_lo
	s_delay_alu instid0(VALU_DEP_3) | instskip(SKIP_3) | instid1(VALU_DEP_2)
	v_cndmask_b32_e32 v25, 0, v58, vcc_lo
	v_cmp_gt_f64_e64 vcc_lo, 0x3e400000, |v[4:5]|
	v_and_b32_e32 v5, 0x7fffffff, v5
	v_add_f64_e64 v[58:59], v[72:73], -v[68:69]
	v_dual_mul_f64 v[60:61], v[72:73], v[74:75] :: v_dual_cndmask_b32 v2, v2, v5, vcc_lo
	s_delay_alu instid0(VALU_DEP_2) | instskip(NEXT) | instid1(VALU_DEP_2)
	v_dual_add_f64 v[14:15], v[14:15], -v[58:59] :: v_dual_cndmask_b32 v4, v25, v4, vcc_lo
	v_bfi_b32 v5, 0x7fffffff, v2, v17
	s_delay_alu instid0(VALU_DEP_3) | instskip(NEXT) | instid1(VALU_DEP_2)
	v_fma_f64 v[58:59], v[74:75], v[72:73], -v[60:61]
	v_fma_f64 v[62:63], v[4:5], v[4:5], 1.0
	s_delay_alu instid0(VALU_DEP_2) | instskip(NEXT) | instid1(VALU_DEP_2)
	v_fmac_f64_e32 v[58:59], v[74:75], v[14:15]
	v_cmp_gt_f64_e32 vcc_lo, 0x10000000, v[62:63]
	v_cndmask_b32_e64 v2, 0, 0x100, vcc_lo
	v_cndmask_b32_e64 v17, 0, 0xffffff80, vcc_lo
	s_delay_alu instid0(VALU_DEP_2) | instskip(SKIP_1) | instid1(VALU_DEP_1)
	v_ldexp_f64 v[14:15], v[62:63], v2
	v_dual_add_f64 v[62:63], v[60:61], v[58:59] :: v_dual_bitop2_b32 v2, 1, v16 bitop3:0x40
	v_cmp_eq_u32_e64 s6, 0, v2
	s_delay_alu instid0(VALU_DEP_3) | instskip(NEXT) | instid1(VALU_DEP_2)
	v_rsq_f64_e32 v[64:65], v[14:15]
	v_add_f64_e64 v[66:67], -v[62:63], 1.0
	v_add_f64_e64 v[60:61], v[62:63], -v[60:61]
	v_cmp_class_f64_e64 vcc_lo, v[14:15], 0x260
	s_delay_alu instid0(VALU_DEP_3) | instskip(NEXT) | instid1(VALU_DEP_3)
	v_add_f64_e64 v[70:71], -v[66:67], 1.0
	v_add_f64_e64 v[58:59], v[60:61], -v[58:59]
	s_delay_alu instid0(TRANS32_DEP_1) | instskip(SKIP_1) | instid1(VALU_DEP_4)
	v_mul_f64_e32 v[68:69], v[14:15], v[64:65]
	v_mul_f64_e32 v[64:65], 0.5, v[64:65]
	v_add_f64_e64 v[60:61], v[70:71], -v[62:63]
	s_delay_alu instid0(VALU_DEP_2) | instskip(NEXT) | instid1(VALU_DEP_2)
	v_fma_f64 v[76:77], -v[64:65], v[68:69], 0.5
	v_add_f64_e32 v[58:59], v[58:59], v[60:61]
	s_delay_alu instid0(VALU_DEP_2) | instskip(SKIP_1) | instid1(VALU_DEP_3)
	v_fmac_f64_e32 v[68:69], v[68:69], v[76:77]
	v_fmac_f64_e32 v[64:65], v[64:65], v[76:77]
	v_add_f64_e32 v[58:59], v[66:67], v[58:59]
	s_delay_alu instid0(VALU_DEP_3) | instskip(NEXT) | instid1(VALU_DEP_2)
	v_fma_f64 v[60:61], -v[68:69], v[68:69], v[14:15]
	v_mul_f64_e32 v[58:59], v[74:75], v[58:59]
	s_delay_alu instid0(VALU_DEP_2) | instskip(NEXT) | instid1(VALU_DEP_2)
	v_fmac_f64_e32 v[68:69], v[60:61], v[64:65]
	v_add_f64_e32 v[58:59], v[74:75], v[58:59]
	s_delay_alu instid0(VALU_DEP_2) | instskip(NEXT) | instid1(VALU_DEP_2)
	v_fma_f64 v[60:61], -v[68:69], v[68:69], v[14:15]
	v_xor_b32_e32 v16, 0x80000000, v59
	s_delay_alu instid0(VALU_DEP_1) | instskip(NEXT) | instid1(VALU_DEP_3)
	v_dual_cndmask_b32 v2, v58, v72, s6 :: v_dual_cndmask_b32 v16, v16, v73, s6
	v_fmac_f64_e32 v[68:69], v[60:61], v[64:65]
	s_delay_alu instid0(VALU_DEP_2) | instskip(NEXT) | instid1(VALU_DEP_1)
	v_bitop3_b32 v3, v16, v3, 0x80000000 bitop3:0x78
	v_fma_f64 v[58:59], v[2:3], v[2:3], 1.0
	s_delay_alu instid0(VALU_DEP_3) | instskip(NEXT) | instid1(VALU_DEP_1)
	v_ldexp_f64 v[16:17], v[68:69], v17
	v_dual_cndmask_b32 v15, v17, v15 :: v_dual_cndmask_b32 v14, v16, v14
	s_delay_alu instid0(VALU_DEP_3) | instskip(NEXT) | instid1(VALU_DEP_2)
	v_mul_f64_e32 v[16:17], v[4:5], v[58:59]
	v_mul_f64_e32 v[14:15], v[14:15], v[58:59]
	s_delay_alu instid0(VALU_DEP_2) | instskip(NEXT) | instid1(VALU_DEP_2)
	v_fma_f64 v[58:59], v[4:5], v[16:17], 1.0
	v_mul_f64_e32 v[4:5], v[4:5], v[14:15]
	s_delay_alu instid0(VALU_DEP_2) | instskip(NEXT) | instid1(VALU_DEP_2)
	v_div_scale_f64 v[16:17], null, v[58:59], v[58:59], v[2:3]
	v_div_scale_f64 v[14:15], null, v[58:59], v[58:59], v[4:5]
	v_div_scale_f64 v[68:69], vcc_lo, v[4:5], v[58:59], v[4:5]
	s_delay_alu instid0(VALU_DEP_3) | instskip(NEXT) | instid1(VALU_DEP_2)
	v_rcp_f64_e32 v[62:63], v[16:17]
	v_rcp_f64_e32 v[60:61], v[14:15]
	s_delay_alu instid0(TRANS32_DEP_2) | instskip(NEXT) | instid1(TRANS32_DEP_1)
	v_fma_f64 v[66:67], -v[16:17], v[62:63], 1.0
	v_fma_f64 v[64:65], -v[14:15], v[60:61], 1.0
	s_delay_alu instid0(VALU_DEP_2) | instskip(NEXT) | instid1(VALU_DEP_2)
	v_fmac_f64_e32 v[62:63], v[62:63], v[66:67]
	v_fmac_f64_e32 v[60:61], v[60:61], v[64:65]
	s_delay_alu instid0(VALU_DEP_2) | instskip(NEXT) | instid1(VALU_DEP_2)
	v_fma_f64 v[66:67], -v[16:17], v[62:63], 1.0
	v_fma_f64 v[64:65], -v[14:15], v[60:61], 1.0
	s_delay_alu instid0(VALU_DEP_2) | instskip(NEXT) | instid1(VALU_DEP_2)
	v_fmac_f64_e32 v[62:63], v[62:63], v[66:67]
	v_fmac_f64_e32 v[60:61], v[60:61], v[64:65]
	v_div_scale_f64 v[64:65], s6, v[2:3], v[58:59], v[2:3]
	s_delay_alu instid0(VALU_DEP_2) | instskip(NEXT) | instid1(VALU_DEP_2)
	v_mul_f64_e32 v[66:67], v[68:69], v[60:61]
	v_mul_f64_e32 v[70:71], v[64:65], v[62:63]
	s_delay_alu instid0(VALU_DEP_2) | instskip(NEXT) | instid1(VALU_DEP_2)
	v_fma_f64 v[14:15], -v[14:15], v[66:67], v[68:69]
	v_fma_f64 v[16:17], -v[16:17], v[70:71], v[64:65]
	s_delay_alu instid0(VALU_DEP_2) | instskip(SKIP_1) | instid1(VALU_DEP_2)
	v_div_fmas_f64 v[14:15], v[14:15], v[60:61], v[66:67]
	s_mov_b32 vcc_lo, s6
	v_div_fmas_f64 v[60:61], v[16:17], v[62:63], v[70:71]
	s_delay_alu instid0(VALU_DEP_2) | instskip(NEXT) | instid1(VALU_DEP_2)
	v_div_fixup_f64 v[16:17], v[14:15], v[58:59], v[4:5]
	v_div_fixup_f64 v[14:15], v[60:61], v[58:59], v[2:3]
                                        ; implicit-def: $vgpr2_vgpr3
.LBB99_134:                             ;   in Loop: Header=BB99_4 Depth=1
	s_and_not1_saveexec_b32 s6, s37
	s_cbranch_execz .LBB99_163
; %bb.135:                              ;   in Loop: Header=BB99_4 Depth=1
	v_cmp_ngt_f64_e64 s37, 0x41d00000, |v[2:3]|
                                        ; implicit-def: $vgpr16
                                        ; implicit-def: $vgpr14_vgpr15
                                        ; implicit-def: $vgpr58_vgpr59
	s_and_saveexec_b32 s38, s37
	s_delay_alu instid0(SALU_CYCLE_1)
	s_xor_b32 s38, exec_lo, s38
	s_cbranch_execz .LBB99_148
; %bb.136:                              ;   in Loop: Header=BB99_4 Depth=1
	v_ldexp_f64 v[14:15], |v[2:3]|, 0xffffff80
	v_cmp_le_f64_e64 vcc_lo, 0x7b000000, |v[2:3]|
	v_trig_preop_f64 v[58:59], |v[2:3]|, 0
	v_and_b32_e32 v16, 0x7fffffff, v3
	v_trig_preop_f64 v[60:61], |v[2:3]|, 1
	v_trig_preop_f64 v[70:71], |v[2:3]|, 2
	s_delay_alu instid0(VALU_DEP_3) | instskip(NEXT) | instid1(VALU_DEP_1)
	v_dual_cndmask_b32 v15, v16, v15 :: v_dual_cndmask_b32 v14, v2, v14
	v_mul_f64_e32 v[62:63], v[58:59], v[14:15]
	s_delay_alu instid0(VALU_DEP_4) | instskip(NEXT) | instid1(VALU_DEP_4)
	v_mul_f64_e32 v[64:65], v[60:61], v[14:15]
	v_mul_f64_e32 v[76:77], v[70:71], v[14:15]
	s_delay_alu instid0(VALU_DEP_3) | instskip(NEXT) | instid1(VALU_DEP_3)
	v_fma_f64 v[58:59], v[58:59], v[14:15], -v[62:63]
	v_fma_f64 v[60:61], v[60:61], v[14:15], -v[64:65]
	s_delay_alu instid0(VALU_DEP_3) | instskip(NEXT) | instid1(VALU_DEP_3)
	v_fma_f64 v[14:15], v[70:71], v[14:15], -v[76:77]
	v_add_f64_e32 v[66:67], v[64:65], v[58:59]
	s_delay_alu instid0(VALU_DEP_1) | instskip(SKIP_1) | instid1(VALU_DEP_2)
	v_add_f64_e64 v[68:69], v[66:67], -v[64:65]
	v_add_f64_e32 v[74:75], v[62:63], v[66:67]
	v_add_f64_e64 v[72:73], v[66:67], -v[68:69]
	v_add_f64_e64 v[58:59], v[58:59], -v[68:69]
	s_delay_alu instid0(VALU_DEP_3) | instskip(NEXT) | instid1(VALU_DEP_3)
	v_ldexp_f64 v[68:69], v[74:75], -2
	v_add_f64_e64 v[64:65], v[64:65], -v[72:73]
	v_add_f64_e32 v[72:73], v[76:77], v[60:61]
	s_delay_alu instid0(VALU_DEP_3) | instskip(NEXT) | instid1(VALU_DEP_3)
	v_cmp_neq_f64_e64 vcc_lo, 0x7ff00000, |v[68:69]|
	v_add_f64_e32 v[58:59], v[58:59], v[64:65]
	v_fract_f64_e32 v[64:65], v[68:69]
	s_delay_alu instid0(VALU_DEP_1) | instskip(NEXT) | instid1(VALU_DEP_1)
	v_ldexp_f64 v[64:65], v[64:65], 2
	v_dual_add_f64 v[62:63], v[74:75], -v[62:63] :: v_dual_cndmask_b32 v65, 0, v65, vcc_lo
	s_delay_alu instid0(VALU_DEP_1) | instskip(SKIP_1) | instid1(VALU_DEP_1)
	v_dual_add_f64 v[62:63], v[66:67], -v[62:63] :: v_dual_cndmask_b32 v64, 0, v64, vcc_lo
	v_add_f64_e32 v[66:67], v[72:73], v[58:59]
	v_add_f64_e32 v[68:69], v[62:63], v[66:67]
	v_add_f64_e64 v[78:79], v[66:67], -v[72:73]
	s_delay_alu instid0(VALU_DEP_2) | instskip(NEXT) | instid1(VALU_DEP_2)
	v_add_f64_e32 v[74:75], v[68:69], v[64:65]
	v_add_f64_e64 v[84:85], v[66:67], -v[78:79]
	v_add_f64_e64 v[58:59], v[58:59], -v[78:79]
	;; [unrolled: 1-line block ×3, first 2 shown]
	s_delay_alu instid0(VALU_DEP_4) | instskip(SKIP_1) | instid1(VALU_DEP_3)
	v_cmp_gt_f64_e32 vcc_lo, 0, v[74:75]
	v_add_f64_e64 v[74:75], v[72:73], -v[76:77]
	v_add_f64_e64 v[62:63], v[66:67], -v[62:63]
	v_cndmask_b32_e64 v25, 0, 0x40100000, vcc_lo
	s_delay_alu instid0(VALU_DEP_3) | instskip(SKIP_2) | instid1(VALU_DEP_4)
	v_add_f64_e64 v[82:83], v[72:73], -v[74:75]
	v_add_f64_e64 v[60:61], v[60:61], -v[74:75]
	;; [unrolled: 1-line block ×3, first 2 shown]
	v_add_f64_e32 v[64:65], v[64:65], v[24:25]
	s_delay_alu instid0(VALU_DEP_4) | instskip(NEXT) | instid1(VALU_DEP_3)
	v_add_f64_e64 v[74:75], v[76:77], -v[82:83]
	v_add_f64_e32 v[58:59], v[58:59], v[72:73]
	s_delay_alu instid0(VALU_DEP_3) | instskip(NEXT) | instid1(VALU_DEP_3)
	v_add_f64_e32 v[80:81], v[68:69], v[64:65]
	v_add_f64_e32 v[60:61], v[60:61], v[74:75]
	s_delay_alu instid0(VALU_DEP_2) | instskip(NEXT) | instid1(VALU_DEP_2)
	v_cvt_i32_f64_e32 v16, v[80:81]
	v_add_f64_e32 v[58:59], v[60:61], v[58:59]
	s_delay_alu instid0(VALU_DEP_2) | instskip(NEXT) | instid1(VALU_DEP_2)
	v_cvt_f64_i32_e32 v[78:79], v16
	v_add_f64_e32 v[14:15], v[14:15], v[58:59]
	s_delay_alu instid0(VALU_DEP_2) | instskip(NEXT) | instid1(VALU_DEP_2)
	v_add_f64_e64 v[64:65], v[64:65], -v[78:79]
	v_add_f64_e32 v[14:15], v[62:63], v[14:15]
	s_delay_alu instid0(VALU_DEP_2) | instskip(NEXT) | instid1(VALU_DEP_1)
	v_add_f64_e32 v[60:61], v[68:69], v[64:65]
	v_add_f64_e64 v[58:59], v[60:61], -v[64:65]
	v_cmp_le_f64_e32 vcc_lo, 0.5, v[60:61]
	s_delay_alu instid0(VALU_DEP_2) | instskip(SKIP_2) | instid1(VALU_DEP_3)
	v_add_f64_e64 v[58:59], v[68:69], -v[58:59]
	v_cndmask_b32_e64 v25, 0, 0x3ff00000, vcc_lo
	v_add_co_ci_u32_e64 v16, null, 0, v16, vcc_lo
	v_add_f64_e32 v[14:15], v[14:15], v[58:59]
	s_delay_alu instid0(VALU_DEP_3) | instskip(NEXT) | instid1(VALU_DEP_1)
	v_add_f64_e64 v[58:59], v[60:61], -v[24:25]
	v_add_f64_e32 v[60:61], v[58:59], v[14:15]
	s_delay_alu instid0(VALU_DEP_1) | instskip(SKIP_1) | instid1(VALU_DEP_2)
	v_mul_f64_e32 v[62:63], 0x3ff921fb54442d18, v[60:61]
	v_add_f64_e64 v[58:59], v[60:61], -v[58:59]
	v_fma_f64 v[64:65], v[60:61], s[16:17], -v[62:63]
	s_delay_alu instid0(VALU_DEP_2) | instskip(NEXT) | instid1(VALU_DEP_2)
	v_add_f64_e64 v[14:15], v[14:15], -v[58:59]
	v_fmac_f64_e32 v[64:65], 0x3c91a62633145c07, v[60:61]
	s_delay_alu instid0(VALU_DEP_1) | instskip(NEXT) | instid1(VALU_DEP_1)
	v_fmac_f64_e32 v[64:65], 0x3ff921fb54442d18, v[14:15]
	v_add_f64_e32 v[14:15], v[62:63], v[64:65]
	s_delay_alu instid0(VALU_DEP_1) | instskip(NEXT) | instid1(VALU_DEP_1)
	v_add_f64_e64 v[58:59], v[14:15], -v[62:63]
	v_add_f64_e64 v[58:59], v[64:65], -v[58:59]
	s_and_not1_saveexec_b32 s38, s38
	s_cbranch_execz .LBB99_150
	s_branch .LBB99_149
.LBB99_137:                             ;   in Loop: Header=BB99_4 Depth=1
	s_and_not1_saveexec_b32 s36, s7
	s_cbranch_execz .LBB99_167
.LBB99_138:                             ;   in Loop: Header=BB99_4 Depth=1
	s_delay_alu instid0(VALU_DEP_1) | instskip(SKIP_1) | instid1(VALU_DEP_1)
	v_and_or_b32 v14, 0xfffff, v17, v16
	s_mov_b32 s6, exec_lo
	v_cmpx_ne_u32_e32 0, v14
	s_xor_b32 s6, exec_lo, s6
	s_cbranch_execz .LBB99_140
; %bb.139:                              ;   in Loop: Header=BB99_4 Depth=1
	v_mul_f64_e64 v[4:5], v[2:3], -v[4:5]
	v_cmp_eq_f64_e32 vcc_lo, 0, v[2:3]
	s_delay_alu instid0(VALU_DEP_2)
	v_dual_cndmask_b32 v15, v5, v3 :: v_dual_cndmask_b32 v14, v4, v2
                                        ; implicit-def: $vgpr2_vgpr3
.LBB99_140:                             ;   in Loop: Header=BB99_4 Depth=1
	s_and_not1_saveexec_b32 s37, s6
	s_cbranch_execz .LBB99_156
; %bb.141:                              ;   in Loop: Header=BB99_4 Depth=1
	s_mov_b32 s38, exec_lo
	v_cmpx_neq_f64_e64 0x7ff00000, |v[2:3]|
	s_cbranch_execz .LBB99_155
; %bb.142:                              ;   in Loop: Header=BB99_4 Depth=1
	v_cmp_ngt_f64_e64 s6, 0x41d00000, |v[2:3]|
	v_trig_preop_f64 v[62:63], |v[2:3]|, 0
	v_trig_preop_f64 v[60:61], |v[2:3]|, 1
	v_ldexp_f64 v[64:65], |v[2:3]|, 0xffffff80
	v_trig_preop_f64 v[58:59], |v[2:3]|, 2
	v_and_b32_e32 v73, 0x7fffffff, v3
                                        ; implicit-def: $vgpr72
                                        ; implicit-def: $vgpr4_vgpr5
                                        ; implicit-def: $vgpr14_vgpr15
	s_and_saveexec_b32 s7, s6
	s_delay_alu instid0(SALU_CYCLE_1)
	s_xor_b32 s7, exec_lo, s7
	s_cbranch_execz .LBB99_144
; %bb.143:                              ;   in Loop: Header=BB99_4 Depth=1
	v_cmp_le_f64_e64 vcc_lo, 0x7b000000, |v[2:3]|
	s_delay_alu instid0(VALU_DEP_4) | instskip(NEXT) | instid1(VALU_DEP_1)
	v_dual_cndmask_b32 v5, v73, v65 :: v_dual_cndmask_b32 v4, v2, v64
	v_mul_f64_e32 v[14:15], v[62:63], v[4:5]
	v_mul_f64_e32 v[66:67], v[60:61], v[4:5]
	;; [unrolled: 1-line block ×3, first 2 shown]
	s_delay_alu instid0(VALU_DEP_3) | instskip(NEXT) | instid1(VALU_DEP_3)
	v_fma_f64 v[68:69], v[62:63], v[4:5], -v[14:15]
	v_fma_f64 v[82:83], v[60:61], v[4:5], -v[66:67]
	s_delay_alu instid0(VALU_DEP_3) | instskip(NEXT) | instid1(VALU_DEP_3)
	v_fma_f64 v[4:5], v[58:59], v[4:5], -v[80:81]
	v_add_f64_e32 v[70:71], v[66:67], v[68:69]
	s_delay_alu instid0(VALU_DEP_1) | instskip(SKIP_1) | instid1(VALU_DEP_2)
	v_add_f64_e64 v[74:75], v[70:71], -v[66:67]
	v_add_f64_e32 v[78:79], v[14:15], v[70:71]
	v_add_f64_e64 v[76:77], v[70:71], -v[74:75]
	v_add_f64_e64 v[68:69], v[68:69], -v[74:75]
	s_delay_alu instid0(VALU_DEP_3) | instskip(SKIP_1) | instid1(VALU_DEP_4)
	v_ldexp_f64 v[74:75], v[78:79], -2
	v_add_f64_e64 v[14:15], v[78:79], -v[14:15]
	v_add_f64_e64 v[66:67], v[66:67], -v[76:77]
	v_add_f64_e32 v[76:77], v[80:81], v[82:83]
	s_delay_alu instid0(VALU_DEP_4) | instskip(NEXT) | instid1(VALU_DEP_4)
	v_cmp_neq_f64_e64 vcc_lo, 0x7ff00000, |v[74:75]|
	v_add_f64_e64 v[14:15], v[70:71], -v[14:15]
	s_delay_alu instid0(VALU_DEP_4) | instskip(SKIP_1) | instid1(VALU_DEP_2)
	v_add_f64_e32 v[66:67], v[68:69], v[66:67]
	v_fract_f64_e32 v[68:69], v[74:75]
	v_add_f64_e32 v[70:71], v[76:77], v[66:67]
	s_delay_alu instid0(VALU_DEP_2) | instskip(NEXT) | instid1(VALU_DEP_1)
	v_ldexp_f64 v[68:69], v[68:69], 2
	v_dual_add_f64 v[74:75], v[14:15], v[70:71] :: v_dual_cndmask_b32 v69, 0, v69, vcc_lo
	s_delay_alu instid0(VALU_DEP_2) | instskip(SKIP_1) | instid1(VALU_DEP_2)
	v_cndmask_b32_e32 v68, 0, v68, vcc_lo
	v_add_f64_e64 v[84:85], v[70:71], -v[76:77]
	v_add_f64_e32 v[78:79], v[74:75], v[68:69]
	v_add_f64_e64 v[14:15], v[74:75], -v[14:15]
	s_delay_alu instid0(VALU_DEP_3) | instskip(SKIP_1) | instid1(VALU_DEP_4)
	v_add_f64_e64 v[90:91], v[70:71], -v[84:85]
	v_add_f64_e64 v[66:67], v[66:67], -v[84:85]
	v_cmp_gt_f64_e32 vcc_lo, 0, v[78:79]
	v_add_f64_e64 v[78:79], v[76:77], -v[80:81]
	v_add_f64_e64 v[14:15], v[70:71], -v[14:15]
	v_cndmask_b32_e64 v25, 0, 0x40100000, vcc_lo
	s_delay_alu instid0(VALU_DEP_3) | instskip(SKIP_2) | instid1(VALU_DEP_4)
	v_add_f64_e64 v[88:89], v[76:77], -v[78:79]
	v_add_f64_e64 v[78:79], v[82:83], -v[78:79]
	;; [unrolled: 1-line block ×3, first 2 shown]
	v_add_f64_e32 v[68:69], v[68:69], v[24:25]
	s_delay_alu instid0(VALU_DEP_4) | instskip(NEXT) | instid1(VALU_DEP_3)
	v_add_f64_e64 v[82:83], v[80:81], -v[88:89]
	v_add_f64_e32 v[66:67], v[66:67], v[76:77]
	s_delay_alu instid0(VALU_DEP_3) | instskip(NEXT) | instid1(VALU_DEP_3)
	v_add_f64_e32 v[86:87], v[74:75], v[68:69]
	v_add_f64_e32 v[78:79], v[78:79], v[82:83]
	s_delay_alu instid0(VALU_DEP_2) | instskip(NEXT) | instid1(VALU_DEP_2)
	v_cvt_i32_f64_e32 v25, v[86:87]
	v_add_f64_e32 v[66:67], v[78:79], v[66:67]
	s_delay_alu instid0(VALU_DEP_2) | instskip(NEXT) | instid1(VALU_DEP_2)
	v_cvt_f64_i32_e32 v[84:85], v25
	v_add_f64_e32 v[4:5], v[4:5], v[66:67]
	s_delay_alu instid0(VALU_DEP_2) | instskip(NEXT) | instid1(VALU_DEP_2)
	v_add_f64_e64 v[68:69], v[68:69], -v[84:85]
	v_add_f64_e32 v[4:5], v[14:15], v[4:5]
	s_delay_alu instid0(VALU_DEP_2) | instskip(NEXT) | instid1(VALU_DEP_1)
	v_add_f64_e32 v[76:77], v[74:75], v[68:69]
	v_add_f64_e64 v[66:67], v[76:77], -v[68:69]
	v_cmp_le_f64_e32 vcc_lo, 0.5, v[76:77]
	s_delay_alu instid0(VALU_DEP_2) | instskip(SKIP_2) | instid1(VALU_DEP_3)
	v_add_f64_e64 v[14:15], v[74:75], -v[66:67]
	v_add_co_ci_u32_e64 v72, null, 0, v25, vcc_lo
	v_cndmask_b32_e64 v25, 0, 0x3ff00000, vcc_lo
	v_add_f64_e32 v[4:5], v[4:5], v[14:15]
	s_delay_alu instid0(VALU_DEP_2) | instskip(NEXT) | instid1(VALU_DEP_1)
	v_add_f64_e64 v[14:15], v[76:77], -v[24:25]
	v_add_f64_e32 v[66:67], v[14:15], v[4:5]
	s_delay_alu instid0(VALU_DEP_1) | instskip(SKIP_1) | instid1(VALU_DEP_2)
	v_mul_f64_e32 v[68:69], 0x3ff921fb54442d18, v[66:67]
	v_add_f64_e64 v[14:15], v[66:67], -v[14:15]
	v_fma_f64 v[70:71], v[66:67], s[16:17], -v[68:69]
	s_delay_alu instid0(VALU_DEP_2) | instskip(NEXT) | instid1(VALU_DEP_2)
	v_add_f64_e64 v[4:5], v[4:5], -v[14:15]
	v_fmac_f64_e32 v[70:71], 0x3c91a62633145c07, v[66:67]
	s_delay_alu instid0(VALU_DEP_1) | instskip(NEXT) | instid1(VALU_DEP_1)
	v_fmac_f64_e32 v[70:71], 0x3ff921fb54442d18, v[4:5]
	v_add_f64_e32 v[4:5], v[68:69], v[70:71]
	s_delay_alu instid0(VALU_DEP_1) | instskip(NEXT) | instid1(VALU_DEP_1)
	v_add_f64_e64 v[14:15], v[4:5], -v[68:69]
	v_add_f64_e64 v[14:15], v[70:71], -v[14:15]
.LBB99_144:                             ;   in Loop: Header=BB99_4 Depth=1
	s_or_saveexec_b32 s7, s7
	v_mul_f64_e64 v[66:67], |v[2:3]|, s[18:19]
	s_delay_alu instid0(VALU_DEP_1)
	v_rndne_f64_e32 v[70:71], v[66:67]
	s_xor_b32 exec_lo, exec_lo, s7
	s_cbranch_execz .LBB99_146
; %bb.145:                              ;   in Loop: Header=BB99_4 Depth=1
	s_delay_alu instid0(VALU_DEP_1) | instskip(SKIP_2) | instid1(VALU_DEP_3)
	v_fma_f64 v[4:5], v[70:71], s[20:21], |v[2:3]|
	v_mul_f64_e32 v[14:15], 0xbc91a62633145c00, v[70:71]
	v_cvt_i32_f64_e32 v72, v[70:71]
	v_fmamk_f64 v[74:75], v[70:71], 0xbc91a62633145c00, v[4:5]
	s_delay_alu instid0(VALU_DEP_3) | instskip(NEXT) | instid1(VALU_DEP_1)
	v_add_f64_e32 v[66:67], v[4:5], v[14:15]
	v_add_f64_e64 v[68:69], v[4:5], -v[66:67]
	s_delay_alu instid0(VALU_DEP_3) | instskip(NEXT) | instid1(VALU_DEP_2)
	v_add_f64_e64 v[4:5], v[66:67], -v[74:75]
	v_add_f64_e32 v[66:67], v[68:69], v[14:15]
	v_fmamk_f64 v[14:15], v[70:71], 0x3c91a62633145c00, v[14:15]
	s_delay_alu instid0(VALU_DEP_2) | instskip(NEXT) | instid1(VALU_DEP_1)
	v_add_f64_e32 v[4:5], v[4:5], v[66:67]
	v_add_f64_e64 v[14:15], v[4:5], -v[14:15]
	s_delay_alu instid0(VALU_DEP_1) | instskip(NEXT) | instid1(VALU_DEP_1)
	v_fmac_f64_e32 v[14:15], 0xb97b839a252049c0, v[70:71]
	v_add_f64_e32 v[4:5], v[74:75], v[14:15]
	s_delay_alu instid0(VALU_DEP_1) | instskip(NEXT) | instid1(VALU_DEP_1)
	v_add_f64_e64 v[66:67], v[4:5], -v[74:75]
	v_add_f64_e64 v[14:15], v[14:15], -v[66:67]
.LBB99_146:                             ;   in Loop: Header=BB99_4 Depth=1
	s_or_b32 exec_lo, exec_lo, s7
                                        ; implicit-def: $vgpr74
                                        ; implicit-def: $vgpr66_vgpr67
                                        ; implicit-def: $vgpr68_vgpr69
	s_and_saveexec_b32 s7, s6
	s_delay_alu instid0(SALU_CYCLE_1)
	s_xor_b32 s6, exec_lo, s7
	s_cbranch_execz .LBB99_152
; %bb.147:                              ;   in Loop: Header=BB99_4 Depth=1
	v_cmp_le_f64_e64 vcc_lo, 0x7b000000, |v[2:3]|
	v_dual_cndmask_b32 v65, v73, v65 :: v_dual_cndmask_b32 v64, v2, v64
	s_delay_alu instid0(VALU_DEP_1) | instskip(SKIP_2) | instid1(VALU_DEP_3)
	v_mul_f64_e32 v[66:67], v[62:63], v[64:65]
	v_mul_f64_e32 v[68:69], v[60:61], v[64:65]
	;; [unrolled: 1-line block ×3, first 2 shown]
	v_fma_f64 v[62:63], v[62:63], v[64:65], -v[66:67]
	s_delay_alu instid0(VALU_DEP_3) | instskip(NEXT) | instid1(VALU_DEP_3)
	v_fma_f64 v[60:61], v[60:61], v[64:65], -v[68:69]
	v_fma_f64 v[58:59], v[58:59], v[64:65], -v[80:81]
	s_delay_alu instid0(VALU_DEP_3) | instskip(NEXT) | instid1(VALU_DEP_1)
	v_add_f64_e32 v[70:71], v[68:69], v[62:63]
	v_add_f64_e64 v[74:75], v[70:71], -v[68:69]
	v_add_f64_e32 v[78:79], v[66:67], v[70:71]
	s_delay_alu instid0(VALU_DEP_2) | instskip(SKIP_1) | instid1(VALU_DEP_3)
	v_add_f64_e64 v[76:77], v[70:71], -v[74:75]
	v_add_f64_e64 v[62:63], v[62:63], -v[74:75]
	v_ldexp_f64 v[74:75], v[78:79], -2
	v_add_f64_e64 v[66:67], v[78:79], -v[66:67]
	s_delay_alu instid0(VALU_DEP_4) | instskip(SKIP_1) | instid1(VALU_DEP_4)
	v_add_f64_e64 v[68:69], v[68:69], -v[76:77]
	v_add_f64_e32 v[76:77], v[80:81], v[60:61]
	v_cmp_neq_f64_e64 vcc_lo, 0x7ff00000, |v[74:75]|
	s_delay_alu instid0(VALU_DEP_3) | instskip(SKIP_1) | instid1(VALU_DEP_1)
	v_add_f64_e32 v[62:63], v[62:63], v[68:69]
	v_fract_f64_e32 v[68:69], v[74:75]
	v_ldexp_f64 v[68:69], v[68:69], 2
	s_delay_alu instid0(VALU_DEP_1) | instskip(NEXT) | instid1(VALU_DEP_2)
	v_dual_add_f64 v[66:67], v[70:71], -v[66:67] :: v_dual_cndmask_b32 v69, 0, v69, vcc_lo
	v_dual_add_f64 v[70:71], v[76:77], v[62:63] :: v_dual_cndmask_b32 v68, 0, v68, vcc_lo
	s_delay_alu instid0(VALU_DEP_1) | instskip(SKIP_1) | instid1(VALU_DEP_2)
	v_add_f64_e32 v[74:75], v[66:67], v[70:71]
	v_add_f64_e64 v[82:83], v[70:71], -v[76:77]
	v_add_f64_e32 v[78:79], v[74:75], v[68:69]
	s_delay_alu instid0(VALU_DEP_2) | instskip(SKIP_2) | instid1(VALU_DEP_4)
	v_add_f64_e64 v[88:89], v[70:71], -v[82:83]
	v_add_f64_e64 v[62:63], v[62:63], -v[82:83]
	v_add_f64_e64 v[64:65], v[74:75], -v[66:67]
	v_cmp_gt_f64_e32 vcc_lo, 0, v[78:79]
	v_add_f64_e64 v[78:79], v[76:77], -v[80:81]
	s_delay_alu instid0(VALU_DEP_3) | instskip(SKIP_1) | instid1(VALU_DEP_3)
	v_add_f64_e64 v[64:65], v[70:71], -v[64:65]
                                        ; implicit-def: $vgpr70_vgpr71
	v_cndmask_b32_e64 v25, 0, 0x40100000, vcc_lo
	v_add_f64_e64 v[86:87], v[76:77], -v[78:79]
	v_add_f64_e64 v[60:61], v[60:61], -v[78:79]
	;; [unrolled: 1-line block ×3, first 2 shown]
	s_delay_alu instid0(VALU_DEP_4) | instskip(NEXT) | instid1(VALU_DEP_4)
	v_add_f64_e32 v[68:69], v[68:69], v[24:25]
	v_add_f64_e64 v[78:79], v[80:81], -v[86:87]
	s_delay_alu instid0(VALU_DEP_3) | instskip(NEXT) | instid1(VALU_DEP_3)
	v_add_f64_e32 v[62:63], v[62:63], v[76:77]
	v_add_f64_e32 v[84:85], v[74:75], v[68:69]
	s_delay_alu instid0(VALU_DEP_3) | instskip(NEXT) | instid1(VALU_DEP_2)
	v_add_f64_e32 v[60:61], v[60:61], v[78:79]
	v_cvt_i32_f64_e32 v25, v[84:85]
	s_delay_alu instid0(VALU_DEP_2) | instskip(NEXT) | instid1(VALU_DEP_2)
	v_add_f64_e32 v[60:61], v[60:61], v[62:63]
	v_cvt_f64_i32_e32 v[82:83], v25
	s_delay_alu instid0(VALU_DEP_2) | instskip(NEXT) | instid1(VALU_DEP_2)
	v_add_f64_e32 v[58:59], v[58:59], v[60:61]
	v_add_f64_e64 v[68:69], v[68:69], -v[82:83]
	s_delay_alu instid0(VALU_DEP_2) | instskip(NEXT) | instid1(VALU_DEP_2)
	v_add_f64_e32 v[58:59], v[64:65], v[58:59]
	v_add_f64_e32 v[62:63], v[74:75], v[68:69]
	s_delay_alu instid0(VALU_DEP_1) | instskip(SKIP_1) | instid1(VALU_DEP_2)
	v_add_f64_e64 v[60:61], v[62:63], -v[68:69]
	v_cmp_le_f64_e32 vcc_lo, 0.5, v[62:63]
	v_add_f64_e64 v[60:61], v[74:75], -v[60:61]
	v_add_co_ci_u32_e64 v74, null, 0, v25, vcc_lo
	v_cndmask_b32_e64 v25, 0, 0x3ff00000, vcc_lo
	s_delay_alu instid0(VALU_DEP_3) | instskip(NEXT) | instid1(VALU_DEP_2)
	v_add_f64_e32 v[58:59], v[58:59], v[60:61]
	v_add_f64_e64 v[60:61], v[62:63], -v[24:25]
	s_delay_alu instid0(VALU_DEP_1) | instskip(NEXT) | instid1(VALU_DEP_1)
	v_add_f64_e32 v[62:63], v[60:61], v[58:59]
	v_mul_f64_e32 v[64:65], 0x3ff921fb54442d18, v[62:63]
	v_add_f64_e64 v[60:61], v[62:63], -v[60:61]
	s_delay_alu instid0(VALU_DEP_2) | instskip(NEXT) | instid1(VALU_DEP_2)
	v_fma_f64 v[68:69], v[62:63], s[16:17], -v[64:65]
	v_add_f64_e64 v[58:59], v[58:59], -v[60:61]
	s_delay_alu instid0(VALU_DEP_2) | instskip(NEXT) | instid1(VALU_DEP_1)
	v_fmac_f64_e32 v[68:69], 0x3c91a62633145c07, v[62:63]
	v_fmac_f64_e32 v[68:69], 0x3ff921fb54442d18, v[58:59]
	s_delay_alu instid0(VALU_DEP_1) | instskip(NEXT) | instid1(VALU_DEP_1)
	v_add_f64_e32 v[66:67], v[64:65], v[68:69]
	v_add_f64_e64 v[58:59], v[66:67], -v[64:65]
	s_delay_alu instid0(VALU_DEP_1)
	v_add_f64_e64 v[68:69], v[68:69], -v[58:59]
	s_and_not1_saveexec_b32 s6, s6
	s_cbranch_execnz .LBB99_153
	s_branch .LBB99_154
.LBB99_148:                             ;   in Loop: Header=BB99_4 Depth=1
	s_and_not1_saveexec_b32 s38, s38
	s_cbranch_execz .LBB99_150
.LBB99_149:                             ;   in Loop: Header=BB99_4 Depth=1
	v_mul_f64_e64 v[14:15], |v[2:3]|, s[18:19]
	s_delay_alu instid0(VALU_DEP_1) | instskip(NEXT) | instid1(VALU_DEP_1)
	v_rndne_f64_e32 v[60:61], v[14:15]
	v_fma_f64 v[14:15], v[60:61], s[20:21], |v[2:3]|
	v_mul_f64_e32 v[58:59], 0xbc91a62633145c00, v[60:61]
	v_cvt_i32_f64_e32 v16, v[60:61]
	s_delay_alu instid0(VALU_DEP_3) | instskip(NEXT) | instid1(VALU_DEP_3)
	v_fmamk_f64 v[66:67], v[60:61], 0xbc91a62633145c00, v[14:15]
	v_add_f64_e32 v[62:63], v[14:15], v[58:59]
	s_delay_alu instid0(VALU_DEP_1) | instskip(NEXT) | instid1(VALU_DEP_3)
	v_add_f64_e64 v[64:65], v[14:15], -v[62:63]
	v_add_f64_e64 v[14:15], v[62:63], -v[66:67]
	s_delay_alu instid0(VALU_DEP_2) | instskip(SKIP_1) | instid1(VALU_DEP_2)
	v_add_f64_e32 v[62:63], v[64:65], v[58:59]
	v_fmamk_f64 v[58:59], v[60:61], 0x3c91a62633145c00, v[58:59]
	v_add_f64_e32 v[14:15], v[14:15], v[62:63]
	s_delay_alu instid0(VALU_DEP_1) | instskip(NEXT) | instid1(VALU_DEP_1)
	v_add_f64_e64 v[58:59], v[14:15], -v[58:59]
	v_fmac_f64_e32 v[58:59], 0xb97b839a252049c0, v[60:61]
	s_delay_alu instid0(VALU_DEP_1) | instskip(NEXT) | instid1(VALU_DEP_1)
	v_add_f64_e32 v[14:15], v[66:67], v[58:59]
	v_add_f64_e64 v[62:63], v[14:15], -v[66:67]
	s_delay_alu instid0(VALU_DEP_1)
	v_add_f64_e64 v[58:59], v[58:59], -v[62:63]
.LBB99_150:                             ;   in Loop: Header=BB99_4 Depth=1
	s_or_b32 exec_lo, exec_lo, s38
                                        ; implicit-def: $vgpr64
                                        ; implicit-def: $vgpr60_vgpr61
                                        ; implicit-def: $vgpr62_vgpr63
	s_and_saveexec_b32 s38, s37
	s_delay_alu instid0(SALU_CYCLE_1)
	s_xor_b32 s37, exec_lo, s38
	s_cbranch_execz .LBB99_160
; %bb.151:                              ;   in Loop: Header=BB99_4 Depth=1
	v_ldexp_f64 v[60:61], |v[2:3]|, 0xffffff80
	v_cmp_le_f64_e64 vcc_lo, 0x7b000000, |v[2:3]|
	v_trig_preop_f64 v[62:63], |v[2:3]|, 0
	v_and_b32_e32 v25, 0x7fffffff, v3
	v_trig_preop_f64 v[64:65], |v[2:3]|, 1
	v_trig_preop_f64 v[74:75], |v[2:3]|, 2
	s_delay_alu instid0(VALU_DEP_3) | instskip(NEXT) | instid1(VALU_DEP_1)
	v_dual_cndmask_b32 v61, v25, v61 :: v_dual_cndmask_b32 v60, v2, v60
	v_mul_f64_e32 v[66:67], v[62:63], v[60:61]
	s_delay_alu instid0(VALU_DEP_4) | instskip(NEXT) | instid1(VALU_DEP_4)
	v_mul_f64_e32 v[68:69], v[64:65], v[60:61]
	v_mul_f64_e32 v[80:81], v[74:75], v[60:61]
	s_delay_alu instid0(VALU_DEP_3) | instskip(NEXT) | instid1(VALU_DEP_3)
	v_fma_f64 v[62:63], v[62:63], v[60:61], -v[66:67]
	v_fma_f64 v[64:65], v[64:65], v[60:61], -v[68:69]
	s_delay_alu instid0(VALU_DEP_3) | instskip(NEXT) | instid1(VALU_DEP_3)
	v_fma_f64 v[60:61], v[74:75], v[60:61], -v[80:81]
	v_add_f64_e32 v[70:71], v[68:69], v[62:63]
	s_delay_alu instid0(VALU_DEP_1) | instskip(SKIP_1) | instid1(VALU_DEP_2)
	v_add_f64_e64 v[72:73], v[70:71], -v[68:69]
	v_add_f64_e32 v[78:79], v[66:67], v[70:71]
	v_add_f64_e64 v[76:77], v[70:71], -v[72:73]
	v_add_f64_e64 v[62:63], v[62:63], -v[72:73]
	s_delay_alu instid0(VALU_DEP_3) | instskip(NEXT) | instid1(VALU_DEP_3)
	v_ldexp_f64 v[72:73], v[78:79], -2
	v_add_f64_e64 v[68:69], v[68:69], -v[76:77]
	v_add_f64_e32 v[76:77], v[80:81], v[64:65]
	s_delay_alu instid0(VALU_DEP_3) | instskip(NEXT) | instid1(VALU_DEP_3)
	v_cmp_neq_f64_e64 vcc_lo, 0x7ff00000, |v[72:73]|
	v_add_f64_e32 v[62:63], v[62:63], v[68:69]
	v_fract_f64_e32 v[68:69], v[72:73]
	s_delay_alu instid0(VALU_DEP_1) | instskip(NEXT) | instid1(VALU_DEP_1)
	v_ldexp_f64 v[68:69], v[68:69], 2
	v_dual_add_f64 v[66:67], v[78:79], -v[66:67] :: v_dual_cndmask_b32 v68, 0, v68, vcc_lo
	s_delay_alu instid0(VALU_DEP_1) | instskip(SKIP_1) | instid1(VALU_DEP_1)
	v_dual_add_f64 v[66:67], v[70:71], -v[66:67] :: v_dual_cndmask_b32 v69, 0, v69, vcc_lo
	v_add_f64_e32 v[70:71], v[76:77], v[62:63]
	v_add_f64_e32 v[72:73], v[66:67], v[70:71]
	v_add_f64_e64 v[82:83], v[70:71], -v[76:77]
	s_delay_alu instid0(VALU_DEP_2) | instskip(NEXT) | instid1(VALU_DEP_2)
	v_add_f64_e32 v[78:79], v[72:73], v[68:69]
	v_add_f64_e64 v[88:89], v[70:71], -v[82:83]
	v_add_f64_e64 v[62:63], v[62:63], -v[82:83]
	;; [unrolled: 1-line block ×3, first 2 shown]
	s_delay_alu instid0(VALU_DEP_4) | instskip(SKIP_2) | instid1(VALU_DEP_2)
	v_cmp_gt_f64_e32 vcc_lo, 0, v[78:79]
	v_add_f64_e64 v[78:79], v[76:77], -v[80:81]
	v_cndmask_b32_e64 v25, 0, 0x40100000, vcc_lo
	v_add_f64_e64 v[86:87], v[76:77], -v[78:79]
	v_add_f64_e64 v[64:65], v[64:65], -v[78:79]
	;; [unrolled: 1-line block ×3, first 2 shown]
	s_delay_alu instid0(VALU_DEP_4) | instskip(NEXT) | instid1(VALU_DEP_4)
	v_add_f64_e32 v[68:69], v[68:69], v[24:25]
	v_add_f64_e64 v[78:79], v[80:81], -v[86:87]
	s_delay_alu instid0(VALU_DEP_3) | instskip(NEXT) | instid1(VALU_DEP_3)
	v_add_f64_e32 v[62:63], v[62:63], v[76:77]
	v_add_f64_e32 v[84:85], v[72:73], v[68:69]
	s_delay_alu instid0(VALU_DEP_3) | instskip(NEXT) | instid1(VALU_DEP_2)
	v_add_f64_e32 v[64:65], v[64:65], v[78:79]
	v_cvt_i32_f64_e32 v25, v[84:85]
	s_delay_alu instid0(VALU_DEP_2) | instskip(SKIP_1) | instid1(VALU_DEP_3)
	v_add_f64_e32 v[62:63], v[64:65], v[62:63]
	v_add_f64_e64 v[64:65], v[70:71], -v[66:67]
	v_cvt_f64_i32_e32 v[82:83], v25
	s_delay_alu instid0(VALU_DEP_3) | instskip(NEXT) | instid1(VALU_DEP_2)
	v_add_f64_e32 v[60:61], v[60:61], v[62:63]
	v_add_f64_e64 v[68:69], v[68:69], -v[82:83]
	s_delay_alu instid0(VALU_DEP_2) | instskip(NEXT) | instid1(VALU_DEP_2)
	v_add_f64_e32 v[60:61], v[64:65], v[60:61]
	v_add_f64_e32 v[74:75], v[72:73], v[68:69]
	s_delay_alu instid0(VALU_DEP_1) | instskip(SKIP_1) | instid1(VALU_DEP_2)
	v_add_f64_e64 v[62:63], v[74:75], -v[68:69]
	v_cmp_le_f64_e32 vcc_lo, 0.5, v[74:75]
	v_add_f64_e64 v[62:63], v[72:73], -v[62:63]
	v_add_co_ci_u32_e64 v64, null, 0, v25, vcc_lo
	v_cndmask_b32_e64 v25, 0, 0x3ff00000, vcc_lo
	s_delay_alu instid0(VALU_DEP_3) | instskip(NEXT) | instid1(VALU_DEP_2)
	v_add_f64_e32 v[60:61], v[60:61], v[62:63]
	v_add_f64_e64 v[62:63], v[74:75], -v[24:25]
	s_delay_alu instid0(VALU_DEP_1) | instskip(NEXT) | instid1(VALU_DEP_1)
	v_add_f64_e32 v[66:67], v[62:63], v[60:61]
	v_mul_f64_e32 v[68:69], 0x3ff921fb54442d18, v[66:67]
	v_add_f64_e64 v[62:63], v[66:67], -v[62:63]
	s_delay_alu instid0(VALU_DEP_2) | instskip(NEXT) | instid1(VALU_DEP_2)
	v_fma_f64 v[70:71], v[66:67], s[16:17], -v[68:69]
	v_add_f64_e64 v[60:61], v[60:61], -v[62:63]
	s_delay_alu instid0(VALU_DEP_2) | instskip(NEXT) | instid1(VALU_DEP_1)
	v_fmac_f64_e32 v[70:71], 0x3c91a62633145c07, v[66:67]
	v_fmac_f64_e32 v[70:71], 0x3ff921fb54442d18, v[60:61]
	s_delay_alu instid0(VALU_DEP_1) | instskip(NEXT) | instid1(VALU_DEP_1)
	v_add_f64_e32 v[60:61], v[68:69], v[70:71]
	v_add_f64_e64 v[62:63], v[60:61], -v[68:69]
	s_delay_alu instid0(VALU_DEP_1)
	v_add_f64_e64 v[62:63], v[70:71], -v[62:63]
	s_and_not1_saveexec_b32 s37, s37
	s_cbranch_execnz .LBB99_161
	s_branch .LBB99_162
.LBB99_152:                             ;   in Loop: Header=BB99_4 Depth=1
	s_and_not1_saveexec_b32 s6, s6
	s_cbranch_execz .LBB99_154
.LBB99_153:                             ;   in Loop: Header=BB99_4 Depth=1
	s_delay_alu instid0(VALU_DEP_1) | instskip(SKIP_2) | instid1(VALU_DEP_2)
	v_fma_f64 v[58:59], v[70:71], s[20:21], |v[2:3]|
	v_mul_f64_e32 v[60:61], 0xbc91a62633145c00, v[70:71]
	v_cvt_i32_f64_e32 v74, v[70:71]
	v_add_f64_e32 v[62:63], v[58:59], v[60:61]
	s_delay_alu instid0(VALU_DEP_1) | instskip(SKIP_1) | instid1(VALU_DEP_1)
	v_add_f64_e64 v[64:65], v[58:59], -v[62:63]
	v_fmamk_f64 v[58:59], v[70:71], 0xbc91a62633145c00, v[58:59]
	v_add_f64_e64 v[62:63], v[62:63], -v[58:59]
	s_delay_alu instid0(VALU_DEP_3) | instskip(SKIP_1) | instid1(VALU_DEP_2)
	v_add_f64_e32 v[64:65], v[64:65], v[60:61]
	v_fmamk_f64 v[60:61], v[70:71], 0x3c91a62633145c00, v[60:61]
	v_add_f64_e32 v[62:63], v[62:63], v[64:65]
	s_delay_alu instid0(VALU_DEP_1) | instskip(NEXT) | instid1(VALU_DEP_1)
	v_add_f64_e64 v[60:61], v[62:63], -v[60:61]
	v_fmac_f64_e32 v[60:61], 0xb97b839a252049c0, v[70:71]
	s_delay_alu instid0(VALU_DEP_1) | instskip(NEXT) | instid1(VALU_DEP_1)
	v_add_f64_e32 v[66:67], v[58:59], v[60:61]
	v_add_f64_e64 v[58:59], v[66:67], -v[58:59]
	s_delay_alu instid0(VALU_DEP_1)
	v_add_f64_e64 v[68:69], v[60:61], -v[58:59]
.LBB99_154:                             ;   in Loop: Header=BB99_4 Depth=1
	s_or_b32 exec_lo, exec_lo, s6
	v_mul_f64_e32 v[58:59], v[4:5], v[4:5]
	v_dual_mul_f64 v[60:61], v[66:67], v[66:67] :: v_dual_bitop2_b32 v25, 1, v72 bitop3:0x40
	v_cmp_class_f64_e64 s6, v[2:3], 0x1f8
	v_and_b32_e32 v2, 1, v74
	v_mul_f64_e32 v[78:79], 0.5, v[14:15]
	v_mul_f64_e32 v[86:87], 0.5, v[68:69]
	v_cmp_eq_u32_e32 vcc_lo, 0, v25
	s_delay_alu instid0(VALU_DEP_4)
	v_cmp_eq_u32_e64 s7, 0, v2
	v_lshlrev_b32_e32 v2, 30, v74
	v_mul_f64_e32 v[62:63], 0.5, v[58:59]
	v_mul_f64_e32 v[64:65], 0.5, v[60:61]
	v_mul_f64_e64 v[80:81], v[4:5], -v[58:59]
	v_fmamk_f64 v[84:85], v[58:59], 0x3de5e0b2f9a43bb8, v[48:49]
	v_mul_f64_e64 v[88:89], v[66:67], -v[60:61]
	v_fmamk_f64 v[90:91], v[60:61], 0x3de5e0b2f9a43bb8, v[48:49]
	s_delay_alu instid0(VALU_DEP_3) | instskip(NEXT) | instid1(VALU_DEP_2)
	v_fmaak_f64 v[84:85], v[58:59], v[84:85], 0x3ec71de3796cde01
	v_fmaak_f64 v[90:91], v[60:61], v[90:91], 0x3ec71de3796cde01
	s_delay_alu instid0(VALU_DEP_2) | instskip(NEXT) | instid1(VALU_DEP_1)
	v_fmaak_f64 v[84:85], v[58:59], v[84:85], 0xbf2a01a019e83e5c
	v_fmaak_f64 v[84:85], v[58:59], v[84:85], 0x3f81111111110bb3
	v_add_f64_e64 v[70:71], -v[62:63], 1.0
	v_add_f64_e64 v[76:77], -v[64:65], 1.0
	s_delay_alu instid0(VALU_DEP_3) | instskip(SKIP_1) | instid1(VALU_DEP_4)
	v_fmac_f64_e32 v[78:79], v[80:81], v[84:85]
	v_mul_f64_e32 v[84:85], v[58:59], v[58:59]
	v_add_f64_e64 v[82:83], -v[70:71], 1.0
	s_delay_alu instid0(VALU_DEP_4) | instskip(NEXT) | instid1(VALU_DEP_4)
	v_add_f64_e64 v[92:93], -v[76:77], 1.0
	v_fma_f64 v[78:79], v[58:59], v[78:79], -v[14:15]
	s_delay_alu instid0(VALU_DEP_3) | instskip(SKIP_1) | instid1(VALU_DEP_4)
	v_add_f64_e64 v[62:63], v[82:83], -v[62:63]
	v_fmaak_f64 v[82:83], v[60:61], v[90:91], 0xbf2a01a019e83e5c
	v_add_f64_e64 v[64:65], v[92:93], -v[64:65]
	v_mul_f64_e32 v[90:91], v[60:61], v[60:61]
	v_fmac_f64_e32 v[78:79], 0xbfc5555555555555, v[80:81]
	s_delay_alu instid0(VALU_DEP_4) | instskip(NEXT) | instid1(VALU_DEP_1)
	v_fmaak_f64 v[82:83], v[60:61], v[82:83], 0x3f81111111110bb3
	v_fmac_f64_e32 v[86:87], v[88:89], v[82:83]
	v_fmamk_f64 v[82:83], v[58:59], 0xbda907db46cc5e42, v[46:47]
	v_fma_f64 v[14:15], v[4:5], -v[14:15], v[62:63]
	s_delay_alu instid0(VALU_DEP_2) | instskip(SKIP_2) | instid1(VALU_DEP_3)
	v_fmaak_f64 v[62:63], v[58:59], v[82:83], 0xbe927e4fa17f65f6
	v_fma_f64 v[64:65], v[66:67], -v[68:69], v[64:65]
	v_add_f64_e64 v[4:5], v[4:5], -v[78:79]
	v_fmaak_f64 v[62:63], v[58:59], v[62:63], 0x3efa01a019f4ec90
	v_fma_f64 v[82:83], v[60:61], v[86:87], -v[68:69]
	s_delay_alu instid0(VALU_DEP_2) | instskip(SKIP_1) | instid1(VALU_DEP_2)
	v_fmaak_f64 v[62:63], v[58:59], v[62:63], 0xbf56c16c16c16967
	v_fmamk_f64 v[86:87], v[60:61], 0xbda907db46cc5e42, v[46:47]
	v_fmaak_f64 v[58:59], v[58:59], v[62:63], 0x3fa5555555555555
	s_delay_alu instid0(VALU_DEP_2) | instskip(NEXT) | instid1(VALU_DEP_2)
	v_fmaak_f64 v[62:63], v[60:61], v[86:87], 0xbe927e4fa17f65f6
	v_fmac_f64_e32 v[14:15], v[84:85], v[58:59]
	s_delay_alu instid0(VALU_DEP_2) | instskip(NEXT) | instid1(VALU_DEP_1)
	v_fmaak_f64 v[58:59], v[60:61], v[62:63], 0x3efa01a019f4ec90
	v_fmaak_f64 v[58:59], v[60:61], v[58:59], 0xbf56c16c16c16967
	s_delay_alu instid0(VALU_DEP_1) | instskip(SKIP_1) | instid1(VALU_DEP_2)
	v_fmaak_f64 v[58:59], v[60:61], v[58:59], 0x3fa5555555555555
	v_fmac_f64_e32 v[82:83], 0xbfc5555555555555, v[88:89]
	v_fmac_f64_e32 v[64:65], v[90:91], v[58:59]
	v_add_f64_e32 v[14:15], v[70:71], v[14:15]
	s_delay_alu instid0(VALU_DEP_3) | instskip(NEXT) | instid1(VALU_DEP_3)
	v_add_f64_e64 v[58:59], v[66:67], -v[82:83]
	v_add_f64_e32 v[60:61], v[76:77], v[64:65]
	s_delay_alu instid0(VALU_DEP_3) | instskip(NEXT) | instid1(VALU_DEP_4)
	v_cndmask_b32_e32 v4, v14, v4, vcc_lo
	v_dual_cndmask_b32 v5, v15, v5 :: v_dual_lshlrev_b32 v14, 30, v72
	s_delay_alu instid0(VALU_DEP_1) | instskip(NEXT) | instid1(VALU_DEP_1)
	v_xor_b32_e32 v3, v14, v3
	v_bitop3_b32 v3, v5, v3, 0x80000000 bitop3:0x78
	v_xor_b32_e32 v25, 0x80000000, v59
	s_delay_alu instid0(VALU_DEP_2) | instskip(NEXT) | instid1(VALU_DEP_2)
	v_cndmask_b32_e64 v3, 0x7ff80000, v3, s6
	v_dual_cndmask_b32 v15, v25, v61, s7 :: v_dual_cndmask_b32 v14, v58, v60, s7
	s_delay_alu instid0(VALU_DEP_1) | instskip(NEXT) | instid1(VALU_DEP_2)
	v_bitop3_b32 v5, v15, v2, 0x80000000 bitop3:0x78
	v_dual_cndmask_b32 v2, 0, v4, s6 :: v_dual_cndmask_b32 v4, 0, v14, s6
	s_delay_alu instid0(VALU_DEP_2) | instskip(NEXT) | instid1(VALU_DEP_1)
	v_cndmask_b32_e64 v5, 0x7ff80000, v5, s6
	v_mul_f64_e32 v[2:3], v[2:3], v[4:5]
.LBB99_155:                             ;   in Loop: Header=BB99_4 Depth=1
	s_or_b32 exec_lo, exec_lo, s38
	s_delay_alu instid0(VALU_DEP_1) | instskip(SKIP_1) | instid1(VALU_DEP_2)
	v_bfi_b32 v25, 0x7fffffff, 0, v3
	v_add_nc_u32_e32 v17, -2.0, v17
	v_mov_b64_e32 v[14:15], v[24:25]
.LBB99_156:                             ;   in Loop: Header=BB99_4 Depth=1
	s_or_b32 exec_lo, exec_lo, s37
	s_delay_alu instid0(SALU_CYCLE_1) | instskip(SKIP_1) | instid1(SALU_CYCLE_1)
	s_or_b32 exec_lo, exec_lo, s36
	s_and_saveexec_b32 s6, s2
	s_xor_b32 s2, exec_lo, s6
	s_cbranch_execnz .LBB99_168
.LBB99_157:                             ;   in Loop: Header=BB99_4 Depth=1
	s_or_b32 exec_lo, exec_lo, s2
	s_and_saveexec_b32 s2, s3
	s_cbranch_execz .LBB99_169
.LBB99_158:                             ;   in Loop: Header=BB99_4 Depth=1
	v_xor_b32_e32 v13, 0x80000000, v13
	global_store_b128 v[52:53], v[10:13], off
	s_wait_xcnt 0x0
	s_or_b32 exec_lo, exec_lo, s2
	s_and_saveexec_b32 s2, s4
	s_cbranch_execnz .LBB99_170
.LBB99_159:                             ;   in Loop: Header=BB99_4 Depth=1
	s_or_b32 exec_lo, exec_lo, s2
	s_and_saveexec_b32 s2, s5
	s_cbranch_execz .LBB99_3
	s_branch .LBB99_171
.LBB99_160:                             ;   in Loop: Header=BB99_4 Depth=1
	s_and_not1_saveexec_b32 s37, s37
	s_cbranch_execz .LBB99_162
.LBB99_161:                             ;   in Loop: Header=BB99_4 Depth=1
	v_mul_f64_e64 v[60:61], |v[2:3]|, s[18:19]
	s_delay_alu instid0(VALU_DEP_1) | instskip(NEXT) | instid1(VALU_DEP_1)
	v_rndne_f64_e32 v[64:65], v[60:61]
	v_fma_f64 v[60:61], v[64:65], s[20:21], |v[2:3]|
	v_mul_f64_e32 v[62:63], 0xbc91a62633145c00, v[64:65]
	s_delay_alu instid0(VALU_DEP_2) | instskip(NEXT) | instid1(VALU_DEP_2)
	v_fmamk_f64 v[70:71], v[64:65], 0xbc91a62633145c00, v[60:61]
	v_add_f64_e32 v[66:67], v[60:61], v[62:63]
	s_delay_alu instid0(VALU_DEP_1) | instskip(NEXT) | instid1(VALU_DEP_3)
	v_add_f64_e64 v[68:69], v[60:61], -v[66:67]
	v_add_f64_e64 v[60:61], v[66:67], -v[70:71]
	s_delay_alu instid0(VALU_DEP_2) | instskip(SKIP_1) | instid1(VALU_DEP_2)
	v_add_f64_e32 v[66:67], v[68:69], v[62:63]
	v_fmamk_f64 v[62:63], v[64:65], 0x3c91a62633145c00, v[62:63]
	v_add_f64_e32 v[60:61], v[60:61], v[66:67]
	s_delay_alu instid0(VALU_DEP_1) | instskip(NEXT) | instid1(VALU_DEP_1)
	v_add_f64_e64 v[62:63], v[60:61], -v[62:63]
	v_fmac_f64_e32 v[62:63], 0xb97b839a252049c0, v[64:65]
	v_cvt_i32_f64_e32 v64, v[64:65]
	s_delay_alu instid0(VALU_DEP_2) | instskip(NEXT) | instid1(VALU_DEP_1)
	v_add_f64_e32 v[60:61], v[70:71], v[62:63]
	v_add_f64_e64 v[66:67], v[60:61], -v[70:71]
	s_delay_alu instid0(VALU_DEP_1)
	v_add_f64_e64 v[62:63], v[62:63], -v[66:67]
.LBB99_162:                             ;   in Loop: Header=BB99_4 Depth=1
	s_or_b32 exec_lo, exec_lo, s37
	v_dual_mul_f64 v[66:67], v[14:15], v[14:15] :: v_dual_bitop2_b32 v2, 1, v16 bitop3:0x40
	s_delay_alu instid0(VALU_DEP_2) | instskip(NEXT) | instid1(VALU_DEP_3)
	v_mul_f64_e32 v[78:79], 0.5, v[58:59]
	v_mul_f64_e32 v[90:91], 0.5, v[62:63]
	v_mul_f64_e64 v[72:73], |v[4:5]|, s[30:31]
	v_lshlrev_b32_e32 v16, 30, v16
	v_cmp_eq_u32_e32 vcc_lo, 0, v2
	s_delay_alu instid0(VALU_DEP_2) | instskip(SKIP_4) | instid1(VALU_DEP_2)
	v_xor_b32_e32 v3, v16, v3
	v_mul_f64_e32 v[70:71], 0.5, v[66:67]
	v_mul_f64_e64 v[80:81], v[14:15], -v[66:67]
	v_fmamk_f64 v[86:87], v[66:67], 0x3de5e0b2f9a43bb8, v[48:49]
	v_rndne_f64_e32 v[72:73], v[72:73]
	v_fmaak_f64 v[86:87], v[66:67], v[86:87], 0x3ec71de3796cde01
	s_delay_alu instid0(VALU_DEP_1) | instskip(NEXT) | instid1(VALU_DEP_1)
	v_fmaak_f64 v[86:87], v[66:67], v[86:87], 0xbf2a01a019e83e5c
	v_fmaak_f64 v[86:87], v[66:67], v[86:87], 0x3f81111111110bb3
	v_add_f64_e64 v[76:77], -v[70:71], 1.0
	s_delay_alu instid0(VALU_DEP_2) | instskip(SKIP_2) | instid1(VALU_DEP_4)
	v_fmac_f64_e32 v[78:79], v[80:81], v[86:87]
	v_fma_f64 v[88:89], v[72:73], s[22:23], -|v[4:5]|
	v_cvt_i32_f64_e32 v16, v[72:73]
	v_add_f64_e64 v[84:85], -v[76:77], 1.0
	s_delay_alu instid0(VALU_DEP_4) | instskip(NEXT) | instid1(VALU_DEP_4)
	v_fma_f64 v[78:79], v[66:67], v[78:79], -v[58:59]
	v_fmac_f64_e32 v[88:89], 0xbc7abc9e3b39803f, v[72:73]
	s_delay_alu instid0(VALU_DEP_3) | instskip(NEXT) | instid1(VALU_DEP_3)
	v_add_f64_e64 v[70:71], v[84:85], -v[70:71]
	v_fmac_f64_e32 v[78:79], 0xbfc5555555555555, v[80:81]
	s_delay_alu instid0(VALU_DEP_2) | instskip(NEXT) | instid1(VALU_DEP_2)
	v_fma_f64 v[58:59], v[14:15], -v[58:59], v[70:71]
	v_add_f64_e64 v[14:15], v[14:15], -v[78:79]
	v_mul_f64_e32 v[68:69], v[60:61], v[60:61]
	s_delay_alu instid0(VALU_DEP_1) | instskip(SKIP_1) | instid1(VALU_DEP_1)
	v_mul_f64_e64 v[92:93], v[60:61], -v[68:69]
	v_fmamk_f64 v[94:95], v[68:69], 0x3de5e0b2f9a43bb8, v[48:49]
	v_fmaak_f64 v[84:85], v[68:69], v[94:95], 0x3ec71de3796cde01
	v_fmamk_f64 v[94:95], v[66:67], 0xbda907db46cc5e42, v[46:47]
	s_delay_alu instid0(VALU_DEP_2) | instskip(NEXT) | instid1(VALU_DEP_2)
	v_fmaak_f64 v[84:85], v[68:69], v[84:85], 0xbf2a01a019e83e5c
	v_fmaak_f64 v[70:71], v[66:67], v[94:95], 0xbe927e4fa17f65f6
	s_delay_alu instid0(VALU_DEP_2) | instskip(NEXT) | instid1(VALU_DEP_2)
	v_fmaak_f64 v[84:85], v[68:69], v[84:85], 0x3f81111111110bb3
	v_fmaak_f64 v[70:71], v[66:67], v[70:71], 0x3efa01a019f4ec90
	s_delay_alu instid0(VALU_DEP_1) | instskip(NEXT) | instid1(VALU_DEP_3)
	v_fmaak_f64 v[70:71], v[66:67], v[70:71], 0xbf56c16c16c16967
	v_fmac_f64_e32 v[90:91], v[92:93], v[84:85]
	v_mul_f64_e32 v[84:85], v[66:67], v[66:67]
	s_delay_alu instid0(VALU_DEP_3) | instskip(NEXT) | instid1(VALU_DEP_1)
	v_fmaak_f64 v[66:67], v[66:67], v[70:71], 0x3fa5555555555555
	v_fmac_f64_e32 v[58:59], v[84:85], v[66:67]
	s_delay_alu instid0(VALU_DEP_1) | instskip(NEXT) | instid1(VALU_DEP_1)
	v_add_f64_e32 v[58:59], v[76:77], v[58:59]
	v_dual_mul_f64 v[74:75], 0.5, v[68:69] :: v_dual_cndmask_b32 v2, v58, v14, vcc_lo
	s_delay_alu instid0(VALU_DEP_2) | instskip(NEXT) | instid1(VALU_DEP_1)
	v_cndmask_b32_e32 v25, v59, v15, vcc_lo
	v_bitop3_b32 v3, v25, v3, 0x80000000 bitop3:0x78
	s_delay_alu instid0(VALU_DEP_1) | instskip(NEXT) | instid1(VALU_DEP_1)
	v_dual_mul_f64 v[2:3], 4.0, v[2:3] :: v_dual_bitop2_b32 v25, 1, v64 bitop3:0x40
	v_cmp_eq_u32_e32 vcc_lo, 0, v25
	v_add_f64_e64 v[82:83], -v[74:75], 1.0
	s_delay_alu instid0(VALU_DEP_1) | instskip(NEXT) | instid1(VALU_DEP_1)
	v_add_f64_e64 v[86:87], -v[82:83], 1.0
	v_add_f64_e64 v[74:75], v[86:87], -v[74:75]
	v_fmamk_f64 v[86:87], v[88:89], 0x3e5ade156a5dcb37, v[32:33]
	s_delay_alu instid0(VALU_DEP_1) | instskip(NEXT) | instid1(VALU_DEP_1)
	v_fmaak_f64 v[86:87], v[88:89], v[86:87], 0x3ec71dee623fde64
	v_fmaak_f64 v[86:87], v[88:89], v[86:87], 0x3efa01997c89e6b0
	s_delay_alu instid0(VALU_DEP_1) | instskip(SKIP_2) | instid1(VALU_DEP_3)
	v_fmaak_f64 v[70:71], v[88:89], v[86:87], 0x3f2a01a014761f6e
	v_fma_f64 v[86:87], v[68:69], v[90:91], -v[62:63]
	v_fmamk_f64 v[90:91], v[68:69], 0xbda907db46cc5e42, v[46:47]
	v_fmaak_f64 v[66:67], v[88:89], v[70:71], 0x3f56c16c1852b7b0
	s_delay_alu instid0(VALU_DEP_2) | instskip(SKIP_1) | instid1(VALU_DEP_3)
	v_fmaak_f64 v[70:71], v[68:69], v[90:91], 0xbe927e4fa17f65f6
	v_fma_f64 v[62:63], v[60:61], -v[62:63], v[74:75]
	v_fmaak_f64 v[66:67], v[88:89], v[66:67], 0x3f81111111122322
	s_delay_alu instid0(VALU_DEP_3) | instskip(NEXT) | instid1(VALU_DEP_2)
	v_fmaak_f64 v[70:71], v[68:69], v[70:71], 0x3efa01a019f4ec90
	v_fmaak_f64 v[66:67], v[88:89], v[66:67], 0x3fa55555555502a1
	s_delay_alu instid0(VALU_DEP_2) | instskip(NEXT) | instid1(VALU_DEP_2)
	v_fmaak_f64 v[70:71], v[68:69], v[70:71], 0xbf56c16c16c16967
	v_fmaak_f64 v[66:67], v[88:89], v[66:67], 0x3fc5555555555511
	v_fmac_f64_e32 v[86:87], 0xbfc5555555555555, v[92:93]
	s_delay_alu instid0(VALU_DEP_2) | instskip(NEXT) | instid1(VALU_DEP_1)
	v_fmaak_f64 v[66:67], v[88:89], v[66:67], 0x3fe000000000000b
	v_fma_f64 v[66:67], v[88:89], v[66:67], 1.0
	s_delay_alu instid0(VALU_DEP_3) | instskip(NEXT) | instid1(VALU_DEP_2)
	v_add_f64_e64 v[60:61], v[60:61], -v[86:87]
	v_fma_f64 v[14:15], v[88:89], v[66:67], 1.0
	s_delay_alu instid0(VALU_DEP_2) | instskip(NEXT) | instid1(VALU_DEP_2)
	v_xor_b32_e32 v59, 0x80000000, v61
	v_ldexp_f64 v[14:15], v[14:15], v16
	v_mul_f64_e32 v[94:95], v[68:69], v[68:69]
	v_fmaak_f64 v[68:69], v[68:69], v[70:71], 0x3fa5555555555555
	s_delay_alu instid0(VALU_DEP_1) | instskip(NEXT) | instid1(VALU_DEP_1)
	v_fmac_f64_e32 v[62:63], v[94:95], v[68:69]
	v_add_f64_e32 v[62:63], v[82:83], v[62:63]
	s_delay_alu instid0(VALU_DEP_1) | instskip(NEXT) | instid1(VALU_DEP_2)
	v_dual_cndmask_b32 v25, v59, v63, vcc_lo :: v_dual_lshlrev_b32 v59, 30, v64
	v_cndmask_b32_e32 v58, v60, v62, vcc_lo
	v_cmp_nlt_f64_e64 vcc_lo, 0x4090cc00, |v[4:5]|
	s_delay_alu instid0(VALU_DEP_3) | instskip(SKIP_1) | instid1(VALU_DEP_2)
	v_bitop3_b32 v59, v25, v59, 0x80000000 bitop3:0x78
	v_bfi_b32 v25, 0x7fffffff, s33, v17
	v_mul_f64_e32 v[2:3], v[2:3], v[58:59]
	s_delay_alu instid0(VALU_DEP_2) | instskip(SKIP_1) | instid1(VALU_DEP_1)
	v_mov_b64_e32 v[16:17], v[24:25]
	v_dual_cndmask_b32 v5, 0, v15 :: v_dual_cndmask_b32 v4, 0, v14
	v_mul_f64_e32 v[2:3], v[4:5], v[2:3]
	s_delay_alu instid0(VALU_DEP_1)
	v_mul_f64_e32 v[14:15], v[4:5], v[2:3]
.LBB99_163:                             ;   in Loop: Header=BB99_4 Depth=1
	s_or_b32 exec_lo, exec_lo, s6
                                        ; implicit-def: $vgpr2_vgpr3
.LBB99_164:                             ;   in Loop: Header=BB99_4 Depth=1
	s_and_not1_saveexec_b32 s6, s36
	s_cbranch_execz .LBB99_166
; %bb.165:                              ;   in Loop: Header=BB99_4 Depth=1
	v_add_f64_e64 v[14:15], v[2:3], -v[2:3]
	s_delay_alu instid0(VALU_DEP_1)
	v_mov_b64_e32 v[16:17], v[14:15]
.LBB99_166:                             ;   in Loop: Header=BB99_4 Depth=1
	s_or_b32 exec_lo, exec_lo, s6
                                        ; implicit-def: $vgpr2_vgpr3
	s_and_not1_saveexec_b32 s36, s7
	s_cbranch_execnz .LBB99_138
.LBB99_167:                             ;   in Loop: Header=BB99_4 Depth=1
	s_or_b32 exec_lo, exec_lo, s36
	s_and_saveexec_b32 s6, s2
	s_delay_alu instid0(SALU_CYCLE_1)
	s_xor_b32 s2, exec_lo, s6
	s_cbranch_execz .LBB99_157
.LBB99_168:                             ;   in Loop: Header=BB99_4 Depth=1
	v_xor_b32_e32 v9, 0x80000000, v9
	global_store_b128 v[50:51], v[6:9], off
	s_wait_xcnt 0x0
	s_or_b32 exec_lo, exec_lo, s2
	s_and_saveexec_b32 s2, s3
	s_cbranch_execnz .LBB99_158
.LBB99_169:                             ;   in Loop: Header=BB99_4 Depth=1
	s_or_b32 exec_lo, exec_lo, s2
	s_and_saveexec_b32 s2, s4
	s_cbranch_execz .LBB99_159
.LBB99_170:                             ;   in Loop: Header=BB99_4 Depth=1
	v_xor_b32_e32 v21, 0x80000000, v21
	global_store_b128 v[54:55], v[18:21], off offset:-8
	s_wait_xcnt 0x0
	s_or_b32 exec_lo, exec_lo, s2
	s_and_saveexec_b32 s2, s5
	s_cbranch_execz .LBB99_3
.LBB99_171:                             ;   in Loop: Header=BB99_4 Depth=1
	s_delay_alu instid0(VALU_DEP_1)
	v_xor_b32_e32 v17, 0x80000000, v17
	global_store_b128 v[56:57], v[14:17], off offset:-8
	s_branch .LBB99_3
.LBB99_172:
	s_cbranch_execz .LBB99_174
	s_branch .LBB99_329
.LBB99_173:
.LBB99_174:
	v_min_i64 v[22:23], 0x10000, s[12:13]
	v_dual_mov_b32 v24, 0 :: v_dual_lshlrev_b32 v2, 2, v0
	s_mov_b32 s2, exec_lo
	s_delay_alu instid0(VALU_DEP_1) | instskip(NEXT) | instid1(VALU_DEP_1)
	v_mov_b32_e32 v3, v24
	v_cmpx_lt_i64_e64 v[2:3], v[22:23]
	s_cbranch_execz .LBB99_329
; %bb.175:
	s_load_b32 s12, s[0:1], 0xd3c
	v_dual_mov_b32 v1, v24 :: v_dual_lshlrev_b32 v2, 6, v0
	v_mov_b32_e32 v3, v24
	s_wait_xcnt 0x0
	s_add_nc_u64 s[0:1], s[8:9], s[10:11]
	v_mov_b64_e32 v[26:27], 0xbf078809a9a29f71
	v_mov_b64_e32 v[28:29], 0x3e928af3fca7ab0c
	;; [unrolled: 1-line block ×4, first 2 shown]
	v_add_nc_u64_e32 v[34:35], s[0:1], v[2:3]
	s_mov_b32 s13, 0
	s_mov_b64 s[2:3], 0x3ff921fb54442d18
	s_mov_b64 s[4:5], 0x3fe45f306dc9c883
	s_mov_b64 s[6:7], 0xbff921fb54442d18
	s_mov_b64 s[8:9], 0xbfe62e42fefa39ef
	s_mov_b64 s[10:11], 0x408633ce8fb9f87e
	s_mov_b64 s[14:15], 0xbff71547652b82fe
	s_mov_b32 s17, s13
	s_mov_b32 s18, 0x3ff00000
	;; [unrolled: 1-line block ×3, first 2 shown]
	s_wait_kmcnt 0x0
	s_and_b32 s12, s12, 0xffff
                                        ; implicit-def: $vgpr2_vgpr3
                                        ; implicit-def: $vgpr2_vgpr3
	;; [unrolled: 1-line block ×27, first 2 shown]
	s_delay_alu instid0(SALU_CYCLE_1)
	s_lshl_b32 s16, s12, 6
	s_branch .LBB99_180
.LBB99_176:                             ;   in Loop: Header=BB99_180 Depth=1
	s_or_b32 exec_lo, exec_lo, s0
	v_dual_mul_f64 v[36:37], v[4:5], v[4:5] :: v_dual_bitop2_b32 v25, 1, v50 bitop3:0x40
	v_cmp_class_f64_e64 s0, v[2:3], 0x1f8
	v_mul_f64_e32 v[38:39], v[44:45], v[44:45]
	s_delay_alu instid0(VALU_DEP_4) | instskip(NEXT) | instid1(VALU_DEP_4)
	v_dual_mul_f64 v[64:65], 0.5, v[46:47] :: v_dual_bitop2_b32 v2, 1, v52 bitop3:0x40
	v_cmp_eq_u32_e32 vcc_lo, 0, v25
	v_mul_f64_e32 v[56:57], 0.5, v[10:11]
	s_delay_alu instid0(VALU_DEP_3)
	v_cmp_eq_u32_e64 s1, 0, v2
	v_lshlrev_b32_e32 v2, 30, v52
	v_mul_f64_e32 v[40:41], 0.5, v[36:37]
	v_mul_f64_e64 v[58:59], v[4:5], -v[36:37]
	v_fmamk_f64 v[62:63], v[36:37], 0x3de5e0b2f9a43bb8, v[32:33]
	v_fmamk_f64 v[68:69], v[38:39], 0x3de5e0b2f9a43bb8, v[32:33]
	s_delay_alu instid0(VALU_DEP_2) | instskip(NEXT) | instid1(VALU_DEP_2)
	v_fmaak_f64 v[62:63], v[36:37], v[62:63], 0x3ec71de3796cde01
	v_fmaak_f64 v[68:69], v[38:39], v[68:69], 0x3ec71de3796cde01
	s_delay_alu instid0(VALU_DEP_2) | instskip(NEXT) | instid1(VALU_DEP_1)
	v_fmaak_f64 v[62:63], v[36:37], v[62:63], 0xbf2a01a019e83e5c
	v_fmaak_f64 v[62:63], v[36:37], v[62:63], 0x3f81111111110bb3
	v_add_f64_e64 v[48:49], -v[40:41], 1.0
	s_delay_alu instid0(VALU_DEP_2) | instskip(SKIP_1) | instid1(VALU_DEP_3)
	v_fmac_f64_e32 v[56:57], v[58:59], v[62:63]
	v_mul_f64_e32 v[62:63], v[36:37], v[36:37]
	v_add_f64_e64 v[60:61], -v[48:49], 1.0
	s_delay_alu instid0(VALU_DEP_3) | instskip(NEXT) | instid1(VALU_DEP_2)
	v_fma_f64 v[56:57], v[36:37], v[56:57], -v[10:11]
	v_add_f64_e64 v[40:41], v[60:61], -v[40:41]
	s_delay_alu instid0(VALU_DEP_2) | instskip(SKIP_1) | instid1(VALU_DEP_1)
	v_fmac_f64_e32 v[56:57], 0xbfc5555555555555, v[58:59]
	v_fmaak_f64 v[60:61], v[38:39], v[68:69], 0xbf2a01a019e83e5c
	v_fmaak_f64 v[60:61], v[38:39], v[60:61], 0x3f81111111110bb3
	s_delay_alu instid0(VALU_DEP_4) | instskip(NEXT) | instid1(VALU_DEP_4)
	v_fma_f64 v[10:11], v[4:5], -v[10:11], v[40:41]
	v_add_f64_e64 v[4:5], v[4:5], -v[56:57]
	v_mul_f64_e64 v[66:67], v[44:45], -v[38:39]
	s_delay_alu instid0(VALU_DEP_1) | instskip(SKIP_1) | instid1(VALU_DEP_1)
	v_fmac_f64_e32 v[64:65], v[66:67], v[60:61]
	v_fmamk_f64 v[60:61], v[36:37], 0xbda907db46cc5e42, v[30:31]
	v_fmaak_f64 v[40:41], v[36:37], v[60:61], 0xbe927e4fa17f65f6
	s_delay_alu instid0(VALU_DEP_1) | instskip(NEXT) | instid1(VALU_DEP_1)
	v_fmaak_f64 v[40:41], v[36:37], v[40:41], 0x3efa01a019f4ec90
	v_fmaak_f64 v[40:41], v[36:37], v[40:41], 0xbf56c16c16c16967
	s_delay_alu instid0(VALU_DEP_1) | instskip(NEXT) | instid1(VALU_DEP_1)
	v_fmaak_f64 v[36:37], v[36:37], v[40:41], 0x3fa5555555555555
	v_fmac_f64_e32 v[10:11], v[62:63], v[36:37]
	s_delay_alu instid0(VALU_DEP_1) | instskip(NEXT) | instid1(VALU_DEP_1)
	v_add_f64_e32 v[10:11], v[48:49], v[10:11]
	v_dual_cndmask_b32 v4, v10, v4, vcc_lo :: v_dual_lshlrev_b32 v10, 30, v50
	v_mul_f64_e32 v[42:43], 0.5, v[38:39]
	v_fma_f64 v[60:61], v[38:39], v[64:65], -v[46:47]
	v_fmamk_f64 v[64:65], v[38:39], 0xbda907db46cc5e42, v[30:31]
	v_mul_f64_e32 v[68:69], v[38:39], v[38:39]
	v_dual_cndmask_b32 v5, v11, v5, vcc_lo :: v_dual_bitop2_b32 v3, v10, v3 bitop3:0x14
	s_delay_alu instid0(VALU_DEP_3) | instskip(NEXT) | instid1(VALU_DEP_2)
	v_fmaak_f64 v[40:41], v[38:39], v[64:65], 0xbe927e4fa17f65f6
	v_bitop3_b32 v3, v5, v3, 0x80000000 bitop3:0x78
	s_delay_alu instid0(VALU_DEP_1) | instskip(NEXT) | instid1(VALU_DEP_3)
	v_cndmask_b32_e64 v3, 0x7ff80000, v3, s0
	v_fmaak_f64 v[36:37], v[38:39], v[40:41], 0x3efa01a019f4ec90
	s_delay_alu instid0(VALU_DEP_1) | instskip(NEXT) | instid1(VALU_DEP_1)
	v_fmaak_f64 v[36:37], v[38:39], v[36:37], 0xbf56c16c16c16967
	v_fmaak_f64 v[36:37], v[38:39], v[36:37], 0x3fa5555555555555
	v_add_f64_e64 v[54:55], -v[42:43], 1.0
	v_fmac_f64_e32 v[60:61], 0xbfc5555555555555, v[66:67]
	s_delay_alu instid0(VALU_DEP_2) | instskip(NEXT) | instid1(VALU_DEP_1)
	v_add_f64_e64 v[70:71], -v[54:55], 1.0
	v_add_f64_e64 v[42:43], v[70:71], -v[42:43]
	s_delay_alu instid0(VALU_DEP_1) | instskip(NEXT) | instid1(VALU_DEP_1)
	v_fma_f64 v[42:43], v[44:45], -v[46:47], v[42:43]
	v_fmac_f64_e32 v[42:43], v[68:69], v[36:37]
	v_add_f64_e64 v[36:37], v[44:45], -v[60:61]
	s_delay_alu instid0(VALU_DEP_2) | instskip(NEXT) | instid1(VALU_DEP_2)
	v_add_f64_e32 v[38:39], v[54:55], v[42:43]
	v_xor_b32_e32 v25, 0x80000000, v37
	s_delay_alu instid0(VALU_DEP_1) | instskip(NEXT) | instid1(VALU_DEP_1)
	v_dual_cndmask_b32 v11, v25, v39, s1 :: v_dual_cndmask_b32 v10, v36, v38, s1
	v_bitop3_b32 v5, v11, v2, 0x80000000 bitop3:0x78
	s_delay_alu instid0(VALU_DEP_2) | instskip(NEXT) | instid1(VALU_DEP_2)
	v_dual_cndmask_b32 v2, 0, v4, s0 :: v_dual_cndmask_b32 v4, 0, v10, s0
	v_cndmask_b32_e64 v5, 0x7ff80000, v5, s0
	s_delay_alu instid0(VALU_DEP_1)
	v_mul_f64_e32 v[2:3], v[2:3], v[4:5]
.LBB99_177:                             ;   in Loop: Header=BB99_180 Depth=1
	s_or_b32 exec_lo, exec_lo, s22
	s_delay_alu instid0(VALU_DEP_1) | instskip(SKIP_1) | instid1(VALU_DEP_2)
	v_bfi_b32 v25, 0x7fffffff, 0, v3
	v_add_nc_u32_e32 v13, -2.0, v13
	v_mov_b64_e32 v[10:11], v[24:25]
.LBB99_178:                             ;   in Loop: Header=BB99_180 Depth=1
	s_or_b32 exec_lo, exec_lo, s21
.LBB99_179:                             ;   in Loop: Header=BB99_180 Depth=1
	s_delay_alu instid0(SALU_CYCLE_1)
	s_or_b32 exec_lo, exec_lo, s20
	v_add_nc_u64_e32 v[0:1], s[12:13], v[0:1]
	v_xor_b32_e32 v9, 0x80000000, v9
	v_xor_b32_e32 v21, 0x80000000, v21
	v_xor_b32_e32 v17, 0x80000000, v17
	v_xor_b32_e32 v13, 0x80000000, v13
	s_clause 0x1
	global_store_b128 v[34:35], v[6:9], off
	global_store_b128 v[34:35], v[14:17], off offset:16
	v_lshlrev_b64_e32 v[2:3], 2, v[0:1]
	s_clause 0x1
	global_store_b128 v[34:35], v[18:21], off offset:32
	global_store_b128 v[34:35], v[10:13], off offset:48
	s_wait_xcnt 0x0
	v_add_nc_u64_e32 v[34:35], s[16:17], v[34:35]
	v_cmp_ge_i64_e32 vcc_lo, v[2:3], v[22:23]
	s_or_b32 s19, vcc_lo, s19
	s_delay_alu instid0(SALU_CYCLE_1)
	s_and_not1_b32 exec_lo, exec_lo, s19
	s_cbranch_execz .LBB99_329
.LBB99_180:                             ; =>This Inner Loop Header: Depth=1
	s_clause 0x3
	global_load_b128 v[14:17], v[34:35], off
	global_load_b128 v[18:21], v[34:35], off offset:16
	global_load_b128 v[2:5], v[34:35], off offset:48
	;; [unrolled: 1-line block ×3, first 2 shown]
	s_mov_b32 s0, exec_lo
	s_wait_loadcnt 0x3
	v_xor_b32_e32 v9, 0x80000000, v17
	v_mov_b32_e32 v8, v16
	s_delay_alu instid0(VALU_DEP_2) | instskip(SKIP_1) | instid1(VALU_DEP_1)
	v_and_b32_e32 v25, 0x7fffffff, v9
	s_wait_xcnt 0x0
	v_cmpx_gt_u32_e32 0x7ff00000, v25
	s_xor_b32 s1, exec_lo, s0
	s_cbranch_execz .LBB99_202
; %bb.181:                              ;   in Loop: Header=BB99_180 Depth=1
	v_cmp_class_f64_e64 s0, v[14:15], 0x1f8
                                        ; implicit-def: $vgpr6_vgpr7
	s_and_saveexec_b32 s20, s0
	s_delay_alu instid0(SALU_CYCLE_1)
	s_xor_b32 s20, exec_lo, s20
	s_cbranch_execz .LBB99_199
; %bb.182:                              ;   in Loop: Header=BB99_180 Depth=1
                                        ; implicit-def: $vgpr6_vgpr7
	s_mov_b32 s0, exec_lo
	v_cmpx_gt_u32_e32 0x40360000, v25
	s_xor_b32 s21, exec_lo, s0
	s_cbranch_execz .LBB99_188
; %bb.183:                              ;   in Loop: Header=BB99_180 Depth=1
	v_cmp_ngt_f64_e64 s0, 0x41d00000, |v[14:15]|
                                        ; implicit-def: $vgpr36
                                        ; implicit-def: $vgpr6_vgpr7
                                        ; implicit-def: $vgpr8_vgpr9
	s_and_saveexec_b32 s22, s0
	s_delay_alu instid0(SALU_CYCLE_1)
	s_xor_b32 s0, exec_lo, s22
	s_cbranch_execz .LBB99_185
; %bb.184:                              ;   in Loop: Header=BB99_180 Depth=1
	v_ldexp_f64 v[6:7], |v[14:15]|, 0xffffff80
	v_cmp_le_f64_e64 vcc_lo, 0x7b000000, |v[14:15]|
	v_trig_preop_f64 v[8:9], |v[14:15]|, 0
	v_and_b32_e32 v25, 0x7fffffff, v15
	v_trig_preop_f64 v[36:37], |v[14:15]|, 1
	v_trig_preop_f64 v[46:47], |v[14:15]|, 2
	s_delay_alu instid0(VALU_DEP_3) | instskip(NEXT) | instid1(VALU_DEP_1)
	v_dual_cndmask_b32 v7, v25, v7 :: v_dual_cndmask_b32 v6, v14, v6
	v_mul_f64_e32 v[38:39], v[8:9], v[6:7]
	s_delay_alu instid0(VALU_DEP_4) | instskip(NEXT) | instid1(VALU_DEP_4)
	v_mul_f64_e32 v[40:41], v[36:37], v[6:7]
	v_mul_f64_e32 v[52:53], v[46:47], v[6:7]
	s_delay_alu instid0(VALU_DEP_3) | instskip(NEXT) | instid1(VALU_DEP_3)
	v_fma_f64 v[8:9], v[8:9], v[6:7], -v[38:39]
	v_fma_f64 v[36:37], v[36:37], v[6:7], -v[40:41]
	s_delay_alu instid0(VALU_DEP_3) | instskip(NEXT) | instid1(VALU_DEP_3)
	v_fma_f64 v[6:7], v[46:47], v[6:7], -v[52:53]
	v_add_f64_e32 v[42:43], v[40:41], v[8:9]
	s_delay_alu instid0(VALU_DEP_1) | instskip(SKIP_1) | instid1(VALU_DEP_2)
	v_add_f64_e64 v[44:45], v[42:43], -v[40:41]
	v_add_f64_e32 v[50:51], v[38:39], v[42:43]
	v_add_f64_e64 v[48:49], v[42:43], -v[44:45]
	v_add_f64_e64 v[8:9], v[8:9], -v[44:45]
	s_delay_alu instid0(VALU_DEP_3) | instskip(NEXT) | instid1(VALU_DEP_3)
	v_ldexp_f64 v[44:45], v[50:51], -2
	v_add_f64_e64 v[40:41], v[40:41], -v[48:49]
	v_add_f64_e32 v[48:49], v[52:53], v[36:37]
	s_delay_alu instid0(VALU_DEP_3) | instskip(NEXT) | instid1(VALU_DEP_3)
	v_cmp_neq_f64_e64 vcc_lo, 0x7ff00000, |v[44:45]|
	v_add_f64_e32 v[8:9], v[8:9], v[40:41]
	v_fract_f64_e32 v[40:41], v[44:45]
	s_delay_alu instid0(VALU_DEP_1) | instskip(NEXT) | instid1(VALU_DEP_1)
	v_ldexp_f64 v[40:41], v[40:41], 2
	v_dual_add_f64 v[38:39], v[50:51], -v[38:39] :: v_dual_cndmask_b32 v41, 0, v41, vcc_lo
	s_delay_alu instid0(VALU_DEP_1) | instskip(SKIP_1) | instid1(VALU_DEP_1)
	v_dual_add_f64 v[38:39], v[42:43], -v[38:39] :: v_dual_cndmask_b32 v40, 0, v40, vcc_lo
	v_add_f64_e32 v[42:43], v[48:49], v[8:9]
	v_add_f64_e32 v[44:45], v[38:39], v[42:43]
	v_add_f64_e64 v[54:55], v[42:43], -v[48:49]
	s_delay_alu instid0(VALU_DEP_2) | instskip(NEXT) | instid1(VALU_DEP_2)
	v_add_f64_e32 v[50:51], v[44:45], v[40:41]
	v_add_f64_e64 v[60:61], v[42:43], -v[54:55]
	v_add_f64_e64 v[8:9], v[8:9], -v[54:55]
	;; [unrolled: 1-line block ×3, first 2 shown]
	s_delay_alu instid0(VALU_DEP_4) | instskip(SKIP_2) | instid1(VALU_DEP_2)
	v_cmp_gt_f64_e32 vcc_lo, 0, v[50:51]
	v_add_f64_e64 v[50:51], v[48:49], -v[52:53]
	v_cndmask_b32_e64 v25, 0, 0x40100000, vcc_lo
	v_add_f64_e64 v[58:59], v[48:49], -v[50:51]
	v_add_f64_e64 v[36:37], v[36:37], -v[50:51]
	;; [unrolled: 1-line block ×3, first 2 shown]
	s_delay_alu instid0(VALU_DEP_4) | instskip(NEXT) | instid1(VALU_DEP_4)
	v_add_f64_e32 v[40:41], v[40:41], v[24:25]
	v_add_f64_e64 v[50:51], v[52:53], -v[58:59]
	s_delay_alu instid0(VALU_DEP_3) | instskip(NEXT) | instid1(VALU_DEP_3)
	v_add_f64_e32 v[8:9], v[8:9], v[48:49]
	v_add_f64_e32 v[56:57], v[44:45], v[40:41]
	s_delay_alu instid0(VALU_DEP_3) | instskip(NEXT) | instid1(VALU_DEP_2)
	v_add_f64_e32 v[36:37], v[36:37], v[50:51]
	v_cvt_i32_f64_e32 v25, v[56:57]
	s_delay_alu instid0(VALU_DEP_2) | instskip(SKIP_1) | instid1(VALU_DEP_3)
	v_add_f64_e32 v[8:9], v[36:37], v[8:9]
	v_add_f64_e64 v[36:37], v[42:43], -v[38:39]
	v_cvt_f64_i32_e32 v[54:55], v25
	s_delay_alu instid0(VALU_DEP_3) | instskip(NEXT) | instid1(VALU_DEP_2)
	v_add_f64_e32 v[6:7], v[6:7], v[8:9]
	v_add_f64_e64 v[40:41], v[40:41], -v[54:55]
	s_delay_alu instid0(VALU_DEP_2) | instskip(NEXT) | instid1(VALU_DEP_2)
	v_add_f64_e32 v[6:7], v[36:37], v[6:7]
	v_add_f64_e32 v[46:47], v[44:45], v[40:41]
	s_delay_alu instid0(VALU_DEP_1) | instskip(SKIP_1) | instid1(VALU_DEP_2)
	v_add_f64_e64 v[8:9], v[46:47], -v[40:41]
	v_cmp_le_f64_e32 vcc_lo, 0.5, v[46:47]
	v_add_f64_e64 v[8:9], v[44:45], -v[8:9]
	v_add_co_ci_u32_e64 v36, null, 0, v25, vcc_lo
	v_cndmask_b32_e64 v25, 0, 0x3ff00000, vcc_lo
	s_delay_alu instid0(VALU_DEP_3) | instskip(NEXT) | instid1(VALU_DEP_2)
	v_add_f64_e32 v[6:7], v[6:7], v[8:9]
	v_add_f64_e64 v[8:9], v[46:47], -v[24:25]
	s_delay_alu instid0(VALU_DEP_1) | instskip(NEXT) | instid1(VALU_DEP_1)
	v_add_f64_e32 v[38:39], v[8:9], v[6:7]
	v_mul_f64_e32 v[40:41], 0x3ff921fb54442d18, v[38:39]
	v_add_f64_e64 v[8:9], v[38:39], -v[8:9]
	s_delay_alu instid0(VALU_DEP_2) | instskip(NEXT) | instid1(VALU_DEP_2)
	v_fma_f64 v[42:43], v[38:39], s[2:3], -v[40:41]
	v_add_f64_e64 v[6:7], v[6:7], -v[8:9]
	s_delay_alu instid0(VALU_DEP_2) | instskip(NEXT) | instid1(VALU_DEP_1)
	v_fmac_f64_e32 v[42:43], 0x3c91a62633145c07, v[38:39]
	v_fmac_f64_e32 v[42:43], 0x3ff921fb54442d18, v[6:7]
	s_delay_alu instid0(VALU_DEP_1) | instskip(NEXT) | instid1(VALU_DEP_1)
	v_add_f64_e32 v[6:7], v[40:41], v[42:43]
	v_add_f64_e64 v[8:9], v[6:7], -v[40:41]
	s_delay_alu instid0(VALU_DEP_1)
	v_add_f64_e64 v[8:9], v[42:43], -v[8:9]
.LBB99_185:                             ;   in Loop: Header=BB99_180 Depth=1
	s_and_not1_saveexec_b32 s0, s0
	s_cbranch_execz .LBB99_187
; %bb.186:                              ;   in Loop: Header=BB99_180 Depth=1
	v_mul_f64_e64 v[6:7], |v[14:15]|, s[4:5]
	s_delay_alu instid0(VALU_DEP_1) | instskip(NEXT) | instid1(VALU_DEP_1)
	v_rndne_f64_e32 v[36:37], v[6:7]
	v_fma_f64 v[6:7], v[36:37], s[6:7], |v[14:15]|
	v_mul_f64_e32 v[8:9], 0xbc91a62633145c00, v[36:37]
	s_delay_alu instid0(VALU_DEP_2) | instskip(NEXT) | instid1(VALU_DEP_2)
	v_fmamk_f64 v[42:43], v[36:37], 0xbc91a62633145c00, v[6:7]
	v_add_f64_e32 v[38:39], v[6:7], v[8:9]
	s_delay_alu instid0(VALU_DEP_1) | instskip(NEXT) | instid1(VALU_DEP_3)
	v_add_f64_e64 v[40:41], v[6:7], -v[38:39]
	v_add_f64_e64 v[6:7], v[38:39], -v[42:43]
	s_delay_alu instid0(VALU_DEP_2) | instskip(SKIP_1) | instid1(VALU_DEP_2)
	v_add_f64_e32 v[38:39], v[40:41], v[8:9]
	v_fmamk_f64 v[8:9], v[36:37], 0x3c91a62633145c00, v[8:9]
	v_add_f64_e32 v[6:7], v[6:7], v[38:39]
	s_delay_alu instid0(VALU_DEP_1) | instskip(NEXT) | instid1(VALU_DEP_1)
	v_add_f64_e64 v[8:9], v[6:7], -v[8:9]
	v_fmac_f64_e32 v[8:9], 0xb97b839a252049c0, v[36:37]
	v_cvt_i32_f64_e32 v36, v[36:37]
	s_delay_alu instid0(VALU_DEP_2) | instskip(NEXT) | instid1(VALU_DEP_1)
	v_add_f64_e32 v[6:7], v[42:43], v[8:9]
	v_add_f64_e64 v[38:39], v[6:7], -v[42:43]
	s_delay_alu instid0(VALU_DEP_1)
	v_add_f64_e64 v[8:9], v[8:9], -v[38:39]
.LBB99_187:                             ;   in Loop: Header=BB99_180 Depth=1
	s_or_b32 exec_lo, exec_lo, s0
	v_add_f64_e64 v[38:39], |v[16:17]|, s[8:9]
	v_cmp_nge_f64_e64 vcc_lo, |v[16:17]|, s[10:11]
	v_and_b32_e32 v37, 0x7fffffff, v17
	v_mul_f64_e32 v[56:57], v[6:7], v[6:7]
	v_add_f64_e32 v[58:59], v[8:9], v[8:9]
	v_add_f64_e64 v[40:41], v[38:39], -|v[16:17]|
	s_delay_alu instid0(VALU_DEP_3) | instskip(NEXT) | instid1(VALU_DEP_2)
	v_fma_f64 v[60:61], v[6:7], v[6:7], -v[56:57]
	v_add_f64_e64 v[42:43], v[40:41], -v[38:39]
	v_add_f64_e32 v[40:41], 0x3fe62e42fefa39ef, v[40:41]
	s_delay_alu instid0(VALU_DEP_3) | instskip(NEXT) | instid1(VALU_DEP_3)
	v_fmac_f64_e32 v[60:61], v[6:7], v[58:59]
	v_add_f64_e64 v[42:43], |v[16:17]|, v[42:43]
	s_delay_alu instid0(VALU_DEP_2) | instskip(NEXT) | instid1(VALU_DEP_2)
	v_add_f64_e32 v[56:57], v[56:57], v[60:61]
	v_add_f64_e64 v[40:41], v[42:43], -v[40:41]
	s_delay_alu instid0(VALU_DEP_2) | instskip(NEXT) | instid1(VALU_DEP_1)
	v_fmamk_f64 v[60:61], v[56:57], 0x3ef5e089c751c08c, v[26:27]
	v_fmaak_f64 v[60:61], v[56:57], v[60:61], 0x3f17746f90a8aae0
	s_delay_alu instid0(VALU_DEP_1) | instskip(NEXT) | instid1(VALU_DEP_4)
	v_fmaak_f64 v[60:61], v[56:57], v[60:61], 0xbefbb44da6fbf144
	v_add_f64_e32 v[40:41], 0xbc7abc9e3b39803f, v[40:41]
	s_delay_alu instid0(VALU_DEP_1) | instskip(NEXT) | instid1(VALU_DEP_1)
	v_add_f64_e32 v[42:43], v[38:39], v[40:41]
	v_mul_f64_e32 v[44:45], 0x3ff71547652b82fe, v[42:43]
	v_add_f64_e64 v[38:39], v[38:39], -v[42:43]
	s_delay_alu instid0(VALU_DEP_2) | instskip(NEXT) | instid1(VALU_DEP_2)
	v_rndne_f64_e32 v[44:45], v[44:45]
	v_add_f64_e32 v[38:39], v[40:41], v[38:39]
	s_delay_alu instid0(VALU_DEP_2) | instskip(SKIP_2) | instid1(VALU_DEP_3)
	v_fmac_f64_e32 v[42:43], 0xbfe62e42fefa3000, v[44:45]
	v_mul_f64_e32 v[40:41], 0xbd53de6af278e000, v[44:45]
	v_cvt_i32_f64_e32 v14, v[44:45]
	v_add_f64_e32 v[46:47], v[38:39], v[42:43]
	s_delay_alu instid0(VALU_DEP_1) | instskip(SKIP_1) | instid1(VALU_DEP_2)
	v_add_f64_e32 v[48:49], v[46:47], v[40:41]
	v_add_f64_e64 v[42:43], v[42:43], -v[46:47]
	v_add_f64_e64 v[46:47], v[46:47], -v[48:49]
	s_delay_alu instid0(VALU_DEP_2) | instskip(NEXT) | instid1(VALU_DEP_2)
	v_add_f64_e32 v[38:39], v[38:39], v[42:43]
	v_add_f64_e32 v[40:41], v[46:47], v[40:41]
	s_delay_alu instid0(VALU_DEP_1) | instskip(SKIP_1) | instid1(VALU_DEP_2)
	v_add_f64_e32 v[38:39], v[38:39], v[40:41]
	v_mul_f64_e32 v[40:41], 0xbac9cc01f97b57a0, v[44:45]
	v_add_f64_e32 v[42:43], v[48:49], v[38:39]
	s_delay_alu instid0(VALU_DEP_1) | instskip(SKIP_1) | instid1(VALU_DEP_2)
	v_add_f64_e32 v[46:47], v[42:43], v[40:41]
	v_add_f64_e64 v[48:49], v[48:49], -v[42:43]
	v_add_f64_e64 v[42:43], v[42:43], -v[46:47]
	s_delay_alu instid0(VALU_DEP_2) | instskip(NEXT) | instid1(VALU_DEP_2)
	v_add_f64_e32 v[38:39], v[38:39], v[48:49]
	v_add_f64_e32 v[40:41], v[42:43], v[40:41]
	s_delay_alu instid0(VALU_DEP_1) | instskip(NEXT) | instid1(VALU_DEP_1)
	v_add_f64_e32 v[38:39], v[38:39], v[40:41]
	v_add_f64_e32 v[40:41], v[46:47], v[38:39]
	s_delay_alu instid0(VALU_DEP_1) | instskip(SKIP_1) | instid1(VALU_DEP_2)
	v_add_f64_e64 v[42:43], v[46:47], -v[40:41]
	v_mul_f64_e32 v[46:47], v[40:41], v[40:41]
	v_add_f64_e32 v[38:39], v[38:39], v[42:43]
	s_delay_alu instid0(VALU_DEP_2) | instskip(NEXT) | instid1(VALU_DEP_2)
	v_fma_f64 v[42:43], v[40:41], v[40:41], -v[46:47]
	v_add_f64_e32 v[48:49], v[38:39], v[38:39]
	s_delay_alu instid0(VALU_DEP_1) | instskip(SKIP_1) | instid1(VALU_DEP_1)
	v_fmac_f64_e32 v[42:43], v[40:41], v[48:49]
	v_fmamk_f64 v[48:49], v[40:41], 0x3e5ade156a5dcb37, v[28:29]
	v_fmaak_f64 v[48:49], v[40:41], v[48:49], 0x3ec71dee623fde64
	s_delay_alu instid0(VALU_DEP_1) | instskip(NEXT) | instid1(VALU_DEP_1)
	v_fmaak_f64 v[48:49], v[40:41], v[48:49], 0x3efa01997c89e6b0
	v_fmaak_f64 v[48:49], v[40:41], v[48:49], 0x3f2a01a014761f6e
	s_delay_alu instid0(VALU_DEP_1) | instskip(SKIP_1) | instid1(VALU_DEP_2)
	v_fmaak_f64 v[48:49], v[40:41], v[48:49], 0x3f56c16c1852b7b0
	v_add_f64_e32 v[50:51], v[46:47], v[42:43]
	v_fmaak_f64 v[48:49], v[40:41], v[48:49], 0x3f81111111122322
	s_delay_alu instid0(VALU_DEP_1) | instskip(NEXT) | instid1(VALU_DEP_1)
	v_fmaak_f64 v[48:49], v[40:41], v[48:49], 0x3fa55555555502a1
	v_fmaak_f64 v[48:49], v[40:41], v[48:49], 0x3fc5555555555511
	s_delay_alu instid0(VALU_DEP_1) | instskip(SKIP_1) | instid1(VALU_DEP_2)
	v_fmaak_f64 v[48:49], v[40:41], v[48:49], 0x3fe000000000000b
	v_add_f64_e64 v[46:47], v[50:51], -v[46:47]
	v_mul_f64_e32 v[52:53], v[50:51], v[48:49]
	s_delay_alu instid0(VALU_DEP_2) | instskip(NEXT) | instid1(VALU_DEP_2)
	v_add_f64_e64 v[42:43], v[42:43], -v[46:47]
	v_fma_f64 v[46:47], v[50:51], v[48:49], -v[52:53]
	s_delay_alu instid0(VALU_DEP_1) | instskip(NEXT) | instid1(VALU_DEP_1)
	v_fmac_f64_e32 v[46:47], v[42:43], v[48:49]
	v_add_f64_e32 v[42:43], v[52:53], v[46:47]
	s_delay_alu instid0(VALU_DEP_1) | instskip(SKIP_1) | instid1(VALU_DEP_2)
	v_add_f64_e32 v[48:49], v[40:41], v[42:43]
	v_add_f64_e64 v[50:51], v[42:43], -v[52:53]
	v_add_f64_e64 v[40:41], v[48:49], -v[40:41]
	s_delay_alu instid0(VALU_DEP_2) | instskip(NEXT) | instid1(VALU_DEP_2)
	v_add_f64_e64 v[46:47], v[46:47], -v[50:51]
	v_add_f64_e64 v[40:41], v[42:43], -v[40:41]
	s_delay_alu instid0(VALU_DEP_2) | instskip(NEXT) | instid1(VALU_DEP_1)
	v_add_f64_e32 v[38:39], v[38:39], v[46:47]
	v_add_f64_e32 v[38:39], v[38:39], v[40:41]
	s_delay_alu instid0(VALU_DEP_1) | instskip(NEXT) | instid1(VALU_DEP_1)
	v_add_f64_e32 v[40:41], v[48:49], v[38:39]
	v_add_f64_e32 v[42:43], 1.0, v[40:41]
	v_add_f64_e64 v[46:47], v[40:41], -v[48:49]
	s_delay_alu instid0(VALU_DEP_2) | instskip(NEXT) | instid1(VALU_DEP_2)
	v_add_f64_e32 v[48:49], -1.0, v[42:43]
	v_add_f64_e64 v[38:39], v[38:39], -v[46:47]
	s_delay_alu instid0(VALU_DEP_2) | instskip(NEXT) | instid1(VALU_DEP_1)
	v_add_f64_e64 v[40:41], v[40:41], -v[48:49]
	v_add_f64_e32 v[38:39], v[38:39], v[40:41]
	s_delay_alu instid0(VALU_DEP_1) | instskip(NEXT) | instid1(VALU_DEP_1)
	v_add_f64_e32 v[40:41], v[42:43], v[38:39]
	v_ldexp_f64 v[44:45], v[40:41], v14
	v_add_f64_e64 v[40:41], v[40:41], -v[42:43]
	s_delay_alu instid0(VALU_DEP_2) | instskip(NEXT) | instid1(VALU_DEP_1)
	v_rcp_f64_e32 v[46:47], v[44:45]
	v_add_f64_e64 v[38:39], v[38:39], -v[40:41]
	s_delay_alu instid0(VALU_DEP_1) | instskip(NEXT) | instid1(TRANS32_DEP_1)
	v_ldexp_f64 v[38:39], v[38:39], v14
	v_fma_f64 v[48:49], -v[44:45], v[46:47], 1.0
	s_delay_alu instid0(VALU_DEP_1) | instskip(NEXT) | instid1(VALU_DEP_1)
	v_fmac_f64_e32 v[46:47], v[48:49], v[46:47]
	v_fma_f64 v[48:49], -v[44:45], v[46:47], 1.0
	s_delay_alu instid0(VALU_DEP_1) | instskip(NEXT) | instid1(VALU_DEP_1)
	v_fmac_f64_e32 v[46:47], v[48:49], v[46:47]
	v_mul_f64_e32 v[40:41], v[44:45], v[46:47]
	s_delay_alu instid0(VALU_DEP_1) | instskip(NEXT) | instid1(VALU_DEP_1)
	v_fma_f64 v[42:43], v[46:47], v[44:45], -v[40:41]
	v_fmac_f64_e32 v[42:43], v[46:47], v[38:39]
	s_delay_alu instid0(VALU_DEP_1) | instskip(NEXT) | instid1(VALU_DEP_1)
	v_add_f64_e32 v[48:49], v[40:41], v[42:43]
	v_add_f64_e64 v[50:51], -v[48:49], 1.0
	v_add_f64_e64 v[40:41], v[48:49], -v[40:41]
	s_delay_alu instid0(VALU_DEP_2) | instskip(NEXT) | instid1(VALU_DEP_2)
	v_add_f64_e64 v[52:53], -v[50:51], 1.0
	v_add_f64_e64 v[40:41], v[40:41], -v[42:43]
	s_delay_alu instid0(VALU_DEP_2) | instskip(NEXT) | instid1(VALU_DEP_1)
	v_add_f64_e64 v[42:43], v[52:53], -v[48:49]
	v_add_f64_e32 v[40:41], v[40:41], v[42:43]
	s_delay_alu instid0(VALU_DEP_1) | instskip(NEXT) | instid1(VALU_DEP_1)
	v_add_f64_e32 v[42:43], v[50:51], v[40:41]
	v_mul_f64_e32 v[48:49], v[46:47], v[42:43]
	v_add_f64_e64 v[50:51], v[50:51], -v[42:43]
	s_delay_alu instid0(VALU_DEP_2) | instskip(NEXT) | instid1(VALU_DEP_2)
	v_mul_f64_e32 v[52:53], v[44:45], v[48:49]
	v_add_f64_e32 v[40:41], v[40:41], v[50:51]
	s_delay_alu instid0(VALU_DEP_2) | instskip(NEXT) | instid1(VALU_DEP_1)
	v_fma_f64 v[54:55], v[48:49], v[44:45], -v[52:53]
	v_fmac_f64_e32 v[54:55], v[48:49], v[38:39]
	s_delay_alu instid0(VALU_DEP_1) | instskip(NEXT) | instid1(VALU_DEP_1)
	v_add_f64_e32 v[62:63], v[52:53], v[54:55]
	v_add_f64_e64 v[58:59], v[42:43], -v[62:63]
	v_add_f64_e64 v[50:51], v[62:63], -v[52:53]
	v_fmaak_f64 v[52:53], v[56:57], v[60:61], 0x3f21e634a7943acf
	s_delay_alu instid0(VALU_DEP_1) | instskip(NEXT) | instid1(VALU_DEP_1)
	v_fmaak_f64 v[52:53], v[56:57], v[52:53], 0x3f2d250fdeb68feb
	v_fmaak_f64 v[52:53], v[56:57], v[52:53], 0x3f437fd9b58c4d95
	s_delay_alu instid0(VALU_DEP_1) | instskip(NEXT) | instid1(VALU_DEP_1)
	v_fmaak_f64 v[52:53], v[56:57], v[52:53], 0x3f57d5af15120e2c
	v_fmaak_f64 v[52:53], v[56:57], v[52:53], 0x3f6d6d93e09491df
	v_add_f64_e64 v[42:43], v[42:43], -v[58:59]
	v_add_f64_e64 v[50:51], v[50:51], -v[54:55]
	s_delay_alu instid0(VALU_DEP_2) | instskip(NEXT) | instid1(VALU_DEP_1)
	v_add_f64_e64 v[42:43], v[42:43], -v[62:63]
	v_add_f64_e32 v[40:41], v[40:41], v[42:43]
	v_fmaak_f64 v[42:43], v[56:57], v[52:53], 0x3f8226e12033784d
	v_add_f64_e32 v[52:53], v[46:47], v[48:49]
	s_delay_alu instid0(VALU_DEP_2) | instskip(NEXT) | instid1(VALU_DEP_1)
	v_fmaak_f64 v[42:43], v[56:57], v[42:43], 0x3f9664f49ac36ae2
	v_fmaak_f64 v[42:43], v[56:57], v[42:43], 0x3faba1ba1b451c21
	s_delay_alu instid0(VALU_DEP_1) | instskip(NEXT) | instid1(VALU_DEP_1)
	v_fmaak_f64 v[42:43], v[56:57], v[42:43], 0x3fc11111111185b7
	v_fmaak_f64 v[42:43], v[56:57], v[42:43], 0x3fd55555555554ee
	v_add_f64_e32 v[40:41], v[50:51], v[40:41]
	v_add_f64_e64 v[50:51], v[52:53], -v[46:47]
	s_delay_alu instid0(VALU_DEP_3) | instskip(NEXT) | instid1(VALU_DEP_3)
	v_mul_f64_e32 v[42:43], v[56:57], v[42:43]
	v_add_f64_e32 v[40:41], v[58:59], v[40:41]
	s_delay_alu instid0(VALU_DEP_3) | instskip(NEXT) | instid1(VALU_DEP_3)
	v_add_f64_e64 v[48:49], v[48:49], -v[50:51]
	v_mul_f64_e32 v[54:55], v[6:7], v[42:43]
	s_delay_alu instid0(VALU_DEP_3) | instskip(NEXT) | instid1(VALU_DEP_2)
	v_mul_f64_e32 v[40:41], v[46:47], v[40:41]
	v_add_f64_e32 v[46:47], v[6:7], v[54:55]
	v_fma_f64 v[42:43], v[6:7], v[42:43], -v[54:55]
	s_delay_alu instid0(VALU_DEP_3) | instskip(NEXT) | instid1(VALU_DEP_3)
	v_add_f64_e32 v[40:41], v[48:49], v[40:41]
	v_add_f64_e64 v[6:7], v[46:47], -v[6:7]
	s_delay_alu instid0(VALU_DEP_3) | instskip(NEXT) | instid1(VALU_DEP_3)
	v_add_f64_e32 v[8:9], v[8:9], v[42:43]
	v_add_f64_e32 v[48:49], v[52:53], v[40:41]
	s_delay_alu instid0(VALU_DEP_3) | instskip(NEXT) | instid1(VALU_DEP_2)
	v_add_f64_e64 v[6:7], v[54:55], -v[6:7]
	v_ldexp_f64 v[42:43], v[48:49], -2
	v_add_f64_e64 v[48:49], v[48:49], -v[52:53]
	s_delay_alu instid0(VALU_DEP_3) | instskip(NEXT) | instid1(VALU_DEP_3)
	v_add_f64_e32 v[6:7], v[8:9], v[6:7]
	v_add_f64_e64 v[8:9], v[44:45], -v[42:43]
	s_delay_alu instid0(VALU_DEP_3) | instskip(NEXT) | instid1(VALU_DEP_3)
	v_add_f64_e64 v[40:41], v[40:41], -v[48:49]
	v_add_f64_e32 v[50:51], v[46:47], v[6:7]
	s_delay_alu instid0(VALU_DEP_3) | instskip(NEXT) | instid1(VALU_DEP_3)
	v_add_f64_e64 v[44:45], v[44:45], -v[8:9]
	v_ldexp_f64 v[40:41], v[40:41], -2
	s_delay_alu instid0(VALU_DEP_3) | instskip(NEXT) | instid1(VALU_DEP_2)
	v_rcp_f64_e32 v[52:53], v[50:51]
	v_add_f64_e64 v[42:43], v[44:45], -v[42:43]
	s_delay_alu instid0(TRANS32_DEP_1) | instskip(NEXT) | instid1(VALU_DEP_2)
	v_fma_f64 v[44:45], -v[50:51], v[52:53], 1.0
	v_add_f64_e32 v[38:39], v[38:39], v[42:43]
	s_delay_alu instid0(VALU_DEP_2) | instskip(NEXT) | instid1(VALU_DEP_2)
	v_fmac_f64_e32 v[52:53], v[44:45], v[52:53]
	v_add_f64_e64 v[38:39], v[38:39], -v[40:41]
	s_delay_alu instid0(VALU_DEP_2) | instskip(NEXT) | instid1(VALU_DEP_2)
	v_fma_f64 v[40:41], -v[50:51], v[52:53], 1.0
	v_add_f64_e32 v[8:9], v[8:9], v[38:39]
	s_delay_alu instid0(VALU_DEP_2) | instskip(NEXT) | instid1(VALU_DEP_2)
	v_fmac_f64_e32 v[52:53], v[40:41], v[52:53]
	v_cndmask_b32_e32 v14, 0x7ff00000, v9, vcc_lo
	s_delay_alu instid0(VALU_DEP_3) | instskip(SKIP_4) | instid1(VALU_DEP_4)
	v_cndmask_b32_e32 v25, 0, v8, vcc_lo
	v_cmp_gt_f64_e64 vcc_lo, 0x3e400000, |v[16:17]|
	v_xor_b32_e32 v17, 0x80000000, v17
	v_add_f64_e64 v[8:9], v[50:51], -v[46:47]
	v_mul_f64_e32 v[38:39], v[50:51], v[52:53]
	v_dual_cndmask_b32 v14, v14, v37, vcc_lo :: v_dual_cndmask_b32 v16, v25, v16, vcc_lo
	s_delay_alu instid0(VALU_DEP_3) | instskip(NEXT) | instid1(VALU_DEP_2)
	v_add_f64_e64 v[6:7], v[6:7], -v[8:9]
	v_bfi_b32 v17, 0x7fffffff, v14, v17
	s_delay_alu instid0(VALU_DEP_4) | instskip(NEXT) | instid1(VALU_DEP_2)
	v_fma_f64 v[8:9], v[52:53], v[50:51], -v[38:39]
	v_fma_f64 v[40:41], v[16:17], v[16:17], 1.0
	s_delay_alu instid0(VALU_DEP_2) | instskip(NEXT) | instid1(VALU_DEP_2)
	v_fmac_f64_e32 v[8:9], v[52:53], v[6:7]
	v_cmp_gt_f64_e32 vcc_lo, 0x10000000, v[40:41]
	v_cndmask_b32_e64 v14, 0, 0x100, vcc_lo
	s_delay_alu instid0(VALU_DEP_1) | instskip(NEXT) | instid1(VALU_DEP_4)
	v_ldexp_f64 v[6:7], v[40:41], v14
	v_add_f64_e32 v[40:41], v[38:39], v[8:9]
	v_and_b32_e32 v14, 1, v36
	s_delay_alu instid0(VALU_DEP_1) | instskip(NEXT) | instid1(VALU_DEP_4)
	v_cmp_eq_u32_e64 s0, 0, v14
	v_rsq_f64_e32 v[42:43], v[6:7]
	s_delay_alu instid0(VALU_DEP_3) | instskip(SKIP_1) | instid1(VALU_DEP_2)
	v_add_f64_e64 v[44:45], -v[40:41], 1.0
	v_add_f64_e64 v[38:39], v[40:41], -v[38:39]
	v_add_f64_e64 v[48:49], -v[44:45], 1.0
	s_delay_alu instid0(VALU_DEP_2) | instskip(NEXT) | instid1(TRANS32_DEP_1)
	v_add_f64_e64 v[8:9], v[38:39], -v[8:9]
	v_mul_f64_e32 v[46:47], v[6:7], v[42:43]
	v_mul_f64_e32 v[42:43], 0.5, v[42:43]
	s_delay_alu instid0(VALU_DEP_4) | instskip(NEXT) | instid1(VALU_DEP_2)
	v_add_f64_e64 v[38:39], v[48:49], -v[40:41]
	v_fma_f64 v[54:55], -v[42:43], v[46:47], 0.5
	s_delay_alu instid0(VALU_DEP_2) | instskip(NEXT) | instid1(VALU_DEP_2)
	v_add_f64_e32 v[8:9], v[8:9], v[38:39]
	v_fmac_f64_e32 v[46:47], v[46:47], v[54:55]
	v_fmac_f64_e32 v[42:43], v[42:43], v[54:55]
	s_delay_alu instid0(VALU_DEP_3) | instskip(NEXT) | instid1(VALU_DEP_3)
	v_add_f64_e32 v[8:9], v[44:45], v[8:9]
	v_fma_f64 v[38:39], -v[46:47], v[46:47], v[6:7]
	s_delay_alu instid0(VALU_DEP_2) | instskip(NEXT) | instid1(VALU_DEP_2)
	v_mul_f64_e32 v[8:9], v[52:53], v[8:9]
	v_fmac_f64_e32 v[46:47], v[38:39], v[42:43]
	s_delay_alu instid0(VALU_DEP_2) | instskip(NEXT) | instid1(VALU_DEP_2)
	v_add_f64_e32 v[8:9], v[52:53], v[8:9]
	v_fma_f64 v[38:39], -v[46:47], v[46:47], v[6:7]
	s_delay_alu instid0(VALU_DEP_2) | instskip(NEXT) | instid1(VALU_DEP_1)
	v_xor_b32_e32 v9, 0x80000000, v9
	v_dual_cndmask_b32 v14, v8, v50, s0 :: v_dual_cndmask_b32 v8, v9, v51, s0
	s_delay_alu instid0(VALU_DEP_3) | instskip(SKIP_2) | instid1(VALU_DEP_4)
	v_fmac_f64_e32 v[46:47], v[38:39], v[42:43]
	v_cndmask_b32_e64 v9, 0, 0xffffff80, vcc_lo
	v_cmp_class_f64_e64 vcc_lo, v[6:7], 0x260
	v_bitop3_b32 v15, v8, v15, 0x80000000 bitop3:0x78
	s_delay_alu instid0(VALU_DEP_1) | instskip(NEXT) | instid1(VALU_DEP_4)
	v_fma_f64 v[36:37], v[14:15], v[14:15], 1.0
	v_ldexp_f64 v[8:9], v[46:47], v9
	s_delay_alu instid0(VALU_DEP_1) | instskip(NEXT) | instid1(VALU_DEP_3)
	v_dual_cndmask_b32 v7, v9, v7 :: v_dual_cndmask_b32 v6, v8, v6
	v_mul_f64_e32 v[8:9], v[16:17], v[36:37]
	s_delay_alu instid0(VALU_DEP_2) | instskip(NEXT) | instid1(VALU_DEP_2)
	v_mul_f64_e32 v[6:7], v[6:7], v[36:37]
	v_fma_f64 v[36:37], v[16:17], v[8:9], 1.0
	s_delay_alu instid0(VALU_DEP_2) | instskip(NEXT) | instid1(VALU_DEP_2)
	v_mul_f64_e32 v[6:7], v[16:17], v[6:7]
	v_div_scale_f64 v[16:17], null, v[36:37], v[36:37], v[14:15]
	s_delay_alu instid0(VALU_DEP_2) | instskip(SKIP_1) | instid1(VALU_DEP_3)
	v_div_scale_f64 v[8:9], null, v[36:37], v[36:37], v[6:7]
	v_div_scale_f64 v[46:47], vcc_lo, v[6:7], v[36:37], v[6:7]
	v_rcp_f64_e32 v[40:41], v[16:17]
	s_delay_alu instid0(VALU_DEP_2) | instskip(NEXT) | instid1(TRANS32_DEP_2)
	v_rcp_f64_e32 v[38:39], v[8:9]
	v_fma_f64 v[44:45], -v[16:17], v[40:41], 1.0
	s_delay_alu instid0(TRANS32_DEP_1) | instskip(NEXT) | instid1(VALU_DEP_2)
	v_fma_f64 v[42:43], -v[8:9], v[38:39], 1.0
	v_fmac_f64_e32 v[40:41], v[40:41], v[44:45]
	s_delay_alu instid0(VALU_DEP_2) | instskip(NEXT) | instid1(VALU_DEP_2)
	v_fmac_f64_e32 v[38:39], v[38:39], v[42:43]
	v_fma_f64 v[44:45], -v[16:17], v[40:41], 1.0
	s_delay_alu instid0(VALU_DEP_2) | instskip(NEXT) | instid1(VALU_DEP_2)
	v_fma_f64 v[42:43], -v[8:9], v[38:39], 1.0
	v_fmac_f64_e32 v[40:41], v[40:41], v[44:45]
	s_delay_alu instid0(VALU_DEP_2) | instskip(SKIP_1) | instid1(VALU_DEP_2)
	v_fmac_f64_e32 v[38:39], v[38:39], v[42:43]
	v_div_scale_f64 v[42:43], s0, v[14:15], v[36:37], v[14:15]
	v_mul_f64_e32 v[44:45], v[46:47], v[38:39]
	s_delay_alu instid0(VALU_DEP_2) | instskip(NEXT) | instid1(VALU_DEP_2)
	v_mul_f64_e32 v[48:49], v[42:43], v[40:41]
	v_fma_f64 v[8:9], -v[8:9], v[44:45], v[46:47]
	s_delay_alu instid0(VALU_DEP_2) | instskip(NEXT) | instid1(VALU_DEP_2)
	v_fma_f64 v[16:17], -v[16:17], v[48:49], v[42:43]
	v_div_fmas_f64 v[8:9], v[8:9], v[38:39], v[44:45]
	s_mov_b32 vcc_lo, s0
	s_delay_alu instid0(VALU_DEP_2) | instskip(NEXT) | instid1(VALU_DEP_2)
	v_div_fmas_f64 v[16:17], v[16:17], v[40:41], v[48:49]
	v_div_fixup_f64 v[8:9], v[8:9], v[36:37], v[6:7]
	s_delay_alu instid0(VALU_DEP_2)
	v_div_fixup_f64 v[6:7], v[16:17], v[36:37], v[14:15]
                                        ; implicit-def: $vgpr14_vgpr15
.LBB99_188:                             ;   in Loop: Header=BB99_180 Depth=1
	s_and_not1_saveexec_b32 s0, s21
	s_cbranch_execz .LBB99_191
; %bb.189:                              ;   in Loop: Header=BB99_180 Depth=1
	v_cmp_ngt_f64_e64 s21, 0x41d00000, |v[14:15]|
                                        ; implicit-def: $vgpr40
                                        ; implicit-def: $vgpr6_vgpr7
                                        ; implicit-def: $vgpr8_vgpr9
	s_and_saveexec_b32 s22, s21
	s_delay_alu instid0(SALU_CYCLE_1)
	s_xor_b32 s22, exec_lo, s22
	s_cbranch_execz .LBB99_192
; %bb.190:                              ;   in Loop: Header=BB99_180 Depth=1
	v_ldexp_f64 v[6:7], |v[14:15]|, 0xffffff80
	v_cmp_le_f64_e64 vcc_lo, 0x7b000000, |v[14:15]|
	v_trig_preop_f64 v[8:9], |v[14:15]|, 0
	v_and_b32_e32 v25, 0x7fffffff, v15
	v_trig_preop_f64 v[36:37], |v[14:15]|, 1
	v_trig_preop_f64 v[46:47], |v[14:15]|, 2
	s_delay_alu instid0(VALU_DEP_3) | instskip(NEXT) | instid1(VALU_DEP_1)
	v_dual_cndmask_b32 v7, v25, v7 :: v_dual_cndmask_b32 v6, v14, v6
	v_mul_f64_e32 v[38:39], v[8:9], v[6:7]
	s_delay_alu instid0(VALU_DEP_4) | instskip(NEXT) | instid1(VALU_DEP_4)
	v_mul_f64_e32 v[40:41], v[36:37], v[6:7]
	v_mul_f64_e32 v[52:53], v[46:47], v[6:7]
	s_delay_alu instid0(VALU_DEP_3) | instskip(NEXT) | instid1(VALU_DEP_3)
	v_fma_f64 v[8:9], v[8:9], v[6:7], -v[38:39]
	v_fma_f64 v[36:37], v[36:37], v[6:7], -v[40:41]
	s_delay_alu instid0(VALU_DEP_3) | instskip(NEXT) | instid1(VALU_DEP_3)
	v_fma_f64 v[6:7], v[46:47], v[6:7], -v[52:53]
	v_add_f64_e32 v[42:43], v[40:41], v[8:9]
	s_delay_alu instid0(VALU_DEP_1) | instskip(SKIP_1) | instid1(VALU_DEP_2)
	v_add_f64_e64 v[44:45], v[42:43], -v[40:41]
	v_add_f64_e32 v[50:51], v[38:39], v[42:43]
	v_add_f64_e64 v[48:49], v[42:43], -v[44:45]
	v_add_f64_e64 v[8:9], v[8:9], -v[44:45]
	s_delay_alu instid0(VALU_DEP_3) | instskip(NEXT) | instid1(VALU_DEP_3)
	v_ldexp_f64 v[44:45], v[50:51], -2
	v_add_f64_e64 v[40:41], v[40:41], -v[48:49]
	v_add_f64_e32 v[48:49], v[52:53], v[36:37]
	s_delay_alu instid0(VALU_DEP_3) | instskip(NEXT) | instid1(VALU_DEP_3)
	v_cmp_neq_f64_e64 vcc_lo, 0x7ff00000, |v[44:45]|
	v_add_f64_e32 v[8:9], v[8:9], v[40:41]
	v_fract_f64_e32 v[40:41], v[44:45]
	s_delay_alu instid0(VALU_DEP_1) | instskip(NEXT) | instid1(VALU_DEP_1)
	v_ldexp_f64 v[40:41], v[40:41], 2
	v_dual_add_f64 v[38:39], v[50:51], -v[38:39] :: v_dual_cndmask_b32 v41, 0, v41, vcc_lo
	s_delay_alu instid0(VALU_DEP_1) | instskip(SKIP_1) | instid1(VALU_DEP_1)
	v_dual_add_f64 v[38:39], v[42:43], -v[38:39] :: v_dual_cndmask_b32 v40, 0, v40, vcc_lo
	v_add_f64_e32 v[42:43], v[48:49], v[8:9]
	v_add_f64_e32 v[44:45], v[38:39], v[42:43]
	v_add_f64_e64 v[54:55], v[42:43], -v[48:49]
	s_delay_alu instid0(VALU_DEP_2) | instskip(NEXT) | instid1(VALU_DEP_2)
	v_add_f64_e32 v[50:51], v[44:45], v[40:41]
	v_add_f64_e64 v[60:61], v[42:43], -v[54:55]
	v_add_f64_e64 v[8:9], v[8:9], -v[54:55]
	;; [unrolled: 1-line block ×3, first 2 shown]
	s_delay_alu instid0(VALU_DEP_4) | instskip(SKIP_1) | instid1(VALU_DEP_3)
	v_cmp_gt_f64_e32 vcc_lo, 0, v[50:51]
	v_add_f64_e64 v[50:51], v[48:49], -v[52:53]
	v_add_f64_e64 v[38:39], v[42:43], -v[38:39]
	v_cndmask_b32_e64 v25, 0, 0x40100000, vcc_lo
	s_delay_alu instid0(VALU_DEP_3) | instskip(SKIP_2) | instid1(VALU_DEP_4)
	v_add_f64_e64 v[58:59], v[48:49], -v[50:51]
	v_add_f64_e64 v[36:37], v[36:37], -v[50:51]
	;; [unrolled: 1-line block ×3, first 2 shown]
	v_add_f64_e32 v[40:41], v[40:41], v[24:25]
	s_delay_alu instid0(VALU_DEP_4) | instskip(NEXT) | instid1(VALU_DEP_3)
	v_add_f64_e64 v[50:51], v[52:53], -v[58:59]
	v_add_f64_e32 v[8:9], v[8:9], v[48:49]
	s_delay_alu instid0(VALU_DEP_3) | instskip(NEXT) | instid1(VALU_DEP_3)
	v_add_f64_e32 v[56:57], v[44:45], v[40:41]
	v_add_f64_e32 v[36:37], v[36:37], v[50:51]
	s_delay_alu instid0(VALU_DEP_2) | instskip(NEXT) | instid1(VALU_DEP_2)
	v_cvt_i32_f64_e32 v25, v[56:57]
	v_add_f64_e32 v[8:9], v[36:37], v[8:9]
	s_delay_alu instid0(VALU_DEP_2) | instskip(NEXT) | instid1(VALU_DEP_2)
	v_cvt_f64_i32_e32 v[54:55], v25
	v_add_f64_e32 v[6:7], v[6:7], v[8:9]
	s_delay_alu instid0(VALU_DEP_2) | instskip(NEXT) | instid1(VALU_DEP_2)
	v_add_f64_e64 v[40:41], v[40:41], -v[54:55]
	v_add_f64_e32 v[6:7], v[38:39], v[6:7]
	s_delay_alu instid0(VALU_DEP_2) | instskip(NEXT) | instid1(VALU_DEP_1)
	v_add_f64_e32 v[36:37], v[44:45], v[40:41]
	v_add_f64_e64 v[8:9], v[36:37], -v[40:41]
	v_cmp_le_f64_e32 vcc_lo, 0.5, v[36:37]
	s_delay_alu instid0(VALU_DEP_2) | instskip(SKIP_2) | instid1(VALU_DEP_3)
	v_add_f64_e64 v[8:9], v[44:45], -v[8:9]
	v_add_co_ci_u32_e64 v40, null, 0, v25, vcc_lo
	v_cndmask_b32_e64 v25, 0, 0x3ff00000, vcc_lo
	v_add_f64_e32 v[6:7], v[6:7], v[8:9]
	s_delay_alu instid0(VALU_DEP_2) | instskip(NEXT) | instid1(VALU_DEP_1)
	v_add_f64_e64 v[8:9], v[36:37], -v[24:25]
	v_add_f64_e32 v[36:37], v[8:9], v[6:7]
	s_delay_alu instid0(VALU_DEP_1) | instskip(SKIP_1) | instid1(VALU_DEP_2)
	v_mul_f64_e32 v[38:39], 0x3ff921fb54442d18, v[36:37]
	v_add_f64_e64 v[8:9], v[36:37], -v[8:9]
	v_fma_f64 v[42:43], v[36:37], s[2:3], -v[38:39]
	s_delay_alu instid0(VALU_DEP_2) | instskip(NEXT) | instid1(VALU_DEP_2)
	v_add_f64_e64 v[6:7], v[6:7], -v[8:9]
	v_fmac_f64_e32 v[42:43], 0x3c91a62633145c07, v[36:37]
	s_delay_alu instid0(VALU_DEP_1) | instskip(NEXT) | instid1(VALU_DEP_1)
	v_fmac_f64_e32 v[42:43], 0x3ff921fb54442d18, v[6:7]
	v_add_f64_e32 v[6:7], v[38:39], v[42:43]
	s_delay_alu instid0(VALU_DEP_1) | instskip(NEXT) | instid1(VALU_DEP_1)
	v_add_f64_e64 v[8:9], v[6:7], -v[38:39]
	v_add_f64_e64 v[8:9], v[42:43], -v[8:9]
	s_and_not1_saveexec_b32 s22, s22
	s_cbranch_execz .LBB99_194
	s_branch .LBB99_193
.LBB99_191:                             ;   in Loop: Header=BB99_180 Depth=1
	s_or_b32 exec_lo, exec_lo, s0
                                        ; implicit-def: $vgpr14_vgpr15
	s_and_not1_saveexec_b32 s0, s20
	s_cbranch_execnz .LBB99_200
	s_branch .LBB99_201
.LBB99_192:                             ;   in Loop: Header=BB99_180 Depth=1
	s_and_not1_saveexec_b32 s22, s22
	s_cbranch_execz .LBB99_194
.LBB99_193:                             ;   in Loop: Header=BB99_180 Depth=1
	v_mul_f64_e64 v[6:7], |v[14:15]|, s[4:5]
	s_delay_alu instid0(VALU_DEP_1) | instskip(NEXT) | instid1(VALU_DEP_1)
	v_rndne_f64_e32 v[36:37], v[6:7]
	v_fma_f64 v[6:7], v[36:37], s[6:7], |v[14:15]|
	v_mul_f64_e32 v[8:9], 0xbc91a62633145c00, v[36:37]
	s_delay_alu instid0(VALU_DEP_2) | instskip(NEXT) | instid1(VALU_DEP_2)
	v_fmamk_f64 v[42:43], v[36:37], 0xbc91a62633145c00, v[6:7]
	v_add_f64_e32 v[38:39], v[6:7], v[8:9]
	s_delay_alu instid0(VALU_DEP_1) | instskip(NEXT) | instid1(VALU_DEP_3)
	v_add_f64_e64 v[40:41], v[6:7], -v[38:39]
	v_add_f64_e64 v[6:7], v[38:39], -v[42:43]
	s_delay_alu instid0(VALU_DEP_2) | instskip(SKIP_2) | instid1(VALU_DEP_3)
	v_add_f64_e32 v[38:39], v[40:41], v[8:9]
	v_fmamk_f64 v[8:9], v[36:37], 0x3c91a62633145c00, v[8:9]
	v_cvt_i32_f64_e32 v40, v[36:37]
	v_add_f64_e32 v[6:7], v[6:7], v[38:39]
	s_delay_alu instid0(VALU_DEP_1) | instskip(NEXT) | instid1(VALU_DEP_1)
	v_add_f64_e64 v[8:9], v[6:7], -v[8:9]
	v_fmac_f64_e32 v[8:9], 0xb97b839a252049c0, v[36:37]
	s_delay_alu instid0(VALU_DEP_1) | instskip(NEXT) | instid1(VALU_DEP_1)
	v_add_f64_e32 v[6:7], v[42:43], v[8:9]
	v_add_f64_e64 v[38:39], v[6:7], -v[42:43]
	s_delay_alu instid0(VALU_DEP_1)
	v_add_f64_e64 v[8:9], v[8:9], -v[38:39]
.LBB99_194:                             ;   in Loop: Header=BB99_180 Depth=1
	s_or_b32 exec_lo, exec_lo, s22
                                        ; implicit-def: $vgpr41
                                        ; implicit-def: $vgpr36_vgpr37
                                        ; implicit-def: $vgpr38_vgpr39
	s_and_saveexec_b32 s22, s21
	s_delay_alu instid0(SALU_CYCLE_1)
	s_xor_b32 s21, exec_lo, s22
	s_cbranch_execz .LBB99_196
; %bb.195:                              ;   in Loop: Header=BB99_180 Depth=1
	v_ldexp_f64 v[36:37], |v[14:15]|, 0xffffff80
	v_cmp_le_f64_e64 vcc_lo, 0x7b000000, |v[14:15]|
	v_trig_preop_f64 v[38:39], |v[14:15]|, 0
	v_and_b32_e32 v25, 0x7fffffff, v15
	v_trig_preop_f64 v[42:43], |v[14:15]|, 1
	v_trig_preop_f64 v[52:53], |v[14:15]|, 2
	s_delay_alu instid0(VALU_DEP_3) | instskip(NEXT) | instid1(VALU_DEP_1)
	v_dual_cndmask_b32 v37, v25, v37 :: v_dual_cndmask_b32 v36, v14, v36
	v_mul_f64_e32 v[44:45], v[38:39], v[36:37]
	s_delay_alu instid0(VALU_DEP_4) | instskip(NEXT) | instid1(VALU_DEP_4)
	v_mul_f64_e32 v[46:47], v[42:43], v[36:37]
	v_mul_f64_e32 v[58:59], v[52:53], v[36:37]
	s_delay_alu instid0(VALU_DEP_3) | instskip(NEXT) | instid1(VALU_DEP_3)
	v_fma_f64 v[38:39], v[38:39], v[36:37], -v[44:45]
	v_fma_f64 v[42:43], v[42:43], v[36:37], -v[46:47]
	s_delay_alu instid0(VALU_DEP_3) | instskip(NEXT) | instid1(VALU_DEP_3)
	v_fma_f64 v[36:37], v[52:53], v[36:37], -v[58:59]
	v_add_f64_e32 v[48:49], v[46:47], v[38:39]
	s_delay_alu instid0(VALU_DEP_1) | instskip(SKIP_1) | instid1(VALU_DEP_2)
	v_add_f64_e64 v[50:51], v[48:49], -v[46:47]
	v_add_f64_e32 v[56:57], v[44:45], v[48:49]
	v_add_f64_e64 v[54:55], v[48:49], -v[50:51]
	v_add_f64_e64 v[38:39], v[38:39], -v[50:51]
	s_delay_alu instid0(VALU_DEP_3) | instskip(NEXT) | instid1(VALU_DEP_3)
	v_ldexp_f64 v[50:51], v[56:57], -2
	v_add_f64_e64 v[46:47], v[46:47], -v[54:55]
	v_add_f64_e32 v[54:55], v[58:59], v[42:43]
	s_delay_alu instid0(VALU_DEP_3) | instskip(NEXT) | instid1(VALU_DEP_3)
	v_cmp_neq_f64_e64 vcc_lo, 0x7ff00000, |v[50:51]|
	v_add_f64_e32 v[38:39], v[38:39], v[46:47]
	v_fract_f64_e32 v[46:47], v[50:51]
	s_delay_alu instid0(VALU_DEP_1) | instskip(NEXT) | instid1(VALU_DEP_1)
	v_ldexp_f64 v[46:47], v[46:47], 2
	v_dual_add_f64 v[44:45], v[56:57], -v[44:45] :: v_dual_cndmask_b32 v47, 0, v47, vcc_lo
	s_delay_alu instid0(VALU_DEP_1) | instskip(SKIP_1) | instid1(VALU_DEP_1)
	v_dual_add_f64 v[44:45], v[48:49], -v[44:45] :: v_dual_cndmask_b32 v46, 0, v46, vcc_lo
	v_add_f64_e32 v[48:49], v[54:55], v[38:39]
	v_add_f64_e32 v[50:51], v[44:45], v[48:49]
	v_add_f64_e64 v[60:61], v[48:49], -v[54:55]
	s_delay_alu instid0(VALU_DEP_2) | instskip(NEXT) | instid1(VALU_DEP_2)
	v_add_f64_e32 v[56:57], v[50:51], v[46:47]
	v_add_f64_e64 v[66:67], v[48:49], -v[60:61]
	v_add_f64_e64 v[38:39], v[38:39], -v[60:61]
	;; [unrolled: 1-line block ×3, first 2 shown]
	s_delay_alu instid0(VALU_DEP_4) | instskip(SKIP_1) | instid1(VALU_DEP_3)
	v_cmp_gt_f64_e32 vcc_lo, 0, v[56:57]
	v_add_f64_e64 v[56:57], v[54:55], -v[58:59]
	v_add_f64_e64 v[44:45], v[48:49], -v[44:45]
	v_cndmask_b32_e64 v25, 0, 0x40100000, vcc_lo
	s_delay_alu instid0(VALU_DEP_3) | instskip(SKIP_2) | instid1(VALU_DEP_4)
	v_add_f64_e64 v[64:65], v[54:55], -v[56:57]
	v_add_f64_e64 v[42:43], v[42:43], -v[56:57]
	;; [unrolled: 1-line block ×3, first 2 shown]
	v_add_f64_e32 v[46:47], v[46:47], v[24:25]
	s_delay_alu instid0(VALU_DEP_4) | instskip(NEXT) | instid1(VALU_DEP_3)
	v_add_f64_e64 v[56:57], v[58:59], -v[64:65]
	v_add_f64_e32 v[38:39], v[38:39], v[54:55]
	s_delay_alu instid0(VALU_DEP_3) | instskip(NEXT) | instid1(VALU_DEP_3)
	v_add_f64_e32 v[62:63], v[50:51], v[46:47]
	v_add_f64_e32 v[42:43], v[42:43], v[56:57]
	s_delay_alu instid0(VALU_DEP_2) | instskip(NEXT) | instid1(VALU_DEP_2)
	v_cvt_i32_f64_e32 v25, v[62:63]
	v_add_f64_e32 v[38:39], v[42:43], v[38:39]
	s_delay_alu instid0(VALU_DEP_2) | instskip(NEXT) | instid1(VALU_DEP_2)
	v_cvt_f64_i32_e32 v[60:61], v25
	v_add_f64_e32 v[36:37], v[36:37], v[38:39]
	s_delay_alu instid0(VALU_DEP_2) | instskip(NEXT) | instid1(VALU_DEP_2)
	v_add_f64_e64 v[46:47], v[46:47], -v[60:61]
	v_add_f64_e32 v[36:37], v[44:45], v[36:37]
	s_delay_alu instid0(VALU_DEP_2) | instskip(NEXT) | instid1(VALU_DEP_1)
	v_add_f64_e32 v[42:43], v[50:51], v[46:47]
	v_add_f64_e64 v[38:39], v[42:43], -v[46:47]
	v_cmp_le_f64_e32 vcc_lo, 0.5, v[42:43]
	s_delay_alu instid0(VALU_DEP_2) | instskip(SKIP_2) | instid1(VALU_DEP_3)
	v_add_f64_e64 v[38:39], v[50:51], -v[38:39]
	v_add_co_ci_u32_e64 v41, null, 0, v25, vcc_lo
	v_cndmask_b32_e64 v25, 0, 0x3ff00000, vcc_lo
	v_add_f64_e32 v[36:37], v[36:37], v[38:39]
	s_delay_alu instid0(VALU_DEP_2) | instskip(NEXT) | instid1(VALU_DEP_1)
	v_add_f64_e64 v[38:39], v[42:43], -v[24:25]
	v_add_f64_e32 v[42:43], v[38:39], v[36:37]
	s_delay_alu instid0(VALU_DEP_1) | instskip(SKIP_1) | instid1(VALU_DEP_2)
	v_mul_f64_e32 v[44:45], 0x3ff921fb54442d18, v[42:43]
	v_add_f64_e64 v[38:39], v[42:43], -v[38:39]
	v_fma_f64 v[46:47], v[42:43], s[2:3], -v[44:45]
	s_delay_alu instid0(VALU_DEP_2) | instskip(NEXT) | instid1(VALU_DEP_2)
	v_add_f64_e64 v[36:37], v[36:37], -v[38:39]
	v_fmac_f64_e32 v[46:47], 0x3c91a62633145c07, v[42:43]
	s_delay_alu instid0(VALU_DEP_1) | instskip(NEXT) | instid1(VALU_DEP_1)
	v_fmac_f64_e32 v[46:47], 0x3ff921fb54442d18, v[36:37]
	v_add_f64_e32 v[36:37], v[44:45], v[46:47]
	s_delay_alu instid0(VALU_DEP_1) | instskip(NEXT) | instid1(VALU_DEP_1)
	v_add_f64_e64 v[38:39], v[36:37], -v[44:45]
	v_add_f64_e64 v[38:39], v[46:47], -v[38:39]
	s_and_not1_saveexec_b32 s21, s21
	s_cbranch_execnz .LBB99_197
	s_branch .LBB99_198
.LBB99_196:                             ;   in Loop: Header=BB99_180 Depth=1
	s_and_not1_saveexec_b32 s21, s21
	s_cbranch_execz .LBB99_198
.LBB99_197:                             ;   in Loop: Header=BB99_180 Depth=1
	v_mul_f64_e64 v[36:37], |v[14:15]|, s[4:5]
	s_delay_alu instid0(VALU_DEP_1) | instskip(NEXT) | instid1(VALU_DEP_1)
	v_rndne_f64_e32 v[42:43], v[36:37]
	v_fma_f64 v[36:37], v[42:43], s[6:7], |v[14:15]|
	v_mul_f64_e32 v[38:39], 0xbc91a62633145c00, v[42:43]
	v_cvt_i32_f64_e32 v41, v[42:43]
	s_delay_alu instid0(VALU_DEP_3) | instskip(NEXT) | instid1(VALU_DEP_3)
	v_fmamk_f64 v[48:49], v[42:43], 0xbc91a62633145c00, v[36:37]
	v_add_f64_e32 v[44:45], v[36:37], v[38:39]
	s_delay_alu instid0(VALU_DEP_1) | instskip(NEXT) | instid1(VALU_DEP_3)
	v_add_f64_e64 v[46:47], v[36:37], -v[44:45]
	v_add_f64_e64 v[36:37], v[44:45], -v[48:49]
	s_delay_alu instid0(VALU_DEP_2) | instskip(SKIP_1) | instid1(VALU_DEP_2)
	v_add_f64_e32 v[44:45], v[46:47], v[38:39]
	v_fmamk_f64 v[38:39], v[42:43], 0x3c91a62633145c00, v[38:39]
	v_add_f64_e32 v[36:37], v[36:37], v[44:45]
	s_delay_alu instid0(VALU_DEP_1) | instskip(NEXT) | instid1(VALU_DEP_1)
	v_add_f64_e64 v[38:39], v[36:37], -v[38:39]
	v_fmac_f64_e32 v[38:39], 0xb97b839a252049c0, v[42:43]
	s_delay_alu instid0(VALU_DEP_1) | instskip(NEXT) | instid1(VALU_DEP_1)
	v_add_f64_e32 v[36:37], v[48:49], v[38:39]
	v_add_f64_e64 v[44:45], v[36:37], -v[48:49]
	s_delay_alu instid0(VALU_DEP_1)
	v_add_f64_e64 v[38:39], v[38:39], -v[44:45]
.LBB99_198:                             ;   in Loop: Header=BB99_180 Depth=1
	s_or_b32 exec_lo, exec_lo, s21
	v_dual_mul_f64 v[42:43], v[6:7], v[6:7] :: v_dual_bitop2_b32 v14, 1, v40 bitop3:0x40
	s_delay_alu instid0(VALU_DEP_2) | instskip(SKIP_1) | instid1(VALU_DEP_3)
	v_mul_f64_e32 v[66:67], 0.5, v[38:39]
	v_mul_f64_e64 v[48:49], |v[16:17]|, s[14:15]
	v_cmp_eq_u32_e32 vcc_lo, 0, v14
	v_mul_f64_e32 v[54:55], 0.5, v[8:9]
	v_lshlrev_b32_e32 v14, 30, v40
	s_delay_alu instid0(VALU_DEP_1) | instskip(SKIP_4) | instid1(VALU_DEP_2)
	v_dual_mul_f64 v[44:45], v[36:37], v[36:37] :: v_dual_bitop2_b32 v14, v14, v15 bitop3:0x14
	v_mul_f64_e32 v[46:47], 0.5, v[42:43]
	v_mul_f64_e64 v[56:57], v[6:7], -v[42:43]
	v_fmamk_f64 v[62:63], v[42:43], 0x3de5e0b2f9a43bb8, v[32:33]
	v_rndne_f64_e32 v[48:49], v[48:49]
	v_fmaak_f64 v[62:63], v[42:43], v[62:63], 0x3ec71de3796cde01
	v_mul_f64_e64 v[68:69], v[36:37], -v[44:45]
	v_fmamk_f64 v[70:71], v[44:45], 0x3de5e0b2f9a43bb8, v[32:33]
	s_delay_alu instid0(VALU_DEP_3) | instskip(NEXT) | instid1(VALU_DEP_1)
	v_fmaak_f64 v[62:63], v[42:43], v[62:63], 0xbf2a01a019e83e5c
	v_fmaak_f64 v[62:63], v[42:43], v[62:63], 0x3f81111111110bb3
	v_add_f64_e64 v[52:53], -v[46:47], 1.0
	s_delay_alu instid0(VALU_DEP_2) | instskip(SKIP_2) | instid1(VALU_DEP_4)
	v_fmac_f64_e32 v[54:55], v[56:57], v[62:63]
	v_fma_f64 v[64:65], v[48:49], s[8:9], -|v[16:17]|
	v_cvt_i32_f64_e32 v15, v[48:49]
	v_add_f64_e64 v[60:61], -v[52:53], 1.0
	s_delay_alu instid0(VALU_DEP_4) | instskip(NEXT) | instid1(VALU_DEP_4)
	v_fma_f64 v[54:55], v[42:43], v[54:55], -v[8:9]
	v_fmac_f64_e32 v[64:65], 0xbc7abc9e3b39803f, v[48:49]
	s_delay_alu instid0(VALU_DEP_3) | instskip(SKIP_3) | instid1(VALU_DEP_3)
	v_add_f64_e64 v[46:47], v[60:61], -v[46:47]
	v_fmaak_f64 v[60:61], v[44:45], v[70:71], 0x3ec71de3796cde01
	v_fmamk_f64 v[70:71], v[42:43], 0xbda907db46cc5e42, v[30:31]
	v_fmac_f64_e32 v[54:55], 0xbfc5555555555555, v[56:57]
	v_fmaak_f64 v[60:61], v[44:45], v[60:61], 0xbf2a01a019e83e5c
	s_delay_alu instid0(VALU_DEP_1) | instskip(NEXT) | instid1(VALU_DEP_1)
	v_fmaak_f64 v[60:61], v[44:45], v[60:61], 0x3f81111111110bb3
	v_fmac_f64_e32 v[66:67], v[68:69], v[60:61]
	v_mul_f64_e32 v[60:61], v[42:43], v[42:43]
	v_fma_f64 v[8:9], v[6:7], -v[8:9], v[46:47]
	v_fmaak_f64 v[46:47], v[42:43], v[70:71], 0xbe927e4fa17f65f6
	v_mul_f64_e32 v[70:71], v[44:45], v[44:45]
	v_add_f64_e64 v[6:7], v[6:7], -v[54:55]
	s_delay_alu instid0(VALU_DEP_3) | instskip(NEXT) | instid1(VALU_DEP_1)
	v_fmaak_f64 v[46:47], v[42:43], v[46:47], 0x3efa01a019f4ec90
	v_fmaak_f64 v[46:47], v[42:43], v[46:47], 0xbf56c16c16c16967
	s_delay_alu instid0(VALU_DEP_1) | instskip(NEXT) | instid1(VALU_DEP_1)
	v_fmaak_f64 v[42:43], v[42:43], v[46:47], 0x3fa5555555555555
	v_fmac_f64_e32 v[8:9], v[60:61], v[42:43]
	s_delay_alu instid0(VALU_DEP_1) | instskip(NEXT) | instid1(VALU_DEP_1)
	v_add_f64_e32 v[8:9], v[52:53], v[8:9]
	v_dual_mul_f64 v[50:51], 0.5, v[44:45] :: v_dual_cndmask_b32 v6, v8, v6, vcc_lo
	s_delay_alu instid0(VALU_DEP_1) | instskip(NEXT) | instid1(VALU_DEP_3)
	v_add_f64_e64 v[58:59], -v[50:51], 1.0
	v_cndmask_b32_e32 v7, v9, v7, vcc_lo
	s_delay_alu instid0(VALU_DEP_1) | instskip(NEXT) | instid1(VALU_DEP_1)
	v_bitop3_b32 v7, v7, v14, 0x80000000 bitop3:0x78
	v_dual_mul_f64 v[6:7], 4.0, v[6:7] :: v_dual_bitop2_b32 v14, 1, v41 bitop3:0x40
	s_delay_alu instid0(VALU_DEP_1) | instskip(SKIP_1) | instid1(VALU_DEP_1)
	v_cmp_eq_u32_e32 vcc_lo, 0, v14
	v_add_f64_e64 v[62:63], -v[58:59], 1.0
	v_add_f64_e64 v[50:51], v[62:63], -v[50:51]
	v_fmamk_f64 v[62:63], v[64:65], 0x3e5ade156a5dcb37, v[28:29]
	s_delay_alu instid0(VALU_DEP_1) | instskip(NEXT) | instid1(VALU_DEP_1)
	v_fmaak_f64 v[62:63], v[64:65], v[62:63], 0x3ec71dee623fde64
	v_fmaak_f64 v[62:63], v[64:65], v[62:63], 0x3efa01997c89e6b0
	s_delay_alu instid0(VALU_DEP_1) | instskip(SKIP_2) | instid1(VALU_DEP_3)
	v_fmaak_f64 v[46:47], v[64:65], v[62:63], 0x3f2a01a014761f6e
	v_fma_f64 v[62:63], v[44:45], v[66:67], -v[38:39]
	v_fmamk_f64 v[66:67], v[44:45], 0xbda907db46cc5e42, v[30:31]
	v_fmaak_f64 v[42:43], v[64:65], v[46:47], 0x3f56c16c1852b7b0
	s_delay_alu instid0(VALU_DEP_2) | instskip(SKIP_1) | instid1(VALU_DEP_3)
	v_fmaak_f64 v[46:47], v[44:45], v[66:67], 0xbe927e4fa17f65f6
	v_fma_f64 v[38:39], v[36:37], -v[38:39], v[50:51]
	v_fmaak_f64 v[42:43], v[64:65], v[42:43], 0x3f81111111122322
	s_delay_alu instid0(VALU_DEP_3) | instskip(NEXT) | instid1(VALU_DEP_2)
	v_fmaak_f64 v[46:47], v[44:45], v[46:47], 0x3efa01a019f4ec90
	v_fmaak_f64 v[42:43], v[64:65], v[42:43], 0x3fa55555555502a1
	s_delay_alu instid0(VALU_DEP_2) | instskip(NEXT) | instid1(VALU_DEP_2)
	v_fmaak_f64 v[46:47], v[44:45], v[46:47], 0xbf56c16c16c16967
	v_fmaak_f64 v[42:43], v[64:65], v[42:43], 0x3fc5555555555511
	s_delay_alu instid0(VALU_DEP_2) | instskip(SKIP_1) | instid1(VALU_DEP_3)
	v_fmaak_f64 v[44:45], v[44:45], v[46:47], 0x3fa5555555555555
	v_fmac_f64_e32 v[62:63], 0xbfc5555555555555, v[68:69]
	v_fmaak_f64 v[42:43], v[64:65], v[42:43], 0x3fe000000000000b
	s_delay_alu instid0(VALU_DEP_1) | instskip(NEXT) | instid1(VALU_DEP_4)
	v_fma_f64 v[42:43], v[64:65], v[42:43], 1.0
	v_fmac_f64_e32 v[38:39], v[70:71], v[44:45]
	s_delay_alu instid0(VALU_DEP_4) | instskip(NEXT) | instid1(VALU_DEP_3)
	v_add_f64_e64 v[36:37], v[36:37], -v[62:63]
	v_fma_f64 v[8:9], v[64:65], v[42:43], 1.0
	s_delay_alu instid0(VALU_DEP_3) | instskip(NEXT) | instid1(VALU_DEP_3)
	v_add_f64_e32 v[38:39], v[58:59], v[38:39]
	v_xor_b32_e32 v25, 0x80000000, v37
	s_delay_alu instid0(VALU_DEP_3) | instskip(NEXT) | instid1(VALU_DEP_2)
	v_ldexp_f64 v[8:9], v[8:9], v15
	v_dual_cndmask_b32 v14, v36, v38 :: v_dual_cndmask_b32 v25, v25, v39
	v_lshlrev_b32_e32 v36, 30, v41
	v_cmp_nlt_f64_e64 vcc_lo, 0x4090cc00, |v[16:17]|
	s_delay_alu instid0(VALU_DEP_2) | instskip(NEXT) | instid1(VALU_DEP_1)
	v_bitop3_b32 v15, v25, v36, 0x80000000 bitop3:0x78
	v_dual_mul_f64 v[6:7], v[6:7], v[14:15] :: v_dual_cndmask_b32 v9, 0, v9, vcc_lo
	v_cndmask_b32_e32 v8, 0, v8, vcc_lo
	s_delay_alu instid0(VALU_DEP_1) | instskip(NEXT) | instid1(VALU_DEP_1)
	v_mul_f64_e32 v[6:7], v[8:9], v[6:7]
	v_mul_f64_e32 v[6:7], v[8:9], v[6:7]
	v_xor_b32_e32 v8, 0x80000000, v17
	s_delay_alu instid0(VALU_DEP_1) | instskip(NEXT) | instid1(VALU_DEP_1)
	v_bfi_b32 v25, 0x7fffffff, s18, v8
	v_mov_b64_e32 v[8:9], v[24:25]
	s_or_b32 exec_lo, exec_lo, s0
                                        ; implicit-def: $vgpr14_vgpr15
.LBB99_199:                             ;   in Loop: Header=BB99_180 Depth=1
	s_and_not1_saveexec_b32 s0, s20
	s_cbranch_execz .LBB99_201
.LBB99_200:                             ;   in Loop: Header=BB99_180 Depth=1
	v_add_f64_e64 v[6:7], v[14:15], -v[14:15]
	s_delay_alu instid0(VALU_DEP_1)
	v_mov_b64_e32 v[8:9], v[6:7]
.LBB99_201:                             ;   in Loop: Header=BB99_180 Depth=1
	s_or_b32 exec_lo, exec_lo, s0
                                        ; implicit-def: $vgpr14_vgpr15
.LBB99_202:                             ;   in Loop: Header=BB99_180 Depth=1
	s_and_not1_saveexec_b32 s20, s1
	s_cbranch_execz .LBB99_218
; %bb.203:                              ;   in Loop: Header=BB99_180 Depth=1
	s_delay_alu instid0(VALU_DEP_1) | instskip(SKIP_1) | instid1(VALU_DEP_1)
	v_and_or_b32 v6, 0xfffff, v9, v8
	s_mov_b32 s0, exec_lo
	v_cmpx_ne_u32_e32 0, v6
	s_xor_b32 s0, exec_lo, s0
	s_cbranch_execz .LBB99_205
; %bb.204:                              ;   in Loop: Header=BB99_180 Depth=1
	v_mul_f64_e64 v[6:7], v[14:15], -v[16:17]
	v_cmp_eq_f64_e32 vcc_lo, 0, v[14:15]
	s_delay_alu instid0(VALU_DEP_2)
	v_dual_cndmask_b32 v7, v7, v15 :: v_dual_cndmask_b32 v6, v6, v14
                                        ; implicit-def: $vgpr14_vgpr15
.LBB99_205:                             ;   in Loop: Header=BB99_180 Depth=1
	s_and_not1_saveexec_b32 s21, s0
	s_cbranch_execz .LBB99_217
; %bb.206:                              ;   in Loop: Header=BB99_180 Depth=1
	s_mov_b32 s22, exec_lo
	v_cmpx_neq_f64_e64 0x7ff00000, |v[14:15]|
	s_cbranch_execz .LBB99_216
; %bb.207:                              ;   in Loop: Header=BB99_180 Depth=1
	v_cmp_ngt_f64_e64 s0, 0x41d00000, |v[14:15]|
	v_trig_preop_f64 v[40:41], |v[14:15]|, 0
	v_trig_preop_f64 v[38:39], |v[14:15]|, 1
	v_ldexp_f64 v[42:43], |v[14:15]|, 0xffffff80
	v_trig_preop_f64 v[36:37], |v[14:15]|, 2
	v_and_b32_e32 v51, 0x7fffffff, v15
                                        ; implicit-def: $vgpr50
                                        ; implicit-def: $vgpr6_vgpr7
                                        ; implicit-def: $vgpr16_vgpr17
	s_and_saveexec_b32 s1, s0
	s_delay_alu instid0(SALU_CYCLE_1)
	s_xor_b32 s1, exec_lo, s1
	s_cbranch_execz .LBB99_209
; %bb.208:                              ;   in Loop: Header=BB99_180 Depth=1
	v_cmp_le_f64_e64 vcc_lo, 0x7b000000, |v[14:15]|
	s_delay_alu instid0(VALU_DEP_4) | instskip(NEXT) | instid1(VALU_DEP_1)
	v_dual_cndmask_b32 v7, v51, v43 :: v_dual_cndmask_b32 v6, v14, v42
	v_mul_f64_e32 v[16:17], v[40:41], v[6:7]
	v_mul_f64_e32 v[44:45], v[38:39], v[6:7]
	;; [unrolled: 1-line block ×3, first 2 shown]
	s_delay_alu instid0(VALU_DEP_3) | instskip(NEXT) | instid1(VALU_DEP_3)
	v_fma_f64 v[46:47], v[40:41], v[6:7], -v[16:17]
	v_fma_f64 v[60:61], v[38:39], v[6:7], -v[44:45]
	s_delay_alu instid0(VALU_DEP_3) | instskip(NEXT) | instid1(VALU_DEP_3)
	v_fma_f64 v[6:7], v[36:37], v[6:7], -v[58:59]
	v_add_f64_e32 v[48:49], v[44:45], v[46:47]
	s_delay_alu instid0(VALU_DEP_1) | instskip(SKIP_1) | instid1(VALU_DEP_2)
	v_add_f64_e64 v[52:53], v[48:49], -v[44:45]
	v_add_f64_e32 v[56:57], v[16:17], v[48:49]
	v_add_f64_e64 v[54:55], v[48:49], -v[52:53]
	v_add_f64_e64 v[46:47], v[46:47], -v[52:53]
	s_delay_alu instid0(VALU_DEP_3) | instskip(SKIP_1) | instid1(VALU_DEP_4)
	v_ldexp_f64 v[52:53], v[56:57], -2
	v_add_f64_e64 v[16:17], v[56:57], -v[16:17]
	v_add_f64_e64 v[44:45], v[44:45], -v[54:55]
	v_add_f64_e32 v[54:55], v[58:59], v[60:61]
	s_delay_alu instid0(VALU_DEP_4) | instskip(NEXT) | instid1(VALU_DEP_4)
	v_cmp_neq_f64_e64 vcc_lo, 0x7ff00000, |v[52:53]|
	v_add_f64_e64 v[16:17], v[48:49], -v[16:17]
	s_delay_alu instid0(VALU_DEP_4) | instskip(SKIP_1) | instid1(VALU_DEP_2)
	v_add_f64_e32 v[44:45], v[46:47], v[44:45]
	v_fract_f64_e32 v[46:47], v[52:53]
	v_add_f64_e32 v[48:49], v[54:55], v[44:45]
	s_delay_alu instid0(VALU_DEP_2) | instskip(NEXT) | instid1(VALU_DEP_1)
	v_ldexp_f64 v[46:47], v[46:47], 2
	v_dual_add_f64 v[52:53], v[16:17], v[48:49] :: v_dual_cndmask_b32 v47, 0, v47, vcc_lo
	s_delay_alu instid0(VALU_DEP_2) | instskip(SKIP_1) | instid1(VALU_DEP_2)
	v_cndmask_b32_e32 v46, 0, v46, vcc_lo
	v_add_f64_e64 v[62:63], v[48:49], -v[54:55]
	v_add_f64_e32 v[56:57], v[52:53], v[46:47]
	v_add_f64_e64 v[16:17], v[52:53], -v[16:17]
	s_delay_alu instid0(VALU_DEP_3) | instskip(SKIP_1) | instid1(VALU_DEP_4)
	v_add_f64_e64 v[68:69], v[48:49], -v[62:63]
	v_add_f64_e64 v[44:45], v[44:45], -v[62:63]
	v_cmp_gt_f64_e32 vcc_lo, 0, v[56:57]
	v_add_f64_e64 v[56:57], v[54:55], -v[58:59]
	v_add_f64_e64 v[16:17], v[48:49], -v[16:17]
	v_cndmask_b32_e64 v25, 0, 0x40100000, vcc_lo
	s_delay_alu instid0(VALU_DEP_3) | instskip(SKIP_2) | instid1(VALU_DEP_4)
	v_add_f64_e64 v[66:67], v[54:55], -v[56:57]
	v_add_f64_e64 v[56:57], v[60:61], -v[56:57]
	;; [unrolled: 1-line block ×3, first 2 shown]
	v_add_f64_e32 v[46:47], v[46:47], v[24:25]
	s_delay_alu instid0(VALU_DEP_4) | instskip(NEXT) | instid1(VALU_DEP_3)
	v_add_f64_e64 v[60:61], v[58:59], -v[66:67]
	v_add_f64_e32 v[44:45], v[44:45], v[54:55]
	s_delay_alu instid0(VALU_DEP_3) | instskip(NEXT) | instid1(VALU_DEP_3)
	v_add_f64_e32 v[64:65], v[52:53], v[46:47]
	v_add_f64_e32 v[56:57], v[56:57], v[60:61]
	s_delay_alu instid0(VALU_DEP_2) | instskip(NEXT) | instid1(VALU_DEP_2)
	v_cvt_i32_f64_e32 v25, v[64:65]
	v_add_f64_e32 v[44:45], v[56:57], v[44:45]
	s_delay_alu instid0(VALU_DEP_2) | instskip(NEXT) | instid1(VALU_DEP_2)
	v_cvt_f64_i32_e32 v[62:63], v25
	v_add_f64_e32 v[6:7], v[6:7], v[44:45]
	s_delay_alu instid0(VALU_DEP_2) | instskip(NEXT) | instid1(VALU_DEP_2)
	v_add_f64_e64 v[46:47], v[46:47], -v[62:63]
	v_add_f64_e32 v[6:7], v[16:17], v[6:7]
	s_delay_alu instid0(VALU_DEP_2) | instskip(NEXT) | instid1(VALU_DEP_1)
	v_add_f64_e32 v[54:55], v[52:53], v[46:47]
	v_add_f64_e64 v[44:45], v[54:55], -v[46:47]
	v_cmp_le_f64_e32 vcc_lo, 0.5, v[54:55]
	s_delay_alu instid0(VALU_DEP_2) | instskip(SKIP_2) | instid1(VALU_DEP_3)
	v_add_f64_e64 v[16:17], v[52:53], -v[44:45]
	v_add_co_ci_u32_e64 v50, null, 0, v25, vcc_lo
	v_cndmask_b32_e64 v25, 0, 0x3ff00000, vcc_lo
	v_add_f64_e32 v[6:7], v[6:7], v[16:17]
	s_delay_alu instid0(VALU_DEP_2) | instskip(NEXT) | instid1(VALU_DEP_1)
	v_add_f64_e64 v[16:17], v[54:55], -v[24:25]
	v_add_f64_e32 v[44:45], v[16:17], v[6:7]
	s_delay_alu instid0(VALU_DEP_1) | instskip(SKIP_1) | instid1(VALU_DEP_2)
	v_mul_f64_e32 v[46:47], 0x3ff921fb54442d18, v[44:45]
	v_add_f64_e64 v[16:17], v[44:45], -v[16:17]
	v_fma_f64 v[48:49], v[44:45], s[2:3], -v[46:47]
	s_delay_alu instid0(VALU_DEP_2) | instskip(NEXT) | instid1(VALU_DEP_2)
	v_add_f64_e64 v[6:7], v[6:7], -v[16:17]
	v_fmac_f64_e32 v[48:49], 0x3c91a62633145c07, v[44:45]
	s_delay_alu instid0(VALU_DEP_1) | instskip(NEXT) | instid1(VALU_DEP_1)
	v_fmac_f64_e32 v[48:49], 0x3ff921fb54442d18, v[6:7]
	v_add_f64_e32 v[6:7], v[46:47], v[48:49]
	s_delay_alu instid0(VALU_DEP_1) | instskip(NEXT) | instid1(VALU_DEP_1)
	v_add_f64_e64 v[16:17], v[6:7], -v[46:47]
	v_add_f64_e64 v[16:17], v[48:49], -v[16:17]
.LBB99_209:                             ;   in Loop: Header=BB99_180 Depth=1
	s_or_saveexec_b32 s1, s1
	v_mul_f64_e64 v[44:45], |v[14:15]|, s[4:5]
	s_delay_alu instid0(VALU_DEP_1)
	v_rndne_f64_e32 v[48:49], v[44:45]
	s_xor_b32 exec_lo, exec_lo, s1
	s_cbranch_execz .LBB99_211
; %bb.210:                              ;   in Loop: Header=BB99_180 Depth=1
	s_delay_alu instid0(VALU_DEP_1) | instskip(SKIP_2) | instid1(VALU_DEP_3)
	v_fma_f64 v[6:7], v[48:49], s[6:7], |v[14:15]|
	v_mul_f64_e32 v[16:17], 0xbc91a62633145c00, v[48:49]
	v_cvt_i32_f64_e32 v50, v[48:49]
	v_fmamk_f64 v[52:53], v[48:49], 0xbc91a62633145c00, v[6:7]
	s_delay_alu instid0(VALU_DEP_3) | instskip(NEXT) | instid1(VALU_DEP_1)
	v_add_f64_e32 v[44:45], v[6:7], v[16:17]
	v_add_f64_e64 v[46:47], v[6:7], -v[44:45]
	s_delay_alu instid0(VALU_DEP_3) | instskip(NEXT) | instid1(VALU_DEP_2)
	v_add_f64_e64 v[6:7], v[44:45], -v[52:53]
	v_add_f64_e32 v[44:45], v[46:47], v[16:17]
	v_fmamk_f64 v[16:17], v[48:49], 0x3c91a62633145c00, v[16:17]
	s_delay_alu instid0(VALU_DEP_2) | instskip(NEXT) | instid1(VALU_DEP_1)
	v_add_f64_e32 v[6:7], v[6:7], v[44:45]
	v_add_f64_e64 v[16:17], v[6:7], -v[16:17]
	s_delay_alu instid0(VALU_DEP_1) | instskip(NEXT) | instid1(VALU_DEP_1)
	v_fmac_f64_e32 v[16:17], 0xb97b839a252049c0, v[48:49]
	v_add_f64_e32 v[6:7], v[52:53], v[16:17]
	s_delay_alu instid0(VALU_DEP_1) | instskip(NEXT) | instid1(VALU_DEP_1)
	v_add_f64_e64 v[44:45], v[6:7], -v[52:53]
	v_add_f64_e64 v[16:17], v[16:17], -v[44:45]
.LBB99_211:                             ;   in Loop: Header=BB99_180 Depth=1
	s_or_b32 exec_lo, exec_lo, s1
                                        ; implicit-def: $vgpr52
                                        ; implicit-def: $vgpr44_vgpr45
                                        ; implicit-def: $vgpr46_vgpr47
	s_and_saveexec_b32 s1, s0
	s_delay_alu instid0(SALU_CYCLE_1)
	s_xor_b32 s0, exec_lo, s1
	s_cbranch_execz .LBB99_213
; %bb.212:                              ;   in Loop: Header=BB99_180 Depth=1
	v_cmp_le_f64_e64 vcc_lo, 0x7b000000, |v[14:15]|
	v_dual_cndmask_b32 v43, v51, v43 :: v_dual_cndmask_b32 v42, v14, v42
	s_delay_alu instid0(VALU_DEP_1) | instskip(SKIP_2) | instid1(VALU_DEP_3)
	v_mul_f64_e32 v[44:45], v[40:41], v[42:43]
	v_mul_f64_e32 v[46:47], v[38:39], v[42:43]
	;; [unrolled: 1-line block ×3, first 2 shown]
	v_fma_f64 v[40:41], v[40:41], v[42:43], -v[44:45]
	s_delay_alu instid0(VALU_DEP_3) | instskip(NEXT) | instid1(VALU_DEP_3)
	v_fma_f64 v[38:39], v[38:39], v[42:43], -v[46:47]
	v_fma_f64 v[36:37], v[36:37], v[42:43], -v[58:59]
	s_delay_alu instid0(VALU_DEP_3) | instskip(NEXT) | instid1(VALU_DEP_1)
	v_add_f64_e32 v[48:49], v[46:47], v[40:41]
	v_add_f64_e64 v[52:53], v[48:49], -v[46:47]
	v_add_f64_e32 v[56:57], v[44:45], v[48:49]
	s_delay_alu instid0(VALU_DEP_2) | instskip(SKIP_1) | instid1(VALU_DEP_3)
	v_add_f64_e64 v[54:55], v[48:49], -v[52:53]
	v_add_f64_e64 v[40:41], v[40:41], -v[52:53]
	v_ldexp_f64 v[52:53], v[56:57], -2
	v_add_f64_e64 v[44:45], v[56:57], -v[44:45]
	s_delay_alu instid0(VALU_DEP_4) | instskip(SKIP_1) | instid1(VALU_DEP_4)
	v_add_f64_e64 v[46:47], v[46:47], -v[54:55]
	v_add_f64_e32 v[54:55], v[58:59], v[38:39]
	v_cmp_neq_f64_e64 vcc_lo, 0x7ff00000, |v[52:53]|
	s_delay_alu instid0(VALU_DEP_3) | instskip(SKIP_1) | instid1(VALU_DEP_1)
	v_add_f64_e32 v[40:41], v[40:41], v[46:47]
	v_fract_f64_e32 v[46:47], v[52:53]
	v_ldexp_f64 v[46:47], v[46:47], 2
	s_delay_alu instid0(VALU_DEP_1) | instskip(NEXT) | instid1(VALU_DEP_2)
	v_dual_add_f64 v[44:45], v[48:49], -v[44:45] :: v_dual_cndmask_b32 v47, 0, v47, vcc_lo
	v_dual_add_f64 v[48:49], v[54:55], v[40:41] :: v_dual_cndmask_b32 v46, 0, v46, vcc_lo
	s_delay_alu instid0(VALU_DEP_1) | instskip(SKIP_1) | instid1(VALU_DEP_2)
	v_add_f64_e32 v[52:53], v[44:45], v[48:49]
	v_add_f64_e64 v[60:61], v[48:49], -v[54:55]
	v_add_f64_e32 v[56:57], v[52:53], v[46:47]
	s_delay_alu instid0(VALU_DEP_2) | instskip(SKIP_2) | instid1(VALU_DEP_4)
	v_add_f64_e64 v[66:67], v[48:49], -v[60:61]
	v_add_f64_e64 v[40:41], v[40:41], -v[60:61]
	;; [unrolled: 1-line block ×3, first 2 shown]
	v_cmp_gt_f64_e32 vcc_lo, 0, v[56:57]
	v_add_f64_e64 v[56:57], v[54:55], -v[58:59]
	s_delay_alu instid0(VALU_DEP_3) | instskip(SKIP_1) | instid1(VALU_DEP_3)
	v_add_f64_e64 v[42:43], v[48:49], -v[42:43]
                                        ; implicit-def: $vgpr48_vgpr49
	v_cndmask_b32_e64 v25, 0, 0x40100000, vcc_lo
	v_add_f64_e64 v[64:65], v[54:55], -v[56:57]
	v_add_f64_e64 v[38:39], v[38:39], -v[56:57]
	;; [unrolled: 1-line block ×3, first 2 shown]
	s_delay_alu instid0(VALU_DEP_4) | instskip(NEXT) | instid1(VALU_DEP_4)
	v_add_f64_e32 v[46:47], v[46:47], v[24:25]
	v_add_f64_e64 v[56:57], v[58:59], -v[64:65]
	s_delay_alu instid0(VALU_DEP_3) | instskip(NEXT) | instid1(VALU_DEP_3)
	v_add_f64_e32 v[40:41], v[40:41], v[54:55]
	v_add_f64_e32 v[62:63], v[52:53], v[46:47]
	s_delay_alu instid0(VALU_DEP_3) | instskip(NEXT) | instid1(VALU_DEP_2)
	v_add_f64_e32 v[38:39], v[38:39], v[56:57]
	v_cvt_i32_f64_e32 v25, v[62:63]
	s_delay_alu instid0(VALU_DEP_2) | instskip(NEXT) | instid1(VALU_DEP_2)
	v_add_f64_e32 v[38:39], v[38:39], v[40:41]
	v_cvt_f64_i32_e32 v[60:61], v25
	s_delay_alu instid0(VALU_DEP_2) | instskip(NEXT) | instid1(VALU_DEP_2)
	v_add_f64_e32 v[36:37], v[36:37], v[38:39]
	v_add_f64_e64 v[46:47], v[46:47], -v[60:61]
	s_delay_alu instid0(VALU_DEP_2) | instskip(NEXT) | instid1(VALU_DEP_2)
	v_add_f64_e32 v[36:37], v[42:43], v[36:37]
	v_add_f64_e32 v[40:41], v[52:53], v[46:47]
	s_delay_alu instid0(VALU_DEP_1) | instskip(SKIP_1) | instid1(VALU_DEP_2)
	v_add_f64_e64 v[38:39], v[40:41], -v[46:47]
	v_cmp_le_f64_e32 vcc_lo, 0.5, v[40:41]
	v_add_f64_e64 v[38:39], v[52:53], -v[38:39]
	v_add_co_ci_u32_e64 v52, null, 0, v25, vcc_lo
	v_cndmask_b32_e64 v25, 0, 0x3ff00000, vcc_lo
	s_delay_alu instid0(VALU_DEP_3) | instskip(NEXT) | instid1(VALU_DEP_2)
	v_add_f64_e32 v[36:37], v[36:37], v[38:39]
	v_add_f64_e64 v[38:39], v[40:41], -v[24:25]
	s_delay_alu instid0(VALU_DEP_1) | instskip(NEXT) | instid1(VALU_DEP_1)
	v_add_f64_e32 v[40:41], v[38:39], v[36:37]
	v_mul_f64_e32 v[42:43], 0x3ff921fb54442d18, v[40:41]
	v_add_f64_e64 v[38:39], v[40:41], -v[38:39]
	s_delay_alu instid0(VALU_DEP_2) | instskip(NEXT) | instid1(VALU_DEP_2)
	v_fma_f64 v[46:47], v[40:41], s[2:3], -v[42:43]
	v_add_f64_e64 v[36:37], v[36:37], -v[38:39]
	s_delay_alu instid0(VALU_DEP_2) | instskip(NEXT) | instid1(VALU_DEP_1)
	v_fmac_f64_e32 v[46:47], 0x3c91a62633145c07, v[40:41]
	v_fmac_f64_e32 v[46:47], 0x3ff921fb54442d18, v[36:37]
	s_delay_alu instid0(VALU_DEP_1) | instskip(NEXT) | instid1(VALU_DEP_1)
	v_add_f64_e32 v[44:45], v[42:43], v[46:47]
	v_add_f64_e64 v[36:37], v[44:45], -v[42:43]
	s_delay_alu instid0(VALU_DEP_1)
	v_add_f64_e64 v[46:47], v[46:47], -v[36:37]
	s_and_not1_saveexec_b32 s0, s0
	s_cbranch_execnz .LBB99_214
	s_branch .LBB99_215
.LBB99_213:                             ;   in Loop: Header=BB99_180 Depth=1
	s_and_not1_saveexec_b32 s0, s0
	s_cbranch_execz .LBB99_215
.LBB99_214:                             ;   in Loop: Header=BB99_180 Depth=1
	s_delay_alu instid0(VALU_DEP_1) | instskip(SKIP_2) | instid1(VALU_DEP_2)
	v_fma_f64 v[36:37], v[48:49], s[6:7], |v[14:15]|
	v_mul_f64_e32 v[38:39], 0xbc91a62633145c00, v[48:49]
	v_cvt_i32_f64_e32 v52, v[48:49]
	v_add_f64_e32 v[40:41], v[36:37], v[38:39]
	s_delay_alu instid0(VALU_DEP_1) | instskip(SKIP_1) | instid1(VALU_DEP_1)
	v_add_f64_e64 v[42:43], v[36:37], -v[40:41]
	v_fmamk_f64 v[36:37], v[48:49], 0xbc91a62633145c00, v[36:37]
	v_add_f64_e64 v[40:41], v[40:41], -v[36:37]
	s_delay_alu instid0(VALU_DEP_3) | instskip(SKIP_1) | instid1(VALU_DEP_2)
	v_add_f64_e32 v[42:43], v[42:43], v[38:39]
	v_fmamk_f64 v[38:39], v[48:49], 0x3c91a62633145c00, v[38:39]
	v_add_f64_e32 v[40:41], v[40:41], v[42:43]
	s_delay_alu instid0(VALU_DEP_1) | instskip(NEXT) | instid1(VALU_DEP_1)
	v_add_f64_e64 v[38:39], v[40:41], -v[38:39]
	v_fmac_f64_e32 v[38:39], 0xb97b839a252049c0, v[48:49]
	s_delay_alu instid0(VALU_DEP_1) | instskip(NEXT) | instid1(VALU_DEP_1)
	v_add_f64_e32 v[44:45], v[36:37], v[38:39]
	v_add_f64_e64 v[36:37], v[44:45], -v[36:37]
	s_delay_alu instid0(VALU_DEP_1)
	v_add_f64_e64 v[46:47], v[38:39], -v[36:37]
.LBB99_215:                             ;   in Loop: Header=BB99_180 Depth=1
	s_or_b32 exec_lo, exec_lo, s0
	v_mul_f64_e32 v[36:37], v[6:7], v[6:7]
	v_dual_mul_f64 v[38:39], v[44:45], v[44:45] :: v_dual_bitop2_b32 v25, 1, v50 bitop3:0x40
	v_cmp_class_f64_e64 s0, v[14:15], 0x1f8
	v_and_b32_e32 v14, 1, v52
	v_mul_f64_e32 v[56:57], 0.5, v[16:17]
	v_mul_f64_e32 v[64:65], 0.5, v[46:47]
	v_cmp_eq_u32_e32 vcc_lo, 0, v25
	s_delay_alu instid0(VALU_DEP_4)
	v_cmp_eq_u32_e64 s1, 0, v14
	v_lshlrev_b32_e32 v14, 30, v52
	v_mul_f64_e32 v[40:41], 0.5, v[36:37]
	v_mul_f64_e64 v[58:59], v[6:7], -v[36:37]
	v_fmamk_f64 v[62:63], v[36:37], 0x3de5e0b2f9a43bb8, v[32:33]
	v_mul_f64_e32 v[42:43], 0.5, v[38:39]
	v_mul_f64_e64 v[66:67], v[44:45], -v[38:39]
	v_fmamk_f64 v[68:69], v[38:39], 0x3de5e0b2f9a43bb8, v[32:33]
	s_delay_alu instid0(VALU_DEP_4) | instskip(NEXT) | instid1(VALU_DEP_2)
	v_fmaak_f64 v[62:63], v[36:37], v[62:63], 0x3ec71de3796cde01
	v_fmaak_f64 v[68:69], v[38:39], v[68:69], 0x3ec71de3796cde01
	s_delay_alu instid0(VALU_DEP_2) | instskip(NEXT) | instid1(VALU_DEP_1)
	v_fmaak_f64 v[62:63], v[36:37], v[62:63], 0xbf2a01a019e83e5c
	v_fmaak_f64 v[62:63], v[36:37], v[62:63], 0x3f81111111110bb3
	v_add_f64_e64 v[48:49], -v[40:41], 1.0
	s_delay_alu instid0(VALU_DEP_2) | instskip(SKIP_2) | instid1(VALU_DEP_4)
	v_fmac_f64_e32 v[56:57], v[58:59], v[62:63]
	v_mul_f64_e32 v[62:63], v[36:37], v[36:37]
	v_add_f64_e64 v[54:55], -v[42:43], 1.0
	v_add_f64_e64 v[60:61], -v[48:49], 1.0
	s_delay_alu instid0(VALU_DEP_4) | instskip(NEXT) | instid1(VALU_DEP_3)
	v_fma_f64 v[56:57], v[36:37], v[56:57], -v[16:17]
	v_add_f64_e64 v[70:71], -v[54:55], 1.0
	s_delay_alu instid0(VALU_DEP_3) | instskip(SKIP_1) | instid1(VALU_DEP_4)
	v_add_f64_e64 v[40:41], v[60:61], -v[40:41]
	v_fmaak_f64 v[60:61], v[38:39], v[68:69], 0xbf2a01a019e83e5c
	v_fmac_f64_e32 v[56:57], 0xbfc5555555555555, v[58:59]
	s_delay_alu instid0(VALU_DEP_4) | instskip(SKIP_1) | instid1(VALU_DEP_4)
	v_add_f64_e64 v[42:43], v[70:71], -v[42:43]
	v_mul_f64_e32 v[68:69], v[38:39], v[38:39]
	v_fmaak_f64 v[60:61], v[38:39], v[60:61], 0x3f81111111110bb3
	s_delay_alu instid0(VALU_DEP_1) | instskip(SKIP_2) | instid1(VALU_DEP_2)
	v_fmac_f64_e32 v[64:65], v[66:67], v[60:61]
	v_fmamk_f64 v[60:61], v[36:37], 0xbda907db46cc5e42, v[30:31]
	v_fma_f64 v[16:17], v[6:7], -v[16:17], v[40:41]
	v_fmaak_f64 v[40:41], v[36:37], v[60:61], 0xbe927e4fa17f65f6
	v_add_f64_e64 v[6:7], v[6:7], -v[56:57]
	v_fma_f64 v[42:43], v[44:45], -v[46:47], v[42:43]
	s_delay_alu instid0(VALU_DEP_3) | instskip(NEXT) | instid1(VALU_DEP_1)
	v_fmaak_f64 v[40:41], v[36:37], v[40:41], 0x3efa01a019f4ec90
	v_fmaak_f64 v[40:41], v[36:37], v[40:41], 0xbf56c16c16c16967
	s_delay_alu instid0(VALU_DEP_1) | instskip(NEXT) | instid1(VALU_DEP_1)
	v_fmaak_f64 v[36:37], v[36:37], v[40:41], 0x3fa5555555555555
	v_fmac_f64_e32 v[16:17], v[62:63], v[36:37]
	s_delay_alu instid0(VALU_DEP_1) | instskip(SKIP_2) | instid1(VALU_DEP_1)
	v_add_f64_e32 v[16:17], v[48:49], v[16:17]
	v_fma_f64 v[60:61], v[38:39], v[64:65], -v[46:47]
	v_fmamk_f64 v[64:65], v[38:39], 0xbda907db46cc5e42, v[30:31]
	v_fmaak_f64 v[40:41], v[38:39], v[64:65], 0xbe927e4fa17f65f6
	s_delay_alu instid0(VALU_DEP_1) | instskip(NEXT) | instid1(VALU_DEP_1)
	v_fmaak_f64 v[36:37], v[38:39], v[40:41], 0x3efa01a019f4ec90
	v_fmaak_f64 v[36:37], v[38:39], v[36:37], 0xbf56c16c16c16967
	s_delay_alu instid0(VALU_DEP_1)
	v_fmaak_f64 v[36:37], v[38:39], v[36:37], 0x3fa5555555555555
	v_cndmask_b32_e32 v7, v17, v7, vcc_lo
	v_fmac_f64_e32 v[60:61], 0xbfc5555555555555, v[66:67]
	v_cndmask_b32_e32 v6, v16, v6, vcc_lo
	v_lshlrev_b32_e32 v16, 30, v50
	v_fmac_f64_e32 v[42:43], v[68:69], v[36:37]
	s_delay_alu instid0(VALU_DEP_2) | instskip(NEXT) | instid1(VALU_DEP_1)
	v_dual_cndmask_b32 v6, 0, v6, s0 :: v_dual_bitop2_b32 v15, v16, v15 bitop3:0x14
	v_bitop3_b32 v7, v7, v15, 0x80000000 bitop3:0x78
	s_delay_alu instid0(VALU_DEP_1) | instskip(SKIP_2) | instid1(VALU_DEP_2)
	v_cndmask_b32_e64 v7, 0x7ff80000, v7, s0
	v_add_f64_e64 v[36:37], v[44:45], -v[60:61]
	v_add_f64_e32 v[38:39], v[54:55], v[42:43]
	v_xor_b32_e32 v25, 0x80000000, v37
	s_delay_alu instid0(VALU_DEP_1) | instskip(NEXT) | instid1(VALU_DEP_1)
	v_dual_cndmask_b32 v16, v36, v38, s1 :: v_dual_cndmask_b32 v17, v25, v39, s1
	v_bitop3_b32 v15, v17, v14, 0x80000000 bitop3:0x78
	s_delay_alu instid0(VALU_DEP_2) | instskip(NEXT) | instid1(VALU_DEP_2)
	v_cndmask_b32_e64 v14, 0, v16, s0
	v_cndmask_b32_e64 v15, 0x7ff80000, v15, s0
	s_delay_alu instid0(VALU_DEP_1)
	v_mul_f64_e32 v[14:15], v[6:7], v[14:15]
.LBB99_216:                             ;   in Loop: Header=BB99_180 Depth=1
	s_or_b32 exec_lo, exec_lo, s22
	s_delay_alu instid0(VALU_DEP_1) | instskip(SKIP_1) | instid1(VALU_DEP_2)
	v_bfi_b32 v25, 0x7fffffff, 0, v15
	v_add_nc_u32_e32 v9, -2.0, v9
	v_mov_b64_e32 v[6:7], v[24:25]
.LBB99_217:                             ;   in Loop: Header=BB99_180 Depth=1
	s_or_b32 exec_lo, exec_lo, s21
.LBB99_218:                             ;   in Loop: Header=BB99_180 Depth=1
	s_delay_alu instid0(SALU_CYCLE_1) | instskip(SKIP_4) | instid1(VALU_DEP_2)
	s_or_b32 exec_lo, exec_lo, s20
	s_wait_loadcnt 0x2
	v_xor_b32_e32 v17, 0x80000000, v21
	v_mov_b32_e32 v16, v20
	s_mov_b32 s0, exec_lo
	v_and_b32_e32 v25, 0x7fffffff, v17
	s_delay_alu instid0(VALU_DEP_1)
	v_cmpx_gt_u32_e32 0x7ff00000, v25
	s_xor_b32 s1, exec_lo, s0
	s_cbranch_execz .LBB99_240
; %bb.219:                              ;   in Loop: Header=BB99_180 Depth=1
	v_cmp_class_f64_e64 s0, v[18:19], 0x1f8
                                        ; implicit-def: $vgpr14_vgpr15
	s_and_saveexec_b32 s20, s0
	s_delay_alu instid0(SALU_CYCLE_1)
	s_xor_b32 s20, exec_lo, s20
	s_cbranch_execz .LBB99_237
; %bb.220:                              ;   in Loop: Header=BB99_180 Depth=1
                                        ; implicit-def: $vgpr14_vgpr15
	s_mov_b32 s0, exec_lo
	v_cmpx_gt_u32_e32 0x40360000, v25
	s_xor_b32 s21, exec_lo, s0
	s_cbranch_execz .LBB99_226
; %bb.221:                              ;   in Loop: Header=BB99_180 Depth=1
	v_cmp_ngt_f64_e64 s0, 0x41d00000, |v[18:19]|
                                        ; implicit-def: $vgpr36
                                        ; implicit-def: $vgpr14_vgpr15
                                        ; implicit-def: $vgpr16_vgpr17
	s_and_saveexec_b32 s22, s0
	s_delay_alu instid0(SALU_CYCLE_1)
	s_xor_b32 s0, exec_lo, s22
	s_cbranch_execz .LBB99_223
; %bb.222:                              ;   in Loop: Header=BB99_180 Depth=1
	v_ldexp_f64 v[14:15], |v[18:19]|, 0xffffff80
	v_cmp_le_f64_e64 vcc_lo, 0x7b000000, |v[18:19]|
	v_trig_preop_f64 v[16:17], |v[18:19]|, 0
	v_and_b32_e32 v25, 0x7fffffff, v19
	v_trig_preop_f64 v[36:37], |v[18:19]|, 1
	v_trig_preop_f64 v[46:47], |v[18:19]|, 2
	s_delay_alu instid0(VALU_DEP_3) | instskip(NEXT) | instid1(VALU_DEP_1)
	v_dual_cndmask_b32 v15, v25, v15 :: v_dual_cndmask_b32 v14, v18, v14
	v_mul_f64_e32 v[38:39], v[16:17], v[14:15]
	s_delay_alu instid0(VALU_DEP_4) | instskip(NEXT) | instid1(VALU_DEP_4)
	v_mul_f64_e32 v[40:41], v[36:37], v[14:15]
	v_mul_f64_e32 v[52:53], v[46:47], v[14:15]
	s_delay_alu instid0(VALU_DEP_3) | instskip(NEXT) | instid1(VALU_DEP_3)
	v_fma_f64 v[16:17], v[16:17], v[14:15], -v[38:39]
	v_fma_f64 v[36:37], v[36:37], v[14:15], -v[40:41]
	s_delay_alu instid0(VALU_DEP_3) | instskip(NEXT) | instid1(VALU_DEP_3)
	v_fma_f64 v[14:15], v[46:47], v[14:15], -v[52:53]
	v_add_f64_e32 v[42:43], v[40:41], v[16:17]
	s_delay_alu instid0(VALU_DEP_1) | instskip(SKIP_1) | instid1(VALU_DEP_2)
	v_add_f64_e64 v[44:45], v[42:43], -v[40:41]
	v_add_f64_e32 v[50:51], v[38:39], v[42:43]
	v_add_f64_e64 v[48:49], v[42:43], -v[44:45]
	v_add_f64_e64 v[16:17], v[16:17], -v[44:45]
	s_delay_alu instid0(VALU_DEP_3) | instskip(NEXT) | instid1(VALU_DEP_3)
	v_ldexp_f64 v[44:45], v[50:51], -2
	v_add_f64_e64 v[40:41], v[40:41], -v[48:49]
	v_add_f64_e32 v[48:49], v[52:53], v[36:37]
	s_delay_alu instid0(VALU_DEP_3) | instskip(NEXT) | instid1(VALU_DEP_3)
	v_cmp_neq_f64_e64 vcc_lo, 0x7ff00000, |v[44:45]|
	v_add_f64_e32 v[16:17], v[16:17], v[40:41]
	v_fract_f64_e32 v[40:41], v[44:45]
	s_delay_alu instid0(VALU_DEP_1) | instskip(NEXT) | instid1(VALU_DEP_1)
	v_ldexp_f64 v[40:41], v[40:41], 2
	v_dual_add_f64 v[38:39], v[50:51], -v[38:39] :: v_dual_cndmask_b32 v41, 0, v41, vcc_lo
	s_delay_alu instid0(VALU_DEP_1) | instskip(SKIP_1) | instid1(VALU_DEP_1)
	v_dual_add_f64 v[38:39], v[42:43], -v[38:39] :: v_dual_cndmask_b32 v40, 0, v40, vcc_lo
	v_add_f64_e32 v[42:43], v[48:49], v[16:17]
	v_add_f64_e32 v[44:45], v[38:39], v[42:43]
	v_add_f64_e64 v[54:55], v[42:43], -v[48:49]
	s_delay_alu instid0(VALU_DEP_2) | instskip(NEXT) | instid1(VALU_DEP_2)
	v_add_f64_e32 v[50:51], v[44:45], v[40:41]
	v_add_f64_e64 v[60:61], v[42:43], -v[54:55]
	v_add_f64_e64 v[16:17], v[16:17], -v[54:55]
	;; [unrolled: 1-line block ×3, first 2 shown]
	s_delay_alu instid0(VALU_DEP_4) | instskip(SKIP_2) | instid1(VALU_DEP_2)
	v_cmp_gt_f64_e32 vcc_lo, 0, v[50:51]
	v_add_f64_e64 v[50:51], v[48:49], -v[52:53]
	v_cndmask_b32_e64 v25, 0, 0x40100000, vcc_lo
	v_add_f64_e64 v[58:59], v[48:49], -v[50:51]
	v_add_f64_e64 v[36:37], v[36:37], -v[50:51]
	;; [unrolled: 1-line block ×3, first 2 shown]
	s_delay_alu instid0(VALU_DEP_4) | instskip(NEXT) | instid1(VALU_DEP_4)
	v_add_f64_e32 v[40:41], v[40:41], v[24:25]
	v_add_f64_e64 v[50:51], v[52:53], -v[58:59]
	s_delay_alu instid0(VALU_DEP_3) | instskip(NEXT) | instid1(VALU_DEP_3)
	v_add_f64_e32 v[16:17], v[16:17], v[48:49]
	v_add_f64_e32 v[56:57], v[44:45], v[40:41]
	s_delay_alu instid0(VALU_DEP_3) | instskip(NEXT) | instid1(VALU_DEP_2)
	v_add_f64_e32 v[36:37], v[36:37], v[50:51]
	v_cvt_i32_f64_e32 v25, v[56:57]
	s_delay_alu instid0(VALU_DEP_2) | instskip(SKIP_1) | instid1(VALU_DEP_3)
	v_add_f64_e32 v[16:17], v[36:37], v[16:17]
	v_add_f64_e64 v[36:37], v[42:43], -v[38:39]
	v_cvt_f64_i32_e32 v[54:55], v25
	s_delay_alu instid0(VALU_DEP_3) | instskip(NEXT) | instid1(VALU_DEP_2)
	v_add_f64_e32 v[14:15], v[14:15], v[16:17]
	v_add_f64_e64 v[40:41], v[40:41], -v[54:55]
	s_delay_alu instid0(VALU_DEP_2) | instskip(NEXT) | instid1(VALU_DEP_2)
	v_add_f64_e32 v[14:15], v[36:37], v[14:15]
	v_add_f64_e32 v[46:47], v[44:45], v[40:41]
	s_delay_alu instid0(VALU_DEP_1) | instskip(SKIP_1) | instid1(VALU_DEP_2)
	v_add_f64_e64 v[16:17], v[46:47], -v[40:41]
	v_cmp_le_f64_e32 vcc_lo, 0.5, v[46:47]
	v_add_f64_e64 v[16:17], v[44:45], -v[16:17]
	v_add_co_ci_u32_e64 v36, null, 0, v25, vcc_lo
	v_cndmask_b32_e64 v25, 0, 0x3ff00000, vcc_lo
	s_delay_alu instid0(VALU_DEP_3) | instskip(NEXT) | instid1(VALU_DEP_2)
	v_add_f64_e32 v[14:15], v[14:15], v[16:17]
	v_add_f64_e64 v[16:17], v[46:47], -v[24:25]
	s_delay_alu instid0(VALU_DEP_1) | instskip(NEXT) | instid1(VALU_DEP_1)
	v_add_f64_e32 v[38:39], v[16:17], v[14:15]
	v_mul_f64_e32 v[40:41], 0x3ff921fb54442d18, v[38:39]
	v_add_f64_e64 v[16:17], v[38:39], -v[16:17]
	s_delay_alu instid0(VALU_DEP_2) | instskip(NEXT) | instid1(VALU_DEP_2)
	v_fma_f64 v[42:43], v[38:39], s[2:3], -v[40:41]
	v_add_f64_e64 v[14:15], v[14:15], -v[16:17]
	s_delay_alu instid0(VALU_DEP_2) | instskip(NEXT) | instid1(VALU_DEP_1)
	v_fmac_f64_e32 v[42:43], 0x3c91a62633145c07, v[38:39]
	v_fmac_f64_e32 v[42:43], 0x3ff921fb54442d18, v[14:15]
	s_delay_alu instid0(VALU_DEP_1) | instskip(NEXT) | instid1(VALU_DEP_1)
	v_add_f64_e32 v[14:15], v[40:41], v[42:43]
	v_add_f64_e64 v[16:17], v[14:15], -v[40:41]
	s_delay_alu instid0(VALU_DEP_1)
	v_add_f64_e64 v[16:17], v[42:43], -v[16:17]
.LBB99_223:                             ;   in Loop: Header=BB99_180 Depth=1
	s_and_not1_saveexec_b32 s0, s0
	s_cbranch_execz .LBB99_225
; %bb.224:                              ;   in Loop: Header=BB99_180 Depth=1
	v_mul_f64_e64 v[14:15], |v[18:19]|, s[4:5]
	s_delay_alu instid0(VALU_DEP_1) | instskip(NEXT) | instid1(VALU_DEP_1)
	v_rndne_f64_e32 v[36:37], v[14:15]
	v_fma_f64 v[14:15], v[36:37], s[6:7], |v[18:19]|
	v_mul_f64_e32 v[16:17], 0xbc91a62633145c00, v[36:37]
	s_delay_alu instid0(VALU_DEP_2) | instskip(NEXT) | instid1(VALU_DEP_2)
	v_fmamk_f64 v[42:43], v[36:37], 0xbc91a62633145c00, v[14:15]
	v_add_f64_e32 v[38:39], v[14:15], v[16:17]
	s_delay_alu instid0(VALU_DEP_1) | instskip(NEXT) | instid1(VALU_DEP_3)
	v_add_f64_e64 v[40:41], v[14:15], -v[38:39]
	v_add_f64_e64 v[14:15], v[38:39], -v[42:43]
	s_delay_alu instid0(VALU_DEP_2) | instskip(SKIP_1) | instid1(VALU_DEP_2)
	v_add_f64_e32 v[38:39], v[40:41], v[16:17]
	v_fmamk_f64 v[16:17], v[36:37], 0x3c91a62633145c00, v[16:17]
	v_add_f64_e32 v[14:15], v[14:15], v[38:39]
	s_delay_alu instid0(VALU_DEP_1) | instskip(NEXT) | instid1(VALU_DEP_1)
	v_add_f64_e64 v[16:17], v[14:15], -v[16:17]
	v_fmac_f64_e32 v[16:17], 0xb97b839a252049c0, v[36:37]
	v_cvt_i32_f64_e32 v36, v[36:37]
	s_delay_alu instid0(VALU_DEP_2) | instskip(NEXT) | instid1(VALU_DEP_1)
	v_add_f64_e32 v[14:15], v[42:43], v[16:17]
	v_add_f64_e64 v[38:39], v[14:15], -v[42:43]
	s_delay_alu instid0(VALU_DEP_1)
	v_add_f64_e64 v[16:17], v[16:17], -v[38:39]
.LBB99_225:                             ;   in Loop: Header=BB99_180 Depth=1
	s_or_b32 exec_lo, exec_lo, s0
	v_add_f64_e64 v[38:39], |v[20:21]|, s[8:9]
	v_cmp_nge_f64_e64 vcc_lo, |v[20:21]|, s[10:11]
	v_and_b32_e32 v37, 0x7fffffff, v21
	v_mul_f64_e32 v[56:57], v[14:15], v[14:15]
	v_add_f64_e32 v[58:59], v[16:17], v[16:17]
	v_add_f64_e64 v[40:41], v[38:39], -|v[20:21]|
	s_delay_alu instid0(VALU_DEP_3) | instskip(NEXT) | instid1(VALU_DEP_2)
	v_fma_f64 v[60:61], v[14:15], v[14:15], -v[56:57]
	v_add_f64_e64 v[42:43], v[40:41], -v[38:39]
	v_add_f64_e32 v[40:41], 0x3fe62e42fefa39ef, v[40:41]
	s_delay_alu instid0(VALU_DEP_3) | instskip(NEXT) | instid1(VALU_DEP_3)
	v_fmac_f64_e32 v[60:61], v[14:15], v[58:59]
	v_add_f64_e64 v[42:43], |v[20:21]|, v[42:43]
	s_delay_alu instid0(VALU_DEP_2) | instskip(NEXT) | instid1(VALU_DEP_2)
	v_add_f64_e32 v[56:57], v[56:57], v[60:61]
	v_add_f64_e64 v[40:41], v[42:43], -v[40:41]
	s_delay_alu instid0(VALU_DEP_2) | instskip(NEXT) | instid1(VALU_DEP_1)
	v_fmamk_f64 v[60:61], v[56:57], 0x3ef5e089c751c08c, v[26:27]
	v_fmaak_f64 v[60:61], v[56:57], v[60:61], 0x3f17746f90a8aae0
	s_delay_alu instid0(VALU_DEP_1) | instskip(NEXT) | instid1(VALU_DEP_4)
	v_fmaak_f64 v[60:61], v[56:57], v[60:61], 0xbefbb44da6fbf144
	v_add_f64_e32 v[40:41], 0xbc7abc9e3b39803f, v[40:41]
	s_delay_alu instid0(VALU_DEP_1) | instskip(NEXT) | instid1(VALU_DEP_1)
	v_add_f64_e32 v[42:43], v[38:39], v[40:41]
	v_mul_f64_e32 v[44:45], 0x3ff71547652b82fe, v[42:43]
	v_add_f64_e64 v[38:39], v[38:39], -v[42:43]
	s_delay_alu instid0(VALU_DEP_2) | instskip(NEXT) | instid1(VALU_DEP_2)
	v_rndne_f64_e32 v[44:45], v[44:45]
	v_add_f64_e32 v[38:39], v[40:41], v[38:39]
	s_delay_alu instid0(VALU_DEP_2) | instskip(SKIP_2) | instid1(VALU_DEP_3)
	v_fmac_f64_e32 v[42:43], 0xbfe62e42fefa3000, v[44:45]
	v_mul_f64_e32 v[40:41], 0xbd53de6af278e000, v[44:45]
	v_cvt_i32_f64_e32 v18, v[44:45]
	v_add_f64_e32 v[46:47], v[38:39], v[42:43]
	s_delay_alu instid0(VALU_DEP_1) | instskip(SKIP_1) | instid1(VALU_DEP_2)
	v_add_f64_e32 v[48:49], v[46:47], v[40:41]
	v_add_f64_e64 v[42:43], v[42:43], -v[46:47]
	v_add_f64_e64 v[46:47], v[46:47], -v[48:49]
	s_delay_alu instid0(VALU_DEP_2) | instskip(NEXT) | instid1(VALU_DEP_2)
	v_add_f64_e32 v[38:39], v[38:39], v[42:43]
	v_add_f64_e32 v[40:41], v[46:47], v[40:41]
	s_delay_alu instid0(VALU_DEP_1) | instskip(SKIP_1) | instid1(VALU_DEP_2)
	v_add_f64_e32 v[38:39], v[38:39], v[40:41]
	v_mul_f64_e32 v[40:41], 0xbac9cc01f97b57a0, v[44:45]
	v_add_f64_e32 v[42:43], v[48:49], v[38:39]
	s_delay_alu instid0(VALU_DEP_1) | instskip(SKIP_1) | instid1(VALU_DEP_2)
	v_add_f64_e32 v[46:47], v[42:43], v[40:41]
	v_add_f64_e64 v[48:49], v[48:49], -v[42:43]
	v_add_f64_e64 v[42:43], v[42:43], -v[46:47]
	s_delay_alu instid0(VALU_DEP_2) | instskip(NEXT) | instid1(VALU_DEP_2)
	v_add_f64_e32 v[38:39], v[38:39], v[48:49]
	v_add_f64_e32 v[40:41], v[42:43], v[40:41]
	s_delay_alu instid0(VALU_DEP_1) | instskip(NEXT) | instid1(VALU_DEP_1)
	v_add_f64_e32 v[38:39], v[38:39], v[40:41]
	v_add_f64_e32 v[40:41], v[46:47], v[38:39]
	s_delay_alu instid0(VALU_DEP_1) | instskip(SKIP_1) | instid1(VALU_DEP_2)
	v_add_f64_e64 v[42:43], v[46:47], -v[40:41]
	v_mul_f64_e32 v[46:47], v[40:41], v[40:41]
	v_add_f64_e32 v[38:39], v[38:39], v[42:43]
	s_delay_alu instid0(VALU_DEP_2) | instskip(NEXT) | instid1(VALU_DEP_2)
	v_fma_f64 v[42:43], v[40:41], v[40:41], -v[46:47]
	v_add_f64_e32 v[48:49], v[38:39], v[38:39]
	s_delay_alu instid0(VALU_DEP_1) | instskip(SKIP_1) | instid1(VALU_DEP_1)
	v_fmac_f64_e32 v[42:43], v[40:41], v[48:49]
	v_fmamk_f64 v[48:49], v[40:41], 0x3e5ade156a5dcb37, v[28:29]
	v_fmaak_f64 v[48:49], v[40:41], v[48:49], 0x3ec71dee623fde64
	s_delay_alu instid0(VALU_DEP_1) | instskip(NEXT) | instid1(VALU_DEP_1)
	v_fmaak_f64 v[48:49], v[40:41], v[48:49], 0x3efa01997c89e6b0
	v_fmaak_f64 v[48:49], v[40:41], v[48:49], 0x3f2a01a014761f6e
	s_delay_alu instid0(VALU_DEP_1) | instskip(SKIP_1) | instid1(VALU_DEP_2)
	v_fmaak_f64 v[48:49], v[40:41], v[48:49], 0x3f56c16c1852b7b0
	v_add_f64_e32 v[50:51], v[46:47], v[42:43]
	v_fmaak_f64 v[48:49], v[40:41], v[48:49], 0x3f81111111122322
	s_delay_alu instid0(VALU_DEP_1) | instskip(NEXT) | instid1(VALU_DEP_1)
	v_fmaak_f64 v[48:49], v[40:41], v[48:49], 0x3fa55555555502a1
	v_fmaak_f64 v[48:49], v[40:41], v[48:49], 0x3fc5555555555511
	s_delay_alu instid0(VALU_DEP_1) | instskip(SKIP_1) | instid1(VALU_DEP_2)
	v_fmaak_f64 v[48:49], v[40:41], v[48:49], 0x3fe000000000000b
	v_add_f64_e64 v[46:47], v[50:51], -v[46:47]
	v_mul_f64_e32 v[52:53], v[50:51], v[48:49]
	s_delay_alu instid0(VALU_DEP_2) | instskip(NEXT) | instid1(VALU_DEP_2)
	v_add_f64_e64 v[42:43], v[42:43], -v[46:47]
	v_fma_f64 v[46:47], v[50:51], v[48:49], -v[52:53]
	s_delay_alu instid0(VALU_DEP_1) | instskip(NEXT) | instid1(VALU_DEP_1)
	v_fmac_f64_e32 v[46:47], v[42:43], v[48:49]
	v_add_f64_e32 v[42:43], v[52:53], v[46:47]
	s_delay_alu instid0(VALU_DEP_1) | instskip(SKIP_1) | instid1(VALU_DEP_2)
	v_add_f64_e32 v[48:49], v[40:41], v[42:43]
	v_add_f64_e64 v[50:51], v[42:43], -v[52:53]
	v_add_f64_e64 v[40:41], v[48:49], -v[40:41]
	s_delay_alu instid0(VALU_DEP_2) | instskip(NEXT) | instid1(VALU_DEP_2)
	v_add_f64_e64 v[46:47], v[46:47], -v[50:51]
	v_add_f64_e64 v[40:41], v[42:43], -v[40:41]
	s_delay_alu instid0(VALU_DEP_2) | instskip(NEXT) | instid1(VALU_DEP_1)
	v_add_f64_e32 v[38:39], v[38:39], v[46:47]
	v_add_f64_e32 v[38:39], v[38:39], v[40:41]
	s_delay_alu instid0(VALU_DEP_1) | instskip(NEXT) | instid1(VALU_DEP_1)
	v_add_f64_e32 v[40:41], v[48:49], v[38:39]
	v_add_f64_e32 v[42:43], 1.0, v[40:41]
	v_add_f64_e64 v[46:47], v[40:41], -v[48:49]
	s_delay_alu instid0(VALU_DEP_2) | instskip(NEXT) | instid1(VALU_DEP_2)
	v_add_f64_e32 v[48:49], -1.0, v[42:43]
	v_add_f64_e64 v[38:39], v[38:39], -v[46:47]
	s_delay_alu instid0(VALU_DEP_2) | instskip(NEXT) | instid1(VALU_DEP_1)
	v_add_f64_e64 v[40:41], v[40:41], -v[48:49]
	v_add_f64_e32 v[38:39], v[38:39], v[40:41]
	s_delay_alu instid0(VALU_DEP_1) | instskip(NEXT) | instid1(VALU_DEP_1)
	v_add_f64_e32 v[40:41], v[42:43], v[38:39]
	v_ldexp_f64 v[44:45], v[40:41], v18
	v_add_f64_e64 v[40:41], v[40:41], -v[42:43]
	s_delay_alu instid0(VALU_DEP_2) | instskip(NEXT) | instid1(VALU_DEP_1)
	v_rcp_f64_e32 v[46:47], v[44:45]
	v_add_f64_e64 v[38:39], v[38:39], -v[40:41]
	s_delay_alu instid0(VALU_DEP_1) | instskip(NEXT) | instid1(TRANS32_DEP_1)
	v_ldexp_f64 v[38:39], v[38:39], v18
	v_fma_f64 v[48:49], -v[44:45], v[46:47], 1.0
	s_delay_alu instid0(VALU_DEP_1) | instskip(NEXT) | instid1(VALU_DEP_1)
	v_fmac_f64_e32 v[46:47], v[48:49], v[46:47]
	v_fma_f64 v[48:49], -v[44:45], v[46:47], 1.0
	s_delay_alu instid0(VALU_DEP_1) | instskip(NEXT) | instid1(VALU_DEP_1)
	v_fmac_f64_e32 v[46:47], v[48:49], v[46:47]
	v_mul_f64_e32 v[40:41], v[44:45], v[46:47]
	s_delay_alu instid0(VALU_DEP_1) | instskip(NEXT) | instid1(VALU_DEP_1)
	v_fma_f64 v[42:43], v[46:47], v[44:45], -v[40:41]
	v_fmac_f64_e32 v[42:43], v[46:47], v[38:39]
	s_delay_alu instid0(VALU_DEP_1) | instskip(NEXT) | instid1(VALU_DEP_1)
	v_add_f64_e32 v[48:49], v[40:41], v[42:43]
	v_add_f64_e64 v[50:51], -v[48:49], 1.0
	v_add_f64_e64 v[40:41], v[48:49], -v[40:41]
	s_delay_alu instid0(VALU_DEP_2) | instskip(NEXT) | instid1(VALU_DEP_2)
	v_add_f64_e64 v[52:53], -v[50:51], 1.0
	v_add_f64_e64 v[40:41], v[40:41], -v[42:43]
	s_delay_alu instid0(VALU_DEP_2) | instskip(NEXT) | instid1(VALU_DEP_1)
	v_add_f64_e64 v[42:43], v[52:53], -v[48:49]
	v_add_f64_e32 v[40:41], v[40:41], v[42:43]
	s_delay_alu instid0(VALU_DEP_1) | instskip(NEXT) | instid1(VALU_DEP_1)
	v_add_f64_e32 v[42:43], v[50:51], v[40:41]
	v_mul_f64_e32 v[48:49], v[46:47], v[42:43]
	v_add_f64_e64 v[50:51], v[50:51], -v[42:43]
	s_delay_alu instid0(VALU_DEP_2) | instskip(NEXT) | instid1(VALU_DEP_2)
	v_mul_f64_e32 v[52:53], v[44:45], v[48:49]
	v_add_f64_e32 v[40:41], v[40:41], v[50:51]
	s_delay_alu instid0(VALU_DEP_2) | instskip(NEXT) | instid1(VALU_DEP_1)
	v_fma_f64 v[54:55], v[48:49], v[44:45], -v[52:53]
	v_fmac_f64_e32 v[54:55], v[48:49], v[38:39]
	s_delay_alu instid0(VALU_DEP_1) | instskip(NEXT) | instid1(VALU_DEP_1)
	v_add_f64_e32 v[62:63], v[52:53], v[54:55]
	v_add_f64_e64 v[58:59], v[42:43], -v[62:63]
	v_add_f64_e64 v[50:51], v[62:63], -v[52:53]
	v_fmaak_f64 v[52:53], v[56:57], v[60:61], 0x3f21e634a7943acf
	s_delay_alu instid0(VALU_DEP_1) | instskip(NEXT) | instid1(VALU_DEP_1)
	v_fmaak_f64 v[52:53], v[56:57], v[52:53], 0x3f2d250fdeb68feb
	v_fmaak_f64 v[52:53], v[56:57], v[52:53], 0x3f437fd9b58c4d95
	s_delay_alu instid0(VALU_DEP_1) | instskip(NEXT) | instid1(VALU_DEP_1)
	v_fmaak_f64 v[52:53], v[56:57], v[52:53], 0x3f57d5af15120e2c
	v_fmaak_f64 v[52:53], v[56:57], v[52:53], 0x3f6d6d93e09491df
	v_add_f64_e64 v[42:43], v[42:43], -v[58:59]
	v_add_f64_e64 v[50:51], v[50:51], -v[54:55]
	s_delay_alu instid0(VALU_DEP_2) | instskip(NEXT) | instid1(VALU_DEP_1)
	v_add_f64_e64 v[42:43], v[42:43], -v[62:63]
	v_add_f64_e32 v[40:41], v[40:41], v[42:43]
	v_fmaak_f64 v[42:43], v[56:57], v[52:53], 0x3f8226e12033784d
	v_add_f64_e32 v[52:53], v[46:47], v[48:49]
	s_delay_alu instid0(VALU_DEP_2) | instskip(NEXT) | instid1(VALU_DEP_1)
	v_fmaak_f64 v[42:43], v[56:57], v[42:43], 0x3f9664f49ac36ae2
	v_fmaak_f64 v[42:43], v[56:57], v[42:43], 0x3faba1ba1b451c21
	s_delay_alu instid0(VALU_DEP_1) | instskip(NEXT) | instid1(VALU_DEP_1)
	v_fmaak_f64 v[42:43], v[56:57], v[42:43], 0x3fc11111111185b7
	v_fmaak_f64 v[42:43], v[56:57], v[42:43], 0x3fd55555555554ee
	v_add_f64_e32 v[40:41], v[50:51], v[40:41]
	v_add_f64_e64 v[50:51], v[52:53], -v[46:47]
	s_delay_alu instid0(VALU_DEP_3) | instskip(NEXT) | instid1(VALU_DEP_3)
	v_mul_f64_e32 v[42:43], v[56:57], v[42:43]
	v_add_f64_e32 v[40:41], v[58:59], v[40:41]
	s_delay_alu instid0(VALU_DEP_3) | instskip(NEXT) | instid1(VALU_DEP_3)
	v_add_f64_e64 v[48:49], v[48:49], -v[50:51]
	v_mul_f64_e32 v[54:55], v[14:15], v[42:43]
	s_delay_alu instid0(VALU_DEP_3) | instskip(NEXT) | instid1(VALU_DEP_2)
	v_mul_f64_e32 v[40:41], v[46:47], v[40:41]
	v_add_f64_e32 v[46:47], v[14:15], v[54:55]
	v_fma_f64 v[42:43], v[14:15], v[42:43], -v[54:55]
	s_delay_alu instid0(VALU_DEP_3) | instskip(NEXT) | instid1(VALU_DEP_3)
	v_add_f64_e32 v[40:41], v[48:49], v[40:41]
	v_add_f64_e64 v[14:15], v[46:47], -v[14:15]
	s_delay_alu instid0(VALU_DEP_3) | instskip(NEXT) | instid1(VALU_DEP_3)
	v_add_f64_e32 v[16:17], v[16:17], v[42:43]
	v_add_f64_e32 v[48:49], v[52:53], v[40:41]
	s_delay_alu instid0(VALU_DEP_3) | instskip(NEXT) | instid1(VALU_DEP_2)
	v_add_f64_e64 v[14:15], v[54:55], -v[14:15]
	v_ldexp_f64 v[42:43], v[48:49], -2
	v_add_f64_e64 v[48:49], v[48:49], -v[52:53]
	s_delay_alu instid0(VALU_DEP_3) | instskip(NEXT) | instid1(VALU_DEP_3)
	v_add_f64_e32 v[14:15], v[16:17], v[14:15]
	v_add_f64_e64 v[16:17], v[44:45], -v[42:43]
	s_delay_alu instid0(VALU_DEP_3) | instskip(NEXT) | instid1(VALU_DEP_3)
	v_add_f64_e64 v[40:41], v[40:41], -v[48:49]
	v_add_f64_e32 v[50:51], v[46:47], v[14:15]
	s_delay_alu instid0(VALU_DEP_3) | instskip(NEXT) | instid1(VALU_DEP_3)
	v_add_f64_e64 v[44:45], v[44:45], -v[16:17]
	v_ldexp_f64 v[40:41], v[40:41], -2
	s_delay_alu instid0(VALU_DEP_3) | instskip(NEXT) | instid1(VALU_DEP_2)
	v_rcp_f64_e32 v[52:53], v[50:51]
	v_add_f64_e64 v[42:43], v[44:45], -v[42:43]
	s_delay_alu instid0(TRANS32_DEP_1) | instskip(NEXT) | instid1(VALU_DEP_2)
	v_fma_f64 v[44:45], -v[50:51], v[52:53], 1.0
	v_add_f64_e32 v[38:39], v[38:39], v[42:43]
	s_delay_alu instid0(VALU_DEP_2) | instskip(NEXT) | instid1(VALU_DEP_2)
	v_fmac_f64_e32 v[52:53], v[44:45], v[52:53]
	v_add_f64_e64 v[38:39], v[38:39], -v[40:41]
	s_delay_alu instid0(VALU_DEP_2) | instskip(NEXT) | instid1(VALU_DEP_2)
	v_fma_f64 v[40:41], -v[50:51], v[52:53], 1.0
	v_add_f64_e32 v[16:17], v[16:17], v[38:39]
	s_delay_alu instid0(VALU_DEP_2) | instskip(NEXT) | instid1(VALU_DEP_2)
	v_fmac_f64_e32 v[52:53], v[40:41], v[52:53]
	v_cndmask_b32_e32 v18, 0x7ff00000, v17, vcc_lo
	s_delay_alu instid0(VALU_DEP_3) | instskip(SKIP_4) | instid1(VALU_DEP_4)
	v_cndmask_b32_e32 v25, 0, v16, vcc_lo
	v_cmp_gt_f64_e64 vcc_lo, 0x3e400000, |v[20:21]|
	v_xor_b32_e32 v21, 0x80000000, v21
	v_add_f64_e64 v[16:17], v[50:51], -v[46:47]
	v_mul_f64_e32 v[38:39], v[50:51], v[52:53]
	v_dual_cndmask_b32 v18, v18, v37, vcc_lo :: v_dual_cndmask_b32 v20, v25, v20, vcc_lo
	s_delay_alu instid0(VALU_DEP_3) | instskip(NEXT) | instid1(VALU_DEP_2)
	v_add_f64_e64 v[14:15], v[14:15], -v[16:17]
	v_bfi_b32 v21, 0x7fffffff, v18, v21
	s_delay_alu instid0(VALU_DEP_4) | instskip(NEXT) | instid1(VALU_DEP_2)
	v_fma_f64 v[16:17], v[52:53], v[50:51], -v[38:39]
	v_fma_f64 v[40:41], v[20:21], v[20:21], 1.0
	s_delay_alu instid0(VALU_DEP_2) | instskip(NEXT) | instid1(VALU_DEP_2)
	v_fmac_f64_e32 v[16:17], v[52:53], v[14:15]
	v_cmp_gt_f64_e32 vcc_lo, 0x10000000, v[40:41]
	v_cndmask_b32_e64 v18, 0, 0x100, vcc_lo
	s_delay_alu instid0(VALU_DEP_1) | instskip(NEXT) | instid1(VALU_DEP_4)
	v_ldexp_f64 v[14:15], v[40:41], v18
	v_add_f64_e32 v[40:41], v[38:39], v[16:17]
	v_and_b32_e32 v18, 1, v36
	s_delay_alu instid0(VALU_DEP_1) | instskip(NEXT) | instid1(VALU_DEP_4)
	v_cmp_eq_u32_e64 s0, 0, v18
	v_rsq_f64_e32 v[42:43], v[14:15]
	s_delay_alu instid0(VALU_DEP_3) | instskip(SKIP_1) | instid1(VALU_DEP_2)
	v_add_f64_e64 v[44:45], -v[40:41], 1.0
	v_add_f64_e64 v[38:39], v[40:41], -v[38:39]
	v_add_f64_e64 v[48:49], -v[44:45], 1.0
	s_delay_alu instid0(VALU_DEP_2) | instskip(NEXT) | instid1(TRANS32_DEP_1)
	v_add_f64_e64 v[16:17], v[38:39], -v[16:17]
	v_mul_f64_e32 v[46:47], v[14:15], v[42:43]
	v_mul_f64_e32 v[42:43], 0.5, v[42:43]
	s_delay_alu instid0(VALU_DEP_4) | instskip(NEXT) | instid1(VALU_DEP_2)
	v_add_f64_e64 v[38:39], v[48:49], -v[40:41]
	v_fma_f64 v[54:55], -v[42:43], v[46:47], 0.5
	s_delay_alu instid0(VALU_DEP_2) | instskip(NEXT) | instid1(VALU_DEP_2)
	v_add_f64_e32 v[16:17], v[16:17], v[38:39]
	v_fmac_f64_e32 v[46:47], v[46:47], v[54:55]
	v_fmac_f64_e32 v[42:43], v[42:43], v[54:55]
	s_delay_alu instid0(VALU_DEP_3) | instskip(NEXT) | instid1(VALU_DEP_3)
	v_add_f64_e32 v[16:17], v[44:45], v[16:17]
	v_fma_f64 v[38:39], -v[46:47], v[46:47], v[14:15]
	s_delay_alu instid0(VALU_DEP_2) | instskip(NEXT) | instid1(VALU_DEP_2)
	v_mul_f64_e32 v[16:17], v[52:53], v[16:17]
	v_fmac_f64_e32 v[46:47], v[38:39], v[42:43]
	s_delay_alu instid0(VALU_DEP_2) | instskip(NEXT) | instid1(VALU_DEP_2)
	v_add_f64_e32 v[16:17], v[52:53], v[16:17]
	v_fma_f64 v[38:39], -v[46:47], v[46:47], v[14:15]
	s_delay_alu instid0(VALU_DEP_2) | instskip(NEXT) | instid1(VALU_DEP_1)
	v_xor_b32_e32 v17, 0x80000000, v17
	v_dual_cndmask_b32 v18, v16, v50, s0 :: v_dual_cndmask_b32 v16, v17, v51, s0
	s_delay_alu instid0(VALU_DEP_3) | instskip(SKIP_2) | instid1(VALU_DEP_4)
	v_fmac_f64_e32 v[46:47], v[38:39], v[42:43]
	v_cndmask_b32_e64 v17, 0, 0xffffff80, vcc_lo
	v_cmp_class_f64_e64 vcc_lo, v[14:15], 0x260
	v_bitop3_b32 v19, v16, v19, 0x80000000 bitop3:0x78
	s_delay_alu instid0(VALU_DEP_1) | instskip(NEXT) | instid1(VALU_DEP_4)
	v_fma_f64 v[36:37], v[18:19], v[18:19], 1.0
	v_ldexp_f64 v[16:17], v[46:47], v17
	s_delay_alu instid0(VALU_DEP_1) | instskip(NEXT) | instid1(VALU_DEP_3)
	v_dual_cndmask_b32 v15, v17, v15 :: v_dual_cndmask_b32 v14, v16, v14
	v_mul_f64_e32 v[16:17], v[20:21], v[36:37]
	s_delay_alu instid0(VALU_DEP_2) | instskip(NEXT) | instid1(VALU_DEP_2)
	v_mul_f64_e32 v[14:15], v[14:15], v[36:37]
	v_fma_f64 v[36:37], v[20:21], v[16:17], 1.0
	s_delay_alu instid0(VALU_DEP_2) | instskip(NEXT) | instid1(VALU_DEP_2)
	v_mul_f64_e32 v[14:15], v[20:21], v[14:15]
	v_div_scale_f64 v[20:21], null, v[36:37], v[36:37], v[18:19]
	s_delay_alu instid0(VALU_DEP_2) | instskip(SKIP_1) | instid1(VALU_DEP_3)
	v_div_scale_f64 v[16:17], null, v[36:37], v[36:37], v[14:15]
	v_div_scale_f64 v[46:47], vcc_lo, v[14:15], v[36:37], v[14:15]
	v_rcp_f64_e32 v[40:41], v[20:21]
	s_delay_alu instid0(VALU_DEP_2) | instskip(NEXT) | instid1(TRANS32_DEP_2)
	v_rcp_f64_e32 v[38:39], v[16:17]
	v_fma_f64 v[44:45], -v[20:21], v[40:41], 1.0
	s_delay_alu instid0(TRANS32_DEP_1) | instskip(NEXT) | instid1(VALU_DEP_2)
	v_fma_f64 v[42:43], -v[16:17], v[38:39], 1.0
	v_fmac_f64_e32 v[40:41], v[40:41], v[44:45]
	s_delay_alu instid0(VALU_DEP_2) | instskip(NEXT) | instid1(VALU_DEP_2)
	v_fmac_f64_e32 v[38:39], v[38:39], v[42:43]
	v_fma_f64 v[44:45], -v[20:21], v[40:41], 1.0
	s_delay_alu instid0(VALU_DEP_2) | instskip(NEXT) | instid1(VALU_DEP_2)
	v_fma_f64 v[42:43], -v[16:17], v[38:39], 1.0
	v_fmac_f64_e32 v[40:41], v[40:41], v[44:45]
	s_delay_alu instid0(VALU_DEP_2) | instskip(SKIP_1) | instid1(VALU_DEP_2)
	v_fmac_f64_e32 v[38:39], v[38:39], v[42:43]
	v_div_scale_f64 v[42:43], s0, v[18:19], v[36:37], v[18:19]
	v_mul_f64_e32 v[44:45], v[46:47], v[38:39]
	s_delay_alu instid0(VALU_DEP_2) | instskip(NEXT) | instid1(VALU_DEP_2)
	v_mul_f64_e32 v[48:49], v[42:43], v[40:41]
	v_fma_f64 v[16:17], -v[16:17], v[44:45], v[46:47]
	s_delay_alu instid0(VALU_DEP_2) | instskip(NEXT) | instid1(VALU_DEP_2)
	v_fma_f64 v[20:21], -v[20:21], v[48:49], v[42:43]
	v_div_fmas_f64 v[16:17], v[16:17], v[38:39], v[44:45]
	s_mov_b32 vcc_lo, s0
	s_delay_alu instid0(VALU_DEP_2) | instskip(NEXT) | instid1(VALU_DEP_2)
	v_div_fmas_f64 v[20:21], v[20:21], v[40:41], v[48:49]
	v_div_fixup_f64 v[16:17], v[16:17], v[36:37], v[14:15]
	s_delay_alu instid0(VALU_DEP_2)
	v_div_fixup_f64 v[14:15], v[20:21], v[36:37], v[18:19]
                                        ; implicit-def: $vgpr18_vgpr19
.LBB99_226:                             ;   in Loop: Header=BB99_180 Depth=1
	s_and_not1_saveexec_b32 s0, s21
	s_cbranch_execz .LBB99_236
; %bb.227:                              ;   in Loop: Header=BB99_180 Depth=1
	v_cmp_ngt_f64_e64 s21, 0x41d00000, |v[18:19]|
                                        ; implicit-def: $vgpr40
                                        ; implicit-def: $vgpr14_vgpr15
                                        ; implicit-def: $vgpr16_vgpr17
	s_and_saveexec_b32 s22, s21
	s_delay_alu instid0(SALU_CYCLE_1)
	s_xor_b32 s22, exec_lo, s22
	s_cbranch_execz .LBB99_229
; %bb.228:                              ;   in Loop: Header=BB99_180 Depth=1
	v_ldexp_f64 v[14:15], |v[18:19]|, 0xffffff80
	v_cmp_le_f64_e64 vcc_lo, 0x7b000000, |v[18:19]|
	v_trig_preop_f64 v[16:17], |v[18:19]|, 0
	v_and_b32_e32 v25, 0x7fffffff, v19
	v_trig_preop_f64 v[36:37], |v[18:19]|, 1
	v_trig_preop_f64 v[46:47], |v[18:19]|, 2
	s_delay_alu instid0(VALU_DEP_3) | instskip(NEXT) | instid1(VALU_DEP_1)
	v_dual_cndmask_b32 v15, v25, v15 :: v_dual_cndmask_b32 v14, v18, v14
	v_mul_f64_e32 v[38:39], v[16:17], v[14:15]
	s_delay_alu instid0(VALU_DEP_4) | instskip(NEXT) | instid1(VALU_DEP_4)
	v_mul_f64_e32 v[40:41], v[36:37], v[14:15]
	v_mul_f64_e32 v[52:53], v[46:47], v[14:15]
	s_delay_alu instid0(VALU_DEP_3) | instskip(NEXT) | instid1(VALU_DEP_3)
	v_fma_f64 v[16:17], v[16:17], v[14:15], -v[38:39]
	v_fma_f64 v[36:37], v[36:37], v[14:15], -v[40:41]
	s_delay_alu instid0(VALU_DEP_3) | instskip(NEXT) | instid1(VALU_DEP_3)
	v_fma_f64 v[14:15], v[46:47], v[14:15], -v[52:53]
	v_add_f64_e32 v[42:43], v[40:41], v[16:17]
	s_delay_alu instid0(VALU_DEP_1) | instskip(SKIP_1) | instid1(VALU_DEP_2)
	v_add_f64_e64 v[44:45], v[42:43], -v[40:41]
	v_add_f64_e32 v[50:51], v[38:39], v[42:43]
	v_add_f64_e64 v[48:49], v[42:43], -v[44:45]
	v_add_f64_e64 v[16:17], v[16:17], -v[44:45]
	s_delay_alu instid0(VALU_DEP_3) | instskip(NEXT) | instid1(VALU_DEP_3)
	v_ldexp_f64 v[44:45], v[50:51], -2
	v_add_f64_e64 v[40:41], v[40:41], -v[48:49]
	v_add_f64_e32 v[48:49], v[52:53], v[36:37]
	s_delay_alu instid0(VALU_DEP_3) | instskip(NEXT) | instid1(VALU_DEP_3)
	v_cmp_neq_f64_e64 vcc_lo, 0x7ff00000, |v[44:45]|
	v_add_f64_e32 v[16:17], v[16:17], v[40:41]
	v_fract_f64_e32 v[40:41], v[44:45]
	s_delay_alu instid0(VALU_DEP_1) | instskip(NEXT) | instid1(VALU_DEP_1)
	v_ldexp_f64 v[40:41], v[40:41], 2
	v_dual_add_f64 v[38:39], v[50:51], -v[38:39] :: v_dual_cndmask_b32 v41, 0, v41, vcc_lo
	s_delay_alu instid0(VALU_DEP_1) | instskip(SKIP_1) | instid1(VALU_DEP_1)
	v_dual_add_f64 v[38:39], v[42:43], -v[38:39] :: v_dual_cndmask_b32 v40, 0, v40, vcc_lo
	v_add_f64_e32 v[42:43], v[48:49], v[16:17]
	v_add_f64_e32 v[44:45], v[38:39], v[42:43]
	v_add_f64_e64 v[54:55], v[42:43], -v[48:49]
	s_delay_alu instid0(VALU_DEP_2) | instskip(NEXT) | instid1(VALU_DEP_2)
	v_add_f64_e32 v[50:51], v[44:45], v[40:41]
	v_add_f64_e64 v[60:61], v[42:43], -v[54:55]
	v_add_f64_e64 v[16:17], v[16:17], -v[54:55]
	;; [unrolled: 1-line block ×3, first 2 shown]
	s_delay_alu instid0(VALU_DEP_4) | instskip(SKIP_1) | instid1(VALU_DEP_3)
	v_cmp_gt_f64_e32 vcc_lo, 0, v[50:51]
	v_add_f64_e64 v[50:51], v[48:49], -v[52:53]
	v_add_f64_e64 v[38:39], v[42:43], -v[38:39]
	v_cndmask_b32_e64 v25, 0, 0x40100000, vcc_lo
	s_delay_alu instid0(VALU_DEP_3) | instskip(SKIP_2) | instid1(VALU_DEP_4)
	v_add_f64_e64 v[58:59], v[48:49], -v[50:51]
	v_add_f64_e64 v[36:37], v[36:37], -v[50:51]
	;; [unrolled: 1-line block ×3, first 2 shown]
	v_add_f64_e32 v[40:41], v[40:41], v[24:25]
	s_delay_alu instid0(VALU_DEP_4) | instskip(NEXT) | instid1(VALU_DEP_3)
	v_add_f64_e64 v[50:51], v[52:53], -v[58:59]
	v_add_f64_e32 v[16:17], v[16:17], v[48:49]
	s_delay_alu instid0(VALU_DEP_3) | instskip(NEXT) | instid1(VALU_DEP_3)
	v_add_f64_e32 v[56:57], v[44:45], v[40:41]
	v_add_f64_e32 v[36:37], v[36:37], v[50:51]
	s_delay_alu instid0(VALU_DEP_2) | instskip(NEXT) | instid1(VALU_DEP_2)
	v_cvt_i32_f64_e32 v25, v[56:57]
	v_add_f64_e32 v[16:17], v[36:37], v[16:17]
	s_delay_alu instid0(VALU_DEP_2) | instskip(NEXT) | instid1(VALU_DEP_2)
	v_cvt_f64_i32_e32 v[54:55], v25
	v_add_f64_e32 v[14:15], v[14:15], v[16:17]
	s_delay_alu instid0(VALU_DEP_2) | instskip(NEXT) | instid1(VALU_DEP_2)
	v_add_f64_e64 v[40:41], v[40:41], -v[54:55]
	v_add_f64_e32 v[14:15], v[38:39], v[14:15]
	s_delay_alu instid0(VALU_DEP_2) | instskip(NEXT) | instid1(VALU_DEP_1)
	v_add_f64_e32 v[36:37], v[44:45], v[40:41]
	v_add_f64_e64 v[16:17], v[36:37], -v[40:41]
	v_cmp_le_f64_e32 vcc_lo, 0.5, v[36:37]
	s_delay_alu instid0(VALU_DEP_2) | instskip(SKIP_2) | instid1(VALU_DEP_3)
	v_add_f64_e64 v[16:17], v[44:45], -v[16:17]
	v_add_co_ci_u32_e64 v40, null, 0, v25, vcc_lo
	v_cndmask_b32_e64 v25, 0, 0x3ff00000, vcc_lo
	v_add_f64_e32 v[14:15], v[14:15], v[16:17]
	s_delay_alu instid0(VALU_DEP_2) | instskip(NEXT) | instid1(VALU_DEP_1)
	v_add_f64_e64 v[16:17], v[36:37], -v[24:25]
	v_add_f64_e32 v[36:37], v[16:17], v[14:15]
	s_delay_alu instid0(VALU_DEP_1) | instskip(SKIP_1) | instid1(VALU_DEP_2)
	v_mul_f64_e32 v[38:39], 0x3ff921fb54442d18, v[36:37]
	v_add_f64_e64 v[16:17], v[36:37], -v[16:17]
	v_fma_f64 v[42:43], v[36:37], s[2:3], -v[38:39]
	s_delay_alu instid0(VALU_DEP_2) | instskip(NEXT) | instid1(VALU_DEP_2)
	v_add_f64_e64 v[14:15], v[14:15], -v[16:17]
	v_fmac_f64_e32 v[42:43], 0x3c91a62633145c07, v[36:37]
	s_delay_alu instid0(VALU_DEP_1) | instskip(NEXT) | instid1(VALU_DEP_1)
	v_fmac_f64_e32 v[42:43], 0x3ff921fb54442d18, v[14:15]
	v_add_f64_e32 v[14:15], v[38:39], v[42:43]
	s_delay_alu instid0(VALU_DEP_1) | instskip(NEXT) | instid1(VALU_DEP_1)
	v_add_f64_e64 v[16:17], v[14:15], -v[38:39]
	v_add_f64_e64 v[16:17], v[42:43], -v[16:17]
	s_and_not1_saveexec_b32 s22, s22
	s_cbranch_execz .LBB99_231
	s_branch .LBB99_230
.LBB99_229:                             ;   in Loop: Header=BB99_180 Depth=1
	s_and_not1_saveexec_b32 s22, s22
	s_cbranch_execz .LBB99_231
.LBB99_230:                             ;   in Loop: Header=BB99_180 Depth=1
	v_mul_f64_e64 v[14:15], |v[18:19]|, s[4:5]
	s_delay_alu instid0(VALU_DEP_1) | instskip(NEXT) | instid1(VALU_DEP_1)
	v_rndne_f64_e32 v[36:37], v[14:15]
	v_fma_f64 v[14:15], v[36:37], s[6:7], |v[18:19]|
	v_mul_f64_e32 v[16:17], 0xbc91a62633145c00, v[36:37]
	s_delay_alu instid0(VALU_DEP_2) | instskip(NEXT) | instid1(VALU_DEP_2)
	v_fmamk_f64 v[42:43], v[36:37], 0xbc91a62633145c00, v[14:15]
	v_add_f64_e32 v[38:39], v[14:15], v[16:17]
	s_delay_alu instid0(VALU_DEP_1) | instskip(NEXT) | instid1(VALU_DEP_3)
	v_add_f64_e64 v[40:41], v[14:15], -v[38:39]
	v_add_f64_e64 v[14:15], v[38:39], -v[42:43]
	s_delay_alu instid0(VALU_DEP_2) | instskip(SKIP_2) | instid1(VALU_DEP_3)
	v_add_f64_e32 v[38:39], v[40:41], v[16:17]
	v_fmamk_f64 v[16:17], v[36:37], 0x3c91a62633145c00, v[16:17]
	v_cvt_i32_f64_e32 v40, v[36:37]
	v_add_f64_e32 v[14:15], v[14:15], v[38:39]
	s_delay_alu instid0(VALU_DEP_1) | instskip(NEXT) | instid1(VALU_DEP_1)
	v_add_f64_e64 v[16:17], v[14:15], -v[16:17]
	v_fmac_f64_e32 v[16:17], 0xb97b839a252049c0, v[36:37]
	s_delay_alu instid0(VALU_DEP_1) | instskip(NEXT) | instid1(VALU_DEP_1)
	v_add_f64_e32 v[14:15], v[42:43], v[16:17]
	v_add_f64_e64 v[38:39], v[14:15], -v[42:43]
	s_delay_alu instid0(VALU_DEP_1)
	v_add_f64_e64 v[16:17], v[16:17], -v[38:39]
.LBB99_231:                             ;   in Loop: Header=BB99_180 Depth=1
	s_or_b32 exec_lo, exec_lo, s22
                                        ; implicit-def: $vgpr41
                                        ; implicit-def: $vgpr36_vgpr37
                                        ; implicit-def: $vgpr38_vgpr39
	s_and_saveexec_b32 s22, s21
	s_delay_alu instid0(SALU_CYCLE_1)
	s_xor_b32 s21, exec_lo, s22
	s_cbranch_execz .LBB99_233
; %bb.232:                              ;   in Loop: Header=BB99_180 Depth=1
	v_ldexp_f64 v[36:37], |v[18:19]|, 0xffffff80
	v_cmp_le_f64_e64 vcc_lo, 0x7b000000, |v[18:19]|
	v_trig_preop_f64 v[38:39], |v[18:19]|, 0
	v_and_b32_e32 v25, 0x7fffffff, v19
	v_trig_preop_f64 v[42:43], |v[18:19]|, 1
	v_trig_preop_f64 v[52:53], |v[18:19]|, 2
	s_delay_alu instid0(VALU_DEP_3) | instskip(NEXT) | instid1(VALU_DEP_1)
	v_dual_cndmask_b32 v37, v25, v37 :: v_dual_cndmask_b32 v36, v18, v36
	v_mul_f64_e32 v[44:45], v[38:39], v[36:37]
	s_delay_alu instid0(VALU_DEP_4) | instskip(NEXT) | instid1(VALU_DEP_4)
	v_mul_f64_e32 v[46:47], v[42:43], v[36:37]
	v_mul_f64_e32 v[58:59], v[52:53], v[36:37]
	s_delay_alu instid0(VALU_DEP_3) | instskip(NEXT) | instid1(VALU_DEP_3)
	v_fma_f64 v[38:39], v[38:39], v[36:37], -v[44:45]
	v_fma_f64 v[42:43], v[42:43], v[36:37], -v[46:47]
	s_delay_alu instid0(VALU_DEP_3) | instskip(NEXT) | instid1(VALU_DEP_3)
	v_fma_f64 v[36:37], v[52:53], v[36:37], -v[58:59]
	v_add_f64_e32 v[48:49], v[46:47], v[38:39]
	s_delay_alu instid0(VALU_DEP_1) | instskip(SKIP_1) | instid1(VALU_DEP_2)
	v_add_f64_e64 v[50:51], v[48:49], -v[46:47]
	v_add_f64_e32 v[56:57], v[44:45], v[48:49]
	v_add_f64_e64 v[54:55], v[48:49], -v[50:51]
	v_add_f64_e64 v[38:39], v[38:39], -v[50:51]
	s_delay_alu instid0(VALU_DEP_3) | instskip(NEXT) | instid1(VALU_DEP_3)
	v_ldexp_f64 v[50:51], v[56:57], -2
	v_add_f64_e64 v[46:47], v[46:47], -v[54:55]
	v_add_f64_e32 v[54:55], v[58:59], v[42:43]
	s_delay_alu instid0(VALU_DEP_3) | instskip(NEXT) | instid1(VALU_DEP_3)
	v_cmp_neq_f64_e64 vcc_lo, 0x7ff00000, |v[50:51]|
	v_add_f64_e32 v[38:39], v[38:39], v[46:47]
	v_fract_f64_e32 v[46:47], v[50:51]
	s_delay_alu instid0(VALU_DEP_1) | instskip(NEXT) | instid1(VALU_DEP_1)
	v_ldexp_f64 v[46:47], v[46:47], 2
	v_dual_add_f64 v[44:45], v[56:57], -v[44:45] :: v_dual_cndmask_b32 v47, 0, v47, vcc_lo
	s_delay_alu instid0(VALU_DEP_1) | instskip(SKIP_1) | instid1(VALU_DEP_1)
	v_dual_add_f64 v[44:45], v[48:49], -v[44:45] :: v_dual_cndmask_b32 v46, 0, v46, vcc_lo
	v_add_f64_e32 v[48:49], v[54:55], v[38:39]
	v_add_f64_e32 v[50:51], v[44:45], v[48:49]
	v_add_f64_e64 v[60:61], v[48:49], -v[54:55]
	s_delay_alu instid0(VALU_DEP_2) | instskip(NEXT) | instid1(VALU_DEP_2)
	v_add_f64_e32 v[56:57], v[50:51], v[46:47]
	v_add_f64_e64 v[66:67], v[48:49], -v[60:61]
	v_add_f64_e64 v[38:39], v[38:39], -v[60:61]
	;; [unrolled: 1-line block ×3, first 2 shown]
	s_delay_alu instid0(VALU_DEP_4) | instskip(SKIP_1) | instid1(VALU_DEP_3)
	v_cmp_gt_f64_e32 vcc_lo, 0, v[56:57]
	v_add_f64_e64 v[56:57], v[54:55], -v[58:59]
	v_add_f64_e64 v[44:45], v[48:49], -v[44:45]
	v_cndmask_b32_e64 v25, 0, 0x40100000, vcc_lo
	s_delay_alu instid0(VALU_DEP_3) | instskip(SKIP_2) | instid1(VALU_DEP_4)
	v_add_f64_e64 v[64:65], v[54:55], -v[56:57]
	v_add_f64_e64 v[42:43], v[42:43], -v[56:57]
	;; [unrolled: 1-line block ×3, first 2 shown]
	v_add_f64_e32 v[46:47], v[46:47], v[24:25]
	s_delay_alu instid0(VALU_DEP_4) | instskip(NEXT) | instid1(VALU_DEP_3)
	v_add_f64_e64 v[56:57], v[58:59], -v[64:65]
	v_add_f64_e32 v[38:39], v[38:39], v[54:55]
	s_delay_alu instid0(VALU_DEP_3) | instskip(NEXT) | instid1(VALU_DEP_3)
	v_add_f64_e32 v[62:63], v[50:51], v[46:47]
	v_add_f64_e32 v[42:43], v[42:43], v[56:57]
	s_delay_alu instid0(VALU_DEP_2) | instskip(NEXT) | instid1(VALU_DEP_2)
	v_cvt_i32_f64_e32 v25, v[62:63]
	v_add_f64_e32 v[38:39], v[42:43], v[38:39]
	s_delay_alu instid0(VALU_DEP_2) | instskip(NEXT) | instid1(VALU_DEP_2)
	v_cvt_f64_i32_e32 v[60:61], v25
	v_add_f64_e32 v[36:37], v[36:37], v[38:39]
	s_delay_alu instid0(VALU_DEP_2) | instskip(NEXT) | instid1(VALU_DEP_2)
	v_add_f64_e64 v[46:47], v[46:47], -v[60:61]
	v_add_f64_e32 v[36:37], v[44:45], v[36:37]
	s_delay_alu instid0(VALU_DEP_2) | instskip(NEXT) | instid1(VALU_DEP_1)
	v_add_f64_e32 v[42:43], v[50:51], v[46:47]
	v_add_f64_e64 v[38:39], v[42:43], -v[46:47]
	v_cmp_le_f64_e32 vcc_lo, 0.5, v[42:43]
	s_delay_alu instid0(VALU_DEP_2) | instskip(SKIP_2) | instid1(VALU_DEP_3)
	v_add_f64_e64 v[38:39], v[50:51], -v[38:39]
	v_add_co_ci_u32_e64 v41, null, 0, v25, vcc_lo
	v_cndmask_b32_e64 v25, 0, 0x3ff00000, vcc_lo
	v_add_f64_e32 v[36:37], v[36:37], v[38:39]
	s_delay_alu instid0(VALU_DEP_2) | instskip(NEXT) | instid1(VALU_DEP_1)
	v_add_f64_e64 v[38:39], v[42:43], -v[24:25]
	v_add_f64_e32 v[42:43], v[38:39], v[36:37]
	s_delay_alu instid0(VALU_DEP_1) | instskip(SKIP_1) | instid1(VALU_DEP_2)
	v_mul_f64_e32 v[44:45], 0x3ff921fb54442d18, v[42:43]
	v_add_f64_e64 v[38:39], v[42:43], -v[38:39]
	v_fma_f64 v[46:47], v[42:43], s[2:3], -v[44:45]
	s_delay_alu instid0(VALU_DEP_2) | instskip(NEXT) | instid1(VALU_DEP_2)
	v_add_f64_e64 v[36:37], v[36:37], -v[38:39]
	v_fmac_f64_e32 v[46:47], 0x3c91a62633145c07, v[42:43]
	s_delay_alu instid0(VALU_DEP_1) | instskip(NEXT) | instid1(VALU_DEP_1)
	v_fmac_f64_e32 v[46:47], 0x3ff921fb54442d18, v[36:37]
	v_add_f64_e32 v[36:37], v[44:45], v[46:47]
	s_delay_alu instid0(VALU_DEP_1) | instskip(NEXT) | instid1(VALU_DEP_1)
	v_add_f64_e64 v[38:39], v[36:37], -v[44:45]
	v_add_f64_e64 v[38:39], v[46:47], -v[38:39]
	s_and_not1_saveexec_b32 s21, s21
	s_cbranch_execnz .LBB99_234
	s_branch .LBB99_235
.LBB99_233:                             ;   in Loop: Header=BB99_180 Depth=1
	s_and_not1_saveexec_b32 s21, s21
	s_cbranch_execz .LBB99_235
.LBB99_234:                             ;   in Loop: Header=BB99_180 Depth=1
	v_mul_f64_e64 v[36:37], |v[18:19]|, s[4:5]
	s_delay_alu instid0(VALU_DEP_1) | instskip(NEXT) | instid1(VALU_DEP_1)
	v_rndne_f64_e32 v[42:43], v[36:37]
	v_fma_f64 v[36:37], v[42:43], s[6:7], |v[18:19]|
	v_mul_f64_e32 v[38:39], 0xbc91a62633145c00, v[42:43]
	v_cvt_i32_f64_e32 v41, v[42:43]
	s_delay_alu instid0(VALU_DEP_3) | instskip(NEXT) | instid1(VALU_DEP_3)
	v_fmamk_f64 v[48:49], v[42:43], 0xbc91a62633145c00, v[36:37]
	v_add_f64_e32 v[44:45], v[36:37], v[38:39]
	s_delay_alu instid0(VALU_DEP_1) | instskip(NEXT) | instid1(VALU_DEP_3)
	v_add_f64_e64 v[46:47], v[36:37], -v[44:45]
	v_add_f64_e64 v[36:37], v[44:45], -v[48:49]
	s_delay_alu instid0(VALU_DEP_2) | instskip(SKIP_1) | instid1(VALU_DEP_2)
	v_add_f64_e32 v[44:45], v[46:47], v[38:39]
	v_fmamk_f64 v[38:39], v[42:43], 0x3c91a62633145c00, v[38:39]
	v_add_f64_e32 v[36:37], v[36:37], v[44:45]
	s_delay_alu instid0(VALU_DEP_1) | instskip(NEXT) | instid1(VALU_DEP_1)
	v_add_f64_e64 v[38:39], v[36:37], -v[38:39]
	v_fmac_f64_e32 v[38:39], 0xb97b839a252049c0, v[42:43]
	s_delay_alu instid0(VALU_DEP_1) | instskip(NEXT) | instid1(VALU_DEP_1)
	v_add_f64_e32 v[36:37], v[48:49], v[38:39]
	v_add_f64_e64 v[44:45], v[36:37], -v[48:49]
	s_delay_alu instid0(VALU_DEP_1)
	v_add_f64_e64 v[38:39], v[38:39], -v[44:45]
.LBB99_235:                             ;   in Loop: Header=BB99_180 Depth=1
	s_or_b32 exec_lo, exec_lo, s21
	v_dual_mul_f64 v[42:43], v[14:15], v[14:15] :: v_dual_bitop2_b32 v18, 1, v40 bitop3:0x40
	s_delay_alu instid0(VALU_DEP_2) | instskip(SKIP_1) | instid1(VALU_DEP_3)
	v_mul_f64_e32 v[66:67], 0.5, v[38:39]
	v_mul_f64_e64 v[48:49], |v[20:21]|, s[14:15]
	v_cmp_eq_u32_e32 vcc_lo, 0, v18
	v_mul_f64_e32 v[54:55], 0.5, v[16:17]
	v_lshlrev_b32_e32 v18, 30, v40
	s_delay_alu instid0(VALU_DEP_1) | instskip(SKIP_4) | instid1(VALU_DEP_2)
	v_dual_mul_f64 v[44:45], v[36:37], v[36:37] :: v_dual_bitop2_b32 v18, v18, v19 bitop3:0x14
	v_mul_f64_e32 v[46:47], 0.5, v[42:43]
	v_mul_f64_e64 v[56:57], v[14:15], -v[42:43]
	v_fmamk_f64 v[62:63], v[42:43], 0x3de5e0b2f9a43bb8, v[32:33]
	v_rndne_f64_e32 v[48:49], v[48:49]
	v_fmaak_f64 v[62:63], v[42:43], v[62:63], 0x3ec71de3796cde01
	v_mul_f64_e64 v[68:69], v[36:37], -v[44:45]
	v_fmamk_f64 v[70:71], v[44:45], 0x3de5e0b2f9a43bb8, v[32:33]
	s_delay_alu instid0(VALU_DEP_3) | instskip(NEXT) | instid1(VALU_DEP_1)
	v_fmaak_f64 v[62:63], v[42:43], v[62:63], 0xbf2a01a019e83e5c
	v_fmaak_f64 v[62:63], v[42:43], v[62:63], 0x3f81111111110bb3
	v_add_f64_e64 v[52:53], -v[46:47], 1.0
	s_delay_alu instid0(VALU_DEP_2) | instskip(SKIP_2) | instid1(VALU_DEP_4)
	v_fmac_f64_e32 v[54:55], v[56:57], v[62:63]
	v_fma_f64 v[64:65], v[48:49], s[8:9], -|v[20:21]|
	v_cvt_i32_f64_e32 v19, v[48:49]
	v_add_f64_e64 v[60:61], -v[52:53], 1.0
	s_delay_alu instid0(VALU_DEP_4) | instskip(NEXT) | instid1(VALU_DEP_4)
	v_fma_f64 v[54:55], v[42:43], v[54:55], -v[16:17]
	v_fmac_f64_e32 v[64:65], 0xbc7abc9e3b39803f, v[48:49]
	s_delay_alu instid0(VALU_DEP_3) | instskip(SKIP_3) | instid1(VALU_DEP_3)
	v_add_f64_e64 v[46:47], v[60:61], -v[46:47]
	v_fmaak_f64 v[60:61], v[44:45], v[70:71], 0x3ec71de3796cde01
	v_fmamk_f64 v[70:71], v[42:43], 0xbda907db46cc5e42, v[30:31]
	v_fmac_f64_e32 v[54:55], 0xbfc5555555555555, v[56:57]
	v_fmaak_f64 v[60:61], v[44:45], v[60:61], 0xbf2a01a019e83e5c
	s_delay_alu instid0(VALU_DEP_1) | instskip(NEXT) | instid1(VALU_DEP_1)
	v_fmaak_f64 v[60:61], v[44:45], v[60:61], 0x3f81111111110bb3
	v_fmac_f64_e32 v[66:67], v[68:69], v[60:61]
	v_mul_f64_e32 v[60:61], v[42:43], v[42:43]
	v_fma_f64 v[16:17], v[14:15], -v[16:17], v[46:47]
	v_fmaak_f64 v[46:47], v[42:43], v[70:71], 0xbe927e4fa17f65f6
	v_mul_f64_e32 v[70:71], v[44:45], v[44:45]
	v_add_f64_e64 v[14:15], v[14:15], -v[54:55]
	s_delay_alu instid0(VALU_DEP_3) | instskip(NEXT) | instid1(VALU_DEP_1)
	v_fmaak_f64 v[46:47], v[42:43], v[46:47], 0x3efa01a019f4ec90
	v_fmaak_f64 v[46:47], v[42:43], v[46:47], 0xbf56c16c16c16967
	s_delay_alu instid0(VALU_DEP_1) | instskip(NEXT) | instid1(VALU_DEP_1)
	v_fmaak_f64 v[42:43], v[42:43], v[46:47], 0x3fa5555555555555
	v_fmac_f64_e32 v[16:17], v[60:61], v[42:43]
	s_delay_alu instid0(VALU_DEP_1) | instskip(NEXT) | instid1(VALU_DEP_1)
	v_add_f64_e32 v[16:17], v[52:53], v[16:17]
	v_dual_mul_f64 v[50:51], 0.5, v[44:45] :: v_dual_cndmask_b32 v14, v16, v14, vcc_lo
	s_delay_alu instid0(VALU_DEP_1) | instskip(NEXT) | instid1(VALU_DEP_3)
	v_add_f64_e64 v[58:59], -v[50:51], 1.0
	v_cndmask_b32_e32 v15, v17, v15, vcc_lo
	s_delay_alu instid0(VALU_DEP_1) | instskip(NEXT) | instid1(VALU_DEP_1)
	v_bitop3_b32 v15, v15, v18, 0x80000000 bitop3:0x78
	v_dual_mul_f64 v[14:15], 4.0, v[14:15] :: v_dual_bitop2_b32 v18, 1, v41 bitop3:0x40
	s_delay_alu instid0(VALU_DEP_1) | instskip(SKIP_1) | instid1(VALU_DEP_1)
	v_cmp_eq_u32_e32 vcc_lo, 0, v18
	v_add_f64_e64 v[62:63], -v[58:59], 1.0
	v_add_f64_e64 v[50:51], v[62:63], -v[50:51]
	v_fmamk_f64 v[62:63], v[64:65], 0x3e5ade156a5dcb37, v[28:29]
	s_delay_alu instid0(VALU_DEP_1) | instskip(NEXT) | instid1(VALU_DEP_1)
	v_fmaak_f64 v[62:63], v[64:65], v[62:63], 0x3ec71dee623fde64
	v_fmaak_f64 v[62:63], v[64:65], v[62:63], 0x3efa01997c89e6b0
	s_delay_alu instid0(VALU_DEP_1) | instskip(SKIP_2) | instid1(VALU_DEP_3)
	v_fmaak_f64 v[46:47], v[64:65], v[62:63], 0x3f2a01a014761f6e
	v_fma_f64 v[62:63], v[44:45], v[66:67], -v[38:39]
	v_fmamk_f64 v[66:67], v[44:45], 0xbda907db46cc5e42, v[30:31]
	v_fmaak_f64 v[42:43], v[64:65], v[46:47], 0x3f56c16c1852b7b0
	s_delay_alu instid0(VALU_DEP_2) | instskip(SKIP_1) | instid1(VALU_DEP_3)
	v_fmaak_f64 v[46:47], v[44:45], v[66:67], 0xbe927e4fa17f65f6
	v_fma_f64 v[38:39], v[36:37], -v[38:39], v[50:51]
	v_fmaak_f64 v[42:43], v[64:65], v[42:43], 0x3f81111111122322
	s_delay_alu instid0(VALU_DEP_3) | instskip(NEXT) | instid1(VALU_DEP_2)
	v_fmaak_f64 v[46:47], v[44:45], v[46:47], 0x3efa01a019f4ec90
	v_fmaak_f64 v[42:43], v[64:65], v[42:43], 0x3fa55555555502a1
	s_delay_alu instid0(VALU_DEP_2) | instskip(NEXT) | instid1(VALU_DEP_2)
	v_fmaak_f64 v[46:47], v[44:45], v[46:47], 0xbf56c16c16c16967
	v_fmaak_f64 v[42:43], v[64:65], v[42:43], 0x3fc5555555555511
	s_delay_alu instid0(VALU_DEP_2) | instskip(SKIP_1) | instid1(VALU_DEP_3)
	v_fmaak_f64 v[44:45], v[44:45], v[46:47], 0x3fa5555555555555
	v_fmac_f64_e32 v[62:63], 0xbfc5555555555555, v[68:69]
	v_fmaak_f64 v[42:43], v[64:65], v[42:43], 0x3fe000000000000b
	s_delay_alu instid0(VALU_DEP_1) | instskip(NEXT) | instid1(VALU_DEP_4)
	v_fma_f64 v[42:43], v[64:65], v[42:43], 1.0
	v_fmac_f64_e32 v[38:39], v[70:71], v[44:45]
	s_delay_alu instid0(VALU_DEP_4) | instskip(NEXT) | instid1(VALU_DEP_3)
	v_add_f64_e64 v[36:37], v[36:37], -v[62:63]
	v_fma_f64 v[16:17], v[64:65], v[42:43], 1.0
	s_delay_alu instid0(VALU_DEP_3) | instskip(NEXT) | instid1(VALU_DEP_3)
	v_add_f64_e32 v[38:39], v[58:59], v[38:39]
	v_xor_b32_e32 v25, 0x80000000, v37
	s_delay_alu instid0(VALU_DEP_3) | instskip(NEXT) | instid1(VALU_DEP_2)
	v_ldexp_f64 v[16:17], v[16:17], v19
	v_dual_cndmask_b32 v18, v36, v38 :: v_dual_cndmask_b32 v25, v25, v39
	v_lshlrev_b32_e32 v36, 30, v41
	v_cmp_nlt_f64_e64 vcc_lo, 0x4090cc00, |v[20:21]|
	s_delay_alu instid0(VALU_DEP_2) | instskip(NEXT) | instid1(VALU_DEP_1)
	v_bitop3_b32 v19, v25, v36, 0x80000000 bitop3:0x78
	v_dual_mul_f64 v[14:15], v[14:15], v[18:19] :: v_dual_cndmask_b32 v17, 0, v17, vcc_lo
	v_cndmask_b32_e32 v16, 0, v16, vcc_lo
	s_delay_alu instid0(VALU_DEP_1) | instskip(NEXT) | instid1(VALU_DEP_1)
	v_mul_f64_e32 v[14:15], v[16:17], v[14:15]
	v_mul_f64_e32 v[14:15], v[16:17], v[14:15]
	v_xor_b32_e32 v16, 0x80000000, v21
	s_delay_alu instid0(VALU_DEP_1) | instskip(NEXT) | instid1(VALU_DEP_1)
	v_bfi_b32 v25, 0x7fffffff, s18, v16
	v_mov_b64_e32 v[16:17], v[24:25]
.LBB99_236:                             ;   in Loop: Header=BB99_180 Depth=1
	s_or_b32 exec_lo, exec_lo, s0
                                        ; implicit-def: $vgpr18_vgpr19
.LBB99_237:                             ;   in Loop: Header=BB99_180 Depth=1
	s_and_not1_saveexec_b32 s0, s20
	s_cbranch_execz .LBB99_239
; %bb.238:                              ;   in Loop: Header=BB99_180 Depth=1
	v_add_f64_e64 v[14:15], v[18:19], -v[18:19]
	s_delay_alu instid0(VALU_DEP_1)
	v_mov_b64_e32 v[16:17], v[14:15]
.LBB99_239:                             ;   in Loop: Header=BB99_180 Depth=1
	s_or_b32 exec_lo, exec_lo, s0
                                        ; implicit-def: $vgpr18_vgpr19
.LBB99_240:                             ;   in Loop: Header=BB99_180 Depth=1
	s_and_not1_saveexec_b32 s20, s1
	s_cbranch_execz .LBB99_256
; %bb.241:                              ;   in Loop: Header=BB99_180 Depth=1
	s_delay_alu instid0(VALU_DEP_1) | instskip(SKIP_1) | instid1(VALU_DEP_1)
	v_and_or_b32 v14, 0xfffff, v17, v16
	s_mov_b32 s0, exec_lo
	v_cmpx_ne_u32_e32 0, v14
	s_xor_b32 s0, exec_lo, s0
	s_cbranch_execz .LBB99_243
; %bb.242:                              ;   in Loop: Header=BB99_180 Depth=1
	v_mul_f64_e64 v[14:15], v[18:19], -v[20:21]
	v_cmp_eq_f64_e32 vcc_lo, 0, v[18:19]
	s_delay_alu instid0(VALU_DEP_2)
	v_dual_cndmask_b32 v15, v15, v19 :: v_dual_cndmask_b32 v14, v14, v18
                                        ; implicit-def: $vgpr18_vgpr19
.LBB99_243:                             ;   in Loop: Header=BB99_180 Depth=1
	s_and_not1_saveexec_b32 s21, s0
	s_cbranch_execz .LBB99_255
; %bb.244:                              ;   in Loop: Header=BB99_180 Depth=1
	s_mov_b32 s22, exec_lo
	v_cmpx_neq_f64_e64 0x7ff00000, |v[18:19]|
	s_cbranch_execz .LBB99_254
; %bb.245:                              ;   in Loop: Header=BB99_180 Depth=1
	v_cmp_ngt_f64_e64 s0, 0x41d00000, |v[18:19]|
	v_trig_preop_f64 v[40:41], |v[18:19]|, 0
	v_trig_preop_f64 v[38:39], |v[18:19]|, 1
	v_ldexp_f64 v[42:43], |v[18:19]|, 0xffffff80
	v_trig_preop_f64 v[36:37], |v[18:19]|, 2
	v_and_b32_e32 v51, 0x7fffffff, v19
                                        ; implicit-def: $vgpr50
                                        ; implicit-def: $vgpr14_vgpr15
                                        ; implicit-def: $vgpr20_vgpr21
	s_and_saveexec_b32 s1, s0
	s_delay_alu instid0(SALU_CYCLE_1)
	s_xor_b32 s1, exec_lo, s1
	s_cbranch_execz .LBB99_247
; %bb.246:                              ;   in Loop: Header=BB99_180 Depth=1
	v_cmp_le_f64_e64 vcc_lo, 0x7b000000, |v[18:19]|
	s_delay_alu instid0(VALU_DEP_4) | instskip(NEXT) | instid1(VALU_DEP_1)
	v_dual_cndmask_b32 v15, v51, v43 :: v_dual_cndmask_b32 v14, v18, v42
	v_mul_f64_e32 v[20:21], v[40:41], v[14:15]
	v_mul_f64_e32 v[44:45], v[38:39], v[14:15]
	;; [unrolled: 1-line block ×3, first 2 shown]
	s_delay_alu instid0(VALU_DEP_3) | instskip(NEXT) | instid1(VALU_DEP_3)
	v_fma_f64 v[46:47], v[40:41], v[14:15], -v[20:21]
	v_fma_f64 v[60:61], v[38:39], v[14:15], -v[44:45]
	s_delay_alu instid0(VALU_DEP_3) | instskip(NEXT) | instid1(VALU_DEP_3)
	v_fma_f64 v[14:15], v[36:37], v[14:15], -v[58:59]
	v_add_f64_e32 v[48:49], v[44:45], v[46:47]
	s_delay_alu instid0(VALU_DEP_1) | instskip(SKIP_1) | instid1(VALU_DEP_2)
	v_add_f64_e64 v[52:53], v[48:49], -v[44:45]
	v_add_f64_e32 v[56:57], v[20:21], v[48:49]
	v_add_f64_e64 v[54:55], v[48:49], -v[52:53]
	v_add_f64_e64 v[46:47], v[46:47], -v[52:53]
	s_delay_alu instid0(VALU_DEP_3) | instskip(SKIP_1) | instid1(VALU_DEP_4)
	v_ldexp_f64 v[52:53], v[56:57], -2
	v_add_f64_e64 v[20:21], v[56:57], -v[20:21]
	v_add_f64_e64 v[44:45], v[44:45], -v[54:55]
	v_add_f64_e32 v[54:55], v[58:59], v[60:61]
	s_delay_alu instid0(VALU_DEP_4) | instskip(NEXT) | instid1(VALU_DEP_4)
	v_cmp_neq_f64_e64 vcc_lo, 0x7ff00000, |v[52:53]|
	v_add_f64_e64 v[20:21], v[48:49], -v[20:21]
	s_delay_alu instid0(VALU_DEP_4) | instskip(SKIP_1) | instid1(VALU_DEP_2)
	v_add_f64_e32 v[44:45], v[46:47], v[44:45]
	v_fract_f64_e32 v[46:47], v[52:53]
	v_add_f64_e32 v[48:49], v[54:55], v[44:45]
	s_delay_alu instid0(VALU_DEP_2) | instskip(NEXT) | instid1(VALU_DEP_1)
	v_ldexp_f64 v[46:47], v[46:47], 2
	v_dual_add_f64 v[52:53], v[20:21], v[48:49] :: v_dual_cndmask_b32 v47, 0, v47, vcc_lo
	s_delay_alu instid0(VALU_DEP_2) | instskip(SKIP_1) | instid1(VALU_DEP_2)
	v_cndmask_b32_e32 v46, 0, v46, vcc_lo
	v_add_f64_e64 v[62:63], v[48:49], -v[54:55]
	v_add_f64_e32 v[56:57], v[52:53], v[46:47]
	v_add_f64_e64 v[20:21], v[52:53], -v[20:21]
	s_delay_alu instid0(VALU_DEP_3) | instskip(SKIP_1) | instid1(VALU_DEP_4)
	v_add_f64_e64 v[68:69], v[48:49], -v[62:63]
	v_add_f64_e64 v[44:45], v[44:45], -v[62:63]
	v_cmp_gt_f64_e32 vcc_lo, 0, v[56:57]
	v_add_f64_e64 v[56:57], v[54:55], -v[58:59]
	v_add_f64_e64 v[20:21], v[48:49], -v[20:21]
	v_cndmask_b32_e64 v25, 0, 0x40100000, vcc_lo
	s_delay_alu instid0(VALU_DEP_3) | instskip(SKIP_2) | instid1(VALU_DEP_4)
	v_add_f64_e64 v[66:67], v[54:55], -v[56:57]
	v_add_f64_e64 v[56:57], v[60:61], -v[56:57]
	;; [unrolled: 1-line block ×3, first 2 shown]
	v_add_f64_e32 v[46:47], v[46:47], v[24:25]
	s_delay_alu instid0(VALU_DEP_4) | instskip(NEXT) | instid1(VALU_DEP_3)
	v_add_f64_e64 v[60:61], v[58:59], -v[66:67]
	v_add_f64_e32 v[44:45], v[44:45], v[54:55]
	s_delay_alu instid0(VALU_DEP_3) | instskip(NEXT) | instid1(VALU_DEP_3)
	v_add_f64_e32 v[64:65], v[52:53], v[46:47]
	v_add_f64_e32 v[56:57], v[56:57], v[60:61]
	s_delay_alu instid0(VALU_DEP_2) | instskip(NEXT) | instid1(VALU_DEP_2)
	v_cvt_i32_f64_e32 v25, v[64:65]
	v_add_f64_e32 v[44:45], v[56:57], v[44:45]
	s_delay_alu instid0(VALU_DEP_2) | instskip(NEXT) | instid1(VALU_DEP_2)
	v_cvt_f64_i32_e32 v[62:63], v25
	v_add_f64_e32 v[14:15], v[14:15], v[44:45]
	s_delay_alu instid0(VALU_DEP_2) | instskip(NEXT) | instid1(VALU_DEP_2)
	v_add_f64_e64 v[46:47], v[46:47], -v[62:63]
	v_add_f64_e32 v[14:15], v[20:21], v[14:15]
	s_delay_alu instid0(VALU_DEP_2) | instskip(NEXT) | instid1(VALU_DEP_1)
	v_add_f64_e32 v[54:55], v[52:53], v[46:47]
	v_add_f64_e64 v[44:45], v[54:55], -v[46:47]
	v_cmp_le_f64_e32 vcc_lo, 0.5, v[54:55]
	s_delay_alu instid0(VALU_DEP_2) | instskip(SKIP_2) | instid1(VALU_DEP_3)
	v_add_f64_e64 v[20:21], v[52:53], -v[44:45]
	v_add_co_ci_u32_e64 v50, null, 0, v25, vcc_lo
	v_cndmask_b32_e64 v25, 0, 0x3ff00000, vcc_lo
	v_add_f64_e32 v[14:15], v[14:15], v[20:21]
	s_delay_alu instid0(VALU_DEP_2) | instskip(NEXT) | instid1(VALU_DEP_1)
	v_add_f64_e64 v[20:21], v[54:55], -v[24:25]
	v_add_f64_e32 v[44:45], v[20:21], v[14:15]
	s_delay_alu instid0(VALU_DEP_1) | instskip(SKIP_1) | instid1(VALU_DEP_2)
	v_mul_f64_e32 v[46:47], 0x3ff921fb54442d18, v[44:45]
	v_add_f64_e64 v[20:21], v[44:45], -v[20:21]
	v_fma_f64 v[48:49], v[44:45], s[2:3], -v[46:47]
	s_delay_alu instid0(VALU_DEP_2) | instskip(NEXT) | instid1(VALU_DEP_2)
	v_add_f64_e64 v[14:15], v[14:15], -v[20:21]
	v_fmac_f64_e32 v[48:49], 0x3c91a62633145c07, v[44:45]
	s_delay_alu instid0(VALU_DEP_1) | instskip(NEXT) | instid1(VALU_DEP_1)
	v_fmac_f64_e32 v[48:49], 0x3ff921fb54442d18, v[14:15]
	v_add_f64_e32 v[14:15], v[46:47], v[48:49]
	s_delay_alu instid0(VALU_DEP_1) | instskip(NEXT) | instid1(VALU_DEP_1)
	v_add_f64_e64 v[20:21], v[14:15], -v[46:47]
	v_add_f64_e64 v[20:21], v[48:49], -v[20:21]
.LBB99_247:                             ;   in Loop: Header=BB99_180 Depth=1
	s_or_saveexec_b32 s1, s1
	v_mul_f64_e64 v[44:45], |v[18:19]|, s[4:5]
	s_delay_alu instid0(VALU_DEP_1)
	v_rndne_f64_e32 v[48:49], v[44:45]
	s_xor_b32 exec_lo, exec_lo, s1
	s_cbranch_execz .LBB99_249
; %bb.248:                              ;   in Loop: Header=BB99_180 Depth=1
	s_delay_alu instid0(VALU_DEP_1) | instskip(SKIP_2) | instid1(VALU_DEP_3)
	v_fma_f64 v[14:15], v[48:49], s[6:7], |v[18:19]|
	v_mul_f64_e32 v[20:21], 0xbc91a62633145c00, v[48:49]
	v_cvt_i32_f64_e32 v50, v[48:49]
	v_fmamk_f64 v[52:53], v[48:49], 0xbc91a62633145c00, v[14:15]
	s_delay_alu instid0(VALU_DEP_3) | instskip(NEXT) | instid1(VALU_DEP_1)
	v_add_f64_e32 v[44:45], v[14:15], v[20:21]
	v_add_f64_e64 v[46:47], v[14:15], -v[44:45]
	s_delay_alu instid0(VALU_DEP_3) | instskip(NEXT) | instid1(VALU_DEP_2)
	v_add_f64_e64 v[14:15], v[44:45], -v[52:53]
	v_add_f64_e32 v[44:45], v[46:47], v[20:21]
	v_fmamk_f64 v[20:21], v[48:49], 0x3c91a62633145c00, v[20:21]
	s_delay_alu instid0(VALU_DEP_2) | instskip(NEXT) | instid1(VALU_DEP_1)
	v_add_f64_e32 v[14:15], v[14:15], v[44:45]
	v_add_f64_e64 v[20:21], v[14:15], -v[20:21]
	s_delay_alu instid0(VALU_DEP_1) | instskip(NEXT) | instid1(VALU_DEP_1)
	v_fmac_f64_e32 v[20:21], 0xb97b839a252049c0, v[48:49]
	v_add_f64_e32 v[14:15], v[52:53], v[20:21]
	s_delay_alu instid0(VALU_DEP_1) | instskip(NEXT) | instid1(VALU_DEP_1)
	v_add_f64_e64 v[44:45], v[14:15], -v[52:53]
	v_add_f64_e64 v[20:21], v[20:21], -v[44:45]
.LBB99_249:                             ;   in Loop: Header=BB99_180 Depth=1
	s_or_b32 exec_lo, exec_lo, s1
                                        ; implicit-def: $vgpr52
                                        ; implicit-def: $vgpr44_vgpr45
                                        ; implicit-def: $vgpr46_vgpr47
	s_and_saveexec_b32 s1, s0
	s_delay_alu instid0(SALU_CYCLE_1)
	s_xor_b32 s0, exec_lo, s1
	s_cbranch_execz .LBB99_251
; %bb.250:                              ;   in Loop: Header=BB99_180 Depth=1
	v_cmp_le_f64_e64 vcc_lo, 0x7b000000, |v[18:19]|
	v_dual_cndmask_b32 v43, v51, v43 :: v_dual_cndmask_b32 v42, v18, v42
	s_delay_alu instid0(VALU_DEP_1) | instskip(SKIP_2) | instid1(VALU_DEP_3)
	v_mul_f64_e32 v[44:45], v[40:41], v[42:43]
	v_mul_f64_e32 v[46:47], v[38:39], v[42:43]
	;; [unrolled: 1-line block ×3, first 2 shown]
	v_fma_f64 v[40:41], v[40:41], v[42:43], -v[44:45]
	s_delay_alu instid0(VALU_DEP_3) | instskip(NEXT) | instid1(VALU_DEP_3)
	v_fma_f64 v[38:39], v[38:39], v[42:43], -v[46:47]
	v_fma_f64 v[36:37], v[36:37], v[42:43], -v[58:59]
	s_delay_alu instid0(VALU_DEP_3) | instskip(NEXT) | instid1(VALU_DEP_1)
	v_add_f64_e32 v[48:49], v[46:47], v[40:41]
	v_add_f64_e64 v[52:53], v[48:49], -v[46:47]
	v_add_f64_e32 v[56:57], v[44:45], v[48:49]
	s_delay_alu instid0(VALU_DEP_2) | instskip(SKIP_1) | instid1(VALU_DEP_3)
	v_add_f64_e64 v[54:55], v[48:49], -v[52:53]
	v_add_f64_e64 v[40:41], v[40:41], -v[52:53]
	v_ldexp_f64 v[52:53], v[56:57], -2
	v_add_f64_e64 v[44:45], v[56:57], -v[44:45]
	s_delay_alu instid0(VALU_DEP_4) | instskip(SKIP_1) | instid1(VALU_DEP_4)
	v_add_f64_e64 v[46:47], v[46:47], -v[54:55]
	v_add_f64_e32 v[54:55], v[58:59], v[38:39]
	v_cmp_neq_f64_e64 vcc_lo, 0x7ff00000, |v[52:53]|
	s_delay_alu instid0(VALU_DEP_3) | instskip(SKIP_1) | instid1(VALU_DEP_1)
	v_add_f64_e32 v[40:41], v[40:41], v[46:47]
	v_fract_f64_e32 v[46:47], v[52:53]
	v_ldexp_f64 v[46:47], v[46:47], 2
	s_delay_alu instid0(VALU_DEP_1) | instskip(NEXT) | instid1(VALU_DEP_2)
	v_dual_add_f64 v[44:45], v[48:49], -v[44:45] :: v_dual_cndmask_b32 v47, 0, v47, vcc_lo
	v_dual_add_f64 v[48:49], v[54:55], v[40:41] :: v_dual_cndmask_b32 v46, 0, v46, vcc_lo
	s_delay_alu instid0(VALU_DEP_1) | instskip(SKIP_1) | instid1(VALU_DEP_2)
	v_add_f64_e32 v[52:53], v[44:45], v[48:49]
	v_add_f64_e64 v[60:61], v[48:49], -v[54:55]
	v_add_f64_e32 v[56:57], v[52:53], v[46:47]
	s_delay_alu instid0(VALU_DEP_2) | instskip(SKIP_2) | instid1(VALU_DEP_4)
	v_add_f64_e64 v[66:67], v[48:49], -v[60:61]
	v_add_f64_e64 v[40:41], v[40:41], -v[60:61]
	;; [unrolled: 1-line block ×3, first 2 shown]
	v_cmp_gt_f64_e32 vcc_lo, 0, v[56:57]
	v_add_f64_e64 v[56:57], v[54:55], -v[58:59]
	s_delay_alu instid0(VALU_DEP_3) | instskip(SKIP_1) | instid1(VALU_DEP_3)
	v_add_f64_e64 v[42:43], v[48:49], -v[42:43]
                                        ; implicit-def: $vgpr48_vgpr49
	v_cndmask_b32_e64 v25, 0, 0x40100000, vcc_lo
	v_add_f64_e64 v[64:65], v[54:55], -v[56:57]
	v_add_f64_e64 v[38:39], v[38:39], -v[56:57]
	;; [unrolled: 1-line block ×3, first 2 shown]
	s_delay_alu instid0(VALU_DEP_4) | instskip(NEXT) | instid1(VALU_DEP_4)
	v_add_f64_e32 v[46:47], v[46:47], v[24:25]
	v_add_f64_e64 v[56:57], v[58:59], -v[64:65]
	s_delay_alu instid0(VALU_DEP_3) | instskip(NEXT) | instid1(VALU_DEP_3)
	v_add_f64_e32 v[40:41], v[40:41], v[54:55]
	v_add_f64_e32 v[62:63], v[52:53], v[46:47]
	s_delay_alu instid0(VALU_DEP_3) | instskip(NEXT) | instid1(VALU_DEP_2)
	v_add_f64_e32 v[38:39], v[38:39], v[56:57]
	v_cvt_i32_f64_e32 v25, v[62:63]
	s_delay_alu instid0(VALU_DEP_2) | instskip(NEXT) | instid1(VALU_DEP_2)
	v_add_f64_e32 v[38:39], v[38:39], v[40:41]
	v_cvt_f64_i32_e32 v[60:61], v25
	s_delay_alu instid0(VALU_DEP_2) | instskip(NEXT) | instid1(VALU_DEP_2)
	v_add_f64_e32 v[36:37], v[36:37], v[38:39]
	v_add_f64_e64 v[46:47], v[46:47], -v[60:61]
	s_delay_alu instid0(VALU_DEP_2) | instskip(NEXT) | instid1(VALU_DEP_2)
	v_add_f64_e32 v[36:37], v[42:43], v[36:37]
	v_add_f64_e32 v[40:41], v[52:53], v[46:47]
	s_delay_alu instid0(VALU_DEP_1) | instskip(SKIP_1) | instid1(VALU_DEP_2)
	v_add_f64_e64 v[38:39], v[40:41], -v[46:47]
	v_cmp_le_f64_e32 vcc_lo, 0.5, v[40:41]
	v_add_f64_e64 v[38:39], v[52:53], -v[38:39]
	v_add_co_ci_u32_e64 v52, null, 0, v25, vcc_lo
	v_cndmask_b32_e64 v25, 0, 0x3ff00000, vcc_lo
	s_delay_alu instid0(VALU_DEP_3) | instskip(NEXT) | instid1(VALU_DEP_2)
	v_add_f64_e32 v[36:37], v[36:37], v[38:39]
	v_add_f64_e64 v[38:39], v[40:41], -v[24:25]
	s_delay_alu instid0(VALU_DEP_1) | instskip(NEXT) | instid1(VALU_DEP_1)
	v_add_f64_e32 v[40:41], v[38:39], v[36:37]
	v_mul_f64_e32 v[42:43], 0x3ff921fb54442d18, v[40:41]
	v_add_f64_e64 v[38:39], v[40:41], -v[38:39]
	s_delay_alu instid0(VALU_DEP_2) | instskip(NEXT) | instid1(VALU_DEP_2)
	v_fma_f64 v[46:47], v[40:41], s[2:3], -v[42:43]
	v_add_f64_e64 v[36:37], v[36:37], -v[38:39]
	s_delay_alu instid0(VALU_DEP_2) | instskip(NEXT) | instid1(VALU_DEP_1)
	v_fmac_f64_e32 v[46:47], 0x3c91a62633145c07, v[40:41]
	v_fmac_f64_e32 v[46:47], 0x3ff921fb54442d18, v[36:37]
	s_delay_alu instid0(VALU_DEP_1) | instskip(NEXT) | instid1(VALU_DEP_1)
	v_add_f64_e32 v[44:45], v[42:43], v[46:47]
	v_add_f64_e64 v[36:37], v[44:45], -v[42:43]
	s_delay_alu instid0(VALU_DEP_1)
	v_add_f64_e64 v[46:47], v[46:47], -v[36:37]
	s_and_not1_saveexec_b32 s0, s0
	s_cbranch_execnz .LBB99_252
	s_branch .LBB99_253
.LBB99_251:                             ;   in Loop: Header=BB99_180 Depth=1
	s_and_not1_saveexec_b32 s0, s0
	s_cbranch_execz .LBB99_253
.LBB99_252:                             ;   in Loop: Header=BB99_180 Depth=1
	s_delay_alu instid0(VALU_DEP_1) | instskip(SKIP_2) | instid1(VALU_DEP_2)
	v_fma_f64 v[36:37], v[48:49], s[6:7], |v[18:19]|
	v_mul_f64_e32 v[38:39], 0xbc91a62633145c00, v[48:49]
	v_cvt_i32_f64_e32 v52, v[48:49]
	v_add_f64_e32 v[40:41], v[36:37], v[38:39]
	s_delay_alu instid0(VALU_DEP_1) | instskip(SKIP_1) | instid1(VALU_DEP_1)
	v_add_f64_e64 v[42:43], v[36:37], -v[40:41]
	v_fmamk_f64 v[36:37], v[48:49], 0xbc91a62633145c00, v[36:37]
	v_add_f64_e64 v[40:41], v[40:41], -v[36:37]
	s_delay_alu instid0(VALU_DEP_3) | instskip(SKIP_1) | instid1(VALU_DEP_2)
	v_add_f64_e32 v[42:43], v[42:43], v[38:39]
	v_fmamk_f64 v[38:39], v[48:49], 0x3c91a62633145c00, v[38:39]
	v_add_f64_e32 v[40:41], v[40:41], v[42:43]
	s_delay_alu instid0(VALU_DEP_1) | instskip(NEXT) | instid1(VALU_DEP_1)
	v_add_f64_e64 v[38:39], v[40:41], -v[38:39]
	v_fmac_f64_e32 v[38:39], 0xb97b839a252049c0, v[48:49]
	s_delay_alu instid0(VALU_DEP_1) | instskip(NEXT) | instid1(VALU_DEP_1)
	v_add_f64_e32 v[44:45], v[36:37], v[38:39]
	v_add_f64_e64 v[36:37], v[44:45], -v[36:37]
	s_delay_alu instid0(VALU_DEP_1)
	v_add_f64_e64 v[46:47], v[38:39], -v[36:37]
.LBB99_253:                             ;   in Loop: Header=BB99_180 Depth=1
	s_or_b32 exec_lo, exec_lo, s0
	v_mul_f64_e32 v[36:37], v[14:15], v[14:15]
	v_dual_mul_f64 v[38:39], v[44:45], v[44:45] :: v_dual_bitop2_b32 v25, 1, v50 bitop3:0x40
	v_cmp_class_f64_e64 s0, v[18:19], 0x1f8
	v_and_b32_e32 v18, 1, v52
	v_mul_f64_e32 v[56:57], 0.5, v[20:21]
	v_mul_f64_e32 v[64:65], 0.5, v[46:47]
	v_cmp_eq_u32_e32 vcc_lo, 0, v25
	s_delay_alu instid0(VALU_DEP_4)
	v_cmp_eq_u32_e64 s1, 0, v18
	v_lshlrev_b32_e32 v18, 30, v52
	v_mul_f64_e32 v[40:41], 0.5, v[36:37]
	v_mul_f64_e64 v[58:59], v[14:15], -v[36:37]
	v_fmamk_f64 v[62:63], v[36:37], 0x3de5e0b2f9a43bb8, v[32:33]
	v_mul_f64_e32 v[42:43], 0.5, v[38:39]
	v_mul_f64_e64 v[66:67], v[44:45], -v[38:39]
	v_fmamk_f64 v[68:69], v[38:39], 0x3de5e0b2f9a43bb8, v[32:33]
	s_delay_alu instid0(VALU_DEP_4) | instskip(NEXT) | instid1(VALU_DEP_2)
	v_fmaak_f64 v[62:63], v[36:37], v[62:63], 0x3ec71de3796cde01
	v_fmaak_f64 v[68:69], v[38:39], v[68:69], 0x3ec71de3796cde01
	s_delay_alu instid0(VALU_DEP_2) | instskip(NEXT) | instid1(VALU_DEP_1)
	v_fmaak_f64 v[62:63], v[36:37], v[62:63], 0xbf2a01a019e83e5c
	v_fmaak_f64 v[62:63], v[36:37], v[62:63], 0x3f81111111110bb3
	v_add_f64_e64 v[48:49], -v[40:41], 1.0
	s_delay_alu instid0(VALU_DEP_2) | instskip(SKIP_2) | instid1(VALU_DEP_4)
	v_fmac_f64_e32 v[56:57], v[58:59], v[62:63]
	v_mul_f64_e32 v[62:63], v[36:37], v[36:37]
	v_add_f64_e64 v[54:55], -v[42:43], 1.0
	v_add_f64_e64 v[60:61], -v[48:49], 1.0
	s_delay_alu instid0(VALU_DEP_4) | instskip(NEXT) | instid1(VALU_DEP_3)
	v_fma_f64 v[56:57], v[36:37], v[56:57], -v[20:21]
	v_add_f64_e64 v[70:71], -v[54:55], 1.0
	s_delay_alu instid0(VALU_DEP_3) | instskip(SKIP_1) | instid1(VALU_DEP_4)
	v_add_f64_e64 v[40:41], v[60:61], -v[40:41]
	v_fmaak_f64 v[60:61], v[38:39], v[68:69], 0xbf2a01a019e83e5c
	v_fmac_f64_e32 v[56:57], 0xbfc5555555555555, v[58:59]
	s_delay_alu instid0(VALU_DEP_4) | instskip(SKIP_1) | instid1(VALU_DEP_4)
	v_add_f64_e64 v[42:43], v[70:71], -v[42:43]
	v_mul_f64_e32 v[68:69], v[38:39], v[38:39]
	v_fmaak_f64 v[60:61], v[38:39], v[60:61], 0x3f81111111110bb3
	s_delay_alu instid0(VALU_DEP_1) | instskip(SKIP_2) | instid1(VALU_DEP_2)
	v_fmac_f64_e32 v[64:65], v[66:67], v[60:61]
	v_fmamk_f64 v[60:61], v[36:37], 0xbda907db46cc5e42, v[30:31]
	v_fma_f64 v[20:21], v[14:15], -v[20:21], v[40:41]
	v_fmaak_f64 v[40:41], v[36:37], v[60:61], 0xbe927e4fa17f65f6
	v_add_f64_e64 v[14:15], v[14:15], -v[56:57]
	v_fma_f64 v[42:43], v[44:45], -v[46:47], v[42:43]
	s_delay_alu instid0(VALU_DEP_3) | instskip(NEXT) | instid1(VALU_DEP_1)
	v_fmaak_f64 v[40:41], v[36:37], v[40:41], 0x3efa01a019f4ec90
	v_fmaak_f64 v[40:41], v[36:37], v[40:41], 0xbf56c16c16c16967
	s_delay_alu instid0(VALU_DEP_1) | instskip(NEXT) | instid1(VALU_DEP_1)
	v_fmaak_f64 v[36:37], v[36:37], v[40:41], 0x3fa5555555555555
	v_fmac_f64_e32 v[20:21], v[62:63], v[36:37]
	s_delay_alu instid0(VALU_DEP_1) | instskip(SKIP_2) | instid1(VALU_DEP_1)
	v_add_f64_e32 v[20:21], v[48:49], v[20:21]
	v_fma_f64 v[60:61], v[38:39], v[64:65], -v[46:47]
	v_fmamk_f64 v[64:65], v[38:39], 0xbda907db46cc5e42, v[30:31]
	v_fmaak_f64 v[40:41], v[38:39], v[64:65], 0xbe927e4fa17f65f6
	s_delay_alu instid0(VALU_DEP_1) | instskip(NEXT) | instid1(VALU_DEP_1)
	v_fmaak_f64 v[36:37], v[38:39], v[40:41], 0x3efa01a019f4ec90
	v_fmaak_f64 v[36:37], v[38:39], v[36:37], 0xbf56c16c16c16967
	s_delay_alu instid0(VALU_DEP_1)
	v_fmaak_f64 v[36:37], v[38:39], v[36:37], 0x3fa5555555555555
	v_cndmask_b32_e32 v15, v21, v15, vcc_lo
	v_fmac_f64_e32 v[60:61], 0xbfc5555555555555, v[66:67]
	v_cndmask_b32_e32 v14, v20, v14, vcc_lo
	v_lshlrev_b32_e32 v20, 30, v50
	v_fmac_f64_e32 v[42:43], v[68:69], v[36:37]
	s_delay_alu instid0(VALU_DEP_2) | instskip(NEXT) | instid1(VALU_DEP_1)
	v_dual_cndmask_b32 v14, 0, v14, s0 :: v_dual_bitop2_b32 v19, v20, v19 bitop3:0x14
	v_bitop3_b32 v15, v15, v19, 0x80000000 bitop3:0x78
	s_delay_alu instid0(VALU_DEP_1) | instskip(SKIP_2) | instid1(VALU_DEP_2)
	v_cndmask_b32_e64 v15, 0x7ff80000, v15, s0
	v_add_f64_e64 v[36:37], v[44:45], -v[60:61]
	v_add_f64_e32 v[38:39], v[54:55], v[42:43]
	v_xor_b32_e32 v25, 0x80000000, v37
	s_delay_alu instid0(VALU_DEP_1) | instskip(NEXT) | instid1(VALU_DEP_1)
	v_dual_cndmask_b32 v20, v36, v38, s1 :: v_dual_cndmask_b32 v21, v25, v39, s1
	v_bitop3_b32 v19, v21, v18, 0x80000000 bitop3:0x78
	s_delay_alu instid0(VALU_DEP_2) | instskip(NEXT) | instid1(VALU_DEP_2)
	v_cndmask_b32_e64 v18, 0, v20, s0
	v_cndmask_b32_e64 v19, 0x7ff80000, v19, s0
	s_delay_alu instid0(VALU_DEP_1)
	v_mul_f64_e32 v[18:19], v[14:15], v[18:19]
.LBB99_254:                             ;   in Loop: Header=BB99_180 Depth=1
	s_or_b32 exec_lo, exec_lo, s22
	s_delay_alu instid0(VALU_DEP_1) | instskip(SKIP_1) | instid1(VALU_DEP_2)
	v_bfi_b32 v25, 0x7fffffff, 0, v19
	v_add_nc_u32_e32 v17, -2.0, v17
	v_mov_b64_e32 v[14:15], v[24:25]
.LBB99_255:                             ;   in Loop: Header=BB99_180 Depth=1
	s_or_b32 exec_lo, exec_lo, s21
.LBB99_256:                             ;   in Loop: Header=BB99_180 Depth=1
	s_delay_alu instid0(SALU_CYCLE_1) | instskip(SKIP_4) | instid1(VALU_DEP_2)
	s_or_b32 exec_lo, exec_lo, s20
	s_wait_loadcnt 0x0
	v_xor_b32_e32 v21, 0x80000000, v13
	v_mov_b32_e32 v20, v12
	s_mov_b32 s0, exec_lo
	v_and_b32_e32 v25, 0x7fffffff, v21
	s_delay_alu instid0(VALU_DEP_1)
	v_cmpx_gt_u32_e32 0x7ff00000, v25
	s_xor_b32 s1, exec_lo, s0
	s_cbranch_execz .LBB99_278
; %bb.257:                              ;   in Loop: Header=BB99_180 Depth=1
	v_cmp_class_f64_e64 s0, v[10:11], 0x1f8
                                        ; implicit-def: $vgpr18_vgpr19
	s_and_saveexec_b32 s20, s0
	s_delay_alu instid0(SALU_CYCLE_1)
	s_xor_b32 s20, exec_lo, s20
	s_cbranch_execz .LBB99_275
; %bb.258:                              ;   in Loop: Header=BB99_180 Depth=1
                                        ; implicit-def: $vgpr18_vgpr19
	s_mov_b32 s0, exec_lo
	v_cmpx_gt_u32_e32 0x40360000, v25
	s_xor_b32 s21, exec_lo, s0
	s_cbranch_execz .LBB99_264
; %bb.259:                              ;   in Loop: Header=BB99_180 Depth=1
	v_cmp_ngt_f64_e64 s0, 0x41d00000, |v[10:11]|
                                        ; implicit-def: $vgpr36
                                        ; implicit-def: $vgpr18_vgpr19
                                        ; implicit-def: $vgpr20_vgpr21
	s_and_saveexec_b32 s22, s0
	s_delay_alu instid0(SALU_CYCLE_1)
	s_xor_b32 s0, exec_lo, s22
	s_cbranch_execz .LBB99_261
; %bb.260:                              ;   in Loop: Header=BB99_180 Depth=1
	v_ldexp_f64 v[18:19], |v[10:11]|, 0xffffff80
	v_cmp_le_f64_e64 vcc_lo, 0x7b000000, |v[10:11]|
	v_trig_preop_f64 v[20:21], |v[10:11]|, 0
	v_and_b32_e32 v25, 0x7fffffff, v11
	v_trig_preop_f64 v[36:37], |v[10:11]|, 1
	v_trig_preop_f64 v[46:47], |v[10:11]|, 2
	s_delay_alu instid0(VALU_DEP_3) | instskip(NEXT) | instid1(VALU_DEP_1)
	v_dual_cndmask_b32 v19, v25, v19 :: v_dual_cndmask_b32 v18, v10, v18
	v_mul_f64_e32 v[38:39], v[20:21], v[18:19]
	s_delay_alu instid0(VALU_DEP_4) | instskip(NEXT) | instid1(VALU_DEP_4)
	v_mul_f64_e32 v[40:41], v[36:37], v[18:19]
	v_mul_f64_e32 v[52:53], v[46:47], v[18:19]
	s_delay_alu instid0(VALU_DEP_3) | instskip(NEXT) | instid1(VALU_DEP_3)
	v_fma_f64 v[20:21], v[20:21], v[18:19], -v[38:39]
	v_fma_f64 v[36:37], v[36:37], v[18:19], -v[40:41]
	s_delay_alu instid0(VALU_DEP_3) | instskip(NEXT) | instid1(VALU_DEP_3)
	v_fma_f64 v[18:19], v[46:47], v[18:19], -v[52:53]
	v_add_f64_e32 v[42:43], v[40:41], v[20:21]
	s_delay_alu instid0(VALU_DEP_1) | instskip(SKIP_1) | instid1(VALU_DEP_2)
	v_add_f64_e64 v[44:45], v[42:43], -v[40:41]
	v_add_f64_e32 v[50:51], v[38:39], v[42:43]
	v_add_f64_e64 v[48:49], v[42:43], -v[44:45]
	v_add_f64_e64 v[20:21], v[20:21], -v[44:45]
	s_delay_alu instid0(VALU_DEP_3) | instskip(NEXT) | instid1(VALU_DEP_3)
	v_ldexp_f64 v[44:45], v[50:51], -2
	v_add_f64_e64 v[40:41], v[40:41], -v[48:49]
	v_add_f64_e32 v[48:49], v[52:53], v[36:37]
	s_delay_alu instid0(VALU_DEP_3) | instskip(NEXT) | instid1(VALU_DEP_3)
	v_cmp_neq_f64_e64 vcc_lo, 0x7ff00000, |v[44:45]|
	v_add_f64_e32 v[20:21], v[20:21], v[40:41]
	v_fract_f64_e32 v[40:41], v[44:45]
	s_delay_alu instid0(VALU_DEP_1) | instskip(NEXT) | instid1(VALU_DEP_1)
	v_ldexp_f64 v[40:41], v[40:41], 2
	v_dual_add_f64 v[38:39], v[50:51], -v[38:39] :: v_dual_cndmask_b32 v41, 0, v41, vcc_lo
	s_delay_alu instid0(VALU_DEP_1) | instskip(SKIP_1) | instid1(VALU_DEP_1)
	v_dual_add_f64 v[38:39], v[42:43], -v[38:39] :: v_dual_cndmask_b32 v40, 0, v40, vcc_lo
	v_add_f64_e32 v[42:43], v[48:49], v[20:21]
	v_add_f64_e32 v[44:45], v[38:39], v[42:43]
	v_add_f64_e64 v[54:55], v[42:43], -v[48:49]
	s_delay_alu instid0(VALU_DEP_2) | instskip(NEXT) | instid1(VALU_DEP_2)
	v_add_f64_e32 v[50:51], v[44:45], v[40:41]
	v_add_f64_e64 v[60:61], v[42:43], -v[54:55]
	v_add_f64_e64 v[20:21], v[20:21], -v[54:55]
	;; [unrolled: 1-line block ×3, first 2 shown]
	s_delay_alu instid0(VALU_DEP_4) | instskip(SKIP_2) | instid1(VALU_DEP_2)
	v_cmp_gt_f64_e32 vcc_lo, 0, v[50:51]
	v_add_f64_e64 v[50:51], v[48:49], -v[52:53]
	v_cndmask_b32_e64 v25, 0, 0x40100000, vcc_lo
	v_add_f64_e64 v[58:59], v[48:49], -v[50:51]
	v_add_f64_e64 v[36:37], v[36:37], -v[50:51]
	;; [unrolled: 1-line block ×3, first 2 shown]
	s_delay_alu instid0(VALU_DEP_4) | instskip(NEXT) | instid1(VALU_DEP_4)
	v_add_f64_e32 v[40:41], v[40:41], v[24:25]
	v_add_f64_e64 v[50:51], v[52:53], -v[58:59]
	s_delay_alu instid0(VALU_DEP_3) | instskip(NEXT) | instid1(VALU_DEP_3)
	v_add_f64_e32 v[20:21], v[20:21], v[48:49]
	v_add_f64_e32 v[56:57], v[44:45], v[40:41]
	s_delay_alu instid0(VALU_DEP_3) | instskip(NEXT) | instid1(VALU_DEP_2)
	v_add_f64_e32 v[36:37], v[36:37], v[50:51]
	v_cvt_i32_f64_e32 v25, v[56:57]
	s_delay_alu instid0(VALU_DEP_2) | instskip(SKIP_1) | instid1(VALU_DEP_3)
	v_add_f64_e32 v[20:21], v[36:37], v[20:21]
	v_add_f64_e64 v[36:37], v[42:43], -v[38:39]
	v_cvt_f64_i32_e32 v[54:55], v25
	s_delay_alu instid0(VALU_DEP_3) | instskip(NEXT) | instid1(VALU_DEP_2)
	v_add_f64_e32 v[18:19], v[18:19], v[20:21]
	v_add_f64_e64 v[40:41], v[40:41], -v[54:55]
	s_delay_alu instid0(VALU_DEP_2) | instskip(NEXT) | instid1(VALU_DEP_2)
	v_add_f64_e32 v[18:19], v[36:37], v[18:19]
	v_add_f64_e32 v[46:47], v[44:45], v[40:41]
	s_delay_alu instid0(VALU_DEP_1) | instskip(SKIP_1) | instid1(VALU_DEP_2)
	v_add_f64_e64 v[20:21], v[46:47], -v[40:41]
	v_cmp_le_f64_e32 vcc_lo, 0.5, v[46:47]
	v_add_f64_e64 v[20:21], v[44:45], -v[20:21]
	v_add_co_ci_u32_e64 v36, null, 0, v25, vcc_lo
	v_cndmask_b32_e64 v25, 0, 0x3ff00000, vcc_lo
	s_delay_alu instid0(VALU_DEP_3) | instskip(NEXT) | instid1(VALU_DEP_2)
	v_add_f64_e32 v[18:19], v[18:19], v[20:21]
	v_add_f64_e64 v[20:21], v[46:47], -v[24:25]
	s_delay_alu instid0(VALU_DEP_1) | instskip(NEXT) | instid1(VALU_DEP_1)
	v_add_f64_e32 v[38:39], v[20:21], v[18:19]
	v_mul_f64_e32 v[40:41], 0x3ff921fb54442d18, v[38:39]
	v_add_f64_e64 v[20:21], v[38:39], -v[20:21]
	s_delay_alu instid0(VALU_DEP_2) | instskip(NEXT) | instid1(VALU_DEP_2)
	v_fma_f64 v[42:43], v[38:39], s[2:3], -v[40:41]
	v_add_f64_e64 v[18:19], v[18:19], -v[20:21]
	s_delay_alu instid0(VALU_DEP_2) | instskip(NEXT) | instid1(VALU_DEP_1)
	v_fmac_f64_e32 v[42:43], 0x3c91a62633145c07, v[38:39]
	v_fmac_f64_e32 v[42:43], 0x3ff921fb54442d18, v[18:19]
	s_delay_alu instid0(VALU_DEP_1) | instskip(NEXT) | instid1(VALU_DEP_1)
	v_add_f64_e32 v[18:19], v[40:41], v[42:43]
	v_add_f64_e64 v[20:21], v[18:19], -v[40:41]
	s_delay_alu instid0(VALU_DEP_1)
	v_add_f64_e64 v[20:21], v[42:43], -v[20:21]
.LBB99_261:                             ;   in Loop: Header=BB99_180 Depth=1
	s_and_not1_saveexec_b32 s0, s0
	s_cbranch_execz .LBB99_263
; %bb.262:                              ;   in Loop: Header=BB99_180 Depth=1
	v_mul_f64_e64 v[18:19], |v[10:11]|, s[4:5]
	s_delay_alu instid0(VALU_DEP_1) | instskip(NEXT) | instid1(VALU_DEP_1)
	v_rndne_f64_e32 v[36:37], v[18:19]
	v_fma_f64 v[18:19], v[36:37], s[6:7], |v[10:11]|
	v_mul_f64_e32 v[20:21], 0xbc91a62633145c00, v[36:37]
	s_delay_alu instid0(VALU_DEP_2) | instskip(NEXT) | instid1(VALU_DEP_2)
	v_fmamk_f64 v[42:43], v[36:37], 0xbc91a62633145c00, v[18:19]
	v_add_f64_e32 v[38:39], v[18:19], v[20:21]
	s_delay_alu instid0(VALU_DEP_1) | instskip(NEXT) | instid1(VALU_DEP_3)
	v_add_f64_e64 v[40:41], v[18:19], -v[38:39]
	v_add_f64_e64 v[18:19], v[38:39], -v[42:43]
	s_delay_alu instid0(VALU_DEP_2) | instskip(SKIP_1) | instid1(VALU_DEP_2)
	v_add_f64_e32 v[38:39], v[40:41], v[20:21]
	v_fmamk_f64 v[20:21], v[36:37], 0x3c91a62633145c00, v[20:21]
	v_add_f64_e32 v[18:19], v[18:19], v[38:39]
	s_delay_alu instid0(VALU_DEP_1) | instskip(NEXT) | instid1(VALU_DEP_1)
	v_add_f64_e64 v[20:21], v[18:19], -v[20:21]
	v_fmac_f64_e32 v[20:21], 0xb97b839a252049c0, v[36:37]
	v_cvt_i32_f64_e32 v36, v[36:37]
	s_delay_alu instid0(VALU_DEP_2) | instskip(NEXT) | instid1(VALU_DEP_1)
	v_add_f64_e32 v[18:19], v[42:43], v[20:21]
	v_add_f64_e64 v[38:39], v[18:19], -v[42:43]
	s_delay_alu instid0(VALU_DEP_1)
	v_add_f64_e64 v[20:21], v[20:21], -v[38:39]
.LBB99_263:                             ;   in Loop: Header=BB99_180 Depth=1
	s_or_b32 exec_lo, exec_lo, s0
	v_add_f64_e64 v[38:39], |v[12:13]|, s[8:9]
	v_cmp_nge_f64_e64 vcc_lo, |v[12:13]|, s[10:11]
	v_and_b32_e32 v37, 0x7fffffff, v13
	v_mul_f64_e32 v[56:57], v[18:19], v[18:19]
	v_add_f64_e32 v[58:59], v[20:21], v[20:21]
	v_add_f64_e64 v[40:41], v[38:39], -|v[12:13]|
	s_delay_alu instid0(VALU_DEP_3) | instskip(NEXT) | instid1(VALU_DEP_2)
	v_fma_f64 v[60:61], v[18:19], v[18:19], -v[56:57]
	v_add_f64_e64 v[42:43], v[40:41], -v[38:39]
	v_add_f64_e32 v[40:41], 0x3fe62e42fefa39ef, v[40:41]
	s_delay_alu instid0(VALU_DEP_3) | instskip(NEXT) | instid1(VALU_DEP_3)
	v_fmac_f64_e32 v[60:61], v[18:19], v[58:59]
	v_add_f64_e64 v[42:43], |v[12:13]|, v[42:43]
	s_delay_alu instid0(VALU_DEP_2) | instskip(NEXT) | instid1(VALU_DEP_2)
	v_add_f64_e32 v[56:57], v[56:57], v[60:61]
	v_add_f64_e64 v[40:41], v[42:43], -v[40:41]
	s_delay_alu instid0(VALU_DEP_2) | instskip(NEXT) | instid1(VALU_DEP_1)
	v_fmamk_f64 v[60:61], v[56:57], 0x3ef5e089c751c08c, v[26:27]
	v_fmaak_f64 v[60:61], v[56:57], v[60:61], 0x3f17746f90a8aae0
	s_delay_alu instid0(VALU_DEP_1) | instskip(NEXT) | instid1(VALU_DEP_4)
	v_fmaak_f64 v[60:61], v[56:57], v[60:61], 0xbefbb44da6fbf144
	v_add_f64_e32 v[40:41], 0xbc7abc9e3b39803f, v[40:41]
	s_delay_alu instid0(VALU_DEP_1) | instskip(NEXT) | instid1(VALU_DEP_1)
	v_add_f64_e32 v[42:43], v[38:39], v[40:41]
	v_mul_f64_e32 v[44:45], 0x3ff71547652b82fe, v[42:43]
	v_add_f64_e64 v[38:39], v[38:39], -v[42:43]
	s_delay_alu instid0(VALU_DEP_2) | instskip(NEXT) | instid1(VALU_DEP_2)
	v_rndne_f64_e32 v[44:45], v[44:45]
	v_add_f64_e32 v[38:39], v[40:41], v[38:39]
	s_delay_alu instid0(VALU_DEP_2) | instskip(SKIP_2) | instid1(VALU_DEP_3)
	v_fmac_f64_e32 v[42:43], 0xbfe62e42fefa3000, v[44:45]
	v_mul_f64_e32 v[40:41], 0xbd53de6af278e000, v[44:45]
	v_cvt_i32_f64_e32 v10, v[44:45]
	v_add_f64_e32 v[46:47], v[38:39], v[42:43]
	s_delay_alu instid0(VALU_DEP_1) | instskip(SKIP_1) | instid1(VALU_DEP_2)
	v_add_f64_e32 v[48:49], v[46:47], v[40:41]
	v_add_f64_e64 v[42:43], v[42:43], -v[46:47]
	v_add_f64_e64 v[46:47], v[46:47], -v[48:49]
	s_delay_alu instid0(VALU_DEP_2) | instskip(NEXT) | instid1(VALU_DEP_2)
	v_add_f64_e32 v[38:39], v[38:39], v[42:43]
	v_add_f64_e32 v[40:41], v[46:47], v[40:41]
	s_delay_alu instid0(VALU_DEP_1) | instskip(SKIP_1) | instid1(VALU_DEP_2)
	v_add_f64_e32 v[38:39], v[38:39], v[40:41]
	v_mul_f64_e32 v[40:41], 0xbac9cc01f97b57a0, v[44:45]
	v_add_f64_e32 v[42:43], v[48:49], v[38:39]
	s_delay_alu instid0(VALU_DEP_1) | instskip(SKIP_1) | instid1(VALU_DEP_2)
	v_add_f64_e32 v[46:47], v[42:43], v[40:41]
	v_add_f64_e64 v[48:49], v[48:49], -v[42:43]
	v_add_f64_e64 v[42:43], v[42:43], -v[46:47]
	s_delay_alu instid0(VALU_DEP_2) | instskip(NEXT) | instid1(VALU_DEP_2)
	v_add_f64_e32 v[38:39], v[38:39], v[48:49]
	v_add_f64_e32 v[40:41], v[42:43], v[40:41]
	s_delay_alu instid0(VALU_DEP_1) | instskip(NEXT) | instid1(VALU_DEP_1)
	v_add_f64_e32 v[38:39], v[38:39], v[40:41]
	v_add_f64_e32 v[40:41], v[46:47], v[38:39]
	s_delay_alu instid0(VALU_DEP_1) | instskip(SKIP_1) | instid1(VALU_DEP_2)
	v_add_f64_e64 v[42:43], v[46:47], -v[40:41]
	v_mul_f64_e32 v[46:47], v[40:41], v[40:41]
	v_add_f64_e32 v[38:39], v[38:39], v[42:43]
	s_delay_alu instid0(VALU_DEP_2) | instskip(NEXT) | instid1(VALU_DEP_2)
	v_fma_f64 v[42:43], v[40:41], v[40:41], -v[46:47]
	v_add_f64_e32 v[48:49], v[38:39], v[38:39]
	s_delay_alu instid0(VALU_DEP_1) | instskip(SKIP_1) | instid1(VALU_DEP_1)
	v_fmac_f64_e32 v[42:43], v[40:41], v[48:49]
	v_fmamk_f64 v[48:49], v[40:41], 0x3e5ade156a5dcb37, v[28:29]
	v_fmaak_f64 v[48:49], v[40:41], v[48:49], 0x3ec71dee623fde64
	s_delay_alu instid0(VALU_DEP_1) | instskip(NEXT) | instid1(VALU_DEP_1)
	v_fmaak_f64 v[48:49], v[40:41], v[48:49], 0x3efa01997c89e6b0
	v_fmaak_f64 v[48:49], v[40:41], v[48:49], 0x3f2a01a014761f6e
	s_delay_alu instid0(VALU_DEP_1) | instskip(SKIP_1) | instid1(VALU_DEP_2)
	v_fmaak_f64 v[48:49], v[40:41], v[48:49], 0x3f56c16c1852b7b0
	v_add_f64_e32 v[50:51], v[46:47], v[42:43]
	v_fmaak_f64 v[48:49], v[40:41], v[48:49], 0x3f81111111122322
	s_delay_alu instid0(VALU_DEP_1) | instskip(NEXT) | instid1(VALU_DEP_1)
	v_fmaak_f64 v[48:49], v[40:41], v[48:49], 0x3fa55555555502a1
	v_fmaak_f64 v[48:49], v[40:41], v[48:49], 0x3fc5555555555511
	s_delay_alu instid0(VALU_DEP_1) | instskip(SKIP_1) | instid1(VALU_DEP_2)
	v_fmaak_f64 v[48:49], v[40:41], v[48:49], 0x3fe000000000000b
	v_add_f64_e64 v[46:47], v[50:51], -v[46:47]
	v_mul_f64_e32 v[52:53], v[50:51], v[48:49]
	s_delay_alu instid0(VALU_DEP_2) | instskip(NEXT) | instid1(VALU_DEP_2)
	v_add_f64_e64 v[42:43], v[42:43], -v[46:47]
	v_fma_f64 v[46:47], v[50:51], v[48:49], -v[52:53]
	s_delay_alu instid0(VALU_DEP_1) | instskip(NEXT) | instid1(VALU_DEP_1)
	v_fmac_f64_e32 v[46:47], v[42:43], v[48:49]
	v_add_f64_e32 v[42:43], v[52:53], v[46:47]
	s_delay_alu instid0(VALU_DEP_1) | instskip(SKIP_1) | instid1(VALU_DEP_2)
	v_add_f64_e32 v[48:49], v[40:41], v[42:43]
	v_add_f64_e64 v[50:51], v[42:43], -v[52:53]
	v_add_f64_e64 v[40:41], v[48:49], -v[40:41]
	s_delay_alu instid0(VALU_DEP_2) | instskip(NEXT) | instid1(VALU_DEP_2)
	v_add_f64_e64 v[46:47], v[46:47], -v[50:51]
	v_add_f64_e64 v[40:41], v[42:43], -v[40:41]
	s_delay_alu instid0(VALU_DEP_2) | instskip(NEXT) | instid1(VALU_DEP_1)
	v_add_f64_e32 v[38:39], v[38:39], v[46:47]
	v_add_f64_e32 v[38:39], v[38:39], v[40:41]
	s_delay_alu instid0(VALU_DEP_1) | instskip(NEXT) | instid1(VALU_DEP_1)
	v_add_f64_e32 v[40:41], v[48:49], v[38:39]
	v_add_f64_e32 v[42:43], 1.0, v[40:41]
	v_add_f64_e64 v[46:47], v[40:41], -v[48:49]
	s_delay_alu instid0(VALU_DEP_2) | instskip(NEXT) | instid1(VALU_DEP_2)
	v_add_f64_e32 v[48:49], -1.0, v[42:43]
	v_add_f64_e64 v[38:39], v[38:39], -v[46:47]
	s_delay_alu instid0(VALU_DEP_2) | instskip(NEXT) | instid1(VALU_DEP_1)
	v_add_f64_e64 v[40:41], v[40:41], -v[48:49]
	v_add_f64_e32 v[38:39], v[38:39], v[40:41]
	s_delay_alu instid0(VALU_DEP_1) | instskip(NEXT) | instid1(VALU_DEP_1)
	v_add_f64_e32 v[40:41], v[42:43], v[38:39]
	v_ldexp_f64 v[44:45], v[40:41], v10
	v_add_f64_e64 v[40:41], v[40:41], -v[42:43]
	s_delay_alu instid0(VALU_DEP_2) | instskip(NEXT) | instid1(VALU_DEP_1)
	v_rcp_f64_e32 v[46:47], v[44:45]
	v_add_f64_e64 v[38:39], v[38:39], -v[40:41]
	s_delay_alu instid0(VALU_DEP_1) | instskip(NEXT) | instid1(TRANS32_DEP_1)
	v_ldexp_f64 v[38:39], v[38:39], v10
	v_fma_f64 v[48:49], -v[44:45], v[46:47], 1.0
	s_delay_alu instid0(VALU_DEP_1) | instskip(NEXT) | instid1(VALU_DEP_1)
	v_fmac_f64_e32 v[46:47], v[48:49], v[46:47]
	v_fma_f64 v[48:49], -v[44:45], v[46:47], 1.0
	s_delay_alu instid0(VALU_DEP_1) | instskip(NEXT) | instid1(VALU_DEP_1)
	v_fmac_f64_e32 v[46:47], v[48:49], v[46:47]
	v_mul_f64_e32 v[40:41], v[44:45], v[46:47]
	s_delay_alu instid0(VALU_DEP_1) | instskip(NEXT) | instid1(VALU_DEP_1)
	v_fma_f64 v[42:43], v[46:47], v[44:45], -v[40:41]
	v_fmac_f64_e32 v[42:43], v[46:47], v[38:39]
	s_delay_alu instid0(VALU_DEP_1) | instskip(NEXT) | instid1(VALU_DEP_1)
	v_add_f64_e32 v[48:49], v[40:41], v[42:43]
	v_add_f64_e64 v[50:51], -v[48:49], 1.0
	v_add_f64_e64 v[40:41], v[48:49], -v[40:41]
	s_delay_alu instid0(VALU_DEP_2) | instskip(NEXT) | instid1(VALU_DEP_2)
	v_add_f64_e64 v[52:53], -v[50:51], 1.0
	v_add_f64_e64 v[40:41], v[40:41], -v[42:43]
	s_delay_alu instid0(VALU_DEP_2) | instskip(NEXT) | instid1(VALU_DEP_1)
	v_add_f64_e64 v[42:43], v[52:53], -v[48:49]
	v_add_f64_e32 v[40:41], v[40:41], v[42:43]
	s_delay_alu instid0(VALU_DEP_1) | instskip(NEXT) | instid1(VALU_DEP_1)
	v_add_f64_e32 v[42:43], v[50:51], v[40:41]
	v_mul_f64_e32 v[48:49], v[46:47], v[42:43]
	v_add_f64_e64 v[50:51], v[50:51], -v[42:43]
	s_delay_alu instid0(VALU_DEP_2) | instskip(NEXT) | instid1(VALU_DEP_2)
	v_mul_f64_e32 v[52:53], v[44:45], v[48:49]
	v_add_f64_e32 v[40:41], v[40:41], v[50:51]
	s_delay_alu instid0(VALU_DEP_2) | instskip(NEXT) | instid1(VALU_DEP_1)
	v_fma_f64 v[54:55], v[48:49], v[44:45], -v[52:53]
	v_fmac_f64_e32 v[54:55], v[48:49], v[38:39]
	s_delay_alu instid0(VALU_DEP_1) | instskip(NEXT) | instid1(VALU_DEP_1)
	v_add_f64_e32 v[62:63], v[52:53], v[54:55]
	v_add_f64_e64 v[58:59], v[42:43], -v[62:63]
	v_add_f64_e64 v[50:51], v[62:63], -v[52:53]
	v_fmaak_f64 v[52:53], v[56:57], v[60:61], 0x3f21e634a7943acf
	s_delay_alu instid0(VALU_DEP_1) | instskip(NEXT) | instid1(VALU_DEP_1)
	v_fmaak_f64 v[52:53], v[56:57], v[52:53], 0x3f2d250fdeb68feb
	v_fmaak_f64 v[52:53], v[56:57], v[52:53], 0x3f437fd9b58c4d95
	s_delay_alu instid0(VALU_DEP_1) | instskip(NEXT) | instid1(VALU_DEP_1)
	v_fmaak_f64 v[52:53], v[56:57], v[52:53], 0x3f57d5af15120e2c
	v_fmaak_f64 v[52:53], v[56:57], v[52:53], 0x3f6d6d93e09491df
	v_add_f64_e64 v[42:43], v[42:43], -v[58:59]
	v_add_f64_e64 v[50:51], v[50:51], -v[54:55]
	s_delay_alu instid0(VALU_DEP_2) | instskip(NEXT) | instid1(VALU_DEP_1)
	v_add_f64_e64 v[42:43], v[42:43], -v[62:63]
	v_add_f64_e32 v[40:41], v[40:41], v[42:43]
	v_fmaak_f64 v[42:43], v[56:57], v[52:53], 0x3f8226e12033784d
	v_add_f64_e32 v[52:53], v[46:47], v[48:49]
	s_delay_alu instid0(VALU_DEP_2) | instskip(NEXT) | instid1(VALU_DEP_1)
	v_fmaak_f64 v[42:43], v[56:57], v[42:43], 0x3f9664f49ac36ae2
	v_fmaak_f64 v[42:43], v[56:57], v[42:43], 0x3faba1ba1b451c21
	s_delay_alu instid0(VALU_DEP_1) | instskip(NEXT) | instid1(VALU_DEP_1)
	v_fmaak_f64 v[42:43], v[56:57], v[42:43], 0x3fc11111111185b7
	v_fmaak_f64 v[42:43], v[56:57], v[42:43], 0x3fd55555555554ee
	v_add_f64_e32 v[40:41], v[50:51], v[40:41]
	v_add_f64_e64 v[50:51], v[52:53], -v[46:47]
	s_delay_alu instid0(VALU_DEP_3) | instskip(NEXT) | instid1(VALU_DEP_3)
	v_mul_f64_e32 v[42:43], v[56:57], v[42:43]
	v_add_f64_e32 v[40:41], v[58:59], v[40:41]
	s_delay_alu instid0(VALU_DEP_3) | instskip(NEXT) | instid1(VALU_DEP_3)
	v_add_f64_e64 v[48:49], v[48:49], -v[50:51]
	v_mul_f64_e32 v[54:55], v[18:19], v[42:43]
	s_delay_alu instid0(VALU_DEP_3) | instskip(NEXT) | instid1(VALU_DEP_2)
	v_mul_f64_e32 v[40:41], v[46:47], v[40:41]
	v_add_f64_e32 v[46:47], v[18:19], v[54:55]
	v_fma_f64 v[42:43], v[18:19], v[42:43], -v[54:55]
	s_delay_alu instid0(VALU_DEP_3) | instskip(NEXT) | instid1(VALU_DEP_3)
	v_add_f64_e32 v[40:41], v[48:49], v[40:41]
	v_add_f64_e64 v[18:19], v[46:47], -v[18:19]
	s_delay_alu instid0(VALU_DEP_3) | instskip(NEXT) | instid1(VALU_DEP_3)
	v_add_f64_e32 v[20:21], v[20:21], v[42:43]
	v_add_f64_e32 v[48:49], v[52:53], v[40:41]
	s_delay_alu instid0(VALU_DEP_3) | instskip(NEXT) | instid1(VALU_DEP_2)
	v_add_f64_e64 v[18:19], v[54:55], -v[18:19]
	v_ldexp_f64 v[42:43], v[48:49], -2
	v_add_f64_e64 v[48:49], v[48:49], -v[52:53]
	s_delay_alu instid0(VALU_DEP_3) | instskip(NEXT) | instid1(VALU_DEP_3)
	v_add_f64_e32 v[18:19], v[20:21], v[18:19]
	v_add_f64_e64 v[20:21], v[44:45], -v[42:43]
	s_delay_alu instid0(VALU_DEP_3) | instskip(NEXT) | instid1(VALU_DEP_3)
	v_add_f64_e64 v[40:41], v[40:41], -v[48:49]
	v_add_f64_e32 v[50:51], v[46:47], v[18:19]
	s_delay_alu instid0(VALU_DEP_3) | instskip(NEXT) | instid1(VALU_DEP_3)
	v_add_f64_e64 v[44:45], v[44:45], -v[20:21]
	v_ldexp_f64 v[40:41], v[40:41], -2
	s_delay_alu instid0(VALU_DEP_3) | instskip(NEXT) | instid1(VALU_DEP_2)
	v_rcp_f64_e32 v[52:53], v[50:51]
	v_add_f64_e64 v[42:43], v[44:45], -v[42:43]
	s_delay_alu instid0(TRANS32_DEP_1) | instskip(NEXT) | instid1(VALU_DEP_2)
	v_fma_f64 v[44:45], -v[50:51], v[52:53], 1.0
	v_add_f64_e32 v[38:39], v[38:39], v[42:43]
	s_delay_alu instid0(VALU_DEP_2) | instskip(NEXT) | instid1(VALU_DEP_2)
	v_fmac_f64_e32 v[52:53], v[44:45], v[52:53]
	v_add_f64_e64 v[38:39], v[38:39], -v[40:41]
	s_delay_alu instid0(VALU_DEP_2) | instskip(NEXT) | instid1(VALU_DEP_2)
	v_fma_f64 v[40:41], -v[50:51], v[52:53], 1.0
	v_add_f64_e32 v[20:21], v[20:21], v[38:39]
	s_delay_alu instid0(VALU_DEP_2) | instskip(NEXT) | instid1(VALU_DEP_2)
	v_fmac_f64_e32 v[52:53], v[40:41], v[52:53]
	v_cndmask_b32_e32 v10, 0x7ff00000, v21, vcc_lo
	s_delay_alu instid0(VALU_DEP_3) | instskip(SKIP_4) | instid1(VALU_DEP_4)
	v_cndmask_b32_e32 v25, 0, v20, vcc_lo
	v_cmp_gt_f64_e64 vcc_lo, 0x3e400000, |v[12:13]|
	v_xor_b32_e32 v13, 0x80000000, v13
	v_add_f64_e64 v[20:21], v[50:51], -v[46:47]
	v_mul_f64_e32 v[38:39], v[50:51], v[52:53]
	v_dual_cndmask_b32 v10, v10, v37, vcc_lo :: v_dual_cndmask_b32 v12, v25, v12, vcc_lo
	s_delay_alu instid0(VALU_DEP_3) | instskip(NEXT) | instid1(VALU_DEP_2)
	v_add_f64_e64 v[18:19], v[18:19], -v[20:21]
	v_bfi_b32 v13, 0x7fffffff, v10, v13
	s_delay_alu instid0(VALU_DEP_4) | instskip(NEXT) | instid1(VALU_DEP_2)
	v_fma_f64 v[20:21], v[52:53], v[50:51], -v[38:39]
	v_fma_f64 v[40:41], v[12:13], v[12:13], 1.0
	s_delay_alu instid0(VALU_DEP_2) | instskip(NEXT) | instid1(VALU_DEP_2)
	v_fmac_f64_e32 v[20:21], v[52:53], v[18:19]
	v_cmp_gt_f64_e32 vcc_lo, 0x10000000, v[40:41]
	v_cndmask_b32_e64 v10, 0, 0x100, vcc_lo
	s_delay_alu instid0(VALU_DEP_1) | instskip(NEXT) | instid1(VALU_DEP_4)
	v_ldexp_f64 v[18:19], v[40:41], v10
	v_add_f64_e32 v[40:41], v[38:39], v[20:21]
	v_and_b32_e32 v10, 1, v36
	s_delay_alu instid0(VALU_DEP_1) | instskip(NEXT) | instid1(VALU_DEP_4)
	v_cmp_eq_u32_e64 s0, 0, v10
	v_rsq_f64_e32 v[42:43], v[18:19]
	s_delay_alu instid0(VALU_DEP_3) | instskip(SKIP_1) | instid1(VALU_DEP_2)
	v_add_f64_e64 v[44:45], -v[40:41], 1.0
	v_add_f64_e64 v[38:39], v[40:41], -v[38:39]
	v_add_f64_e64 v[48:49], -v[44:45], 1.0
	s_delay_alu instid0(VALU_DEP_2) | instskip(NEXT) | instid1(TRANS32_DEP_1)
	v_add_f64_e64 v[20:21], v[38:39], -v[20:21]
	v_mul_f64_e32 v[46:47], v[18:19], v[42:43]
	v_mul_f64_e32 v[42:43], 0.5, v[42:43]
	s_delay_alu instid0(VALU_DEP_4) | instskip(NEXT) | instid1(VALU_DEP_2)
	v_add_f64_e64 v[38:39], v[48:49], -v[40:41]
	v_fma_f64 v[54:55], -v[42:43], v[46:47], 0.5
	s_delay_alu instid0(VALU_DEP_2) | instskip(NEXT) | instid1(VALU_DEP_2)
	v_add_f64_e32 v[20:21], v[20:21], v[38:39]
	v_fmac_f64_e32 v[46:47], v[46:47], v[54:55]
	v_fmac_f64_e32 v[42:43], v[42:43], v[54:55]
	s_delay_alu instid0(VALU_DEP_3) | instskip(NEXT) | instid1(VALU_DEP_3)
	v_add_f64_e32 v[20:21], v[44:45], v[20:21]
	v_fma_f64 v[38:39], -v[46:47], v[46:47], v[18:19]
	s_delay_alu instid0(VALU_DEP_2) | instskip(NEXT) | instid1(VALU_DEP_2)
	v_mul_f64_e32 v[20:21], v[52:53], v[20:21]
	v_fmac_f64_e32 v[46:47], v[38:39], v[42:43]
	s_delay_alu instid0(VALU_DEP_2) | instskip(NEXT) | instid1(VALU_DEP_2)
	v_add_f64_e32 v[20:21], v[52:53], v[20:21]
	v_fma_f64 v[38:39], -v[46:47], v[46:47], v[18:19]
	s_delay_alu instid0(VALU_DEP_2) | instskip(NEXT) | instid1(VALU_DEP_1)
	v_xor_b32_e32 v21, 0x80000000, v21
	v_dual_cndmask_b32 v10, v20, v50, s0 :: v_dual_cndmask_b32 v20, v21, v51, s0
	s_delay_alu instid0(VALU_DEP_3) | instskip(SKIP_2) | instid1(VALU_DEP_4)
	v_fmac_f64_e32 v[46:47], v[38:39], v[42:43]
	v_cndmask_b32_e64 v21, 0, 0xffffff80, vcc_lo
	v_cmp_class_f64_e64 vcc_lo, v[18:19], 0x260
	v_bitop3_b32 v11, v20, v11, 0x80000000 bitop3:0x78
	s_delay_alu instid0(VALU_DEP_1) | instskip(NEXT) | instid1(VALU_DEP_4)
	v_fma_f64 v[36:37], v[10:11], v[10:11], 1.0
	v_ldexp_f64 v[20:21], v[46:47], v21
	s_delay_alu instid0(VALU_DEP_1) | instskip(NEXT) | instid1(VALU_DEP_3)
	v_dual_cndmask_b32 v19, v21, v19 :: v_dual_cndmask_b32 v18, v20, v18
	v_mul_f64_e32 v[20:21], v[12:13], v[36:37]
	s_delay_alu instid0(VALU_DEP_2) | instskip(NEXT) | instid1(VALU_DEP_2)
	v_mul_f64_e32 v[18:19], v[18:19], v[36:37]
	v_fma_f64 v[36:37], v[12:13], v[20:21], 1.0
	s_delay_alu instid0(VALU_DEP_2) | instskip(NEXT) | instid1(VALU_DEP_2)
	v_mul_f64_e32 v[12:13], v[12:13], v[18:19]
	v_div_scale_f64 v[20:21], null, v[36:37], v[36:37], v[10:11]
	s_delay_alu instid0(VALU_DEP_2) | instskip(SKIP_1) | instid1(VALU_DEP_3)
	v_div_scale_f64 v[18:19], null, v[36:37], v[36:37], v[12:13]
	v_div_scale_f64 v[46:47], vcc_lo, v[12:13], v[36:37], v[12:13]
	v_rcp_f64_e32 v[40:41], v[20:21]
	s_delay_alu instid0(VALU_DEP_2) | instskip(NEXT) | instid1(TRANS32_DEP_2)
	v_rcp_f64_e32 v[38:39], v[18:19]
	v_fma_f64 v[44:45], -v[20:21], v[40:41], 1.0
	s_delay_alu instid0(TRANS32_DEP_1) | instskip(NEXT) | instid1(VALU_DEP_2)
	v_fma_f64 v[42:43], -v[18:19], v[38:39], 1.0
	v_fmac_f64_e32 v[40:41], v[40:41], v[44:45]
	s_delay_alu instid0(VALU_DEP_2) | instskip(NEXT) | instid1(VALU_DEP_2)
	v_fmac_f64_e32 v[38:39], v[38:39], v[42:43]
	v_fma_f64 v[44:45], -v[20:21], v[40:41], 1.0
	s_delay_alu instid0(VALU_DEP_2) | instskip(NEXT) | instid1(VALU_DEP_2)
	v_fma_f64 v[42:43], -v[18:19], v[38:39], 1.0
	v_fmac_f64_e32 v[40:41], v[40:41], v[44:45]
	s_delay_alu instid0(VALU_DEP_2) | instskip(SKIP_1) | instid1(VALU_DEP_2)
	v_fmac_f64_e32 v[38:39], v[38:39], v[42:43]
	v_div_scale_f64 v[42:43], s0, v[10:11], v[36:37], v[10:11]
	v_mul_f64_e32 v[44:45], v[46:47], v[38:39]
	s_delay_alu instid0(VALU_DEP_2) | instskip(NEXT) | instid1(VALU_DEP_2)
	v_mul_f64_e32 v[48:49], v[42:43], v[40:41]
	v_fma_f64 v[18:19], -v[18:19], v[44:45], v[46:47]
	s_delay_alu instid0(VALU_DEP_2) | instskip(NEXT) | instid1(VALU_DEP_2)
	v_fma_f64 v[20:21], -v[20:21], v[48:49], v[42:43]
	v_div_fmas_f64 v[18:19], v[18:19], v[38:39], v[44:45]
	s_mov_b32 vcc_lo, s0
	s_delay_alu instid0(VALU_DEP_2) | instskip(NEXT) | instid1(VALU_DEP_2)
	v_div_fmas_f64 v[38:39], v[20:21], v[40:41], v[48:49]
	v_div_fixup_f64 v[20:21], v[18:19], v[36:37], v[12:13]
	s_delay_alu instid0(VALU_DEP_2)
	v_div_fixup_f64 v[18:19], v[38:39], v[36:37], v[10:11]
                                        ; implicit-def: $vgpr10_vgpr11
.LBB99_264:                             ;   in Loop: Header=BB99_180 Depth=1
	s_and_not1_saveexec_b32 s0, s21
	s_cbranch_execz .LBB99_274
; %bb.265:                              ;   in Loop: Header=BB99_180 Depth=1
	v_cmp_ngt_f64_e64 s21, 0x41d00000, |v[10:11]|
                                        ; implicit-def: $vgpr40
                                        ; implicit-def: $vgpr18_vgpr19
                                        ; implicit-def: $vgpr20_vgpr21
	s_and_saveexec_b32 s22, s21
	s_delay_alu instid0(SALU_CYCLE_1)
	s_xor_b32 s22, exec_lo, s22
	s_cbranch_execz .LBB99_267
; %bb.266:                              ;   in Loop: Header=BB99_180 Depth=1
	v_ldexp_f64 v[18:19], |v[10:11]|, 0xffffff80
	v_cmp_le_f64_e64 vcc_lo, 0x7b000000, |v[10:11]|
	v_trig_preop_f64 v[20:21], |v[10:11]|, 0
	v_and_b32_e32 v25, 0x7fffffff, v11
	v_trig_preop_f64 v[36:37], |v[10:11]|, 1
	v_trig_preop_f64 v[46:47], |v[10:11]|, 2
	s_delay_alu instid0(VALU_DEP_3) | instskip(NEXT) | instid1(VALU_DEP_1)
	v_dual_cndmask_b32 v19, v25, v19 :: v_dual_cndmask_b32 v18, v10, v18
	v_mul_f64_e32 v[38:39], v[20:21], v[18:19]
	s_delay_alu instid0(VALU_DEP_4) | instskip(NEXT) | instid1(VALU_DEP_4)
	v_mul_f64_e32 v[40:41], v[36:37], v[18:19]
	v_mul_f64_e32 v[52:53], v[46:47], v[18:19]
	s_delay_alu instid0(VALU_DEP_3) | instskip(NEXT) | instid1(VALU_DEP_3)
	v_fma_f64 v[20:21], v[20:21], v[18:19], -v[38:39]
	v_fma_f64 v[36:37], v[36:37], v[18:19], -v[40:41]
	s_delay_alu instid0(VALU_DEP_3) | instskip(NEXT) | instid1(VALU_DEP_3)
	v_fma_f64 v[18:19], v[46:47], v[18:19], -v[52:53]
	v_add_f64_e32 v[42:43], v[40:41], v[20:21]
	s_delay_alu instid0(VALU_DEP_1) | instskip(SKIP_1) | instid1(VALU_DEP_2)
	v_add_f64_e64 v[44:45], v[42:43], -v[40:41]
	v_add_f64_e32 v[50:51], v[38:39], v[42:43]
	v_add_f64_e64 v[48:49], v[42:43], -v[44:45]
	v_add_f64_e64 v[20:21], v[20:21], -v[44:45]
	s_delay_alu instid0(VALU_DEP_3) | instskip(NEXT) | instid1(VALU_DEP_3)
	v_ldexp_f64 v[44:45], v[50:51], -2
	v_add_f64_e64 v[40:41], v[40:41], -v[48:49]
	v_add_f64_e32 v[48:49], v[52:53], v[36:37]
	s_delay_alu instid0(VALU_DEP_3) | instskip(NEXT) | instid1(VALU_DEP_3)
	v_cmp_neq_f64_e64 vcc_lo, 0x7ff00000, |v[44:45]|
	v_add_f64_e32 v[20:21], v[20:21], v[40:41]
	v_fract_f64_e32 v[40:41], v[44:45]
	s_delay_alu instid0(VALU_DEP_1) | instskip(NEXT) | instid1(VALU_DEP_1)
	v_ldexp_f64 v[40:41], v[40:41], 2
	v_dual_add_f64 v[38:39], v[50:51], -v[38:39] :: v_dual_cndmask_b32 v41, 0, v41, vcc_lo
	s_delay_alu instid0(VALU_DEP_1) | instskip(SKIP_1) | instid1(VALU_DEP_1)
	v_dual_add_f64 v[38:39], v[42:43], -v[38:39] :: v_dual_cndmask_b32 v40, 0, v40, vcc_lo
	v_add_f64_e32 v[42:43], v[48:49], v[20:21]
	v_add_f64_e32 v[44:45], v[38:39], v[42:43]
	v_add_f64_e64 v[54:55], v[42:43], -v[48:49]
	s_delay_alu instid0(VALU_DEP_2) | instskip(NEXT) | instid1(VALU_DEP_2)
	v_add_f64_e32 v[50:51], v[44:45], v[40:41]
	v_add_f64_e64 v[60:61], v[42:43], -v[54:55]
	v_add_f64_e64 v[20:21], v[20:21], -v[54:55]
	v_add_f64_e64 v[38:39], v[44:45], -v[38:39]
	s_delay_alu instid0(VALU_DEP_4) | instskip(SKIP_1) | instid1(VALU_DEP_3)
	v_cmp_gt_f64_e32 vcc_lo, 0, v[50:51]
	v_add_f64_e64 v[50:51], v[48:49], -v[52:53]
	v_add_f64_e64 v[38:39], v[42:43], -v[38:39]
	v_cndmask_b32_e64 v25, 0, 0x40100000, vcc_lo
	s_delay_alu instid0(VALU_DEP_3) | instskip(SKIP_2) | instid1(VALU_DEP_4)
	v_add_f64_e64 v[58:59], v[48:49], -v[50:51]
	v_add_f64_e64 v[36:37], v[36:37], -v[50:51]
	;; [unrolled: 1-line block ×3, first 2 shown]
	v_add_f64_e32 v[40:41], v[40:41], v[24:25]
	s_delay_alu instid0(VALU_DEP_4) | instskip(NEXT) | instid1(VALU_DEP_3)
	v_add_f64_e64 v[50:51], v[52:53], -v[58:59]
	v_add_f64_e32 v[20:21], v[20:21], v[48:49]
	s_delay_alu instid0(VALU_DEP_3) | instskip(NEXT) | instid1(VALU_DEP_3)
	v_add_f64_e32 v[56:57], v[44:45], v[40:41]
	v_add_f64_e32 v[36:37], v[36:37], v[50:51]
	s_delay_alu instid0(VALU_DEP_2) | instskip(NEXT) | instid1(VALU_DEP_2)
	v_cvt_i32_f64_e32 v25, v[56:57]
	v_add_f64_e32 v[20:21], v[36:37], v[20:21]
	s_delay_alu instid0(VALU_DEP_2) | instskip(NEXT) | instid1(VALU_DEP_2)
	v_cvt_f64_i32_e32 v[54:55], v25
	v_add_f64_e32 v[18:19], v[18:19], v[20:21]
	s_delay_alu instid0(VALU_DEP_2) | instskip(NEXT) | instid1(VALU_DEP_2)
	v_add_f64_e64 v[40:41], v[40:41], -v[54:55]
	v_add_f64_e32 v[18:19], v[38:39], v[18:19]
	s_delay_alu instid0(VALU_DEP_2) | instskip(NEXT) | instid1(VALU_DEP_1)
	v_add_f64_e32 v[36:37], v[44:45], v[40:41]
	v_add_f64_e64 v[20:21], v[36:37], -v[40:41]
	v_cmp_le_f64_e32 vcc_lo, 0.5, v[36:37]
	s_delay_alu instid0(VALU_DEP_2) | instskip(SKIP_2) | instid1(VALU_DEP_3)
	v_add_f64_e64 v[20:21], v[44:45], -v[20:21]
	v_add_co_ci_u32_e64 v40, null, 0, v25, vcc_lo
	v_cndmask_b32_e64 v25, 0, 0x3ff00000, vcc_lo
	v_add_f64_e32 v[18:19], v[18:19], v[20:21]
	s_delay_alu instid0(VALU_DEP_2) | instskip(NEXT) | instid1(VALU_DEP_1)
	v_add_f64_e64 v[20:21], v[36:37], -v[24:25]
	v_add_f64_e32 v[36:37], v[20:21], v[18:19]
	s_delay_alu instid0(VALU_DEP_1) | instskip(SKIP_1) | instid1(VALU_DEP_2)
	v_mul_f64_e32 v[38:39], 0x3ff921fb54442d18, v[36:37]
	v_add_f64_e64 v[20:21], v[36:37], -v[20:21]
	v_fma_f64 v[42:43], v[36:37], s[2:3], -v[38:39]
	s_delay_alu instid0(VALU_DEP_2) | instskip(NEXT) | instid1(VALU_DEP_2)
	v_add_f64_e64 v[18:19], v[18:19], -v[20:21]
	v_fmac_f64_e32 v[42:43], 0x3c91a62633145c07, v[36:37]
	s_delay_alu instid0(VALU_DEP_1) | instskip(NEXT) | instid1(VALU_DEP_1)
	v_fmac_f64_e32 v[42:43], 0x3ff921fb54442d18, v[18:19]
	v_add_f64_e32 v[18:19], v[38:39], v[42:43]
	s_delay_alu instid0(VALU_DEP_1) | instskip(NEXT) | instid1(VALU_DEP_1)
	v_add_f64_e64 v[20:21], v[18:19], -v[38:39]
	v_add_f64_e64 v[20:21], v[42:43], -v[20:21]
	s_and_not1_saveexec_b32 s22, s22
	s_cbranch_execz .LBB99_269
	s_branch .LBB99_268
.LBB99_267:                             ;   in Loop: Header=BB99_180 Depth=1
	s_and_not1_saveexec_b32 s22, s22
	s_cbranch_execz .LBB99_269
.LBB99_268:                             ;   in Loop: Header=BB99_180 Depth=1
	v_mul_f64_e64 v[18:19], |v[10:11]|, s[4:5]
	s_delay_alu instid0(VALU_DEP_1) | instskip(NEXT) | instid1(VALU_DEP_1)
	v_rndne_f64_e32 v[36:37], v[18:19]
	v_fma_f64 v[18:19], v[36:37], s[6:7], |v[10:11]|
	v_mul_f64_e32 v[20:21], 0xbc91a62633145c00, v[36:37]
	s_delay_alu instid0(VALU_DEP_2) | instskip(NEXT) | instid1(VALU_DEP_2)
	v_fmamk_f64 v[42:43], v[36:37], 0xbc91a62633145c00, v[18:19]
	v_add_f64_e32 v[38:39], v[18:19], v[20:21]
	s_delay_alu instid0(VALU_DEP_1) | instskip(NEXT) | instid1(VALU_DEP_3)
	v_add_f64_e64 v[40:41], v[18:19], -v[38:39]
	v_add_f64_e64 v[18:19], v[38:39], -v[42:43]
	s_delay_alu instid0(VALU_DEP_2) | instskip(SKIP_2) | instid1(VALU_DEP_3)
	v_add_f64_e32 v[38:39], v[40:41], v[20:21]
	v_fmamk_f64 v[20:21], v[36:37], 0x3c91a62633145c00, v[20:21]
	v_cvt_i32_f64_e32 v40, v[36:37]
	v_add_f64_e32 v[18:19], v[18:19], v[38:39]
	s_delay_alu instid0(VALU_DEP_1) | instskip(NEXT) | instid1(VALU_DEP_1)
	v_add_f64_e64 v[20:21], v[18:19], -v[20:21]
	v_fmac_f64_e32 v[20:21], 0xb97b839a252049c0, v[36:37]
	s_delay_alu instid0(VALU_DEP_1) | instskip(NEXT) | instid1(VALU_DEP_1)
	v_add_f64_e32 v[18:19], v[42:43], v[20:21]
	v_add_f64_e64 v[38:39], v[18:19], -v[42:43]
	s_delay_alu instid0(VALU_DEP_1)
	v_add_f64_e64 v[20:21], v[20:21], -v[38:39]
.LBB99_269:                             ;   in Loop: Header=BB99_180 Depth=1
	s_or_b32 exec_lo, exec_lo, s22
                                        ; implicit-def: $vgpr41
                                        ; implicit-def: $vgpr36_vgpr37
                                        ; implicit-def: $vgpr38_vgpr39
	s_and_saveexec_b32 s22, s21
	s_delay_alu instid0(SALU_CYCLE_1)
	s_xor_b32 s21, exec_lo, s22
	s_cbranch_execz .LBB99_271
; %bb.270:                              ;   in Loop: Header=BB99_180 Depth=1
	v_ldexp_f64 v[36:37], |v[10:11]|, 0xffffff80
	v_cmp_le_f64_e64 vcc_lo, 0x7b000000, |v[10:11]|
	v_trig_preop_f64 v[38:39], |v[10:11]|, 0
	v_and_b32_e32 v25, 0x7fffffff, v11
	v_trig_preop_f64 v[42:43], |v[10:11]|, 1
	v_trig_preop_f64 v[52:53], |v[10:11]|, 2
	s_delay_alu instid0(VALU_DEP_3) | instskip(NEXT) | instid1(VALU_DEP_1)
	v_dual_cndmask_b32 v37, v25, v37 :: v_dual_cndmask_b32 v36, v10, v36
	v_mul_f64_e32 v[44:45], v[38:39], v[36:37]
	s_delay_alu instid0(VALU_DEP_4) | instskip(NEXT) | instid1(VALU_DEP_4)
	v_mul_f64_e32 v[46:47], v[42:43], v[36:37]
	v_mul_f64_e32 v[58:59], v[52:53], v[36:37]
	s_delay_alu instid0(VALU_DEP_3) | instskip(NEXT) | instid1(VALU_DEP_3)
	v_fma_f64 v[38:39], v[38:39], v[36:37], -v[44:45]
	v_fma_f64 v[42:43], v[42:43], v[36:37], -v[46:47]
	s_delay_alu instid0(VALU_DEP_3) | instskip(NEXT) | instid1(VALU_DEP_3)
	v_fma_f64 v[36:37], v[52:53], v[36:37], -v[58:59]
	v_add_f64_e32 v[48:49], v[46:47], v[38:39]
	s_delay_alu instid0(VALU_DEP_1) | instskip(SKIP_1) | instid1(VALU_DEP_2)
	v_add_f64_e64 v[50:51], v[48:49], -v[46:47]
	v_add_f64_e32 v[56:57], v[44:45], v[48:49]
	v_add_f64_e64 v[54:55], v[48:49], -v[50:51]
	v_add_f64_e64 v[38:39], v[38:39], -v[50:51]
	s_delay_alu instid0(VALU_DEP_3) | instskip(NEXT) | instid1(VALU_DEP_3)
	v_ldexp_f64 v[50:51], v[56:57], -2
	v_add_f64_e64 v[46:47], v[46:47], -v[54:55]
	v_add_f64_e32 v[54:55], v[58:59], v[42:43]
	s_delay_alu instid0(VALU_DEP_3) | instskip(NEXT) | instid1(VALU_DEP_3)
	v_cmp_neq_f64_e64 vcc_lo, 0x7ff00000, |v[50:51]|
	v_add_f64_e32 v[38:39], v[38:39], v[46:47]
	v_fract_f64_e32 v[46:47], v[50:51]
	s_delay_alu instid0(VALU_DEP_1) | instskip(NEXT) | instid1(VALU_DEP_1)
	v_ldexp_f64 v[46:47], v[46:47], 2
	v_dual_add_f64 v[44:45], v[56:57], -v[44:45] :: v_dual_cndmask_b32 v47, 0, v47, vcc_lo
	s_delay_alu instid0(VALU_DEP_1) | instskip(SKIP_1) | instid1(VALU_DEP_1)
	v_dual_add_f64 v[44:45], v[48:49], -v[44:45] :: v_dual_cndmask_b32 v46, 0, v46, vcc_lo
	v_add_f64_e32 v[48:49], v[54:55], v[38:39]
	v_add_f64_e32 v[50:51], v[44:45], v[48:49]
	v_add_f64_e64 v[60:61], v[48:49], -v[54:55]
	s_delay_alu instid0(VALU_DEP_2) | instskip(NEXT) | instid1(VALU_DEP_2)
	v_add_f64_e32 v[56:57], v[50:51], v[46:47]
	v_add_f64_e64 v[66:67], v[48:49], -v[60:61]
	v_add_f64_e64 v[38:39], v[38:39], -v[60:61]
	;; [unrolled: 1-line block ×3, first 2 shown]
	s_delay_alu instid0(VALU_DEP_4) | instskip(SKIP_1) | instid1(VALU_DEP_3)
	v_cmp_gt_f64_e32 vcc_lo, 0, v[56:57]
	v_add_f64_e64 v[56:57], v[54:55], -v[58:59]
	v_add_f64_e64 v[44:45], v[48:49], -v[44:45]
	v_cndmask_b32_e64 v25, 0, 0x40100000, vcc_lo
	s_delay_alu instid0(VALU_DEP_3) | instskip(SKIP_2) | instid1(VALU_DEP_4)
	v_add_f64_e64 v[64:65], v[54:55], -v[56:57]
	v_add_f64_e64 v[42:43], v[42:43], -v[56:57]
	;; [unrolled: 1-line block ×3, first 2 shown]
	v_add_f64_e32 v[46:47], v[46:47], v[24:25]
	s_delay_alu instid0(VALU_DEP_4) | instskip(NEXT) | instid1(VALU_DEP_3)
	v_add_f64_e64 v[56:57], v[58:59], -v[64:65]
	v_add_f64_e32 v[38:39], v[38:39], v[54:55]
	s_delay_alu instid0(VALU_DEP_3) | instskip(NEXT) | instid1(VALU_DEP_3)
	v_add_f64_e32 v[62:63], v[50:51], v[46:47]
	v_add_f64_e32 v[42:43], v[42:43], v[56:57]
	s_delay_alu instid0(VALU_DEP_2) | instskip(NEXT) | instid1(VALU_DEP_2)
	v_cvt_i32_f64_e32 v25, v[62:63]
	v_add_f64_e32 v[38:39], v[42:43], v[38:39]
	s_delay_alu instid0(VALU_DEP_2) | instskip(NEXT) | instid1(VALU_DEP_2)
	v_cvt_f64_i32_e32 v[60:61], v25
	v_add_f64_e32 v[36:37], v[36:37], v[38:39]
	s_delay_alu instid0(VALU_DEP_2) | instskip(NEXT) | instid1(VALU_DEP_2)
	v_add_f64_e64 v[46:47], v[46:47], -v[60:61]
	v_add_f64_e32 v[36:37], v[44:45], v[36:37]
	s_delay_alu instid0(VALU_DEP_2) | instskip(NEXT) | instid1(VALU_DEP_1)
	v_add_f64_e32 v[42:43], v[50:51], v[46:47]
	v_add_f64_e64 v[38:39], v[42:43], -v[46:47]
	v_cmp_le_f64_e32 vcc_lo, 0.5, v[42:43]
	s_delay_alu instid0(VALU_DEP_2) | instskip(SKIP_2) | instid1(VALU_DEP_3)
	v_add_f64_e64 v[38:39], v[50:51], -v[38:39]
	v_add_co_ci_u32_e64 v41, null, 0, v25, vcc_lo
	v_cndmask_b32_e64 v25, 0, 0x3ff00000, vcc_lo
	v_add_f64_e32 v[36:37], v[36:37], v[38:39]
	s_delay_alu instid0(VALU_DEP_2) | instskip(NEXT) | instid1(VALU_DEP_1)
	v_add_f64_e64 v[38:39], v[42:43], -v[24:25]
	v_add_f64_e32 v[42:43], v[38:39], v[36:37]
	s_delay_alu instid0(VALU_DEP_1) | instskip(SKIP_1) | instid1(VALU_DEP_2)
	v_mul_f64_e32 v[44:45], 0x3ff921fb54442d18, v[42:43]
	v_add_f64_e64 v[38:39], v[42:43], -v[38:39]
	v_fma_f64 v[46:47], v[42:43], s[2:3], -v[44:45]
	s_delay_alu instid0(VALU_DEP_2) | instskip(NEXT) | instid1(VALU_DEP_2)
	v_add_f64_e64 v[36:37], v[36:37], -v[38:39]
	v_fmac_f64_e32 v[46:47], 0x3c91a62633145c07, v[42:43]
	s_delay_alu instid0(VALU_DEP_1) | instskip(NEXT) | instid1(VALU_DEP_1)
	v_fmac_f64_e32 v[46:47], 0x3ff921fb54442d18, v[36:37]
	v_add_f64_e32 v[36:37], v[44:45], v[46:47]
	s_delay_alu instid0(VALU_DEP_1) | instskip(NEXT) | instid1(VALU_DEP_1)
	v_add_f64_e64 v[38:39], v[36:37], -v[44:45]
	v_add_f64_e64 v[38:39], v[46:47], -v[38:39]
	s_and_not1_saveexec_b32 s21, s21
	s_cbranch_execnz .LBB99_272
	s_branch .LBB99_273
.LBB99_271:                             ;   in Loop: Header=BB99_180 Depth=1
	s_and_not1_saveexec_b32 s21, s21
	s_cbranch_execz .LBB99_273
.LBB99_272:                             ;   in Loop: Header=BB99_180 Depth=1
	v_mul_f64_e64 v[36:37], |v[10:11]|, s[4:5]
	s_delay_alu instid0(VALU_DEP_1) | instskip(NEXT) | instid1(VALU_DEP_1)
	v_rndne_f64_e32 v[42:43], v[36:37]
	v_fma_f64 v[36:37], v[42:43], s[6:7], |v[10:11]|
	v_mul_f64_e32 v[38:39], 0xbc91a62633145c00, v[42:43]
	v_cvt_i32_f64_e32 v41, v[42:43]
	s_delay_alu instid0(VALU_DEP_3) | instskip(NEXT) | instid1(VALU_DEP_3)
	v_fmamk_f64 v[48:49], v[42:43], 0xbc91a62633145c00, v[36:37]
	v_add_f64_e32 v[44:45], v[36:37], v[38:39]
	s_delay_alu instid0(VALU_DEP_1) | instskip(NEXT) | instid1(VALU_DEP_3)
	v_add_f64_e64 v[46:47], v[36:37], -v[44:45]
	v_add_f64_e64 v[36:37], v[44:45], -v[48:49]
	s_delay_alu instid0(VALU_DEP_2) | instskip(SKIP_1) | instid1(VALU_DEP_2)
	v_add_f64_e32 v[44:45], v[46:47], v[38:39]
	v_fmamk_f64 v[38:39], v[42:43], 0x3c91a62633145c00, v[38:39]
	v_add_f64_e32 v[36:37], v[36:37], v[44:45]
	s_delay_alu instid0(VALU_DEP_1) | instskip(NEXT) | instid1(VALU_DEP_1)
	v_add_f64_e64 v[38:39], v[36:37], -v[38:39]
	v_fmac_f64_e32 v[38:39], 0xb97b839a252049c0, v[42:43]
	s_delay_alu instid0(VALU_DEP_1) | instskip(NEXT) | instid1(VALU_DEP_1)
	v_add_f64_e32 v[36:37], v[48:49], v[38:39]
	v_add_f64_e64 v[44:45], v[36:37], -v[48:49]
	s_delay_alu instid0(VALU_DEP_1)
	v_add_f64_e64 v[38:39], v[38:39], -v[44:45]
.LBB99_273:                             ;   in Loop: Header=BB99_180 Depth=1
	s_or_b32 exec_lo, exec_lo, s21
	v_dual_mul_f64 v[42:43], v[18:19], v[18:19] :: v_dual_bitop2_b32 v10, 1, v40 bitop3:0x40
	v_mul_f64_e32 v[44:45], v[36:37], v[36:37]
	s_delay_alu instid0(VALU_DEP_3) | instskip(SKIP_3) | instid1(VALU_DEP_2)
	v_mul_f64_e32 v[66:67], 0.5, v[38:39]
	v_mul_f64_e64 v[48:49], |v[12:13]|, s[14:15]
	v_lshlrev_b32_e32 v25, 30, v40
	v_cmp_eq_u32_e32 vcc_lo, 0, v10
	v_dual_mul_f64 v[54:55], 0.5, v[20:21] :: v_dual_bitop2_b32 v11, v25, v11 bitop3:0x14
	v_mul_f64_e32 v[46:47], 0.5, v[42:43]
	v_mul_f64_e64 v[56:57], v[18:19], -v[42:43]
	v_fmamk_f64 v[62:63], v[42:43], 0x3de5e0b2f9a43bb8, v[32:33]
	v_mul_f64_e64 v[68:69], v[36:37], -v[44:45]
	v_fmamk_f64 v[70:71], v[44:45], 0x3de5e0b2f9a43bb8, v[32:33]
	v_rndne_f64_e32 v[48:49], v[48:49]
	s_delay_alu instid0(VALU_DEP_4) | instskip(NEXT) | instid1(VALU_DEP_1)
	v_fmaak_f64 v[62:63], v[42:43], v[62:63], 0x3ec71de3796cde01
	v_fmaak_f64 v[62:63], v[42:43], v[62:63], 0xbf2a01a019e83e5c
	s_delay_alu instid0(VALU_DEP_1) | instskip(SKIP_1) | instid1(VALU_DEP_2)
	v_fmaak_f64 v[62:63], v[42:43], v[62:63], 0x3f81111111110bb3
	v_add_f64_e64 v[52:53], -v[46:47], 1.0
	v_fmac_f64_e32 v[54:55], v[56:57], v[62:63]
	v_fma_f64 v[64:65], v[48:49], s[8:9], -|v[12:13]|
	s_delay_alu instid0(VALU_DEP_3) | instskip(NEXT) | instid1(VALU_DEP_3)
	v_add_f64_e64 v[60:61], -v[52:53], 1.0
	v_fma_f64 v[54:55], v[42:43], v[54:55], -v[20:21]
	s_delay_alu instid0(VALU_DEP_3) | instskip(NEXT) | instid1(VALU_DEP_3)
	v_fmac_f64_e32 v[64:65], 0xbc7abc9e3b39803f, v[48:49]
	v_add_f64_e64 v[46:47], v[60:61], -v[46:47]
	v_fmaak_f64 v[60:61], v[44:45], v[70:71], 0x3ec71de3796cde01
	v_fmamk_f64 v[70:71], v[42:43], 0xbda907db46cc5e42, v[30:31]
	v_fmac_f64_e32 v[54:55], 0xbfc5555555555555, v[56:57]
	s_delay_alu instid0(VALU_DEP_3) | instskip(NEXT) | instid1(VALU_DEP_1)
	v_fmaak_f64 v[60:61], v[44:45], v[60:61], 0xbf2a01a019e83e5c
	v_fmaak_f64 v[60:61], v[44:45], v[60:61], 0x3f81111111110bb3
	s_delay_alu instid0(VALU_DEP_1)
	v_fmac_f64_e32 v[66:67], v[68:69], v[60:61]
	v_mul_f64_e32 v[60:61], v[42:43], v[42:43]
	v_fma_f64 v[20:21], v[18:19], -v[20:21], v[46:47]
	v_fmaak_f64 v[46:47], v[42:43], v[70:71], 0xbe927e4fa17f65f6
	v_mul_f64_e32 v[70:71], v[44:45], v[44:45]
	v_add_f64_e64 v[18:19], v[18:19], -v[54:55]
	s_delay_alu instid0(VALU_DEP_3) | instskip(NEXT) | instid1(VALU_DEP_1)
	v_fmaak_f64 v[46:47], v[42:43], v[46:47], 0x3efa01a019f4ec90
	v_fmaak_f64 v[46:47], v[42:43], v[46:47], 0xbf56c16c16c16967
	s_delay_alu instid0(VALU_DEP_1) | instskip(NEXT) | instid1(VALU_DEP_1)
	v_fmaak_f64 v[42:43], v[42:43], v[46:47], 0x3fa5555555555555
	v_fmac_f64_e32 v[20:21], v[60:61], v[42:43]
	s_delay_alu instid0(VALU_DEP_1) | instskip(NEXT) | instid1(VALU_DEP_1)
	v_add_f64_e32 v[20:21], v[52:53], v[20:21]
	v_dual_mul_f64 v[50:51], 0.5, v[44:45] :: v_dual_cndmask_b32 v10, v20, v18, vcc_lo
	s_delay_alu instid0(VALU_DEP_1) | instskip(NEXT) | instid1(VALU_DEP_3)
	v_add_f64_e64 v[58:59], -v[50:51], 1.0
	v_cndmask_b32_e32 v20, v21, v19, vcc_lo
	v_cvt_i32_f64_e32 v21, v[48:49]
	s_delay_alu instid0(VALU_DEP_2) | instskip(NEXT) | instid1(VALU_DEP_1)
	v_bitop3_b32 v11, v20, v11, 0x80000000 bitop3:0x78
	v_dual_mul_f64 v[10:11], 4.0, v[10:11] :: v_dual_bitop2_b32 v20, 1, v41 bitop3:0x40
	s_delay_alu instid0(VALU_DEP_1) | instskip(SKIP_1) | instid1(VALU_DEP_1)
	v_cmp_eq_u32_e32 vcc_lo, 0, v20
	v_add_f64_e64 v[62:63], -v[58:59], 1.0
	v_add_f64_e64 v[50:51], v[62:63], -v[50:51]
	v_fmamk_f64 v[62:63], v[64:65], 0x3e5ade156a5dcb37, v[28:29]
	s_delay_alu instid0(VALU_DEP_1) | instskip(NEXT) | instid1(VALU_DEP_1)
	v_fmaak_f64 v[62:63], v[64:65], v[62:63], 0x3ec71dee623fde64
	v_fmaak_f64 v[62:63], v[64:65], v[62:63], 0x3efa01997c89e6b0
	s_delay_alu instid0(VALU_DEP_1) | instskip(SKIP_2) | instid1(VALU_DEP_3)
	v_fmaak_f64 v[46:47], v[64:65], v[62:63], 0x3f2a01a014761f6e
	v_fma_f64 v[62:63], v[44:45], v[66:67], -v[38:39]
	v_fmamk_f64 v[66:67], v[44:45], 0xbda907db46cc5e42, v[30:31]
	v_fmaak_f64 v[42:43], v[64:65], v[46:47], 0x3f56c16c1852b7b0
	s_delay_alu instid0(VALU_DEP_2) | instskip(SKIP_1) | instid1(VALU_DEP_3)
	v_fmaak_f64 v[46:47], v[44:45], v[66:67], 0xbe927e4fa17f65f6
	v_fma_f64 v[38:39], v[36:37], -v[38:39], v[50:51]
	v_fmaak_f64 v[42:43], v[64:65], v[42:43], 0x3f81111111122322
	s_delay_alu instid0(VALU_DEP_3) | instskip(NEXT) | instid1(VALU_DEP_2)
	v_fmaak_f64 v[46:47], v[44:45], v[46:47], 0x3efa01a019f4ec90
	v_fmaak_f64 v[42:43], v[64:65], v[42:43], 0x3fa55555555502a1
	s_delay_alu instid0(VALU_DEP_2) | instskip(NEXT) | instid1(VALU_DEP_2)
	v_fmaak_f64 v[46:47], v[44:45], v[46:47], 0xbf56c16c16c16967
	v_fmaak_f64 v[42:43], v[64:65], v[42:43], 0x3fc5555555555511
	s_delay_alu instid0(VALU_DEP_2) | instskip(SKIP_1) | instid1(VALU_DEP_3)
	v_fmaak_f64 v[44:45], v[44:45], v[46:47], 0x3fa5555555555555
	v_fmac_f64_e32 v[62:63], 0xbfc5555555555555, v[68:69]
	v_fmaak_f64 v[42:43], v[64:65], v[42:43], 0x3fe000000000000b
	s_delay_alu instid0(VALU_DEP_1) | instskip(NEXT) | instid1(VALU_DEP_4)
	v_fma_f64 v[42:43], v[64:65], v[42:43], 1.0
	v_fmac_f64_e32 v[38:39], v[70:71], v[44:45]
	s_delay_alu instid0(VALU_DEP_4) | instskip(NEXT) | instid1(VALU_DEP_3)
	v_add_f64_e64 v[36:37], v[36:37], -v[62:63]
	v_fma_f64 v[18:19], v[64:65], v[42:43], 1.0
	s_delay_alu instid0(VALU_DEP_3) | instskip(NEXT) | instid1(VALU_DEP_3)
	v_add_f64_e32 v[38:39], v[58:59], v[38:39]
	v_xor_b32_e32 v25, 0x80000000, v37
	s_delay_alu instid0(VALU_DEP_3) | instskip(NEXT) | instid1(VALU_DEP_2)
	v_ldexp_f64 v[18:19], v[18:19], v21
	v_dual_cndmask_b32 v20, v36, v38 :: v_dual_cndmask_b32 v25, v25, v39
	v_lshlrev_b32_e32 v36, 30, v41
	v_cmp_nlt_f64_e64 vcc_lo, 0x4090cc00, |v[12:13]|
	s_delay_alu instid0(VALU_DEP_2) | instskip(NEXT) | instid1(VALU_DEP_1)
	v_bitop3_b32 v21, v25, v36, 0x80000000 bitop3:0x78
	v_dual_mul_f64 v[10:11], v[10:11], v[20:21] :: v_dual_cndmask_b32 v19, 0, v19, vcc_lo
	v_cndmask_b32_e32 v18, 0, v18, vcc_lo
	s_delay_alu instid0(VALU_DEP_1) | instskip(NEXT) | instid1(VALU_DEP_1)
	v_mul_f64_e32 v[10:11], v[18:19], v[10:11]
	v_mul_f64_e32 v[18:19], v[18:19], v[10:11]
	v_xor_b32_e32 v10, 0x80000000, v13
	s_delay_alu instid0(VALU_DEP_1) | instskip(NEXT) | instid1(VALU_DEP_1)
	v_bfi_b32 v25, 0x7fffffff, s18, v10
	v_mov_b64_e32 v[20:21], v[24:25]
.LBB99_274:                             ;   in Loop: Header=BB99_180 Depth=1
	s_or_b32 exec_lo, exec_lo, s0
                                        ; implicit-def: $vgpr10_vgpr11
.LBB99_275:                             ;   in Loop: Header=BB99_180 Depth=1
	s_and_not1_saveexec_b32 s0, s20
	s_cbranch_execz .LBB99_277
; %bb.276:                              ;   in Loop: Header=BB99_180 Depth=1
	v_add_f64_e64 v[18:19], v[10:11], -v[10:11]
	s_delay_alu instid0(VALU_DEP_1)
	v_mov_b64_e32 v[20:21], v[18:19]
.LBB99_277:                             ;   in Loop: Header=BB99_180 Depth=1
	s_or_b32 exec_lo, exec_lo, s0
                                        ; implicit-def: $vgpr10_vgpr11
.LBB99_278:                             ;   in Loop: Header=BB99_180 Depth=1
	s_and_not1_saveexec_b32 s20, s1
	s_cbranch_execz .LBB99_294
; %bb.279:                              ;   in Loop: Header=BB99_180 Depth=1
	s_delay_alu instid0(VALU_DEP_1) | instskip(SKIP_1) | instid1(VALU_DEP_1)
	v_and_or_b32 v18, 0xfffff, v21, v20
	s_mov_b32 s0, exec_lo
	v_cmpx_ne_u32_e32 0, v18
	s_xor_b32 s0, exec_lo, s0
	s_cbranch_execz .LBB99_281
; %bb.280:                              ;   in Loop: Header=BB99_180 Depth=1
	v_mul_f64_e64 v[12:13], v[10:11], -v[12:13]
	v_cmp_eq_f64_e32 vcc_lo, 0, v[10:11]
	s_delay_alu instid0(VALU_DEP_2)
	v_dual_cndmask_b32 v19, v13, v11 :: v_dual_cndmask_b32 v18, v12, v10
                                        ; implicit-def: $vgpr10_vgpr11
.LBB99_281:                             ;   in Loop: Header=BB99_180 Depth=1
	s_and_not1_saveexec_b32 s21, s0
	s_cbranch_execz .LBB99_293
; %bb.282:                              ;   in Loop: Header=BB99_180 Depth=1
	s_mov_b32 s22, exec_lo
	v_cmpx_neq_f64_e64 0x7ff00000, |v[10:11]|
	s_cbranch_execz .LBB99_292
; %bb.283:                              ;   in Loop: Header=BB99_180 Depth=1
	v_cmp_ngt_f64_e64 s0, 0x41d00000, |v[10:11]|
	v_trig_preop_f64 v[40:41], |v[10:11]|, 0
	v_trig_preop_f64 v[38:39], |v[10:11]|, 1
	v_ldexp_f64 v[42:43], |v[10:11]|, 0xffffff80
	v_trig_preop_f64 v[36:37], |v[10:11]|, 2
	v_and_b32_e32 v51, 0x7fffffff, v11
                                        ; implicit-def: $vgpr50
                                        ; implicit-def: $vgpr12_vgpr13
                                        ; implicit-def: $vgpr18_vgpr19
	s_and_saveexec_b32 s1, s0
	s_delay_alu instid0(SALU_CYCLE_1)
	s_xor_b32 s1, exec_lo, s1
	s_cbranch_execz .LBB99_285
; %bb.284:                              ;   in Loop: Header=BB99_180 Depth=1
	v_cmp_le_f64_e64 vcc_lo, 0x7b000000, |v[10:11]|
	s_delay_alu instid0(VALU_DEP_4) | instskip(NEXT) | instid1(VALU_DEP_1)
	v_dual_cndmask_b32 v13, v51, v43 :: v_dual_cndmask_b32 v12, v10, v42
	v_mul_f64_e32 v[18:19], v[40:41], v[12:13]
	v_mul_f64_e32 v[44:45], v[38:39], v[12:13]
	;; [unrolled: 1-line block ×3, first 2 shown]
	s_delay_alu instid0(VALU_DEP_3) | instskip(NEXT) | instid1(VALU_DEP_3)
	v_fma_f64 v[46:47], v[40:41], v[12:13], -v[18:19]
	v_fma_f64 v[60:61], v[38:39], v[12:13], -v[44:45]
	s_delay_alu instid0(VALU_DEP_3) | instskip(NEXT) | instid1(VALU_DEP_3)
	v_fma_f64 v[12:13], v[36:37], v[12:13], -v[58:59]
	v_add_f64_e32 v[48:49], v[44:45], v[46:47]
	s_delay_alu instid0(VALU_DEP_1) | instskip(SKIP_1) | instid1(VALU_DEP_2)
	v_add_f64_e64 v[52:53], v[48:49], -v[44:45]
	v_add_f64_e32 v[56:57], v[18:19], v[48:49]
	v_add_f64_e64 v[54:55], v[48:49], -v[52:53]
	v_add_f64_e64 v[46:47], v[46:47], -v[52:53]
	s_delay_alu instid0(VALU_DEP_3) | instskip(NEXT) | instid1(VALU_DEP_3)
	v_ldexp_f64 v[52:53], v[56:57], -2
	v_add_f64_e64 v[44:45], v[44:45], -v[54:55]
	v_add_f64_e32 v[54:55], v[58:59], v[60:61]
	s_delay_alu instid0(VALU_DEP_3) | instskip(NEXT) | instid1(VALU_DEP_3)
	v_cmp_neq_f64_e64 vcc_lo, 0x7ff00000, |v[52:53]|
	v_add_f64_e32 v[44:45], v[46:47], v[44:45]
	v_fract_f64_e32 v[46:47], v[52:53]
	s_delay_alu instid0(VALU_DEP_1) | instskip(NEXT) | instid1(VALU_DEP_1)
	v_ldexp_f64 v[46:47], v[46:47], 2
	v_cndmask_b32_e32 v47, 0, v47, vcc_lo
	v_add_f64_e64 v[18:19], v[56:57], -v[18:19]
	s_delay_alu instid0(VALU_DEP_3) | instskip(NEXT) | instid1(VALU_DEP_2)
	v_cndmask_b32_e32 v46, 0, v46, vcc_lo
	v_add_f64_e64 v[18:19], v[48:49], -v[18:19]
	v_add_f64_e32 v[48:49], v[54:55], v[44:45]
	s_delay_alu instid0(VALU_DEP_1) | instskip(SKIP_1) | instid1(VALU_DEP_2)
	v_add_f64_e32 v[52:53], v[18:19], v[48:49]
	v_add_f64_e64 v[62:63], v[48:49], -v[54:55]
	v_add_f64_e32 v[56:57], v[52:53], v[46:47]
	s_delay_alu instid0(VALU_DEP_2) | instskip(SKIP_2) | instid1(VALU_DEP_4)
	v_add_f64_e64 v[68:69], v[48:49], -v[62:63]
	v_add_f64_e64 v[44:45], v[44:45], -v[62:63]
	;; [unrolled: 1-line block ×3, first 2 shown]
	v_cmp_gt_f64_e32 vcc_lo, 0, v[56:57]
	v_add_f64_e64 v[56:57], v[54:55], -v[58:59]
	s_delay_alu instid0(VALU_DEP_3) | instskip(SKIP_1) | instid1(VALU_DEP_3)
	v_add_f64_e64 v[18:19], v[48:49], -v[18:19]
	v_cndmask_b32_e64 v25, 0, 0x40100000, vcc_lo
	v_add_f64_e64 v[66:67], v[54:55], -v[56:57]
	v_add_f64_e64 v[56:57], v[60:61], -v[56:57]
	v_add_f64_e64 v[54:55], v[54:55], -v[68:69]
	s_delay_alu instid0(VALU_DEP_4) | instskip(NEXT) | instid1(VALU_DEP_4)
	v_add_f64_e32 v[46:47], v[46:47], v[24:25]
	v_add_f64_e64 v[60:61], v[58:59], -v[66:67]
	s_delay_alu instid0(VALU_DEP_3) | instskip(NEXT) | instid1(VALU_DEP_3)
	v_add_f64_e32 v[44:45], v[44:45], v[54:55]
	v_add_f64_e32 v[64:65], v[52:53], v[46:47]
	s_delay_alu instid0(VALU_DEP_3) | instskip(NEXT) | instid1(VALU_DEP_2)
	v_add_f64_e32 v[56:57], v[56:57], v[60:61]
	v_cvt_i32_f64_e32 v25, v[64:65]
	s_delay_alu instid0(VALU_DEP_2) | instskip(NEXT) | instid1(VALU_DEP_2)
	v_add_f64_e32 v[44:45], v[56:57], v[44:45]
	v_cvt_f64_i32_e32 v[62:63], v25
	s_delay_alu instid0(VALU_DEP_2) | instskip(NEXT) | instid1(VALU_DEP_2)
	v_add_f64_e32 v[12:13], v[12:13], v[44:45]
	v_add_f64_e64 v[46:47], v[46:47], -v[62:63]
	s_delay_alu instid0(VALU_DEP_2) | instskip(NEXT) | instid1(VALU_DEP_2)
	v_add_f64_e32 v[12:13], v[18:19], v[12:13]
	v_add_f64_e32 v[54:55], v[52:53], v[46:47]
	s_delay_alu instid0(VALU_DEP_1) | instskip(SKIP_1) | instid1(VALU_DEP_2)
	v_add_f64_e64 v[44:45], v[54:55], -v[46:47]
	v_cmp_le_f64_e32 vcc_lo, 0.5, v[54:55]
	v_add_f64_e64 v[18:19], v[52:53], -v[44:45]
	v_add_co_ci_u32_e64 v50, null, 0, v25, vcc_lo
	v_cndmask_b32_e64 v25, 0, 0x3ff00000, vcc_lo
	s_delay_alu instid0(VALU_DEP_3) | instskip(NEXT) | instid1(VALU_DEP_2)
	v_add_f64_e32 v[12:13], v[12:13], v[18:19]
	v_add_f64_e64 v[18:19], v[54:55], -v[24:25]
	s_delay_alu instid0(VALU_DEP_1) | instskip(NEXT) | instid1(VALU_DEP_1)
	v_add_f64_e32 v[44:45], v[18:19], v[12:13]
	v_mul_f64_e32 v[46:47], 0x3ff921fb54442d18, v[44:45]
	v_add_f64_e64 v[18:19], v[44:45], -v[18:19]
	s_delay_alu instid0(VALU_DEP_2) | instskip(NEXT) | instid1(VALU_DEP_2)
	v_fma_f64 v[48:49], v[44:45], s[2:3], -v[46:47]
	v_add_f64_e64 v[12:13], v[12:13], -v[18:19]
	s_delay_alu instid0(VALU_DEP_2) | instskip(NEXT) | instid1(VALU_DEP_1)
	v_fmac_f64_e32 v[48:49], 0x3c91a62633145c07, v[44:45]
	v_fmac_f64_e32 v[48:49], 0x3ff921fb54442d18, v[12:13]
	s_delay_alu instid0(VALU_DEP_1) | instskip(NEXT) | instid1(VALU_DEP_1)
	v_add_f64_e32 v[12:13], v[46:47], v[48:49]
	v_add_f64_e64 v[18:19], v[12:13], -v[46:47]
	s_delay_alu instid0(VALU_DEP_1)
	v_add_f64_e64 v[18:19], v[48:49], -v[18:19]
.LBB99_285:                             ;   in Loop: Header=BB99_180 Depth=1
	s_or_saveexec_b32 s1, s1
	v_mul_f64_e64 v[44:45], |v[10:11]|, s[4:5]
	s_delay_alu instid0(VALU_DEP_1)
	v_rndne_f64_e32 v[48:49], v[44:45]
	s_xor_b32 exec_lo, exec_lo, s1
	s_cbranch_execz .LBB99_287
; %bb.286:                              ;   in Loop: Header=BB99_180 Depth=1
	s_delay_alu instid0(VALU_DEP_1) | instskip(SKIP_2) | instid1(VALU_DEP_3)
	v_fma_f64 v[12:13], v[48:49], s[6:7], |v[10:11]|
	v_mul_f64_e32 v[18:19], 0xbc91a62633145c00, v[48:49]
	v_cvt_i32_f64_e32 v50, v[48:49]
	v_fmamk_f64 v[52:53], v[48:49], 0xbc91a62633145c00, v[12:13]
	s_delay_alu instid0(VALU_DEP_3) | instskip(NEXT) | instid1(VALU_DEP_1)
	v_add_f64_e32 v[44:45], v[12:13], v[18:19]
	v_add_f64_e64 v[46:47], v[12:13], -v[44:45]
	s_delay_alu instid0(VALU_DEP_3) | instskip(NEXT) | instid1(VALU_DEP_2)
	v_add_f64_e64 v[12:13], v[44:45], -v[52:53]
	v_add_f64_e32 v[44:45], v[46:47], v[18:19]
	v_fmamk_f64 v[18:19], v[48:49], 0x3c91a62633145c00, v[18:19]
	s_delay_alu instid0(VALU_DEP_2) | instskip(NEXT) | instid1(VALU_DEP_1)
	v_add_f64_e32 v[12:13], v[12:13], v[44:45]
	v_add_f64_e64 v[18:19], v[12:13], -v[18:19]
	s_delay_alu instid0(VALU_DEP_1) | instskip(NEXT) | instid1(VALU_DEP_1)
	v_fmac_f64_e32 v[18:19], 0xb97b839a252049c0, v[48:49]
	v_add_f64_e32 v[12:13], v[52:53], v[18:19]
	s_delay_alu instid0(VALU_DEP_1) | instskip(NEXT) | instid1(VALU_DEP_1)
	v_add_f64_e64 v[44:45], v[12:13], -v[52:53]
	v_add_f64_e64 v[18:19], v[18:19], -v[44:45]
.LBB99_287:                             ;   in Loop: Header=BB99_180 Depth=1
	s_or_b32 exec_lo, exec_lo, s1
                                        ; implicit-def: $vgpr52
                                        ; implicit-def: $vgpr44_vgpr45
                                        ; implicit-def: $vgpr46_vgpr47
	s_and_saveexec_b32 s1, s0
	s_delay_alu instid0(SALU_CYCLE_1)
	s_xor_b32 s0, exec_lo, s1
	s_cbranch_execz .LBB99_289
; %bb.288:                              ;   in Loop: Header=BB99_180 Depth=1
	v_cmp_le_f64_e64 vcc_lo, 0x7b000000, |v[10:11]|
	v_dual_cndmask_b32 v43, v51, v43 :: v_dual_cndmask_b32 v42, v10, v42
	s_delay_alu instid0(VALU_DEP_1) | instskip(SKIP_2) | instid1(VALU_DEP_3)
	v_mul_f64_e32 v[44:45], v[40:41], v[42:43]
	v_mul_f64_e32 v[46:47], v[38:39], v[42:43]
	;; [unrolled: 1-line block ×3, first 2 shown]
	v_fma_f64 v[40:41], v[40:41], v[42:43], -v[44:45]
	s_delay_alu instid0(VALU_DEP_3) | instskip(NEXT) | instid1(VALU_DEP_3)
	v_fma_f64 v[38:39], v[38:39], v[42:43], -v[46:47]
	v_fma_f64 v[36:37], v[36:37], v[42:43], -v[58:59]
	s_delay_alu instid0(VALU_DEP_3) | instskip(NEXT) | instid1(VALU_DEP_1)
	v_add_f64_e32 v[48:49], v[46:47], v[40:41]
	v_add_f64_e64 v[52:53], v[48:49], -v[46:47]
	v_add_f64_e32 v[56:57], v[44:45], v[48:49]
	s_delay_alu instid0(VALU_DEP_2) | instskip(SKIP_1) | instid1(VALU_DEP_3)
	v_add_f64_e64 v[54:55], v[48:49], -v[52:53]
	v_add_f64_e64 v[40:41], v[40:41], -v[52:53]
	v_ldexp_f64 v[52:53], v[56:57], -2
	v_add_f64_e64 v[44:45], v[56:57], -v[44:45]
	s_delay_alu instid0(VALU_DEP_4) | instskip(SKIP_1) | instid1(VALU_DEP_4)
	v_add_f64_e64 v[46:47], v[46:47], -v[54:55]
	v_add_f64_e32 v[54:55], v[58:59], v[38:39]
	v_cmp_neq_f64_e64 vcc_lo, 0x7ff00000, |v[52:53]|
	s_delay_alu instid0(VALU_DEP_3) | instskip(SKIP_1) | instid1(VALU_DEP_1)
	v_add_f64_e32 v[40:41], v[40:41], v[46:47]
	v_fract_f64_e32 v[46:47], v[52:53]
	v_ldexp_f64 v[46:47], v[46:47], 2
	s_delay_alu instid0(VALU_DEP_1) | instskip(NEXT) | instid1(VALU_DEP_2)
	v_dual_add_f64 v[44:45], v[48:49], -v[44:45] :: v_dual_cndmask_b32 v47, 0, v47, vcc_lo
	v_dual_add_f64 v[48:49], v[54:55], v[40:41] :: v_dual_cndmask_b32 v46, 0, v46, vcc_lo
	s_delay_alu instid0(VALU_DEP_1) | instskip(SKIP_1) | instid1(VALU_DEP_2)
	v_add_f64_e32 v[52:53], v[44:45], v[48:49]
	v_add_f64_e64 v[60:61], v[48:49], -v[54:55]
	v_add_f64_e32 v[56:57], v[52:53], v[46:47]
	s_delay_alu instid0(VALU_DEP_2) | instskip(SKIP_2) | instid1(VALU_DEP_4)
	v_add_f64_e64 v[66:67], v[48:49], -v[60:61]
	v_add_f64_e64 v[40:41], v[40:41], -v[60:61]
	;; [unrolled: 1-line block ×3, first 2 shown]
	v_cmp_gt_f64_e32 vcc_lo, 0, v[56:57]
	v_add_f64_e64 v[56:57], v[54:55], -v[58:59]
	s_delay_alu instid0(VALU_DEP_3) | instskip(SKIP_1) | instid1(VALU_DEP_3)
	v_add_f64_e64 v[42:43], v[48:49], -v[42:43]
                                        ; implicit-def: $vgpr48_vgpr49
	v_cndmask_b32_e64 v25, 0, 0x40100000, vcc_lo
	v_add_f64_e64 v[64:65], v[54:55], -v[56:57]
	v_add_f64_e64 v[38:39], v[38:39], -v[56:57]
	;; [unrolled: 1-line block ×3, first 2 shown]
	s_delay_alu instid0(VALU_DEP_4) | instskip(NEXT) | instid1(VALU_DEP_4)
	v_add_f64_e32 v[46:47], v[46:47], v[24:25]
	v_add_f64_e64 v[56:57], v[58:59], -v[64:65]
	s_delay_alu instid0(VALU_DEP_3) | instskip(NEXT) | instid1(VALU_DEP_3)
	v_add_f64_e32 v[40:41], v[40:41], v[54:55]
	v_add_f64_e32 v[62:63], v[52:53], v[46:47]
	s_delay_alu instid0(VALU_DEP_3) | instskip(NEXT) | instid1(VALU_DEP_2)
	v_add_f64_e32 v[38:39], v[38:39], v[56:57]
	v_cvt_i32_f64_e32 v25, v[62:63]
	s_delay_alu instid0(VALU_DEP_2) | instskip(NEXT) | instid1(VALU_DEP_2)
	v_add_f64_e32 v[38:39], v[38:39], v[40:41]
	v_cvt_f64_i32_e32 v[60:61], v25
	s_delay_alu instid0(VALU_DEP_2) | instskip(NEXT) | instid1(VALU_DEP_2)
	v_add_f64_e32 v[36:37], v[36:37], v[38:39]
	v_add_f64_e64 v[46:47], v[46:47], -v[60:61]
	s_delay_alu instid0(VALU_DEP_2) | instskip(NEXT) | instid1(VALU_DEP_2)
	v_add_f64_e32 v[36:37], v[42:43], v[36:37]
	v_add_f64_e32 v[40:41], v[52:53], v[46:47]
	s_delay_alu instid0(VALU_DEP_1) | instskip(SKIP_1) | instid1(VALU_DEP_2)
	v_add_f64_e64 v[38:39], v[40:41], -v[46:47]
	v_cmp_le_f64_e32 vcc_lo, 0.5, v[40:41]
	v_add_f64_e64 v[38:39], v[52:53], -v[38:39]
	v_add_co_ci_u32_e64 v52, null, 0, v25, vcc_lo
	v_cndmask_b32_e64 v25, 0, 0x3ff00000, vcc_lo
	s_delay_alu instid0(VALU_DEP_3) | instskip(NEXT) | instid1(VALU_DEP_2)
	v_add_f64_e32 v[36:37], v[36:37], v[38:39]
	v_add_f64_e64 v[38:39], v[40:41], -v[24:25]
	s_delay_alu instid0(VALU_DEP_1) | instskip(NEXT) | instid1(VALU_DEP_1)
	v_add_f64_e32 v[40:41], v[38:39], v[36:37]
	v_mul_f64_e32 v[42:43], 0x3ff921fb54442d18, v[40:41]
	v_add_f64_e64 v[38:39], v[40:41], -v[38:39]
	s_delay_alu instid0(VALU_DEP_2) | instskip(NEXT) | instid1(VALU_DEP_2)
	v_fma_f64 v[46:47], v[40:41], s[2:3], -v[42:43]
	v_add_f64_e64 v[36:37], v[36:37], -v[38:39]
	s_delay_alu instid0(VALU_DEP_2) | instskip(NEXT) | instid1(VALU_DEP_1)
	v_fmac_f64_e32 v[46:47], 0x3c91a62633145c07, v[40:41]
	v_fmac_f64_e32 v[46:47], 0x3ff921fb54442d18, v[36:37]
	s_delay_alu instid0(VALU_DEP_1) | instskip(NEXT) | instid1(VALU_DEP_1)
	v_add_f64_e32 v[44:45], v[42:43], v[46:47]
	v_add_f64_e64 v[36:37], v[44:45], -v[42:43]
	s_delay_alu instid0(VALU_DEP_1)
	v_add_f64_e64 v[46:47], v[46:47], -v[36:37]
	s_and_not1_saveexec_b32 s0, s0
	s_cbranch_execnz .LBB99_290
	s_branch .LBB99_291
.LBB99_289:                             ;   in Loop: Header=BB99_180 Depth=1
	s_and_not1_saveexec_b32 s0, s0
	s_cbranch_execz .LBB99_291
.LBB99_290:                             ;   in Loop: Header=BB99_180 Depth=1
	s_delay_alu instid0(VALU_DEP_1) | instskip(SKIP_2) | instid1(VALU_DEP_2)
	v_fma_f64 v[36:37], v[48:49], s[6:7], |v[10:11]|
	v_mul_f64_e32 v[38:39], 0xbc91a62633145c00, v[48:49]
	v_cvt_i32_f64_e32 v52, v[48:49]
	v_add_f64_e32 v[40:41], v[36:37], v[38:39]
	s_delay_alu instid0(VALU_DEP_1) | instskip(SKIP_1) | instid1(VALU_DEP_1)
	v_add_f64_e64 v[42:43], v[36:37], -v[40:41]
	v_fmamk_f64 v[36:37], v[48:49], 0xbc91a62633145c00, v[36:37]
	v_add_f64_e64 v[40:41], v[40:41], -v[36:37]
	s_delay_alu instid0(VALU_DEP_3) | instskip(SKIP_1) | instid1(VALU_DEP_2)
	v_add_f64_e32 v[42:43], v[42:43], v[38:39]
	v_fmamk_f64 v[38:39], v[48:49], 0x3c91a62633145c00, v[38:39]
	v_add_f64_e32 v[40:41], v[40:41], v[42:43]
	s_delay_alu instid0(VALU_DEP_1) | instskip(NEXT) | instid1(VALU_DEP_1)
	v_add_f64_e64 v[38:39], v[40:41], -v[38:39]
	v_fmac_f64_e32 v[38:39], 0xb97b839a252049c0, v[48:49]
	s_delay_alu instid0(VALU_DEP_1) | instskip(NEXT) | instid1(VALU_DEP_1)
	v_add_f64_e32 v[44:45], v[36:37], v[38:39]
	v_add_f64_e64 v[36:37], v[44:45], -v[36:37]
	s_delay_alu instid0(VALU_DEP_1)
	v_add_f64_e64 v[46:47], v[38:39], -v[36:37]
.LBB99_291:                             ;   in Loop: Header=BB99_180 Depth=1
	s_or_b32 exec_lo, exec_lo, s0
	v_dual_mul_f64 v[36:37], v[12:13], v[12:13] :: v_dual_bitop2_b32 v25, 1, v50 bitop3:0x40
	v_cmp_class_f64_e64 s0, v[10:11], 0x1f8
	v_mul_f64_e32 v[38:39], v[44:45], v[44:45]
	s_delay_alu instid0(VALU_DEP_4) | instskip(NEXT) | instid1(VALU_DEP_4)
	v_dual_mul_f64 v[64:65], 0.5, v[46:47] :: v_dual_bitop2_b32 v10, 1, v52 bitop3:0x40
	v_cmp_eq_u32_e32 vcc_lo, 0, v25
	v_mul_f64_e32 v[56:57], 0.5, v[18:19]
	s_delay_alu instid0(VALU_DEP_3)
	v_cmp_eq_u32_e64 s1, 0, v10
	v_lshlrev_b32_e32 v10, 30, v52
	v_mul_f64_e32 v[40:41], 0.5, v[36:37]
	v_mul_f64_e64 v[58:59], v[12:13], -v[36:37]
	v_fmamk_f64 v[62:63], v[36:37], 0x3de5e0b2f9a43bb8, v[32:33]
	v_fmamk_f64 v[68:69], v[38:39], 0x3de5e0b2f9a43bb8, v[32:33]
	s_delay_alu instid0(VALU_DEP_2) | instskip(NEXT) | instid1(VALU_DEP_2)
	v_fmaak_f64 v[62:63], v[36:37], v[62:63], 0x3ec71de3796cde01
	v_fmaak_f64 v[68:69], v[38:39], v[68:69], 0x3ec71de3796cde01
	s_delay_alu instid0(VALU_DEP_2) | instskip(NEXT) | instid1(VALU_DEP_1)
	v_fmaak_f64 v[62:63], v[36:37], v[62:63], 0xbf2a01a019e83e5c
	v_fmaak_f64 v[62:63], v[36:37], v[62:63], 0x3f81111111110bb3
	v_add_f64_e64 v[48:49], -v[40:41], 1.0
	s_delay_alu instid0(VALU_DEP_2) | instskip(SKIP_1) | instid1(VALU_DEP_3)
	v_fmac_f64_e32 v[56:57], v[58:59], v[62:63]
	v_mul_f64_e32 v[62:63], v[36:37], v[36:37]
	v_add_f64_e64 v[60:61], -v[48:49], 1.0
	s_delay_alu instid0(VALU_DEP_3) | instskip(NEXT) | instid1(VALU_DEP_2)
	v_fma_f64 v[56:57], v[36:37], v[56:57], -v[18:19]
	v_add_f64_e64 v[40:41], v[60:61], -v[40:41]
	s_delay_alu instid0(VALU_DEP_2) | instskip(SKIP_1) | instid1(VALU_DEP_1)
	v_fmac_f64_e32 v[56:57], 0xbfc5555555555555, v[58:59]
	v_fmaak_f64 v[60:61], v[38:39], v[68:69], 0xbf2a01a019e83e5c
	v_fmaak_f64 v[60:61], v[38:39], v[60:61], 0x3f81111111110bb3
	s_delay_alu instid0(VALU_DEP_4) | instskip(NEXT) | instid1(VALU_DEP_4)
	v_fma_f64 v[18:19], v[12:13], -v[18:19], v[40:41]
	v_add_f64_e64 v[12:13], v[12:13], -v[56:57]
	v_mul_f64_e64 v[66:67], v[44:45], -v[38:39]
	s_delay_alu instid0(VALU_DEP_1) | instskip(SKIP_1) | instid1(VALU_DEP_1)
	v_fmac_f64_e32 v[64:65], v[66:67], v[60:61]
	v_fmamk_f64 v[60:61], v[36:37], 0xbda907db46cc5e42, v[30:31]
	v_fmaak_f64 v[40:41], v[36:37], v[60:61], 0xbe927e4fa17f65f6
	s_delay_alu instid0(VALU_DEP_1) | instskip(NEXT) | instid1(VALU_DEP_1)
	v_fmaak_f64 v[40:41], v[36:37], v[40:41], 0x3efa01a019f4ec90
	v_fmaak_f64 v[40:41], v[36:37], v[40:41], 0xbf56c16c16c16967
	s_delay_alu instid0(VALU_DEP_1) | instskip(NEXT) | instid1(VALU_DEP_1)
	v_fmaak_f64 v[36:37], v[36:37], v[40:41], 0x3fa5555555555555
	v_fmac_f64_e32 v[18:19], v[62:63], v[36:37]
	s_delay_alu instid0(VALU_DEP_1) | instskip(NEXT) | instid1(VALU_DEP_1)
	v_add_f64_e32 v[18:19], v[48:49], v[18:19]
	v_dual_cndmask_b32 v12, v18, v12, vcc_lo :: v_dual_lshlrev_b32 v18, 30, v50
	v_mul_f64_e32 v[42:43], 0.5, v[38:39]
	v_fma_f64 v[60:61], v[38:39], v[64:65], -v[46:47]
	v_fmamk_f64 v[64:65], v[38:39], 0xbda907db46cc5e42, v[30:31]
	v_mul_f64_e32 v[68:69], v[38:39], v[38:39]
	v_dual_cndmask_b32 v13, v19, v13, vcc_lo :: v_dual_bitop2_b32 v11, v18, v11 bitop3:0x14
	s_delay_alu instid0(VALU_DEP_3) | instskip(NEXT) | instid1(VALU_DEP_2)
	v_fmaak_f64 v[40:41], v[38:39], v[64:65], 0xbe927e4fa17f65f6
	v_bitop3_b32 v11, v13, v11, 0x80000000 bitop3:0x78
	s_delay_alu instid0(VALU_DEP_1) | instskip(NEXT) | instid1(VALU_DEP_3)
	v_cndmask_b32_e64 v11, 0x7ff80000, v11, s0
	v_fmaak_f64 v[36:37], v[38:39], v[40:41], 0x3efa01a019f4ec90
	s_delay_alu instid0(VALU_DEP_1) | instskip(NEXT) | instid1(VALU_DEP_1)
	v_fmaak_f64 v[36:37], v[38:39], v[36:37], 0xbf56c16c16c16967
	v_fmaak_f64 v[36:37], v[38:39], v[36:37], 0x3fa5555555555555
	v_add_f64_e64 v[54:55], -v[42:43], 1.0
	v_fmac_f64_e32 v[60:61], 0xbfc5555555555555, v[66:67]
	s_delay_alu instid0(VALU_DEP_2) | instskip(NEXT) | instid1(VALU_DEP_1)
	v_add_f64_e64 v[70:71], -v[54:55], 1.0
	v_add_f64_e64 v[42:43], v[70:71], -v[42:43]
	s_delay_alu instid0(VALU_DEP_1) | instskip(NEXT) | instid1(VALU_DEP_1)
	v_fma_f64 v[42:43], v[44:45], -v[46:47], v[42:43]
	v_fmac_f64_e32 v[42:43], v[68:69], v[36:37]
	v_add_f64_e64 v[36:37], v[44:45], -v[60:61]
	s_delay_alu instid0(VALU_DEP_2) | instskip(NEXT) | instid1(VALU_DEP_2)
	v_add_f64_e32 v[38:39], v[54:55], v[42:43]
	v_xor_b32_e32 v25, 0x80000000, v37
	s_delay_alu instid0(VALU_DEP_1) | instskip(NEXT) | instid1(VALU_DEP_1)
	v_dual_cndmask_b32 v19, v25, v39, s1 :: v_dual_cndmask_b32 v18, v36, v38, s1
	v_bitop3_b32 v13, v19, v10, 0x80000000 bitop3:0x78
	s_delay_alu instid0(VALU_DEP_2) | instskip(NEXT) | instid1(VALU_DEP_2)
	v_dual_cndmask_b32 v10, 0, v12, s0 :: v_dual_cndmask_b32 v12, 0, v18, s0
	v_cndmask_b32_e64 v13, 0x7ff80000, v13, s0
	s_delay_alu instid0(VALU_DEP_1)
	v_mul_f64_e32 v[10:11], v[10:11], v[12:13]
.LBB99_292:                             ;   in Loop: Header=BB99_180 Depth=1
	s_or_b32 exec_lo, exec_lo, s22
	s_delay_alu instid0(VALU_DEP_1) | instskip(SKIP_1) | instid1(VALU_DEP_2)
	v_bfi_b32 v25, 0x7fffffff, 0, v11
	v_add_nc_u32_e32 v21, -2.0, v21
	v_mov_b64_e32 v[18:19], v[24:25]
.LBB99_293:                             ;   in Loop: Header=BB99_180 Depth=1
	s_or_b32 exec_lo, exec_lo, s21
.LBB99_294:                             ;   in Loop: Header=BB99_180 Depth=1
	s_delay_alu instid0(SALU_CYCLE_1) | instskip(SKIP_3) | instid1(VALU_DEP_2)
	s_or_b32 exec_lo, exec_lo, s20
	v_xor_b32_e32 v13, 0x80000000, v5
	v_mov_b32_e32 v12, v4
	s_mov_b32 s0, exec_lo
	v_and_b32_e32 v25, 0x7fffffff, v13
	s_delay_alu instid0(VALU_DEP_1)
	v_cmpx_gt_u32_e32 0x7ff00000, v25
	s_xor_b32 s1, exec_lo, s0
	s_cbranch_execz .LBB99_316
; %bb.295:                              ;   in Loop: Header=BB99_180 Depth=1
	v_cmp_class_f64_e64 s0, v[2:3], 0x1f8
                                        ; implicit-def: $vgpr10_vgpr11
	s_and_saveexec_b32 s20, s0
	s_delay_alu instid0(SALU_CYCLE_1)
	s_xor_b32 s20, exec_lo, s20
	s_cbranch_execz .LBB99_313
; %bb.296:                              ;   in Loop: Header=BB99_180 Depth=1
                                        ; implicit-def: $vgpr10_vgpr11
	s_mov_b32 s0, exec_lo
	v_cmpx_gt_u32_e32 0x40360000, v25
	s_xor_b32 s21, exec_lo, s0
	s_cbranch_execz .LBB99_302
; %bb.297:                              ;   in Loop: Header=BB99_180 Depth=1
	v_cmp_ngt_f64_e64 s0, 0x41d00000, |v[2:3]|
                                        ; implicit-def: $vgpr36
                                        ; implicit-def: $vgpr10_vgpr11
                                        ; implicit-def: $vgpr12_vgpr13
	s_and_saveexec_b32 s22, s0
	s_delay_alu instid0(SALU_CYCLE_1)
	s_xor_b32 s0, exec_lo, s22
	s_cbranch_execz .LBB99_299
; %bb.298:                              ;   in Loop: Header=BB99_180 Depth=1
	v_ldexp_f64 v[10:11], |v[2:3]|, 0xffffff80
	v_cmp_le_f64_e64 vcc_lo, 0x7b000000, |v[2:3]|
	v_trig_preop_f64 v[12:13], |v[2:3]|, 0
	v_and_b32_e32 v25, 0x7fffffff, v3
	v_trig_preop_f64 v[36:37], |v[2:3]|, 1
	v_trig_preop_f64 v[46:47], |v[2:3]|, 2
	s_delay_alu instid0(VALU_DEP_3) | instskip(NEXT) | instid1(VALU_DEP_1)
	v_dual_cndmask_b32 v11, v25, v11 :: v_dual_cndmask_b32 v10, v2, v10
	v_mul_f64_e32 v[38:39], v[12:13], v[10:11]
	s_delay_alu instid0(VALU_DEP_4) | instskip(NEXT) | instid1(VALU_DEP_4)
	v_mul_f64_e32 v[40:41], v[36:37], v[10:11]
	v_mul_f64_e32 v[52:53], v[46:47], v[10:11]
	s_delay_alu instid0(VALU_DEP_3) | instskip(NEXT) | instid1(VALU_DEP_3)
	v_fma_f64 v[12:13], v[12:13], v[10:11], -v[38:39]
	v_fma_f64 v[36:37], v[36:37], v[10:11], -v[40:41]
	s_delay_alu instid0(VALU_DEP_3) | instskip(NEXT) | instid1(VALU_DEP_3)
	v_fma_f64 v[10:11], v[46:47], v[10:11], -v[52:53]
	v_add_f64_e32 v[42:43], v[40:41], v[12:13]
	s_delay_alu instid0(VALU_DEP_1) | instskip(SKIP_1) | instid1(VALU_DEP_2)
	v_add_f64_e64 v[44:45], v[42:43], -v[40:41]
	v_add_f64_e32 v[50:51], v[38:39], v[42:43]
	v_add_f64_e64 v[48:49], v[42:43], -v[44:45]
	v_add_f64_e64 v[12:13], v[12:13], -v[44:45]
	s_delay_alu instid0(VALU_DEP_3) | instskip(NEXT) | instid1(VALU_DEP_3)
	v_ldexp_f64 v[44:45], v[50:51], -2
	v_add_f64_e64 v[40:41], v[40:41], -v[48:49]
	v_add_f64_e32 v[48:49], v[52:53], v[36:37]
	s_delay_alu instid0(VALU_DEP_3) | instskip(NEXT) | instid1(VALU_DEP_3)
	v_cmp_neq_f64_e64 vcc_lo, 0x7ff00000, |v[44:45]|
	v_add_f64_e32 v[12:13], v[12:13], v[40:41]
	v_fract_f64_e32 v[40:41], v[44:45]
	s_delay_alu instid0(VALU_DEP_1) | instskip(NEXT) | instid1(VALU_DEP_1)
	v_ldexp_f64 v[40:41], v[40:41], 2
	v_dual_add_f64 v[38:39], v[50:51], -v[38:39] :: v_dual_cndmask_b32 v41, 0, v41, vcc_lo
	s_delay_alu instid0(VALU_DEP_1) | instskip(SKIP_1) | instid1(VALU_DEP_1)
	v_dual_add_f64 v[38:39], v[42:43], -v[38:39] :: v_dual_cndmask_b32 v40, 0, v40, vcc_lo
	v_add_f64_e32 v[42:43], v[48:49], v[12:13]
	v_add_f64_e32 v[44:45], v[38:39], v[42:43]
	v_add_f64_e64 v[54:55], v[42:43], -v[48:49]
	s_delay_alu instid0(VALU_DEP_2) | instskip(NEXT) | instid1(VALU_DEP_2)
	v_add_f64_e32 v[50:51], v[44:45], v[40:41]
	v_add_f64_e64 v[60:61], v[42:43], -v[54:55]
	v_add_f64_e64 v[12:13], v[12:13], -v[54:55]
	;; [unrolled: 1-line block ×3, first 2 shown]
	s_delay_alu instid0(VALU_DEP_4) | instskip(SKIP_2) | instid1(VALU_DEP_2)
	v_cmp_gt_f64_e32 vcc_lo, 0, v[50:51]
	v_add_f64_e64 v[50:51], v[48:49], -v[52:53]
	v_cndmask_b32_e64 v25, 0, 0x40100000, vcc_lo
	v_add_f64_e64 v[58:59], v[48:49], -v[50:51]
	v_add_f64_e64 v[36:37], v[36:37], -v[50:51]
	;; [unrolled: 1-line block ×3, first 2 shown]
	s_delay_alu instid0(VALU_DEP_4) | instskip(NEXT) | instid1(VALU_DEP_4)
	v_add_f64_e32 v[40:41], v[40:41], v[24:25]
	v_add_f64_e64 v[50:51], v[52:53], -v[58:59]
	s_delay_alu instid0(VALU_DEP_3) | instskip(NEXT) | instid1(VALU_DEP_3)
	v_add_f64_e32 v[12:13], v[12:13], v[48:49]
	v_add_f64_e32 v[56:57], v[44:45], v[40:41]
	s_delay_alu instid0(VALU_DEP_3) | instskip(NEXT) | instid1(VALU_DEP_2)
	v_add_f64_e32 v[36:37], v[36:37], v[50:51]
	v_cvt_i32_f64_e32 v25, v[56:57]
	s_delay_alu instid0(VALU_DEP_2) | instskip(SKIP_1) | instid1(VALU_DEP_3)
	v_add_f64_e32 v[12:13], v[36:37], v[12:13]
	v_add_f64_e64 v[36:37], v[42:43], -v[38:39]
	v_cvt_f64_i32_e32 v[54:55], v25
	s_delay_alu instid0(VALU_DEP_3) | instskip(NEXT) | instid1(VALU_DEP_2)
	v_add_f64_e32 v[10:11], v[10:11], v[12:13]
	v_add_f64_e64 v[40:41], v[40:41], -v[54:55]
	s_delay_alu instid0(VALU_DEP_2) | instskip(NEXT) | instid1(VALU_DEP_2)
	v_add_f64_e32 v[10:11], v[36:37], v[10:11]
	v_add_f64_e32 v[46:47], v[44:45], v[40:41]
	s_delay_alu instid0(VALU_DEP_1) | instskip(SKIP_1) | instid1(VALU_DEP_2)
	v_add_f64_e64 v[12:13], v[46:47], -v[40:41]
	v_cmp_le_f64_e32 vcc_lo, 0.5, v[46:47]
	v_add_f64_e64 v[12:13], v[44:45], -v[12:13]
	v_add_co_ci_u32_e64 v36, null, 0, v25, vcc_lo
	v_cndmask_b32_e64 v25, 0, 0x3ff00000, vcc_lo
	s_delay_alu instid0(VALU_DEP_3) | instskip(NEXT) | instid1(VALU_DEP_2)
	v_add_f64_e32 v[10:11], v[10:11], v[12:13]
	v_add_f64_e64 v[12:13], v[46:47], -v[24:25]
	s_delay_alu instid0(VALU_DEP_1) | instskip(NEXT) | instid1(VALU_DEP_1)
	v_add_f64_e32 v[38:39], v[12:13], v[10:11]
	v_mul_f64_e32 v[40:41], 0x3ff921fb54442d18, v[38:39]
	v_add_f64_e64 v[12:13], v[38:39], -v[12:13]
	s_delay_alu instid0(VALU_DEP_2) | instskip(NEXT) | instid1(VALU_DEP_2)
	v_fma_f64 v[42:43], v[38:39], s[2:3], -v[40:41]
	v_add_f64_e64 v[10:11], v[10:11], -v[12:13]
	s_delay_alu instid0(VALU_DEP_2) | instskip(NEXT) | instid1(VALU_DEP_1)
	v_fmac_f64_e32 v[42:43], 0x3c91a62633145c07, v[38:39]
	v_fmac_f64_e32 v[42:43], 0x3ff921fb54442d18, v[10:11]
	s_delay_alu instid0(VALU_DEP_1) | instskip(NEXT) | instid1(VALU_DEP_1)
	v_add_f64_e32 v[10:11], v[40:41], v[42:43]
	v_add_f64_e64 v[12:13], v[10:11], -v[40:41]
	s_delay_alu instid0(VALU_DEP_1)
	v_add_f64_e64 v[12:13], v[42:43], -v[12:13]
.LBB99_299:                             ;   in Loop: Header=BB99_180 Depth=1
	s_and_not1_saveexec_b32 s0, s0
	s_cbranch_execz .LBB99_301
; %bb.300:                              ;   in Loop: Header=BB99_180 Depth=1
	v_mul_f64_e64 v[10:11], |v[2:3]|, s[4:5]
	s_delay_alu instid0(VALU_DEP_1) | instskip(NEXT) | instid1(VALU_DEP_1)
	v_rndne_f64_e32 v[36:37], v[10:11]
	v_fma_f64 v[10:11], v[36:37], s[6:7], |v[2:3]|
	v_mul_f64_e32 v[12:13], 0xbc91a62633145c00, v[36:37]
	s_delay_alu instid0(VALU_DEP_2) | instskip(NEXT) | instid1(VALU_DEP_2)
	v_fmamk_f64 v[42:43], v[36:37], 0xbc91a62633145c00, v[10:11]
	v_add_f64_e32 v[38:39], v[10:11], v[12:13]
	s_delay_alu instid0(VALU_DEP_1) | instskip(NEXT) | instid1(VALU_DEP_3)
	v_add_f64_e64 v[40:41], v[10:11], -v[38:39]
	v_add_f64_e64 v[10:11], v[38:39], -v[42:43]
	s_delay_alu instid0(VALU_DEP_2) | instskip(SKIP_1) | instid1(VALU_DEP_2)
	v_add_f64_e32 v[38:39], v[40:41], v[12:13]
	v_fmamk_f64 v[12:13], v[36:37], 0x3c91a62633145c00, v[12:13]
	v_add_f64_e32 v[10:11], v[10:11], v[38:39]
	s_delay_alu instid0(VALU_DEP_1) | instskip(NEXT) | instid1(VALU_DEP_1)
	v_add_f64_e64 v[12:13], v[10:11], -v[12:13]
	v_fmac_f64_e32 v[12:13], 0xb97b839a252049c0, v[36:37]
	v_cvt_i32_f64_e32 v36, v[36:37]
	s_delay_alu instid0(VALU_DEP_2) | instskip(NEXT) | instid1(VALU_DEP_1)
	v_add_f64_e32 v[10:11], v[42:43], v[12:13]
	v_add_f64_e64 v[38:39], v[10:11], -v[42:43]
	s_delay_alu instid0(VALU_DEP_1)
	v_add_f64_e64 v[12:13], v[12:13], -v[38:39]
.LBB99_301:                             ;   in Loop: Header=BB99_180 Depth=1
	s_or_b32 exec_lo, exec_lo, s0
	v_add_f64_e64 v[38:39], |v[4:5]|, s[8:9]
	v_cmp_nge_f64_e64 vcc_lo, |v[4:5]|, s[10:11]
	v_and_b32_e32 v37, 0x7fffffff, v5
	v_mul_f64_e32 v[56:57], v[10:11], v[10:11]
	v_add_f64_e32 v[58:59], v[12:13], v[12:13]
	v_add_f64_e64 v[40:41], v[38:39], -|v[4:5]|
	s_delay_alu instid0(VALU_DEP_3) | instskip(NEXT) | instid1(VALU_DEP_2)
	v_fma_f64 v[60:61], v[10:11], v[10:11], -v[56:57]
	v_add_f64_e64 v[42:43], v[40:41], -v[38:39]
	v_add_f64_e32 v[40:41], 0x3fe62e42fefa39ef, v[40:41]
	s_delay_alu instid0(VALU_DEP_3) | instskip(NEXT) | instid1(VALU_DEP_3)
	v_fmac_f64_e32 v[60:61], v[10:11], v[58:59]
	v_add_f64_e64 v[42:43], |v[4:5]|, v[42:43]
	s_delay_alu instid0(VALU_DEP_2) | instskip(NEXT) | instid1(VALU_DEP_2)
	v_add_f64_e32 v[56:57], v[56:57], v[60:61]
	v_add_f64_e64 v[40:41], v[42:43], -v[40:41]
	s_delay_alu instid0(VALU_DEP_2) | instskip(NEXT) | instid1(VALU_DEP_1)
	v_fmamk_f64 v[60:61], v[56:57], 0x3ef5e089c751c08c, v[26:27]
	v_fmaak_f64 v[60:61], v[56:57], v[60:61], 0x3f17746f90a8aae0
	s_delay_alu instid0(VALU_DEP_1) | instskip(NEXT) | instid1(VALU_DEP_4)
	v_fmaak_f64 v[60:61], v[56:57], v[60:61], 0xbefbb44da6fbf144
	v_add_f64_e32 v[40:41], 0xbc7abc9e3b39803f, v[40:41]
	s_delay_alu instid0(VALU_DEP_1) | instskip(NEXT) | instid1(VALU_DEP_1)
	v_add_f64_e32 v[42:43], v[38:39], v[40:41]
	v_mul_f64_e32 v[44:45], 0x3ff71547652b82fe, v[42:43]
	v_add_f64_e64 v[38:39], v[38:39], -v[42:43]
	s_delay_alu instid0(VALU_DEP_2) | instskip(NEXT) | instid1(VALU_DEP_2)
	v_rndne_f64_e32 v[44:45], v[44:45]
	v_add_f64_e32 v[38:39], v[40:41], v[38:39]
	s_delay_alu instid0(VALU_DEP_2) | instskip(SKIP_2) | instid1(VALU_DEP_3)
	v_fmac_f64_e32 v[42:43], 0xbfe62e42fefa3000, v[44:45]
	v_mul_f64_e32 v[40:41], 0xbd53de6af278e000, v[44:45]
	v_cvt_i32_f64_e32 v2, v[44:45]
	v_add_f64_e32 v[46:47], v[38:39], v[42:43]
	s_delay_alu instid0(VALU_DEP_1) | instskip(SKIP_1) | instid1(VALU_DEP_2)
	v_add_f64_e32 v[48:49], v[46:47], v[40:41]
	v_add_f64_e64 v[42:43], v[42:43], -v[46:47]
	v_add_f64_e64 v[46:47], v[46:47], -v[48:49]
	s_delay_alu instid0(VALU_DEP_2) | instskip(NEXT) | instid1(VALU_DEP_2)
	v_add_f64_e32 v[38:39], v[38:39], v[42:43]
	v_add_f64_e32 v[40:41], v[46:47], v[40:41]
	s_delay_alu instid0(VALU_DEP_1) | instskip(SKIP_1) | instid1(VALU_DEP_2)
	v_add_f64_e32 v[38:39], v[38:39], v[40:41]
	v_mul_f64_e32 v[40:41], 0xbac9cc01f97b57a0, v[44:45]
	v_add_f64_e32 v[42:43], v[48:49], v[38:39]
	s_delay_alu instid0(VALU_DEP_1) | instskip(SKIP_1) | instid1(VALU_DEP_2)
	v_add_f64_e32 v[46:47], v[42:43], v[40:41]
	v_add_f64_e64 v[48:49], v[48:49], -v[42:43]
	v_add_f64_e64 v[42:43], v[42:43], -v[46:47]
	s_delay_alu instid0(VALU_DEP_2) | instskip(NEXT) | instid1(VALU_DEP_2)
	v_add_f64_e32 v[38:39], v[38:39], v[48:49]
	v_add_f64_e32 v[40:41], v[42:43], v[40:41]
	s_delay_alu instid0(VALU_DEP_1) | instskip(NEXT) | instid1(VALU_DEP_1)
	v_add_f64_e32 v[38:39], v[38:39], v[40:41]
	v_add_f64_e32 v[40:41], v[46:47], v[38:39]
	s_delay_alu instid0(VALU_DEP_1) | instskip(SKIP_1) | instid1(VALU_DEP_2)
	v_add_f64_e64 v[42:43], v[46:47], -v[40:41]
	v_mul_f64_e32 v[46:47], v[40:41], v[40:41]
	v_add_f64_e32 v[38:39], v[38:39], v[42:43]
	s_delay_alu instid0(VALU_DEP_2) | instskip(NEXT) | instid1(VALU_DEP_2)
	v_fma_f64 v[42:43], v[40:41], v[40:41], -v[46:47]
	v_add_f64_e32 v[48:49], v[38:39], v[38:39]
	s_delay_alu instid0(VALU_DEP_1) | instskip(SKIP_1) | instid1(VALU_DEP_1)
	v_fmac_f64_e32 v[42:43], v[40:41], v[48:49]
	v_fmamk_f64 v[48:49], v[40:41], 0x3e5ade156a5dcb37, v[28:29]
	v_fmaak_f64 v[48:49], v[40:41], v[48:49], 0x3ec71dee623fde64
	s_delay_alu instid0(VALU_DEP_1) | instskip(NEXT) | instid1(VALU_DEP_1)
	v_fmaak_f64 v[48:49], v[40:41], v[48:49], 0x3efa01997c89e6b0
	v_fmaak_f64 v[48:49], v[40:41], v[48:49], 0x3f2a01a014761f6e
	s_delay_alu instid0(VALU_DEP_1) | instskip(SKIP_1) | instid1(VALU_DEP_2)
	v_fmaak_f64 v[48:49], v[40:41], v[48:49], 0x3f56c16c1852b7b0
	v_add_f64_e32 v[50:51], v[46:47], v[42:43]
	v_fmaak_f64 v[48:49], v[40:41], v[48:49], 0x3f81111111122322
	s_delay_alu instid0(VALU_DEP_1) | instskip(NEXT) | instid1(VALU_DEP_1)
	v_fmaak_f64 v[48:49], v[40:41], v[48:49], 0x3fa55555555502a1
	v_fmaak_f64 v[48:49], v[40:41], v[48:49], 0x3fc5555555555511
	s_delay_alu instid0(VALU_DEP_1) | instskip(SKIP_1) | instid1(VALU_DEP_2)
	v_fmaak_f64 v[48:49], v[40:41], v[48:49], 0x3fe000000000000b
	v_add_f64_e64 v[46:47], v[50:51], -v[46:47]
	v_mul_f64_e32 v[52:53], v[50:51], v[48:49]
	s_delay_alu instid0(VALU_DEP_2) | instskip(NEXT) | instid1(VALU_DEP_2)
	v_add_f64_e64 v[42:43], v[42:43], -v[46:47]
	v_fma_f64 v[46:47], v[50:51], v[48:49], -v[52:53]
	s_delay_alu instid0(VALU_DEP_1) | instskip(NEXT) | instid1(VALU_DEP_1)
	v_fmac_f64_e32 v[46:47], v[42:43], v[48:49]
	v_add_f64_e32 v[42:43], v[52:53], v[46:47]
	s_delay_alu instid0(VALU_DEP_1) | instskip(SKIP_1) | instid1(VALU_DEP_2)
	v_add_f64_e32 v[48:49], v[40:41], v[42:43]
	v_add_f64_e64 v[50:51], v[42:43], -v[52:53]
	v_add_f64_e64 v[40:41], v[48:49], -v[40:41]
	s_delay_alu instid0(VALU_DEP_2) | instskip(NEXT) | instid1(VALU_DEP_2)
	v_add_f64_e64 v[46:47], v[46:47], -v[50:51]
	v_add_f64_e64 v[40:41], v[42:43], -v[40:41]
	s_delay_alu instid0(VALU_DEP_2) | instskip(NEXT) | instid1(VALU_DEP_1)
	v_add_f64_e32 v[38:39], v[38:39], v[46:47]
	v_add_f64_e32 v[38:39], v[38:39], v[40:41]
	s_delay_alu instid0(VALU_DEP_1) | instskip(NEXT) | instid1(VALU_DEP_1)
	v_add_f64_e32 v[40:41], v[48:49], v[38:39]
	v_add_f64_e32 v[42:43], 1.0, v[40:41]
	v_add_f64_e64 v[46:47], v[40:41], -v[48:49]
	s_delay_alu instid0(VALU_DEP_2) | instskip(NEXT) | instid1(VALU_DEP_2)
	v_add_f64_e32 v[48:49], -1.0, v[42:43]
	v_add_f64_e64 v[38:39], v[38:39], -v[46:47]
	s_delay_alu instid0(VALU_DEP_2) | instskip(NEXT) | instid1(VALU_DEP_1)
	v_add_f64_e64 v[40:41], v[40:41], -v[48:49]
	v_add_f64_e32 v[38:39], v[38:39], v[40:41]
	s_delay_alu instid0(VALU_DEP_1) | instskip(NEXT) | instid1(VALU_DEP_1)
	v_add_f64_e32 v[40:41], v[42:43], v[38:39]
	v_ldexp_f64 v[44:45], v[40:41], v2
	v_add_f64_e64 v[40:41], v[40:41], -v[42:43]
	s_delay_alu instid0(VALU_DEP_2) | instskip(NEXT) | instid1(VALU_DEP_1)
	v_rcp_f64_e32 v[46:47], v[44:45]
	v_add_f64_e64 v[38:39], v[38:39], -v[40:41]
	s_delay_alu instid0(VALU_DEP_1) | instskip(NEXT) | instid1(TRANS32_DEP_1)
	v_ldexp_f64 v[38:39], v[38:39], v2
	v_fma_f64 v[48:49], -v[44:45], v[46:47], 1.0
	s_delay_alu instid0(VALU_DEP_1) | instskip(NEXT) | instid1(VALU_DEP_1)
	v_fmac_f64_e32 v[46:47], v[48:49], v[46:47]
	v_fma_f64 v[48:49], -v[44:45], v[46:47], 1.0
	s_delay_alu instid0(VALU_DEP_1) | instskip(NEXT) | instid1(VALU_DEP_1)
	v_fmac_f64_e32 v[46:47], v[48:49], v[46:47]
	v_mul_f64_e32 v[40:41], v[44:45], v[46:47]
	s_delay_alu instid0(VALU_DEP_1) | instskip(NEXT) | instid1(VALU_DEP_1)
	v_fma_f64 v[42:43], v[46:47], v[44:45], -v[40:41]
	v_fmac_f64_e32 v[42:43], v[46:47], v[38:39]
	s_delay_alu instid0(VALU_DEP_1) | instskip(NEXT) | instid1(VALU_DEP_1)
	v_add_f64_e32 v[48:49], v[40:41], v[42:43]
	v_add_f64_e64 v[50:51], -v[48:49], 1.0
	v_add_f64_e64 v[40:41], v[48:49], -v[40:41]
	s_delay_alu instid0(VALU_DEP_2) | instskip(NEXT) | instid1(VALU_DEP_2)
	v_add_f64_e64 v[52:53], -v[50:51], 1.0
	v_add_f64_e64 v[40:41], v[40:41], -v[42:43]
	s_delay_alu instid0(VALU_DEP_2) | instskip(NEXT) | instid1(VALU_DEP_1)
	v_add_f64_e64 v[42:43], v[52:53], -v[48:49]
	v_add_f64_e32 v[40:41], v[40:41], v[42:43]
	s_delay_alu instid0(VALU_DEP_1) | instskip(NEXT) | instid1(VALU_DEP_1)
	v_add_f64_e32 v[42:43], v[50:51], v[40:41]
	v_mul_f64_e32 v[48:49], v[46:47], v[42:43]
	v_add_f64_e64 v[50:51], v[50:51], -v[42:43]
	s_delay_alu instid0(VALU_DEP_2) | instskip(NEXT) | instid1(VALU_DEP_2)
	v_mul_f64_e32 v[52:53], v[44:45], v[48:49]
	v_add_f64_e32 v[40:41], v[40:41], v[50:51]
	s_delay_alu instid0(VALU_DEP_2) | instskip(NEXT) | instid1(VALU_DEP_1)
	v_fma_f64 v[54:55], v[48:49], v[44:45], -v[52:53]
	v_fmac_f64_e32 v[54:55], v[48:49], v[38:39]
	s_delay_alu instid0(VALU_DEP_1) | instskip(NEXT) | instid1(VALU_DEP_1)
	v_add_f64_e32 v[62:63], v[52:53], v[54:55]
	v_add_f64_e64 v[58:59], v[42:43], -v[62:63]
	v_add_f64_e64 v[50:51], v[62:63], -v[52:53]
	v_fmaak_f64 v[52:53], v[56:57], v[60:61], 0x3f21e634a7943acf
	s_delay_alu instid0(VALU_DEP_1) | instskip(NEXT) | instid1(VALU_DEP_1)
	v_fmaak_f64 v[52:53], v[56:57], v[52:53], 0x3f2d250fdeb68feb
	v_fmaak_f64 v[52:53], v[56:57], v[52:53], 0x3f437fd9b58c4d95
	s_delay_alu instid0(VALU_DEP_1) | instskip(NEXT) | instid1(VALU_DEP_1)
	v_fmaak_f64 v[52:53], v[56:57], v[52:53], 0x3f57d5af15120e2c
	v_fmaak_f64 v[52:53], v[56:57], v[52:53], 0x3f6d6d93e09491df
	v_add_f64_e64 v[42:43], v[42:43], -v[58:59]
	v_add_f64_e64 v[50:51], v[50:51], -v[54:55]
	s_delay_alu instid0(VALU_DEP_2) | instskip(NEXT) | instid1(VALU_DEP_1)
	v_add_f64_e64 v[42:43], v[42:43], -v[62:63]
	v_add_f64_e32 v[40:41], v[40:41], v[42:43]
	v_fmaak_f64 v[42:43], v[56:57], v[52:53], 0x3f8226e12033784d
	v_add_f64_e32 v[52:53], v[46:47], v[48:49]
	s_delay_alu instid0(VALU_DEP_2) | instskip(NEXT) | instid1(VALU_DEP_1)
	v_fmaak_f64 v[42:43], v[56:57], v[42:43], 0x3f9664f49ac36ae2
	v_fmaak_f64 v[42:43], v[56:57], v[42:43], 0x3faba1ba1b451c21
	s_delay_alu instid0(VALU_DEP_1) | instskip(NEXT) | instid1(VALU_DEP_1)
	v_fmaak_f64 v[42:43], v[56:57], v[42:43], 0x3fc11111111185b7
	v_fmaak_f64 v[42:43], v[56:57], v[42:43], 0x3fd55555555554ee
	v_add_f64_e32 v[40:41], v[50:51], v[40:41]
	v_add_f64_e64 v[50:51], v[52:53], -v[46:47]
	s_delay_alu instid0(VALU_DEP_3) | instskip(NEXT) | instid1(VALU_DEP_3)
	v_mul_f64_e32 v[42:43], v[56:57], v[42:43]
	v_add_f64_e32 v[40:41], v[58:59], v[40:41]
	s_delay_alu instid0(VALU_DEP_3) | instskip(NEXT) | instid1(VALU_DEP_3)
	v_add_f64_e64 v[48:49], v[48:49], -v[50:51]
	v_mul_f64_e32 v[54:55], v[10:11], v[42:43]
	s_delay_alu instid0(VALU_DEP_3) | instskip(NEXT) | instid1(VALU_DEP_2)
	v_mul_f64_e32 v[40:41], v[46:47], v[40:41]
	v_add_f64_e32 v[46:47], v[10:11], v[54:55]
	v_fma_f64 v[42:43], v[10:11], v[42:43], -v[54:55]
	s_delay_alu instid0(VALU_DEP_3) | instskip(NEXT) | instid1(VALU_DEP_3)
	v_add_f64_e32 v[40:41], v[48:49], v[40:41]
	v_add_f64_e64 v[10:11], v[46:47], -v[10:11]
	s_delay_alu instid0(VALU_DEP_3) | instskip(NEXT) | instid1(VALU_DEP_3)
	v_add_f64_e32 v[12:13], v[12:13], v[42:43]
	v_add_f64_e32 v[48:49], v[52:53], v[40:41]
	s_delay_alu instid0(VALU_DEP_3) | instskip(NEXT) | instid1(VALU_DEP_2)
	v_add_f64_e64 v[10:11], v[54:55], -v[10:11]
	v_ldexp_f64 v[42:43], v[48:49], -2
	v_add_f64_e64 v[48:49], v[48:49], -v[52:53]
	s_delay_alu instid0(VALU_DEP_3) | instskip(NEXT) | instid1(VALU_DEP_3)
	v_add_f64_e32 v[10:11], v[12:13], v[10:11]
	v_add_f64_e64 v[12:13], v[44:45], -v[42:43]
	s_delay_alu instid0(VALU_DEP_3) | instskip(NEXT) | instid1(VALU_DEP_3)
	v_add_f64_e64 v[40:41], v[40:41], -v[48:49]
	v_add_f64_e32 v[50:51], v[46:47], v[10:11]
	s_delay_alu instid0(VALU_DEP_3) | instskip(NEXT) | instid1(VALU_DEP_3)
	v_add_f64_e64 v[44:45], v[44:45], -v[12:13]
	v_ldexp_f64 v[40:41], v[40:41], -2
	s_delay_alu instid0(VALU_DEP_3) | instskip(NEXT) | instid1(VALU_DEP_2)
	v_rcp_f64_e32 v[52:53], v[50:51]
	v_add_f64_e64 v[42:43], v[44:45], -v[42:43]
	s_delay_alu instid0(TRANS32_DEP_1) | instskip(NEXT) | instid1(VALU_DEP_2)
	v_fma_f64 v[44:45], -v[50:51], v[52:53], 1.0
	v_add_f64_e32 v[38:39], v[38:39], v[42:43]
	s_delay_alu instid0(VALU_DEP_2) | instskip(NEXT) | instid1(VALU_DEP_2)
	v_fmac_f64_e32 v[52:53], v[44:45], v[52:53]
	v_add_f64_e64 v[38:39], v[38:39], -v[40:41]
	s_delay_alu instid0(VALU_DEP_2) | instskip(NEXT) | instid1(VALU_DEP_2)
	v_fma_f64 v[40:41], -v[50:51], v[52:53], 1.0
	v_add_f64_e32 v[12:13], v[12:13], v[38:39]
	s_delay_alu instid0(VALU_DEP_2) | instskip(NEXT) | instid1(VALU_DEP_2)
	v_fmac_f64_e32 v[52:53], v[40:41], v[52:53]
	v_cndmask_b32_e32 v2, 0x7ff00000, v13, vcc_lo
	s_delay_alu instid0(VALU_DEP_3) | instskip(SKIP_4) | instid1(VALU_DEP_4)
	v_cndmask_b32_e32 v25, 0, v12, vcc_lo
	v_cmp_gt_f64_e64 vcc_lo, 0x3e400000, |v[4:5]|
	v_xor_b32_e32 v5, 0x80000000, v5
	v_add_f64_e64 v[12:13], v[50:51], -v[46:47]
	v_mul_f64_e32 v[38:39], v[50:51], v[52:53]
	v_dual_cndmask_b32 v2, v2, v37, vcc_lo :: v_dual_cndmask_b32 v4, v25, v4, vcc_lo
	s_delay_alu instid0(VALU_DEP_3) | instskip(NEXT) | instid1(VALU_DEP_2)
	v_add_f64_e64 v[10:11], v[10:11], -v[12:13]
	v_bfi_b32 v5, 0x7fffffff, v2, v5
	s_delay_alu instid0(VALU_DEP_4) | instskip(NEXT) | instid1(VALU_DEP_2)
	v_fma_f64 v[12:13], v[52:53], v[50:51], -v[38:39]
	v_fma_f64 v[40:41], v[4:5], v[4:5], 1.0
	s_delay_alu instid0(VALU_DEP_2) | instskip(NEXT) | instid1(VALU_DEP_2)
	v_fmac_f64_e32 v[12:13], v[52:53], v[10:11]
	v_cmp_gt_f64_e32 vcc_lo, 0x10000000, v[40:41]
	v_cndmask_b32_e64 v2, 0, 0x100, vcc_lo
	s_delay_alu instid0(VALU_DEP_1) | instskip(NEXT) | instid1(VALU_DEP_4)
	v_ldexp_f64 v[10:11], v[40:41], v2
	v_add_f64_e32 v[40:41], v[38:39], v[12:13]
	v_and_b32_e32 v2, 1, v36
	s_delay_alu instid0(VALU_DEP_1) | instskip(NEXT) | instid1(VALU_DEP_4)
	v_cmp_eq_u32_e64 s0, 0, v2
	v_rsq_f64_e32 v[42:43], v[10:11]
	s_delay_alu instid0(VALU_DEP_3) | instskip(SKIP_1) | instid1(VALU_DEP_2)
	v_add_f64_e64 v[44:45], -v[40:41], 1.0
	v_add_f64_e64 v[38:39], v[40:41], -v[38:39]
	v_add_f64_e64 v[48:49], -v[44:45], 1.0
	s_delay_alu instid0(VALU_DEP_2) | instskip(NEXT) | instid1(TRANS32_DEP_1)
	v_add_f64_e64 v[12:13], v[38:39], -v[12:13]
	v_mul_f64_e32 v[46:47], v[10:11], v[42:43]
	v_mul_f64_e32 v[42:43], 0.5, v[42:43]
	s_delay_alu instid0(VALU_DEP_4) | instskip(NEXT) | instid1(VALU_DEP_2)
	v_add_f64_e64 v[38:39], v[48:49], -v[40:41]
	v_fma_f64 v[54:55], -v[42:43], v[46:47], 0.5
	s_delay_alu instid0(VALU_DEP_2) | instskip(NEXT) | instid1(VALU_DEP_2)
	v_add_f64_e32 v[12:13], v[12:13], v[38:39]
	v_fmac_f64_e32 v[46:47], v[46:47], v[54:55]
	v_fmac_f64_e32 v[42:43], v[42:43], v[54:55]
	s_delay_alu instid0(VALU_DEP_3) | instskip(NEXT) | instid1(VALU_DEP_3)
	v_add_f64_e32 v[12:13], v[44:45], v[12:13]
	v_fma_f64 v[38:39], -v[46:47], v[46:47], v[10:11]
	s_delay_alu instid0(VALU_DEP_2) | instskip(NEXT) | instid1(VALU_DEP_2)
	v_mul_f64_e32 v[12:13], v[52:53], v[12:13]
	v_fmac_f64_e32 v[46:47], v[38:39], v[42:43]
	s_delay_alu instid0(VALU_DEP_2) | instskip(NEXT) | instid1(VALU_DEP_2)
	v_add_f64_e32 v[12:13], v[52:53], v[12:13]
	v_fma_f64 v[38:39], -v[46:47], v[46:47], v[10:11]
	s_delay_alu instid0(VALU_DEP_2) | instskip(NEXT) | instid1(VALU_DEP_1)
	v_xor_b32_e32 v13, 0x80000000, v13
	v_dual_cndmask_b32 v2, v12, v50, s0 :: v_dual_cndmask_b32 v12, v13, v51, s0
	s_delay_alu instid0(VALU_DEP_3) | instskip(SKIP_2) | instid1(VALU_DEP_4)
	v_fmac_f64_e32 v[46:47], v[38:39], v[42:43]
	v_cndmask_b32_e64 v13, 0, 0xffffff80, vcc_lo
	v_cmp_class_f64_e64 vcc_lo, v[10:11], 0x260
	v_bitop3_b32 v3, v12, v3, 0x80000000 bitop3:0x78
	s_delay_alu instid0(VALU_DEP_1) | instskip(NEXT) | instid1(VALU_DEP_4)
	v_fma_f64 v[36:37], v[2:3], v[2:3], 1.0
	v_ldexp_f64 v[12:13], v[46:47], v13
	s_delay_alu instid0(VALU_DEP_1) | instskip(NEXT) | instid1(VALU_DEP_3)
	v_dual_cndmask_b32 v11, v13, v11 :: v_dual_cndmask_b32 v10, v12, v10
	v_mul_f64_e32 v[12:13], v[4:5], v[36:37]
	s_delay_alu instid0(VALU_DEP_2) | instskip(NEXT) | instid1(VALU_DEP_2)
	v_mul_f64_e32 v[10:11], v[10:11], v[36:37]
	v_fma_f64 v[36:37], v[4:5], v[12:13], 1.0
	s_delay_alu instid0(VALU_DEP_2) | instskip(NEXT) | instid1(VALU_DEP_2)
	v_mul_f64_e32 v[4:5], v[4:5], v[10:11]
	v_div_scale_f64 v[12:13], null, v[36:37], v[36:37], v[2:3]
	s_delay_alu instid0(VALU_DEP_2) | instskip(SKIP_1) | instid1(VALU_DEP_3)
	v_div_scale_f64 v[10:11], null, v[36:37], v[36:37], v[4:5]
	v_div_scale_f64 v[46:47], vcc_lo, v[4:5], v[36:37], v[4:5]
	v_rcp_f64_e32 v[40:41], v[12:13]
	s_delay_alu instid0(VALU_DEP_2) | instskip(NEXT) | instid1(TRANS32_DEP_2)
	v_rcp_f64_e32 v[38:39], v[10:11]
	v_fma_f64 v[44:45], -v[12:13], v[40:41], 1.0
	s_delay_alu instid0(TRANS32_DEP_1) | instskip(NEXT) | instid1(VALU_DEP_2)
	v_fma_f64 v[42:43], -v[10:11], v[38:39], 1.0
	v_fmac_f64_e32 v[40:41], v[40:41], v[44:45]
	s_delay_alu instid0(VALU_DEP_2) | instskip(NEXT) | instid1(VALU_DEP_2)
	v_fmac_f64_e32 v[38:39], v[38:39], v[42:43]
	v_fma_f64 v[44:45], -v[12:13], v[40:41], 1.0
	s_delay_alu instid0(VALU_DEP_2) | instskip(NEXT) | instid1(VALU_DEP_2)
	v_fma_f64 v[42:43], -v[10:11], v[38:39], 1.0
	v_fmac_f64_e32 v[40:41], v[40:41], v[44:45]
	s_delay_alu instid0(VALU_DEP_2) | instskip(SKIP_1) | instid1(VALU_DEP_2)
	v_fmac_f64_e32 v[38:39], v[38:39], v[42:43]
	v_div_scale_f64 v[42:43], s0, v[2:3], v[36:37], v[2:3]
	v_mul_f64_e32 v[44:45], v[46:47], v[38:39]
	s_delay_alu instid0(VALU_DEP_2) | instskip(NEXT) | instid1(VALU_DEP_2)
	v_mul_f64_e32 v[48:49], v[42:43], v[40:41]
	v_fma_f64 v[10:11], -v[10:11], v[44:45], v[46:47]
	s_delay_alu instid0(VALU_DEP_2) | instskip(NEXT) | instid1(VALU_DEP_2)
	v_fma_f64 v[12:13], -v[12:13], v[48:49], v[42:43]
	v_div_fmas_f64 v[10:11], v[10:11], v[38:39], v[44:45]
	s_mov_b32 vcc_lo, s0
	s_delay_alu instid0(VALU_DEP_2) | instskip(NEXT) | instid1(VALU_DEP_2)
	v_div_fmas_f64 v[38:39], v[12:13], v[40:41], v[48:49]
	v_div_fixup_f64 v[12:13], v[10:11], v[36:37], v[4:5]
	s_delay_alu instid0(VALU_DEP_2)
	v_div_fixup_f64 v[10:11], v[38:39], v[36:37], v[2:3]
                                        ; implicit-def: $vgpr2_vgpr3
.LBB99_302:                             ;   in Loop: Header=BB99_180 Depth=1
	s_and_not1_saveexec_b32 s0, s21
	s_cbranch_execz .LBB99_312
; %bb.303:                              ;   in Loop: Header=BB99_180 Depth=1
	v_cmp_ngt_f64_e64 s21, 0x41d00000, |v[2:3]|
                                        ; implicit-def: $vgpr40
                                        ; implicit-def: $vgpr10_vgpr11
                                        ; implicit-def: $vgpr12_vgpr13
	s_and_saveexec_b32 s22, s21
	s_delay_alu instid0(SALU_CYCLE_1)
	s_xor_b32 s22, exec_lo, s22
	s_cbranch_execz .LBB99_305
; %bb.304:                              ;   in Loop: Header=BB99_180 Depth=1
	v_ldexp_f64 v[10:11], |v[2:3]|, 0xffffff80
	v_cmp_le_f64_e64 vcc_lo, 0x7b000000, |v[2:3]|
	v_trig_preop_f64 v[12:13], |v[2:3]|, 0
	v_and_b32_e32 v25, 0x7fffffff, v3
	v_trig_preop_f64 v[36:37], |v[2:3]|, 1
	v_trig_preop_f64 v[46:47], |v[2:3]|, 2
	s_delay_alu instid0(VALU_DEP_3) | instskip(NEXT) | instid1(VALU_DEP_1)
	v_dual_cndmask_b32 v11, v25, v11 :: v_dual_cndmask_b32 v10, v2, v10
	v_mul_f64_e32 v[38:39], v[12:13], v[10:11]
	s_delay_alu instid0(VALU_DEP_4) | instskip(NEXT) | instid1(VALU_DEP_4)
	v_mul_f64_e32 v[40:41], v[36:37], v[10:11]
	v_mul_f64_e32 v[52:53], v[46:47], v[10:11]
	s_delay_alu instid0(VALU_DEP_3) | instskip(NEXT) | instid1(VALU_DEP_3)
	v_fma_f64 v[12:13], v[12:13], v[10:11], -v[38:39]
	v_fma_f64 v[36:37], v[36:37], v[10:11], -v[40:41]
	s_delay_alu instid0(VALU_DEP_3) | instskip(NEXT) | instid1(VALU_DEP_3)
	v_fma_f64 v[10:11], v[46:47], v[10:11], -v[52:53]
	v_add_f64_e32 v[42:43], v[40:41], v[12:13]
	s_delay_alu instid0(VALU_DEP_1) | instskip(SKIP_1) | instid1(VALU_DEP_2)
	v_add_f64_e64 v[44:45], v[42:43], -v[40:41]
	v_add_f64_e32 v[50:51], v[38:39], v[42:43]
	v_add_f64_e64 v[48:49], v[42:43], -v[44:45]
	v_add_f64_e64 v[12:13], v[12:13], -v[44:45]
	s_delay_alu instid0(VALU_DEP_3) | instskip(NEXT) | instid1(VALU_DEP_3)
	v_ldexp_f64 v[44:45], v[50:51], -2
	v_add_f64_e64 v[40:41], v[40:41], -v[48:49]
	v_add_f64_e32 v[48:49], v[52:53], v[36:37]
	s_delay_alu instid0(VALU_DEP_3) | instskip(NEXT) | instid1(VALU_DEP_3)
	v_cmp_neq_f64_e64 vcc_lo, 0x7ff00000, |v[44:45]|
	v_add_f64_e32 v[12:13], v[12:13], v[40:41]
	v_fract_f64_e32 v[40:41], v[44:45]
	s_delay_alu instid0(VALU_DEP_1) | instskip(NEXT) | instid1(VALU_DEP_1)
	v_ldexp_f64 v[40:41], v[40:41], 2
	v_dual_add_f64 v[38:39], v[50:51], -v[38:39] :: v_dual_cndmask_b32 v41, 0, v41, vcc_lo
	s_delay_alu instid0(VALU_DEP_1) | instskip(SKIP_1) | instid1(VALU_DEP_1)
	v_dual_add_f64 v[38:39], v[42:43], -v[38:39] :: v_dual_cndmask_b32 v40, 0, v40, vcc_lo
	v_add_f64_e32 v[42:43], v[48:49], v[12:13]
	v_add_f64_e32 v[44:45], v[38:39], v[42:43]
	v_add_f64_e64 v[54:55], v[42:43], -v[48:49]
	s_delay_alu instid0(VALU_DEP_2) | instskip(NEXT) | instid1(VALU_DEP_2)
	v_add_f64_e32 v[50:51], v[44:45], v[40:41]
	v_add_f64_e64 v[60:61], v[42:43], -v[54:55]
	v_add_f64_e64 v[12:13], v[12:13], -v[54:55]
	;; [unrolled: 1-line block ×3, first 2 shown]
	s_delay_alu instid0(VALU_DEP_4) | instskip(SKIP_1) | instid1(VALU_DEP_3)
	v_cmp_gt_f64_e32 vcc_lo, 0, v[50:51]
	v_add_f64_e64 v[50:51], v[48:49], -v[52:53]
	v_add_f64_e64 v[38:39], v[42:43], -v[38:39]
	v_cndmask_b32_e64 v25, 0, 0x40100000, vcc_lo
	s_delay_alu instid0(VALU_DEP_3) | instskip(SKIP_2) | instid1(VALU_DEP_4)
	v_add_f64_e64 v[58:59], v[48:49], -v[50:51]
	v_add_f64_e64 v[36:37], v[36:37], -v[50:51]
	;; [unrolled: 1-line block ×3, first 2 shown]
	v_add_f64_e32 v[40:41], v[40:41], v[24:25]
	s_delay_alu instid0(VALU_DEP_4) | instskip(NEXT) | instid1(VALU_DEP_3)
	v_add_f64_e64 v[50:51], v[52:53], -v[58:59]
	v_add_f64_e32 v[12:13], v[12:13], v[48:49]
	s_delay_alu instid0(VALU_DEP_3) | instskip(NEXT) | instid1(VALU_DEP_3)
	v_add_f64_e32 v[56:57], v[44:45], v[40:41]
	v_add_f64_e32 v[36:37], v[36:37], v[50:51]
	s_delay_alu instid0(VALU_DEP_2) | instskip(NEXT) | instid1(VALU_DEP_2)
	v_cvt_i32_f64_e32 v25, v[56:57]
	v_add_f64_e32 v[12:13], v[36:37], v[12:13]
	s_delay_alu instid0(VALU_DEP_2) | instskip(NEXT) | instid1(VALU_DEP_2)
	v_cvt_f64_i32_e32 v[54:55], v25
	v_add_f64_e32 v[10:11], v[10:11], v[12:13]
	s_delay_alu instid0(VALU_DEP_2) | instskip(NEXT) | instid1(VALU_DEP_2)
	v_add_f64_e64 v[40:41], v[40:41], -v[54:55]
	v_add_f64_e32 v[10:11], v[38:39], v[10:11]
	s_delay_alu instid0(VALU_DEP_2) | instskip(NEXT) | instid1(VALU_DEP_1)
	v_add_f64_e32 v[36:37], v[44:45], v[40:41]
	v_add_f64_e64 v[12:13], v[36:37], -v[40:41]
	v_cmp_le_f64_e32 vcc_lo, 0.5, v[36:37]
	s_delay_alu instid0(VALU_DEP_2) | instskip(SKIP_2) | instid1(VALU_DEP_3)
	v_add_f64_e64 v[12:13], v[44:45], -v[12:13]
	v_add_co_ci_u32_e64 v40, null, 0, v25, vcc_lo
	v_cndmask_b32_e64 v25, 0, 0x3ff00000, vcc_lo
	v_add_f64_e32 v[10:11], v[10:11], v[12:13]
	s_delay_alu instid0(VALU_DEP_2) | instskip(NEXT) | instid1(VALU_DEP_1)
	v_add_f64_e64 v[12:13], v[36:37], -v[24:25]
	v_add_f64_e32 v[36:37], v[12:13], v[10:11]
	s_delay_alu instid0(VALU_DEP_1) | instskip(SKIP_1) | instid1(VALU_DEP_2)
	v_mul_f64_e32 v[38:39], 0x3ff921fb54442d18, v[36:37]
	v_add_f64_e64 v[12:13], v[36:37], -v[12:13]
	v_fma_f64 v[42:43], v[36:37], s[2:3], -v[38:39]
	s_delay_alu instid0(VALU_DEP_2) | instskip(NEXT) | instid1(VALU_DEP_2)
	v_add_f64_e64 v[10:11], v[10:11], -v[12:13]
	v_fmac_f64_e32 v[42:43], 0x3c91a62633145c07, v[36:37]
	s_delay_alu instid0(VALU_DEP_1) | instskip(NEXT) | instid1(VALU_DEP_1)
	v_fmac_f64_e32 v[42:43], 0x3ff921fb54442d18, v[10:11]
	v_add_f64_e32 v[10:11], v[38:39], v[42:43]
	s_delay_alu instid0(VALU_DEP_1) | instskip(NEXT) | instid1(VALU_DEP_1)
	v_add_f64_e64 v[12:13], v[10:11], -v[38:39]
	v_add_f64_e64 v[12:13], v[42:43], -v[12:13]
	s_and_not1_saveexec_b32 s22, s22
	s_cbranch_execz .LBB99_307
	s_branch .LBB99_306
.LBB99_305:                             ;   in Loop: Header=BB99_180 Depth=1
	s_and_not1_saveexec_b32 s22, s22
	s_cbranch_execz .LBB99_307
.LBB99_306:                             ;   in Loop: Header=BB99_180 Depth=1
	v_mul_f64_e64 v[10:11], |v[2:3]|, s[4:5]
	s_delay_alu instid0(VALU_DEP_1) | instskip(NEXT) | instid1(VALU_DEP_1)
	v_rndne_f64_e32 v[36:37], v[10:11]
	v_fma_f64 v[10:11], v[36:37], s[6:7], |v[2:3]|
	v_mul_f64_e32 v[12:13], 0xbc91a62633145c00, v[36:37]
	s_delay_alu instid0(VALU_DEP_2) | instskip(NEXT) | instid1(VALU_DEP_2)
	v_fmamk_f64 v[42:43], v[36:37], 0xbc91a62633145c00, v[10:11]
	v_add_f64_e32 v[38:39], v[10:11], v[12:13]
	s_delay_alu instid0(VALU_DEP_1) | instskip(NEXT) | instid1(VALU_DEP_3)
	v_add_f64_e64 v[40:41], v[10:11], -v[38:39]
	v_add_f64_e64 v[10:11], v[38:39], -v[42:43]
	s_delay_alu instid0(VALU_DEP_2) | instskip(SKIP_2) | instid1(VALU_DEP_3)
	v_add_f64_e32 v[38:39], v[40:41], v[12:13]
	v_fmamk_f64 v[12:13], v[36:37], 0x3c91a62633145c00, v[12:13]
	v_cvt_i32_f64_e32 v40, v[36:37]
	v_add_f64_e32 v[10:11], v[10:11], v[38:39]
	s_delay_alu instid0(VALU_DEP_1) | instskip(NEXT) | instid1(VALU_DEP_1)
	v_add_f64_e64 v[12:13], v[10:11], -v[12:13]
	v_fmac_f64_e32 v[12:13], 0xb97b839a252049c0, v[36:37]
	s_delay_alu instid0(VALU_DEP_1) | instskip(NEXT) | instid1(VALU_DEP_1)
	v_add_f64_e32 v[10:11], v[42:43], v[12:13]
	v_add_f64_e64 v[38:39], v[10:11], -v[42:43]
	s_delay_alu instid0(VALU_DEP_1)
	v_add_f64_e64 v[12:13], v[12:13], -v[38:39]
.LBB99_307:                             ;   in Loop: Header=BB99_180 Depth=1
	s_or_b32 exec_lo, exec_lo, s22
                                        ; implicit-def: $vgpr41
                                        ; implicit-def: $vgpr36_vgpr37
                                        ; implicit-def: $vgpr38_vgpr39
	s_and_saveexec_b32 s22, s21
	s_delay_alu instid0(SALU_CYCLE_1)
	s_xor_b32 s21, exec_lo, s22
	s_cbranch_execz .LBB99_309
; %bb.308:                              ;   in Loop: Header=BB99_180 Depth=1
	v_ldexp_f64 v[36:37], |v[2:3]|, 0xffffff80
	v_cmp_le_f64_e64 vcc_lo, 0x7b000000, |v[2:3]|
	v_trig_preop_f64 v[38:39], |v[2:3]|, 0
	v_and_b32_e32 v25, 0x7fffffff, v3
	v_trig_preop_f64 v[42:43], |v[2:3]|, 1
	v_trig_preop_f64 v[52:53], |v[2:3]|, 2
	s_delay_alu instid0(VALU_DEP_3) | instskip(NEXT) | instid1(VALU_DEP_1)
	v_dual_cndmask_b32 v37, v25, v37 :: v_dual_cndmask_b32 v36, v2, v36
	v_mul_f64_e32 v[44:45], v[38:39], v[36:37]
	s_delay_alu instid0(VALU_DEP_4) | instskip(NEXT) | instid1(VALU_DEP_4)
	v_mul_f64_e32 v[46:47], v[42:43], v[36:37]
	v_mul_f64_e32 v[58:59], v[52:53], v[36:37]
	s_delay_alu instid0(VALU_DEP_3) | instskip(NEXT) | instid1(VALU_DEP_3)
	v_fma_f64 v[38:39], v[38:39], v[36:37], -v[44:45]
	v_fma_f64 v[42:43], v[42:43], v[36:37], -v[46:47]
	s_delay_alu instid0(VALU_DEP_3) | instskip(NEXT) | instid1(VALU_DEP_3)
	v_fma_f64 v[36:37], v[52:53], v[36:37], -v[58:59]
	v_add_f64_e32 v[48:49], v[46:47], v[38:39]
	s_delay_alu instid0(VALU_DEP_1) | instskip(SKIP_1) | instid1(VALU_DEP_2)
	v_add_f64_e64 v[50:51], v[48:49], -v[46:47]
	v_add_f64_e32 v[56:57], v[44:45], v[48:49]
	v_add_f64_e64 v[54:55], v[48:49], -v[50:51]
	v_add_f64_e64 v[38:39], v[38:39], -v[50:51]
	s_delay_alu instid0(VALU_DEP_3) | instskip(NEXT) | instid1(VALU_DEP_3)
	v_ldexp_f64 v[50:51], v[56:57], -2
	v_add_f64_e64 v[46:47], v[46:47], -v[54:55]
	v_add_f64_e32 v[54:55], v[58:59], v[42:43]
	s_delay_alu instid0(VALU_DEP_3) | instskip(NEXT) | instid1(VALU_DEP_3)
	v_cmp_neq_f64_e64 vcc_lo, 0x7ff00000, |v[50:51]|
	v_add_f64_e32 v[38:39], v[38:39], v[46:47]
	v_fract_f64_e32 v[46:47], v[50:51]
	s_delay_alu instid0(VALU_DEP_1) | instskip(NEXT) | instid1(VALU_DEP_1)
	v_ldexp_f64 v[46:47], v[46:47], 2
	v_dual_add_f64 v[44:45], v[56:57], -v[44:45] :: v_dual_cndmask_b32 v47, 0, v47, vcc_lo
	s_delay_alu instid0(VALU_DEP_1) | instskip(SKIP_1) | instid1(VALU_DEP_1)
	v_dual_add_f64 v[44:45], v[48:49], -v[44:45] :: v_dual_cndmask_b32 v46, 0, v46, vcc_lo
	v_add_f64_e32 v[48:49], v[54:55], v[38:39]
	v_add_f64_e32 v[50:51], v[44:45], v[48:49]
	v_add_f64_e64 v[60:61], v[48:49], -v[54:55]
	s_delay_alu instid0(VALU_DEP_2) | instskip(NEXT) | instid1(VALU_DEP_2)
	v_add_f64_e32 v[56:57], v[50:51], v[46:47]
	v_add_f64_e64 v[66:67], v[48:49], -v[60:61]
	v_add_f64_e64 v[38:39], v[38:39], -v[60:61]
	;; [unrolled: 1-line block ×3, first 2 shown]
	s_delay_alu instid0(VALU_DEP_4) | instskip(SKIP_1) | instid1(VALU_DEP_3)
	v_cmp_gt_f64_e32 vcc_lo, 0, v[56:57]
	v_add_f64_e64 v[56:57], v[54:55], -v[58:59]
	v_add_f64_e64 v[44:45], v[48:49], -v[44:45]
	v_cndmask_b32_e64 v25, 0, 0x40100000, vcc_lo
	s_delay_alu instid0(VALU_DEP_3) | instskip(SKIP_2) | instid1(VALU_DEP_4)
	v_add_f64_e64 v[64:65], v[54:55], -v[56:57]
	v_add_f64_e64 v[42:43], v[42:43], -v[56:57]
	;; [unrolled: 1-line block ×3, first 2 shown]
	v_add_f64_e32 v[46:47], v[46:47], v[24:25]
	s_delay_alu instid0(VALU_DEP_4) | instskip(NEXT) | instid1(VALU_DEP_3)
	v_add_f64_e64 v[56:57], v[58:59], -v[64:65]
	v_add_f64_e32 v[38:39], v[38:39], v[54:55]
	s_delay_alu instid0(VALU_DEP_3) | instskip(NEXT) | instid1(VALU_DEP_3)
	v_add_f64_e32 v[62:63], v[50:51], v[46:47]
	v_add_f64_e32 v[42:43], v[42:43], v[56:57]
	s_delay_alu instid0(VALU_DEP_2) | instskip(NEXT) | instid1(VALU_DEP_2)
	v_cvt_i32_f64_e32 v25, v[62:63]
	v_add_f64_e32 v[38:39], v[42:43], v[38:39]
	s_delay_alu instid0(VALU_DEP_2) | instskip(NEXT) | instid1(VALU_DEP_2)
	v_cvt_f64_i32_e32 v[60:61], v25
	v_add_f64_e32 v[36:37], v[36:37], v[38:39]
	s_delay_alu instid0(VALU_DEP_2) | instskip(NEXT) | instid1(VALU_DEP_2)
	v_add_f64_e64 v[46:47], v[46:47], -v[60:61]
	v_add_f64_e32 v[36:37], v[44:45], v[36:37]
	s_delay_alu instid0(VALU_DEP_2) | instskip(NEXT) | instid1(VALU_DEP_1)
	v_add_f64_e32 v[42:43], v[50:51], v[46:47]
	v_add_f64_e64 v[38:39], v[42:43], -v[46:47]
	v_cmp_le_f64_e32 vcc_lo, 0.5, v[42:43]
	s_delay_alu instid0(VALU_DEP_2) | instskip(SKIP_2) | instid1(VALU_DEP_3)
	v_add_f64_e64 v[38:39], v[50:51], -v[38:39]
	v_add_co_ci_u32_e64 v41, null, 0, v25, vcc_lo
	v_cndmask_b32_e64 v25, 0, 0x3ff00000, vcc_lo
	v_add_f64_e32 v[36:37], v[36:37], v[38:39]
	s_delay_alu instid0(VALU_DEP_2) | instskip(NEXT) | instid1(VALU_DEP_1)
	v_add_f64_e64 v[38:39], v[42:43], -v[24:25]
	v_add_f64_e32 v[42:43], v[38:39], v[36:37]
	s_delay_alu instid0(VALU_DEP_1) | instskip(SKIP_1) | instid1(VALU_DEP_2)
	v_mul_f64_e32 v[44:45], 0x3ff921fb54442d18, v[42:43]
	v_add_f64_e64 v[38:39], v[42:43], -v[38:39]
	v_fma_f64 v[46:47], v[42:43], s[2:3], -v[44:45]
	s_delay_alu instid0(VALU_DEP_2) | instskip(NEXT) | instid1(VALU_DEP_2)
	v_add_f64_e64 v[36:37], v[36:37], -v[38:39]
	v_fmac_f64_e32 v[46:47], 0x3c91a62633145c07, v[42:43]
	s_delay_alu instid0(VALU_DEP_1) | instskip(NEXT) | instid1(VALU_DEP_1)
	v_fmac_f64_e32 v[46:47], 0x3ff921fb54442d18, v[36:37]
	v_add_f64_e32 v[36:37], v[44:45], v[46:47]
	s_delay_alu instid0(VALU_DEP_1) | instskip(NEXT) | instid1(VALU_DEP_1)
	v_add_f64_e64 v[38:39], v[36:37], -v[44:45]
	v_add_f64_e64 v[38:39], v[46:47], -v[38:39]
	s_and_not1_saveexec_b32 s21, s21
	s_cbranch_execnz .LBB99_310
	s_branch .LBB99_311
.LBB99_309:                             ;   in Loop: Header=BB99_180 Depth=1
	s_and_not1_saveexec_b32 s21, s21
	s_cbranch_execz .LBB99_311
.LBB99_310:                             ;   in Loop: Header=BB99_180 Depth=1
	v_mul_f64_e64 v[36:37], |v[2:3]|, s[4:5]
	s_delay_alu instid0(VALU_DEP_1) | instskip(NEXT) | instid1(VALU_DEP_1)
	v_rndne_f64_e32 v[42:43], v[36:37]
	v_fma_f64 v[36:37], v[42:43], s[6:7], |v[2:3]|
	v_mul_f64_e32 v[38:39], 0xbc91a62633145c00, v[42:43]
	v_cvt_i32_f64_e32 v41, v[42:43]
	s_delay_alu instid0(VALU_DEP_3) | instskip(NEXT) | instid1(VALU_DEP_3)
	v_fmamk_f64 v[48:49], v[42:43], 0xbc91a62633145c00, v[36:37]
	v_add_f64_e32 v[44:45], v[36:37], v[38:39]
	s_delay_alu instid0(VALU_DEP_1) | instskip(NEXT) | instid1(VALU_DEP_3)
	v_add_f64_e64 v[46:47], v[36:37], -v[44:45]
	v_add_f64_e64 v[36:37], v[44:45], -v[48:49]
	s_delay_alu instid0(VALU_DEP_2) | instskip(SKIP_1) | instid1(VALU_DEP_2)
	v_add_f64_e32 v[44:45], v[46:47], v[38:39]
	v_fmamk_f64 v[38:39], v[42:43], 0x3c91a62633145c00, v[38:39]
	v_add_f64_e32 v[36:37], v[36:37], v[44:45]
	s_delay_alu instid0(VALU_DEP_1) | instskip(NEXT) | instid1(VALU_DEP_1)
	v_add_f64_e64 v[38:39], v[36:37], -v[38:39]
	v_fmac_f64_e32 v[38:39], 0xb97b839a252049c0, v[42:43]
	s_delay_alu instid0(VALU_DEP_1) | instskip(NEXT) | instid1(VALU_DEP_1)
	v_add_f64_e32 v[36:37], v[48:49], v[38:39]
	v_add_f64_e64 v[44:45], v[36:37], -v[48:49]
	s_delay_alu instid0(VALU_DEP_1)
	v_add_f64_e64 v[38:39], v[38:39], -v[44:45]
.LBB99_311:                             ;   in Loop: Header=BB99_180 Depth=1
	s_or_b32 exec_lo, exec_lo, s21
	v_dual_mul_f64 v[42:43], v[10:11], v[10:11] :: v_dual_bitop2_b32 v2, 1, v40 bitop3:0x40
	v_mul_f64_e32 v[44:45], v[36:37], v[36:37]
	s_delay_alu instid0(VALU_DEP_3) | instskip(SKIP_3) | instid1(VALU_DEP_2)
	v_mul_f64_e32 v[66:67], 0.5, v[38:39]
	v_mul_f64_e64 v[48:49], |v[4:5]|, s[14:15]
	v_lshlrev_b32_e32 v25, 30, v40
	v_cmp_eq_u32_e32 vcc_lo, 0, v2
	v_dual_mul_f64 v[54:55], 0.5, v[12:13] :: v_dual_bitop2_b32 v3, v25, v3 bitop3:0x14
	v_mul_f64_e32 v[46:47], 0.5, v[42:43]
	v_mul_f64_e64 v[56:57], v[10:11], -v[42:43]
	v_fmamk_f64 v[62:63], v[42:43], 0x3de5e0b2f9a43bb8, v[32:33]
	v_mul_f64_e64 v[68:69], v[36:37], -v[44:45]
	v_fmamk_f64 v[70:71], v[44:45], 0x3de5e0b2f9a43bb8, v[32:33]
	v_rndne_f64_e32 v[48:49], v[48:49]
	s_delay_alu instid0(VALU_DEP_4) | instskip(NEXT) | instid1(VALU_DEP_1)
	v_fmaak_f64 v[62:63], v[42:43], v[62:63], 0x3ec71de3796cde01
	v_fmaak_f64 v[62:63], v[42:43], v[62:63], 0xbf2a01a019e83e5c
	s_delay_alu instid0(VALU_DEP_1) | instskip(SKIP_1) | instid1(VALU_DEP_2)
	v_fmaak_f64 v[62:63], v[42:43], v[62:63], 0x3f81111111110bb3
	v_add_f64_e64 v[52:53], -v[46:47], 1.0
	v_fmac_f64_e32 v[54:55], v[56:57], v[62:63]
	v_fma_f64 v[64:65], v[48:49], s[8:9], -|v[4:5]|
	s_delay_alu instid0(VALU_DEP_3) | instskip(NEXT) | instid1(VALU_DEP_3)
	v_add_f64_e64 v[60:61], -v[52:53], 1.0
	v_fma_f64 v[54:55], v[42:43], v[54:55], -v[12:13]
	s_delay_alu instid0(VALU_DEP_3) | instskip(NEXT) | instid1(VALU_DEP_3)
	v_fmac_f64_e32 v[64:65], 0xbc7abc9e3b39803f, v[48:49]
	v_add_f64_e64 v[46:47], v[60:61], -v[46:47]
	v_fmaak_f64 v[60:61], v[44:45], v[70:71], 0x3ec71de3796cde01
	v_fmamk_f64 v[70:71], v[42:43], 0xbda907db46cc5e42, v[30:31]
	v_fmac_f64_e32 v[54:55], 0xbfc5555555555555, v[56:57]
	s_delay_alu instid0(VALU_DEP_3) | instskip(NEXT) | instid1(VALU_DEP_1)
	v_fmaak_f64 v[60:61], v[44:45], v[60:61], 0xbf2a01a019e83e5c
	v_fmaak_f64 v[60:61], v[44:45], v[60:61], 0x3f81111111110bb3
	s_delay_alu instid0(VALU_DEP_1)
	v_fmac_f64_e32 v[66:67], v[68:69], v[60:61]
	v_mul_f64_e32 v[60:61], v[42:43], v[42:43]
	v_fma_f64 v[12:13], v[10:11], -v[12:13], v[46:47]
	v_fmaak_f64 v[46:47], v[42:43], v[70:71], 0xbe927e4fa17f65f6
	v_mul_f64_e32 v[70:71], v[44:45], v[44:45]
	v_add_f64_e64 v[10:11], v[10:11], -v[54:55]
	s_delay_alu instid0(VALU_DEP_3) | instskip(NEXT) | instid1(VALU_DEP_1)
	v_fmaak_f64 v[46:47], v[42:43], v[46:47], 0x3efa01a019f4ec90
	v_fmaak_f64 v[46:47], v[42:43], v[46:47], 0xbf56c16c16c16967
	s_delay_alu instid0(VALU_DEP_1) | instskip(NEXT) | instid1(VALU_DEP_1)
	v_fmaak_f64 v[42:43], v[42:43], v[46:47], 0x3fa5555555555555
	v_fmac_f64_e32 v[12:13], v[60:61], v[42:43]
	s_delay_alu instid0(VALU_DEP_1) | instskip(NEXT) | instid1(VALU_DEP_1)
	v_add_f64_e32 v[12:13], v[52:53], v[12:13]
	v_dual_mul_f64 v[50:51], 0.5, v[44:45] :: v_dual_cndmask_b32 v2, v12, v10, vcc_lo
	s_delay_alu instid0(VALU_DEP_1) | instskip(NEXT) | instid1(VALU_DEP_3)
	v_add_f64_e64 v[58:59], -v[50:51], 1.0
	v_cndmask_b32_e32 v12, v13, v11, vcc_lo
	v_cvt_i32_f64_e32 v13, v[48:49]
	s_delay_alu instid0(VALU_DEP_2) | instskip(NEXT) | instid1(VALU_DEP_1)
	v_bitop3_b32 v3, v12, v3, 0x80000000 bitop3:0x78
	v_dual_mul_f64 v[2:3], 4.0, v[2:3] :: v_dual_bitop2_b32 v12, 1, v41 bitop3:0x40
	s_delay_alu instid0(VALU_DEP_1) | instskip(SKIP_1) | instid1(VALU_DEP_1)
	v_cmp_eq_u32_e32 vcc_lo, 0, v12
	v_add_f64_e64 v[62:63], -v[58:59], 1.0
	v_add_f64_e64 v[50:51], v[62:63], -v[50:51]
	v_fmamk_f64 v[62:63], v[64:65], 0x3e5ade156a5dcb37, v[28:29]
	s_delay_alu instid0(VALU_DEP_1) | instskip(NEXT) | instid1(VALU_DEP_1)
	v_fmaak_f64 v[62:63], v[64:65], v[62:63], 0x3ec71dee623fde64
	v_fmaak_f64 v[62:63], v[64:65], v[62:63], 0x3efa01997c89e6b0
	s_delay_alu instid0(VALU_DEP_1) | instskip(SKIP_2) | instid1(VALU_DEP_3)
	v_fmaak_f64 v[46:47], v[64:65], v[62:63], 0x3f2a01a014761f6e
	v_fma_f64 v[62:63], v[44:45], v[66:67], -v[38:39]
	v_fmamk_f64 v[66:67], v[44:45], 0xbda907db46cc5e42, v[30:31]
	v_fmaak_f64 v[42:43], v[64:65], v[46:47], 0x3f56c16c1852b7b0
	s_delay_alu instid0(VALU_DEP_2) | instskip(SKIP_1) | instid1(VALU_DEP_3)
	v_fmaak_f64 v[46:47], v[44:45], v[66:67], 0xbe927e4fa17f65f6
	v_fma_f64 v[38:39], v[36:37], -v[38:39], v[50:51]
	v_fmaak_f64 v[42:43], v[64:65], v[42:43], 0x3f81111111122322
	s_delay_alu instid0(VALU_DEP_3) | instskip(NEXT) | instid1(VALU_DEP_2)
	v_fmaak_f64 v[46:47], v[44:45], v[46:47], 0x3efa01a019f4ec90
	v_fmaak_f64 v[42:43], v[64:65], v[42:43], 0x3fa55555555502a1
	s_delay_alu instid0(VALU_DEP_2) | instskip(NEXT) | instid1(VALU_DEP_2)
	v_fmaak_f64 v[46:47], v[44:45], v[46:47], 0xbf56c16c16c16967
	v_fmaak_f64 v[42:43], v[64:65], v[42:43], 0x3fc5555555555511
	s_delay_alu instid0(VALU_DEP_2) | instskip(SKIP_1) | instid1(VALU_DEP_3)
	v_fmaak_f64 v[44:45], v[44:45], v[46:47], 0x3fa5555555555555
	v_fmac_f64_e32 v[62:63], 0xbfc5555555555555, v[68:69]
	v_fmaak_f64 v[42:43], v[64:65], v[42:43], 0x3fe000000000000b
	s_delay_alu instid0(VALU_DEP_1) | instskip(NEXT) | instid1(VALU_DEP_4)
	v_fma_f64 v[42:43], v[64:65], v[42:43], 1.0
	v_fmac_f64_e32 v[38:39], v[70:71], v[44:45]
	s_delay_alu instid0(VALU_DEP_4) | instskip(NEXT) | instid1(VALU_DEP_3)
	v_add_f64_e64 v[36:37], v[36:37], -v[62:63]
	v_fma_f64 v[10:11], v[64:65], v[42:43], 1.0
	s_delay_alu instid0(VALU_DEP_3) | instskip(NEXT) | instid1(VALU_DEP_3)
	v_add_f64_e32 v[38:39], v[58:59], v[38:39]
	v_xor_b32_e32 v25, 0x80000000, v37
	s_delay_alu instid0(VALU_DEP_3) | instskip(NEXT) | instid1(VALU_DEP_2)
	v_ldexp_f64 v[10:11], v[10:11], v13
	v_dual_cndmask_b32 v12, v36, v38 :: v_dual_cndmask_b32 v25, v25, v39
	v_lshlrev_b32_e32 v36, 30, v41
	v_cmp_nlt_f64_e64 vcc_lo, 0x4090cc00, |v[4:5]|
	s_delay_alu instid0(VALU_DEP_2) | instskip(NEXT) | instid1(VALU_DEP_1)
	v_bitop3_b32 v13, v25, v36, 0x80000000 bitop3:0x78
	v_dual_mul_f64 v[2:3], v[2:3], v[12:13] :: v_dual_cndmask_b32 v11, 0, v11, vcc_lo
	v_cndmask_b32_e32 v10, 0, v10, vcc_lo
	s_delay_alu instid0(VALU_DEP_1) | instskip(NEXT) | instid1(VALU_DEP_1)
	v_mul_f64_e32 v[2:3], v[10:11], v[2:3]
	v_mul_f64_e32 v[10:11], v[10:11], v[2:3]
	v_xor_b32_e32 v2, 0x80000000, v5
	s_delay_alu instid0(VALU_DEP_1) | instskip(NEXT) | instid1(VALU_DEP_1)
	v_bfi_b32 v25, 0x7fffffff, s18, v2
	v_mov_b64_e32 v[12:13], v[24:25]
.LBB99_312:                             ;   in Loop: Header=BB99_180 Depth=1
	s_or_b32 exec_lo, exec_lo, s0
                                        ; implicit-def: $vgpr2_vgpr3
.LBB99_313:                             ;   in Loop: Header=BB99_180 Depth=1
	s_and_not1_saveexec_b32 s0, s20
	s_cbranch_execz .LBB99_315
; %bb.314:                              ;   in Loop: Header=BB99_180 Depth=1
	v_add_f64_e64 v[10:11], v[2:3], -v[2:3]
	s_delay_alu instid0(VALU_DEP_1)
	v_mov_b64_e32 v[12:13], v[10:11]
.LBB99_315:                             ;   in Loop: Header=BB99_180 Depth=1
	s_or_b32 exec_lo, exec_lo, s0
                                        ; implicit-def: $vgpr2_vgpr3
.LBB99_316:                             ;   in Loop: Header=BB99_180 Depth=1
	s_and_not1_saveexec_b32 s20, s1
	s_cbranch_execz .LBB99_179
; %bb.317:                              ;   in Loop: Header=BB99_180 Depth=1
	s_delay_alu instid0(VALU_DEP_1) | instskip(SKIP_1) | instid1(VALU_DEP_1)
	v_and_or_b32 v10, 0xfffff, v13, v12
	s_mov_b32 s0, exec_lo
	v_cmpx_ne_u32_e32 0, v10
	s_xor_b32 s0, exec_lo, s0
	s_cbranch_execz .LBB99_319
; %bb.318:                              ;   in Loop: Header=BB99_180 Depth=1
	v_mul_f64_e64 v[4:5], v[2:3], -v[4:5]
	v_cmp_eq_f64_e32 vcc_lo, 0, v[2:3]
	s_delay_alu instid0(VALU_DEP_2)
	v_dual_cndmask_b32 v11, v5, v3 :: v_dual_cndmask_b32 v10, v4, v2
                                        ; implicit-def: $vgpr2_vgpr3
.LBB99_319:                             ;   in Loop: Header=BB99_180 Depth=1
	s_and_not1_saveexec_b32 s21, s0
	s_cbranch_execz .LBB99_178
; %bb.320:                              ;   in Loop: Header=BB99_180 Depth=1
	s_mov_b32 s22, exec_lo
	v_cmpx_neq_f64_e64 0x7ff00000, |v[2:3]|
	s_cbranch_execz .LBB99_177
; %bb.321:                              ;   in Loop: Header=BB99_180 Depth=1
	v_cmp_ngt_f64_e64 s0, 0x41d00000, |v[2:3]|
	v_trig_preop_f64 v[40:41], |v[2:3]|, 0
	v_trig_preop_f64 v[38:39], |v[2:3]|, 1
	v_ldexp_f64 v[42:43], |v[2:3]|, 0xffffff80
	v_trig_preop_f64 v[36:37], |v[2:3]|, 2
	v_and_b32_e32 v51, 0x7fffffff, v3
                                        ; implicit-def: $vgpr50
                                        ; implicit-def: $vgpr4_vgpr5
                                        ; implicit-def: $vgpr10_vgpr11
	s_and_saveexec_b32 s1, s0
	s_delay_alu instid0(SALU_CYCLE_1)
	s_xor_b32 s1, exec_lo, s1
	s_cbranch_execz .LBB99_323
; %bb.322:                              ;   in Loop: Header=BB99_180 Depth=1
	v_cmp_le_f64_e64 vcc_lo, 0x7b000000, |v[2:3]|
	s_delay_alu instid0(VALU_DEP_4) | instskip(NEXT) | instid1(VALU_DEP_1)
	v_dual_cndmask_b32 v5, v51, v43 :: v_dual_cndmask_b32 v4, v2, v42
	v_mul_f64_e32 v[10:11], v[40:41], v[4:5]
	v_mul_f64_e32 v[44:45], v[38:39], v[4:5]
	;; [unrolled: 1-line block ×3, first 2 shown]
	s_delay_alu instid0(VALU_DEP_3) | instskip(NEXT) | instid1(VALU_DEP_3)
	v_fma_f64 v[46:47], v[40:41], v[4:5], -v[10:11]
	v_fma_f64 v[60:61], v[38:39], v[4:5], -v[44:45]
	s_delay_alu instid0(VALU_DEP_3) | instskip(NEXT) | instid1(VALU_DEP_3)
	v_fma_f64 v[4:5], v[36:37], v[4:5], -v[58:59]
	v_add_f64_e32 v[48:49], v[44:45], v[46:47]
	s_delay_alu instid0(VALU_DEP_1) | instskip(SKIP_1) | instid1(VALU_DEP_2)
	v_add_f64_e64 v[52:53], v[48:49], -v[44:45]
	v_add_f64_e32 v[56:57], v[10:11], v[48:49]
	v_add_f64_e64 v[54:55], v[48:49], -v[52:53]
	v_add_f64_e64 v[46:47], v[46:47], -v[52:53]
	s_delay_alu instid0(VALU_DEP_3) | instskip(NEXT) | instid1(VALU_DEP_3)
	v_ldexp_f64 v[52:53], v[56:57], -2
	v_add_f64_e64 v[44:45], v[44:45], -v[54:55]
	v_add_f64_e32 v[54:55], v[58:59], v[60:61]
	s_delay_alu instid0(VALU_DEP_3) | instskip(NEXT) | instid1(VALU_DEP_3)
	v_cmp_neq_f64_e64 vcc_lo, 0x7ff00000, |v[52:53]|
	v_add_f64_e32 v[44:45], v[46:47], v[44:45]
	v_fract_f64_e32 v[46:47], v[52:53]
	s_delay_alu instid0(VALU_DEP_1) | instskip(NEXT) | instid1(VALU_DEP_1)
	v_ldexp_f64 v[46:47], v[46:47], 2
	v_cndmask_b32_e32 v47, 0, v47, vcc_lo
	v_add_f64_e64 v[10:11], v[56:57], -v[10:11]
	s_delay_alu instid0(VALU_DEP_3) | instskip(NEXT) | instid1(VALU_DEP_2)
	v_cndmask_b32_e32 v46, 0, v46, vcc_lo
	v_add_f64_e64 v[10:11], v[48:49], -v[10:11]
	v_add_f64_e32 v[48:49], v[54:55], v[44:45]
	s_delay_alu instid0(VALU_DEP_1) | instskip(SKIP_1) | instid1(VALU_DEP_2)
	v_add_f64_e32 v[52:53], v[10:11], v[48:49]
	v_add_f64_e64 v[62:63], v[48:49], -v[54:55]
	v_add_f64_e32 v[56:57], v[52:53], v[46:47]
	s_delay_alu instid0(VALU_DEP_2) | instskip(SKIP_2) | instid1(VALU_DEP_4)
	v_add_f64_e64 v[68:69], v[48:49], -v[62:63]
	v_add_f64_e64 v[44:45], v[44:45], -v[62:63]
	;; [unrolled: 1-line block ×3, first 2 shown]
	v_cmp_gt_f64_e32 vcc_lo, 0, v[56:57]
	v_add_f64_e64 v[56:57], v[54:55], -v[58:59]
	s_delay_alu instid0(VALU_DEP_3) | instskip(SKIP_1) | instid1(VALU_DEP_3)
	v_add_f64_e64 v[10:11], v[48:49], -v[10:11]
	v_cndmask_b32_e64 v25, 0, 0x40100000, vcc_lo
	v_add_f64_e64 v[66:67], v[54:55], -v[56:57]
	v_add_f64_e64 v[56:57], v[60:61], -v[56:57]
	;; [unrolled: 1-line block ×3, first 2 shown]
	s_delay_alu instid0(VALU_DEP_4) | instskip(NEXT) | instid1(VALU_DEP_4)
	v_add_f64_e32 v[46:47], v[46:47], v[24:25]
	v_add_f64_e64 v[60:61], v[58:59], -v[66:67]
	s_delay_alu instid0(VALU_DEP_3) | instskip(NEXT) | instid1(VALU_DEP_3)
	v_add_f64_e32 v[44:45], v[44:45], v[54:55]
	v_add_f64_e32 v[64:65], v[52:53], v[46:47]
	s_delay_alu instid0(VALU_DEP_3) | instskip(NEXT) | instid1(VALU_DEP_2)
	v_add_f64_e32 v[56:57], v[56:57], v[60:61]
	v_cvt_i32_f64_e32 v25, v[64:65]
	s_delay_alu instid0(VALU_DEP_2) | instskip(NEXT) | instid1(VALU_DEP_2)
	v_add_f64_e32 v[44:45], v[56:57], v[44:45]
	v_cvt_f64_i32_e32 v[62:63], v25
	s_delay_alu instid0(VALU_DEP_2) | instskip(NEXT) | instid1(VALU_DEP_2)
	v_add_f64_e32 v[4:5], v[4:5], v[44:45]
	v_add_f64_e64 v[46:47], v[46:47], -v[62:63]
	s_delay_alu instid0(VALU_DEP_2) | instskip(NEXT) | instid1(VALU_DEP_2)
	v_add_f64_e32 v[4:5], v[10:11], v[4:5]
	v_add_f64_e32 v[54:55], v[52:53], v[46:47]
	s_delay_alu instid0(VALU_DEP_1) | instskip(SKIP_1) | instid1(VALU_DEP_2)
	v_add_f64_e64 v[44:45], v[54:55], -v[46:47]
	v_cmp_le_f64_e32 vcc_lo, 0.5, v[54:55]
	v_add_f64_e64 v[10:11], v[52:53], -v[44:45]
	v_add_co_ci_u32_e64 v50, null, 0, v25, vcc_lo
	v_cndmask_b32_e64 v25, 0, 0x3ff00000, vcc_lo
	s_delay_alu instid0(VALU_DEP_3) | instskip(NEXT) | instid1(VALU_DEP_2)
	v_add_f64_e32 v[4:5], v[4:5], v[10:11]
	v_add_f64_e64 v[10:11], v[54:55], -v[24:25]
	s_delay_alu instid0(VALU_DEP_1) | instskip(NEXT) | instid1(VALU_DEP_1)
	v_add_f64_e32 v[44:45], v[10:11], v[4:5]
	v_mul_f64_e32 v[46:47], 0x3ff921fb54442d18, v[44:45]
	v_add_f64_e64 v[10:11], v[44:45], -v[10:11]
	s_delay_alu instid0(VALU_DEP_2) | instskip(NEXT) | instid1(VALU_DEP_2)
	v_fma_f64 v[48:49], v[44:45], s[2:3], -v[46:47]
	v_add_f64_e64 v[4:5], v[4:5], -v[10:11]
	s_delay_alu instid0(VALU_DEP_2) | instskip(NEXT) | instid1(VALU_DEP_1)
	v_fmac_f64_e32 v[48:49], 0x3c91a62633145c07, v[44:45]
	v_fmac_f64_e32 v[48:49], 0x3ff921fb54442d18, v[4:5]
	s_delay_alu instid0(VALU_DEP_1) | instskip(NEXT) | instid1(VALU_DEP_1)
	v_add_f64_e32 v[4:5], v[46:47], v[48:49]
	v_add_f64_e64 v[10:11], v[4:5], -v[46:47]
	s_delay_alu instid0(VALU_DEP_1)
	v_add_f64_e64 v[10:11], v[48:49], -v[10:11]
.LBB99_323:                             ;   in Loop: Header=BB99_180 Depth=1
	s_or_saveexec_b32 s1, s1
	v_mul_f64_e64 v[44:45], |v[2:3]|, s[4:5]
	s_delay_alu instid0(VALU_DEP_1)
	v_rndne_f64_e32 v[48:49], v[44:45]
	s_xor_b32 exec_lo, exec_lo, s1
	s_cbranch_execz .LBB99_325
; %bb.324:                              ;   in Loop: Header=BB99_180 Depth=1
	s_delay_alu instid0(VALU_DEP_1) | instskip(SKIP_2) | instid1(VALU_DEP_3)
	v_fma_f64 v[4:5], v[48:49], s[6:7], |v[2:3]|
	v_mul_f64_e32 v[10:11], 0xbc91a62633145c00, v[48:49]
	v_cvt_i32_f64_e32 v50, v[48:49]
	v_fmamk_f64 v[52:53], v[48:49], 0xbc91a62633145c00, v[4:5]
	s_delay_alu instid0(VALU_DEP_3) | instskip(NEXT) | instid1(VALU_DEP_1)
	v_add_f64_e32 v[44:45], v[4:5], v[10:11]
	v_add_f64_e64 v[46:47], v[4:5], -v[44:45]
	s_delay_alu instid0(VALU_DEP_3) | instskip(NEXT) | instid1(VALU_DEP_2)
	v_add_f64_e64 v[4:5], v[44:45], -v[52:53]
	v_add_f64_e32 v[44:45], v[46:47], v[10:11]
	v_fmamk_f64 v[10:11], v[48:49], 0x3c91a62633145c00, v[10:11]
	s_delay_alu instid0(VALU_DEP_2) | instskip(NEXT) | instid1(VALU_DEP_1)
	v_add_f64_e32 v[4:5], v[4:5], v[44:45]
	v_add_f64_e64 v[10:11], v[4:5], -v[10:11]
	s_delay_alu instid0(VALU_DEP_1) | instskip(NEXT) | instid1(VALU_DEP_1)
	v_fmac_f64_e32 v[10:11], 0xb97b839a252049c0, v[48:49]
	v_add_f64_e32 v[4:5], v[52:53], v[10:11]
	s_delay_alu instid0(VALU_DEP_1) | instskip(NEXT) | instid1(VALU_DEP_1)
	v_add_f64_e64 v[44:45], v[4:5], -v[52:53]
	v_add_f64_e64 v[10:11], v[10:11], -v[44:45]
.LBB99_325:                             ;   in Loop: Header=BB99_180 Depth=1
	s_or_b32 exec_lo, exec_lo, s1
                                        ; implicit-def: $vgpr52
                                        ; implicit-def: $vgpr44_vgpr45
                                        ; implicit-def: $vgpr46_vgpr47
	s_and_saveexec_b32 s1, s0
	s_delay_alu instid0(SALU_CYCLE_1)
	s_xor_b32 s0, exec_lo, s1
	s_cbranch_execz .LBB99_327
; %bb.326:                              ;   in Loop: Header=BB99_180 Depth=1
	v_cmp_le_f64_e64 vcc_lo, 0x7b000000, |v[2:3]|
	v_dual_cndmask_b32 v43, v51, v43 :: v_dual_cndmask_b32 v42, v2, v42
	s_delay_alu instid0(VALU_DEP_1) | instskip(SKIP_2) | instid1(VALU_DEP_3)
	v_mul_f64_e32 v[44:45], v[40:41], v[42:43]
	v_mul_f64_e32 v[46:47], v[38:39], v[42:43]
	;; [unrolled: 1-line block ×3, first 2 shown]
	v_fma_f64 v[40:41], v[40:41], v[42:43], -v[44:45]
	s_delay_alu instid0(VALU_DEP_3) | instskip(NEXT) | instid1(VALU_DEP_3)
	v_fma_f64 v[38:39], v[38:39], v[42:43], -v[46:47]
	v_fma_f64 v[36:37], v[36:37], v[42:43], -v[58:59]
	s_delay_alu instid0(VALU_DEP_3) | instskip(NEXT) | instid1(VALU_DEP_1)
	v_add_f64_e32 v[48:49], v[46:47], v[40:41]
	v_add_f64_e64 v[52:53], v[48:49], -v[46:47]
	v_add_f64_e32 v[56:57], v[44:45], v[48:49]
	s_delay_alu instid0(VALU_DEP_2) | instskip(SKIP_1) | instid1(VALU_DEP_3)
	v_add_f64_e64 v[54:55], v[48:49], -v[52:53]
	v_add_f64_e64 v[40:41], v[40:41], -v[52:53]
	v_ldexp_f64 v[52:53], v[56:57], -2
	v_add_f64_e64 v[44:45], v[56:57], -v[44:45]
	s_delay_alu instid0(VALU_DEP_4) | instskip(SKIP_1) | instid1(VALU_DEP_4)
	v_add_f64_e64 v[46:47], v[46:47], -v[54:55]
	v_add_f64_e32 v[54:55], v[58:59], v[38:39]
	v_cmp_neq_f64_e64 vcc_lo, 0x7ff00000, |v[52:53]|
	s_delay_alu instid0(VALU_DEP_3) | instskip(SKIP_1) | instid1(VALU_DEP_1)
	v_add_f64_e32 v[40:41], v[40:41], v[46:47]
	v_fract_f64_e32 v[46:47], v[52:53]
	v_ldexp_f64 v[46:47], v[46:47], 2
	s_delay_alu instid0(VALU_DEP_1) | instskip(NEXT) | instid1(VALU_DEP_2)
	v_dual_add_f64 v[44:45], v[48:49], -v[44:45] :: v_dual_cndmask_b32 v47, 0, v47, vcc_lo
	v_dual_add_f64 v[48:49], v[54:55], v[40:41] :: v_dual_cndmask_b32 v46, 0, v46, vcc_lo
	s_delay_alu instid0(VALU_DEP_1) | instskip(SKIP_1) | instid1(VALU_DEP_2)
	v_add_f64_e32 v[52:53], v[44:45], v[48:49]
	v_add_f64_e64 v[60:61], v[48:49], -v[54:55]
	v_add_f64_e32 v[56:57], v[52:53], v[46:47]
	s_delay_alu instid0(VALU_DEP_2) | instskip(SKIP_2) | instid1(VALU_DEP_4)
	v_add_f64_e64 v[66:67], v[48:49], -v[60:61]
	v_add_f64_e64 v[40:41], v[40:41], -v[60:61]
	;; [unrolled: 1-line block ×3, first 2 shown]
	v_cmp_gt_f64_e32 vcc_lo, 0, v[56:57]
	v_add_f64_e64 v[56:57], v[54:55], -v[58:59]
	s_delay_alu instid0(VALU_DEP_3) | instskip(SKIP_1) | instid1(VALU_DEP_3)
	v_add_f64_e64 v[42:43], v[48:49], -v[42:43]
                                        ; implicit-def: $vgpr48_vgpr49
	v_cndmask_b32_e64 v25, 0, 0x40100000, vcc_lo
	v_add_f64_e64 v[64:65], v[54:55], -v[56:57]
	v_add_f64_e64 v[38:39], v[38:39], -v[56:57]
	;; [unrolled: 1-line block ×3, first 2 shown]
	s_delay_alu instid0(VALU_DEP_4) | instskip(NEXT) | instid1(VALU_DEP_4)
	v_add_f64_e32 v[46:47], v[46:47], v[24:25]
	v_add_f64_e64 v[56:57], v[58:59], -v[64:65]
	s_delay_alu instid0(VALU_DEP_3) | instskip(NEXT) | instid1(VALU_DEP_3)
	v_add_f64_e32 v[40:41], v[40:41], v[54:55]
	v_add_f64_e32 v[62:63], v[52:53], v[46:47]
	s_delay_alu instid0(VALU_DEP_3) | instskip(NEXT) | instid1(VALU_DEP_2)
	v_add_f64_e32 v[38:39], v[38:39], v[56:57]
	v_cvt_i32_f64_e32 v25, v[62:63]
	s_delay_alu instid0(VALU_DEP_2) | instskip(NEXT) | instid1(VALU_DEP_2)
	v_add_f64_e32 v[38:39], v[38:39], v[40:41]
	v_cvt_f64_i32_e32 v[60:61], v25
	s_delay_alu instid0(VALU_DEP_2) | instskip(NEXT) | instid1(VALU_DEP_2)
	v_add_f64_e32 v[36:37], v[36:37], v[38:39]
	v_add_f64_e64 v[46:47], v[46:47], -v[60:61]
	s_delay_alu instid0(VALU_DEP_2) | instskip(NEXT) | instid1(VALU_DEP_2)
	v_add_f64_e32 v[36:37], v[42:43], v[36:37]
	v_add_f64_e32 v[40:41], v[52:53], v[46:47]
	s_delay_alu instid0(VALU_DEP_1) | instskip(SKIP_1) | instid1(VALU_DEP_2)
	v_add_f64_e64 v[38:39], v[40:41], -v[46:47]
	v_cmp_le_f64_e32 vcc_lo, 0.5, v[40:41]
	v_add_f64_e64 v[38:39], v[52:53], -v[38:39]
	v_add_co_ci_u32_e64 v52, null, 0, v25, vcc_lo
	v_cndmask_b32_e64 v25, 0, 0x3ff00000, vcc_lo
	s_delay_alu instid0(VALU_DEP_3) | instskip(NEXT) | instid1(VALU_DEP_2)
	v_add_f64_e32 v[36:37], v[36:37], v[38:39]
	v_add_f64_e64 v[38:39], v[40:41], -v[24:25]
	s_delay_alu instid0(VALU_DEP_1) | instskip(NEXT) | instid1(VALU_DEP_1)
	v_add_f64_e32 v[40:41], v[38:39], v[36:37]
	v_mul_f64_e32 v[42:43], 0x3ff921fb54442d18, v[40:41]
	v_add_f64_e64 v[38:39], v[40:41], -v[38:39]
	s_delay_alu instid0(VALU_DEP_2) | instskip(NEXT) | instid1(VALU_DEP_2)
	v_fma_f64 v[46:47], v[40:41], s[2:3], -v[42:43]
	v_add_f64_e64 v[36:37], v[36:37], -v[38:39]
	s_delay_alu instid0(VALU_DEP_2) | instskip(NEXT) | instid1(VALU_DEP_1)
	v_fmac_f64_e32 v[46:47], 0x3c91a62633145c07, v[40:41]
	v_fmac_f64_e32 v[46:47], 0x3ff921fb54442d18, v[36:37]
	s_delay_alu instid0(VALU_DEP_1) | instskip(NEXT) | instid1(VALU_DEP_1)
	v_add_f64_e32 v[44:45], v[42:43], v[46:47]
	v_add_f64_e64 v[36:37], v[44:45], -v[42:43]
	s_delay_alu instid0(VALU_DEP_1)
	v_add_f64_e64 v[46:47], v[46:47], -v[36:37]
	s_and_not1_saveexec_b32 s0, s0
	s_cbranch_execz .LBB99_176
	s_branch .LBB99_328
.LBB99_327:                             ;   in Loop: Header=BB99_180 Depth=1
	s_and_not1_saveexec_b32 s0, s0
	s_cbranch_execz .LBB99_176
.LBB99_328:                             ;   in Loop: Header=BB99_180 Depth=1
	s_delay_alu instid0(VALU_DEP_1) | instskip(SKIP_2) | instid1(VALU_DEP_2)
	v_fma_f64 v[36:37], v[48:49], s[6:7], |v[2:3]|
	v_mul_f64_e32 v[38:39], 0xbc91a62633145c00, v[48:49]
	v_cvt_i32_f64_e32 v52, v[48:49]
	v_add_f64_e32 v[40:41], v[36:37], v[38:39]
	s_delay_alu instid0(VALU_DEP_1) | instskip(SKIP_1) | instid1(VALU_DEP_1)
	v_add_f64_e64 v[42:43], v[36:37], -v[40:41]
	v_fmamk_f64 v[36:37], v[48:49], 0xbc91a62633145c00, v[36:37]
	v_add_f64_e64 v[40:41], v[40:41], -v[36:37]
	s_delay_alu instid0(VALU_DEP_3) | instskip(SKIP_1) | instid1(VALU_DEP_2)
	v_add_f64_e32 v[42:43], v[42:43], v[38:39]
	v_fmamk_f64 v[38:39], v[48:49], 0x3c91a62633145c00, v[38:39]
	v_add_f64_e32 v[40:41], v[40:41], v[42:43]
	s_delay_alu instid0(VALU_DEP_1) | instskip(NEXT) | instid1(VALU_DEP_1)
	v_add_f64_e64 v[38:39], v[40:41], -v[38:39]
	v_fmac_f64_e32 v[38:39], 0xb97b839a252049c0, v[48:49]
	s_delay_alu instid0(VALU_DEP_1) | instskip(NEXT) | instid1(VALU_DEP_1)
	v_add_f64_e32 v[44:45], v[36:37], v[38:39]
	v_add_f64_e64 v[36:37], v[44:45], -v[36:37]
	s_delay_alu instid0(VALU_DEP_1)
	v_add_f64_e64 v[46:47], v[38:39], -v[36:37]
	s_branch .LBB99_176
.LBB99_329:
	s_sendmsg sendmsg(MSG_DEALLOC_VGPRS)
	s_endpgm
	.section	.rodata,"a",@progbits
	.p2align	6, 0x0
	.amdhsa_kernel _ZN2at6native12_GLOBAL__N_125multi_tensor_apply_kernelINS1_18TensorListMetadataILi1EEENS1_14UnaryOpFunctorIN3c107complexIdEELi1ELi1ELi0EEEJNS0_3TanIS8_EEEEEvT_T0_DpT1_
		.amdhsa_group_segment_fixed_size 0
		.amdhsa_private_segment_fixed_size 0
		.amdhsa_kernarg_size 3632
		.amdhsa_user_sgpr_count 2
		.amdhsa_user_sgpr_dispatch_ptr 0
		.amdhsa_user_sgpr_queue_ptr 0
		.amdhsa_user_sgpr_kernarg_segment_ptr 1
		.amdhsa_user_sgpr_dispatch_id 0
		.amdhsa_user_sgpr_kernarg_preload_length 0
		.amdhsa_user_sgpr_kernarg_preload_offset 0
		.amdhsa_user_sgpr_private_segment_size 0
		.amdhsa_wavefront_size32 1
		.amdhsa_uses_dynamic_stack 0
		.amdhsa_enable_private_segment 0
		.amdhsa_system_sgpr_workgroup_id_x 1
		.amdhsa_system_sgpr_workgroup_id_y 0
		.amdhsa_system_sgpr_workgroup_id_z 0
		.amdhsa_system_sgpr_workgroup_info 0
		.amdhsa_system_vgpr_workitem_id 0
		.amdhsa_next_free_vgpr 96
		.amdhsa_next_free_sgpr 39
		.amdhsa_named_barrier_count 0
		.amdhsa_reserve_vcc 1
		.amdhsa_float_round_mode_32 0
		.amdhsa_float_round_mode_16_64 0
		.amdhsa_float_denorm_mode_32 3
		.amdhsa_float_denorm_mode_16_64 3
		.amdhsa_fp16_overflow 0
		.amdhsa_memory_ordered 1
		.amdhsa_forward_progress 1
		.amdhsa_inst_pref_size 255
		.amdhsa_round_robin_scheduling 0
		.amdhsa_exception_fp_ieee_invalid_op 0
		.amdhsa_exception_fp_denorm_src 0
		.amdhsa_exception_fp_ieee_div_zero 0
		.amdhsa_exception_fp_ieee_overflow 0
		.amdhsa_exception_fp_ieee_underflow 0
		.amdhsa_exception_fp_ieee_inexact 0
		.amdhsa_exception_int_div_zero 0
	.end_amdhsa_kernel
	.section	.text._ZN2at6native12_GLOBAL__N_125multi_tensor_apply_kernelINS1_18TensorListMetadataILi1EEENS1_14UnaryOpFunctorIN3c107complexIdEELi1ELi1ELi0EEEJNS0_3TanIS8_EEEEEvT_T0_DpT1_,"axG",@progbits,_ZN2at6native12_GLOBAL__N_125multi_tensor_apply_kernelINS1_18TensorListMetadataILi1EEENS1_14UnaryOpFunctorIN3c107complexIdEELi1ELi1ELi0EEEJNS0_3TanIS8_EEEEEvT_T0_DpT1_,comdat
.Lfunc_end99:
	.size	_ZN2at6native12_GLOBAL__N_125multi_tensor_apply_kernelINS1_18TensorListMetadataILi1EEENS1_14UnaryOpFunctorIN3c107complexIdEELi1ELi1ELi0EEEJNS0_3TanIS8_EEEEEvT_T0_DpT1_, .Lfunc_end99-_ZN2at6native12_GLOBAL__N_125multi_tensor_apply_kernelINS1_18TensorListMetadataILi1EEENS1_14UnaryOpFunctorIN3c107complexIdEELi1ELi1ELi0EEEJNS0_3TanIS8_EEEEEvT_T0_DpT1_
                                        ; -- End function
	.set _ZN2at6native12_GLOBAL__N_125multi_tensor_apply_kernelINS1_18TensorListMetadataILi1EEENS1_14UnaryOpFunctorIN3c107complexIdEELi1ELi1ELi0EEEJNS0_3TanIS8_EEEEEvT_T0_DpT1_.num_vgpr, 96
	.set _ZN2at6native12_GLOBAL__N_125multi_tensor_apply_kernelINS1_18TensorListMetadataILi1EEENS1_14UnaryOpFunctorIN3c107complexIdEELi1ELi1ELi0EEEJNS0_3TanIS8_EEEEEvT_T0_DpT1_.num_agpr, 0
	.set _ZN2at6native12_GLOBAL__N_125multi_tensor_apply_kernelINS1_18TensorListMetadataILi1EEENS1_14UnaryOpFunctorIN3c107complexIdEELi1ELi1ELi0EEEJNS0_3TanIS8_EEEEEvT_T0_DpT1_.numbered_sgpr, 39
	.set _ZN2at6native12_GLOBAL__N_125multi_tensor_apply_kernelINS1_18TensorListMetadataILi1EEENS1_14UnaryOpFunctorIN3c107complexIdEELi1ELi1ELi0EEEJNS0_3TanIS8_EEEEEvT_T0_DpT1_.num_named_barrier, 0
	.set _ZN2at6native12_GLOBAL__N_125multi_tensor_apply_kernelINS1_18TensorListMetadataILi1EEENS1_14UnaryOpFunctorIN3c107complexIdEELi1ELi1ELi0EEEJNS0_3TanIS8_EEEEEvT_T0_DpT1_.private_seg_size, 0
	.set _ZN2at6native12_GLOBAL__N_125multi_tensor_apply_kernelINS1_18TensorListMetadataILi1EEENS1_14UnaryOpFunctorIN3c107complexIdEELi1ELi1ELi0EEEJNS0_3TanIS8_EEEEEvT_T0_DpT1_.uses_vcc, 1
	.set _ZN2at6native12_GLOBAL__N_125multi_tensor_apply_kernelINS1_18TensorListMetadataILi1EEENS1_14UnaryOpFunctorIN3c107complexIdEELi1ELi1ELi0EEEJNS0_3TanIS8_EEEEEvT_T0_DpT1_.uses_flat_scratch, 0
	.set _ZN2at6native12_GLOBAL__N_125multi_tensor_apply_kernelINS1_18TensorListMetadataILi1EEENS1_14UnaryOpFunctorIN3c107complexIdEELi1ELi1ELi0EEEJNS0_3TanIS8_EEEEEvT_T0_DpT1_.has_dyn_sized_stack, 0
	.set _ZN2at6native12_GLOBAL__N_125multi_tensor_apply_kernelINS1_18TensorListMetadataILi1EEENS1_14UnaryOpFunctorIN3c107complexIdEELi1ELi1ELi0EEEJNS0_3TanIS8_EEEEEvT_T0_DpT1_.has_recursion, 0
	.set _ZN2at6native12_GLOBAL__N_125multi_tensor_apply_kernelINS1_18TensorListMetadataILi1EEENS1_14UnaryOpFunctorIN3c107complexIdEELi1ELi1ELi0EEEJNS0_3TanIS8_EEEEEvT_T0_DpT1_.has_indirect_call, 0
	.section	.AMDGPU.csdata,"",@progbits
; Kernel info:
; codeLenInByte = 61820
; TotalNumSgprs: 41
; NumVgprs: 96
; ScratchSize: 0
; MemoryBound: 1
; FloatMode: 240
; IeeeMode: 1
; LDSByteSize: 0 bytes/workgroup (compile time only)
; SGPRBlocks: 0
; VGPRBlocks: 5
; NumSGPRsForWavesPerEU: 41
; NumVGPRsForWavesPerEU: 96
; NamedBarCnt: 0
; Occupancy: 10
; WaveLimiterHint : 0
; COMPUTE_PGM_RSRC2:SCRATCH_EN: 0
; COMPUTE_PGM_RSRC2:USER_SGPR: 2
; COMPUTE_PGM_RSRC2:TRAP_HANDLER: 0
; COMPUTE_PGM_RSRC2:TGID_X_EN: 1
; COMPUTE_PGM_RSRC2:TGID_Y_EN: 0
; COMPUTE_PGM_RSRC2:TGID_Z_EN: 0
; COMPUTE_PGM_RSRC2:TIDIG_COMP_CNT: 0
	.section	.text._ZN2at6native12_GLOBAL__N_125multi_tensor_apply_kernelINS1_18TensorListMetadataILi1EEENS1_14UnaryOpFunctorIN3c107complexIfEELi1ELi1ELi0EEEJNS0_3TanIS8_EEEEEvT_T0_DpT1_,"axG",@progbits,_ZN2at6native12_GLOBAL__N_125multi_tensor_apply_kernelINS1_18TensorListMetadataILi1EEENS1_14UnaryOpFunctorIN3c107complexIfEELi1ELi1ELi0EEEJNS0_3TanIS8_EEEEEvT_T0_DpT1_,comdat
	.globl	_ZN2at6native12_GLOBAL__N_125multi_tensor_apply_kernelINS1_18TensorListMetadataILi1EEENS1_14UnaryOpFunctorIN3c107complexIfEELi1ELi1ELi0EEEJNS0_3TanIS8_EEEEEvT_T0_DpT1_ ; -- Begin function _ZN2at6native12_GLOBAL__N_125multi_tensor_apply_kernelINS1_18TensorListMetadataILi1EEENS1_14UnaryOpFunctorIN3c107complexIfEELi1ELi1ELi0EEEJNS0_3TanIS8_EEEEEvT_T0_DpT1_
	.p2align	8
	.type	_ZN2at6native12_GLOBAL__N_125multi_tensor_apply_kernelINS1_18TensorListMetadataILi1EEENS1_14UnaryOpFunctorIN3c107complexIfEELi1ELi1ELi0EEEJNS0_3TanIS8_EEEEEvT_T0_DpT1_,@function
_ZN2at6native12_GLOBAL__N_125multi_tensor_apply_kernelINS1_18TensorListMetadataILi1EEENS1_14UnaryOpFunctorIN3c107complexIfEELi1ELi1ELi0EEEJNS0_3TanIS8_EEEEEvT_T0_DpT1_: ; @_ZN2at6native12_GLOBAL__N_125multi_tensor_apply_kernelINS1_18TensorListMetadataILi1EEENS1_14UnaryOpFunctorIN3c107complexIfEELi1ELi1ELi0EEEJNS0_3TanIS8_EEEEEvT_T0_DpT1_
; %bb.0:
	s_bfe_u32 s2, ttmp6, 0x4000c
	s_and_b32 s3, ttmp6, 15
	s_add_co_i32 s2, s2, 1
	s_getreg_b32 s4, hwreg(HW_REG_IB_STS2, 6, 4)
	s_mul_i32 s2, ttmp9, s2
	s_delay_alu instid0(SALU_CYCLE_1)
	s_add_co_i32 s3, s3, s2
	s_cmp_eq_u32 s4, 0
	s_cselect_b32 s2, ttmp9, s3
	s_mov_b32 s3, 0
	s_load_u8 s10, s[0:1], s2 offset:0x6e0
	s_add_nc_u64 s[4:5], s[0:1], s[2:3]
	s_mul_u64 s[6:7], s[2:3], 3
	s_delay_alu instid0(SALU_CYCLE_1)
	s_add_nc_u64 s[4:5], s[4:5], s[6:7]
	s_load_b32 s6, s[4:5], 0x820
	s_wait_kmcnt 0x0
	s_clause 0x1
	s_load_b64 s[8:9], s[0:1], s10 offset:0x0 scale_offset
	s_load_b64 s[12:13], s[0:1], s10 offset:0x370 scale_offset
	s_ashr_i32 s7, s6, 31
	s_wait_xcnt 0x0
	s_lshl_b64 s[10:11], s[6:7], 19
	s_wait_kmcnt 0x0
	s_and_b32 s2, s12, 3
	s_add_nc_u64 s[14:15], s[8:9], s[10:11]
	s_delay_alu instid0(SALU_CYCLE_1) | instskip(NEXT) | instid1(SALU_CYCLE_1)
	s_and_b64 s[4:5], s[14:15], 31
	s_or_b64 s[2:3], s[4:5], s[2:3]
	s_lshl_b64 s[4:5], s[6:7], 16
	s_cmp_eq_u64 s[2:3], 0
	s_sub_nc_u64 s[12:13], s[12:13], s[4:5]
	s_cbranch_scc1 .LBB100_173
; %bb.1:
	v_cmp_lt_i64_e64 s2, s[12:13], 1
	s_and_b32 vcc_lo, exec_lo, s2
	s_cbranch_vccnz .LBB100_172
; %bb.2:
	s_load_b32 s2, s[0:1], 0xd3c
	v_min_i64 v[2:3], 0x10000, s[12:13]
	v_min_u64 v[6:7], 0x10000, s[12:13]
	v_dual_mov_b32 v5, 0 :: v_dual_lshlrev_b32 v8, 3, v0
	s_mov_b32 s3, 0
	v_dual_mov_b32 v23, 1.0 :: v_dual_mov_b32 v27, -1.0
	s_delay_alu instid0(VALU_DEP_2)
	v_dual_mov_b32 v1, v5 :: v_dual_mov_b32 v9, v5
	s_mov_b32 s5, s3
	s_mov_b32 s7, s3
	;; [unrolled: 1-line block ×3, first 2 shown]
	v_mov_b32_e32 v25, 0x3f317218
	s_mov_b64 s[16:17], 0
	s_mov_b32 s24, 0x7fffff
	s_mov_b64 s[18:19], 0xfe5163ab
	s_mov_b32 s21, s3
	s_mov_b32 s23, s3
	;; [unrolled: 1-line block ×3, first 2 shown]
	s_wait_kmcnt 0x0
	s_and_b32 s2, s2, 0xffff
	s_mov_b32 s25, -1.0
	v_add_nc_u64_e32 v[12:13], s[2:3], v[0:1]
	v_mad_nc_u64_u32 v[14:15], s2, 24, v[8:9]
	s_lshl_b32 s4, s2, 1
	s_mul_i32 s6, s2, 3
	s_lshl_b32 s26, s2, 4
	v_add_nc_u64_e32 v[16:17], s[6:7], v[0:1]
	v_add_nc_u64_e32 v[18:19], s[26:27], v[8:9]
	;; [unrolled: 1-line block ×3, first 2 shown]
	v_dual_mov_b32 v11, v5 :: v_dual_lshlrev_b32 v10, 3, v12
	s_lshl_b32 s20, s2, 2
	s_lshl_b32 s22, s2, 5
	s_mov_b32 s26, 0xbc8cedd3
	s_mov_b32 s27, 0x3c971480
	;; [unrolled: 1-line block ×4, first 2 shown]
	s_branch .LBB100_4
.LBB100_3:                              ;   in Loop: Header=BB100_4 Depth=1
	s_wait_xcnt 0x0
	s_or_b32 exec_lo, exec_lo, s2
	s_add_nc_u64 s[16:17], s[16:17], s[20:21]
	s_add_nc_u64 s[14:15], s[14:15], s[22:23]
	v_cmp_ge_i64_e32 vcc_lo, s[16:17], v[2:3]
	s_cbranch_vccnz .LBB100_172
.LBB100_4:                              ; =>This Inner Loop Header: Depth=1
	v_add_nc_u64_e32 v[28:29], s[16:17], v[0:1]
	v_dual_mov_b32 v42, 0 :: v_dual_mov_b32 v43, 0
	s_delay_alu instid0(VALU_DEP_2)
	v_cmp_lt_u64_e64 s2, v[28:29], v[6:7]
	v_add_nc_u64_e32 v[28:29], s[14:15], v[8:9]
	s_and_saveexec_b32 s3, s2
	s_cbranch_execz .LBB100_6
; %bb.5:                                ;   in Loop: Header=BB100_4 Depth=1
	global_load_b64 v[42:43], v[28:29], off
.LBB100_6:                              ;   in Loop: Header=BB100_4 Depth=1
	s_wait_xcnt 0x0
	s_or_b32 exec_lo, exec_lo, s3
	v_add_nc_u64_e32 v[30:31], s[16:17], v[12:13]
	v_dual_mov_b32 v40, 0 :: v_dual_mov_b32 v44, 0
	v_mov_b32_e32 v45, 0
	s_delay_alu instid0(VALU_DEP_3)
	v_cmp_lt_u64_e64 s3, v[30:31], v[6:7]
	v_add_nc_u64_e32 v[30:31], s[14:15], v[10:11]
	s_and_saveexec_b32 s4, s3
	s_cbranch_execz .LBB100_8
; %bb.7:                                ;   in Loop: Header=BB100_4 Depth=1
	global_load_b64 v[44:45], v[30:31], off
.LBB100_8:                              ;   in Loop: Header=BB100_4 Depth=1
	s_wait_xcnt 0x0
	s_or_b32 exec_lo, exec_lo, s4
	v_add_nc_u64_e32 v[32:33], s[16:17], v[20:21]
	v_mov_b32_e32 v41, 0
	s_delay_alu instid0(VALU_DEP_2)
	v_cmp_lt_u64_e64 s4, v[32:33], v[6:7]
	v_add_nc_u64_e32 v[32:33], s[14:15], v[18:19]
	s_and_saveexec_b32 s5, s4
	s_cbranch_execz .LBB100_10
; %bb.9:                                ;   in Loop: Header=BB100_4 Depth=1
	global_load_b64 v[40:41], v[32:33], off
.LBB100_10:                             ;   in Loop: Header=BB100_4 Depth=1
	s_wait_xcnt 0x0
	s_or_b32 exec_lo, exec_lo, s5
	v_add_nc_u64_e32 v[34:35], s[16:17], v[16:17]
	v_dual_mov_b32 v36, 0 :: v_dual_mov_b32 v37, 0
	s_delay_alu instid0(VALU_DEP_2)
	v_cmp_lt_u64_e64 s5, v[34:35], v[6:7]
	v_add_nc_u64_e32 v[34:35], s[14:15], v[14:15]
	s_and_saveexec_b32 s6, s5
	s_cbranch_execz .LBB100_12
; %bb.11:                               ;   in Loop: Header=BB100_4 Depth=1
	global_load_b64 v[36:37], v[34:35], off
.LBB100_12:                             ;   in Loop: Header=BB100_4 Depth=1
	s_wait_xcnt 0x0
	s_or_b32 exec_lo, exec_lo, s6
	s_wait_loadcnt 0x0
	v_and_b32_e32 v24, 0x7fffffff, v43
                                        ; implicit-def: $vgpr38
                                        ; implicit-def: $vgpr39
	s_mov_b32 s6, exec_lo
	s_delay_alu instid0(VALU_DEP_1)
	v_cmpx_gt_u32_e32 0x7f800000, v24
	s_xor_b32 s31, exec_lo, s6
	s_cbranch_execz .LBB100_34
; %bb.13:                               ;   in Loop: Header=BB100_4 Depth=1
	v_cmp_class_f32_e64 s6, v42, 0x1f8
                                        ; implicit-def: $vgpr38
                                        ; implicit-def: $vgpr39
	s_and_saveexec_b32 s7, s6
	s_delay_alu instid0(SALU_CYCLE_1)
	s_xor_b32 s33, exec_lo, s7
	s_cbranch_execz .LBB100_31
; %bb.14:                               ;   in Loop: Header=BB100_4 Depth=1
	v_and_b32_e32 v46, 0x7fffffff, v42
                                        ; implicit-def: $vgpr38
                                        ; implicit-def: $vgpr39
	s_mov_b32 s6, exec_lo
	v_cmpx_gt_u32_e32 0x41300000, v24
	s_xor_b32 s34, exec_lo, s6
	s_cbranch_execz .LBB100_20
; %bb.15:                               ;   in Loop: Header=BB100_4 Depth=1
                                        ; implicit-def: $vgpr4
                                        ; implicit-def: $vgpr38
	s_mov_b32 s7, exec_lo
	v_cmpx_ngt_f32_e64 0x48000000, |v42|
	s_xor_b32 s35, exec_lo, s7
	s_cbranch_execz .LBB100_17
; %bb.16:                               ;   in Loop: Header=BB100_4 Depth=1
	v_and_or_b32 v4, v46, s24, 0x800000
	v_dual_mov_b32 v57, v5 :: v_dual_lshrrev_b32 v22, 23, v46
	v_mov_b32_e32 v59, v5
	s_delay_alu instid0(VALU_DEP_3) | instskip(NEXT) | instid1(VALU_DEP_3)
	v_mul_u64_e32 v[38:39], s[18:19], v[4:5]
	v_dual_mov_b32 v49, v5 :: v_dual_add_nc_u32 v22, 0xffffff88, v22
	s_delay_alu instid0(VALU_DEP_1) | instskip(SKIP_1) | instid1(VALU_DEP_1)
	v_cmp_lt_u32_e32 vcc_lo, 63, v22
	v_cndmask_b32_e64 v26, 0, 0xffffffc0, vcc_lo
	v_add_nc_u32_e32 v22, v26, v22
	s_delay_alu instid0(VALU_DEP_1) | instskip(NEXT) | instid1(VALU_DEP_1)
	v_cmp_lt_u32_e64 s6, 31, v22
	v_cndmask_b32_e64 v26, 0, 0xffffffe0, s6
	v_mov_b32_e32 v48, v39
	s_delay_alu instid0(VALU_DEP_1) | instskip(NEXT) | instid1(VALU_DEP_1)
	v_mad_nc_u64_u32 v[48:49], 0x3c439041, v4, v[48:49]
	v_dual_mov_b32 v51, v5 :: v_dual_mov_b32 v50, v49
	s_delay_alu instid0(VALU_DEP_1) | instskip(NEXT) | instid1(VALU_DEP_1)
	v_mad_nc_u64_u32 v[50:51], 0xdb629599, v4, v[50:51]
	v_dual_mov_b32 v53, v5 :: v_dual_mov_b32 v52, v51
	;; [unrolled: 3-line block ×3, first 2 shown]
	s_delay_alu instid0(VALU_DEP_1) | instskip(NEXT) | instid1(VALU_DEP_1)
	v_mad_nc_u64_u32 v[54:55], 0xfc2757d1, v4, v[54:55]
	v_dual_mov_b32 v56, v55 :: v_dual_cndmask_b32 v49, v54, v50
	s_delay_alu instid0(VALU_DEP_1) | instskip(NEXT) | instid1(VALU_DEP_1)
	v_mad_nc_u64_u32 v[56:57], 0x4e441529, v4, v[56:57]
	v_mov_b32_e32 v58, v57
	s_delay_alu instid0(VALU_DEP_1) | instskip(NEXT) | instid1(VALU_DEP_3)
	v_mad_nc_u64_u32 v[58:59], 0xa2f9836e, v4, v[58:59]
	v_dual_add_nc_u32 v4, v26, v22 :: v_dual_cndmask_b32 v26, v56, v52, vcc_lo
	s_delay_alu instid0(VALU_DEP_1) | instskip(NEXT) | instid1(VALU_DEP_1)
	v_cmp_lt_u32_e64 s7, 31, v4
	v_cndmask_b32_e64 v22, 0, 0xffffffe0, s7
	s_delay_alu instid0(VALU_DEP_4) | instskip(NEXT) | instid1(VALU_DEP_2)
	v_dual_cndmask_b32 v39, v58, v54, vcc_lo :: v_dual_cndmask_b32 v47, v59, v56, vcc_lo
	v_add_nc_u32_e32 v4, v22, v4
	s_delay_alu instid0(VALU_DEP_2) | instskip(NEXT) | instid1(VALU_DEP_3)
	v_dual_cndmask_b32 v22, v52, v48, vcc_lo :: v_dual_cndmask_b32 v48, v39, v26, s6
	v_dual_cndmask_b32 v39, v47, v39, s6 :: v_dual_cndmask_b32 v26, v26, v49, s6
	s_delay_alu instid0(VALU_DEP_2) | instskip(NEXT) | instid1(VALU_DEP_2)
	v_dual_sub_nc_u32 v47, 32, v4 :: v_dual_cndmask_b32 v49, v49, v22, s6
	v_dual_cndmask_b32 v39, v39, v48, s7 :: v_dual_cndmask_b32 v48, v48, v26, s7
	s_delay_alu instid0(VALU_DEP_2) | instskip(NEXT) | instid1(VALU_DEP_2)
	v_cndmask_b32_e64 v26, v26, v49, s7
	v_alignbit_b32 v51, v39, v48, v47
	v_cndmask_b32_e32 v38, v50, v38, vcc_lo
	v_cmp_eq_u32_e32 vcc_lo, 0, v4
	s_delay_alu instid0(VALU_DEP_4) | instskip(NEXT) | instid1(VALU_DEP_4)
	v_alignbit_b32 v50, v48, v26, v47
	v_cndmask_b32_e32 v4, v51, v39, vcc_lo
	s_delay_alu instid0(VALU_DEP_1) | instskip(SKIP_1) | instid1(VALU_DEP_1)
	v_bfe_u32 v39, v4, 29, 1
	v_cndmask_b32_e64 v22, v22, v38, s6
	v_dual_cndmask_b32 v38, v50, v48, vcc_lo :: v_dual_cndmask_b32 v22, v49, v22, s7
	s_delay_alu instid0(VALU_DEP_1) | instskip(NEXT) | instid1(VALU_DEP_4)
	v_alignbit_b32 v48, v4, v38, 30
	v_sub_nc_u32_e32 v49, 0, v39
	s_delay_alu instid0(VALU_DEP_3) | instskip(NEXT) | instid1(VALU_DEP_1)
	v_alignbit_b32 v47, v26, v22, v47
	v_dual_cndmask_b32 v26, v47, v26, vcc_lo :: v_dual_bitop2_b32 v48, v48, v49 bitop3:0x14
	s_delay_alu instid0(VALU_DEP_1) | instskip(NEXT) | instid1(VALU_DEP_2)
	v_clz_i32_u32_e32 v47, v48
	v_alignbit_b32 v38, v38, v26, 30
	v_alignbit_b32 v22, v26, v22, 30
	s_delay_alu instid0(VALU_DEP_3) | instskip(NEXT) | instid1(VALU_DEP_3)
	v_min_u32_e32 v47, 32, v47
	v_xor_b32_e32 v26, v38, v49
	s_delay_alu instid0(VALU_DEP_3) | instskip(NEXT) | instid1(VALU_DEP_3)
	v_dual_lshrrev_b32 v49, 29, v4 :: v_dual_bitop2_b32 v22, v22, v49 bitop3:0x14
	v_dual_sub_nc_u32 v38, 31, v47 :: v_dual_lshlrev_b32 v50, 23, v47
	v_lshrrev_b32_e32 v4, 30, v4
	s_delay_alu instid0(VALU_DEP_2) | instskip(NEXT) | instid1(VALU_DEP_4)
	v_alignbit_b32 v48, v48, v26, v38
	v_alignbit_b32 v22, v26, v22, v38
	s_delay_alu instid0(VALU_DEP_3) | instskip(NEXT) | instid1(VALU_DEP_2)
	v_dual_lshlrev_b32 v26, 31, v49 :: v_dual_add_nc_u32 v4, v39, v4
	v_alignbit_b32 v38, v48, v22, 9
	s_delay_alu instid0(VALU_DEP_2) | instskip(SKIP_1) | instid1(VALU_DEP_3)
	v_dual_lshrrev_b32 v48, 9, v48 :: v_dual_bitop2_b32 v49, 0.5, v26 bitop3:0x54
	v_or_b32_e32 v26, 0x33000000, v26
	v_clz_i32_u32_e32 v51, v38
	s_delay_alu instid0(VALU_DEP_3) | instskip(NEXT) | instid1(VALU_DEP_2)
	v_sub_nc_u32_e32 v49, v49, v50
	v_min_u32_e32 v50, 32, v51
	s_delay_alu instid0(VALU_DEP_1) | instskip(NEXT) | instid1(VALU_DEP_1)
	v_add_lshl_u32 v47, v50, v47, 23
	v_dual_sub_nc_u32 v26, v26, v47 :: v_dual_bitop2_b32 v48, v48, v49 bitop3:0x54
	v_not_b32_e32 v49, v50
	s_delay_alu instid0(VALU_DEP_1) | instskip(NEXT) | instid1(VALU_DEP_1)
	v_alignbit_b32 v22, v38, v22, v49
	v_lshrrev_b32_e32 v22, 9, v22
	s_delay_alu instid0(VALU_DEP_1) | instskip(SKIP_1) | instid1(VALU_DEP_1)
	v_or_b32_e32 v22, v26, v22
	v_mul_f32_e32 v51, 0x3fc90fda, v48
	v_fma_f32 v38, 0x3fc90fda, v48, -v51
	s_delay_alu instid0(VALU_DEP_1) | instskip(NEXT) | instid1(VALU_DEP_1)
	v_fmac_f32_e32 v38, 0x33a22168, v48
	v_fmac_f32_e32 v38, 0x3fc90fda, v22
	s_delay_alu instid0(VALU_DEP_1)
	v_add_f32_e32 v38, v51, v38
.LBB100_17:                             ;   in Loop: Header=BB100_4 Depth=1
	s_and_not1_saveexec_b32 s6, s35
; %bb.18:                               ;   in Loop: Header=BB100_4 Depth=1
	v_mul_f32_e64 v4, 0x3f22f983, |v42|
	s_delay_alu instid0(VALU_DEP_1) | instskip(NEXT) | instid1(VALU_DEP_1)
	v_rndne_f32_e32 v4, v4
	v_fma_f32 v38, 0xbfc90fda, v4, |v42|
	s_delay_alu instid0(VALU_DEP_1) | instskip(NEXT) | instid1(VALU_DEP_1)
	v_fmac_f32_e32 v38, 0xb3a22168, v4
	v_fmac_f32_e32 v38, 0xa7c234c4, v4
	v_cvt_i32_f32_e32 v4, v4
; %bb.19:                               ;   in Loop: Header=BB100_4 Depth=1
	s_or_b32 exec_lo, exec_lo, s6
	v_add_f32_e64 v22, 0xbf317218, |v43|
	v_cmp_nlt_f32_e64 vcc_lo, 0x42b2d4fc, |v43|
	v_cmp_gt_f32_e64 s6, 0x39800000, |v43|
	s_delay_alu instid0(VALU_DEP_3) | instskip(NEXT) | instid1(VALU_DEP_1)
	v_sub_f32_e64 v49, v22, |v43|
	v_sub_f32_e32 v48, v49, v22
	s_delay_alu instid0(VALU_DEP_1) | instskip(NEXT) | instid1(VALU_DEP_1)
	v_pk_add_f32 v[48:49], v[24:25], v[48:49]
	v_sub_f32_e32 v24, v48, v49
	s_delay_alu instid0(VALU_DEP_1) | instskip(NEXT) | instid1(VALU_DEP_1)
	v_add_f32_e32 v24, 0x3102e308, v24
	v_add_f32_e32 v26, v22, v24
	s_delay_alu instid0(VALU_DEP_1) | instskip(NEXT) | instid1(VALU_DEP_1)
	v_dual_mul_f32 v39, 0x3fb8aa3b, v26 :: v_dual_sub_f32 v22, v22, v26
	v_rndne_f32_e32 v39, v39
	s_delay_alu instid0(VALU_DEP_1) | instskip(NEXT) | instid1(VALU_DEP_3)
	v_fmac_f32_e32 v26, 0xbf317200, v39
	v_add_f32_e32 v22, v24, v22
	v_mul_f32_e32 v24, 0x35bfbc00, v39
	v_mul_f32_e32 v51, 0x2ea39ef3, v39
	s_delay_alu instid0(VALU_DEP_3) | instskip(NEXT) | instid1(VALU_DEP_1)
	v_add_f32_e32 v47, v22, v26
	v_dual_sub_f32 v48, v47, v24 :: v_dual_sub_f32 v26, v26, v47
	s_delay_alu instid0(VALU_DEP_1) | instskip(NEXT) | instid1(VALU_DEP_1)
	v_dual_sub_f32 v47, v47, v48 :: v_dual_add_f32 v22, v22, v26
	v_sub_f32_e32 v24, v47, v24
	s_delay_alu instid0(VALU_DEP_1) | instskip(NEXT) | instid1(VALU_DEP_1)
	v_add_f32_e32 v22, v22, v24
	v_add_f32_e32 v49, v48, v22
	s_delay_alu instid0(VALU_DEP_1) | instskip(NEXT) | instid1(VALU_DEP_1)
	v_mov_b32_e32 v50, v49
	v_pk_add_f32 v[52:53], v[48:49], v[50:51] neg_lo:[0,1] neg_hi:[0,1]
	s_delay_alu instid0(VALU_DEP_1) | instskip(NEXT) | instid1(VALU_DEP_1)
	v_dual_sub_f32 v24, v49, v53 :: v_dual_add_f32 v22, v22, v52
	v_sub_f32_e32 v24, v24, v51
	s_delay_alu instid0(VALU_DEP_1) | instskip(NEXT) | instid1(VALU_DEP_1)
	v_add_f32_e32 v22, v22, v24
	v_add_f32_e32 v24, v53, v22
	s_delay_alu instid0(VALU_DEP_1) | instskip(SKIP_1) | instid1(VALU_DEP_2)
	v_sub_f32_e32 v26, v53, v24
	v_mov_b64_e32 v[52:53], s[24:25]
	v_add_f32_e32 v22, v22, v26
	s_delay_alu instid0(VALU_DEP_1) | instskip(SKIP_1) | instid1(VALU_DEP_2)
	v_dual_add_f32 v49, v22, v22 :: v_dual_mul_f32 v47, v24, v24
	v_fmaak_f32 v26, s28, v24, 0x3c091de6
	v_fma_f32 v48, v24, v24, -v47
	s_delay_alu instid0(VALU_DEP_1) | instskip(NEXT) | instid1(VALU_DEP_1)
	v_fmac_f32_e32 v48, v24, v49
	v_dual_fmaak_f32 v26, v24, v26, 0x3d2aadcc :: v_dual_add_f32 v49, v47, v48
	s_delay_alu instid0(VALU_DEP_1) | instskip(NEXT) | instid1(VALU_DEP_1)
	v_dual_fmaak_f32 v26, v24, v26, 0x3e2aaa47 :: v_dual_sub_f32 v47, v49, v47
	v_fmaak_f32 v26, v24, v26, 0x3efffffc
	s_delay_alu instid0(VALU_DEP_1) | instskip(NEXT) | instid1(VALU_DEP_1)
	v_dual_sub_f32 v47, v48, v47 :: v_dual_mul_f32 v50, v26, v49
	v_fma_f32 v48, v49, v26, -v50
	s_delay_alu instid0(VALU_DEP_1) | instskip(NEXT) | instid1(VALU_DEP_1)
	v_fmac_f32_e32 v48, v47, v26
	v_add_f32_e32 v47, v50, v48
	s_delay_alu instid0(VALU_DEP_1) | instskip(NEXT) | instid1(VALU_DEP_1)
	v_add_f32_e32 v26, v24, v47
	v_dual_sub_f32 v24, v26, v24 :: v_dual_sub_f32 v49, v47, v50
	s_delay_alu instid0(VALU_DEP_1) | instskip(NEXT) | instid1(VALU_DEP_1)
	v_dual_sub_f32 v24, v47, v24 :: v_dual_sub_f32 v48, v48, v49
	v_add_f32_e32 v22, v22, v48
	s_delay_alu instid0(VALU_DEP_1) | instskip(SKIP_1) | instid1(VALU_DEP_2)
	v_add_f32_e32 v48, v22, v24
	v_cvt_i32_f32_e32 v24, v39
	v_add_f32_e32 v50, v26, v48
	s_delay_alu instid0(VALU_DEP_1) | instskip(NEXT) | instid1(VALU_DEP_1)
	v_dual_add_f32 v51, 1.0, v50 :: v_dual_mov_b32 v49, v50
	v_pk_add_f32 v[52:53], v[50:51], v[52:53]
	v_pk_add_f32 v[54:55], v[50:51], v[26:27] neg_lo:[0,1] neg_hi:[0,1]
	s_delay_alu instid0(VALU_DEP_2) | instskip(NEXT) | instid1(VALU_DEP_1)
	v_mov_b32_e32 v55, v53
	v_pk_add_f32 v[48:49], v[48:49], v[54:55] neg_lo:[0,1] neg_hi:[0,1]
	s_delay_alu instid0(VALU_DEP_1) | instskip(NEXT) | instid1(VALU_DEP_1)
	v_add_f32_e32 v22, v48, v49
	v_add_f32_e32 v26, v51, v22
	s_delay_alu instid0(VALU_DEP_1) | instskip(NEXT) | instid1(VALU_DEP_1)
	v_ldexp_f32 v39, v26, v24
	v_rcp_f32_e32 v47, v39
	v_nop
	s_delay_alu instid0(TRANS32_DEP_1) | instskip(NEXT) | instid1(VALU_DEP_1)
	v_mul_f32_e32 v48, v39, v47
	v_fma_f32 v50, v47, v39, -v48
	v_sub_f32_e32 v26, v26, v51
	s_delay_alu instid0(VALU_DEP_1) | instskip(NEXT) | instid1(VALU_DEP_1)
	v_sub_f32_e32 v22, v22, v26
	v_ldexp_f32 v24, v22, v24
	s_delay_alu instid0(VALU_DEP_1) | instskip(NEXT) | instid1(VALU_DEP_1)
	v_fmac_f32_e32 v50, v47, v24
	v_add_f32_e32 v22, v48, v50
	s_delay_alu instid0(VALU_DEP_1) | instskip(NEXT) | instid1(VALU_DEP_1)
	v_dual_sub_f32 v49, 1.0, v22 :: v_dual_mov_b32 v51, v22
	v_pk_add_f32 v[52:53], v[22:23], v[48:49] neg_lo:[0,1] neg_hi:[0,1]
	s_delay_alu instid0(VALU_DEP_1) | instskip(NEXT) | instid1(VALU_DEP_1)
	v_pk_add_f32 v[50:51], v[52:53], v[50:51] neg_lo:[0,1] neg_hi:[0,1]
	v_add_f32_e32 v22, v50, v51
	s_delay_alu instid0(VALU_DEP_1) | instskip(NEXT) | instid1(VALU_DEP_1)
	v_add_f32_e32 v51, v49, v22
	v_mul_f32_e32 v26, v47, v51
	s_delay_alu instid0(VALU_DEP_1) | instskip(NEXT) | instid1(VALU_DEP_1)
	v_mul_f32_e32 v52, v39, v26
	v_fma_f32 v48, v26, v39, -v52
	s_delay_alu instid0(VALU_DEP_1) | instskip(NEXT) | instid1(VALU_DEP_1)
	v_dual_fmac_f32 v48, v26, v24 :: v_dual_sub_f32 v54, v49, v51
	v_dual_add_f32 v50, v52, v48 :: v_dual_add_f32 v22, v22, v54
	s_delay_alu instid0(VALU_DEP_1) | instskip(NEXT) | instid1(VALU_DEP_1)
	v_dual_sub_f32 v53, v51, v50 :: v_dual_mov_b32 v49, v50
	v_pk_add_f32 v[50:51], v[50:51], v[52:53] neg_lo:[0,1] neg_hi:[0,1]
	s_delay_alu instid0(VALU_DEP_1) | instskip(NEXT) | instid1(VALU_DEP_1)
	v_pk_add_f32 v[48:49], v[50:51], v[48:49] neg_lo:[0,1] neg_hi:[0,1]
	v_dual_add_f32 v22, v22, v49 :: v_dual_add_f32 v49, v47, v26
	s_delay_alu instid0(VALU_DEP_1) | instskip(NEXT) | instid1(VALU_DEP_1)
	v_dual_add_f32 v22, v48, v22 :: v_dual_sub_f32 v48, v49, v47
	v_dual_sub_f32 v26, v26, v48 :: v_dual_add_f32 v22, v53, v22
	s_delay_alu instid0(VALU_DEP_1) | instskip(NEXT) | instid1(VALU_DEP_1)
	v_mul_f32_e32 v22, v47, v22
	v_add_f32_e32 v22, v26, v22
	s_delay_alu instid0(VALU_DEP_1) | instskip(NEXT) | instid1(VALU_DEP_1)
	v_add_f32_e32 v26, v49, v22
	v_ldexp_f32 v47, v26, -2
	s_delay_alu instid0(VALU_DEP_1) | instskip(NEXT) | instid1(VALU_DEP_1)
	v_dual_sub_f32 v26, v26, v49 :: v_dual_sub_f32 v48, v39, v47
	v_dual_sub_f32 v39, v39, v48 :: v_dual_sub_f32 v22, v22, v26
	s_delay_alu instid0(VALU_DEP_1) | instskip(NEXT) | instid1(VALU_DEP_2)
	v_sub_f32_e32 v26, v39, v47
	v_ldexp_f32 v22, v22, -2
	v_xor_b32_e32 v39, 0x80000000, v43
	s_delay_alu instid0(VALU_DEP_3) | instskip(NEXT) | instid1(VALU_DEP_1)
	v_add_f32_e32 v24, v24, v26
	v_sub_f32_e32 v22, v24, v22
	v_mul_f32_e32 v24, v38, v38
	s_delay_alu instid0(VALU_DEP_2) | instskip(NEXT) | instid1(VALU_DEP_1)
	v_add_f32_e32 v22, v48, v22
	v_cndmask_b32_e32 v22, 0x7f800000, v22, vcc_lo
	s_delay_alu instid0(VALU_DEP_1) | instskip(NEXT) | instid1(VALU_DEP_4)
	v_cndmask_b32_e64 v22, v22, |v43|, s6
	v_fmaak_f32 v43, s26, v24, 0x3ec54587
	s_delay_alu instid0(VALU_DEP_2) | instskip(SKIP_1) | instid1(VALU_DEP_1)
	v_bfi_b32 v39, 0x7fffffff, v22, v39
	v_fmaak_f32 v26, s27, v24, 0xbf039337
	v_fmaak_f32 v26, v24, v26, 0x3f93f425
	s_delay_alu instid0(VALU_DEP_1) | instskip(SKIP_1) | instid1(TRANS32_DEP_1)
	v_rcp_f32_e32 v26, v26
	v_nop
	v_mul_f32_e32 v22, v43, v26
	v_fma_f32 v26, v39, v39, 1.0
	s_delay_alu instid0(VALU_DEP_1) | instskip(NEXT) | instid1(VALU_DEP_3)
	v_cmp_gt_f32_e32 vcc_lo, 0xf800000, v26
	v_mul_f32_e32 v22, v24, v22
	v_mul_f32_e32 v24, 0x4f800000, v26
	s_delay_alu instid0(VALU_DEP_1) | instskip(NEXT) | instid1(VALU_DEP_3)
	v_cndmask_b32_e32 v24, v26, v24, vcc_lo
	v_fma_f32 v43, v22, v38, v38
	s_delay_alu instid0(VALU_DEP_2) | instskip(NEXT) | instid1(VALU_DEP_1)
	v_sqrt_f32_e32 v48, v24
	v_sub_f32_e32 v47, v43, v38
	s_delay_alu instid0(VALU_DEP_1) | instskip(SKIP_1) | instid1(TRANS32_DEP_2)
	v_fma_f32 v22, v22, v38, -v47
	v_rcp_f32_e32 v26, v43
	v_add_nc_u32_e32 v47, -1, v48
	s_delay_alu instid0(TRANS32_DEP_1) | instskip(NEXT) | instid1(VALU_DEP_1)
	v_fma_f32 v38, v43, -v26, 1.0
	v_dual_fma_f32 v22, v22, -v26, v38 :: v_dual_add_nc_u32 v38, 1, v48
	s_delay_alu instid0(VALU_DEP_1) | instskip(NEXT) | instid1(VALU_DEP_1)
	v_dual_fma_f32 v49, -v47, v48, v24 :: v_dual_fma_f32 v22, v22, -v26, -v26
	v_cmp_ge_f32_e64 s6, 0, v49
	s_delay_alu instid0(VALU_DEP_1) | instskip(NEXT) | instid1(VALU_DEP_4)
	v_dual_cndmask_b32 v47, v48, v47, s6 :: v_dual_bitop2_b32 v4, 1, v4 bitop3:0x40
	v_fma_f32 v26, -v38, v48, v24
	s_delay_alu instid0(VALU_DEP_2) | instskip(NEXT) | instid1(VALU_DEP_1)
	v_cmp_eq_u32_e64 s6, 0, v4
	v_cndmask_b32_e64 v4, v22, v43, s6
	s_delay_alu instid0(VALU_DEP_3) | instskip(NEXT) | instid1(VALU_DEP_1)
	v_cmp_lt_f32_e64 s6, 0, v26
	v_cndmask_b32_e64 v22, v47, v38, s6
	s_delay_alu instid0(VALU_DEP_1) | instskip(NEXT) | instid1(VALU_DEP_1)
	v_mul_f32_e32 v26, 0x37800000, v22
	v_cndmask_b32_e32 v22, v22, v26, vcc_lo
	v_xor3_b32 v4, v46, v4, v42
	v_cmp_class_f32_e64 vcc_lo, v24, 0x260
	s_delay_alu instid0(VALU_DEP_2) | instskip(NEXT) | instid1(VALU_DEP_1)
	v_fma_f32 v42, v4, v4, 1.0
	v_dual_cndmask_b32 v38, v22, v24 :: v_dual_mul_f32 v43, v39, v42
	s_delay_alu instid0(VALU_DEP_1) | instskip(NEXT) | instid1(VALU_DEP_1)
	v_pk_mul_f32 v[42:43], v[38:39], v[42:43]
	v_dual_add_f32 v24, 1.0, v43 :: v_dual_mul_f32 v22, v39, v42
	s_delay_alu instid0(VALU_DEP_1) | instskip(NEXT) | instid1(VALU_DEP_1)
	v_div_scale_f32 v38, null, v24, v24, v4
	v_rcp_f32_e32 v42, v38
	v_nop
	s_delay_alu instid0(TRANS32_DEP_1) | instskip(NEXT) | instid1(VALU_DEP_1)
	v_fma_f32 v46, -v38, v42, 1.0
	v_fmac_f32_e32 v42, v46, v42
	v_div_scale_f32 v26, null, v24, v24, v22
	v_div_scale_f32 v47, vcc_lo, v22, v24, v22
	s_delay_alu instid0(VALU_DEP_2) | instskip(SKIP_1) | instid1(TRANS32_DEP_1)
	v_rcp_f32_e32 v39, v26
	v_nop
	v_fma_f32 v43, -v26, v39, 1.0
	s_delay_alu instid0(VALU_DEP_1) | instskip(SKIP_1) | instid1(VALU_DEP_1)
	v_fmac_f32_e32 v39, v43, v39
	v_div_scale_f32 v43, s6, v4, v24, v4
	v_mul_f32_e32 v48, v43, v42
	s_delay_alu instid0(VALU_DEP_1) | instskip(NEXT) | instid1(VALU_DEP_1)
	v_dual_mul_f32 v46, v47, v39 :: v_dual_fma_f32 v50, -v38, v48, v43
	v_fma_f32 v49, -v26, v46, v47
	s_delay_alu instid0(VALU_DEP_1) | instskip(NEXT) | instid1(VALU_DEP_1)
	v_dual_fmac_f32 v46, v49, v39 :: v_dual_fmac_f32 v48, v50, v42
	v_fma_f32 v26, -v26, v46, v47
	s_delay_alu instid0(VALU_DEP_2) | instskip(NEXT) | instid1(VALU_DEP_2)
	v_fma_f32 v38, -v38, v48, v43
	v_div_fmas_f32 v26, v26, v39, v46
	s_mov_b32 vcc_lo, s6
                                        ; implicit-def: $vgpr46
	s_delay_alu instid0(VALU_DEP_2) | instskip(NEXT) | instid1(VALU_DEP_2)
	v_div_fmas_f32 v38, v38, v42, v48
                                        ; implicit-def: $vgpr42
	v_div_fixup_f32 v39, v26, v24, v22
	s_delay_alu instid0(VALU_DEP_2)
	v_div_fixup_f32 v38, v38, v24, v4
.LBB100_20:                             ;   in Loop: Header=BB100_4 Depth=1
	s_and_not1_saveexec_b32 s34, s34
	s_cbranch_execz .LBB100_23
; %bb.21:                               ;   in Loop: Header=BB100_4 Depth=1
	v_lshrrev_b32_e32 v22, 23, v46
	v_cmp_ngt_f32_e64 s35, 0x48000000, |v42|
	v_and_or_b32 v4, v46, s24, 0x800000
                                        ; implicit-def: $vgpr26
	s_delay_alu instid0(VALU_DEP_3) | instskip(SKIP_1) | instid1(SALU_CYCLE_1)
	v_add_nc_u32_e32 v24, 0xffffff88, v22
                                        ; implicit-def: $vgpr22
	s_and_saveexec_b32 s6, s35
	s_xor_b32 s36, exec_lo, s6
	s_cbranch_execz .LBB100_24
; %bb.22:                               ;   in Loop: Header=BB100_4 Depth=1
	v_mul_u64_e32 v[38:39], s[18:19], v[4:5]
	v_mov_b32_e32 v49, v5
	v_cmp_lt_u32_e32 vcc_lo, 63, v24
	v_mov_b32_e32 v59, v5
	v_cndmask_b32_e64 v22, 0, 0xffffffc0, vcc_lo
	s_delay_alu instid0(VALU_DEP_1) | instskip(NEXT) | instid1(VALU_DEP_1)
	v_add_nc_u32_e32 v22, v22, v24
	v_cmp_lt_u32_e64 s6, 31, v22
	s_delay_alu instid0(VALU_DEP_1) | instskip(NEXT) | instid1(VALU_DEP_1)
	v_cndmask_b32_e64 v26, 0, 0xffffffe0, s6
	v_dual_add_nc_u32 v22, v26, v22 :: v_dual_mov_b32 v48, v39
	s_delay_alu instid0(VALU_DEP_1) | instskip(NEXT) | instid1(VALU_DEP_2)
	v_cmp_lt_u32_e64 s7, 31, v22
	v_mad_nc_u64_u32 v[48:49], 0x3c439041, v4, v[48:49]
	v_mov_b32_e32 v51, v5
	s_delay_alu instid0(VALU_DEP_3) | instskip(NEXT) | instid1(VALU_DEP_3)
	v_cndmask_b32_e64 v26, 0, 0xffffffe0, s7
	v_mov_b32_e32 v50, v49
	s_delay_alu instid0(VALU_DEP_1) | instskip(NEXT) | instid1(VALU_DEP_1)
	v_mad_nc_u64_u32 v[50:51], 0xdb629599, v4, v[50:51]
	v_dual_mov_b32 v53, v5 :: v_dual_mov_b32 v52, v51
	s_delay_alu instid0(VALU_DEP_2) | instskip(NEXT) | instid1(VALU_DEP_2)
	v_cndmask_b32_e32 v38, v50, v38, vcc_lo
	v_mad_nc_u64_u32 v[52:53], 0xf534ddc0, v4, v[52:53]
	v_dual_mov_b32 v55, v5 :: v_dual_add_nc_u32 v22, v26, v22
	s_delay_alu instid0(VALU_DEP_2) | instskip(NEXT) | instid1(VALU_DEP_1)
	v_dual_cndmask_b32 v26, v52, v48, vcc_lo :: v_dual_mov_b32 v54, v53
	v_mad_nc_u64_u32 v[54:55], 0xfc2757d1, v4, v[54:55]
	s_delay_alu instid0(VALU_DEP_1) | instskip(NEXT) | instid1(VALU_DEP_2)
	v_dual_mov_b32 v57, v5 :: v_dual_mov_b32 v56, v55
	v_cndmask_b32_e32 v51, v54, v50, vcc_lo
	s_delay_alu instid0(VALU_DEP_2) | instskip(NEXT) | instid1(VALU_DEP_1)
	v_mad_nc_u64_u32 v[56:57], 0x4e441529, v4, v[56:57]
	v_mov_b32_e32 v58, v57
	s_delay_alu instid0(VALU_DEP_1) | instskip(NEXT) | instid1(VALU_DEP_1)
	v_mad_nc_u64_u32 v[58:59], 0xa2f9836e, v4, v[58:59]
	v_dual_cndmask_b32 v39, v56, v52, vcc_lo :: v_dual_cndmask_b32 v47, v58, v54, vcc_lo
	s_delay_alu instid0(VALU_DEP_2) | instskip(SKIP_1) | instid1(VALU_DEP_3)
	v_cndmask_b32_e32 v49, v59, v56, vcc_lo
	v_cmp_eq_u32_e32 vcc_lo, 0, v22
	v_cndmask_b32_e64 v48, v47, v39, s6
	s_delay_alu instid0(VALU_DEP_3) | instskip(SKIP_2) | instid1(VALU_DEP_3)
	v_cndmask_b32_e64 v47, v49, v47, s6
	v_dual_cndmask_b32 v39, v39, v51, s6 :: v_dual_sub_nc_u32 v49, 32, v22
	v_cndmask_b32_e64 v51, v51, v26, s6
	v_dual_cndmask_b32 v26, v26, v38, s6 :: v_dual_cndmask_b32 v47, v47, v48, s7
	s_delay_alu instid0(VALU_DEP_3) | instskip(NEXT) | instid1(VALU_DEP_3)
	v_cndmask_b32_e64 v48, v48, v39, s7
	v_cndmask_b32_e64 v39, v39, v51, s7
	s_delay_alu instid0(VALU_DEP_2) | instskip(NEXT) | instid1(VALU_DEP_2)
	v_alignbit_b32 v52, v47, v48, v49
	v_alignbit_b32 v50, v48, v39, v49
	s_delay_alu instid0(VALU_DEP_1) | instskip(NEXT) | instid1(VALU_DEP_1)
	v_dual_cndmask_b32 v22, v52, v47, vcc_lo :: v_dual_cndmask_b32 v38, v50, v48, vcc_lo
	v_bfe_u32 v47, v22, 29, 1
	v_cndmask_b32_e64 v26, v51, v26, s7
	s_delay_alu instid0(VALU_DEP_3) | instskip(NEXT) | instid1(VALU_DEP_3)
	v_alignbit_b32 v48, v22, v38, 30
	v_sub_nc_u32_e32 v50, 0, v47
	s_delay_alu instid0(VALU_DEP_3) | instskip(NEXT) | instid1(VALU_DEP_1)
	v_alignbit_b32 v49, v39, v26, v49
	v_dual_cndmask_b32 v39, v49, v39, vcc_lo :: v_dual_bitop2_b32 v48, v48, v50 bitop3:0x14
	s_delay_alu instid0(VALU_DEP_1) | instskip(NEXT) | instid1(VALU_DEP_2)
	v_clz_i32_u32_e32 v49, v48
	v_alignbit_b32 v38, v38, v39, 30
	v_alignbit_b32 v26, v39, v26, 30
	s_delay_alu instid0(VALU_DEP_3) | instskip(NEXT) | instid1(VALU_DEP_3)
	v_min_u32_e32 v49, 32, v49
	v_xor_b32_e32 v38, v38, v50
	s_delay_alu instid0(VALU_DEP_3) | instskip(NEXT) | instid1(VALU_DEP_3)
	v_xor_b32_e32 v26, v26, v50
	v_dual_lshrrev_b32 v50, 29, v22 :: v_dual_lshlrev_b32 v51, 23, v49
	v_sub_nc_u32_e32 v39, 31, v49
	s_delay_alu instid0(VALU_DEP_1) | instskip(NEXT) | instid1(VALU_DEP_4)
	v_alignbit_b32 v48, v48, v38, v39
	v_alignbit_b32 v26, v38, v26, v39
	s_delay_alu instid0(VALU_DEP_4) | instskip(NEXT) | instid1(VALU_DEP_2)
	v_lshlrev_b32_e32 v38, 31, v50
	v_alignbit_b32 v39, v48, v26, 9
	s_delay_alu instid0(VALU_DEP_2) | instskip(SKIP_1) | instid1(VALU_DEP_3)
	v_dual_lshrrev_b32 v48, 9, v48 :: v_dual_bitop2_b32 v50, 0.5, v38 bitop3:0x54
	v_or_b32_e32 v38, 0x33000000, v38
	v_clz_i32_u32_e32 v52, v39
	s_delay_alu instid0(VALU_DEP_3) | instskip(NEXT) | instid1(VALU_DEP_2)
	v_sub_nc_u32_e32 v50, v50, v51
	v_min_u32_e32 v51, 32, v52
	s_delay_alu instid0(VALU_DEP_1) | instskip(NEXT) | instid1(VALU_DEP_3)
	v_add_lshl_u32 v49, v51, v49, 23
	v_or_b32_e32 v48, v48, v50
	v_not_b32_e32 v50, v51
	s_delay_alu instid0(VALU_DEP_3) | instskip(NEXT) | instid1(VALU_DEP_2)
	v_sub_nc_u32_e32 v38, v38, v49
	v_alignbit_b32 v26, v39, v26, v50
	s_delay_alu instid0(VALU_DEP_1) | instskip(NEXT) | instid1(VALU_DEP_1)
	v_lshrrev_b32_e32 v26, 9, v26
	v_or_b32_e32 v26, v38, v26
	v_mul_f32_e32 v52, 0x3fc90fda, v48
	s_delay_alu instid0(VALU_DEP_1) | instskip(NEXT) | instid1(VALU_DEP_1)
	v_fma_f32 v39, 0x3fc90fda, v48, -v52
	v_fmac_f32_e32 v39, 0x33a22168, v48
	s_delay_alu instid0(VALU_DEP_1) | instskip(NEXT) | instid1(VALU_DEP_1)
	v_fmac_f32_e32 v39, 0x3fc90fda, v26
	v_dual_lshrrev_b32 v26, 30, v22 :: v_dual_add_f32 v22, v52, v39
	s_delay_alu instid0(VALU_DEP_1)
	v_add_nc_u32_e32 v26, v47, v26
	s_and_not1_saveexec_b32 s6, s36
	s_branch .LBB100_25
.LBB100_23:                             ;   in Loop: Header=BB100_4 Depth=1
	s_or_b32 exec_lo, exec_lo, s34
                                        ; implicit-def: $vgpr42
	s_and_not1_saveexec_b32 s6, s33
	s_cbranch_execnz .LBB100_32
	s_branch .LBB100_33
.LBB100_24:                             ;   in Loop: Header=BB100_4 Depth=1
	s_and_not1_saveexec_b32 s6, s36
.LBB100_25:                             ;   in Loop: Header=BB100_4 Depth=1
	v_mul_f32_e64 v22, 0x3f22f983, |v42|
	s_delay_alu instid0(VALU_DEP_1) | instskip(NEXT) | instid1(VALU_DEP_1)
	v_rndne_f32_e32 v26, v22
	v_fma_f32 v22, 0xbfc90fda, v26, |v42|
	s_delay_alu instid0(VALU_DEP_1) | instskip(NEXT) | instid1(VALU_DEP_1)
	v_fmac_f32_e32 v22, 0xb3a22168, v26
	v_fmac_f32_e32 v22, 0xa7c234c4, v26
	v_cvt_i32_f32_e32 v26, v26
; %bb.26:                               ;   in Loop: Header=BB100_4 Depth=1
	s_or_b32 exec_lo, exec_lo, s6
                                        ; implicit-def: $vgpr39
                                        ; implicit-def: $vgpr38
	s_and_saveexec_b32 s6, s35
	s_delay_alu instid0(SALU_CYCLE_1)
	s_xor_b32 s35, exec_lo, s6
	s_cbranch_execz .LBB100_28
; %bb.27:                               ;   in Loop: Header=BB100_4 Depth=1
	v_mul_u64_e32 v[38:39], s[18:19], v[4:5]
	v_mov_b32_e32 v49, v5
	v_cmp_lt_u32_e32 vcc_lo, 63, v24
	s_delay_alu instid0(VALU_DEP_3) | instskip(SKIP_1) | instid1(VALU_DEP_2)
	v_dual_mov_b32 v59, v5 :: v_dual_mov_b32 v48, v39
	v_cndmask_b32_e64 v39, 0, 0xffffffc0, vcc_lo
	v_mad_nc_u64_u32 v[48:49], 0x3c439041, v4, v[48:49]
	s_delay_alu instid0(VALU_DEP_2) | instskip(NEXT) | instid1(VALU_DEP_1)
	v_dual_mov_b32 v51, v5 :: v_dual_add_nc_u32 v24, v39, v24
	v_cmp_lt_u32_e64 s6, 31, v24
	s_delay_alu instid0(VALU_DEP_3) | instskip(NEXT) | instid1(VALU_DEP_2)
	v_mov_b32_e32 v50, v49
	v_cndmask_b32_e64 v39, 0, 0xffffffe0, s6
	s_delay_alu instid0(VALU_DEP_2) | instskip(NEXT) | instid1(VALU_DEP_1)
	v_mad_nc_u64_u32 v[50:51], 0xdb629599, v4, v[50:51]
	v_dual_mov_b32 v53, v5 :: v_dual_mov_b32 v52, v51
	s_delay_alu instid0(VALU_DEP_2) | instskip(NEXT) | instid1(VALU_DEP_2)
	v_cndmask_b32_e32 v38, v50, v38, vcc_lo
	v_mad_nc_u64_u32 v[52:53], 0xf534ddc0, v4, v[52:53]
	s_delay_alu instid0(VALU_DEP_1) | instskip(NEXT) | instid1(VALU_DEP_1)
	v_dual_mov_b32 v55, v5 :: v_dual_mov_b32 v54, v53
	v_mad_nc_u64_u32 v[54:55], 0xfc2757d1, v4, v[54:55]
	s_delay_alu instid0(VALU_DEP_1) | instskip(NEXT) | instid1(VALU_DEP_2)
	v_dual_mov_b32 v57, v5 :: v_dual_mov_b32 v56, v55
	v_cndmask_b32_e32 v51, v54, v50, vcc_lo
	s_delay_alu instid0(VALU_DEP_2) | instskip(NEXT) | instid1(VALU_DEP_1)
	v_mad_nc_u64_u32 v[56:57], 0x4e441529, v4, v[56:57]
	v_mov_b32_e32 v58, v57
	s_delay_alu instid0(VALU_DEP_1) | instskip(SKIP_1) | instid1(VALU_DEP_4)
	v_mad_nc_u64_u32 v[58:59], 0xa2f9836e, v4, v[58:59]
	v_add_nc_u32_e32 v4, v39, v24
	v_cndmask_b32_e32 v39, v56, v52, vcc_lo
	s_delay_alu instid0(VALU_DEP_2) | instskip(NEXT) | instid1(VALU_DEP_1)
	v_cmp_lt_u32_e64 s7, 31, v4
	v_cndmask_b32_e64 v24, 0, 0xffffffe0, s7
	v_dual_cndmask_b32 v47, v58, v54, vcc_lo :: v_dual_cndmask_b32 v49, v59, v56, vcc_lo
	s_delay_alu instid0(VALU_DEP_2) | instskip(NEXT) | instid1(VALU_DEP_2)
	v_add_nc_u32_e32 v4, v24, v4
	v_dual_cndmask_b32 v24, v52, v48, vcc_lo :: v_dual_cndmask_b32 v48, v47, v39, s6
	s_delay_alu instid0(VALU_DEP_3) | instskip(NEXT) | instid1(VALU_DEP_3)
	v_cndmask_b32_e64 v47, v49, v47, s6
	v_dual_cndmask_b32 v39, v39, v51, s6 :: v_dual_sub_nc_u32 v49, 32, v4
	s_delay_alu instid0(VALU_DEP_3) | instskip(SKIP_1) | instid1(VALU_DEP_3)
	v_cndmask_b32_e64 v51, v51, v24, s6
	v_cmp_eq_u32_e32 vcc_lo, 0, v4
	v_dual_cndmask_b32 v47, v47, v48, s7 :: v_dual_cndmask_b32 v48, v48, v39, s7
	s_delay_alu instid0(VALU_DEP_3) | instskip(NEXT) | instid1(VALU_DEP_2)
	v_dual_cndmask_b32 v24, v24, v38, s6 :: v_dual_cndmask_b32 v39, v39, v51, s7
	v_alignbit_b32 v52, v47, v48, v49
	s_delay_alu instid0(VALU_DEP_2) | instskip(NEXT) | instid1(VALU_DEP_1)
	v_alignbit_b32 v50, v48, v39, v49
	v_dual_cndmask_b32 v4, v52, v47, vcc_lo :: v_dual_cndmask_b32 v38, v50, v48, vcc_lo
	s_delay_alu instid0(VALU_DEP_1) | instskip(SKIP_1) | instid1(VALU_DEP_3)
	v_bfe_u32 v47, v4, 29, 1
	v_cndmask_b32_e64 v24, v51, v24, s7
	v_alignbit_b32 v48, v4, v38, 30
	s_delay_alu instid0(VALU_DEP_3) | instskip(NEXT) | instid1(VALU_DEP_3)
	v_sub_nc_u32_e32 v50, 0, v47
	v_alignbit_b32 v49, v39, v24, v49
	s_delay_alu instid0(VALU_DEP_1) | instskip(NEXT) | instid1(VALU_DEP_1)
	v_dual_cndmask_b32 v39, v49, v39, vcc_lo :: v_dual_bitop2_b32 v48, v48, v50 bitop3:0x14
	v_clz_i32_u32_e32 v49, v48
	s_delay_alu instid0(VALU_DEP_2) | instskip(SKIP_1) | instid1(VALU_DEP_3)
	v_alignbit_b32 v38, v38, v39, 30
	v_alignbit_b32 v24, v39, v24, 30
	v_min_u32_e32 v49, 32, v49
	s_delay_alu instid0(VALU_DEP_3) | instskip(NEXT) | instid1(VALU_DEP_3)
	v_xor_b32_e32 v38, v38, v50
	v_dual_lshrrev_b32 v50, 29, v4 :: v_dual_bitop2_b32 v24, v24, v50 bitop3:0x14
	s_delay_alu instid0(VALU_DEP_3) | instskip(SKIP_1) | instid1(VALU_DEP_2)
	v_dual_lshrrev_b32 v4, 30, v4 :: v_dual_sub_nc_u32 v39, 31, v49
	v_lshlrev_b32_e32 v51, 23, v49
	v_alignbit_b32 v48, v48, v38, v39
	s_delay_alu instid0(VALU_DEP_4) | instskip(SKIP_1) | instid1(VALU_DEP_2)
	v_alignbit_b32 v24, v38, v24, v39
	v_lshlrev_b32_e32 v38, 31, v50
	v_alignbit_b32 v39, v48, v24, 9
	s_delay_alu instid0(VALU_DEP_2) | instskip(SKIP_1) | instid1(VALU_DEP_3)
	v_dual_lshrrev_b32 v48, 9, v48 :: v_dual_bitop2_b32 v50, 0.5, v38 bitop3:0x54
	v_or_b32_e32 v38, 0x33000000, v38
	v_clz_i32_u32_e32 v52, v39
	s_delay_alu instid0(VALU_DEP_3) | instskip(NEXT) | instid1(VALU_DEP_2)
	v_sub_nc_u32_e32 v50, v50, v51
	v_min_u32_e32 v51, 32, v52
	s_delay_alu instid0(VALU_DEP_1) | instskip(NEXT) | instid1(VALU_DEP_3)
	v_add_lshl_u32 v49, v51, v49, 23
	v_or_b32_e32 v48, v48, v50
	v_not_b32_e32 v50, v51
	s_delay_alu instid0(VALU_DEP_3) | instskip(NEXT) | instid1(VALU_DEP_3)
	v_sub_nc_u32_e32 v38, v38, v49
	v_mul_f32_e32 v52, 0x3fc90fda, v48
	s_delay_alu instid0(VALU_DEP_3) | instskip(NEXT) | instid1(VALU_DEP_2)
	v_alignbit_b32 v24, v39, v24, v50
	v_fma_f32 v39, 0x3fc90fda, v48, -v52
	s_delay_alu instid0(VALU_DEP_2) | instskip(NEXT) | instid1(VALU_DEP_2)
	v_lshrrev_b32_e32 v24, 9, v24
	v_fmac_f32_e32 v39, 0x33a22168, v48
	s_delay_alu instid0(VALU_DEP_2) | instskip(NEXT) | instid1(VALU_DEP_1)
	v_or_b32_e32 v24, v38, v24
	v_fmac_f32_e32 v39, 0x3fc90fda, v24
	s_delay_alu instid0(VALU_DEP_1)
	v_dual_add_f32 v38, v52, v39 :: v_dual_add_nc_u32 v39, v47, v4
	s_and_not1_saveexec_b32 s6, s35
	s_cbranch_execnz .LBB100_29
	s_branch .LBB100_30
.LBB100_28:                             ;   in Loop: Header=BB100_4 Depth=1
	s_and_not1_saveexec_b32 s6, s35
.LBB100_29:                             ;   in Loop: Header=BB100_4 Depth=1
	v_mul_f32_e64 v4, 0x3f22f983, |v42|
	s_delay_alu instid0(VALU_DEP_1) | instskip(NEXT) | instid1(VALU_DEP_1)
	v_rndne_f32_e32 v4, v4
	v_fma_f32 v38, 0xbfc90fda, v4, |v42|
	v_cvt_i32_f32_e32 v39, v4
	s_delay_alu instid0(VALU_DEP_2) | instskip(NEXT) | instid1(VALU_DEP_1)
	v_fmac_f32_e32 v38, 0xb3a22168, v4
	v_fmac_f32_e32 v38, 0xa7c234c4, v4
.LBB100_30:                             ;   in Loop: Header=BB100_4 Depth=1
	s_or_b32 exec_lo, exec_lo, s6
	v_mul_f32_e32 v4, v22, v22
	v_dual_lshlrev_b32 v26, 30, v26 :: v_dual_bitop2_b32 v24, 1, v26 bitop3:0x40
	v_mul_f32_e64 v47, 0xbfb8aa3b, |v43|
	v_mul_f32_e32 v50, v38, v38
	s_delay_alu instid0(VALU_DEP_3) | instskip(NEXT) | instid1(VALU_DEP_4)
	v_cmp_eq_u32_e32 vcc_lo, 0, v24
	v_bitop3_b32 v26, v46, v26, 0x80000000 bitop3:0x78
	s_delay_alu instid0(VALU_DEP_4) | instskip(SKIP_3) | instid1(VALU_DEP_4)
	v_rndne_f32_e32 v46, v47
	v_fmaak_f32 v48, s29, v4, 0x3c0881c4
	v_fma_f32 v51, 0xbfb8aa3b, |v43|, -v47
	v_fmaak_f32 v52, s29, v50, 0x3c0881c4
	v_sub_f32_e32 v47, v47, v46
	v_cvt_i32_f32_e32 v46, v46
	s_delay_alu instid0(VALU_DEP_4) | instskip(SKIP_1) | instid1(VALU_DEP_2)
	v_fma_f32 v51, 0xb2a5705f, |v43|, v51
	v_fmaak_f32 v48, v4, v48, 0xbe2aaa9d
	v_dual_fmaak_f32 v52, v50, v52, 0xbe2aaa9d :: v_dual_add_f32 v47, v47, v51
	s_delay_alu instid0(VALU_DEP_2) | instskip(NEXT) | instid1(VALU_DEP_2)
	v_mul_f32_e32 v48, v4, v48
	v_exp_f32_e32 v24, v47
	s_delay_alu instid0(VALU_DEP_1) | instskip(SKIP_2) | instid1(VALU_DEP_2)
	v_fmac_f32_e32 v22, v22, v48
	v_fmaak_f32 v49, s30, v4, 0xbab64f3b
	v_and_b32_e32 v47, 1, v39
	v_fmaak_f32 v49, v4, v49, 0x3d2aabf7
	s_delay_alu instid0(TRANS32_DEP_1) | instskip(NEXT) | instid1(VALU_DEP_2)
	v_ldexp_f32 v24, v24, v46
	v_fmaak_f32 v49, v4, v49, 0xbf000004
	s_delay_alu instid0(VALU_DEP_1) | instskip(SKIP_2) | instid1(VALU_DEP_2)
	v_fma_f32 v4, v4, v49, 1.0
	v_mul_f32_e32 v49, v50, v52
	v_fmaak_f32 v53, s30, v50, 0xbab64f3b
	v_dual_cndmask_b32 v4, v4, v22, vcc_lo :: v_dual_fmac_f32 v38, v38, v49
	s_delay_alu instid0(VALU_DEP_2) | instskip(SKIP_1) | instid1(VALU_DEP_3)
	v_fmaak_f32 v48, v50, v53, 0x3d2aabf7
	v_cmp_eq_u32_e32 vcc_lo, 0, v47
	v_xor3_b32 v4, v26, v4, v42
	v_lshlrev_b32_e32 v26, 30, v39
	s_delay_alu instid0(VALU_DEP_4) | instskip(NEXT) | instid1(VALU_DEP_3)
	v_fmaak_f32 v22, v50, v48, 0xbf000004
	v_mul_f32_e32 v4, 4.0, v4
	s_delay_alu instid0(VALU_DEP_2) | instskip(NEXT) | instid1(VALU_DEP_1)
	v_fma_f32 v22, v50, v22, 1.0
	v_cndmask_b32_e64 v22, -v38, v22, vcc_lo
	v_cmp_nlt_f32_e64 vcc_lo, 0x42ce8ed0, |v43|
	s_delay_alu instid0(VALU_DEP_2) | instskip(SKIP_2) | instid1(VALU_DEP_3)
	v_bitop3_b32 v22, v26, v22, 0x80000000 bitop3:0x6c
	v_cndmask_b32_e32 v24, 0, v24, vcc_lo
	v_cmp_ngt_f32_e64 vcc_lo, 0xc2b17218, |v43|
	v_mul_f32_e32 v4, v4, v22
	v_xor_b32_e32 v22, 0x80000000, v43
	s_delay_alu instid0(VALU_DEP_4) | instskip(NEXT) | instid1(VALU_DEP_2)
	v_cndmask_b32_e32 v24, 0x7f800000, v24, vcc_lo
	v_bfi_b32 v39, 0x7fffffff, 1.0, v22
	s_delay_alu instid0(VALU_DEP_2) | instskip(NEXT) | instid1(VALU_DEP_1)
	v_mul_f32_e32 v4, v24, v4
	v_mul_f32_e32 v38, v24, v4
	s_or_b32 exec_lo, exec_lo, s34
                                        ; implicit-def: $vgpr42
.LBB100_31:                             ;   in Loop: Header=BB100_4 Depth=1
	s_and_not1_saveexec_b32 s6, s33
.LBB100_32:                             ;   in Loop: Header=BB100_4 Depth=1
	v_sub_f32_e32 v38, v42, v42
	s_delay_alu instid0(VALU_DEP_1)
	v_mov_b32_e32 v39, v38
.LBB100_33:                             ;   in Loop: Header=BB100_4 Depth=1
	s_or_b32 exec_lo, exec_lo, s6
                                        ; implicit-def: $vgpr43
.LBB100_34:                             ;   in Loop: Header=BB100_4 Depth=1
	s_and_not1_saveexec_b32 s31, s31
	s_cbranch_execz .LBB100_50
; %bb.35:                               ;   in Loop: Header=BB100_4 Depth=1
	v_xor_b32_e32 v39, 0x80000000, v43
	s_mov_b32 s6, exec_lo
                                        ; implicit-def: $vgpr38
	s_delay_alu instid0(VALU_DEP_1) | instskip(NEXT) | instid1(VALU_DEP_1)
	v_and_b32_e32 v4, 0x7fffff, v39
	v_cmpx_ne_u32_e32 0, v4
	s_xor_b32 s6, exec_lo, s6
; %bb.36:                               ;   in Loop: Header=BB100_4 Depth=1
	v_mul_f32_e64 v4, v42, -v43
	v_cmp_eq_f32_e32 vcc_lo, 0, v42
	s_delay_alu instid0(VALU_DEP_2)
	v_cndmask_b32_e32 v38, v4, v42, vcc_lo
                                        ; implicit-def: $vgpr42
; %bb.37:                               ;   in Loop: Header=BB100_4 Depth=1
	s_and_not1_saveexec_b32 s33, s6
	s_cbranch_execz .LBB100_49
; %bb.38:                               ;   in Loop: Header=BB100_4 Depth=1
	s_mov_b32 s34, exec_lo
	v_cmpx_neq_f32_e64 0x7f800000, |v42|
	s_cbranch_execz .LBB100_48
; %bb.39:                               ;   in Loop: Header=BB100_4 Depth=1
	v_and_b32_e32 v22, 0x7fffffff, v42
	v_cmp_ngt_f32_e64 s35, 0x48000000, |v42|
                                        ; implicit-def: $vgpr26
	s_delay_alu instid0(VALU_DEP_2) | instskip(SKIP_1) | instid1(VALU_DEP_2)
	v_lshrrev_b32_e32 v24, 23, v22
	v_and_or_b32 v4, v22, s24, 0x800000
	v_add_nc_u32_e32 v38, 0xffffff88, v24
                                        ; implicit-def: $vgpr24
	s_and_saveexec_b32 s6, s35
	s_delay_alu instid0(SALU_CYCLE_1)
	s_xor_b32 s36, exec_lo, s6
	s_cbranch_execz .LBB100_41
; %bb.40:                               ;   in Loop: Header=BB100_4 Depth=1
	v_mul_u64_e32 v[46:47], s[18:19], v[4:5]
	v_mov_b32_e32 v49, v5
	v_cmp_lt_u32_e32 vcc_lo, 63, v38
	v_mov_b32_e32 v59, v5
	v_cndmask_b32_e64 v24, 0, 0xffffffc0, vcc_lo
	s_delay_alu instid0(VALU_DEP_1) | instskip(NEXT) | instid1(VALU_DEP_1)
	v_add_nc_u32_e32 v24, v24, v38
	v_cmp_lt_u32_e64 s6, 31, v24
	s_delay_alu instid0(VALU_DEP_1) | instskip(NEXT) | instid1(VALU_DEP_1)
	v_cndmask_b32_e64 v26, 0, 0xffffffe0, s6
	v_dual_add_nc_u32 v24, v26, v24 :: v_dual_mov_b32 v48, v47
	s_delay_alu instid0(VALU_DEP_1) | instskip(NEXT) | instid1(VALU_DEP_2)
	v_cmp_lt_u32_e64 s7, 31, v24
	v_mad_nc_u64_u32 v[48:49], 0x3c439041, v4, v[48:49]
	v_mov_b32_e32 v51, v5
	s_delay_alu instid0(VALU_DEP_3) | instskip(NEXT) | instid1(VALU_DEP_3)
	v_cndmask_b32_e64 v26, 0, 0xffffffe0, s7
	v_mov_b32_e32 v50, v49
	s_delay_alu instid0(VALU_DEP_1) | instskip(NEXT) | instid1(VALU_DEP_1)
	v_mad_nc_u64_u32 v[50:51], 0xdb629599, v4, v[50:51]
	v_dual_mov_b32 v53, v5 :: v_dual_mov_b32 v52, v51
	s_delay_alu instid0(VALU_DEP_2) | instskip(NEXT) | instid1(VALU_DEP_2)
	v_cndmask_b32_e32 v46, v50, v46, vcc_lo
	v_mad_nc_u64_u32 v[52:53], 0xf534ddc0, v4, v[52:53]
	s_delay_alu instid0(VALU_DEP_1) | instskip(NEXT) | instid1(VALU_DEP_1)
	v_dual_mov_b32 v55, v5 :: v_dual_mov_b32 v54, v53
	v_mad_nc_u64_u32 v[54:55], 0xfc2757d1, v4, v[54:55]
	s_delay_alu instid0(VALU_DEP_1) | instskip(NEXT) | instid1(VALU_DEP_2)
	v_dual_mov_b32 v57, v5 :: v_dual_mov_b32 v56, v55
	v_cndmask_b32_e32 v51, v54, v50, vcc_lo
	s_delay_alu instid0(VALU_DEP_2) | instskip(NEXT) | instid1(VALU_DEP_1)
	v_mad_nc_u64_u32 v[56:57], 0x4e441529, v4, v[56:57]
	v_mov_b32_e32 v58, v57
	s_delay_alu instid0(VALU_DEP_1) | instskip(NEXT) | instid1(VALU_DEP_1)
	v_mad_nc_u64_u32 v[58:59], 0xa2f9836e, v4, v[58:59]
	v_dual_cndmask_b32 v43, v56, v52, vcc_lo :: v_dual_cndmask_b32 v47, v58, v54, vcc_lo
	s_delay_alu instid0(VALU_DEP_2) | instskip(SKIP_1) | instid1(VALU_DEP_3)
	v_cndmask_b32_e32 v49, v59, v56, vcc_lo
	v_add_nc_u32_e32 v24, v26, v24
	v_dual_cndmask_b32 v26, v52, v48, vcc_lo :: v_dual_cndmask_b32 v48, v47, v43, s6
	s_delay_alu instid0(VALU_DEP_3) | instskip(NEXT) | instid1(VALU_DEP_3)
	v_cndmask_b32_e64 v47, v49, v47, s6
	v_dual_cndmask_b32 v43, v43, v51, s6 :: v_dual_sub_nc_u32 v49, 32, v24
	s_delay_alu instid0(VALU_DEP_3) | instskip(SKIP_1) | instid1(VALU_DEP_3)
	v_cndmask_b32_e64 v51, v51, v26, s6
	v_cmp_eq_u32_e32 vcc_lo, 0, v24
	v_dual_cndmask_b32 v47, v47, v48, s7 :: v_dual_cndmask_b32 v48, v48, v43, s7
	s_delay_alu instid0(VALU_DEP_3) | instskip(NEXT) | instid1(VALU_DEP_2)
	v_dual_cndmask_b32 v26, v26, v46, s6 :: v_dual_cndmask_b32 v43, v43, v51, s7
	v_alignbit_b32 v52, v47, v48, v49
	s_delay_alu instid0(VALU_DEP_2) | instskip(NEXT) | instid1(VALU_DEP_1)
	v_alignbit_b32 v50, v48, v43, v49
	v_dual_cndmask_b32 v24, v52, v47, vcc_lo :: v_dual_cndmask_b32 v46, v50, v48, vcc_lo
	s_delay_alu instid0(VALU_DEP_1) | instskip(SKIP_1) | instid1(VALU_DEP_3)
	v_bfe_u32 v47, v24, 29, 1
	v_cndmask_b32_e64 v26, v51, v26, s7
	v_alignbit_b32 v48, v24, v46, 30
	s_delay_alu instid0(VALU_DEP_3) | instskip(NEXT) | instid1(VALU_DEP_3)
	v_sub_nc_u32_e32 v50, 0, v47
	v_alignbit_b32 v49, v43, v26, v49
	s_delay_alu instid0(VALU_DEP_1) | instskip(NEXT) | instid1(VALU_DEP_1)
	v_dual_cndmask_b32 v43, v49, v43, vcc_lo :: v_dual_bitop2_b32 v48, v48, v50 bitop3:0x14
	v_clz_i32_u32_e32 v49, v48
	s_delay_alu instid0(VALU_DEP_2) | instskip(SKIP_1) | instid1(VALU_DEP_3)
	v_alignbit_b32 v46, v46, v43, 30
	v_alignbit_b32 v26, v43, v26, 30
	v_min_u32_e32 v49, 32, v49
	s_delay_alu instid0(VALU_DEP_3) | instskip(NEXT) | instid1(VALU_DEP_3)
	v_xor_b32_e32 v43, v46, v50
	v_dual_lshrrev_b32 v50, 29, v24 :: v_dual_bitop2_b32 v26, v26, v50 bitop3:0x14
	s_delay_alu instid0(VALU_DEP_3) | instskip(NEXT) | instid1(VALU_DEP_1)
	v_dual_sub_nc_u32 v46, 31, v49 :: v_dual_lshlrev_b32 v51, 23, v49
	v_alignbit_b32 v48, v48, v43, v46
	s_delay_alu instid0(VALU_DEP_3) | instskip(NEXT) | instid1(VALU_DEP_4)
	v_alignbit_b32 v26, v43, v26, v46
	v_lshlrev_b32_e32 v43, 31, v50
	s_delay_alu instid0(VALU_DEP_2) | instskip(NEXT) | instid1(VALU_DEP_2)
	v_alignbit_b32 v46, v48, v26, 9
	v_dual_lshrrev_b32 v48, 9, v48 :: v_dual_bitop2_b32 v50, 0.5, v43 bitop3:0x54
	v_or_b32_e32 v43, 0x33000000, v43
	s_delay_alu instid0(VALU_DEP_3) | instskip(NEXT) | instid1(VALU_DEP_3)
	v_clz_i32_u32_e32 v52, v46
	v_sub_nc_u32_e32 v50, v50, v51
	s_delay_alu instid0(VALU_DEP_2) | instskip(NEXT) | instid1(VALU_DEP_1)
	v_min_u32_e32 v51, 32, v52
	v_add_lshl_u32 v49, v51, v49, 23
	s_delay_alu instid0(VALU_DEP_1) | instskip(SKIP_1) | instid1(VALU_DEP_2)
	v_dual_sub_nc_u32 v43, v43, v49 :: v_dual_bitop2_b32 v48, v48, v50 bitop3:0x54
	v_not_b32_e32 v50, v51
	v_mul_f32_e32 v52, 0x3fc90fda, v48
	s_delay_alu instid0(VALU_DEP_2) | instskip(NEXT) | instid1(VALU_DEP_2)
	v_alignbit_b32 v26, v46, v26, v50
	v_fma_f32 v46, 0x3fc90fda, v48, -v52
	s_delay_alu instid0(VALU_DEP_2) | instskip(NEXT) | instid1(VALU_DEP_2)
	v_lshrrev_b32_e32 v26, 9, v26
	v_fmac_f32_e32 v46, 0x33a22168, v48
	s_delay_alu instid0(VALU_DEP_2) | instskip(NEXT) | instid1(VALU_DEP_1)
	v_or_b32_e32 v26, v43, v26
	v_fmac_f32_e32 v46, 0x3fc90fda, v26
	s_delay_alu instid0(VALU_DEP_1) | instskip(NEXT) | instid1(VALU_DEP_1)
	v_dual_lshrrev_b32 v26, 30, v24 :: v_dual_add_f32 v24, v52, v46
	v_add_nc_u32_e32 v26, v47, v26
.LBB100_41:                             ;   in Loop: Header=BB100_4 Depth=1
	s_or_saveexec_b32 s6, s36
	v_mul_f32_e64 v43, 0x3f22f983, |v42|
	s_delay_alu instid0(VALU_DEP_1)
	v_rndne_f32_e32 v47, v43
	s_xor_b32 exec_lo, exec_lo, s6
; %bb.42:                               ;   in Loop: Header=BB100_4 Depth=1
	s_delay_alu instid0(VALU_DEP_1) | instskip(SKIP_1) | instid1(VALU_DEP_2)
	v_fma_f32 v24, 0xbfc90fda, v47, |v42|
	v_cvt_i32_f32_e32 v26, v47
	v_fmac_f32_e32 v24, 0xb3a22168, v47
	s_delay_alu instid0(VALU_DEP_1)
	v_fmac_f32_e32 v24, 0xa7c234c4, v47
; %bb.43:                               ;   in Loop: Header=BB100_4 Depth=1
	s_or_b32 exec_lo, exec_lo, s6
                                        ; implicit-def: $vgpr46
                                        ; implicit-def: $vgpr43
	s_and_saveexec_b32 s6, s35
	s_delay_alu instid0(SALU_CYCLE_1)
	s_xor_b32 s35, exec_lo, s6
	s_cbranch_execz .LBB100_45
; %bb.44:                               ;   in Loop: Header=BB100_4 Depth=1
	v_mul_u64_e32 v[46:47], s[18:19], v[4:5]
	v_mov_b32_e32 v49, v5
	v_cmp_lt_u32_e32 vcc_lo, 63, v38
	v_mov_b32_e32 v59, v5
	v_cndmask_b32_e64 v43, 0, 0xffffffc0, vcc_lo
	s_delay_alu instid0(VALU_DEP_1) | instskip(NEXT) | instid1(VALU_DEP_1)
	v_add_nc_u32_e32 v38, v43, v38
	v_cmp_lt_u32_e64 s6, 31, v38
	s_delay_alu instid0(VALU_DEP_1) | instskip(SKIP_1) | instid1(VALU_DEP_1)
	v_cndmask_b32_e64 v43, 0, 0xffffffe0, s6
	v_mov_b32_e32 v48, v47
	v_mad_nc_u64_u32 v[48:49], 0x3c439041, v4, v[48:49]
	s_delay_alu instid0(VALU_DEP_1) | instskip(NEXT) | instid1(VALU_DEP_1)
	v_dual_mov_b32 v51, v5 :: v_dual_mov_b32 v50, v49
	v_mad_nc_u64_u32 v[50:51], 0xdb629599, v4, v[50:51]
	s_delay_alu instid0(VALU_DEP_1) | instskip(NEXT) | instid1(VALU_DEP_2)
	v_dual_mov_b32 v53, v5 :: v_dual_mov_b32 v52, v51
	v_cndmask_b32_e32 v46, v50, v46, vcc_lo
	s_delay_alu instid0(VALU_DEP_2) | instskip(NEXT) | instid1(VALU_DEP_1)
	v_mad_nc_u64_u32 v[52:53], 0xf534ddc0, v4, v[52:53]
	v_dual_mov_b32 v55, v5 :: v_dual_mov_b32 v54, v53
	s_delay_alu instid0(VALU_DEP_1) | instskip(NEXT) | instid1(VALU_DEP_1)
	v_mad_nc_u64_u32 v[54:55], 0xfc2757d1, v4, v[54:55]
	v_dual_mov_b32 v57, v5 :: v_dual_mov_b32 v56, v55
	s_delay_alu instid0(VALU_DEP_2) | instskip(NEXT) | instid1(VALU_DEP_2)
	v_cndmask_b32_e32 v51, v54, v50, vcc_lo
	v_mad_nc_u64_u32 v[56:57], 0x4e441529, v4, v[56:57]
	s_delay_alu instid0(VALU_DEP_1) | instskip(NEXT) | instid1(VALU_DEP_1)
	v_mov_b32_e32 v58, v57
	v_mad_nc_u64_u32 v[58:59], 0xa2f9836e, v4, v[58:59]
	s_delay_alu instid0(VALU_DEP_3) | instskip(NEXT) | instid1(VALU_DEP_1)
	v_dual_cndmask_b32 v43, v56, v52 :: v_dual_add_nc_u32 v4, v43, v38
	v_cmp_lt_u32_e64 s7, 31, v4
	s_delay_alu instid0(VALU_DEP_1) | instskip(NEXT) | instid1(VALU_DEP_4)
	v_cndmask_b32_e64 v38, 0, 0xffffffe0, s7
	v_dual_cndmask_b32 v47, v58, v54, vcc_lo :: v_dual_cndmask_b32 v49, v59, v56, vcc_lo
	s_delay_alu instid0(VALU_DEP_2) | instskip(NEXT) | instid1(VALU_DEP_2)
	v_add_nc_u32_e32 v4, v38, v4
	v_dual_cndmask_b32 v38, v52, v48, vcc_lo :: v_dual_cndmask_b32 v48, v47, v43, s6
	s_delay_alu instid0(VALU_DEP_3) | instskip(NEXT) | instid1(VALU_DEP_3)
	v_cndmask_b32_e64 v47, v49, v47, s6
	v_dual_cndmask_b32 v43, v43, v51, s6 :: v_dual_sub_nc_u32 v49, 32, v4
	s_delay_alu instid0(VALU_DEP_3) | instskip(SKIP_1) | instid1(VALU_DEP_3)
	v_cndmask_b32_e64 v51, v51, v38, s6
	v_cmp_eq_u32_e32 vcc_lo, 0, v4
	v_dual_cndmask_b32 v47, v47, v48, s7 :: v_dual_cndmask_b32 v48, v48, v43, s7
	s_delay_alu instid0(VALU_DEP_3) | instskip(NEXT) | instid1(VALU_DEP_2)
	v_dual_cndmask_b32 v38, v38, v46, s6 :: v_dual_cndmask_b32 v43, v43, v51, s7
	v_alignbit_b32 v52, v47, v48, v49
	s_delay_alu instid0(VALU_DEP_2) | instskip(NEXT) | instid1(VALU_DEP_1)
	v_alignbit_b32 v50, v48, v43, v49
	v_dual_cndmask_b32 v4, v52, v47, vcc_lo :: v_dual_cndmask_b32 v46, v50, v48, vcc_lo
	s_delay_alu instid0(VALU_DEP_1) | instskip(SKIP_1) | instid1(VALU_DEP_3)
	v_bfe_u32 v47, v4, 29, 1
	v_cndmask_b32_e64 v38, v51, v38, s7
	v_alignbit_b32 v48, v4, v46, 30
	s_delay_alu instid0(VALU_DEP_3) | instskip(NEXT) | instid1(VALU_DEP_3)
	v_sub_nc_u32_e32 v50, 0, v47
	v_alignbit_b32 v49, v43, v38, v49
	s_delay_alu instid0(VALU_DEP_1) | instskip(NEXT) | instid1(VALU_DEP_1)
	v_dual_cndmask_b32 v43, v49, v43, vcc_lo :: v_dual_bitop2_b32 v48, v48, v50 bitop3:0x14
	v_clz_i32_u32_e32 v49, v48
	s_delay_alu instid0(VALU_DEP_2) | instskip(SKIP_1) | instid1(VALU_DEP_3)
	v_alignbit_b32 v46, v46, v43, 30
	v_alignbit_b32 v38, v43, v38, 30
	v_min_u32_e32 v49, 32, v49
	s_delay_alu instid0(VALU_DEP_3) | instskip(NEXT) | instid1(VALU_DEP_3)
	v_xor_b32_e32 v43, v46, v50
	v_dual_lshrrev_b32 v50, 29, v4 :: v_dual_bitop2_b32 v38, v38, v50 bitop3:0x14
	s_delay_alu instid0(VALU_DEP_3) | instskip(SKIP_1) | instid1(VALU_DEP_2)
	v_dual_lshrrev_b32 v4, 30, v4 :: v_dual_sub_nc_u32 v46, 31, v49
	v_lshlrev_b32_e32 v51, 23, v49
	v_alignbit_b32 v48, v48, v43, v46
	s_delay_alu instid0(VALU_DEP_4) | instskip(SKIP_1) | instid1(VALU_DEP_2)
	v_alignbit_b32 v38, v43, v38, v46
	v_lshlrev_b32_e32 v43, 31, v50
	v_alignbit_b32 v46, v48, v38, 9
	s_delay_alu instid0(VALU_DEP_2) | instskip(SKIP_1) | instid1(VALU_DEP_3)
	v_dual_lshrrev_b32 v48, 9, v48 :: v_dual_bitop2_b32 v50, 0.5, v43 bitop3:0x54
	v_or_b32_e32 v43, 0x33000000, v43
	v_clz_i32_u32_e32 v52, v46
	s_delay_alu instid0(VALU_DEP_3) | instskip(NEXT) | instid1(VALU_DEP_2)
	v_sub_nc_u32_e32 v50, v50, v51
	v_min_u32_e32 v51, 32, v52
	s_delay_alu instid0(VALU_DEP_1) | instskip(NEXT) | instid1(VALU_DEP_1)
	v_add_lshl_u32 v49, v51, v49, 23
	v_dual_sub_nc_u32 v43, v43, v49 :: v_dual_bitop2_b32 v48, v48, v50 bitop3:0x54
	v_not_b32_e32 v50, v51
	s_delay_alu instid0(VALU_DEP_2) | instskip(NEXT) | instid1(VALU_DEP_2)
	v_mul_f32_e32 v52, 0x3fc90fda, v48
	v_alignbit_b32 v38, v46, v38, v50
	s_delay_alu instid0(VALU_DEP_2) | instskip(NEXT) | instid1(VALU_DEP_2)
	v_fma_f32 v46, 0x3fc90fda, v48, -v52
	v_lshrrev_b32_e32 v38, 9, v38
	s_delay_alu instid0(VALU_DEP_2) | instskip(NEXT) | instid1(VALU_DEP_2)
	v_fmac_f32_e32 v46, 0x33a22168, v48
	v_or_b32_e32 v38, v43, v38
	s_delay_alu instid0(VALU_DEP_1) | instskip(NEXT) | instid1(VALU_DEP_1)
	v_fmac_f32_e32 v46, 0x3fc90fda, v38
	v_dual_add_f32 v43, v52, v46 :: v_dual_add_nc_u32 v46, v47, v4
                                        ; implicit-def: $vgpr47
	s_and_not1_saveexec_b32 s6, s35
	s_cbranch_execnz .LBB100_46
	s_branch .LBB100_47
.LBB100_45:                             ;   in Loop: Header=BB100_4 Depth=1
	s_and_not1_saveexec_b32 s6, s35
.LBB100_46:                             ;   in Loop: Header=BB100_4 Depth=1
	v_fma_f32 v43, 0xbfc90fda, v47, |v42|
	v_cvt_i32_f32_e32 v46, v47
	s_delay_alu instid0(VALU_DEP_2) | instskip(NEXT) | instid1(VALU_DEP_1)
	v_fmac_f32_e32 v43, 0xb3a22168, v47
	v_fmac_f32_e32 v43, 0xa7c234c4, v47
.LBB100_47:                             ;   in Loop: Header=BB100_4 Depth=1
	s_or_b32 exec_lo, exec_lo, s6
	s_delay_alu instid0(VALU_DEP_1) | instskip(SKIP_1) | instid1(VALU_DEP_2)
	v_dual_mul_f32 v4, v24, v24 :: v_dual_mul_f32 v38, v43, v43
	v_dual_lshlrev_b32 v26, 30, v26 :: v_dual_bitop2_b32 v47, 1, v26 bitop3:0x40
	v_fmaak_f32 v50, s29, v38, 0x3c0881c4
	s_delay_alu instid0(VALU_DEP_2) | instskip(NEXT) | instid1(VALU_DEP_3)
	v_cmp_eq_u32_e32 vcc_lo, 0, v47
	v_bitop3_b32 v22, v22, v26, 0x80000000 bitop3:0x78
	s_delay_alu instid0(VALU_DEP_3) | instskip(NEXT) | instid1(VALU_DEP_1)
	v_fmaak_f32 v50, v38, v50, 0xbe2aaa9d
	v_dual_fmaak_f32 v49, s30, v4, 0xbab64f3b :: v_dual_mul_f32 v50, v38, v50
	v_fmaak_f32 v48, s29, v4, 0x3c0881c4
	s_delay_alu instid0(VALU_DEP_2) | instskip(NEXT) | instid1(VALU_DEP_2)
	v_fmaak_f32 v49, v4, v49, 0x3d2aabf7
	v_dual_fmac_f32 v43, v43, v50 :: v_dual_fmaak_f32 v48, v4, v48, 0xbe2aaa9d
	s_delay_alu instid0(VALU_DEP_1) | instskip(NEXT) | instid1(VALU_DEP_1)
	v_dual_fmaak_f32 v51, s30, v38, 0xbab64f3b :: v_dual_mul_f32 v48, v4, v48
	v_dual_fmaak_f32 v51, v38, v51, 0x3d2aabf7 :: v_dual_fmac_f32 v24, v24, v48
	v_dual_lshlrev_b32 v46, 30, v46 :: v_dual_bitop2_b32 v52, 1, v46 bitop3:0x40
	v_fmaak_f32 v49, v4, v49, 0xbf000004
	s_delay_alu instid0(VALU_DEP_3) | instskip(NEXT) | instid1(VALU_DEP_2)
	v_fmaak_f32 v51, v38, v51, 0xbf000004
	v_fma_f32 v4, v4, v49, 1.0
	s_delay_alu instid0(VALU_DEP_2) | instskip(NEXT) | instid1(VALU_DEP_2)
	v_fma_f32 v38, v38, v51, 1.0
	v_cndmask_b32_e32 v4, v4, v24, vcc_lo
	v_cmp_eq_u32_e32 vcc_lo, 0, v52
	s_delay_alu instid0(VALU_DEP_2) | instskip(NEXT) | instid1(VALU_DEP_4)
	v_xor3_b32 v4, v22, v4, v42
	v_cndmask_b32_e64 v24, -v43, v38, vcc_lo
	v_cmp_class_f32_e64 vcc_lo, v42, 0x1f8
	s_delay_alu instid0(VALU_DEP_2) | instskip(NEXT) | instid1(VALU_DEP_1)
	v_bitop3_b32 v22, v46, v24, 0x80000000 bitop3:0x6c
	v_mul_f32_e32 v4, v4, v22
	s_delay_alu instid0(VALU_DEP_1)
	v_cndmask_b32_e32 v42, 0x7fc00000, v4, vcc_lo
.LBB100_48:                             ;   in Loop: Header=BB100_4 Depth=1
	s_or_b32 exec_lo, exec_lo, s34
	v_add_nc_u32_e32 v39, -2.0, v39
	s_delay_alu instid0(VALU_DEP_2)
	v_bfi_b32 v38, 0x7fffffff, 0, v42
.LBB100_49:                             ;   in Loop: Header=BB100_4 Depth=1
	s_or_b32 exec_lo, exec_lo, s33
.LBB100_50:                             ;   in Loop: Header=BB100_4 Depth=1
	s_delay_alu instid0(SALU_CYCLE_1) | instskip(SKIP_2) | instid1(VALU_DEP_1)
	s_or_b32 exec_lo, exec_lo, s31
	v_and_b32_e32 v24, 0x7fffffff, v45
                                        ; implicit-def: $vgpr42
                                        ; implicit-def: $vgpr43
	s_mov_b32 s6, exec_lo
	v_cmpx_gt_u32_e32 0x7f800000, v24
	s_xor_b32 s31, exec_lo, s6
	s_cbranch_execz .LBB100_72
; %bb.51:                               ;   in Loop: Header=BB100_4 Depth=1
	v_cmp_class_f32_e64 s6, v44, 0x1f8
                                        ; implicit-def: $vgpr42
                                        ; implicit-def: $vgpr43
	s_and_saveexec_b32 s7, s6
	s_delay_alu instid0(SALU_CYCLE_1)
	s_xor_b32 s33, exec_lo, s7
	s_cbranch_execz .LBB100_69
; %bb.52:                               ;   in Loop: Header=BB100_4 Depth=1
	v_and_b32_e32 v46, 0x7fffffff, v44
                                        ; implicit-def: $vgpr42
                                        ; implicit-def: $vgpr43
	s_mov_b32 s6, exec_lo
	v_cmpx_gt_u32_e32 0x41300000, v24
	s_xor_b32 s34, exec_lo, s6
	s_cbranch_execz .LBB100_58
; %bb.53:                               ;   in Loop: Header=BB100_4 Depth=1
                                        ; implicit-def: $vgpr4
                                        ; implicit-def: $vgpr42
	s_mov_b32 s7, exec_lo
	v_cmpx_ngt_f32_e64 0x48000000, |v44|
	s_xor_b32 s35, exec_lo, s7
	s_cbranch_execz .LBB100_55
; %bb.54:                               ;   in Loop: Header=BB100_4 Depth=1
	v_and_or_b32 v4, v46, s24, 0x800000
	v_dual_mov_b32 v57, v5 :: v_dual_lshrrev_b32 v22, 23, v46
	v_mov_b32_e32 v59, v5
	s_delay_alu instid0(VALU_DEP_3) | instskip(NEXT) | instid1(VALU_DEP_3)
	v_mul_u64_e32 v[42:43], s[18:19], v[4:5]
	v_dual_mov_b32 v49, v5 :: v_dual_add_nc_u32 v22, 0xffffff88, v22
	s_delay_alu instid0(VALU_DEP_1) | instskip(SKIP_1) | instid1(VALU_DEP_1)
	v_cmp_lt_u32_e32 vcc_lo, 63, v22
	v_cndmask_b32_e64 v26, 0, 0xffffffc0, vcc_lo
	v_add_nc_u32_e32 v22, v26, v22
	s_delay_alu instid0(VALU_DEP_1) | instskip(NEXT) | instid1(VALU_DEP_1)
	v_cmp_lt_u32_e64 s6, 31, v22
	v_cndmask_b32_e64 v26, 0, 0xffffffe0, s6
	v_mov_b32_e32 v48, v43
	s_delay_alu instid0(VALU_DEP_1) | instskip(NEXT) | instid1(VALU_DEP_1)
	v_mad_nc_u64_u32 v[48:49], 0x3c439041, v4, v[48:49]
	v_dual_mov_b32 v51, v5 :: v_dual_mov_b32 v50, v49
	s_delay_alu instid0(VALU_DEP_1) | instskip(NEXT) | instid1(VALU_DEP_1)
	v_mad_nc_u64_u32 v[50:51], 0xdb629599, v4, v[50:51]
	v_dual_mov_b32 v53, v5 :: v_dual_mov_b32 v52, v51
	;; [unrolled: 3-line block ×3, first 2 shown]
	s_delay_alu instid0(VALU_DEP_1) | instskip(NEXT) | instid1(VALU_DEP_1)
	v_mad_nc_u64_u32 v[54:55], 0xfc2757d1, v4, v[54:55]
	v_dual_mov_b32 v56, v55 :: v_dual_cndmask_b32 v49, v54, v50
	s_delay_alu instid0(VALU_DEP_1) | instskip(NEXT) | instid1(VALU_DEP_1)
	v_mad_nc_u64_u32 v[56:57], 0x4e441529, v4, v[56:57]
	v_mov_b32_e32 v58, v57
	s_delay_alu instid0(VALU_DEP_1) | instskip(NEXT) | instid1(VALU_DEP_3)
	v_mad_nc_u64_u32 v[58:59], 0xa2f9836e, v4, v[58:59]
	v_dual_add_nc_u32 v4, v26, v22 :: v_dual_cndmask_b32 v26, v56, v52, vcc_lo
	s_delay_alu instid0(VALU_DEP_1) | instskip(NEXT) | instid1(VALU_DEP_1)
	v_cmp_lt_u32_e64 s7, 31, v4
	v_cndmask_b32_e64 v22, 0, 0xffffffe0, s7
	s_delay_alu instid0(VALU_DEP_4) | instskip(NEXT) | instid1(VALU_DEP_2)
	v_dual_cndmask_b32 v43, v58, v54, vcc_lo :: v_dual_cndmask_b32 v47, v59, v56, vcc_lo
	v_add_nc_u32_e32 v4, v22, v4
	s_delay_alu instid0(VALU_DEP_2) | instskip(NEXT) | instid1(VALU_DEP_3)
	v_dual_cndmask_b32 v22, v52, v48, vcc_lo :: v_dual_cndmask_b32 v48, v43, v26, s6
	v_dual_cndmask_b32 v43, v47, v43, s6 :: v_dual_cndmask_b32 v26, v26, v49, s6
	s_delay_alu instid0(VALU_DEP_2) | instskip(NEXT) | instid1(VALU_DEP_2)
	v_dual_sub_nc_u32 v47, 32, v4 :: v_dual_cndmask_b32 v49, v49, v22, s6
	v_dual_cndmask_b32 v43, v43, v48, s7 :: v_dual_cndmask_b32 v48, v48, v26, s7
	s_delay_alu instid0(VALU_DEP_2) | instskip(NEXT) | instid1(VALU_DEP_2)
	v_cndmask_b32_e64 v26, v26, v49, s7
	v_alignbit_b32 v51, v43, v48, v47
	v_cndmask_b32_e32 v42, v50, v42, vcc_lo
	v_cmp_eq_u32_e32 vcc_lo, 0, v4
	s_delay_alu instid0(VALU_DEP_4) | instskip(NEXT) | instid1(VALU_DEP_4)
	v_alignbit_b32 v50, v48, v26, v47
	v_cndmask_b32_e32 v4, v51, v43, vcc_lo
	s_delay_alu instid0(VALU_DEP_1) | instskip(SKIP_1) | instid1(VALU_DEP_1)
	v_bfe_u32 v43, v4, 29, 1
	v_cndmask_b32_e64 v22, v22, v42, s6
	v_dual_cndmask_b32 v42, v50, v48, vcc_lo :: v_dual_cndmask_b32 v22, v49, v22, s7
	s_delay_alu instid0(VALU_DEP_1) | instskip(NEXT) | instid1(VALU_DEP_4)
	v_alignbit_b32 v48, v4, v42, 30
	v_sub_nc_u32_e32 v49, 0, v43
	s_delay_alu instid0(VALU_DEP_3) | instskip(NEXT) | instid1(VALU_DEP_1)
	v_alignbit_b32 v47, v26, v22, v47
	v_dual_cndmask_b32 v26, v47, v26, vcc_lo :: v_dual_bitop2_b32 v48, v48, v49 bitop3:0x14
	s_delay_alu instid0(VALU_DEP_1) | instskip(NEXT) | instid1(VALU_DEP_2)
	v_clz_i32_u32_e32 v47, v48
	v_alignbit_b32 v42, v42, v26, 30
	v_alignbit_b32 v22, v26, v22, 30
	s_delay_alu instid0(VALU_DEP_3) | instskip(NEXT) | instid1(VALU_DEP_3)
	v_min_u32_e32 v47, 32, v47
	v_xor_b32_e32 v26, v42, v49
	s_delay_alu instid0(VALU_DEP_3) | instskip(NEXT) | instid1(VALU_DEP_3)
	v_dual_lshrrev_b32 v49, 29, v4 :: v_dual_bitop2_b32 v22, v22, v49 bitop3:0x14
	v_dual_sub_nc_u32 v42, 31, v47 :: v_dual_lshlrev_b32 v50, 23, v47
	v_lshrrev_b32_e32 v4, 30, v4
	s_delay_alu instid0(VALU_DEP_2) | instskip(NEXT) | instid1(VALU_DEP_4)
	v_alignbit_b32 v48, v48, v26, v42
	v_alignbit_b32 v22, v26, v22, v42
	s_delay_alu instid0(VALU_DEP_3) | instskip(NEXT) | instid1(VALU_DEP_2)
	v_dual_lshlrev_b32 v26, 31, v49 :: v_dual_add_nc_u32 v4, v43, v4
	v_alignbit_b32 v42, v48, v22, 9
	s_delay_alu instid0(VALU_DEP_2) | instskip(SKIP_1) | instid1(VALU_DEP_3)
	v_dual_lshrrev_b32 v48, 9, v48 :: v_dual_bitop2_b32 v49, 0.5, v26 bitop3:0x54
	v_or_b32_e32 v26, 0x33000000, v26
	v_clz_i32_u32_e32 v51, v42
	s_delay_alu instid0(VALU_DEP_3) | instskip(NEXT) | instid1(VALU_DEP_2)
	v_sub_nc_u32_e32 v49, v49, v50
	v_min_u32_e32 v50, 32, v51
	s_delay_alu instid0(VALU_DEP_1) | instskip(NEXT) | instid1(VALU_DEP_1)
	v_add_lshl_u32 v47, v50, v47, 23
	v_dual_sub_nc_u32 v26, v26, v47 :: v_dual_bitop2_b32 v48, v48, v49 bitop3:0x54
	v_not_b32_e32 v49, v50
	s_delay_alu instid0(VALU_DEP_1) | instskip(NEXT) | instid1(VALU_DEP_1)
	v_alignbit_b32 v22, v42, v22, v49
	v_lshrrev_b32_e32 v22, 9, v22
	s_delay_alu instid0(VALU_DEP_1) | instskip(SKIP_1) | instid1(VALU_DEP_1)
	v_or_b32_e32 v22, v26, v22
	v_mul_f32_e32 v51, 0x3fc90fda, v48
	v_fma_f32 v42, 0x3fc90fda, v48, -v51
	s_delay_alu instid0(VALU_DEP_1) | instskip(NEXT) | instid1(VALU_DEP_1)
	v_fmac_f32_e32 v42, 0x33a22168, v48
	v_fmac_f32_e32 v42, 0x3fc90fda, v22
	s_delay_alu instid0(VALU_DEP_1)
	v_add_f32_e32 v42, v51, v42
.LBB100_55:                             ;   in Loop: Header=BB100_4 Depth=1
	s_and_not1_saveexec_b32 s6, s35
; %bb.56:                               ;   in Loop: Header=BB100_4 Depth=1
	v_mul_f32_e64 v4, 0x3f22f983, |v44|
	s_delay_alu instid0(VALU_DEP_1) | instskip(NEXT) | instid1(VALU_DEP_1)
	v_rndne_f32_e32 v4, v4
	v_fma_f32 v42, 0xbfc90fda, v4, |v44|
	s_delay_alu instid0(VALU_DEP_1) | instskip(NEXT) | instid1(VALU_DEP_1)
	v_fmac_f32_e32 v42, 0xb3a22168, v4
	v_fmac_f32_e32 v42, 0xa7c234c4, v4
	v_cvt_i32_f32_e32 v4, v4
; %bb.57:                               ;   in Loop: Header=BB100_4 Depth=1
	s_or_b32 exec_lo, exec_lo, s6
	v_add_f32_e64 v22, 0xbf317218, |v45|
	v_cmp_nlt_f32_e64 vcc_lo, 0x42b2d4fc, |v45|
	v_cmp_gt_f32_e64 s6, 0x39800000, |v45|
	s_delay_alu instid0(VALU_DEP_3) | instskip(NEXT) | instid1(VALU_DEP_1)
	v_sub_f32_e64 v49, v22, |v45|
	v_sub_f32_e32 v48, v49, v22
	s_delay_alu instid0(VALU_DEP_1) | instskip(NEXT) | instid1(VALU_DEP_1)
	v_pk_add_f32 v[48:49], v[24:25], v[48:49]
	v_sub_f32_e32 v24, v48, v49
	s_delay_alu instid0(VALU_DEP_1) | instskip(NEXT) | instid1(VALU_DEP_1)
	v_add_f32_e32 v24, 0x3102e308, v24
	v_add_f32_e32 v26, v22, v24
	s_delay_alu instid0(VALU_DEP_1) | instskip(NEXT) | instid1(VALU_DEP_1)
	v_dual_mul_f32 v43, 0x3fb8aa3b, v26 :: v_dual_sub_f32 v22, v22, v26
	v_rndne_f32_e32 v43, v43
	s_delay_alu instid0(VALU_DEP_1) | instskip(NEXT) | instid1(VALU_DEP_3)
	v_fmac_f32_e32 v26, 0xbf317200, v43
	v_add_f32_e32 v22, v24, v22
	v_mul_f32_e32 v24, 0x35bfbc00, v43
	v_mul_f32_e32 v51, 0x2ea39ef3, v43
	s_delay_alu instid0(VALU_DEP_3) | instskip(NEXT) | instid1(VALU_DEP_1)
	v_add_f32_e32 v47, v22, v26
	v_dual_sub_f32 v48, v47, v24 :: v_dual_sub_f32 v26, v26, v47
	s_delay_alu instid0(VALU_DEP_1) | instskip(NEXT) | instid1(VALU_DEP_1)
	v_dual_sub_f32 v47, v47, v48 :: v_dual_add_f32 v22, v22, v26
	v_sub_f32_e32 v24, v47, v24
	s_delay_alu instid0(VALU_DEP_1) | instskip(NEXT) | instid1(VALU_DEP_1)
	v_add_f32_e32 v22, v22, v24
	v_add_f32_e32 v49, v48, v22
	s_delay_alu instid0(VALU_DEP_1) | instskip(NEXT) | instid1(VALU_DEP_1)
	v_mov_b32_e32 v50, v49
	v_pk_add_f32 v[52:53], v[48:49], v[50:51] neg_lo:[0,1] neg_hi:[0,1]
	s_delay_alu instid0(VALU_DEP_1) | instskip(NEXT) | instid1(VALU_DEP_1)
	v_dual_sub_f32 v24, v49, v53 :: v_dual_add_f32 v22, v22, v52
	v_sub_f32_e32 v24, v24, v51
	s_delay_alu instid0(VALU_DEP_1) | instskip(NEXT) | instid1(VALU_DEP_1)
	v_add_f32_e32 v22, v22, v24
	v_add_f32_e32 v24, v53, v22
	s_delay_alu instid0(VALU_DEP_1) | instskip(SKIP_1) | instid1(VALU_DEP_2)
	v_sub_f32_e32 v26, v53, v24
	v_mov_b64_e32 v[52:53], s[24:25]
	v_add_f32_e32 v22, v22, v26
	s_delay_alu instid0(VALU_DEP_1) | instskip(SKIP_1) | instid1(VALU_DEP_2)
	v_dual_add_f32 v49, v22, v22 :: v_dual_mul_f32 v47, v24, v24
	v_fmaak_f32 v26, s28, v24, 0x3c091de6
	v_fma_f32 v48, v24, v24, -v47
	s_delay_alu instid0(VALU_DEP_1) | instskip(NEXT) | instid1(VALU_DEP_1)
	v_fmac_f32_e32 v48, v24, v49
	v_dual_fmaak_f32 v26, v24, v26, 0x3d2aadcc :: v_dual_add_f32 v49, v47, v48
	s_delay_alu instid0(VALU_DEP_1) | instskip(NEXT) | instid1(VALU_DEP_1)
	v_dual_fmaak_f32 v26, v24, v26, 0x3e2aaa47 :: v_dual_sub_f32 v47, v49, v47
	v_fmaak_f32 v26, v24, v26, 0x3efffffc
	s_delay_alu instid0(VALU_DEP_1) | instskip(NEXT) | instid1(VALU_DEP_1)
	v_dual_sub_f32 v47, v48, v47 :: v_dual_mul_f32 v50, v26, v49
	v_fma_f32 v48, v49, v26, -v50
	s_delay_alu instid0(VALU_DEP_1) | instskip(NEXT) | instid1(VALU_DEP_1)
	v_fmac_f32_e32 v48, v47, v26
	v_add_f32_e32 v47, v50, v48
	s_delay_alu instid0(VALU_DEP_1) | instskip(NEXT) | instid1(VALU_DEP_1)
	v_add_f32_e32 v26, v24, v47
	v_dual_sub_f32 v24, v26, v24 :: v_dual_sub_f32 v49, v47, v50
	s_delay_alu instid0(VALU_DEP_1) | instskip(NEXT) | instid1(VALU_DEP_1)
	v_dual_sub_f32 v24, v47, v24 :: v_dual_sub_f32 v48, v48, v49
	v_add_f32_e32 v22, v22, v48
	s_delay_alu instid0(VALU_DEP_1) | instskip(SKIP_1) | instid1(VALU_DEP_2)
	v_add_f32_e32 v48, v22, v24
	v_cvt_i32_f32_e32 v24, v43
	v_add_f32_e32 v50, v26, v48
	s_delay_alu instid0(VALU_DEP_1) | instskip(NEXT) | instid1(VALU_DEP_1)
	v_dual_add_f32 v51, 1.0, v50 :: v_dual_mov_b32 v49, v50
	v_pk_add_f32 v[52:53], v[50:51], v[52:53]
	v_pk_add_f32 v[54:55], v[50:51], v[26:27] neg_lo:[0,1] neg_hi:[0,1]
	s_delay_alu instid0(VALU_DEP_2) | instskip(NEXT) | instid1(VALU_DEP_1)
	v_mov_b32_e32 v55, v53
	v_pk_add_f32 v[48:49], v[48:49], v[54:55] neg_lo:[0,1] neg_hi:[0,1]
	s_delay_alu instid0(VALU_DEP_1) | instskip(NEXT) | instid1(VALU_DEP_1)
	v_add_f32_e32 v22, v48, v49
	v_add_f32_e32 v26, v51, v22
	s_delay_alu instid0(VALU_DEP_1) | instskip(NEXT) | instid1(VALU_DEP_1)
	v_ldexp_f32 v43, v26, v24
	v_rcp_f32_e32 v47, v43
	v_nop
	s_delay_alu instid0(TRANS32_DEP_1) | instskip(NEXT) | instid1(VALU_DEP_1)
	v_mul_f32_e32 v48, v43, v47
	v_fma_f32 v50, v47, v43, -v48
	v_sub_f32_e32 v26, v26, v51
	s_delay_alu instid0(VALU_DEP_1) | instskip(NEXT) | instid1(VALU_DEP_1)
	v_sub_f32_e32 v22, v22, v26
	v_ldexp_f32 v24, v22, v24
	s_delay_alu instid0(VALU_DEP_1) | instskip(NEXT) | instid1(VALU_DEP_1)
	v_fmac_f32_e32 v50, v47, v24
	v_add_f32_e32 v22, v48, v50
	s_delay_alu instid0(VALU_DEP_1) | instskip(NEXT) | instid1(VALU_DEP_1)
	v_dual_sub_f32 v49, 1.0, v22 :: v_dual_mov_b32 v51, v22
	v_pk_add_f32 v[52:53], v[22:23], v[48:49] neg_lo:[0,1] neg_hi:[0,1]
	s_delay_alu instid0(VALU_DEP_1) | instskip(NEXT) | instid1(VALU_DEP_1)
	v_pk_add_f32 v[50:51], v[52:53], v[50:51] neg_lo:[0,1] neg_hi:[0,1]
	v_add_f32_e32 v22, v50, v51
	s_delay_alu instid0(VALU_DEP_1) | instskip(NEXT) | instid1(VALU_DEP_1)
	v_add_f32_e32 v51, v49, v22
	v_mul_f32_e32 v26, v47, v51
	s_delay_alu instid0(VALU_DEP_1) | instskip(NEXT) | instid1(VALU_DEP_1)
	v_mul_f32_e32 v52, v43, v26
	v_fma_f32 v48, v26, v43, -v52
	s_delay_alu instid0(VALU_DEP_1) | instskip(NEXT) | instid1(VALU_DEP_1)
	v_dual_fmac_f32 v48, v26, v24 :: v_dual_sub_f32 v54, v49, v51
	v_dual_add_f32 v50, v52, v48 :: v_dual_add_f32 v22, v22, v54
	s_delay_alu instid0(VALU_DEP_1) | instskip(NEXT) | instid1(VALU_DEP_1)
	v_dual_sub_f32 v53, v51, v50 :: v_dual_mov_b32 v49, v50
	v_pk_add_f32 v[50:51], v[50:51], v[52:53] neg_lo:[0,1] neg_hi:[0,1]
	s_delay_alu instid0(VALU_DEP_1) | instskip(NEXT) | instid1(VALU_DEP_1)
	v_pk_add_f32 v[48:49], v[50:51], v[48:49] neg_lo:[0,1] neg_hi:[0,1]
	v_dual_add_f32 v22, v22, v49 :: v_dual_add_f32 v49, v47, v26
	s_delay_alu instid0(VALU_DEP_1) | instskip(NEXT) | instid1(VALU_DEP_1)
	v_dual_add_f32 v22, v48, v22 :: v_dual_sub_f32 v48, v49, v47
	v_dual_sub_f32 v26, v26, v48 :: v_dual_add_f32 v22, v53, v22
	s_delay_alu instid0(VALU_DEP_1) | instskip(NEXT) | instid1(VALU_DEP_1)
	v_mul_f32_e32 v22, v47, v22
	v_add_f32_e32 v22, v26, v22
	s_delay_alu instid0(VALU_DEP_1) | instskip(NEXT) | instid1(VALU_DEP_1)
	v_add_f32_e32 v26, v49, v22
	v_ldexp_f32 v47, v26, -2
	s_delay_alu instid0(VALU_DEP_1) | instskip(NEXT) | instid1(VALU_DEP_1)
	v_dual_sub_f32 v26, v26, v49 :: v_dual_sub_f32 v48, v43, v47
	v_dual_sub_f32 v43, v43, v48 :: v_dual_sub_f32 v22, v22, v26
	s_delay_alu instid0(VALU_DEP_1) | instskip(NEXT) | instid1(VALU_DEP_2)
	v_sub_f32_e32 v26, v43, v47
	v_ldexp_f32 v22, v22, -2
	v_xor_b32_e32 v43, 0x80000000, v45
	s_delay_alu instid0(VALU_DEP_3) | instskip(NEXT) | instid1(VALU_DEP_1)
	v_add_f32_e32 v24, v24, v26
	v_sub_f32_e32 v22, v24, v22
	v_mul_f32_e32 v24, v42, v42
	s_delay_alu instid0(VALU_DEP_2) | instskip(NEXT) | instid1(VALU_DEP_2)
	v_add_f32_e32 v22, v48, v22
	v_fmaak_f32 v26, s27, v24, 0xbf039337
	s_delay_alu instid0(VALU_DEP_2) | instskip(NEXT) | instid1(VALU_DEP_1)
	v_cndmask_b32_e32 v22, 0x7f800000, v22, vcc_lo
	v_cndmask_b32_e64 v22, v22, |v45|, s6
	v_fmaak_f32 v45, s26, v24, 0x3ec54587
	s_delay_alu instid0(VALU_DEP_2) | instskip(SKIP_1) | instid1(VALU_DEP_1)
	v_bfi_b32 v43, 0x7fffffff, v22, v43
	v_fmaak_f32 v26, v24, v26, 0x3f93f425
	v_rcp_f32_e32 v26, v26
	v_nop
	s_delay_alu instid0(TRANS32_DEP_1) | instskip(SKIP_1) | instid1(VALU_DEP_1)
	v_mul_f32_e32 v22, v45, v26
	v_fma_f32 v26, v43, v43, 1.0
	v_cmp_gt_f32_e32 vcc_lo, 0xf800000, v26
	s_delay_alu instid0(VALU_DEP_3) | instskip(SKIP_1) | instid1(VALU_DEP_1)
	v_mul_f32_e32 v22, v24, v22
	v_mul_f32_e32 v24, 0x4f800000, v26
	v_cndmask_b32_e32 v24, v26, v24, vcc_lo
	s_delay_alu instid0(VALU_DEP_3) | instskip(NEXT) | instid1(VALU_DEP_2)
	v_fma_f32 v45, v22, v42, v42
	v_sqrt_f32_e32 v48, v24
	s_delay_alu instid0(VALU_DEP_1) | instskip(NEXT) | instid1(VALU_DEP_1)
	v_sub_f32_e32 v47, v45, v42
	v_fma_f32 v22, v22, v42, -v47
	v_rcp_f32_e32 v26, v45
	s_delay_alu instid0(TRANS32_DEP_2) | instskip(NEXT) | instid1(TRANS32_DEP_1)
	v_add_nc_u32_e32 v47, -1, v48
	v_fma_f32 v42, v45, -v26, 1.0
	s_delay_alu instid0(VALU_DEP_1) | instskip(NEXT) | instid1(VALU_DEP_1)
	v_dual_fma_f32 v22, v22, -v26, v42 :: v_dual_add_nc_u32 v42, 1, v48
	v_dual_fma_f32 v49, -v47, v48, v24 :: v_dual_fma_f32 v22, v22, -v26, -v26
	s_delay_alu instid0(VALU_DEP_1) | instskip(NEXT) | instid1(VALU_DEP_1)
	v_cmp_ge_f32_e64 s6, 0, v49
	v_dual_cndmask_b32 v47, v48, v47, s6 :: v_dual_bitop2_b32 v4, 1, v4 bitop3:0x40
	s_delay_alu instid0(VALU_DEP_4) | instskip(NEXT) | instid1(VALU_DEP_2)
	v_fma_f32 v26, -v42, v48, v24
	v_cmp_eq_u32_e64 s6, 0, v4
	s_delay_alu instid0(VALU_DEP_1) | instskip(NEXT) | instid1(VALU_DEP_3)
	v_cndmask_b32_e64 v4, v22, v45, s6
	v_cmp_lt_f32_e64 s6, 0, v26
	s_delay_alu instid0(VALU_DEP_1) | instskip(NEXT) | instid1(VALU_DEP_1)
	v_cndmask_b32_e64 v22, v47, v42, s6
	v_mul_f32_e32 v26, 0x37800000, v22
	s_delay_alu instid0(VALU_DEP_1) | instskip(SKIP_2) | instid1(VALU_DEP_2)
	v_cndmask_b32_e32 v22, v22, v26, vcc_lo
	v_xor3_b32 v4, v46, v4, v44
	v_cmp_class_f32_e64 vcc_lo, v24, 0x260
	v_fma_f32 v44, v4, v4, 1.0
	s_delay_alu instid0(VALU_DEP_4) | instskip(NEXT) | instid1(VALU_DEP_2)
	v_cndmask_b32_e32 v42, v22, v24, vcc_lo
	v_mul_f32_e32 v45, v43, v44
	s_delay_alu instid0(VALU_DEP_1) | instskip(NEXT) | instid1(VALU_DEP_1)
	v_pk_mul_f32 v[44:45], v[42:43], v[44:45]
	v_dual_add_f32 v24, 1.0, v45 :: v_dual_mul_f32 v22, v43, v44
	s_delay_alu instid0(VALU_DEP_1) | instskip(NEXT) | instid1(VALU_DEP_1)
	v_div_scale_f32 v42, null, v24, v24, v4
	v_rcp_f32_e32 v44, v42
	v_nop
	s_delay_alu instid0(TRANS32_DEP_1) | instskip(NEXT) | instid1(VALU_DEP_1)
	v_fma_f32 v46, -v42, v44, 1.0
	v_fmac_f32_e32 v44, v46, v44
	v_div_scale_f32 v26, null, v24, v24, v22
	v_div_scale_f32 v47, vcc_lo, v22, v24, v22
	s_delay_alu instid0(VALU_DEP_2) | instskip(SKIP_1) | instid1(TRANS32_DEP_1)
	v_rcp_f32_e32 v43, v26
	v_nop
	v_fma_f32 v45, -v26, v43, 1.0
	s_delay_alu instid0(VALU_DEP_1) | instskip(SKIP_1) | instid1(VALU_DEP_1)
	v_fmac_f32_e32 v43, v45, v43
	v_div_scale_f32 v45, s6, v4, v24, v4
	v_dual_mul_f32 v46, v47, v43 :: v_dual_mul_f32 v48, v45, v44
	s_delay_alu instid0(VALU_DEP_1) | instskip(NEXT) | instid1(VALU_DEP_1)
	v_fma_f32 v49, -v26, v46, v47
	v_dual_fma_f32 v50, -v42, v48, v45 :: v_dual_fmac_f32 v46, v49, v43
	s_delay_alu instid0(VALU_DEP_1) | instskip(NEXT) | instid1(VALU_DEP_2)
	v_fmac_f32_e32 v48, v50, v44
	v_fma_f32 v26, -v26, v46, v47
	s_delay_alu instid0(VALU_DEP_2) | instskip(NEXT) | instid1(VALU_DEP_2)
	v_fma_f32 v42, -v42, v48, v45
	v_div_fmas_f32 v26, v26, v43, v46
	s_mov_b32 vcc_lo, s6
                                        ; implicit-def: $vgpr46
	s_delay_alu instid0(VALU_DEP_2) | instskip(NEXT) | instid1(VALU_DEP_2)
	v_div_fmas_f32 v42, v42, v44, v48
                                        ; implicit-def: $vgpr44
	v_div_fixup_f32 v43, v26, v24, v22
	s_delay_alu instid0(VALU_DEP_2)
	v_div_fixup_f32 v42, v42, v24, v4
.LBB100_58:                             ;   in Loop: Header=BB100_4 Depth=1
	s_and_not1_saveexec_b32 s34, s34
	s_cbranch_execz .LBB100_68
; %bb.59:                               ;   in Loop: Header=BB100_4 Depth=1
	v_lshrrev_b32_e32 v22, 23, v46
	v_cmp_ngt_f32_e64 s35, 0x48000000, |v44|
	v_and_or_b32 v4, v46, s24, 0x800000
                                        ; implicit-def: $vgpr26
	s_delay_alu instid0(VALU_DEP_3) | instskip(SKIP_1) | instid1(SALU_CYCLE_1)
	v_add_nc_u32_e32 v24, 0xffffff88, v22
                                        ; implicit-def: $vgpr22
	s_and_saveexec_b32 s6, s35
	s_xor_b32 s36, exec_lo, s6
	s_cbranch_execz .LBB100_61
; %bb.60:                               ;   in Loop: Header=BB100_4 Depth=1
	v_mul_u64_e32 v[42:43], s[18:19], v[4:5]
	v_mov_b32_e32 v49, v5
	v_cmp_lt_u32_e32 vcc_lo, 63, v24
	v_mov_b32_e32 v59, v5
	v_cndmask_b32_e64 v22, 0, 0xffffffc0, vcc_lo
	s_delay_alu instid0(VALU_DEP_1) | instskip(NEXT) | instid1(VALU_DEP_1)
	v_add_nc_u32_e32 v22, v22, v24
	v_cmp_lt_u32_e64 s6, 31, v22
	s_delay_alu instid0(VALU_DEP_1) | instskip(NEXT) | instid1(VALU_DEP_1)
	v_cndmask_b32_e64 v26, 0, 0xffffffe0, s6
	v_dual_add_nc_u32 v22, v26, v22 :: v_dual_mov_b32 v48, v43
	s_delay_alu instid0(VALU_DEP_1) | instskip(NEXT) | instid1(VALU_DEP_2)
	v_cmp_lt_u32_e64 s7, 31, v22
	v_mad_nc_u64_u32 v[48:49], 0x3c439041, v4, v[48:49]
	v_mov_b32_e32 v51, v5
	s_delay_alu instid0(VALU_DEP_3) | instskip(NEXT) | instid1(VALU_DEP_3)
	v_cndmask_b32_e64 v26, 0, 0xffffffe0, s7
	v_mov_b32_e32 v50, v49
	s_delay_alu instid0(VALU_DEP_1) | instskip(NEXT) | instid1(VALU_DEP_1)
	v_mad_nc_u64_u32 v[50:51], 0xdb629599, v4, v[50:51]
	v_dual_mov_b32 v53, v5 :: v_dual_mov_b32 v52, v51
	s_delay_alu instid0(VALU_DEP_2) | instskip(NEXT) | instid1(VALU_DEP_2)
	v_cndmask_b32_e32 v42, v50, v42, vcc_lo
	v_mad_nc_u64_u32 v[52:53], 0xf534ddc0, v4, v[52:53]
	v_dual_mov_b32 v55, v5 :: v_dual_add_nc_u32 v22, v26, v22
	s_delay_alu instid0(VALU_DEP_2) | instskip(NEXT) | instid1(VALU_DEP_1)
	v_dual_cndmask_b32 v26, v52, v48, vcc_lo :: v_dual_mov_b32 v54, v53
	v_mad_nc_u64_u32 v[54:55], 0xfc2757d1, v4, v[54:55]
	s_delay_alu instid0(VALU_DEP_1) | instskip(NEXT) | instid1(VALU_DEP_2)
	v_dual_mov_b32 v57, v5 :: v_dual_mov_b32 v56, v55
	v_cndmask_b32_e32 v51, v54, v50, vcc_lo
	s_delay_alu instid0(VALU_DEP_2) | instskip(NEXT) | instid1(VALU_DEP_1)
	v_mad_nc_u64_u32 v[56:57], 0x4e441529, v4, v[56:57]
	v_mov_b32_e32 v58, v57
	s_delay_alu instid0(VALU_DEP_1) | instskip(NEXT) | instid1(VALU_DEP_1)
	v_mad_nc_u64_u32 v[58:59], 0xa2f9836e, v4, v[58:59]
	v_dual_cndmask_b32 v43, v56, v52, vcc_lo :: v_dual_cndmask_b32 v47, v58, v54, vcc_lo
	s_delay_alu instid0(VALU_DEP_2) | instskip(SKIP_1) | instid1(VALU_DEP_3)
	v_cndmask_b32_e32 v49, v59, v56, vcc_lo
	v_cmp_eq_u32_e32 vcc_lo, 0, v22
	v_cndmask_b32_e64 v48, v47, v43, s6
	s_delay_alu instid0(VALU_DEP_3) | instskip(SKIP_2) | instid1(VALU_DEP_3)
	v_cndmask_b32_e64 v47, v49, v47, s6
	v_dual_cndmask_b32 v43, v43, v51, s6 :: v_dual_sub_nc_u32 v49, 32, v22
	v_cndmask_b32_e64 v51, v51, v26, s6
	v_dual_cndmask_b32 v26, v26, v42, s6 :: v_dual_cndmask_b32 v47, v47, v48, s7
	s_delay_alu instid0(VALU_DEP_3) | instskip(NEXT) | instid1(VALU_DEP_3)
	v_cndmask_b32_e64 v48, v48, v43, s7
	v_cndmask_b32_e64 v43, v43, v51, s7
	s_delay_alu instid0(VALU_DEP_2) | instskip(NEXT) | instid1(VALU_DEP_2)
	v_alignbit_b32 v52, v47, v48, v49
	v_alignbit_b32 v50, v48, v43, v49
	s_delay_alu instid0(VALU_DEP_1) | instskip(NEXT) | instid1(VALU_DEP_1)
	v_dual_cndmask_b32 v22, v52, v47, vcc_lo :: v_dual_cndmask_b32 v42, v50, v48, vcc_lo
	v_bfe_u32 v47, v22, 29, 1
	v_cndmask_b32_e64 v26, v51, v26, s7
	s_delay_alu instid0(VALU_DEP_3) | instskip(NEXT) | instid1(VALU_DEP_3)
	v_alignbit_b32 v48, v22, v42, 30
	v_sub_nc_u32_e32 v50, 0, v47
	s_delay_alu instid0(VALU_DEP_3) | instskip(NEXT) | instid1(VALU_DEP_1)
	v_alignbit_b32 v49, v43, v26, v49
	v_dual_cndmask_b32 v43, v49, v43, vcc_lo :: v_dual_bitop2_b32 v48, v48, v50 bitop3:0x14
	s_delay_alu instid0(VALU_DEP_1) | instskip(NEXT) | instid1(VALU_DEP_2)
	v_clz_i32_u32_e32 v49, v48
	v_alignbit_b32 v42, v42, v43, 30
	v_alignbit_b32 v26, v43, v26, 30
	s_delay_alu instid0(VALU_DEP_3) | instskip(NEXT) | instid1(VALU_DEP_3)
	v_min_u32_e32 v49, 32, v49
	v_xor_b32_e32 v42, v42, v50
	s_delay_alu instid0(VALU_DEP_3) | instskip(NEXT) | instid1(VALU_DEP_3)
	v_xor_b32_e32 v26, v26, v50
	v_dual_lshrrev_b32 v50, 29, v22 :: v_dual_lshlrev_b32 v51, 23, v49
	v_sub_nc_u32_e32 v43, 31, v49
	s_delay_alu instid0(VALU_DEP_1) | instskip(NEXT) | instid1(VALU_DEP_4)
	v_alignbit_b32 v48, v48, v42, v43
	v_alignbit_b32 v26, v42, v26, v43
	s_delay_alu instid0(VALU_DEP_4) | instskip(NEXT) | instid1(VALU_DEP_2)
	v_lshlrev_b32_e32 v42, 31, v50
	v_alignbit_b32 v43, v48, v26, 9
	s_delay_alu instid0(VALU_DEP_2) | instskip(SKIP_1) | instid1(VALU_DEP_3)
	v_dual_lshrrev_b32 v48, 9, v48 :: v_dual_bitop2_b32 v50, 0.5, v42 bitop3:0x54
	v_or_b32_e32 v42, 0x33000000, v42
	v_clz_i32_u32_e32 v52, v43
	s_delay_alu instid0(VALU_DEP_3) | instskip(NEXT) | instid1(VALU_DEP_2)
	v_sub_nc_u32_e32 v50, v50, v51
	v_min_u32_e32 v51, 32, v52
	s_delay_alu instid0(VALU_DEP_1) | instskip(NEXT) | instid1(VALU_DEP_3)
	v_add_lshl_u32 v49, v51, v49, 23
	v_or_b32_e32 v48, v48, v50
	v_not_b32_e32 v50, v51
	s_delay_alu instid0(VALU_DEP_3) | instskip(NEXT) | instid1(VALU_DEP_2)
	v_sub_nc_u32_e32 v42, v42, v49
	v_alignbit_b32 v26, v43, v26, v50
	s_delay_alu instid0(VALU_DEP_1) | instskip(NEXT) | instid1(VALU_DEP_1)
	v_lshrrev_b32_e32 v26, 9, v26
	v_or_b32_e32 v26, v42, v26
	v_mul_f32_e32 v52, 0x3fc90fda, v48
	s_delay_alu instid0(VALU_DEP_1) | instskip(NEXT) | instid1(VALU_DEP_1)
	v_fma_f32 v43, 0x3fc90fda, v48, -v52
	v_fmac_f32_e32 v43, 0x33a22168, v48
	s_delay_alu instid0(VALU_DEP_1) | instskip(NEXT) | instid1(VALU_DEP_1)
	v_fmac_f32_e32 v43, 0x3fc90fda, v26
	v_dual_lshrrev_b32 v26, 30, v22 :: v_dual_add_f32 v22, v52, v43
	s_delay_alu instid0(VALU_DEP_1)
	v_add_nc_u32_e32 v26, v47, v26
	s_and_not1_saveexec_b32 s6, s36
	s_branch .LBB100_62
.LBB100_61:                             ;   in Loop: Header=BB100_4 Depth=1
	s_and_not1_saveexec_b32 s6, s36
.LBB100_62:                             ;   in Loop: Header=BB100_4 Depth=1
	v_mul_f32_e64 v22, 0x3f22f983, |v44|
	s_delay_alu instid0(VALU_DEP_1) | instskip(NEXT) | instid1(VALU_DEP_1)
	v_rndne_f32_e32 v26, v22
	v_fma_f32 v22, 0xbfc90fda, v26, |v44|
	s_delay_alu instid0(VALU_DEP_1) | instskip(NEXT) | instid1(VALU_DEP_1)
	v_fmac_f32_e32 v22, 0xb3a22168, v26
	v_fmac_f32_e32 v22, 0xa7c234c4, v26
	v_cvt_i32_f32_e32 v26, v26
; %bb.63:                               ;   in Loop: Header=BB100_4 Depth=1
	s_or_b32 exec_lo, exec_lo, s6
                                        ; implicit-def: $vgpr43
                                        ; implicit-def: $vgpr42
	s_and_saveexec_b32 s6, s35
	s_delay_alu instid0(SALU_CYCLE_1)
	s_xor_b32 s35, exec_lo, s6
	s_cbranch_execz .LBB100_65
; %bb.64:                               ;   in Loop: Header=BB100_4 Depth=1
	v_mul_u64_e32 v[42:43], s[18:19], v[4:5]
	v_mov_b32_e32 v49, v5
	v_cmp_lt_u32_e32 vcc_lo, 63, v24
	s_delay_alu instid0(VALU_DEP_3) | instskip(SKIP_1) | instid1(VALU_DEP_2)
	v_dual_mov_b32 v59, v5 :: v_dual_mov_b32 v48, v43
	v_cndmask_b32_e64 v43, 0, 0xffffffc0, vcc_lo
	v_mad_nc_u64_u32 v[48:49], 0x3c439041, v4, v[48:49]
	s_delay_alu instid0(VALU_DEP_2) | instskip(NEXT) | instid1(VALU_DEP_1)
	v_dual_mov_b32 v51, v5 :: v_dual_add_nc_u32 v24, v43, v24
	v_cmp_lt_u32_e64 s6, 31, v24
	s_delay_alu instid0(VALU_DEP_3) | instskip(NEXT) | instid1(VALU_DEP_2)
	v_mov_b32_e32 v50, v49
	v_cndmask_b32_e64 v43, 0, 0xffffffe0, s6
	s_delay_alu instid0(VALU_DEP_2) | instskip(NEXT) | instid1(VALU_DEP_1)
	v_mad_nc_u64_u32 v[50:51], 0xdb629599, v4, v[50:51]
	v_dual_mov_b32 v53, v5 :: v_dual_mov_b32 v52, v51
	s_delay_alu instid0(VALU_DEP_2) | instskip(NEXT) | instid1(VALU_DEP_2)
	v_cndmask_b32_e32 v42, v50, v42, vcc_lo
	v_mad_nc_u64_u32 v[52:53], 0xf534ddc0, v4, v[52:53]
	s_delay_alu instid0(VALU_DEP_1) | instskip(NEXT) | instid1(VALU_DEP_1)
	v_dual_mov_b32 v55, v5 :: v_dual_mov_b32 v54, v53
	v_mad_nc_u64_u32 v[54:55], 0xfc2757d1, v4, v[54:55]
	s_delay_alu instid0(VALU_DEP_1) | instskip(NEXT) | instid1(VALU_DEP_2)
	v_dual_mov_b32 v57, v5 :: v_dual_mov_b32 v56, v55
	v_cndmask_b32_e32 v51, v54, v50, vcc_lo
	s_delay_alu instid0(VALU_DEP_2) | instskip(NEXT) | instid1(VALU_DEP_1)
	v_mad_nc_u64_u32 v[56:57], 0x4e441529, v4, v[56:57]
	v_mov_b32_e32 v58, v57
	s_delay_alu instid0(VALU_DEP_1) | instskip(SKIP_1) | instid1(VALU_DEP_4)
	v_mad_nc_u64_u32 v[58:59], 0xa2f9836e, v4, v[58:59]
	v_add_nc_u32_e32 v4, v43, v24
	v_cndmask_b32_e32 v43, v56, v52, vcc_lo
	s_delay_alu instid0(VALU_DEP_2) | instskip(NEXT) | instid1(VALU_DEP_1)
	v_cmp_lt_u32_e64 s7, 31, v4
	v_cndmask_b32_e64 v24, 0, 0xffffffe0, s7
	v_dual_cndmask_b32 v47, v58, v54, vcc_lo :: v_dual_cndmask_b32 v49, v59, v56, vcc_lo
	s_delay_alu instid0(VALU_DEP_2) | instskip(NEXT) | instid1(VALU_DEP_2)
	v_add_nc_u32_e32 v4, v24, v4
	v_dual_cndmask_b32 v24, v52, v48, vcc_lo :: v_dual_cndmask_b32 v48, v47, v43, s6
	s_delay_alu instid0(VALU_DEP_3) | instskip(NEXT) | instid1(VALU_DEP_3)
	v_cndmask_b32_e64 v47, v49, v47, s6
	v_dual_cndmask_b32 v43, v43, v51, s6 :: v_dual_sub_nc_u32 v49, 32, v4
	s_delay_alu instid0(VALU_DEP_3) | instskip(SKIP_1) | instid1(VALU_DEP_3)
	v_cndmask_b32_e64 v51, v51, v24, s6
	v_cmp_eq_u32_e32 vcc_lo, 0, v4
	v_dual_cndmask_b32 v47, v47, v48, s7 :: v_dual_cndmask_b32 v48, v48, v43, s7
	s_delay_alu instid0(VALU_DEP_3) | instskip(NEXT) | instid1(VALU_DEP_2)
	v_dual_cndmask_b32 v24, v24, v42, s6 :: v_dual_cndmask_b32 v43, v43, v51, s7
	v_alignbit_b32 v52, v47, v48, v49
	s_delay_alu instid0(VALU_DEP_2) | instskip(NEXT) | instid1(VALU_DEP_1)
	v_alignbit_b32 v50, v48, v43, v49
	v_dual_cndmask_b32 v4, v52, v47, vcc_lo :: v_dual_cndmask_b32 v42, v50, v48, vcc_lo
	s_delay_alu instid0(VALU_DEP_1) | instskip(SKIP_1) | instid1(VALU_DEP_3)
	v_bfe_u32 v47, v4, 29, 1
	v_cndmask_b32_e64 v24, v51, v24, s7
	v_alignbit_b32 v48, v4, v42, 30
	s_delay_alu instid0(VALU_DEP_3) | instskip(NEXT) | instid1(VALU_DEP_3)
	v_sub_nc_u32_e32 v50, 0, v47
	v_alignbit_b32 v49, v43, v24, v49
	s_delay_alu instid0(VALU_DEP_1) | instskip(NEXT) | instid1(VALU_DEP_1)
	v_dual_cndmask_b32 v43, v49, v43, vcc_lo :: v_dual_bitop2_b32 v48, v48, v50 bitop3:0x14
	v_clz_i32_u32_e32 v49, v48
	s_delay_alu instid0(VALU_DEP_2) | instskip(SKIP_1) | instid1(VALU_DEP_3)
	v_alignbit_b32 v42, v42, v43, 30
	v_alignbit_b32 v24, v43, v24, 30
	v_min_u32_e32 v49, 32, v49
	s_delay_alu instid0(VALU_DEP_3) | instskip(NEXT) | instid1(VALU_DEP_3)
	v_xor_b32_e32 v42, v42, v50
	v_dual_lshrrev_b32 v50, 29, v4 :: v_dual_bitop2_b32 v24, v24, v50 bitop3:0x14
	s_delay_alu instid0(VALU_DEP_3) | instskip(SKIP_1) | instid1(VALU_DEP_2)
	v_dual_lshrrev_b32 v4, 30, v4 :: v_dual_sub_nc_u32 v43, 31, v49
	v_lshlrev_b32_e32 v51, 23, v49
	v_alignbit_b32 v48, v48, v42, v43
	s_delay_alu instid0(VALU_DEP_4) | instskip(SKIP_1) | instid1(VALU_DEP_2)
	v_alignbit_b32 v24, v42, v24, v43
	v_lshlrev_b32_e32 v42, 31, v50
	v_alignbit_b32 v43, v48, v24, 9
	s_delay_alu instid0(VALU_DEP_2) | instskip(SKIP_1) | instid1(VALU_DEP_3)
	v_dual_lshrrev_b32 v48, 9, v48 :: v_dual_bitop2_b32 v50, 0.5, v42 bitop3:0x54
	v_or_b32_e32 v42, 0x33000000, v42
	v_clz_i32_u32_e32 v52, v43
	s_delay_alu instid0(VALU_DEP_3) | instskip(NEXT) | instid1(VALU_DEP_2)
	v_sub_nc_u32_e32 v50, v50, v51
	v_min_u32_e32 v51, 32, v52
	s_delay_alu instid0(VALU_DEP_1) | instskip(NEXT) | instid1(VALU_DEP_3)
	v_add_lshl_u32 v49, v51, v49, 23
	v_or_b32_e32 v48, v48, v50
	v_not_b32_e32 v50, v51
	s_delay_alu instid0(VALU_DEP_3) | instskip(NEXT) | instid1(VALU_DEP_3)
	v_sub_nc_u32_e32 v42, v42, v49
	v_mul_f32_e32 v52, 0x3fc90fda, v48
	s_delay_alu instid0(VALU_DEP_3) | instskip(NEXT) | instid1(VALU_DEP_2)
	v_alignbit_b32 v24, v43, v24, v50
	v_fma_f32 v43, 0x3fc90fda, v48, -v52
	s_delay_alu instid0(VALU_DEP_2) | instskip(NEXT) | instid1(VALU_DEP_2)
	v_lshrrev_b32_e32 v24, 9, v24
	v_fmac_f32_e32 v43, 0x33a22168, v48
	s_delay_alu instid0(VALU_DEP_2) | instskip(NEXT) | instid1(VALU_DEP_1)
	v_or_b32_e32 v24, v42, v24
	v_fmac_f32_e32 v43, 0x3fc90fda, v24
	s_delay_alu instid0(VALU_DEP_1)
	v_dual_add_f32 v42, v52, v43 :: v_dual_add_nc_u32 v43, v47, v4
	s_and_not1_saveexec_b32 s6, s35
	s_cbranch_execnz .LBB100_66
	s_branch .LBB100_67
.LBB100_65:                             ;   in Loop: Header=BB100_4 Depth=1
	s_and_not1_saveexec_b32 s6, s35
.LBB100_66:                             ;   in Loop: Header=BB100_4 Depth=1
	v_mul_f32_e64 v4, 0x3f22f983, |v44|
	s_delay_alu instid0(VALU_DEP_1) | instskip(NEXT) | instid1(VALU_DEP_1)
	v_rndne_f32_e32 v4, v4
	v_fma_f32 v42, 0xbfc90fda, v4, |v44|
	v_cvt_i32_f32_e32 v43, v4
	s_delay_alu instid0(VALU_DEP_2) | instskip(NEXT) | instid1(VALU_DEP_1)
	v_fmac_f32_e32 v42, 0xb3a22168, v4
	v_fmac_f32_e32 v42, 0xa7c234c4, v4
.LBB100_67:                             ;   in Loop: Header=BB100_4 Depth=1
	s_or_b32 exec_lo, exec_lo, s6
	v_mul_f32_e32 v4, v22, v22
	v_dual_lshlrev_b32 v26, 30, v26 :: v_dual_bitop2_b32 v24, 1, v26 bitop3:0x40
	v_mul_f32_e64 v47, 0xbfb8aa3b, |v45|
	v_mul_f32_e32 v50, v42, v42
	s_delay_alu instid0(VALU_DEP_3) | instskip(NEXT) | instid1(VALU_DEP_4)
	v_cmp_eq_u32_e32 vcc_lo, 0, v24
	v_bitop3_b32 v26, v46, v26, 0x80000000 bitop3:0x78
	s_delay_alu instid0(VALU_DEP_4) | instskip(SKIP_3) | instid1(VALU_DEP_4)
	v_rndne_f32_e32 v46, v47
	v_fmaak_f32 v48, s29, v4, 0x3c0881c4
	v_fma_f32 v51, 0xbfb8aa3b, |v45|, -v47
	v_fmaak_f32 v52, s29, v50, 0x3c0881c4
	v_sub_f32_e32 v47, v47, v46
	v_cvt_i32_f32_e32 v46, v46
	s_delay_alu instid0(VALU_DEP_4) | instskip(SKIP_1) | instid1(VALU_DEP_2)
	v_fma_f32 v51, 0xb2a5705f, |v45|, v51
	v_fmaak_f32 v48, v4, v48, 0xbe2aaa9d
	v_dual_fmaak_f32 v52, v50, v52, 0xbe2aaa9d :: v_dual_add_f32 v47, v47, v51
	s_delay_alu instid0(VALU_DEP_2) | instskip(NEXT) | instid1(VALU_DEP_2)
	v_mul_f32_e32 v48, v4, v48
	v_exp_f32_e32 v24, v47
	s_delay_alu instid0(VALU_DEP_1) | instskip(SKIP_2) | instid1(VALU_DEP_2)
	v_fmac_f32_e32 v22, v22, v48
	v_fmaak_f32 v49, s30, v4, 0xbab64f3b
	v_and_b32_e32 v47, 1, v43
	v_fmaak_f32 v49, v4, v49, 0x3d2aabf7
	s_delay_alu instid0(TRANS32_DEP_1) | instskip(NEXT) | instid1(VALU_DEP_2)
	v_ldexp_f32 v24, v24, v46
	v_fmaak_f32 v49, v4, v49, 0xbf000004
	s_delay_alu instid0(VALU_DEP_1) | instskip(SKIP_2) | instid1(VALU_DEP_2)
	v_fma_f32 v4, v4, v49, 1.0
	v_mul_f32_e32 v49, v50, v52
	v_fmaak_f32 v53, s30, v50, 0xbab64f3b
	v_dual_cndmask_b32 v4, v4, v22, vcc_lo :: v_dual_fmac_f32 v42, v42, v49
	s_delay_alu instid0(VALU_DEP_2) | instskip(SKIP_1) | instid1(VALU_DEP_3)
	v_fmaak_f32 v48, v50, v53, 0x3d2aabf7
	v_cmp_eq_u32_e32 vcc_lo, 0, v47
	v_xor3_b32 v4, v26, v4, v44
	v_lshlrev_b32_e32 v26, 30, v43
	s_delay_alu instid0(VALU_DEP_4) | instskip(NEXT) | instid1(VALU_DEP_3)
	v_fmaak_f32 v22, v50, v48, 0xbf000004
	v_mul_f32_e32 v4, 4.0, v4
	s_delay_alu instid0(VALU_DEP_2) | instskip(NEXT) | instid1(VALU_DEP_1)
	v_fma_f32 v22, v50, v22, 1.0
	v_cndmask_b32_e64 v22, -v42, v22, vcc_lo
	v_cmp_nlt_f32_e64 vcc_lo, 0x42ce8ed0, |v45|
	s_delay_alu instid0(VALU_DEP_2) | instskip(SKIP_2) | instid1(VALU_DEP_3)
	v_bitop3_b32 v22, v26, v22, 0x80000000 bitop3:0x6c
	v_cndmask_b32_e32 v24, 0, v24, vcc_lo
	v_cmp_ngt_f32_e64 vcc_lo, 0xc2b17218, |v45|
	v_mul_f32_e32 v4, v4, v22
	v_xor_b32_e32 v22, 0x80000000, v45
	s_delay_alu instid0(VALU_DEP_4) | instskip(NEXT) | instid1(VALU_DEP_2)
	v_cndmask_b32_e32 v24, 0x7f800000, v24, vcc_lo
	v_bfi_b32 v43, 0x7fffffff, 1.0, v22
	s_delay_alu instid0(VALU_DEP_2) | instskip(NEXT) | instid1(VALU_DEP_1)
	v_mul_f32_e32 v4, v24, v4
	v_mul_f32_e32 v42, v24, v4
.LBB100_68:                             ;   in Loop: Header=BB100_4 Depth=1
	s_or_b32 exec_lo, exec_lo, s34
                                        ; implicit-def: $vgpr44
.LBB100_69:                             ;   in Loop: Header=BB100_4 Depth=1
	s_and_not1_saveexec_b32 s6, s33
; %bb.70:                               ;   in Loop: Header=BB100_4 Depth=1
	v_sub_f32_e32 v42, v44, v44
	s_delay_alu instid0(VALU_DEP_1)
	v_mov_b32_e32 v43, v42
; %bb.71:                               ;   in Loop: Header=BB100_4 Depth=1
	s_or_b32 exec_lo, exec_lo, s6
                                        ; implicit-def: $vgpr45
.LBB100_72:                             ;   in Loop: Header=BB100_4 Depth=1
	s_and_not1_saveexec_b32 s31, s31
	s_cbranch_execz .LBB100_88
; %bb.73:                               ;   in Loop: Header=BB100_4 Depth=1
	v_xor_b32_e32 v43, 0x80000000, v45
	s_mov_b32 s6, exec_lo
                                        ; implicit-def: $vgpr42
	s_delay_alu instid0(VALU_DEP_1) | instskip(NEXT) | instid1(VALU_DEP_1)
	v_and_b32_e32 v4, 0x7fffff, v43
	v_cmpx_ne_u32_e32 0, v4
	s_xor_b32 s6, exec_lo, s6
; %bb.74:                               ;   in Loop: Header=BB100_4 Depth=1
	v_mul_f32_e64 v4, v44, -v45
	v_cmp_eq_f32_e32 vcc_lo, 0, v44
	s_delay_alu instid0(VALU_DEP_2)
	v_cndmask_b32_e32 v42, v4, v44, vcc_lo
                                        ; implicit-def: $vgpr44
; %bb.75:                               ;   in Loop: Header=BB100_4 Depth=1
	s_and_not1_saveexec_b32 s33, s6
	s_cbranch_execz .LBB100_87
; %bb.76:                               ;   in Loop: Header=BB100_4 Depth=1
	s_mov_b32 s34, exec_lo
	v_cmpx_neq_f32_e64 0x7f800000, |v44|
	s_cbranch_execz .LBB100_86
; %bb.77:                               ;   in Loop: Header=BB100_4 Depth=1
	v_and_b32_e32 v22, 0x7fffffff, v44
	v_cmp_ngt_f32_e64 s35, 0x48000000, |v44|
                                        ; implicit-def: $vgpr26
	s_delay_alu instid0(VALU_DEP_2) | instskip(SKIP_1) | instid1(VALU_DEP_2)
	v_lshrrev_b32_e32 v24, 23, v22
	v_and_or_b32 v4, v22, s24, 0x800000
	v_add_nc_u32_e32 v42, 0xffffff88, v24
                                        ; implicit-def: $vgpr24
	s_and_saveexec_b32 s6, s35
	s_delay_alu instid0(SALU_CYCLE_1)
	s_xor_b32 s36, exec_lo, s6
	s_cbranch_execz .LBB100_79
; %bb.78:                               ;   in Loop: Header=BB100_4 Depth=1
	v_mul_u64_e32 v[46:47], s[18:19], v[4:5]
	v_mov_b32_e32 v49, v5
	v_cmp_lt_u32_e32 vcc_lo, 63, v42
	v_mov_b32_e32 v59, v5
	v_cndmask_b32_e64 v24, 0, 0xffffffc0, vcc_lo
	s_delay_alu instid0(VALU_DEP_1) | instskip(NEXT) | instid1(VALU_DEP_1)
	v_add_nc_u32_e32 v24, v24, v42
	v_cmp_lt_u32_e64 s6, 31, v24
	s_delay_alu instid0(VALU_DEP_1) | instskip(NEXT) | instid1(VALU_DEP_1)
	v_cndmask_b32_e64 v26, 0, 0xffffffe0, s6
	v_dual_add_nc_u32 v24, v26, v24 :: v_dual_mov_b32 v48, v47
	s_delay_alu instid0(VALU_DEP_1) | instskip(NEXT) | instid1(VALU_DEP_2)
	v_cmp_lt_u32_e64 s7, 31, v24
	v_mad_nc_u64_u32 v[48:49], 0x3c439041, v4, v[48:49]
	v_mov_b32_e32 v51, v5
	s_delay_alu instid0(VALU_DEP_3) | instskip(NEXT) | instid1(VALU_DEP_3)
	v_cndmask_b32_e64 v26, 0, 0xffffffe0, s7
	v_mov_b32_e32 v50, v49
	s_delay_alu instid0(VALU_DEP_1) | instskip(NEXT) | instid1(VALU_DEP_1)
	v_mad_nc_u64_u32 v[50:51], 0xdb629599, v4, v[50:51]
	v_dual_mov_b32 v53, v5 :: v_dual_mov_b32 v52, v51
	s_delay_alu instid0(VALU_DEP_1) | instskip(NEXT) | instid1(VALU_DEP_1)
	v_mad_nc_u64_u32 v[52:53], 0xf534ddc0, v4, v[52:53]
	v_dual_mov_b32 v55, v5 :: v_dual_mov_b32 v54, v53
	;; [unrolled: 3-line block ×3, first 2 shown]
	s_delay_alu instid0(VALU_DEP_2) | instskip(NEXT) | instid1(VALU_DEP_2)
	v_cndmask_b32_e32 v51, v54, v50, vcc_lo
	v_mad_nc_u64_u32 v[56:57], 0x4e441529, v4, v[56:57]
	s_delay_alu instid0(VALU_DEP_1) | instskip(NEXT) | instid1(VALU_DEP_1)
	v_mov_b32_e32 v58, v57
	v_mad_nc_u64_u32 v[58:59], 0xa2f9836e, v4, v[58:59]
	s_delay_alu instid0(VALU_DEP_1) | instskip(NEXT) | instid1(VALU_DEP_2)
	v_dual_cndmask_b32 v45, v56, v52, vcc_lo :: v_dual_cndmask_b32 v47, v58, v54, vcc_lo
	v_cndmask_b32_e32 v49, v59, v56, vcc_lo
	v_add_nc_u32_e32 v24, v26, v24
	s_delay_alu instid0(VALU_DEP_3) | instskip(NEXT) | instid1(VALU_DEP_3)
	v_dual_cndmask_b32 v26, v52, v48, vcc_lo :: v_dual_cndmask_b32 v48, v47, v45, s6
	v_cndmask_b32_e64 v47, v49, v47, s6
	s_delay_alu instid0(VALU_DEP_3) | instskip(NEXT) | instid1(VALU_DEP_3)
	v_dual_cndmask_b32 v45, v45, v51, s6 :: v_dual_sub_nc_u32 v49, 32, v24
	v_cndmask_b32_e64 v51, v51, v26, s6
	s_delay_alu instid0(VALU_DEP_2) | instskip(NEXT) | instid1(VALU_DEP_2)
	v_dual_cndmask_b32 v47, v47, v48, s7 :: v_dual_cndmask_b32 v48, v48, v45, s7
	v_cndmask_b32_e64 v45, v45, v51, s7
	s_delay_alu instid0(VALU_DEP_2) | instskip(SKIP_2) | instid1(VALU_DEP_4)
	v_alignbit_b32 v52, v47, v48, v49
	v_cndmask_b32_e32 v46, v50, v46, vcc_lo
	v_cmp_eq_u32_e32 vcc_lo, 0, v24
	v_alignbit_b32 v50, v48, v45, v49
	s_delay_alu instid0(VALU_DEP_4) | instskip(NEXT) | instid1(VALU_DEP_1)
	v_cndmask_b32_e32 v24, v52, v47, vcc_lo
	v_bfe_u32 v47, v24, 29, 1
	v_cndmask_b32_e64 v26, v26, v46, s6
	s_delay_alu instid0(VALU_DEP_2) | instskip(NEXT) | instid1(VALU_DEP_2)
	v_dual_cndmask_b32 v46, v50, v48, vcc_lo :: v_dual_sub_nc_u32 v50, 0, v47
	v_cndmask_b32_e64 v26, v51, v26, s7
	s_delay_alu instid0(VALU_DEP_2) | instskip(NEXT) | instid1(VALU_DEP_2)
	v_alignbit_b32 v48, v24, v46, 30
	v_alignbit_b32 v49, v45, v26, v49
	s_delay_alu instid0(VALU_DEP_1) | instskip(NEXT) | instid1(VALU_DEP_1)
	v_dual_cndmask_b32 v45, v49, v45, vcc_lo :: v_dual_bitop2_b32 v48, v48, v50 bitop3:0x14
	v_clz_i32_u32_e32 v49, v48
	s_delay_alu instid0(VALU_DEP_2) | instskip(NEXT) | instid1(VALU_DEP_2)
	v_alignbit_b32 v46, v46, v45, 30
	v_min_u32_e32 v49, 32, v49
	v_alignbit_b32 v26, v45, v26, 30
	s_delay_alu instid0(VALU_DEP_2) | instskip(NEXT) | instid1(VALU_DEP_2)
	v_dual_sub_nc_u32 v46, 31, v49 :: v_dual_bitop2_b32 v45, v46, v50 bitop3:0x14
	v_dual_lshrrev_b32 v50, 29, v24 :: v_dual_bitop2_b32 v26, v26, v50 bitop3:0x14
	v_lshlrev_b32_e32 v51, 23, v49
	s_delay_alu instid0(VALU_DEP_3) | instskip(NEXT) | instid1(VALU_DEP_3)
	v_alignbit_b32 v48, v48, v45, v46
	v_alignbit_b32 v26, v45, v26, v46
	s_delay_alu instid0(VALU_DEP_4) | instskip(NEXT) | instid1(VALU_DEP_2)
	v_lshlrev_b32_e32 v45, 31, v50
	v_alignbit_b32 v46, v48, v26, 9
	s_delay_alu instid0(VALU_DEP_2) | instskip(SKIP_1) | instid1(VALU_DEP_3)
	v_dual_lshrrev_b32 v48, 9, v48 :: v_dual_bitop2_b32 v50, 0.5, v45 bitop3:0x54
	v_or_b32_e32 v45, 0x33000000, v45
	v_clz_i32_u32_e32 v52, v46
	s_delay_alu instid0(VALU_DEP_3) | instskip(NEXT) | instid1(VALU_DEP_2)
	v_sub_nc_u32_e32 v50, v50, v51
	v_min_u32_e32 v51, 32, v52
	s_delay_alu instid0(VALU_DEP_1) | instskip(NEXT) | instid1(VALU_DEP_1)
	v_add_lshl_u32 v49, v51, v49, 23
	v_dual_sub_nc_u32 v45, v45, v49 :: v_dual_bitop2_b32 v48, v48, v50 bitop3:0x54
	v_not_b32_e32 v50, v51
	s_delay_alu instid0(VALU_DEP_2) | instskip(NEXT) | instid1(VALU_DEP_2)
	v_mul_f32_e32 v52, 0x3fc90fda, v48
	v_alignbit_b32 v26, v46, v26, v50
	s_delay_alu instid0(VALU_DEP_2) | instskip(NEXT) | instid1(VALU_DEP_2)
	v_fma_f32 v46, 0x3fc90fda, v48, -v52
	v_lshrrev_b32_e32 v26, 9, v26
	s_delay_alu instid0(VALU_DEP_2) | instskip(NEXT) | instid1(VALU_DEP_2)
	v_fmac_f32_e32 v46, 0x33a22168, v48
	v_or_b32_e32 v26, v45, v26
	s_delay_alu instid0(VALU_DEP_1) | instskip(NEXT) | instid1(VALU_DEP_1)
	v_fmac_f32_e32 v46, 0x3fc90fda, v26
	v_dual_lshrrev_b32 v26, 30, v24 :: v_dual_add_f32 v24, v52, v46
	s_delay_alu instid0(VALU_DEP_1)
	v_add_nc_u32_e32 v26, v47, v26
.LBB100_79:                             ;   in Loop: Header=BB100_4 Depth=1
	s_or_saveexec_b32 s6, s36
	v_mul_f32_e64 v45, 0x3f22f983, |v44|
	s_delay_alu instid0(VALU_DEP_1)
	v_rndne_f32_e32 v47, v45
	s_xor_b32 exec_lo, exec_lo, s6
; %bb.80:                               ;   in Loop: Header=BB100_4 Depth=1
	s_delay_alu instid0(VALU_DEP_1) | instskip(SKIP_1) | instid1(VALU_DEP_2)
	v_fma_f32 v24, 0xbfc90fda, v47, |v44|
	v_cvt_i32_f32_e32 v26, v47
	v_fmac_f32_e32 v24, 0xb3a22168, v47
	s_delay_alu instid0(VALU_DEP_1)
	v_fmac_f32_e32 v24, 0xa7c234c4, v47
; %bb.81:                               ;   in Loop: Header=BB100_4 Depth=1
	s_or_b32 exec_lo, exec_lo, s6
                                        ; implicit-def: $vgpr46
                                        ; implicit-def: $vgpr45
	s_and_saveexec_b32 s6, s35
	s_delay_alu instid0(SALU_CYCLE_1)
	s_xor_b32 s35, exec_lo, s6
	s_cbranch_execz .LBB100_83
; %bb.82:                               ;   in Loop: Header=BB100_4 Depth=1
	v_mul_u64_e32 v[46:47], s[18:19], v[4:5]
	v_mov_b32_e32 v49, v5
	v_cmp_lt_u32_e32 vcc_lo, 63, v42
	v_cndmask_b32_e64 v45, 0, 0xffffffc0, vcc_lo
	s_delay_alu instid0(VALU_DEP_4) | instskip(NEXT) | instid1(VALU_DEP_1)
	v_mov_b32_e32 v48, v47
	v_mad_nc_u64_u32 v[48:49], 0x3c439041, v4, v[48:49]
	s_delay_alu instid0(VALU_DEP_1) | instskip(NEXT) | instid1(VALU_DEP_1)
	v_dual_mov_b32 v51, v5 :: v_dual_mov_b32 v50, v49
	v_mad_nc_u64_u32 v[50:51], 0xdb629599, v4, v[50:51]
	s_delay_alu instid0(VALU_DEP_1) | instskip(NEXT) | instid1(VALU_DEP_1)
	v_dual_mov_b32 v53, v5 :: v_dual_mov_b32 v52, v51
	;; [unrolled: 3-line block ×4, first 2 shown]
	v_mad_nc_u64_u32 v[56:57], 0x4e441529, v4, v[56:57]
	v_add_nc_u32_e32 v42, v45, v42
	v_mov_b32_e32 v59, v5
	s_delay_alu instid0(VALU_DEP_2) | instskip(NEXT) | instid1(VALU_DEP_1)
	v_cmp_lt_u32_e64 s6, 31, v42
	v_cndmask_b32_e64 v45, 0, 0xffffffe0, s6
	v_mov_b32_e32 v58, v57
	s_delay_alu instid0(VALU_DEP_1) | instskip(NEXT) | instid1(VALU_DEP_3)
	v_mad_nc_u64_u32 v[58:59], 0xa2f9836e, v4, v[58:59]
	v_dual_cndmask_b32 v45, v56, v52 :: v_dual_add_nc_u32 v4, v45, v42
	s_delay_alu instid0(VALU_DEP_2) | instskip(NEXT) | instid1(VALU_DEP_2)
	v_cndmask_b32_e32 v49, v59, v56, vcc_lo
	v_cmp_lt_u32_e64 s7, 31, v4
	s_delay_alu instid0(VALU_DEP_4) | instskip(SKIP_1) | instid1(VALU_DEP_3)
	v_cndmask_b32_e32 v47, v58, v54, vcc_lo
	v_cndmask_b32_e32 v51, v54, v50, vcc_lo
	v_cndmask_b32_e64 v42, 0, 0xffffffe0, s7
	s_delay_alu instid0(VALU_DEP_1) | instskip(NEXT) | instid1(VALU_DEP_4)
	v_add_nc_u32_e32 v4, v42, v4
	v_dual_cndmask_b32 v42, v52, v48, vcc_lo :: v_dual_cndmask_b32 v48, v47, v45, s6
	v_cndmask_b32_e64 v47, v49, v47, s6
	s_delay_alu instid0(VALU_DEP_3) | instskip(NEXT) | instid1(VALU_DEP_3)
	v_dual_cndmask_b32 v45, v45, v51, s6 :: v_dual_sub_nc_u32 v49, 32, v4
	v_cndmask_b32_e64 v51, v51, v42, s6
	s_delay_alu instid0(VALU_DEP_2) | instskip(NEXT) | instid1(VALU_DEP_2)
	v_dual_cndmask_b32 v47, v47, v48, s7 :: v_dual_cndmask_b32 v48, v48, v45, s7
	v_cndmask_b32_e64 v45, v45, v51, s7
	s_delay_alu instid0(VALU_DEP_2) | instskip(SKIP_2) | instid1(VALU_DEP_4)
	v_alignbit_b32 v52, v47, v48, v49
	v_cndmask_b32_e32 v46, v50, v46, vcc_lo
	v_cmp_eq_u32_e32 vcc_lo, 0, v4
	v_alignbit_b32 v50, v48, v45, v49
	s_delay_alu instid0(VALU_DEP_4) | instskip(NEXT) | instid1(VALU_DEP_1)
	v_cndmask_b32_e32 v4, v52, v47, vcc_lo
	v_bfe_u32 v47, v4, 29, 1
	v_cndmask_b32_e64 v42, v42, v46, s6
	s_delay_alu instid0(VALU_DEP_2) | instskip(NEXT) | instid1(VALU_DEP_2)
	v_dual_cndmask_b32 v46, v50, v48, vcc_lo :: v_dual_sub_nc_u32 v50, 0, v47
	v_cndmask_b32_e64 v42, v51, v42, s7
	s_delay_alu instid0(VALU_DEP_2) | instskip(NEXT) | instid1(VALU_DEP_2)
	v_alignbit_b32 v48, v4, v46, 30
	v_alignbit_b32 v49, v45, v42, v49
	s_delay_alu instid0(VALU_DEP_1) | instskip(NEXT) | instid1(VALU_DEP_1)
	v_dual_cndmask_b32 v45, v49, v45, vcc_lo :: v_dual_bitop2_b32 v48, v48, v50 bitop3:0x14
	v_clz_i32_u32_e32 v49, v48
	s_delay_alu instid0(VALU_DEP_2) | instskip(NEXT) | instid1(VALU_DEP_2)
	v_alignbit_b32 v46, v46, v45, 30
	v_min_u32_e32 v49, 32, v49
	v_alignbit_b32 v42, v45, v42, 30
	s_delay_alu instid0(VALU_DEP_2) | instskip(NEXT) | instid1(VALU_DEP_2)
	v_dual_sub_nc_u32 v46, 31, v49 :: v_dual_bitop2_b32 v45, v46, v50 bitop3:0x14
	v_dual_lshrrev_b32 v50, 29, v4 :: v_dual_bitop2_b32 v42, v42, v50 bitop3:0x14
	v_dual_lshlrev_b32 v51, 23, v49 :: v_dual_lshrrev_b32 v4, 30, v4
	s_delay_alu instid0(VALU_DEP_3) | instskip(NEXT) | instid1(VALU_DEP_3)
	v_alignbit_b32 v48, v48, v45, v46
	v_alignbit_b32 v42, v45, v42, v46
	s_delay_alu instid0(VALU_DEP_4) | instskip(NEXT) | instid1(VALU_DEP_2)
	v_lshlrev_b32_e32 v45, 31, v50
	v_alignbit_b32 v46, v48, v42, 9
	s_delay_alu instid0(VALU_DEP_2) | instskip(SKIP_1) | instid1(VALU_DEP_3)
	v_dual_lshrrev_b32 v48, 9, v48 :: v_dual_bitop2_b32 v50, 0.5, v45 bitop3:0x54
	v_or_b32_e32 v45, 0x33000000, v45
	v_clz_i32_u32_e32 v52, v46
	s_delay_alu instid0(VALU_DEP_3) | instskip(NEXT) | instid1(VALU_DEP_2)
	v_sub_nc_u32_e32 v50, v50, v51
	v_min_u32_e32 v51, 32, v52
	s_delay_alu instid0(VALU_DEP_1) | instskip(NEXT) | instid1(VALU_DEP_1)
	v_add_lshl_u32 v49, v51, v49, 23
	v_dual_sub_nc_u32 v45, v45, v49 :: v_dual_bitop2_b32 v48, v48, v50 bitop3:0x54
	v_not_b32_e32 v50, v51
	s_delay_alu instid0(VALU_DEP_2) | instskip(NEXT) | instid1(VALU_DEP_2)
	v_mul_f32_e32 v52, 0x3fc90fda, v48
	v_alignbit_b32 v42, v46, v42, v50
	s_delay_alu instid0(VALU_DEP_2) | instskip(NEXT) | instid1(VALU_DEP_2)
	v_fma_f32 v46, 0x3fc90fda, v48, -v52
	v_lshrrev_b32_e32 v42, 9, v42
	s_delay_alu instid0(VALU_DEP_2) | instskip(NEXT) | instid1(VALU_DEP_2)
	v_fmac_f32_e32 v46, 0x33a22168, v48
	v_or_b32_e32 v42, v45, v42
	s_delay_alu instid0(VALU_DEP_1) | instskip(NEXT) | instid1(VALU_DEP_1)
	v_fmac_f32_e32 v46, 0x3fc90fda, v42
	v_dual_add_f32 v45, v52, v46 :: v_dual_add_nc_u32 v46, v47, v4
                                        ; implicit-def: $vgpr47
	s_and_not1_saveexec_b32 s6, s35
	s_cbranch_execnz .LBB100_84
	s_branch .LBB100_85
.LBB100_83:                             ;   in Loop: Header=BB100_4 Depth=1
	s_and_not1_saveexec_b32 s6, s35
.LBB100_84:                             ;   in Loop: Header=BB100_4 Depth=1
	v_fma_f32 v45, 0xbfc90fda, v47, |v44|
	v_cvt_i32_f32_e32 v46, v47
	s_delay_alu instid0(VALU_DEP_2) | instskip(NEXT) | instid1(VALU_DEP_1)
	v_fmac_f32_e32 v45, 0xb3a22168, v47
	v_fmac_f32_e32 v45, 0xa7c234c4, v47
.LBB100_85:                             ;   in Loop: Header=BB100_4 Depth=1
	s_or_b32 exec_lo, exec_lo, s6
	s_delay_alu instid0(VALU_DEP_1) | instskip(SKIP_1) | instid1(VALU_DEP_2)
	v_dual_mul_f32 v4, v24, v24 :: v_dual_mul_f32 v42, v45, v45
	v_dual_lshlrev_b32 v26, 30, v26 :: v_dual_bitop2_b32 v47, 1, v26 bitop3:0x40
	v_fmaak_f32 v50, s29, v42, 0x3c0881c4
	s_delay_alu instid0(VALU_DEP_2) | instskip(NEXT) | instid1(VALU_DEP_3)
	v_cmp_eq_u32_e32 vcc_lo, 0, v47
	v_bitop3_b32 v22, v22, v26, 0x80000000 bitop3:0x78
	s_delay_alu instid0(VALU_DEP_3) | instskip(NEXT) | instid1(VALU_DEP_1)
	v_fmaak_f32 v50, v42, v50, 0xbe2aaa9d
	v_dual_fmaak_f32 v49, s30, v4, 0xbab64f3b :: v_dual_mul_f32 v50, v42, v50
	v_fmaak_f32 v48, s29, v4, 0x3c0881c4
	s_delay_alu instid0(VALU_DEP_2) | instskip(NEXT) | instid1(VALU_DEP_2)
	v_fmaak_f32 v49, v4, v49, 0x3d2aabf7
	v_dual_fmac_f32 v45, v45, v50 :: v_dual_fmaak_f32 v48, v4, v48, 0xbe2aaa9d
	s_delay_alu instid0(VALU_DEP_1) | instskip(NEXT) | instid1(VALU_DEP_1)
	v_dual_fmaak_f32 v51, s30, v42, 0xbab64f3b :: v_dual_mul_f32 v48, v4, v48
	v_dual_fmaak_f32 v51, v42, v51, 0x3d2aabf7 :: v_dual_fmac_f32 v24, v24, v48
	v_dual_lshlrev_b32 v46, 30, v46 :: v_dual_bitop2_b32 v52, 1, v46 bitop3:0x40
	v_fmaak_f32 v49, v4, v49, 0xbf000004
	s_delay_alu instid0(VALU_DEP_3) | instskip(NEXT) | instid1(VALU_DEP_2)
	v_fmaak_f32 v51, v42, v51, 0xbf000004
	v_fma_f32 v4, v4, v49, 1.0
	s_delay_alu instid0(VALU_DEP_2) | instskip(NEXT) | instid1(VALU_DEP_2)
	v_fma_f32 v42, v42, v51, 1.0
	v_cndmask_b32_e32 v4, v4, v24, vcc_lo
	v_cmp_eq_u32_e32 vcc_lo, 0, v52
	s_delay_alu instid0(VALU_DEP_2) | instskip(NEXT) | instid1(VALU_DEP_4)
	v_xor3_b32 v4, v22, v4, v44
	v_cndmask_b32_e64 v24, -v45, v42, vcc_lo
	v_cmp_class_f32_e64 vcc_lo, v44, 0x1f8
	s_delay_alu instid0(VALU_DEP_2) | instskip(NEXT) | instid1(VALU_DEP_1)
	v_bitop3_b32 v22, v46, v24, 0x80000000 bitop3:0x6c
	v_mul_f32_e32 v4, v4, v22
	s_delay_alu instid0(VALU_DEP_1)
	v_cndmask_b32_e32 v44, 0x7fc00000, v4, vcc_lo
.LBB100_86:                             ;   in Loop: Header=BB100_4 Depth=1
	s_or_b32 exec_lo, exec_lo, s34
	v_add_nc_u32_e32 v43, -2.0, v43
	s_delay_alu instid0(VALU_DEP_2)
	v_bfi_b32 v42, 0x7fffffff, 0, v44
.LBB100_87:                             ;   in Loop: Header=BB100_4 Depth=1
	s_or_b32 exec_lo, exec_lo, s33
.LBB100_88:                             ;   in Loop: Header=BB100_4 Depth=1
	s_delay_alu instid0(SALU_CYCLE_1) | instskip(SKIP_2) | instid1(VALU_DEP_1)
	s_or_b32 exec_lo, exec_lo, s31
	v_and_b32_e32 v24, 0x7fffffff, v41
                                        ; implicit-def: $vgpr44
                                        ; implicit-def: $vgpr45
	s_mov_b32 s6, exec_lo
	v_cmpx_gt_u32_e32 0x7f800000, v24
	s_xor_b32 s31, exec_lo, s6
	s_cbranch_execz .LBB100_110
; %bb.89:                               ;   in Loop: Header=BB100_4 Depth=1
	v_cmp_class_f32_e64 s6, v40, 0x1f8
                                        ; implicit-def: $vgpr44
                                        ; implicit-def: $vgpr45
	s_and_saveexec_b32 s7, s6
	s_delay_alu instid0(SALU_CYCLE_1)
	s_xor_b32 s33, exec_lo, s7
	s_cbranch_execz .LBB100_107
; %bb.90:                               ;   in Loop: Header=BB100_4 Depth=1
	v_and_b32_e32 v46, 0x7fffffff, v40
                                        ; implicit-def: $vgpr44
                                        ; implicit-def: $vgpr45
	s_mov_b32 s6, exec_lo
	v_cmpx_gt_u32_e32 0x41300000, v24
	s_xor_b32 s34, exec_lo, s6
	s_cbranch_execz .LBB100_96
; %bb.91:                               ;   in Loop: Header=BB100_4 Depth=1
                                        ; implicit-def: $vgpr4
                                        ; implicit-def: $vgpr44
	s_mov_b32 s7, exec_lo
	v_cmpx_ngt_f32_e64 0x48000000, |v40|
	s_xor_b32 s35, exec_lo, s7
	s_cbranch_execz .LBB100_93
; %bb.92:                               ;   in Loop: Header=BB100_4 Depth=1
	v_and_or_b32 v4, v46, s24, 0x800000
	v_dual_mov_b32 v57, v5 :: v_dual_lshrrev_b32 v22, 23, v46
	v_mov_b32_e32 v59, v5
	s_delay_alu instid0(VALU_DEP_3) | instskip(NEXT) | instid1(VALU_DEP_3)
	v_mul_u64_e32 v[44:45], s[18:19], v[4:5]
	v_dual_mov_b32 v49, v5 :: v_dual_add_nc_u32 v22, 0xffffff88, v22
	s_delay_alu instid0(VALU_DEP_1) | instskip(SKIP_1) | instid1(VALU_DEP_1)
	v_cmp_lt_u32_e32 vcc_lo, 63, v22
	v_cndmask_b32_e64 v26, 0, 0xffffffc0, vcc_lo
	v_add_nc_u32_e32 v22, v26, v22
	s_delay_alu instid0(VALU_DEP_1) | instskip(NEXT) | instid1(VALU_DEP_1)
	v_cmp_lt_u32_e64 s6, 31, v22
	v_cndmask_b32_e64 v26, 0, 0xffffffe0, s6
	v_mov_b32_e32 v48, v45
	s_delay_alu instid0(VALU_DEP_1) | instskip(NEXT) | instid1(VALU_DEP_1)
	v_mad_nc_u64_u32 v[48:49], 0x3c439041, v4, v[48:49]
	v_dual_mov_b32 v51, v5 :: v_dual_mov_b32 v50, v49
	s_delay_alu instid0(VALU_DEP_1) | instskip(NEXT) | instid1(VALU_DEP_1)
	v_mad_nc_u64_u32 v[50:51], 0xdb629599, v4, v[50:51]
	v_dual_mov_b32 v53, v5 :: v_dual_mov_b32 v52, v51
	s_delay_alu instid0(VALU_DEP_2) | instskip(NEXT) | instid1(VALU_DEP_2)
	v_cndmask_b32_e32 v44, v50, v44, vcc_lo
	v_mad_nc_u64_u32 v[52:53], 0xf534ddc0, v4, v[52:53]
	s_delay_alu instid0(VALU_DEP_1) | instskip(NEXT) | instid1(VALU_DEP_1)
	v_dual_mov_b32 v55, v5 :: v_dual_mov_b32 v54, v53
	v_mad_nc_u64_u32 v[54:55], 0xfc2757d1, v4, v[54:55]
	s_delay_alu instid0(VALU_DEP_1) | instskip(NEXT) | instid1(VALU_DEP_1)
	v_dual_mov_b32 v56, v55 :: v_dual_cndmask_b32 v49, v54, v50
	v_mad_nc_u64_u32 v[56:57], 0x4e441529, v4, v[56:57]
	s_delay_alu instid0(VALU_DEP_1) | instskip(NEXT) | instid1(VALU_DEP_1)
	v_mov_b32_e32 v58, v57
	v_mad_nc_u64_u32 v[58:59], 0xa2f9836e, v4, v[58:59]
	s_delay_alu instid0(VALU_DEP_3) | instskip(NEXT) | instid1(VALU_DEP_1)
	v_dual_add_nc_u32 v4, v26, v22 :: v_dual_cndmask_b32 v26, v56, v52, vcc_lo
	v_cmp_lt_u32_e64 s7, 31, v4
	s_delay_alu instid0(VALU_DEP_1) | instskip(NEXT) | instid1(VALU_DEP_4)
	v_cndmask_b32_e64 v22, 0, 0xffffffe0, s7
	v_dual_cndmask_b32 v45, v58, v54, vcc_lo :: v_dual_cndmask_b32 v47, v59, v56, vcc_lo
	s_delay_alu instid0(VALU_DEP_2) | instskip(NEXT) | instid1(VALU_DEP_2)
	v_add_nc_u32_e32 v4, v22, v4
	v_dual_cndmask_b32 v22, v52, v48, vcc_lo :: v_dual_cndmask_b32 v48, v45, v26, s6
	s_delay_alu instid0(VALU_DEP_3) | instskip(NEXT) | instid1(VALU_DEP_3)
	v_cndmask_b32_e64 v45, v47, v45, s6
	v_dual_cndmask_b32 v26, v26, v49, s6 :: v_dual_sub_nc_u32 v47, 32, v4
	s_delay_alu instid0(VALU_DEP_3) | instskip(SKIP_1) | instid1(VALU_DEP_3)
	v_cndmask_b32_e64 v49, v49, v22, s6
	v_cmp_eq_u32_e32 vcc_lo, 0, v4
	v_dual_cndmask_b32 v45, v45, v48, s7 :: v_dual_cndmask_b32 v48, v48, v26, s7
	v_cndmask_b32_e64 v22, v22, v44, s6
	s_delay_alu instid0(VALU_DEP_4) | instskip(NEXT) | instid1(VALU_DEP_3)
	v_cndmask_b32_e64 v26, v26, v49, s7
	v_alignbit_b32 v51, v45, v48, v47
	s_delay_alu instid0(VALU_DEP_3) | instskip(NEXT) | instid1(VALU_DEP_3)
	v_cndmask_b32_e64 v22, v49, v22, s7
	v_alignbit_b32 v50, v48, v26, v47
	s_delay_alu instid0(VALU_DEP_3) | instskip(NEXT) | instid1(VALU_DEP_3)
	v_cndmask_b32_e32 v4, v51, v45, vcc_lo
	v_alignbit_b32 v47, v26, v22, v47
	s_delay_alu instid0(VALU_DEP_2) | instskip(NEXT) | instid1(VALU_DEP_2)
	v_bfe_u32 v45, v4, 29, 1
	v_dual_cndmask_b32 v44, v50, v48, vcc_lo :: v_dual_cndmask_b32 v26, v47, v26, vcc_lo
	s_delay_alu instid0(VALU_DEP_2) | instskip(NEXT) | instid1(VALU_DEP_2)
	v_sub_nc_u32_e32 v49, 0, v45
	v_alignbit_b32 v48, v4, v44, 30
	s_delay_alu instid0(VALU_DEP_3) | instskip(SKIP_1) | instid1(VALU_DEP_3)
	v_alignbit_b32 v44, v44, v26, 30
	v_alignbit_b32 v22, v26, v22, 30
	v_xor_b32_e32 v48, v48, v49
	s_delay_alu instid0(VALU_DEP_2) | instskip(NEXT) | instid1(VALU_DEP_2)
	v_xor_b32_e32 v22, v22, v49
	v_clz_i32_u32_e32 v47, v48
	s_delay_alu instid0(VALU_DEP_1) | instskip(SKIP_1) | instid1(VALU_DEP_2)
	v_min_u32_e32 v47, 32, v47
	v_dual_lshrrev_b32 v49, 29, v4 :: v_dual_bitop2_b32 v26, v44, v49 bitop3:0x14
	v_dual_lshrrev_b32 v4, 30, v4 :: v_dual_sub_nc_u32 v44, 31, v47
	s_delay_alu instid0(VALU_DEP_1) | instskip(NEXT) | instid1(VALU_DEP_2)
	v_dual_lshlrev_b32 v50, 23, v47 :: v_dual_add_nc_u32 v4, v45, v4
	v_alignbit_b32 v48, v48, v26, v44
	v_alignbit_b32 v22, v26, v22, v44
	v_lshlrev_b32_e32 v26, 31, v49
	s_delay_alu instid0(VALU_DEP_2) | instskip(NEXT) | instid1(VALU_DEP_2)
	v_alignbit_b32 v44, v48, v22, 9
	v_dual_lshrrev_b32 v48, 9, v48 :: v_dual_bitop2_b32 v49, 0.5, v26 bitop3:0x54
	v_or_b32_e32 v26, 0x33000000, v26
	s_delay_alu instid0(VALU_DEP_3) | instskip(NEXT) | instid1(VALU_DEP_3)
	v_clz_i32_u32_e32 v51, v44
	v_sub_nc_u32_e32 v49, v49, v50
	s_delay_alu instid0(VALU_DEP_2) | instskip(NEXT) | instid1(VALU_DEP_1)
	v_min_u32_e32 v50, 32, v51
	v_add_lshl_u32 v47, v50, v47, 23
	s_delay_alu instid0(VALU_DEP_1) | instskip(SKIP_1) | instid1(VALU_DEP_1)
	v_dual_sub_nc_u32 v26, v26, v47 :: v_dual_bitop2_b32 v48, v48, v49 bitop3:0x54
	v_not_b32_e32 v49, v50
	v_alignbit_b32 v22, v44, v22, v49
	s_delay_alu instid0(VALU_DEP_1) | instskip(NEXT) | instid1(VALU_DEP_1)
	v_lshrrev_b32_e32 v22, 9, v22
	v_or_b32_e32 v22, v26, v22
	v_mul_f32_e32 v51, 0x3fc90fda, v48
	s_delay_alu instid0(VALU_DEP_1) | instskip(NEXT) | instid1(VALU_DEP_1)
	v_fma_f32 v44, 0x3fc90fda, v48, -v51
	v_fmac_f32_e32 v44, 0x33a22168, v48
	s_delay_alu instid0(VALU_DEP_1) | instskip(NEXT) | instid1(VALU_DEP_1)
	v_fmac_f32_e32 v44, 0x3fc90fda, v22
	v_add_f32_e32 v44, v51, v44
.LBB100_93:                             ;   in Loop: Header=BB100_4 Depth=1
	s_and_not1_saveexec_b32 s6, s35
; %bb.94:                               ;   in Loop: Header=BB100_4 Depth=1
	v_mul_f32_e64 v4, 0x3f22f983, |v40|
	s_delay_alu instid0(VALU_DEP_1) | instskip(NEXT) | instid1(VALU_DEP_1)
	v_rndne_f32_e32 v4, v4
	v_fma_f32 v44, 0xbfc90fda, v4, |v40|
	s_delay_alu instid0(VALU_DEP_1) | instskip(NEXT) | instid1(VALU_DEP_1)
	v_fmac_f32_e32 v44, 0xb3a22168, v4
	v_fmac_f32_e32 v44, 0xa7c234c4, v4
	v_cvt_i32_f32_e32 v4, v4
; %bb.95:                               ;   in Loop: Header=BB100_4 Depth=1
	s_or_b32 exec_lo, exec_lo, s6
	v_add_f32_e64 v22, 0xbf317218, |v41|
	v_cmp_nlt_f32_e64 vcc_lo, 0x42b2d4fc, |v41|
	v_cmp_gt_f32_e64 s6, 0x39800000, |v41|
	s_delay_alu instid0(VALU_DEP_3) | instskip(NEXT) | instid1(VALU_DEP_1)
	v_sub_f32_e64 v49, v22, |v41|
	v_sub_f32_e32 v48, v49, v22
	s_delay_alu instid0(VALU_DEP_1) | instskip(NEXT) | instid1(VALU_DEP_1)
	v_pk_add_f32 v[48:49], v[24:25], v[48:49]
	v_sub_f32_e32 v24, v48, v49
	s_delay_alu instid0(VALU_DEP_1) | instskip(NEXT) | instid1(VALU_DEP_1)
	v_add_f32_e32 v24, 0x3102e308, v24
	v_add_f32_e32 v26, v22, v24
	s_delay_alu instid0(VALU_DEP_1) | instskip(NEXT) | instid1(VALU_DEP_1)
	v_dual_mul_f32 v45, 0x3fb8aa3b, v26 :: v_dual_sub_f32 v22, v22, v26
	v_rndne_f32_e32 v45, v45
	s_delay_alu instid0(VALU_DEP_1) | instskip(NEXT) | instid1(VALU_DEP_3)
	v_fmac_f32_e32 v26, 0xbf317200, v45
	v_add_f32_e32 v22, v24, v22
	v_mul_f32_e32 v24, 0x35bfbc00, v45
	v_mul_f32_e32 v51, 0x2ea39ef3, v45
	s_delay_alu instid0(VALU_DEP_3) | instskip(NEXT) | instid1(VALU_DEP_1)
	v_add_f32_e32 v47, v22, v26
	v_dual_sub_f32 v48, v47, v24 :: v_dual_sub_f32 v26, v26, v47
	s_delay_alu instid0(VALU_DEP_1) | instskip(NEXT) | instid1(VALU_DEP_1)
	v_dual_sub_f32 v47, v47, v48 :: v_dual_add_f32 v22, v22, v26
	v_sub_f32_e32 v24, v47, v24
	s_delay_alu instid0(VALU_DEP_1) | instskip(NEXT) | instid1(VALU_DEP_1)
	v_add_f32_e32 v22, v22, v24
	v_add_f32_e32 v49, v48, v22
	s_delay_alu instid0(VALU_DEP_1) | instskip(NEXT) | instid1(VALU_DEP_1)
	v_mov_b32_e32 v50, v49
	v_pk_add_f32 v[52:53], v[48:49], v[50:51] neg_lo:[0,1] neg_hi:[0,1]
	s_delay_alu instid0(VALU_DEP_1) | instskip(NEXT) | instid1(VALU_DEP_1)
	v_dual_sub_f32 v24, v49, v53 :: v_dual_add_f32 v22, v22, v52
	v_sub_f32_e32 v24, v24, v51
	s_delay_alu instid0(VALU_DEP_1) | instskip(NEXT) | instid1(VALU_DEP_1)
	v_add_f32_e32 v22, v22, v24
	v_add_f32_e32 v24, v53, v22
	s_delay_alu instid0(VALU_DEP_1) | instskip(SKIP_1) | instid1(VALU_DEP_2)
	v_sub_f32_e32 v26, v53, v24
	v_mov_b64_e32 v[52:53], s[24:25]
	v_add_f32_e32 v22, v22, v26
	s_delay_alu instid0(VALU_DEP_1) | instskip(SKIP_1) | instid1(VALU_DEP_2)
	v_dual_add_f32 v49, v22, v22 :: v_dual_mul_f32 v47, v24, v24
	v_fmaak_f32 v26, s28, v24, 0x3c091de6
	v_fma_f32 v48, v24, v24, -v47
	s_delay_alu instid0(VALU_DEP_1) | instskip(NEXT) | instid1(VALU_DEP_1)
	v_fmac_f32_e32 v48, v24, v49
	v_dual_fmaak_f32 v26, v24, v26, 0x3d2aadcc :: v_dual_add_f32 v49, v47, v48
	s_delay_alu instid0(VALU_DEP_1) | instskip(NEXT) | instid1(VALU_DEP_1)
	v_dual_fmaak_f32 v26, v24, v26, 0x3e2aaa47 :: v_dual_sub_f32 v47, v49, v47
	v_fmaak_f32 v26, v24, v26, 0x3efffffc
	s_delay_alu instid0(VALU_DEP_1) | instskip(NEXT) | instid1(VALU_DEP_1)
	v_dual_sub_f32 v47, v48, v47 :: v_dual_mul_f32 v50, v26, v49
	v_fma_f32 v48, v49, v26, -v50
	s_delay_alu instid0(VALU_DEP_1) | instskip(NEXT) | instid1(VALU_DEP_1)
	v_fmac_f32_e32 v48, v47, v26
	v_add_f32_e32 v47, v50, v48
	s_delay_alu instid0(VALU_DEP_1) | instskip(NEXT) | instid1(VALU_DEP_1)
	v_add_f32_e32 v26, v24, v47
	v_dual_sub_f32 v24, v26, v24 :: v_dual_sub_f32 v49, v47, v50
	s_delay_alu instid0(VALU_DEP_1) | instskip(NEXT) | instid1(VALU_DEP_1)
	v_dual_sub_f32 v24, v47, v24 :: v_dual_sub_f32 v48, v48, v49
	v_add_f32_e32 v22, v22, v48
	s_delay_alu instid0(VALU_DEP_1) | instskip(SKIP_1) | instid1(VALU_DEP_2)
	v_add_f32_e32 v48, v22, v24
	v_cvt_i32_f32_e32 v24, v45
	v_add_f32_e32 v50, v26, v48
	s_delay_alu instid0(VALU_DEP_1) | instskip(NEXT) | instid1(VALU_DEP_1)
	v_dual_add_f32 v51, 1.0, v50 :: v_dual_mov_b32 v49, v50
	v_pk_add_f32 v[52:53], v[50:51], v[52:53]
	v_pk_add_f32 v[54:55], v[50:51], v[26:27] neg_lo:[0,1] neg_hi:[0,1]
	s_delay_alu instid0(VALU_DEP_2) | instskip(NEXT) | instid1(VALU_DEP_1)
	v_mov_b32_e32 v55, v53
	v_pk_add_f32 v[48:49], v[48:49], v[54:55] neg_lo:[0,1] neg_hi:[0,1]
	s_delay_alu instid0(VALU_DEP_1) | instskip(NEXT) | instid1(VALU_DEP_1)
	v_add_f32_e32 v22, v48, v49
	v_add_f32_e32 v26, v51, v22
	s_delay_alu instid0(VALU_DEP_1) | instskip(NEXT) | instid1(VALU_DEP_1)
	v_ldexp_f32 v45, v26, v24
	v_rcp_f32_e32 v47, v45
	v_nop
	s_delay_alu instid0(TRANS32_DEP_1) | instskip(NEXT) | instid1(VALU_DEP_1)
	v_mul_f32_e32 v48, v45, v47
	v_dual_sub_f32 v26, v26, v51 :: v_dual_fma_f32 v50, v47, v45, -v48
	s_delay_alu instid0(VALU_DEP_1) | instskip(NEXT) | instid1(VALU_DEP_1)
	v_sub_f32_e32 v22, v22, v26
	v_ldexp_f32 v24, v22, v24
	s_delay_alu instid0(VALU_DEP_1) | instskip(NEXT) | instid1(VALU_DEP_1)
	v_fmac_f32_e32 v50, v47, v24
	v_add_f32_e32 v22, v48, v50
	s_delay_alu instid0(VALU_DEP_1) | instskip(NEXT) | instid1(VALU_DEP_1)
	v_dual_sub_f32 v49, 1.0, v22 :: v_dual_mov_b32 v51, v22
	v_pk_add_f32 v[52:53], v[22:23], v[48:49] neg_lo:[0,1] neg_hi:[0,1]
	s_delay_alu instid0(VALU_DEP_1) | instskip(NEXT) | instid1(VALU_DEP_1)
	v_pk_add_f32 v[50:51], v[52:53], v[50:51] neg_lo:[0,1] neg_hi:[0,1]
	v_add_f32_e32 v22, v50, v51
	s_delay_alu instid0(VALU_DEP_1) | instskip(NEXT) | instid1(VALU_DEP_1)
	v_add_f32_e32 v51, v49, v22
	v_mul_f32_e32 v26, v47, v51
	s_delay_alu instid0(VALU_DEP_1) | instskip(NEXT) | instid1(VALU_DEP_1)
	v_mul_f32_e32 v52, v45, v26
	v_fma_f32 v48, v26, v45, -v52
	s_delay_alu instid0(VALU_DEP_1) | instskip(NEXT) | instid1(VALU_DEP_1)
	v_fmac_f32_e32 v48, v26, v24
	v_dual_add_f32 v50, v52, v48 :: v_dual_sub_f32 v54, v49, v51
	s_delay_alu instid0(VALU_DEP_1) | instskip(NEXT) | instid1(VALU_DEP_2)
	v_dual_mov_b32 v49, v50 :: v_dual_sub_f32 v53, v51, v50
	v_add_f32_e32 v22, v22, v54
	s_delay_alu instid0(VALU_DEP_2) | instskip(NEXT) | instid1(VALU_DEP_1)
	v_pk_add_f32 v[50:51], v[50:51], v[52:53] neg_lo:[0,1] neg_hi:[0,1]
	v_pk_add_f32 v[48:49], v[50:51], v[48:49] neg_lo:[0,1] neg_hi:[0,1]
	s_delay_alu instid0(VALU_DEP_1) | instskip(NEXT) | instid1(VALU_DEP_1)
	v_dual_add_f32 v22, v22, v49 :: v_dual_add_f32 v49, v47, v26
	v_dual_add_f32 v22, v48, v22 :: v_dual_sub_f32 v48, v49, v47
	s_delay_alu instid0(VALU_DEP_1) | instskip(NEXT) | instid1(VALU_DEP_1)
	v_dual_sub_f32 v26, v26, v48 :: v_dual_add_f32 v22, v53, v22
	v_mul_f32_e32 v22, v47, v22
	s_delay_alu instid0(VALU_DEP_1) | instskip(NEXT) | instid1(VALU_DEP_1)
	v_add_f32_e32 v22, v26, v22
	v_add_f32_e32 v26, v49, v22
	s_delay_alu instid0(VALU_DEP_1) | instskip(NEXT) | instid1(VALU_DEP_1)
	v_ldexp_f32 v47, v26, -2
	v_dual_sub_f32 v26, v26, v49 :: v_dual_sub_f32 v48, v45, v47
	s_delay_alu instid0(VALU_DEP_1) | instskip(NEXT) | instid1(VALU_DEP_1)
	v_dual_sub_f32 v45, v45, v48 :: v_dual_sub_f32 v22, v22, v26
	v_sub_f32_e32 v26, v45, v47
	s_delay_alu instid0(VALU_DEP_2) | instskip(SKIP_1) | instid1(VALU_DEP_3)
	v_ldexp_f32 v22, v22, -2
	v_xor_b32_e32 v45, 0x80000000, v41
	v_add_f32_e32 v24, v24, v26
	s_delay_alu instid0(VALU_DEP_1) | instskip(SKIP_1) | instid1(VALU_DEP_1)
	v_sub_f32_e32 v22, v24, v22
	v_mul_f32_e32 v24, v44, v44
	v_dual_add_f32 v22, v48, v22 :: v_dual_fmaak_f32 v47, s26, v24, 0x3ec54587
	v_fmaak_f32 v26, s27, v24, 0xbf039337
	s_delay_alu instid0(VALU_DEP_2) | instskip(NEXT) | instid1(VALU_DEP_2)
	v_cndmask_b32_e32 v22, 0x7f800000, v22, vcc_lo
	v_fmaak_f32 v26, v24, v26, 0x3f93f425
	s_delay_alu instid0(VALU_DEP_2) | instskip(NEXT) | instid1(VALU_DEP_2)
	v_cndmask_b32_e64 v22, v22, |v41|, s6
	v_rcp_f32_e32 v26, v26
	s_delay_alu instid0(VALU_DEP_1) | instskip(NEXT) | instid1(TRANS32_DEP_1)
	v_bfi_b32 v41, 0x7fffffff, v22, v45
	v_mul_f32_e32 v22, v47, v26
	s_delay_alu instid0(VALU_DEP_2) | instskip(NEXT) | instid1(VALU_DEP_1)
	v_fma_f32 v26, v41, v41, 1.0
	v_cmp_gt_f32_e32 vcc_lo, 0xf800000, v26
	s_delay_alu instid0(VALU_DEP_3) | instskip(SKIP_2) | instid1(VALU_DEP_2)
	v_mul_f32_e32 v22, v24, v22
	v_mul_f32_e32 v24, 0x4f800000, v26
	v_and_b32_e32 v4, 1, v4
	v_cndmask_b32_e32 v24, v26, v24, vcc_lo
	s_delay_alu instid0(VALU_DEP_4) | instskip(NEXT) | instid1(VALU_DEP_2)
	v_fma_f32 v45, v22, v44, v44
	v_sqrt_f32_e32 v48, v24
	s_delay_alu instid0(VALU_DEP_1) | instskip(SKIP_1) | instid1(VALU_DEP_1)
	v_sub_f32_e32 v47, v45, v44
	v_rcp_f32_e32 v26, v45
	v_fma_f32 v22, v22, v44, -v47
	s_delay_alu instid0(TRANS32_DEP_2) | instskip(NEXT) | instid1(TRANS32_DEP_1)
	v_add_nc_u32_e32 v47, -1, v48
	v_fma_f32 v44, v45, -v26, 1.0
	s_delay_alu instid0(VALU_DEP_2) | instskip(NEXT) | instid1(VALU_DEP_1)
	v_fma_f32 v49, -v47, v48, v24
	v_cmp_ge_f32_e64 s6, 0, v49
	s_delay_alu instid0(VALU_DEP_1) | instskip(SKIP_2) | instid1(VALU_DEP_2)
	v_dual_cndmask_b32 v47, v48, v47, s6 :: v_dual_fma_f32 v22, v22, -v26, v44
	v_add_nc_u32_e32 v44, 1, v48
	v_cmp_eq_u32_e64 s6, 0, v4
	v_dual_fma_f32 v22, v22, -v26, -v26 :: v_dual_fma_f32 v26, -v44, v48, v24
	s_delay_alu instid0(VALU_DEP_1) | instskip(NEXT) | instid1(VALU_DEP_2)
	v_cndmask_b32_e64 v4, v22, v45, s6
	v_cmp_lt_f32_e64 s6, 0, v26
	s_delay_alu instid0(VALU_DEP_2) | instskip(NEXT) | instid1(VALU_DEP_2)
	v_xor3_b32 v4, v46, v4, v40
	v_cndmask_b32_e64 v22, v47, v44, s6
	s_delay_alu instid0(VALU_DEP_2) | instskip(NEXT) | instid1(VALU_DEP_1)
	v_fma_f32 v44, v4, v4, 1.0
	v_dual_mul_f32 v26, 0x37800000, v22 :: v_dual_mul_f32 v45, v41, v44
	s_delay_alu instid0(VALU_DEP_1) | instskip(SKIP_1) | instid1(VALU_DEP_2)
	v_cndmask_b32_e32 v22, v22, v26, vcc_lo
	v_cmp_class_f32_e64 vcc_lo, v24, 0x260
	v_cndmask_b32_e32 v40, v22, v24, vcc_lo
	s_delay_alu instid0(VALU_DEP_1) | instskip(NEXT) | instid1(VALU_DEP_1)
	v_pk_mul_f32 v[44:45], v[40:41], v[44:45]
	v_dual_add_f32 v24, 1.0, v45 :: v_dual_mul_f32 v22, v41, v44
	s_delay_alu instid0(VALU_DEP_1) | instskip(NEXT) | instid1(VALU_DEP_1)
	v_div_scale_f32 v40, null, v24, v24, v4
	v_rcp_f32_e32 v44, v40
	v_nop
	s_delay_alu instid0(TRANS32_DEP_1) | instskip(NEXT) | instid1(VALU_DEP_1)
	v_fma_f32 v46, -v40, v44, 1.0
	v_fmac_f32_e32 v44, v46, v44
	v_div_scale_f32 v26, null, v24, v24, v22
	v_div_scale_f32 v47, vcc_lo, v22, v24, v22
	s_delay_alu instid0(VALU_DEP_2) | instskip(SKIP_1) | instid1(TRANS32_DEP_1)
	v_rcp_f32_e32 v41, v26
	v_nop
	v_fma_f32 v45, -v26, v41, 1.0
	s_delay_alu instid0(VALU_DEP_1) | instskip(SKIP_1) | instid1(VALU_DEP_1)
	v_fmac_f32_e32 v41, v45, v41
	v_div_scale_f32 v45, s6, v4, v24, v4
	v_dual_mul_f32 v46, v47, v41 :: v_dual_mul_f32 v48, v45, v44
	s_delay_alu instid0(VALU_DEP_1) | instskip(NEXT) | instid1(VALU_DEP_1)
	v_dual_fma_f32 v49, -v26, v46, v47 :: v_dual_fma_f32 v50, -v40, v48, v45
	v_dual_fmac_f32 v46, v49, v41 :: v_dual_fmac_f32 v48, v50, v44
	s_delay_alu instid0(VALU_DEP_1) | instskip(NEXT) | instid1(VALU_DEP_1)
	v_dual_fma_f32 v26, -v26, v46, v47 :: v_dual_fma_f32 v40, -v40, v48, v45
	v_div_fmas_f32 v26, v26, v41, v46
	s_mov_b32 vcc_lo, s6
                                        ; implicit-def: $vgpr46
	s_delay_alu instid0(VALU_DEP_2) | instskip(NEXT) | instid1(VALU_DEP_2)
	v_div_fmas_f32 v40, v40, v44, v48
	v_div_fixup_f32 v45, v26, v24, v22
	s_delay_alu instid0(VALU_DEP_2)
	v_div_fixup_f32 v44, v40, v24, v4
                                        ; implicit-def: $vgpr40
.LBB100_96:                             ;   in Loop: Header=BB100_4 Depth=1
	s_and_not1_saveexec_b32 s34, s34
	s_cbranch_execz .LBB100_106
; %bb.97:                               ;   in Loop: Header=BB100_4 Depth=1
	v_lshrrev_b32_e32 v22, 23, v46
	v_cmp_ngt_f32_e64 s35, 0x48000000, |v40|
	v_and_or_b32 v4, v46, s24, 0x800000
                                        ; implicit-def: $vgpr26
	s_delay_alu instid0(VALU_DEP_3) | instskip(SKIP_1) | instid1(SALU_CYCLE_1)
	v_add_nc_u32_e32 v24, 0xffffff88, v22
                                        ; implicit-def: $vgpr22
	s_and_saveexec_b32 s6, s35
	s_xor_b32 s36, exec_lo, s6
	s_cbranch_execz .LBB100_99
; %bb.98:                               ;   in Loop: Header=BB100_4 Depth=1
	v_mul_u64_e32 v[44:45], s[18:19], v[4:5]
	v_mov_b32_e32 v49, v5
	v_cmp_lt_u32_e32 vcc_lo, 63, v24
	v_mov_b32_e32 v59, v5
	v_cndmask_b32_e64 v22, 0, 0xffffffc0, vcc_lo
	s_delay_alu instid0(VALU_DEP_1) | instskip(NEXT) | instid1(VALU_DEP_1)
	v_add_nc_u32_e32 v22, v22, v24
	v_cmp_lt_u32_e64 s6, 31, v22
	s_delay_alu instid0(VALU_DEP_1) | instskip(NEXT) | instid1(VALU_DEP_1)
	v_cndmask_b32_e64 v26, 0, 0xffffffe0, s6
	v_dual_add_nc_u32 v22, v26, v22 :: v_dual_mov_b32 v48, v45
	s_delay_alu instid0(VALU_DEP_1) | instskip(NEXT) | instid1(VALU_DEP_2)
	v_cmp_lt_u32_e64 s7, 31, v22
	v_mad_nc_u64_u32 v[48:49], 0x3c439041, v4, v[48:49]
	v_mov_b32_e32 v51, v5
	s_delay_alu instid0(VALU_DEP_3) | instskip(NEXT) | instid1(VALU_DEP_3)
	v_cndmask_b32_e64 v26, 0, 0xffffffe0, s7
	v_mov_b32_e32 v50, v49
	s_delay_alu instid0(VALU_DEP_1) | instskip(NEXT) | instid1(VALU_DEP_1)
	v_mad_nc_u64_u32 v[50:51], 0xdb629599, v4, v[50:51]
	v_dual_mov_b32 v53, v5 :: v_dual_mov_b32 v52, v51
	s_delay_alu instid0(VALU_DEP_1) | instskip(SKIP_1) | instid1(VALU_DEP_2)
	v_mad_nc_u64_u32 v[52:53], 0xf534ddc0, v4, v[52:53]
	v_dual_mov_b32 v55, v5 :: v_dual_add_nc_u32 v22, v26, v22
	v_dual_cndmask_b32 v26, v52, v48, vcc_lo :: v_dual_mov_b32 v54, v53
	s_delay_alu instid0(VALU_DEP_1) | instskip(NEXT) | instid1(VALU_DEP_1)
	v_mad_nc_u64_u32 v[54:55], 0xfc2757d1, v4, v[54:55]
	v_dual_mov_b32 v57, v5 :: v_dual_mov_b32 v56, v55
	s_delay_alu instid0(VALU_DEP_2) | instskip(NEXT) | instid1(VALU_DEP_2)
	v_cndmask_b32_e32 v51, v54, v50, vcc_lo
	v_mad_nc_u64_u32 v[56:57], 0x4e441529, v4, v[56:57]
	s_delay_alu instid0(VALU_DEP_1) | instskip(NEXT) | instid1(VALU_DEP_1)
	v_mov_b32_e32 v58, v57
	v_mad_nc_u64_u32 v[58:59], 0xa2f9836e, v4, v[58:59]
	s_delay_alu instid0(VALU_DEP_1) | instskip(NEXT) | instid1(VALU_DEP_2)
	v_dual_cndmask_b32 v45, v56, v52, vcc_lo :: v_dual_cndmask_b32 v47, v58, v54, vcc_lo
	v_cndmask_b32_e32 v49, v59, v56, vcc_lo
	s_delay_alu instid0(VALU_DEP_1) | instskip(SKIP_2) | instid1(VALU_DEP_2)
	v_dual_cndmask_b32 v48, v47, v45, s6 :: v_dual_cndmask_b32 v47, v49, v47, s6
	v_dual_cndmask_b32 v45, v45, v51, s6 :: v_dual_sub_nc_u32 v49, 32, v22
	v_cndmask_b32_e64 v51, v51, v26, s6
	v_dual_cndmask_b32 v47, v47, v48, s7 :: v_dual_cndmask_b32 v48, v48, v45, s7
	s_delay_alu instid0(VALU_DEP_2) | instskip(NEXT) | instid1(VALU_DEP_2)
	v_cndmask_b32_e64 v45, v45, v51, s7
	v_alignbit_b32 v52, v47, v48, v49
	v_cndmask_b32_e32 v44, v50, v44, vcc_lo
	v_cmp_eq_u32_e32 vcc_lo, 0, v22
	s_delay_alu instid0(VALU_DEP_4) | instskip(NEXT) | instid1(VALU_DEP_4)
	v_alignbit_b32 v50, v48, v45, v49
	v_cndmask_b32_e32 v22, v52, v47, vcc_lo
	s_delay_alu instid0(VALU_DEP_1) | instskip(SKIP_1) | instid1(VALU_DEP_2)
	v_bfe_u32 v47, v22, 29, 1
	v_cndmask_b32_e64 v26, v26, v44, s6
	v_dual_cndmask_b32 v44, v50, v48, vcc_lo :: v_dual_sub_nc_u32 v50, 0, v47
	s_delay_alu instid0(VALU_DEP_2) | instskip(NEXT) | instid1(VALU_DEP_2)
	v_cndmask_b32_e64 v26, v51, v26, s7
	v_alignbit_b32 v48, v22, v44, 30
	s_delay_alu instid0(VALU_DEP_2) | instskip(NEXT) | instid1(VALU_DEP_1)
	v_alignbit_b32 v49, v45, v26, v49
	v_dual_cndmask_b32 v45, v49, v45, vcc_lo :: v_dual_bitop2_b32 v48, v48, v50 bitop3:0x14
	s_delay_alu instid0(VALU_DEP_1) | instskip(NEXT) | instid1(VALU_DEP_2)
	v_clz_i32_u32_e32 v49, v48
	v_alignbit_b32 v44, v44, v45, 30
	s_delay_alu instid0(VALU_DEP_2) | instskip(SKIP_1) | instid1(VALU_DEP_2)
	v_min_u32_e32 v49, 32, v49
	v_alignbit_b32 v26, v45, v26, 30
	v_dual_sub_nc_u32 v45, 31, v49 :: v_dual_bitop2_b32 v44, v44, v50 bitop3:0x14
	s_delay_alu instid0(VALU_DEP_2) | instskip(SKIP_1) | instid1(VALU_DEP_3)
	v_xor_b32_e32 v26, v26, v50
	v_dual_lshrrev_b32 v50, 29, v22 :: v_dual_lshlrev_b32 v51, 23, v49
	v_alignbit_b32 v48, v48, v44, v45
	s_delay_alu instid0(VALU_DEP_3) | instskip(NEXT) | instid1(VALU_DEP_3)
	v_alignbit_b32 v26, v44, v26, v45
	v_lshlrev_b32_e32 v44, 31, v50
	s_delay_alu instid0(VALU_DEP_2) | instskip(NEXT) | instid1(VALU_DEP_2)
	v_alignbit_b32 v45, v48, v26, 9
	v_or_b32_e32 v50, 0.5, v44
	v_lshrrev_b32_e32 v48, 9, v48
	v_or_b32_e32 v44, 0x33000000, v44
	s_delay_alu instid0(VALU_DEP_4) | instskip(NEXT) | instid1(VALU_DEP_4)
	v_clz_i32_u32_e32 v52, v45
	v_sub_nc_u32_e32 v50, v50, v51
	s_delay_alu instid0(VALU_DEP_2) | instskip(NEXT) | instid1(VALU_DEP_2)
	v_min_u32_e32 v51, 32, v52
	v_or_b32_e32 v48, v48, v50
	s_delay_alu instid0(VALU_DEP_2) | instskip(SKIP_1) | instid1(VALU_DEP_2)
	v_not_b32_e32 v50, v51
	v_add_lshl_u32 v49, v51, v49, 23
	v_alignbit_b32 v26, v45, v26, v50
	s_delay_alu instid0(VALU_DEP_1) | instskip(NEXT) | instid1(VALU_DEP_1)
	v_dual_sub_nc_u32 v44, v44, v49 :: v_dual_lshrrev_b32 v26, 9, v26
	v_or_b32_e32 v26, v44, v26
	v_mul_f32_e32 v52, 0x3fc90fda, v48
	s_delay_alu instid0(VALU_DEP_1) | instskip(NEXT) | instid1(VALU_DEP_1)
	v_fma_f32 v45, 0x3fc90fda, v48, -v52
	v_fmac_f32_e32 v45, 0x33a22168, v48
	s_delay_alu instid0(VALU_DEP_1) | instskip(NEXT) | instid1(VALU_DEP_1)
	v_fmac_f32_e32 v45, 0x3fc90fda, v26
	v_dual_lshrrev_b32 v26, 30, v22 :: v_dual_add_f32 v22, v52, v45
	s_delay_alu instid0(VALU_DEP_1)
	v_add_nc_u32_e32 v26, v47, v26
	s_and_not1_saveexec_b32 s6, s36
	s_branch .LBB100_100
.LBB100_99:                             ;   in Loop: Header=BB100_4 Depth=1
	s_and_not1_saveexec_b32 s6, s36
.LBB100_100:                            ;   in Loop: Header=BB100_4 Depth=1
	v_mul_f32_e64 v22, 0x3f22f983, |v40|
	s_delay_alu instid0(VALU_DEP_1) | instskip(NEXT) | instid1(VALU_DEP_1)
	v_rndne_f32_e32 v26, v22
	v_fma_f32 v22, 0xbfc90fda, v26, |v40|
	s_delay_alu instid0(VALU_DEP_1) | instskip(NEXT) | instid1(VALU_DEP_1)
	v_fmac_f32_e32 v22, 0xb3a22168, v26
	v_fmac_f32_e32 v22, 0xa7c234c4, v26
	v_cvt_i32_f32_e32 v26, v26
; %bb.101:                              ;   in Loop: Header=BB100_4 Depth=1
	s_or_b32 exec_lo, exec_lo, s6
                                        ; implicit-def: $vgpr45
                                        ; implicit-def: $vgpr44
	s_and_saveexec_b32 s6, s35
	s_delay_alu instid0(SALU_CYCLE_1)
	s_xor_b32 s35, exec_lo, s6
	s_cbranch_execz .LBB100_103
; %bb.102:                              ;   in Loop: Header=BB100_4 Depth=1
	v_mul_u64_e32 v[44:45], s[18:19], v[4:5]
	v_mov_b32_e32 v49, v5
	v_cmp_lt_u32_e32 vcc_lo, 63, v24
	s_delay_alu instid0(VALU_DEP_3) | instskip(SKIP_1) | instid1(VALU_DEP_2)
	v_mov_b32_e32 v48, v45
	v_cndmask_b32_e64 v45, 0, 0xffffffc0, vcc_lo
	v_mad_nc_u64_u32 v[48:49], 0x3c439041, v4, v[48:49]
	s_delay_alu instid0(VALU_DEP_1) | instskip(NEXT) | instid1(VALU_DEP_1)
	v_dual_mov_b32 v51, v5 :: v_dual_mov_b32 v50, v49
	v_mad_nc_u64_u32 v[50:51], 0xdb629599, v4, v[50:51]
	s_delay_alu instid0(VALU_DEP_1) | instskip(NEXT) | instid1(VALU_DEP_2)
	v_dual_mov_b32 v53, v5 :: v_dual_mov_b32 v52, v51
	v_cndmask_b32_e32 v44, v50, v44, vcc_lo
	s_delay_alu instid0(VALU_DEP_2) | instskip(NEXT) | instid1(VALU_DEP_1)
	v_mad_nc_u64_u32 v[52:53], 0xf534ddc0, v4, v[52:53]
	v_dual_mov_b32 v55, v5 :: v_dual_mov_b32 v54, v53
	s_delay_alu instid0(VALU_DEP_1) | instskip(NEXT) | instid1(VALU_DEP_1)
	v_mad_nc_u64_u32 v[54:55], 0xfc2757d1, v4, v[54:55]
	v_dual_mov_b32 v57, v5 :: v_dual_mov_b32 v56, v55
	s_delay_alu instid0(VALU_DEP_2) | instskip(NEXT) | instid1(VALU_DEP_2)
	v_cndmask_b32_e32 v51, v54, v50, vcc_lo
	v_mad_nc_u64_u32 v[56:57], 0x4e441529, v4, v[56:57]
	s_delay_alu instid0(VALU_DEP_1) | instskip(NEXT) | instid1(VALU_DEP_1)
	v_dual_mov_b32 v59, v5 :: v_dual_mov_b32 v58, v57
	v_mad_nc_u64_u32 v[58:59], 0xa2f9836e, v4, v[58:59]
	s_delay_alu instid0(VALU_DEP_1) | instskip(NEXT) | instid1(VALU_DEP_1)
	v_dual_cndmask_b32 v47, v58, v54 :: v_dual_add_nc_u32 v24, v45, v24
	v_cmp_lt_u32_e64 s6, 31, v24
	s_delay_alu instid0(VALU_DEP_3) | instskip(NEXT) | instid1(VALU_DEP_2)
	v_cndmask_b32_e32 v49, v59, v56, vcc_lo
	v_cndmask_b32_e64 v45, 0, 0xffffffe0, s6
	s_delay_alu instid0(VALU_DEP_1) | instskip(SKIP_1) | instid1(VALU_DEP_2)
	v_add_nc_u32_e32 v4, v45, v24
	v_cndmask_b32_e32 v45, v56, v52, vcc_lo
	v_cmp_lt_u32_e64 s7, 31, v4
	s_delay_alu instid0(VALU_DEP_1) | instskip(NEXT) | instid1(VALU_DEP_1)
	v_cndmask_b32_e64 v24, 0, 0xffffffe0, s7
	v_add_nc_u32_e32 v4, v24, v4
	s_delay_alu instid0(VALU_DEP_4) | instskip(SKIP_1) | instid1(VALU_DEP_3)
	v_dual_cndmask_b32 v24, v52, v48, vcc_lo :: v_dual_cndmask_b32 v48, v47, v45, s6
	v_cndmask_b32_e64 v47, v49, v47, s6
	v_dual_cndmask_b32 v45, v45, v51, s6 :: v_dual_sub_nc_u32 v49, 32, v4
	v_cmp_eq_u32_e32 vcc_lo, 0, v4
	s_delay_alu instid0(VALU_DEP_2) | instskip(NEXT) | instid1(VALU_DEP_1)
	v_dual_cndmask_b32 v47, v47, v48, s7 :: v_dual_cndmask_b32 v48, v48, v45, s7
	v_alignbit_b32 v52, v47, v48, v49
	v_cndmask_b32_e64 v51, v51, v24, s6
	v_cndmask_b32_e64 v24, v24, v44, s6
	s_delay_alu instid0(VALU_DEP_3) | instskip(NEXT) | instid1(VALU_DEP_2)
	v_cndmask_b32_e32 v4, v52, v47, vcc_lo
	v_dual_cndmask_b32 v45, v45, v51, s7 :: v_dual_cndmask_b32 v24, v51, v24, s7
	s_delay_alu instid0(VALU_DEP_2) | instskip(NEXT) | instid1(VALU_DEP_2)
	v_bfe_u32 v47, v4, 29, 1
	v_alignbit_b32 v50, v48, v45, v49
	s_delay_alu instid0(VALU_DEP_3) | instskip(NEXT) | instid1(VALU_DEP_2)
	v_alignbit_b32 v49, v45, v24, v49
	v_dual_cndmask_b32 v44, v50, v48, vcc_lo :: v_dual_sub_nc_u32 v50, 0, v47
	s_delay_alu instid0(VALU_DEP_2) | instskip(NEXT) | instid1(VALU_DEP_2)
	v_cndmask_b32_e32 v45, v49, v45, vcc_lo
	v_alignbit_b32 v48, v4, v44, 30
	s_delay_alu instid0(VALU_DEP_2) | instskip(NEXT) | instid1(VALU_DEP_2)
	v_alignbit_b32 v24, v45, v24, 30
	v_xor_b32_e32 v48, v48, v50
	v_alignbit_b32 v44, v44, v45, 30
	s_delay_alu instid0(VALU_DEP_3) | instskip(NEXT) | instid1(VALU_DEP_3)
	v_xor_b32_e32 v24, v24, v50
	v_clz_i32_u32_e32 v49, v48
	s_delay_alu instid0(VALU_DEP_1) | instskip(NEXT) | instid1(VALU_DEP_4)
	v_min_u32_e32 v49, 32, v49
	v_dual_lshrrev_b32 v50, 29, v4 :: v_dual_bitop2_b32 v44, v44, v50 bitop3:0x14
	s_delay_alu instid0(VALU_DEP_2) | instskip(NEXT) | instid1(VALU_DEP_1)
	v_dual_sub_nc_u32 v45, 31, v49 :: v_dual_lshlrev_b32 v51, 23, v49
	v_alignbit_b32 v48, v48, v44, v45
	v_alignbit_b32 v24, v44, v24, v45
	s_delay_alu instid0(VALU_DEP_4) | instskip(NEXT) | instid1(VALU_DEP_2)
	v_lshlrev_b32_e32 v44, 31, v50
	v_alignbit_b32 v45, v48, v24, 9
	s_delay_alu instid0(VALU_DEP_2) | instskip(SKIP_2) | instid1(VALU_DEP_4)
	v_or_b32_e32 v50, 0.5, v44
	v_lshrrev_b32_e32 v48, 9, v48
	v_or_b32_e32 v44, 0x33000000, v44
	v_clz_i32_u32_e32 v52, v45
	s_delay_alu instid0(VALU_DEP_4) | instskip(NEXT) | instid1(VALU_DEP_2)
	v_sub_nc_u32_e32 v50, v50, v51
	v_min_u32_e32 v51, 32, v52
	s_delay_alu instid0(VALU_DEP_2) | instskip(NEXT) | instid1(VALU_DEP_2)
	v_or_b32_e32 v48, v48, v50
	v_not_b32_e32 v50, v51
	v_add_lshl_u32 v49, v51, v49, 23
	s_delay_alu instid0(VALU_DEP_2) | instskip(NEXT) | instid1(VALU_DEP_1)
	v_alignbit_b32 v24, v45, v24, v50
	v_dual_sub_nc_u32 v44, v44, v49 :: v_dual_lshrrev_b32 v24, 9, v24
	v_mul_f32_e32 v52, 0x3fc90fda, v48
	s_delay_alu instid0(VALU_DEP_2) | instskip(NEXT) | instid1(VALU_DEP_2)
	v_or_b32_e32 v24, v44, v24
	v_fma_f32 v45, 0x3fc90fda, v48, -v52
	s_delay_alu instid0(VALU_DEP_1) | instskip(NEXT) | instid1(VALU_DEP_1)
	v_fmac_f32_e32 v45, 0x33a22168, v48
	v_fmac_f32_e32 v45, 0x3fc90fda, v24
	s_delay_alu instid0(VALU_DEP_1) | instskip(NEXT) | instid1(VALU_DEP_1)
	v_dual_lshrrev_b32 v4, 30, v4 :: v_dual_add_f32 v44, v52, v45
	v_add_nc_u32_e32 v45, v47, v4
	s_and_not1_saveexec_b32 s6, s35
	s_cbranch_execnz .LBB100_104
	s_branch .LBB100_105
.LBB100_103:                            ;   in Loop: Header=BB100_4 Depth=1
	s_and_not1_saveexec_b32 s6, s35
.LBB100_104:                            ;   in Loop: Header=BB100_4 Depth=1
	v_mul_f32_e64 v4, 0x3f22f983, |v40|
	s_delay_alu instid0(VALU_DEP_1) | instskip(NEXT) | instid1(VALU_DEP_1)
	v_rndne_f32_e32 v4, v4
	v_fma_f32 v44, 0xbfc90fda, v4, |v40|
	v_cvt_i32_f32_e32 v45, v4
	s_delay_alu instid0(VALU_DEP_2) | instskip(NEXT) | instid1(VALU_DEP_1)
	v_fmac_f32_e32 v44, 0xb3a22168, v4
	v_fmac_f32_e32 v44, 0xa7c234c4, v4
.LBB100_105:                            ;   in Loop: Header=BB100_4 Depth=1
	s_or_b32 exec_lo, exec_lo, s6
	s_delay_alu instid0(VALU_DEP_1) | instskip(SKIP_2) | instid1(VALU_DEP_3)
	v_dual_mul_f32 v4, v22, v22 :: v_dual_mul_f32 v50, v44, v44
	v_dual_lshlrev_b32 v26, 30, v26 :: v_dual_bitop2_b32 v24, 1, v26 bitop3:0x40
	v_mul_f32_e64 v47, 0xbfb8aa3b, |v41|
	v_fmaak_f32 v49, s30, v4, 0xbab64f3b
	s_delay_alu instid0(VALU_DEP_4) | instskip(NEXT) | instid1(VALU_DEP_4)
	v_fmaak_f32 v52, s29, v50, 0x3c0881c4
	v_cmp_eq_u32_e32 vcc_lo, 0, v24
	v_bitop3_b32 v26, v46, v26, 0x80000000 bitop3:0x78
	v_rndne_f32_e32 v46, v47
	v_fmaak_f32 v48, s29, v4, 0x3c0881c4
	v_fma_f32 v51, 0xbfb8aa3b, |v41|, -v47
	s_delay_alu instid0(VALU_DEP_3) | instskip(SKIP_1) | instid1(VALU_DEP_3)
	v_dual_fmaak_f32 v52, v50, v52, 0xbe2aaa9d :: v_dual_sub_f32 v47, v47, v46
	v_cvt_i32_f32_e32 v46, v46
	v_fma_f32 v51, 0xb2a5705f, |v41|, v51
	s_delay_alu instid0(VALU_DEP_1) | instskip(NEXT) | instid1(VALU_DEP_1)
	v_dual_fmaak_f32 v48, v4, v48, 0xbe2aaa9d :: v_dual_add_f32 v47, v47, v51
	v_dual_fmaak_f32 v49, v4, v49, 0x3d2aabf7 :: v_dual_mul_f32 v48, v4, v48
	v_fmaak_f32 v53, s30, v50, 0xbab64f3b
	s_delay_alu instid0(VALU_DEP_3) | instskip(NEXT) | instid1(VALU_DEP_2)
	v_exp_f32_e32 v24, v47
	v_dual_fmac_f32 v22, v22, v48 :: v_dual_fmaak_f32 v49, v4, v49, 0xbf000004
	s_delay_alu instid0(VALU_DEP_2) | instskip(NEXT) | instid1(TRANS32_DEP_1)
	v_fmaak_f32 v48, v50, v53, 0x3d2aabf7
	v_ldexp_f32 v24, v24, v46
	s_delay_alu instid0(VALU_DEP_3) | instskip(NEXT) | instid1(VALU_DEP_1)
	v_fma_f32 v4, v4, v49, 1.0
	v_dual_mul_f32 v49, v50, v52 :: v_dual_cndmask_b32 v4, v4, v22
	s_delay_alu instid0(VALU_DEP_4) | instskip(NEXT) | instid1(VALU_DEP_2)
	v_fmaak_f32 v22, v50, v48, 0xbf000004
	v_xor3_b32 v4, v26, v4, v40
	s_delay_alu instid0(VALU_DEP_3) | instskip(NEXT) | instid1(VALU_DEP_3)
	v_fmac_f32_e32 v44, v44, v49
	v_fma_f32 v22, v50, v22, 1.0
	s_delay_alu instid0(VALU_DEP_3) | instskip(SKIP_1) | instid1(VALU_DEP_1)
	v_dual_lshlrev_b32 v26, 30, v45 :: v_dual_mul_f32 v4, 4.0, v4
	v_and_b32_e32 v47, 1, v45
	v_cmp_eq_u32_e32 vcc_lo, 0, v47
	s_delay_alu instid0(VALU_DEP_4) | instskip(SKIP_1) | instid1(VALU_DEP_2)
	v_cndmask_b32_e64 v22, -v44, v22, vcc_lo
	v_cmp_nlt_f32_e64 vcc_lo, 0x42ce8ed0, |v41|
	v_bitop3_b32 v22, v26, v22, 0x80000000 bitop3:0x6c
	v_cndmask_b32_e32 v24, 0, v24, vcc_lo
	v_cmp_ngt_f32_e64 vcc_lo, 0xc2b17218, |v41|
	s_delay_alu instid0(VALU_DEP_3) | instskip(SKIP_1) | instid1(VALU_DEP_4)
	v_mul_f32_e32 v4, v4, v22
	v_xor_b32_e32 v22, 0x80000000, v41
	v_cndmask_b32_e32 v24, 0x7f800000, v24, vcc_lo
	s_delay_alu instid0(VALU_DEP_2) | instskip(NEXT) | instid1(VALU_DEP_2)
	v_bfi_b32 v45, 0x7fffffff, 1.0, v22
	v_mul_f32_e32 v4, v24, v4
	s_delay_alu instid0(VALU_DEP_1)
	v_mul_f32_e32 v44, v24, v4
.LBB100_106:                            ;   in Loop: Header=BB100_4 Depth=1
	s_or_b32 exec_lo, exec_lo, s34
                                        ; implicit-def: $vgpr40
.LBB100_107:                            ;   in Loop: Header=BB100_4 Depth=1
	s_and_not1_saveexec_b32 s6, s33
; %bb.108:                              ;   in Loop: Header=BB100_4 Depth=1
	v_sub_f32_e32 v44, v40, v40
	s_delay_alu instid0(VALU_DEP_1)
	v_mov_b32_e32 v45, v44
; %bb.109:                              ;   in Loop: Header=BB100_4 Depth=1
	s_or_b32 exec_lo, exec_lo, s6
                                        ; implicit-def: $vgpr41
.LBB100_110:                            ;   in Loop: Header=BB100_4 Depth=1
	s_and_not1_saveexec_b32 s31, s31
	s_cbranch_execz .LBB100_126
; %bb.111:                              ;   in Loop: Header=BB100_4 Depth=1
	v_xor_b32_e32 v45, 0x80000000, v41
	s_mov_b32 s6, exec_lo
                                        ; implicit-def: $vgpr44
	s_delay_alu instid0(VALU_DEP_1) | instskip(NEXT) | instid1(VALU_DEP_1)
	v_and_b32_e32 v4, 0x7fffff, v45
	v_cmpx_ne_u32_e32 0, v4
	s_xor_b32 s6, exec_lo, s6
; %bb.112:                              ;   in Loop: Header=BB100_4 Depth=1
	v_mul_f32_e64 v4, v40, -v41
	v_cmp_eq_f32_e32 vcc_lo, 0, v40
	s_delay_alu instid0(VALU_DEP_2)
	v_cndmask_b32_e32 v44, v4, v40, vcc_lo
                                        ; implicit-def: $vgpr40
; %bb.113:                              ;   in Loop: Header=BB100_4 Depth=1
	s_and_not1_saveexec_b32 s33, s6
	s_cbranch_execz .LBB100_125
; %bb.114:                              ;   in Loop: Header=BB100_4 Depth=1
	s_mov_b32 s34, exec_lo
	v_cmpx_neq_f32_e64 0x7f800000, |v40|
	s_cbranch_execz .LBB100_124
; %bb.115:                              ;   in Loop: Header=BB100_4 Depth=1
	v_and_b32_e32 v22, 0x7fffffff, v40
	v_cmp_ngt_f32_e64 s35, 0x48000000, |v40|
                                        ; implicit-def: $vgpr26
	s_delay_alu instid0(VALU_DEP_2) | instskip(SKIP_1) | instid1(VALU_DEP_2)
	v_lshrrev_b32_e32 v24, 23, v22
	v_and_or_b32 v4, v22, s24, 0x800000
	v_add_nc_u32_e32 v41, 0xffffff88, v24
                                        ; implicit-def: $vgpr24
	s_and_saveexec_b32 s6, s35
	s_delay_alu instid0(SALU_CYCLE_1)
	s_xor_b32 s36, exec_lo, s6
	s_cbranch_execz .LBB100_117
; %bb.116:                              ;   in Loop: Header=BB100_4 Depth=1
	v_mul_u64_e32 v[46:47], s[18:19], v[4:5]
	v_mov_b32_e32 v49, v5
	v_cmp_lt_u32_e32 vcc_lo, 63, v41
	v_mov_b32_e32 v59, v5
	v_cndmask_b32_e64 v24, 0, 0xffffffc0, vcc_lo
	s_delay_alu instid0(VALU_DEP_1) | instskip(NEXT) | instid1(VALU_DEP_1)
	v_add_nc_u32_e32 v24, v24, v41
	v_cmp_lt_u32_e64 s6, 31, v24
	s_delay_alu instid0(VALU_DEP_1) | instskip(NEXT) | instid1(VALU_DEP_1)
	v_cndmask_b32_e64 v26, 0, 0xffffffe0, s6
	v_dual_add_nc_u32 v24, v26, v24 :: v_dual_mov_b32 v48, v47
	s_delay_alu instid0(VALU_DEP_1) | instskip(NEXT) | instid1(VALU_DEP_2)
	v_cmp_lt_u32_e64 s7, 31, v24
	v_mad_nc_u64_u32 v[48:49], 0x3c439041, v4, v[48:49]
	v_mov_b32_e32 v51, v5
	s_delay_alu instid0(VALU_DEP_3) | instskip(NEXT) | instid1(VALU_DEP_3)
	v_cndmask_b32_e64 v26, 0, 0xffffffe0, s7
	v_mov_b32_e32 v50, v49
	s_delay_alu instid0(VALU_DEP_1) | instskip(NEXT) | instid1(VALU_DEP_1)
	v_mad_nc_u64_u32 v[50:51], 0xdb629599, v4, v[50:51]
	v_dual_mov_b32 v53, v5 :: v_dual_mov_b32 v52, v51
	s_delay_alu instid0(VALU_DEP_2) | instskip(NEXT) | instid1(VALU_DEP_2)
	v_cndmask_b32_e32 v46, v50, v46, vcc_lo
	v_mad_nc_u64_u32 v[52:53], 0xf534ddc0, v4, v[52:53]
	s_delay_alu instid0(VALU_DEP_1) | instskip(NEXT) | instid1(VALU_DEP_1)
	v_dual_mov_b32 v55, v5 :: v_dual_mov_b32 v54, v53
	v_mad_nc_u64_u32 v[54:55], 0xfc2757d1, v4, v[54:55]
	s_delay_alu instid0(VALU_DEP_1) | instskip(NEXT) | instid1(VALU_DEP_2)
	v_dual_mov_b32 v57, v5 :: v_dual_mov_b32 v56, v55
	v_cndmask_b32_e32 v51, v54, v50, vcc_lo
	s_delay_alu instid0(VALU_DEP_2) | instskip(NEXT) | instid1(VALU_DEP_1)
	v_mad_nc_u64_u32 v[56:57], 0x4e441529, v4, v[56:57]
	v_mov_b32_e32 v58, v57
	s_delay_alu instid0(VALU_DEP_1) | instskip(NEXT) | instid1(VALU_DEP_1)
	v_mad_nc_u64_u32 v[58:59], 0xa2f9836e, v4, v[58:59]
	v_dual_cndmask_b32 v44, v56, v52 :: v_dual_cndmask_b32 v47, v58, v54
	s_delay_alu instid0(VALU_DEP_2) | instskip(SKIP_2) | instid1(VALU_DEP_4)
	v_cndmask_b32_e32 v49, v59, v56, vcc_lo
	v_add_nc_u32_e32 v24, v26, v24
	v_cndmask_b32_e32 v26, v52, v48, vcc_lo
	v_dual_cndmask_b32 v48, v47, v44, s6 :: v_dual_cndmask_b32 v44, v44, v51, s6
	s_delay_alu instid0(VALU_DEP_4) | instskip(NEXT) | instid1(VALU_DEP_4)
	v_cndmask_b32_e64 v47, v49, v47, s6
	v_cmp_eq_u32_e32 vcc_lo, 0, v24
	s_delay_alu instid0(VALU_DEP_2) | instskip(SKIP_2) | instid1(VALU_DEP_2)
	v_cndmask_b32_e64 v47, v47, v48, s7
	v_dual_sub_nc_u32 v49, 32, v24 :: v_dual_cndmask_b32 v51, v51, v26, s6
	v_dual_cndmask_b32 v48, v48, v44, s7 :: v_dual_cndmask_b32 v26, v26, v46, s6
	v_cndmask_b32_e64 v44, v44, v51, s7
	s_delay_alu instid0(VALU_DEP_2) | instskip(NEXT) | instid1(VALU_DEP_2)
	v_alignbit_b32 v52, v47, v48, v49
	v_alignbit_b32 v50, v48, v44, v49
	s_delay_alu instid0(VALU_DEP_1) | instskip(NEXT) | instid1(VALU_DEP_1)
	v_dual_cndmask_b32 v24, v52, v47, vcc_lo :: v_dual_cndmask_b32 v46, v50, v48, vcc_lo
	v_bfe_u32 v47, v24, 29, 1
	v_cndmask_b32_e64 v26, v51, v26, s7
	s_delay_alu instid0(VALU_DEP_3) | instskip(NEXT) | instid1(VALU_DEP_3)
	v_alignbit_b32 v48, v24, v46, 30
	v_sub_nc_u32_e32 v50, 0, v47
	s_delay_alu instid0(VALU_DEP_3) | instskip(NEXT) | instid1(VALU_DEP_1)
	v_alignbit_b32 v49, v44, v26, v49
	v_dual_cndmask_b32 v44, v49, v44, vcc_lo :: v_dual_bitop2_b32 v48, v48, v50 bitop3:0x14
	s_delay_alu instid0(VALU_DEP_1) | instskip(NEXT) | instid1(VALU_DEP_2)
	v_clz_i32_u32_e32 v49, v48
	v_alignbit_b32 v46, v46, v44, 30
	v_alignbit_b32 v26, v44, v26, 30
	s_delay_alu instid0(VALU_DEP_3) | instskip(NEXT) | instid1(VALU_DEP_3)
	v_min_u32_e32 v49, 32, v49
	v_xor_b32_e32 v44, v46, v50
	s_delay_alu instid0(VALU_DEP_3) | instskip(NEXT) | instid1(VALU_DEP_3)
	v_dual_lshrrev_b32 v50, 29, v24 :: v_dual_bitop2_b32 v26, v26, v50 bitop3:0x14
	v_dual_sub_nc_u32 v46, 31, v49 :: v_dual_lshlrev_b32 v51, 23, v49
	s_delay_alu instid0(VALU_DEP_1) | instskip(NEXT) | instid1(VALU_DEP_3)
	v_alignbit_b32 v48, v48, v44, v46
	v_alignbit_b32 v26, v44, v26, v46
	s_delay_alu instid0(VALU_DEP_4) | instskip(NEXT) | instid1(VALU_DEP_2)
	v_lshlrev_b32_e32 v44, 31, v50
	v_alignbit_b32 v46, v48, v26, 9
	s_delay_alu instid0(VALU_DEP_2) | instskip(SKIP_2) | instid1(VALU_DEP_4)
	v_or_b32_e32 v50, 0.5, v44
	v_lshrrev_b32_e32 v48, 9, v48
	v_or_b32_e32 v44, 0x33000000, v44
	v_clz_i32_u32_e32 v52, v46
	s_delay_alu instid0(VALU_DEP_4) | instskip(NEXT) | instid1(VALU_DEP_2)
	v_sub_nc_u32_e32 v50, v50, v51
	v_min_u32_e32 v51, 32, v52
	s_delay_alu instid0(VALU_DEP_2) | instskip(NEXT) | instid1(VALU_DEP_2)
	v_or_b32_e32 v48, v48, v50
	v_not_b32_e32 v50, v51
	s_delay_alu instid0(VALU_DEP_2) | instskip(SKIP_1) | instid1(VALU_DEP_3)
	v_mul_f32_e32 v52, 0x3fc90fda, v48
	v_add_lshl_u32 v49, v51, v49, 23
	v_alignbit_b32 v26, v46, v26, v50
	s_delay_alu instid0(VALU_DEP_3) | instskip(NEXT) | instid1(VALU_DEP_2)
	v_fma_f32 v46, 0x3fc90fda, v48, -v52
	v_dual_sub_nc_u32 v44, v44, v49 :: v_dual_lshrrev_b32 v26, 9, v26
	s_delay_alu instid0(VALU_DEP_2) | instskip(NEXT) | instid1(VALU_DEP_2)
	v_fmac_f32_e32 v46, 0x33a22168, v48
	v_or_b32_e32 v26, v44, v26
	s_delay_alu instid0(VALU_DEP_1) | instskip(NEXT) | instid1(VALU_DEP_1)
	v_fmac_f32_e32 v46, 0x3fc90fda, v26
	v_dual_lshrrev_b32 v26, 30, v24 :: v_dual_add_f32 v24, v52, v46
	s_delay_alu instid0(VALU_DEP_1)
	v_add_nc_u32_e32 v26, v47, v26
.LBB100_117:                            ;   in Loop: Header=BB100_4 Depth=1
	s_or_saveexec_b32 s6, s36
	v_mul_f32_e64 v44, 0x3f22f983, |v40|
	s_delay_alu instid0(VALU_DEP_1)
	v_rndne_f32_e32 v47, v44
	s_xor_b32 exec_lo, exec_lo, s6
; %bb.118:                              ;   in Loop: Header=BB100_4 Depth=1
	s_delay_alu instid0(VALU_DEP_1) | instskip(SKIP_1) | instid1(VALU_DEP_2)
	v_fma_f32 v24, 0xbfc90fda, v47, |v40|
	v_cvt_i32_f32_e32 v26, v47
	v_fmac_f32_e32 v24, 0xb3a22168, v47
	s_delay_alu instid0(VALU_DEP_1)
	v_fmac_f32_e32 v24, 0xa7c234c4, v47
; %bb.119:                              ;   in Loop: Header=BB100_4 Depth=1
	s_or_b32 exec_lo, exec_lo, s6
                                        ; implicit-def: $vgpr46
                                        ; implicit-def: $vgpr44
	s_and_saveexec_b32 s6, s35
	s_delay_alu instid0(SALU_CYCLE_1)
	s_xor_b32 s35, exec_lo, s6
	s_cbranch_execz .LBB100_121
; %bb.120:                              ;   in Loop: Header=BB100_4 Depth=1
	v_mul_u64_e32 v[46:47], s[18:19], v[4:5]
	v_mov_b32_e32 v49, v5
	v_cmp_lt_u32_e32 vcc_lo, 63, v41
	v_mov_b32_e32 v59, v5
	v_cndmask_b32_e64 v44, 0, 0xffffffc0, vcc_lo
	s_delay_alu instid0(VALU_DEP_1) | instskip(NEXT) | instid1(VALU_DEP_1)
	v_add_nc_u32_e32 v41, v44, v41
	v_cmp_lt_u32_e64 s6, 31, v41
	s_delay_alu instid0(VALU_DEP_1) | instskip(SKIP_1) | instid1(VALU_DEP_1)
	v_cndmask_b32_e64 v44, 0, 0xffffffe0, s6
	v_mov_b32_e32 v48, v47
	v_mad_nc_u64_u32 v[48:49], 0x3c439041, v4, v[48:49]
	s_delay_alu instid0(VALU_DEP_1) | instskip(NEXT) | instid1(VALU_DEP_1)
	v_dual_mov_b32 v51, v5 :: v_dual_mov_b32 v50, v49
	v_mad_nc_u64_u32 v[50:51], 0xdb629599, v4, v[50:51]
	s_delay_alu instid0(VALU_DEP_1) | instskip(NEXT) | instid1(VALU_DEP_2)
	v_dual_mov_b32 v53, v5 :: v_dual_mov_b32 v52, v51
	v_cndmask_b32_e32 v46, v50, v46, vcc_lo
	s_delay_alu instid0(VALU_DEP_2) | instskip(NEXT) | instid1(VALU_DEP_1)
	v_mad_nc_u64_u32 v[52:53], 0xf534ddc0, v4, v[52:53]
	v_dual_mov_b32 v55, v5 :: v_dual_mov_b32 v54, v53
	s_delay_alu instid0(VALU_DEP_1) | instskip(NEXT) | instid1(VALU_DEP_1)
	v_mad_nc_u64_u32 v[54:55], 0xfc2757d1, v4, v[54:55]
	v_dual_mov_b32 v57, v5 :: v_dual_mov_b32 v56, v55
	s_delay_alu instid0(VALU_DEP_2) | instskip(NEXT) | instid1(VALU_DEP_2)
	v_cndmask_b32_e32 v51, v54, v50, vcc_lo
	v_mad_nc_u64_u32 v[56:57], 0x4e441529, v4, v[56:57]
	s_delay_alu instid0(VALU_DEP_1) | instskip(NEXT) | instid1(VALU_DEP_1)
	v_mov_b32_e32 v58, v57
	v_mad_nc_u64_u32 v[58:59], 0xa2f9836e, v4, v[58:59]
	v_add_nc_u32_e32 v4, v44, v41
	s_delay_alu instid0(VALU_DEP_4) | instskip(NEXT) | instid1(VALU_DEP_2)
	v_cndmask_b32_e32 v44, v56, v52, vcc_lo
	v_cmp_lt_u32_e64 s7, 31, v4
	s_delay_alu instid0(VALU_DEP_1) | instskip(SKIP_1) | instid1(VALU_DEP_2)
	v_cndmask_b32_e64 v41, 0, 0xffffffe0, s7
	v_dual_cndmask_b32 v47, v58, v54, vcc_lo :: v_dual_cndmask_b32 v49, v59, v56, vcc_lo
	v_add_nc_u32_e32 v4, v41, v4
	v_cndmask_b32_e32 v41, v52, v48, vcc_lo
	s_delay_alu instid0(VALU_DEP_3) | instskip(NEXT) | instid1(VALU_DEP_3)
	v_dual_cndmask_b32 v48, v47, v44, s6 :: v_dual_cndmask_b32 v47, v49, v47, s6
	v_dual_cndmask_b32 v44, v44, v51, s6 :: v_dual_sub_nc_u32 v49, 32, v4
	s_delay_alu instid0(VALU_DEP_3) | instskip(SKIP_1) | instid1(VALU_DEP_4)
	v_cndmask_b32_e64 v51, v51, v41, s6
	v_cmp_eq_u32_e32 vcc_lo, 0, v4
	v_cndmask_b32_e64 v47, v47, v48, s7
	s_delay_alu instid0(VALU_DEP_4) | instskip(NEXT) | instid1(VALU_DEP_4)
	v_dual_cndmask_b32 v48, v48, v44, s7 :: v_dual_cndmask_b32 v41, v41, v46, s6
	v_cndmask_b32_e64 v44, v44, v51, s7
	s_delay_alu instid0(VALU_DEP_2) | instskip(NEXT) | instid1(VALU_DEP_2)
	v_alignbit_b32 v52, v47, v48, v49
	v_alignbit_b32 v50, v48, v44, v49
	s_delay_alu instid0(VALU_DEP_1) | instskip(NEXT) | instid1(VALU_DEP_1)
	v_dual_cndmask_b32 v4, v52, v47, vcc_lo :: v_dual_cndmask_b32 v46, v50, v48, vcc_lo
	v_bfe_u32 v47, v4, 29, 1
	v_cndmask_b32_e64 v41, v51, v41, s7
	s_delay_alu instid0(VALU_DEP_3) | instskip(NEXT) | instid1(VALU_DEP_3)
	v_alignbit_b32 v48, v4, v46, 30
	v_sub_nc_u32_e32 v50, 0, v47
	s_delay_alu instid0(VALU_DEP_3) | instskip(NEXT) | instid1(VALU_DEP_1)
	v_alignbit_b32 v49, v44, v41, v49
	v_dual_cndmask_b32 v44, v49, v44, vcc_lo :: v_dual_bitop2_b32 v48, v48, v50 bitop3:0x14
	s_delay_alu instid0(VALU_DEP_1) | instskip(NEXT) | instid1(VALU_DEP_2)
	v_clz_i32_u32_e32 v49, v48
	v_alignbit_b32 v46, v46, v44, 30
	v_alignbit_b32 v41, v44, v41, 30
	s_delay_alu instid0(VALU_DEP_3) | instskip(NEXT) | instid1(VALU_DEP_3)
	v_min_u32_e32 v49, 32, v49
	v_xor_b32_e32 v44, v46, v50
	s_delay_alu instid0(VALU_DEP_3) | instskip(NEXT) | instid1(VALU_DEP_3)
	v_dual_lshrrev_b32 v50, 29, v4 :: v_dual_bitop2_b32 v41, v41, v50 bitop3:0x14
	v_dual_lshrrev_b32 v4, 30, v4 :: v_dual_sub_nc_u32 v46, 31, v49
	v_lshlrev_b32_e32 v51, 23, v49
	s_delay_alu instid0(VALU_DEP_2) | instskip(NEXT) | instid1(VALU_DEP_4)
	v_alignbit_b32 v48, v48, v44, v46
	v_alignbit_b32 v41, v44, v41, v46
	v_lshlrev_b32_e32 v44, 31, v50
	s_delay_alu instid0(VALU_DEP_2) | instskip(NEXT) | instid1(VALU_DEP_2)
	v_alignbit_b32 v46, v48, v41, 9
	v_or_b32_e32 v50, 0.5, v44
	v_lshrrev_b32_e32 v48, 9, v48
	v_or_b32_e32 v44, 0x33000000, v44
	s_delay_alu instid0(VALU_DEP_4) | instskip(NEXT) | instid1(VALU_DEP_4)
	v_clz_i32_u32_e32 v52, v46
	v_sub_nc_u32_e32 v50, v50, v51
	s_delay_alu instid0(VALU_DEP_2) | instskip(NEXT) | instid1(VALU_DEP_2)
	v_min_u32_e32 v51, 32, v52
	v_or_b32_e32 v48, v48, v50
	s_delay_alu instid0(VALU_DEP_2) | instskip(SKIP_1) | instid1(VALU_DEP_2)
	v_not_b32_e32 v50, v51
	v_add_lshl_u32 v49, v51, v49, 23
	v_alignbit_b32 v41, v46, v41, v50
	s_delay_alu instid0(VALU_DEP_2) | instskip(NEXT) | instid1(VALU_DEP_2)
	v_sub_nc_u32_e32 v44, v44, v49
	v_dual_mul_f32 v52, 0x3fc90fda, v48 :: v_dual_lshrrev_b32 v41, 9, v41
	s_delay_alu instid0(VALU_DEP_1) | instskip(NEXT) | instid1(VALU_DEP_2)
	v_or_b32_e32 v41, v44, v41
	v_fma_f32 v46, 0x3fc90fda, v48, -v52
	s_delay_alu instid0(VALU_DEP_1) | instskip(NEXT) | instid1(VALU_DEP_1)
	v_fmac_f32_e32 v46, 0x33a22168, v48
	v_fmac_f32_e32 v46, 0x3fc90fda, v41
	s_delay_alu instid0(VALU_DEP_1)
	v_dual_add_f32 v44, v52, v46 :: v_dual_add_nc_u32 v46, v47, v4
                                        ; implicit-def: $vgpr47
	s_and_not1_saveexec_b32 s6, s35
	s_cbranch_execnz .LBB100_122
	s_branch .LBB100_123
.LBB100_121:                            ;   in Loop: Header=BB100_4 Depth=1
	s_and_not1_saveexec_b32 s6, s35
.LBB100_122:                            ;   in Loop: Header=BB100_4 Depth=1
	v_fma_f32 v44, 0xbfc90fda, v47, |v40|
	v_cvt_i32_f32_e32 v46, v47
	s_delay_alu instid0(VALU_DEP_2) | instskip(NEXT) | instid1(VALU_DEP_1)
	v_fmac_f32_e32 v44, 0xb3a22168, v47
	v_fmac_f32_e32 v44, 0xa7c234c4, v47
.LBB100_123:                            ;   in Loop: Header=BB100_4 Depth=1
	s_or_b32 exec_lo, exec_lo, s6
	v_dual_mul_f32 v4, v24, v24 :: v_dual_bitop2_b32 v47, 1, v26 bitop3:0x40
	s_delay_alu instid0(VALU_DEP_2) | instskip(NEXT) | instid1(VALU_DEP_2)
	v_dual_mul_f32 v41, v44, v44 :: v_dual_lshlrev_b32 v26, 30, v26
	v_fmaak_f32 v48, s29, v4, 0x3c0881c4
	s_delay_alu instid0(VALU_DEP_3) | instskip(NEXT) | instid1(VALU_DEP_3)
	v_cmp_eq_u32_e32 vcc_lo, 0, v47
	v_fmaak_f32 v50, s29, v41, 0x3c0881c4
	s_delay_alu instid0(VALU_DEP_4) | instskip(NEXT) | instid1(VALU_DEP_4)
	v_bitop3_b32 v22, v22, v26, 0x80000000 bitop3:0x78
	v_fmaak_f32 v48, v4, v48, 0xbe2aaa9d
	v_fmaak_f32 v51, s30, v41, 0xbab64f3b
	s_delay_alu instid0(VALU_DEP_4) | instskip(SKIP_1) | instid1(VALU_DEP_3)
	v_fmaak_f32 v50, v41, v50, 0xbe2aaa9d
	v_fmaak_f32 v49, s30, v4, 0xbab64f3b
	v_dual_mul_f32 v48, v4, v48 :: v_dual_fmaak_f32 v51, v41, v51, 0x3d2aabf7
	s_delay_alu instid0(VALU_DEP_2) | instskip(NEXT) | instid1(VALU_DEP_2)
	v_dual_mul_f32 v50, v41, v50 :: v_dual_fmaak_f32 v49, v4, v49, 0x3d2aabf7
	v_dual_fmac_f32 v24, v24, v48 :: v_dual_bitop2_b32 v52, 1, v46 bitop3:0x40
	s_delay_alu instid0(VALU_DEP_2) | instskip(NEXT) | instid1(VALU_DEP_3)
	v_dual_fmaak_f32 v49, v4, v49, 0xbf000004 :: v_dual_lshlrev_b32 v46, 30, v46
	v_dual_fmaak_f32 v51, v41, v51, 0xbf000004 :: v_dual_fmac_f32 v44, v44, v50
	s_delay_alu instid0(VALU_DEP_2) | instskip(NEXT) | instid1(VALU_DEP_2)
	v_fma_f32 v4, v4, v49, 1.0
	v_fma_f32 v41, v41, v51, 1.0
	s_delay_alu instid0(VALU_DEP_2) | instskip(SKIP_1) | instid1(VALU_DEP_2)
	v_cndmask_b32_e32 v4, v4, v24, vcc_lo
	v_cmp_eq_u32_e32 vcc_lo, 0, v52
	v_xor3_b32 v4, v22, v4, v40
	s_delay_alu instid0(VALU_DEP_4) | instskip(SKIP_1) | instid1(VALU_DEP_2)
	v_cndmask_b32_e64 v24, -v44, v41, vcc_lo
	v_cmp_class_f32_e64 vcc_lo, v40, 0x1f8
	v_bitop3_b32 v22, v46, v24, 0x80000000 bitop3:0x6c
	s_delay_alu instid0(VALU_DEP_1) | instskip(NEXT) | instid1(VALU_DEP_1)
	v_mul_f32_e32 v4, v4, v22
	v_cndmask_b32_e32 v40, 0x7fc00000, v4, vcc_lo
.LBB100_124:                            ;   in Loop: Header=BB100_4 Depth=1
	s_or_b32 exec_lo, exec_lo, s34
	v_add_nc_u32_e32 v45, -2.0, v45
	s_delay_alu instid0(VALU_DEP_2)
	v_bfi_b32 v44, 0x7fffffff, 0, v40
.LBB100_125:                            ;   in Loop: Header=BB100_4 Depth=1
	s_or_b32 exec_lo, exec_lo, s33
.LBB100_126:                            ;   in Loop: Header=BB100_4 Depth=1
	s_delay_alu instid0(SALU_CYCLE_1) | instskip(SKIP_2) | instid1(VALU_DEP_1)
	s_or_b32 exec_lo, exec_lo, s31
	v_and_b32_e32 v24, 0x7fffffff, v37
                                        ; implicit-def: $vgpr40
                                        ; implicit-def: $vgpr22
	s_mov_b32 s6, exec_lo
	v_cmpx_gt_u32_e32 0x7f800000, v24
	s_xor_b32 s31, exec_lo, s6
	s_cbranch_execz .LBB100_137
; %bb.127:                              ;   in Loop: Header=BB100_4 Depth=1
	v_cmp_class_f32_e64 s6, v36, 0x1f8
                                        ; implicit-def: $vgpr40
                                        ; implicit-def: $vgpr22
	s_and_saveexec_b32 s7, s6
	s_delay_alu instid0(SALU_CYCLE_1)
	s_xor_b32 s33, exec_lo, s7
	s_cbranch_execz .LBB100_164
; %bb.128:                              ;   in Loop: Header=BB100_4 Depth=1
	v_and_b32_e32 v41, 0x7fffffff, v36
                                        ; implicit-def: $vgpr40
                                        ; implicit-def: $vgpr22
	s_mov_b32 s6, exec_lo
	v_cmpx_gt_u32_e32 0x41300000, v24
	s_xor_b32 s34, exec_lo, s6
	s_cbranch_execz .LBB100_134
; %bb.129:                              ;   in Loop: Header=BB100_4 Depth=1
                                        ; implicit-def: $vgpr4
                                        ; implicit-def: $vgpr40
	s_mov_b32 s7, exec_lo
	v_cmpx_ngt_f32_e64 0x48000000, |v36|
	s_xor_b32 s35, exec_lo, s7
	s_cbranch_execz .LBB100_131
; %bb.130:                              ;   in Loop: Header=BB100_4 Depth=1
	v_and_or_b32 v4, v41, s24, 0x800000
	v_dual_mov_b32 v57, v5 :: v_dual_lshrrev_b32 v22, 23, v41
	v_mov_b32_e32 v59, v5
	s_delay_alu instid0(VALU_DEP_3) | instskip(NEXT) | instid1(VALU_DEP_3)
	v_mul_u64_e32 v[46:47], s[18:19], v[4:5]
	v_dual_mov_b32 v49, v5 :: v_dual_add_nc_u32 v22, 0xffffff88, v22
	s_delay_alu instid0(VALU_DEP_1) | instskip(SKIP_1) | instid1(VALU_DEP_1)
	v_cmp_lt_u32_e32 vcc_lo, 63, v22
	v_cndmask_b32_e64 v26, 0, 0xffffffc0, vcc_lo
	v_add_nc_u32_e32 v22, v26, v22
	s_delay_alu instid0(VALU_DEP_1) | instskip(NEXT) | instid1(VALU_DEP_1)
	v_cmp_lt_u32_e64 s6, 31, v22
	v_cndmask_b32_e64 v26, 0, 0xffffffe0, s6
	v_mov_b32_e32 v48, v47
	s_delay_alu instid0(VALU_DEP_1) | instskip(NEXT) | instid1(VALU_DEP_1)
	v_mad_nc_u64_u32 v[48:49], 0x3c439041, v4, v[48:49]
	v_dual_mov_b32 v51, v5 :: v_dual_mov_b32 v50, v49
	s_delay_alu instid0(VALU_DEP_1) | instskip(NEXT) | instid1(VALU_DEP_1)
	v_mad_nc_u64_u32 v[50:51], 0xdb629599, v4, v[50:51]
	v_dual_mov_b32 v53, v5 :: v_dual_mov_b32 v52, v51
	;; [unrolled: 3-line block ×3, first 2 shown]
	s_delay_alu instid0(VALU_DEP_1) | instskip(NEXT) | instid1(VALU_DEP_1)
	v_mad_nc_u64_u32 v[54:55], 0xfc2757d1, v4, v[54:55]
	v_dual_mov_b32 v56, v55 :: v_dual_cndmask_b32 v49, v54, v50
	s_delay_alu instid0(VALU_DEP_1) | instskip(NEXT) | instid1(VALU_DEP_1)
	v_mad_nc_u64_u32 v[56:57], 0x4e441529, v4, v[56:57]
	v_mov_b32_e32 v58, v57
	s_delay_alu instid0(VALU_DEP_1) | instskip(NEXT) | instid1(VALU_DEP_3)
	v_mad_nc_u64_u32 v[58:59], 0xa2f9836e, v4, v[58:59]
	v_dual_add_nc_u32 v4, v26, v22 :: v_dual_cndmask_b32 v26, v56, v52, vcc_lo
	s_delay_alu instid0(VALU_DEP_1) | instskip(NEXT) | instid1(VALU_DEP_1)
	v_cmp_lt_u32_e64 s7, 31, v4
	v_cndmask_b32_e64 v22, 0, 0xffffffe0, s7
	s_delay_alu instid0(VALU_DEP_4) | instskip(NEXT) | instid1(VALU_DEP_2)
	v_dual_cndmask_b32 v40, v58, v54 :: v_dual_cndmask_b32 v47, v59, v56
	v_add_nc_u32_e32 v4, v22, v4
	v_cndmask_b32_e32 v22, v52, v48, vcc_lo
	s_delay_alu instid0(VALU_DEP_3) | instskip(NEXT) | instid1(VALU_DEP_3)
	v_dual_cndmask_b32 v48, v40, v26, s6 :: v_dual_cndmask_b32 v40, v47, v40, s6
	v_dual_cndmask_b32 v26, v26, v49, s6 :: v_dual_sub_nc_u32 v47, 32, v4
	s_delay_alu instid0(VALU_DEP_2) | instskip(NEXT) | instid1(VALU_DEP_1)
	v_dual_cndmask_b32 v49, v49, v22, s6 :: v_dual_cndmask_b32 v40, v40, v48, s7
	v_dual_cndmask_b32 v48, v48, v26, s7 :: v_dual_cndmask_b32 v26, v26, v49, s7
	s_delay_alu instid0(VALU_DEP_1) | instskip(SKIP_2) | instid1(VALU_DEP_4)
	v_alignbit_b32 v51, v40, v48, v47
	v_cndmask_b32_e32 v46, v50, v46, vcc_lo
	v_cmp_eq_u32_e32 vcc_lo, 0, v4
	v_alignbit_b32 v50, v48, v26, v47
	s_delay_alu instid0(VALU_DEP_3) | instskip(NEXT) | instid1(VALU_DEP_2)
	v_dual_cndmask_b32 v4, v51, v40, vcc_lo :: v_dual_cndmask_b32 v22, v22, v46, s6
	v_cndmask_b32_e32 v40, v50, v48, vcc_lo
	s_delay_alu instid0(VALU_DEP_2) | instskip(NEXT) | instid1(VALU_DEP_3)
	v_bfe_u32 v46, v4, 29, 1
	v_cndmask_b32_e64 v22, v49, v22, s7
	s_delay_alu instid0(VALU_DEP_3) | instskip(NEXT) | instid1(VALU_DEP_3)
	v_alignbit_b32 v48, v4, v40, 30
	v_sub_nc_u32_e32 v49, 0, v46
	s_delay_alu instid0(VALU_DEP_3) | instskip(NEXT) | instid1(VALU_DEP_1)
	v_alignbit_b32 v47, v26, v22, v47
	v_dual_cndmask_b32 v26, v47, v26, vcc_lo :: v_dual_bitop2_b32 v48, v48, v49 bitop3:0x14
	s_delay_alu instid0(VALU_DEP_1) | instskip(NEXT) | instid1(VALU_DEP_2)
	v_clz_i32_u32_e32 v47, v48
	v_alignbit_b32 v40, v40, v26, 30
	v_alignbit_b32 v22, v26, v22, 30
	s_delay_alu instid0(VALU_DEP_3) | instskip(NEXT) | instid1(VALU_DEP_3)
	v_min_u32_e32 v47, 32, v47
	v_xor_b32_e32 v26, v40, v49
	s_delay_alu instid0(VALU_DEP_3) | instskip(NEXT) | instid1(VALU_DEP_3)
	v_dual_lshrrev_b32 v49, 29, v4 :: v_dual_bitop2_b32 v22, v22, v49 bitop3:0x14
	v_dual_lshrrev_b32 v4, 30, v4 :: v_dual_sub_nc_u32 v40, 31, v47
	s_delay_alu instid0(VALU_DEP_1) | instskip(NEXT) | instid1(VALU_DEP_2)
	v_dual_lshlrev_b32 v50, 23, v47 :: v_dual_add_nc_u32 v4, v46, v4
	v_alignbit_b32 v48, v48, v26, v40
	s_delay_alu instid0(VALU_DEP_4) | instskip(SKIP_1) | instid1(VALU_DEP_2)
	v_alignbit_b32 v22, v26, v22, v40
	v_lshlrev_b32_e32 v26, 31, v49
	v_alignbit_b32 v40, v48, v22, 9
	s_delay_alu instid0(VALU_DEP_2) | instskip(SKIP_1) | instid1(VALU_DEP_3)
	v_dual_lshrrev_b32 v48, 9, v48 :: v_dual_bitop2_b32 v49, 0.5, v26 bitop3:0x54
	v_or_b32_e32 v26, 0x33000000, v26
	v_clz_i32_u32_e32 v51, v40
	s_delay_alu instid0(VALU_DEP_3) | instskip(NEXT) | instid1(VALU_DEP_2)
	v_sub_nc_u32_e32 v49, v49, v50
	v_min_u32_e32 v50, 32, v51
	s_delay_alu instid0(VALU_DEP_1) | instskip(NEXT) | instid1(VALU_DEP_1)
	v_add_lshl_u32 v47, v50, v47, 23
	v_dual_sub_nc_u32 v26, v26, v47 :: v_dual_bitop2_b32 v48, v48, v49 bitop3:0x54
	v_not_b32_e32 v49, v50
	s_delay_alu instid0(VALU_DEP_1) | instskip(NEXT) | instid1(VALU_DEP_1)
	v_alignbit_b32 v22, v40, v22, v49
	v_lshrrev_b32_e32 v22, 9, v22
	s_delay_alu instid0(VALU_DEP_1) | instskip(SKIP_1) | instid1(VALU_DEP_1)
	v_or_b32_e32 v22, v26, v22
	v_mul_f32_e32 v51, 0x3fc90fda, v48
	v_fma_f32 v40, 0x3fc90fda, v48, -v51
	s_delay_alu instid0(VALU_DEP_1) | instskip(NEXT) | instid1(VALU_DEP_1)
	v_fmac_f32_e32 v40, 0x33a22168, v48
	v_fmac_f32_e32 v40, 0x3fc90fda, v22
	s_delay_alu instid0(VALU_DEP_1)
	v_add_f32_e32 v40, v51, v40
.LBB100_131:                            ;   in Loop: Header=BB100_4 Depth=1
	s_and_not1_saveexec_b32 s6, s35
; %bb.132:                              ;   in Loop: Header=BB100_4 Depth=1
	v_mul_f32_e64 v4, 0x3f22f983, |v36|
	s_delay_alu instid0(VALU_DEP_1) | instskip(NEXT) | instid1(VALU_DEP_1)
	v_rndne_f32_e32 v4, v4
	v_fma_f32 v40, 0xbfc90fda, v4, |v36|
	s_delay_alu instid0(VALU_DEP_1) | instskip(NEXT) | instid1(VALU_DEP_1)
	v_fmac_f32_e32 v40, 0xb3a22168, v4
	v_fmac_f32_e32 v40, 0xa7c234c4, v4
	v_cvt_i32_f32_e32 v4, v4
; %bb.133:                              ;   in Loop: Header=BB100_4 Depth=1
	s_or_b32 exec_lo, exec_lo, s6
	v_add_f32_e64 v22, 0xbf317218, |v37|
	v_cmp_nlt_f32_e64 vcc_lo, 0x42b2d4fc, |v37|
	v_cmp_gt_f32_e64 s6, 0x39800000, |v37|
	v_and_b32_e32 v4, 1, v4
	s_delay_alu instid0(VALU_DEP_4) | instskip(NEXT) | instid1(VALU_DEP_1)
	v_sub_f32_e64 v47, v22, |v37|
	v_sub_f32_e32 v46, v47, v22
	s_delay_alu instid0(VALU_DEP_1) | instskip(NEXT) | instid1(VALU_DEP_1)
	v_pk_add_f32 v[46:47], v[24:25], v[46:47]
	v_sub_f32_e32 v24, v46, v47
	s_delay_alu instid0(VALU_DEP_1) | instskip(NEXT) | instid1(VALU_DEP_1)
	v_add_f32_e32 v24, 0x3102e308, v24
	v_add_f32_e32 v26, v22, v24
	s_delay_alu instid0(VALU_DEP_1) | instskip(SKIP_1) | instid1(VALU_DEP_2)
	v_mul_f32_e32 v46, 0x3fb8aa3b, v26
	v_sub_f32_e32 v22, v22, v26
	v_rndne_f32_e32 v54, v46
	s_delay_alu instid0(VALU_DEP_1) | instskip(NEXT) | instid1(VALU_DEP_3)
	v_fmac_f32_e32 v26, 0xbf317200, v54
	v_add_f32_e32 v22, v24, v22
	v_mul_f32_e32 v24, 0x35bfbc00, v54
	v_mul_f32_e32 v49, 0x2ea39ef3, v54
	s_delay_alu instid0(VALU_DEP_3) | instskip(NEXT) | instid1(VALU_DEP_1)
	v_add_f32_e32 v47, v22, v26
	v_dual_sub_f32 v46, v47, v24 :: v_dual_sub_f32 v26, v26, v47
	s_delay_alu instid0(VALU_DEP_1) | instskip(NEXT) | instid1(VALU_DEP_1)
	v_sub_f32_e32 v47, v47, v46
	v_dual_add_f32 v22, v22, v26 :: v_dual_sub_f32 v24, v47, v24
	s_delay_alu instid0(VALU_DEP_1) | instskip(NEXT) | instid1(VALU_DEP_1)
	v_add_f32_e32 v22, v22, v24
	v_add_f32_e32 v47, v46, v22
	s_delay_alu instid0(VALU_DEP_1) | instskip(NEXT) | instid1(VALU_DEP_1)
	v_mov_b32_e32 v48, v47
	v_pk_add_f32 v[50:51], v[46:47], v[48:49] neg_lo:[0,1] neg_hi:[0,1]
	s_delay_alu instid0(VALU_DEP_1) | instskip(NEXT) | instid1(VALU_DEP_1)
	v_dual_sub_f32 v24, v47, v51 :: v_dual_add_f32 v22, v22, v50
	v_sub_f32_e32 v24, v24, v49
	s_delay_alu instid0(VALU_DEP_1) | instskip(NEXT) | instid1(VALU_DEP_1)
	v_add_f32_e32 v22, v22, v24
	v_add_f32_e32 v24, v51, v22
	s_delay_alu instid0(VALU_DEP_1) | instskip(SKIP_1) | instid1(VALU_DEP_2)
	v_dual_sub_f32 v26, v51, v24 :: v_dual_mul_f32 v46, v24, v24
	v_mov_b64_e32 v[50:51], s[24:25]
	v_add_f32_e32 v22, v22, v26
	s_delay_alu instid0(VALU_DEP_1) | instskip(SKIP_2) | instid1(VALU_DEP_1)
	v_add_f32_e32 v48, v22, v22
	v_fmaak_f32 v26, s28, v24, 0x3c091de6
	v_fma_f32 v47, v24, v24, -v46
	v_dual_fmaak_f32 v26, v24, v26, 0x3d2aadcc :: v_dual_fmac_f32 v47, v24, v48
	s_delay_alu instid0(VALU_DEP_1) | instskip(NEXT) | instid1(VALU_DEP_2)
	v_fmaak_f32 v26, v24, v26, 0x3e2aaa47
	v_add_f32_e32 v48, v46, v47
	s_delay_alu instid0(VALU_DEP_2) | instskip(NEXT) | instid1(VALU_DEP_2)
	v_fmaak_f32 v26, v24, v26, 0x3efffffc
	v_sub_f32_e32 v46, v48, v46
	s_delay_alu instid0(VALU_DEP_1) | instskip(NEXT) | instid1(VALU_DEP_1)
	v_dual_sub_f32 v46, v47, v46 :: v_dual_mul_f32 v49, v26, v48
	v_fma_f32 v47, v48, v26, -v49
	s_delay_alu instid0(VALU_DEP_1) | instskip(NEXT) | instid1(VALU_DEP_1)
	v_fmac_f32_e32 v47, v46, v26
	v_add_f32_e32 v46, v49, v47
	s_delay_alu instid0(VALU_DEP_1) | instskip(NEXT) | instid1(VALU_DEP_1)
	v_dual_add_f32 v26, v24, v46 :: v_dual_sub_f32 v48, v46, v49
	v_sub_f32_e32 v24, v26, v24
	s_delay_alu instid0(VALU_DEP_1) | instskip(NEXT) | instid1(VALU_DEP_3)
	v_sub_f32_e32 v24, v46, v24
	v_sub_f32_e32 v47, v47, v48
	s_delay_alu instid0(VALU_DEP_1) | instskip(NEXT) | instid1(VALU_DEP_1)
	v_add_f32_e32 v22, v22, v47
	v_add_f32_e32 v46, v22, v24
	v_cvt_i32_f32_e32 v24, v54
	s_delay_alu instid0(VALU_DEP_2) | instskip(NEXT) | instid1(VALU_DEP_1)
	v_add_f32_e32 v48, v26, v46
	v_dual_add_f32 v49, 1.0, v48 :: v_dual_mov_b32 v47, v48
	s_delay_alu instid0(VALU_DEP_1) | instskip(SKIP_1) | instid1(VALU_DEP_2)
	v_pk_add_f32 v[50:51], v[48:49], v[50:51]
	v_pk_add_f32 v[52:53], v[48:49], v[26:27] neg_lo:[0,1] neg_hi:[0,1]
	v_mov_b32_e32 v53, v51
	s_delay_alu instid0(VALU_DEP_1) | instskip(NEXT) | instid1(VALU_DEP_1)
	v_pk_add_f32 v[46:47], v[46:47], v[52:53] neg_lo:[0,1] neg_hi:[0,1]
	v_add_f32_e32 v22, v46, v47
	s_delay_alu instid0(VALU_DEP_1) | instskip(NEXT) | instid1(VALU_DEP_1)
	v_add_f32_e32 v26, v49, v22
	v_ldexp_f32 v52, v26, v24
	v_sub_f32_e32 v26, v26, v49
	s_delay_alu instid0(VALU_DEP_2) | instskip(SKIP_1) | instid1(TRANS32_DEP_1)
	v_rcp_f32_e32 v53, v52
	v_nop
	v_dual_mul_f32 v46, v52, v53 :: v_dual_sub_f32 v22, v22, v26
	s_delay_alu instid0(VALU_DEP_1) | instskip(NEXT) | instid1(VALU_DEP_2)
	v_fma_f32 v48, v53, v52, -v46
	v_ldexp_f32 v24, v22, v24
	s_delay_alu instid0(VALU_DEP_1) | instskip(NEXT) | instid1(VALU_DEP_1)
	v_fmac_f32_e32 v48, v53, v24
	v_add_f32_e32 v22, v46, v48
	s_delay_alu instid0(VALU_DEP_1) | instskip(NEXT) | instid1(VALU_DEP_1)
	v_dual_sub_f32 v47, 1.0, v22 :: v_dual_mov_b32 v49, v22
	v_pk_add_f32 v[50:51], v[22:23], v[46:47] neg_lo:[0,1] neg_hi:[0,1]
	s_delay_alu instid0(VALU_DEP_1) | instskip(NEXT) | instid1(VALU_DEP_1)
	v_pk_add_f32 v[48:49], v[50:51], v[48:49] neg_lo:[0,1] neg_hi:[0,1]
	v_add_f32_e32 v22, v48, v49
	s_delay_alu instid0(VALU_DEP_1) | instskip(NEXT) | instid1(VALU_DEP_1)
	v_add_f32_e32 v49, v47, v22
	v_mul_f32_e32 v26, v53, v49
	s_delay_alu instid0(VALU_DEP_1) | instskip(NEXT) | instid1(VALU_DEP_1)
	v_mul_f32_e32 v50, v52, v26
	v_dual_fma_f32 v46, v26, v52, -v50 :: v_dual_sub_f32 v54, v47, v49
	s_delay_alu instid0(VALU_DEP_1) | instskip(NEXT) | instid1(VALU_DEP_2)
	v_fmac_f32_e32 v46, v26, v24
	v_add_f32_e32 v22, v22, v54
	s_delay_alu instid0(VALU_DEP_2) | instskip(NEXT) | instid1(VALU_DEP_1)
	v_add_f32_e32 v48, v50, v46
	v_dual_sub_f32 v51, v49, v48 :: v_dual_mov_b32 v47, v48
	s_delay_alu instid0(VALU_DEP_1) | instskip(NEXT) | instid1(VALU_DEP_1)
	v_pk_add_f32 v[48:49], v[48:49], v[50:51] neg_lo:[0,1] neg_hi:[0,1]
	v_pk_add_f32 v[46:47], v[48:49], v[46:47] neg_lo:[0,1] neg_hi:[0,1]
	s_delay_alu instid0(VALU_DEP_1) | instskip(NEXT) | instid1(VALU_DEP_1)
	v_dual_add_f32 v22, v22, v47 :: v_dual_add_f32 v47, v53, v26
	v_dual_add_f32 v22, v46, v22 :: v_dual_sub_f32 v46, v47, v53
	s_delay_alu instid0(VALU_DEP_1) | instskip(NEXT) | instid1(VALU_DEP_2)
	v_add_f32_e32 v22, v51, v22
	v_sub_f32_e32 v26, v26, v46
	s_delay_alu instid0(VALU_DEP_2) | instskip(NEXT) | instid1(VALU_DEP_1)
	v_mul_f32_e32 v22, v53, v22
	v_add_f32_e32 v22, v26, v22
	s_delay_alu instid0(VALU_DEP_1) | instskip(NEXT) | instid1(VALU_DEP_1)
	v_add_f32_e32 v26, v47, v22
	v_ldexp_f32 v46, v26, -2
	s_delay_alu instid0(VALU_DEP_1) | instskip(NEXT) | instid1(VALU_DEP_1)
	v_dual_sub_f32 v26, v26, v47 :: v_dual_sub_f32 v48, v52, v46
	v_dual_sub_f32 v22, v22, v26 :: v_dual_sub_f32 v47, v52, v48
	s_delay_alu instid0(VALU_DEP_1) | instskip(SKIP_1) | instid1(VALU_DEP_2)
	v_sub_f32_e32 v26, v47, v46
	v_xor_b32_e32 v46, 0x80000000, v37
	v_add_f32_e32 v24, v24, v26
	s_delay_alu instid0(VALU_DEP_4) | instskip(NEXT) | instid1(VALU_DEP_1)
	v_ldexp_f32 v22, v22, -2
	v_sub_f32_e32 v22, v24, v22
	v_mul_f32_e32 v24, v40, v40
	s_delay_alu instid0(VALU_DEP_2) | instskip(NEXT) | instid1(VALU_DEP_2)
	v_add_f32_e32 v22, v48, v22
	v_fmaak_f32 v26, s27, v24, 0xbf039337
	v_fmaak_f32 v47, s26, v24, 0x3ec54587
	s_delay_alu instid0(VALU_DEP_3) | instskip(NEXT) | instid1(VALU_DEP_3)
	v_cndmask_b32_e32 v22, 0x7f800000, v22, vcc_lo
	v_fmaak_f32 v26, v24, v26, 0x3f93f425
	s_delay_alu instid0(VALU_DEP_2) | instskip(NEXT) | instid1(VALU_DEP_2)
	v_cndmask_b32_e64 v22, v22, |v37|, s6
	v_rcp_f32_e32 v26, v26
	s_delay_alu instid0(VALU_DEP_1) | instskip(NEXT) | instid1(TRANS32_DEP_1)
	v_bfi_b32 v37, 0x7fffffff, v22, v46
	v_mul_f32_e32 v22, v47, v26
	s_delay_alu instid0(VALU_DEP_2) | instskip(NEXT) | instid1(VALU_DEP_2)
	v_fma_f32 v26, v37, v37, 1.0
	v_mul_f32_e32 v22, v24, v22
	s_delay_alu instid0(VALU_DEP_2) | instskip(SKIP_1) | instid1(VALU_DEP_3)
	v_mul_f32_e32 v24, 0x4f800000, v26
	v_cmp_gt_f32_e32 vcc_lo, 0xf800000, v26
	v_fma_f32 v46, v22, v40, v40
	s_delay_alu instid0(VALU_DEP_3) | instskip(NEXT) | instid1(VALU_DEP_2)
	v_cndmask_b32_e32 v24, v26, v24, vcc_lo
	v_sub_f32_e32 v47, v46, v40
	v_rcp_f32_e32 v26, v46
	s_delay_alu instid0(VALU_DEP_2) | instskip(NEXT) | instid1(VALU_DEP_1)
	v_sqrt_f32_e32 v48, v24
	v_fma_f32 v22, v22, v40, -v47
	s_delay_alu instid0(TRANS32_DEP_2) | instskip(NEXT) | instid1(TRANS32_DEP_1)
	v_fma_f32 v40, v46, -v26, 1.0
	v_add_nc_u32_e32 v47, -1, v48
	s_delay_alu instid0(VALU_DEP_1) | instskip(NEXT) | instid1(VALU_DEP_1)
	v_fma_f32 v49, -v47, v48, v24
	v_cmp_ge_f32_e64 s6, 0, v49
	s_delay_alu instid0(VALU_DEP_1) | instskip(SKIP_2) | instid1(VALU_DEP_2)
	v_dual_cndmask_b32 v47, v48, v47, s6 :: v_dual_fma_f32 v22, v22, -v26, v40
	v_add_nc_u32_e32 v40, 1, v48
	v_cmp_eq_u32_e64 s6, 0, v4
	v_dual_fma_f32 v22, v22, -v26, -v26 :: v_dual_fma_f32 v26, -v40, v48, v24
	s_delay_alu instid0(VALU_DEP_1) | instskip(NEXT) | instid1(VALU_DEP_2)
	v_cndmask_b32_e64 v4, v22, v46, s6
	v_cmp_lt_f32_e64 s6, 0, v26
	s_delay_alu instid0(VALU_DEP_1) | instskip(NEXT) | instid1(VALU_DEP_3)
	v_cndmask_b32_e64 v22, v47, v40, s6
	v_xor3_b32 v4, v41, v4, v36
	s_delay_alu instid0(VALU_DEP_2) | instskip(NEXT) | instid1(VALU_DEP_2)
	v_mul_f32_e32 v26, 0x37800000, v22
	v_fma_f32 v40, v4, v4, 1.0
	s_delay_alu instid0(VALU_DEP_2) | instskip(SKIP_1) | instid1(VALU_DEP_3)
	v_cndmask_b32_e32 v22, v22, v26, vcc_lo
	v_cmp_class_f32_e64 vcc_lo, v24, 0x260
	v_mul_f32_e32 v41, v37, v40
	s_delay_alu instid0(VALU_DEP_3) | instskip(NEXT) | instid1(VALU_DEP_1)
	v_cndmask_b32_e32 v36, v22, v24, vcc_lo
	v_pk_mul_f32 v[40:41], v[36:37], v[40:41]
	s_delay_alu instid0(VALU_DEP_1) | instskip(NEXT) | instid1(VALU_DEP_1)
	v_dual_add_f32 v24, 1.0, v41 :: v_dual_mul_f32 v22, v37, v40
	v_div_scale_f32 v36, null, v24, v24, v4
	s_delay_alu instid0(VALU_DEP_1) | instskip(SKIP_1) | instid1(TRANS32_DEP_1)
	v_rcp_f32_e32 v40, v36
	v_nop
	v_fma_f32 v46, -v36, v40, 1.0
	s_delay_alu instid0(VALU_DEP_1) | instskip(SKIP_2) | instid1(VALU_DEP_2)
	v_fmac_f32_e32 v40, v46, v40
	v_div_scale_f32 v26, null, v24, v24, v22
	v_div_scale_f32 v47, vcc_lo, v22, v24, v22
	v_rcp_f32_e32 v37, v26
	v_nop
	s_delay_alu instid0(TRANS32_DEP_1) | instskip(NEXT) | instid1(VALU_DEP_1)
	v_fma_f32 v41, -v26, v37, 1.0
	v_fmac_f32_e32 v37, v41, v37
	v_div_scale_f32 v41, s6, v4, v24, v4
	s_delay_alu instid0(VALU_DEP_1) | instskip(NEXT) | instid1(VALU_DEP_1)
	v_dual_mul_f32 v46, v47, v37 :: v_dual_mul_f32 v48, v41, v40
	v_dual_fma_f32 v49, -v26, v46, v47 :: v_dual_fma_f32 v50, -v36, v48, v41
	s_delay_alu instid0(VALU_DEP_1) | instskip(NEXT) | instid1(VALU_DEP_1)
	v_dual_fmac_f32 v46, v49, v37 :: v_dual_fmac_f32 v48, v50, v40
	v_dual_fma_f32 v26, -v26, v46, v47 :: v_dual_fma_f32 v36, -v36, v48, v41
                                        ; implicit-def: $vgpr41
	s_delay_alu instid0(VALU_DEP_1) | instskip(SKIP_1) | instid1(VALU_DEP_2)
	v_div_fmas_f32 v26, v26, v37, v46
	s_mov_b32 vcc_lo, s6
	v_div_fmas_f32 v36, v36, v40, v48
	s_delay_alu instid0(VALU_DEP_2) | instskip(NEXT) | instid1(VALU_DEP_2)
	v_div_fixup_f32 v22, v26, v24, v22
	v_div_fixup_f32 v40, v36, v24, v4
                                        ; implicit-def: $vgpr36
.LBB100_134:                            ;   in Loop: Header=BB100_4 Depth=1
	s_and_not1_saveexec_b32 s34, s34
	s_cbranch_execz .LBB100_163
; %bb.135:                              ;   in Loop: Header=BB100_4 Depth=1
	v_lshrrev_b32_e32 v22, 23, v41
	v_cmp_ngt_f32_e64 s35, 0x48000000, |v36|
	v_and_or_b32 v4, v41, s24, 0x800000
                                        ; implicit-def: $vgpr26
	s_delay_alu instid0(VALU_DEP_3) | instskip(SKIP_1) | instid1(SALU_CYCLE_1)
	v_add_nc_u32_e32 v24, 0xffffff88, v22
                                        ; implicit-def: $vgpr22
	s_and_saveexec_b32 s6, s35
	s_xor_b32 s36, exec_lo, s6
	s_cbranch_execz .LBB100_148
; %bb.136:                              ;   in Loop: Header=BB100_4 Depth=1
	v_mul_u64_e32 v[46:47], s[18:19], v[4:5]
	v_mov_b32_e32 v49, v5
	v_cmp_lt_u32_e32 vcc_lo, 63, v24
	v_mov_b32_e32 v59, v5
	v_cndmask_b32_e64 v22, 0, 0xffffffc0, vcc_lo
	s_delay_alu instid0(VALU_DEP_1) | instskip(NEXT) | instid1(VALU_DEP_1)
	v_add_nc_u32_e32 v22, v22, v24
	v_cmp_lt_u32_e64 s6, 31, v22
	s_delay_alu instid0(VALU_DEP_1) | instskip(NEXT) | instid1(VALU_DEP_1)
	v_cndmask_b32_e64 v26, 0, 0xffffffe0, s6
	v_dual_add_nc_u32 v22, v26, v22 :: v_dual_mov_b32 v48, v47
	s_delay_alu instid0(VALU_DEP_1) | instskip(NEXT) | instid1(VALU_DEP_2)
	v_cmp_lt_u32_e64 s7, 31, v22
	v_mad_nc_u64_u32 v[48:49], 0x3c439041, v4, v[48:49]
	v_mov_b32_e32 v51, v5
	s_delay_alu instid0(VALU_DEP_3) | instskip(NEXT) | instid1(VALU_DEP_3)
	v_cndmask_b32_e64 v26, 0, 0xffffffe0, s7
	v_mov_b32_e32 v50, v49
	s_delay_alu instid0(VALU_DEP_1) | instskip(NEXT) | instid1(VALU_DEP_1)
	v_mad_nc_u64_u32 v[50:51], 0xdb629599, v4, v[50:51]
	v_dual_mov_b32 v53, v5 :: v_dual_mov_b32 v52, v51
	s_delay_alu instid0(VALU_DEP_1) | instskip(SKIP_1) | instid1(VALU_DEP_2)
	v_mad_nc_u64_u32 v[52:53], 0xf534ddc0, v4, v[52:53]
	v_dual_mov_b32 v55, v5 :: v_dual_add_nc_u32 v22, v26, v22
	v_dual_cndmask_b32 v26, v52, v48, vcc_lo :: v_dual_mov_b32 v54, v53
	s_delay_alu instid0(VALU_DEP_1) | instskip(NEXT) | instid1(VALU_DEP_1)
	v_mad_nc_u64_u32 v[54:55], 0xfc2757d1, v4, v[54:55]
	v_dual_mov_b32 v57, v5 :: v_dual_mov_b32 v56, v55
	s_delay_alu instid0(VALU_DEP_2) | instskip(NEXT) | instid1(VALU_DEP_2)
	v_cndmask_b32_e32 v51, v54, v50, vcc_lo
	v_mad_nc_u64_u32 v[56:57], 0x4e441529, v4, v[56:57]
	s_delay_alu instid0(VALU_DEP_1) | instskip(NEXT) | instid1(VALU_DEP_1)
	v_mov_b32_e32 v58, v57
	v_mad_nc_u64_u32 v[58:59], 0xa2f9836e, v4, v[58:59]
	s_delay_alu instid0(VALU_DEP_1) | instskip(NEXT) | instid1(VALU_DEP_2)
	v_dual_cndmask_b32 v40, v56, v52 :: v_dual_cndmask_b32 v47, v58, v54
	v_cndmask_b32_e32 v49, v59, v56, vcc_lo
	s_delay_alu instid0(VALU_DEP_1) | instskip(SKIP_2) | instid1(VALU_DEP_3)
	v_dual_cndmask_b32 v48, v47, v40, s6 :: v_dual_cndmask_b32 v47, v49, v47, s6
	v_dual_cndmask_b32 v40, v40, v51, s6 :: v_dual_sub_nc_u32 v49, 32, v22
	v_cndmask_b32_e64 v51, v51, v26, s6
	v_cndmask_b32_e64 v47, v47, v48, s7
	s_delay_alu instid0(VALU_DEP_3) | instskip(NEXT) | instid1(VALU_DEP_3)
	v_cndmask_b32_e64 v48, v48, v40, s7
	v_cndmask_b32_e64 v40, v40, v51, s7
	s_delay_alu instid0(VALU_DEP_2) | instskip(SKIP_2) | instid1(VALU_DEP_4)
	v_alignbit_b32 v52, v47, v48, v49
	v_cndmask_b32_e32 v46, v50, v46, vcc_lo
	v_cmp_eq_u32_e32 vcc_lo, 0, v22
	v_alignbit_b32 v50, v48, v40, v49
	s_delay_alu instid0(VALU_DEP_4) | instskip(NEXT) | instid1(VALU_DEP_1)
	v_cndmask_b32_e32 v22, v52, v47, vcc_lo
	v_bfe_u32 v47, v22, 29, 1
	v_cndmask_b32_e64 v26, v26, v46, s6
	s_delay_alu instid0(VALU_DEP_2) | instskip(NEXT) | instid1(VALU_DEP_2)
	v_dual_cndmask_b32 v46, v50, v48, vcc_lo :: v_dual_sub_nc_u32 v50, 0, v47
	v_cndmask_b32_e64 v26, v51, v26, s7
	s_delay_alu instid0(VALU_DEP_2) | instskip(NEXT) | instid1(VALU_DEP_2)
	v_alignbit_b32 v48, v22, v46, 30
	v_alignbit_b32 v49, v40, v26, v49
	s_delay_alu instid0(VALU_DEP_1) | instskip(NEXT) | instid1(VALU_DEP_1)
	v_dual_cndmask_b32 v40, v49, v40, vcc_lo :: v_dual_bitop2_b32 v48, v48, v50 bitop3:0x14
	v_clz_i32_u32_e32 v49, v48
	s_delay_alu instid0(VALU_DEP_2) | instskip(NEXT) | instid1(VALU_DEP_2)
	v_alignbit_b32 v46, v46, v40, 30
	v_min_u32_e32 v49, 32, v49
	v_alignbit_b32 v26, v40, v26, 30
	s_delay_alu instid0(VALU_DEP_2) | instskip(NEXT) | instid1(VALU_DEP_2)
	v_dual_sub_nc_u32 v46, 31, v49 :: v_dual_bitop2_b32 v40, v46, v50 bitop3:0x14
	v_xor_b32_e32 v26, v26, v50
	v_dual_lshrrev_b32 v50, 29, v22 :: v_dual_lshlrev_b32 v51, 23, v49
	s_delay_alu instid0(VALU_DEP_3) | instskip(NEXT) | instid1(VALU_DEP_3)
	v_alignbit_b32 v48, v48, v40, v46
	v_alignbit_b32 v26, v40, v26, v46
	s_delay_alu instid0(VALU_DEP_3) | instskip(NEXT) | instid1(VALU_DEP_2)
	v_lshlrev_b32_e32 v40, 31, v50
	v_alignbit_b32 v46, v48, v26, 9
	s_delay_alu instid0(VALU_DEP_2) | instskip(SKIP_2) | instid1(VALU_DEP_4)
	v_or_b32_e32 v50, 0.5, v40
	v_lshrrev_b32_e32 v48, 9, v48
	v_or_b32_e32 v40, 0x33000000, v40
	v_clz_i32_u32_e32 v52, v46
	s_delay_alu instid0(VALU_DEP_4) | instskip(NEXT) | instid1(VALU_DEP_2)
	v_sub_nc_u32_e32 v50, v50, v51
	v_min_u32_e32 v51, 32, v52
	s_delay_alu instid0(VALU_DEP_2) | instskip(NEXT) | instid1(VALU_DEP_2)
	v_or_b32_e32 v48, v48, v50
	v_not_b32_e32 v50, v51
	s_delay_alu instid0(VALU_DEP_2) | instskip(SKIP_1) | instid1(VALU_DEP_3)
	v_mul_f32_e32 v52, 0x3fc90fda, v48
	v_add_lshl_u32 v49, v51, v49, 23
	v_alignbit_b32 v26, v46, v26, v50
	s_delay_alu instid0(VALU_DEP_3) | instskip(NEXT) | instid1(VALU_DEP_2)
	v_fma_f32 v46, 0x3fc90fda, v48, -v52
	v_dual_sub_nc_u32 v40, v40, v49 :: v_dual_lshrrev_b32 v26, 9, v26
	s_delay_alu instid0(VALU_DEP_2) | instskip(NEXT) | instid1(VALU_DEP_2)
	v_fmac_f32_e32 v46, 0x33a22168, v48
	v_or_b32_e32 v26, v40, v26
	s_delay_alu instid0(VALU_DEP_1) | instskip(SKIP_1) | instid1(VALU_DEP_2)
	v_fmac_f32_e32 v46, 0x3fc90fda, v26
	v_lshrrev_b32_e32 v26, 30, v22
	v_add_f32_e32 v22, v52, v46
	s_delay_alu instid0(VALU_DEP_2)
	v_add_nc_u32_e32 v26, v47, v26
	s_and_not1_saveexec_b32 s6, s36
	s_branch .LBB100_149
.LBB100_137:                            ;   in Loop: Header=BB100_4 Depth=1
	s_and_not1_saveexec_b32 s31, s31
	s_cbranch_execz .LBB100_167
.LBB100_138:                            ;   in Loop: Header=BB100_4 Depth=1
	v_xor_b32_e32 v22, 0x80000000, v37
	s_mov_b32 s6, exec_lo
                                        ; implicit-def: $vgpr40
	s_delay_alu instid0(VALU_DEP_1) | instskip(NEXT) | instid1(VALU_DEP_1)
	v_and_b32_e32 v4, 0x7fffff, v22
	v_cmpx_ne_u32_e32 0, v4
	s_xor_b32 s6, exec_lo, s6
; %bb.139:                              ;   in Loop: Header=BB100_4 Depth=1
	v_mul_f32_e64 v4, v36, -v37
	v_cmp_eq_f32_e32 vcc_lo, 0, v36
	s_delay_alu instid0(VALU_DEP_2)
	v_cndmask_b32_e32 v40, v4, v36, vcc_lo
                                        ; implicit-def: $vgpr36
; %bb.140:                              ;   in Loop: Header=BB100_4 Depth=1
	s_and_not1_saveexec_b32 s33, s6
	s_cbranch_execz .LBB100_156
; %bb.141:                              ;   in Loop: Header=BB100_4 Depth=1
	s_mov_b32 s34, exec_lo
	v_cmpx_neq_f32_e64 0x7f800000, |v36|
	s_cbranch_execz .LBB100_155
; %bb.142:                              ;   in Loop: Header=BB100_4 Depth=1
	v_and_b32_e32 v24, 0x7fffffff, v36
	v_cmp_ngt_f32_e64 s35, 0x48000000, |v36|
                                        ; implicit-def: $vgpr37
	s_delay_alu instid0(VALU_DEP_2) | instskip(SKIP_1) | instid1(VALU_DEP_2)
	v_lshrrev_b32_e32 v26, 23, v24
	v_and_or_b32 v4, v24, s24, 0x800000
	v_add_nc_u32_e32 v40, 0xffffff88, v26
                                        ; implicit-def: $vgpr26
	s_and_saveexec_b32 s6, s35
	s_delay_alu instid0(SALU_CYCLE_1)
	s_xor_b32 s36, exec_lo, s6
	s_cbranch_execz .LBB100_144
; %bb.143:                              ;   in Loop: Header=BB100_4 Depth=1
	v_mul_u64_e32 v[46:47], s[18:19], v[4:5]
	v_mov_b32_e32 v49, v5
	v_cmp_lt_u32_e32 vcc_lo, 63, v40
	v_mov_b32_e32 v59, v5
	v_cndmask_b32_e64 v26, 0, 0xffffffc0, vcc_lo
	s_delay_alu instid0(VALU_DEP_1) | instskip(NEXT) | instid1(VALU_DEP_1)
	v_add_nc_u32_e32 v26, v26, v40
	v_cmp_lt_u32_e64 s6, 31, v26
	s_delay_alu instid0(VALU_DEP_1) | instskip(SKIP_1) | instid1(VALU_DEP_1)
	v_cndmask_b32_e64 v37, 0, 0xffffffe0, s6
	v_mov_b32_e32 v48, v47
	v_mad_nc_u64_u32 v[48:49], 0x3c439041, v4, v[48:49]
	s_delay_alu instid0(VALU_DEP_1) | instskip(NEXT) | instid1(VALU_DEP_1)
	v_dual_mov_b32 v51, v5 :: v_dual_mov_b32 v50, v49
	v_mad_nc_u64_u32 v[50:51], 0xdb629599, v4, v[50:51]
	s_delay_alu instid0(VALU_DEP_1) | instskip(NEXT) | instid1(VALU_DEP_1)
	v_dual_mov_b32 v53, v5 :: v_dual_mov_b32 v52, v51
	;; [unrolled: 3-line block ×4, first 2 shown]
	v_mad_nc_u64_u32 v[56:57], 0x4e441529, v4, v[56:57]
	s_delay_alu instid0(VALU_DEP_1) | instskip(NEXT) | instid1(VALU_DEP_1)
	v_dual_mov_b32 v58, v57 :: v_dual_cndmask_b32 v41, v56, v52
	v_mad_nc_u64_u32 v[58:59], 0xa2f9836e, v4, v[58:59]
	s_delay_alu instid0(VALU_DEP_1) | instskip(NEXT) | instid1(VALU_DEP_1)
	v_dual_cndmask_b32 v49, v59, v56 :: v_dual_add_nc_u32 v26, v37, v26
	v_cmp_lt_u32_e64 s7, 31, v26
	s_delay_alu instid0(VALU_DEP_3) | instskip(SKIP_1) | instid1(VALU_DEP_3)
	v_cndmask_b32_e32 v47, v58, v54, vcc_lo
	v_cndmask_b32_e32 v51, v54, v50, vcc_lo
	v_cndmask_b32_e64 v37, 0, 0xffffffe0, s7
	s_delay_alu instid0(VALU_DEP_1) | instskip(NEXT) | instid1(VALU_DEP_3)
	v_dual_cndmask_b32 v37, v52, v48 :: v_dual_add_nc_u32 v26, v37, v26
	v_dual_cndmask_b32 v48, v47, v41, s6 :: v_dual_cndmask_b32 v41, v41, v51, s6
	s_delay_alu instid0(VALU_DEP_2) | instskip(NEXT) | instid1(VALU_DEP_1)
	v_dual_cndmask_b32 v51, v51, v37, s6 :: v_dual_cndmask_b32 v47, v49, v47, s6
	v_dual_sub_nc_u32 v49, 32, v26 :: v_dual_cndmask_b32 v47, v47, v48, s7
	s_delay_alu instid0(VALU_DEP_2) | instskip(NEXT) | instid1(VALU_DEP_1)
	v_dual_cndmask_b32 v48, v48, v41, s7 :: v_dual_cndmask_b32 v41, v41, v51, s7
	v_alignbit_b32 v52, v47, v48, v49
	v_cndmask_b32_e32 v46, v50, v46, vcc_lo
	v_cmp_eq_u32_e32 vcc_lo, 0, v26
	s_delay_alu instid0(VALU_DEP_4) | instskip(NEXT) | instid1(VALU_DEP_3)
	v_alignbit_b32 v50, v48, v41, v49
	v_dual_cndmask_b32 v26, v52, v47, vcc_lo :: v_dual_cndmask_b32 v37, v37, v46, s6
	s_delay_alu instid0(VALU_DEP_2) | instskip(NEXT) | instid1(VALU_DEP_2)
	v_cndmask_b32_e32 v46, v50, v48, vcc_lo
	v_bfe_u32 v47, v26, 29, 1
	s_delay_alu instid0(VALU_DEP_3) | instskip(NEXT) | instid1(VALU_DEP_3)
	v_cndmask_b32_e64 v37, v51, v37, s7
	v_alignbit_b32 v48, v26, v46, 30
	s_delay_alu instid0(VALU_DEP_3) | instskip(NEXT) | instid1(VALU_DEP_3)
	v_sub_nc_u32_e32 v50, 0, v47
	v_alignbit_b32 v49, v41, v37, v49
	s_delay_alu instid0(VALU_DEP_1) | instskip(NEXT) | instid1(VALU_DEP_1)
	v_dual_cndmask_b32 v41, v49, v41, vcc_lo :: v_dual_bitop2_b32 v48, v48, v50 bitop3:0x14
	v_clz_i32_u32_e32 v49, v48
	s_delay_alu instid0(VALU_DEP_2) | instskip(SKIP_1) | instid1(VALU_DEP_3)
	v_alignbit_b32 v46, v46, v41, 30
	v_alignbit_b32 v37, v41, v37, 30
	v_min_u32_e32 v49, 32, v49
	s_delay_alu instid0(VALU_DEP_3) | instskip(NEXT) | instid1(VALU_DEP_3)
	v_xor_b32_e32 v41, v46, v50
	v_xor_b32_e32 v37, v37, v50
	s_delay_alu instid0(VALU_DEP_3) | instskip(SKIP_1) | instid1(VALU_DEP_1)
	v_dual_lshrrev_b32 v50, 29, v26 :: v_dual_lshlrev_b32 v51, 23, v49
	v_sub_nc_u32_e32 v46, 31, v49
	v_alignbit_b32 v48, v48, v41, v46
	s_delay_alu instid0(VALU_DEP_4) | instskip(NEXT) | instid1(VALU_DEP_4)
	v_alignbit_b32 v37, v41, v37, v46
	v_lshlrev_b32_e32 v41, 31, v50
	s_delay_alu instid0(VALU_DEP_2) | instskip(NEXT) | instid1(VALU_DEP_2)
	v_alignbit_b32 v46, v48, v37, 9
	v_dual_lshrrev_b32 v48, 9, v48 :: v_dual_bitop2_b32 v50, 0.5, v41 bitop3:0x54
	v_or_b32_e32 v41, 0x33000000, v41
	s_delay_alu instid0(VALU_DEP_3) | instskip(NEXT) | instid1(VALU_DEP_3)
	v_clz_i32_u32_e32 v52, v46
	v_sub_nc_u32_e32 v50, v50, v51
	s_delay_alu instid0(VALU_DEP_2) | instskip(NEXT) | instid1(VALU_DEP_1)
	v_min_u32_e32 v51, 32, v52
	v_add_lshl_u32 v49, v51, v49, 23
	s_delay_alu instid0(VALU_DEP_1) | instskip(SKIP_1) | instid1(VALU_DEP_1)
	v_dual_sub_nc_u32 v41, v41, v49 :: v_dual_bitop2_b32 v48, v48, v50 bitop3:0x54
	v_not_b32_e32 v50, v51
	v_alignbit_b32 v37, v46, v37, v50
	s_delay_alu instid0(VALU_DEP_1) | instskip(NEXT) | instid1(VALU_DEP_1)
	v_dual_mul_f32 v52, 0x3fc90fda, v48 :: v_dual_lshrrev_b32 v37, 9, v37
	v_or_b32_e32 v37, v41, v37
	s_delay_alu instid0(VALU_DEP_2) | instskip(NEXT) | instid1(VALU_DEP_1)
	v_fma_f32 v46, 0x3fc90fda, v48, -v52
	v_fmac_f32_e32 v46, 0x33a22168, v48
	s_delay_alu instid0(VALU_DEP_1) | instskip(NEXT) | instid1(VALU_DEP_1)
	v_dual_fmac_f32 v46, 0x3fc90fda, v37 :: v_dual_lshrrev_b32 v37, 30, v26
	v_dual_add_f32 v26, v52, v46 :: v_dual_add_nc_u32 v37, v47, v37
.LBB100_144:                            ;   in Loop: Header=BB100_4 Depth=1
	s_or_saveexec_b32 s6, s36
	v_mul_f32_e64 v41, 0x3f22f983, |v36|
	s_delay_alu instid0(VALU_DEP_1)
	v_rndne_f32_e32 v47, v41
	s_xor_b32 exec_lo, exec_lo, s6
; %bb.145:                              ;   in Loop: Header=BB100_4 Depth=1
	s_delay_alu instid0(VALU_DEP_1) | instskip(SKIP_1) | instid1(VALU_DEP_2)
	v_fma_f32 v26, 0xbfc90fda, v47, |v36|
	v_cvt_i32_f32_e32 v37, v47
	v_fmac_f32_e32 v26, 0xb3a22168, v47
	s_delay_alu instid0(VALU_DEP_1)
	v_fmac_f32_e32 v26, 0xa7c234c4, v47
; %bb.146:                              ;   in Loop: Header=BB100_4 Depth=1
	s_or_b32 exec_lo, exec_lo, s6
                                        ; implicit-def: $vgpr46
                                        ; implicit-def: $vgpr41
	s_and_saveexec_b32 s6, s35
	s_delay_alu instid0(SALU_CYCLE_1)
	s_xor_b32 s35, exec_lo, s6
	s_cbranch_execz .LBB100_152
; %bb.147:                              ;   in Loop: Header=BB100_4 Depth=1
	v_mul_u64_e32 v[46:47], s[18:19], v[4:5]
	v_mov_b32_e32 v49, v5
	v_cmp_lt_u32_e32 vcc_lo, 63, v40
	v_cndmask_b32_e64 v41, 0, 0xffffffc0, vcc_lo
	s_delay_alu instid0(VALU_DEP_4) | instskip(NEXT) | instid1(VALU_DEP_1)
	v_mov_b32_e32 v48, v47
	v_mad_nc_u64_u32 v[48:49], 0x3c439041, v4, v[48:49]
	s_delay_alu instid0(VALU_DEP_1) | instskip(NEXT) | instid1(VALU_DEP_1)
	v_dual_mov_b32 v51, v5 :: v_dual_mov_b32 v50, v49
	v_mad_nc_u64_u32 v[50:51], 0xdb629599, v4, v[50:51]
	s_delay_alu instid0(VALU_DEP_1) | instskip(NEXT) | instid1(VALU_DEP_1)
	v_dual_mov_b32 v53, v5 :: v_dual_mov_b32 v52, v51
	;; [unrolled: 3-line block ×3, first 2 shown]
	v_mad_nc_u64_u32 v[54:55], 0xfc2757d1, v4, v[54:55]
	v_mov_b32_e32 v57, v5
	s_delay_alu instid0(VALU_DEP_2) | instskip(NEXT) | instid1(VALU_DEP_3)
	v_dual_mov_b32 v56, v55 :: v_dual_add_nc_u32 v47, v41, v40
	v_cndmask_b32_e32 v51, v54, v50, vcc_lo
	s_delay_alu instid0(VALU_DEP_2) | instskip(NEXT) | instid1(VALU_DEP_1)
	v_mad_nc_u64_u32 v[56:57], 0x4e441529, v4, v[56:57]
	v_dual_mov_b32 v41, v5 :: v_dual_mov_b32 v40, v57
	s_delay_alu instid0(VALU_DEP_1) | instskip(NEXT) | instid1(VALU_DEP_1)
	v_mad_nc_u64_u32 v[40:41], 0xa2f9836e, v4, v[40:41]
	v_cndmask_b32_e32 v40, v40, v54, vcc_lo
	v_cmp_lt_u32_e64 s6, 31, v47
	s_delay_alu instid0(VALU_DEP_3) | instskip(NEXT) | instid1(VALU_DEP_2)
	v_cndmask_b32_e32 v41, v41, v56, vcc_lo
	v_cndmask_b32_e64 v49, 0, 0xffffffe0, s6
	s_delay_alu instid0(VALU_DEP_1) | instskip(NEXT) | instid1(VALU_DEP_1)
	v_dual_cndmask_b32 v49, v56, v52 :: v_dual_add_nc_u32 v4, v49, v47
	v_cmp_lt_u32_e64 s7, 31, v4
	s_delay_alu instid0(VALU_DEP_1) | instskip(NEXT) | instid1(VALU_DEP_1)
	v_cndmask_b32_e64 v47, 0, 0xffffffe0, s7
	v_add_nc_u32_e32 v4, v47, v4
	v_cndmask_b32_e32 v47, v52, v48, vcc_lo
	v_dual_cndmask_b32 v48, v40, v49, s6 :: v_dual_cndmask_b32 v40, v41, v40, s6
	s_delay_alu instid0(VALU_DEP_3) | instskip(NEXT) | instid1(VALU_DEP_2)
	v_dual_cndmask_b32 v41, v49, v51, s6 :: v_dual_sub_nc_u32 v49, 32, v4
	v_dual_cndmask_b32 v51, v51, v47, s6 :: v_dual_cndmask_b32 v40, v40, v48, s7
	s_delay_alu instid0(VALU_DEP_1) | instskip(NEXT) | instid1(VALU_DEP_1)
	v_dual_cndmask_b32 v48, v48, v41, s7 :: v_dual_cndmask_b32 v41, v41, v51, s7
	v_alignbit_b32 v52, v40, v48, v49
	v_cndmask_b32_e32 v46, v50, v46, vcc_lo
	v_cmp_eq_u32_e32 vcc_lo, 0, v4
	s_delay_alu instid0(VALU_DEP_4) | instskip(NEXT) | instid1(VALU_DEP_3)
	v_alignbit_b32 v50, v48, v41, v49
	v_dual_cndmask_b32 v4, v52, v40, vcc_lo :: v_dual_cndmask_b32 v40, v47, v46, s6
	s_delay_alu instid0(VALU_DEP_2) | instskip(NEXT) | instid1(VALU_DEP_2)
	v_cndmask_b32_e32 v46, v50, v48, vcc_lo
	v_bfe_u32 v47, v4, 29, 1
	s_delay_alu instid0(VALU_DEP_3) | instskip(NEXT) | instid1(VALU_DEP_3)
	v_cndmask_b32_e64 v40, v51, v40, s7
	v_alignbit_b32 v48, v4, v46, 30
	s_delay_alu instid0(VALU_DEP_3) | instskip(NEXT) | instid1(VALU_DEP_3)
	v_sub_nc_u32_e32 v50, 0, v47
	v_alignbit_b32 v49, v41, v40, v49
	s_delay_alu instid0(VALU_DEP_1) | instskip(NEXT) | instid1(VALU_DEP_1)
	v_dual_cndmask_b32 v41, v49, v41, vcc_lo :: v_dual_bitop2_b32 v48, v48, v50 bitop3:0x14
	v_clz_i32_u32_e32 v49, v48
	s_delay_alu instid0(VALU_DEP_2) | instskip(SKIP_1) | instid1(VALU_DEP_3)
	v_alignbit_b32 v46, v46, v41, 30
	v_alignbit_b32 v40, v41, v40, 30
	v_min_u32_e32 v49, 32, v49
	s_delay_alu instid0(VALU_DEP_3) | instskip(NEXT) | instid1(VALU_DEP_3)
	v_xor_b32_e32 v41, v46, v50
	v_dual_lshrrev_b32 v50, 29, v4 :: v_dual_bitop2_b32 v40, v40, v50 bitop3:0x14
	s_delay_alu instid0(VALU_DEP_3) | instskip(SKIP_1) | instid1(VALU_DEP_2)
	v_dual_lshrrev_b32 v4, 30, v4 :: v_dual_sub_nc_u32 v46, 31, v49
	v_lshlrev_b32_e32 v51, 23, v49
	v_alignbit_b32 v48, v48, v41, v46
	s_delay_alu instid0(VALU_DEP_4) | instskip(SKIP_1) | instid1(VALU_DEP_2)
	v_alignbit_b32 v40, v41, v40, v46
	v_lshlrev_b32_e32 v41, 31, v50
	v_alignbit_b32 v46, v48, v40, 9
	s_delay_alu instid0(VALU_DEP_2) | instskip(SKIP_1) | instid1(VALU_DEP_3)
	v_dual_lshrrev_b32 v48, 9, v48 :: v_dual_bitop2_b32 v50, 0.5, v41 bitop3:0x54
	v_or_b32_e32 v41, 0x33000000, v41
	v_clz_i32_u32_e32 v52, v46
	s_delay_alu instid0(VALU_DEP_3) | instskip(NEXT) | instid1(VALU_DEP_2)
	v_sub_nc_u32_e32 v50, v50, v51
	v_min_u32_e32 v51, 32, v52
	s_delay_alu instid0(VALU_DEP_1) | instskip(NEXT) | instid1(VALU_DEP_1)
	v_add_lshl_u32 v49, v51, v49, 23
	v_dual_sub_nc_u32 v41, v41, v49 :: v_dual_bitop2_b32 v48, v48, v50 bitop3:0x54
	v_not_b32_e32 v50, v51
	s_delay_alu instid0(VALU_DEP_1) | instskip(NEXT) | instid1(VALU_DEP_1)
	v_alignbit_b32 v40, v46, v40, v50
	v_lshrrev_b32_e32 v40, 9, v40
	s_delay_alu instid0(VALU_DEP_4) | instskip(NEXT) | instid1(VALU_DEP_2)
	v_mul_f32_e32 v52, 0x3fc90fda, v48
	v_or_b32_e32 v40, v41, v40
	s_delay_alu instid0(VALU_DEP_2) | instskip(NEXT) | instid1(VALU_DEP_1)
	v_fma_f32 v46, 0x3fc90fda, v48, -v52
	v_fmac_f32_e32 v46, 0x33a22168, v48
	s_delay_alu instid0(VALU_DEP_1) | instskip(NEXT) | instid1(VALU_DEP_1)
	v_fmac_f32_e32 v46, 0x3fc90fda, v40
	v_dual_add_f32 v41, v52, v46 :: v_dual_add_nc_u32 v46, v47, v4
                                        ; implicit-def: $vgpr47
	s_and_not1_saveexec_b32 s6, s35
	s_cbranch_execnz .LBB100_153
	s_branch .LBB100_154
.LBB100_148:                            ;   in Loop: Header=BB100_4 Depth=1
	s_and_not1_saveexec_b32 s6, s36
.LBB100_149:                            ;   in Loop: Header=BB100_4 Depth=1
	v_mul_f32_e64 v22, 0x3f22f983, |v36|
	s_delay_alu instid0(VALU_DEP_1) | instskip(NEXT) | instid1(VALU_DEP_1)
	v_rndne_f32_e32 v26, v22
	v_fma_f32 v22, 0xbfc90fda, v26, |v36|
	s_delay_alu instid0(VALU_DEP_1) | instskip(NEXT) | instid1(VALU_DEP_1)
	v_fmac_f32_e32 v22, 0xb3a22168, v26
	v_fmac_f32_e32 v22, 0xa7c234c4, v26
	v_cvt_i32_f32_e32 v26, v26
; %bb.150:                              ;   in Loop: Header=BB100_4 Depth=1
	s_or_b32 exec_lo, exec_lo, s6
                                        ; implicit-def: $vgpr46
                                        ; implicit-def: $vgpr40
	s_and_saveexec_b32 s6, s35
	s_delay_alu instid0(SALU_CYCLE_1)
	s_xor_b32 s35, exec_lo, s6
	s_cbranch_execz .LBB100_160
; %bb.151:                              ;   in Loop: Header=BB100_4 Depth=1
	v_mul_u64_e32 v[46:47], s[18:19], v[4:5]
	v_mov_b32_e32 v49, v5
	v_cmp_lt_u32_e32 vcc_lo, 63, v24
	v_mov_b32_e32 v59, v5
	v_cndmask_b32_e64 v40, 0, 0xffffffc0, vcc_lo
	s_delay_alu instid0(VALU_DEP_1) | instskip(NEXT) | instid1(VALU_DEP_1)
	v_add_nc_u32_e32 v24, v40, v24
	v_cmp_lt_u32_e64 s6, 31, v24
	s_delay_alu instid0(VALU_DEP_1) | instskip(SKIP_1) | instid1(VALU_DEP_1)
	v_cndmask_b32_e64 v40, 0, 0xffffffe0, s6
	v_mov_b32_e32 v48, v47
	v_mad_nc_u64_u32 v[48:49], 0x3c439041, v4, v[48:49]
	s_delay_alu instid0(VALU_DEP_1) | instskip(NEXT) | instid1(VALU_DEP_1)
	v_dual_mov_b32 v51, v5 :: v_dual_mov_b32 v50, v49
	v_mad_nc_u64_u32 v[50:51], 0xdb629599, v4, v[50:51]
	s_delay_alu instid0(VALU_DEP_1) | instskip(NEXT) | instid1(VALU_DEP_2)
	v_dual_mov_b32 v53, v5 :: v_dual_mov_b32 v52, v51
	v_cndmask_b32_e32 v46, v50, v46, vcc_lo
	s_delay_alu instid0(VALU_DEP_2) | instskip(NEXT) | instid1(VALU_DEP_1)
	v_mad_nc_u64_u32 v[52:53], 0xf534ddc0, v4, v[52:53]
	v_dual_mov_b32 v55, v5 :: v_dual_mov_b32 v54, v53
	s_delay_alu instid0(VALU_DEP_1) | instskip(NEXT) | instid1(VALU_DEP_1)
	v_mad_nc_u64_u32 v[54:55], 0xfc2757d1, v4, v[54:55]
	v_dual_mov_b32 v57, v5 :: v_dual_mov_b32 v56, v55
	s_delay_alu instid0(VALU_DEP_2) | instskip(NEXT) | instid1(VALU_DEP_2)
	v_cndmask_b32_e32 v51, v54, v50, vcc_lo
	v_mad_nc_u64_u32 v[56:57], 0x4e441529, v4, v[56:57]
	s_delay_alu instid0(VALU_DEP_1) | instskip(NEXT) | instid1(VALU_DEP_1)
	v_mov_b32_e32 v58, v57
	v_mad_nc_u64_u32 v[58:59], 0xa2f9836e, v4, v[58:59]
	v_add_nc_u32_e32 v4, v40, v24
	s_delay_alu instid0(VALU_DEP_4) | instskip(NEXT) | instid1(VALU_DEP_2)
	v_cndmask_b32_e32 v40, v56, v52, vcc_lo
	v_cmp_lt_u32_e64 s7, 31, v4
	s_delay_alu instid0(VALU_DEP_1) | instskip(SKIP_1) | instid1(VALU_DEP_2)
	v_cndmask_b32_e64 v24, 0, 0xffffffe0, s7
	v_dual_cndmask_b32 v47, v58, v54, vcc_lo :: v_dual_cndmask_b32 v49, v59, v56, vcc_lo
	v_add_nc_u32_e32 v4, v24, v4
	v_cndmask_b32_e32 v24, v52, v48, vcc_lo
	s_delay_alu instid0(VALU_DEP_3) | instskip(NEXT) | instid1(VALU_DEP_4)
	v_dual_cndmask_b32 v48, v47, v40, s6 :: v_dual_cndmask_b32 v40, v40, v51, s6
	v_cndmask_b32_e64 v47, v49, v47, s6
	s_delay_alu instid0(VALU_DEP_4) | instskip(NEXT) | instid1(VALU_DEP_2)
	v_cmp_eq_u32_e32 vcc_lo, 0, v4
	v_cndmask_b32_e64 v47, v47, v48, s7
	v_cndmask_b32_e64 v51, v51, v24, s6
	v_sub_nc_u32_e32 v49, 32, v4
	v_cndmask_b32_e64 v48, v48, v40, s7
	s_delay_alu instid0(VALU_DEP_3) | instskip(SKIP_1) | instid1(VALU_DEP_3)
	v_cndmask_b32_e64 v40, v40, v51, s7
	v_cndmask_b32_e64 v24, v24, v46, s6
	v_alignbit_b32 v52, v47, v48, v49
	s_delay_alu instid0(VALU_DEP_3) | instskip(NEXT) | instid1(VALU_DEP_1)
	v_alignbit_b32 v50, v48, v40, v49
	v_dual_cndmask_b32 v4, v52, v47, vcc_lo :: v_dual_cndmask_b32 v46, v50, v48, vcc_lo
	s_delay_alu instid0(VALU_DEP_1) | instskip(NEXT) | instid1(VALU_DEP_2)
	v_bfe_u32 v47, v4, 29, 1
	v_alignbit_b32 v48, v4, v46, 30
	s_delay_alu instid0(VALU_DEP_2) | instskip(NEXT) | instid1(VALU_DEP_1)
	v_dual_sub_nc_u32 v50, 0, v47 :: v_dual_cndmask_b32 v24, v51, v24, s7
	v_xor_b32_e32 v48, v48, v50
	s_delay_alu instid0(VALU_DEP_2) | instskip(NEXT) | instid1(VALU_DEP_1)
	v_alignbit_b32 v49, v40, v24, v49
	v_cndmask_b32_e32 v40, v49, v40, vcc_lo
	s_delay_alu instid0(VALU_DEP_3) | instskip(NEXT) | instid1(VALU_DEP_2)
	v_clz_i32_u32_e32 v49, v48
	v_alignbit_b32 v46, v46, v40, 30
	s_delay_alu instid0(VALU_DEP_2) | instskip(SKIP_1) | instid1(VALU_DEP_2)
	v_min_u32_e32 v49, 32, v49
	v_alignbit_b32 v24, v40, v24, 30
	v_dual_sub_nc_u32 v46, 31, v49 :: v_dual_bitop2_b32 v40, v46, v50 bitop3:0x14
	s_delay_alu instid0(VALU_DEP_2) | instskip(SKIP_1) | instid1(VALU_DEP_3)
	v_dual_lshrrev_b32 v50, 29, v4 :: v_dual_bitop2_b32 v24, v24, v50 bitop3:0x14
	v_lshlrev_b32_e32 v51, 23, v49
	v_alignbit_b32 v48, v48, v40, v46
	s_delay_alu instid0(VALU_DEP_3) | instskip(NEXT) | instid1(VALU_DEP_4)
	v_alignbit_b32 v24, v40, v24, v46
	v_lshlrev_b32_e32 v40, 31, v50
	s_delay_alu instid0(VALU_DEP_2) | instskip(NEXT) | instid1(VALU_DEP_2)
	v_alignbit_b32 v46, v48, v24, 9
	v_or_b32_e32 v50, 0.5, v40
	v_lshrrev_b32_e32 v48, 9, v48
	v_or_b32_e32 v40, 0x33000000, v40
	s_delay_alu instid0(VALU_DEP_4) | instskip(NEXT) | instid1(VALU_DEP_4)
	v_clz_i32_u32_e32 v52, v46
	v_sub_nc_u32_e32 v50, v50, v51
	s_delay_alu instid0(VALU_DEP_2) | instskip(NEXT) | instid1(VALU_DEP_2)
	v_min_u32_e32 v51, 32, v52
	v_or_b32_e32 v48, v48, v50
	s_delay_alu instid0(VALU_DEP_2) | instskip(SKIP_1) | instid1(VALU_DEP_2)
	v_not_b32_e32 v50, v51
	v_add_lshl_u32 v49, v51, v49, 23
	v_alignbit_b32 v24, v46, v24, v50
	s_delay_alu instid0(VALU_DEP_1) | instskip(SKIP_1) | instid1(VALU_DEP_2)
	v_dual_sub_nc_u32 v40, v40, v49 :: v_dual_lshrrev_b32 v24, 9, v24
	v_mul_f32_e32 v52, 0x3fc90fda, v48
	v_or_b32_e32 v24, v40, v24
	s_delay_alu instid0(VALU_DEP_2) | instskip(NEXT) | instid1(VALU_DEP_1)
	v_fma_f32 v46, 0x3fc90fda, v48, -v52
	v_fmac_f32_e32 v46, 0x33a22168, v48
	s_delay_alu instid0(VALU_DEP_1) | instskip(NEXT) | instid1(VALU_DEP_1)
	v_fmac_f32_e32 v46, 0x3fc90fda, v24
	v_dual_lshrrev_b32 v4, 30, v4 :: v_dual_add_f32 v40, v52, v46
	s_delay_alu instid0(VALU_DEP_1)
	v_add_nc_u32_e32 v46, v47, v4
	s_and_not1_saveexec_b32 s6, s35
	s_cbranch_execnz .LBB100_161
	s_branch .LBB100_162
.LBB100_152:                            ;   in Loop: Header=BB100_4 Depth=1
	s_and_not1_saveexec_b32 s6, s35
.LBB100_153:                            ;   in Loop: Header=BB100_4 Depth=1
	v_fma_f32 v41, 0xbfc90fda, v47, |v36|
	v_cvt_i32_f32_e32 v46, v47
	s_delay_alu instid0(VALU_DEP_2) | instskip(NEXT) | instid1(VALU_DEP_1)
	v_fmac_f32_e32 v41, 0xb3a22168, v47
	v_fmac_f32_e32 v41, 0xa7c234c4, v47
.LBB100_154:                            ;   in Loop: Header=BB100_4 Depth=1
	s_or_b32 exec_lo, exec_lo, s6
	s_delay_alu instid0(VALU_DEP_1) | instskip(SKIP_1) | instid1(VALU_DEP_2)
	v_dual_mul_f32 v4, v26, v26 :: v_dual_mul_f32 v40, v41, v41
	v_dual_lshlrev_b32 v37, 30, v37 :: v_dual_bitop2_b32 v47, 1, v37 bitop3:0x40
	v_fmaak_f32 v50, s29, v40, 0x3c0881c4
	v_fmaak_f32 v51, s30, v40, 0xbab64f3b
	s_delay_alu instid0(VALU_DEP_3) | instskip(NEXT) | instid1(VALU_DEP_4)
	v_cmp_eq_u32_e32 vcc_lo, 0, v47
	v_bitop3_b32 v24, v24, v37, 0x80000000 bitop3:0x78
	s_delay_alu instid0(VALU_DEP_4) | instskip(NEXT) | instid1(VALU_DEP_1)
	v_fmaak_f32 v50, v40, v50, 0xbe2aaa9d
	v_dual_fmaak_f32 v49, s30, v4, 0xbab64f3b :: v_dual_mul_f32 v50, v40, v50
	s_delay_alu instid0(VALU_DEP_1) | instskip(NEXT) | instid1(VALU_DEP_1)
	v_dual_fmaak_f32 v48, s29, v4, 0x3c0881c4 :: v_dual_fmac_f32 v41, v41, v50
	v_fmaak_f32 v48, v4, v48, 0xbe2aaa9d
	s_delay_alu instid0(VALU_DEP_3) | instskip(SKIP_1) | instid1(VALU_DEP_3)
	v_fmaak_f32 v49, v4, v49, 0x3d2aabf7
	v_dual_lshlrev_b32 v46, 30, v46 :: v_dual_bitop2_b32 v52, 1, v46 bitop3:0x40
	v_mul_f32_e32 v48, v4, v48
	s_delay_alu instid0(VALU_DEP_1) | instskip(NEXT) | instid1(VALU_DEP_4)
	v_dual_fmaak_f32 v51, v40, v51, 0x3d2aabf7 :: v_dual_fmac_f32 v26, v26, v48
	v_fmaak_f32 v49, v4, v49, 0xbf000004
	s_delay_alu instid0(VALU_DEP_2) | instskip(NEXT) | instid1(VALU_DEP_2)
	v_fmaak_f32 v51, v40, v51, 0xbf000004
	v_fma_f32 v4, v4, v49, 1.0
	s_delay_alu instid0(VALU_DEP_2) | instskip(NEXT) | instid1(VALU_DEP_2)
	v_fma_f32 v40, v40, v51, 1.0
	v_cndmask_b32_e32 v4, v4, v26, vcc_lo
	v_cmp_eq_u32_e32 vcc_lo, 0, v52
	s_delay_alu instid0(VALU_DEP_2) | instskip(NEXT) | instid1(VALU_DEP_4)
	v_xor3_b32 v4, v24, v4, v36
	v_cndmask_b32_e64 v26, -v41, v40, vcc_lo
	v_cmp_class_f32_e64 vcc_lo, v36, 0x1f8
	s_delay_alu instid0(VALU_DEP_2) | instskip(NEXT) | instid1(VALU_DEP_1)
	v_bitop3_b32 v24, v46, v26, 0x80000000 bitop3:0x6c
	v_mul_f32_e32 v4, v4, v24
	s_delay_alu instid0(VALU_DEP_1)
	v_cndmask_b32_e32 v36, 0x7fc00000, v4, vcc_lo
.LBB100_155:                            ;   in Loop: Header=BB100_4 Depth=1
	s_or_b32 exec_lo, exec_lo, s34
	v_add_nc_u32_e32 v22, -2.0, v22
	s_delay_alu instid0(VALU_DEP_2)
	v_bfi_b32 v40, 0x7fffffff, 0, v36
.LBB100_156:                            ;   in Loop: Header=BB100_4 Depth=1
	s_or_b32 exec_lo, exec_lo, s33
	s_delay_alu instid0(SALU_CYCLE_1) | instskip(SKIP_1) | instid1(SALU_CYCLE_1)
	s_or_b32 exec_lo, exec_lo, s31
	s_and_saveexec_b32 s6, s2
	s_xor_b32 s2, exec_lo, s6
	s_cbranch_execnz .LBB100_168
.LBB100_157:                            ;   in Loop: Header=BB100_4 Depth=1
	s_or_b32 exec_lo, exec_lo, s2
	s_and_saveexec_b32 s2, s3
	s_cbranch_execz .LBB100_169
.LBB100_158:                            ;   in Loop: Header=BB100_4 Depth=1
	v_xor_b32_e32 v43, 0x80000000, v43
	global_store_b64 v[30:31], v[42:43], off
	s_wait_xcnt 0x0
	s_or_b32 exec_lo, exec_lo, s2
	s_and_saveexec_b32 s2, s4
	s_cbranch_execnz .LBB100_170
.LBB100_159:                            ;   in Loop: Header=BB100_4 Depth=1
	s_or_b32 exec_lo, exec_lo, s2
	s_and_saveexec_b32 s2, s5
	s_cbranch_execz .LBB100_3
	s_branch .LBB100_171
.LBB100_160:                            ;   in Loop: Header=BB100_4 Depth=1
	s_and_not1_saveexec_b32 s6, s35
.LBB100_161:                            ;   in Loop: Header=BB100_4 Depth=1
	v_mul_f32_e64 v4, 0x3f22f983, |v36|
	s_delay_alu instid0(VALU_DEP_1) | instskip(NEXT) | instid1(VALU_DEP_1)
	v_rndne_f32_e32 v4, v4
	v_fma_f32 v40, 0xbfc90fda, v4, |v36|
	v_cvt_i32_f32_e32 v46, v4
	s_delay_alu instid0(VALU_DEP_2) | instskip(NEXT) | instid1(VALU_DEP_1)
	v_fmac_f32_e32 v40, 0xb3a22168, v4
	v_fmac_f32_e32 v40, 0xa7c234c4, v4
.LBB100_162:                            ;   in Loop: Header=BB100_4 Depth=1
	s_or_b32 exec_lo, exec_lo, s6
	s_delay_alu instid0(VALU_DEP_1) | instskip(SKIP_2) | instid1(VALU_DEP_3)
	v_dual_mul_f32 v4, v22, v22 :: v_dual_mul_f32 v50, v40, v40
	v_dual_lshlrev_b32 v26, 30, v26 :: v_dual_bitop2_b32 v24, 1, v26 bitop3:0x40
	v_mul_f32_e64 v47, 0xbfb8aa3b, |v37|
	v_fmaak_f32 v49, s30, v4, 0xbab64f3b
	s_delay_alu instid0(VALU_DEP_4) | instskip(NEXT) | instid1(VALU_DEP_4)
	v_fmaak_f32 v52, s29, v50, 0x3c0881c4
	v_cmp_eq_u32_e32 vcc_lo, 0, v24
	v_bitop3_b32 v26, v41, v26, 0x80000000 bitop3:0x78
	v_rndne_f32_e32 v41, v47
	v_fmaak_f32 v48, s29, v4, 0x3c0881c4
	v_fma_f32 v51, 0xbfb8aa3b, |v37|, -v47
	s_delay_alu instid0(VALU_DEP_3) | instskip(SKIP_1) | instid1(VALU_DEP_3)
	v_dual_fmaak_f32 v52, v50, v52, 0xbe2aaa9d :: v_dual_sub_f32 v47, v47, v41
	v_cvt_i32_f32_e32 v41, v41
	v_fma_f32 v51, 0xb2a5705f, |v37|, v51
	s_delay_alu instid0(VALU_DEP_1) | instskip(NEXT) | instid1(VALU_DEP_1)
	v_dual_fmaak_f32 v48, v4, v48, 0xbe2aaa9d :: v_dual_add_f32 v47, v47, v51
	v_dual_fmaak_f32 v49, v4, v49, 0x3d2aabf7 :: v_dual_mul_f32 v48, v4, v48
	v_fmaak_f32 v53, s30, v50, 0xbab64f3b
	s_delay_alu instid0(VALU_DEP_3) | instskip(NEXT) | instid1(VALU_DEP_2)
	v_exp_f32_e32 v24, v47
	v_dual_fmac_f32 v22, v22, v48 :: v_dual_bitop2_b32 v47, 1, v46 bitop3:0x40
	s_delay_alu instid0(VALU_DEP_3) | instskip(NEXT) | instid1(VALU_DEP_3)
	v_fmaak_f32 v49, v4, v49, 0xbf000004
	v_fmaak_f32 v48, v50, v53, 0x3d2aabf7
	s_delay_alu instid0(TRANS32_DEP_1) | instskip(NEXT) | instid1(VALU_DEP_3)
	v_ldexp_f32 v24, v24, v41
	v_fma_f32 v4, v4, v49, 1.0
	s_delay_alu instid0(VALU_DEP_1) | instskip(NEXT) | instid1(VALU_DEP_4)
	v_dual_mul_f32 v49, v50, v52 :: v_dual_cndmask_b32 v4, v4, v22
	v_fmaak_f32 v22, v50, v48, 0xbf000004
	s_delay_alu instid0(VALU_DEP_2) | instskip(SKIP_1) | instid1(VALU_DEP_4)
	v_fmac_f32_e32 v40, v40, v49
	v_cmp_eq_u32_e32 vcc_lo, 0, v47
	v_xor3_b32 v4, v26, v4, v36
	s_delay_alu instid0(VALU_DEP_4) | instskip(NEXT) | instid1(VALU_DEP_2)
	v_fma_f32 v22, v50, v22, 1.0
	v_dual_lshlrev_b32 v26, 30, v46 :: v_dual_mul_f32 v4, 4.0, v4
	s_delay_alu instid0(VALU_DEP_2) | instskip(SKIP_1) | instid1(VALU_DEP_2)
	v_cndmask_b32_e64 v22, -v40, v22, vcc_lo
	v_cmp_nlt_f32_e64 vcc_lo, 0x42ce8ed0, |v37|
	v_bitop3_b32 v22, v26, v22, 0x80000000 bitop3:0x6c
	v_cndmask_b32_e32 v24, 0, v24, vcc_lo
	v_cmp_ngt_f32_e64 vcc_lo, 0xc2b17218, |v37|
	s_delay_alu instid0(VALU_DEP_3) | instskip(SKIP_1) | instid1(VALU_DEP_4)
	v_mul_f32_e32 v4, v4, v22
	v_xor_b32_e32 v22, 0x80000000, v37
	v_cndmask_b32_e32 v24, 0x7f800000, v24, vcc_lo
	s_delay_alu instid0(VALU_DEP_2) | instskip(NEXT) | instid1(VALU_DEP_2)
	v_bfi_b32 v22, 0x7fffffff, 1.0, v22
	v_mul_f32_e32 v4, v24, v4
	s_delay_alu instid0(VALU_DEP_1)
	v_mul_f32_e32 v40, v24, v4
.LBB100_163:                            ;   in Loop: Header=BB100_4 Depth=1
	s_or_b32 exec_lo, exec_lo, s34
                                        ; implicit-def: $vgpr36
.LBB100_164:                            ;   in Loop: Header=BB100_4 Depth=1
	s_and_not1_saveexec_b32 s6, s33
; %bb.165:                              ;   in Loop: Header=BB100_4 Depth=1
	v_sub_f32_e32 v40, v36, v36
	s_delay_alu instid0(VALU_DEP_1)
	v_mov_b32_e32 v22, v40
; %bb.166:                              ;   in Loop: Header=BB100_4 Depth=1
	s_or_b32 exec_lo, exec_lo, s6
                                        ; implicit-def: $vgpr37
	s_and_not1_saveexec_b32 s31, s31
	s_cbranch_execnz .LBB100_138
.LBB100_167:                            ;   in Loop: Header=BB100_4 Depth=1
	s_or_b32 exec_lo, exec_lo, s31
	s_and_saveexec_b32 s6, s2
	s_delay_alu instid0(SALU_CYCLE_1)
	s_xor_b32 s2, exec_lo, s6
	s_cbranch_execz .LBB100_157
.LBB100_168:                            ;   in Loop: Header=BB100_4 Depth=1
	v_xor_b32_e32 v39, 0x80000000, v39
	global_store_b64 v[28:29], v[38:39], off
	s_wait_xcnt 0x0
	s_or_b32 exec_lo, exec_lo, s2
	s_and_saveexec_b32 s2, s3
	s_cbranch_execnz .LBB100_158
.LBB100_169:                            ;   in Loop: Header=BB100_4 Depth=1
	s_or_b32 exec_lo, exec_lo, s2
	s_and_saveexec_b32 s2, s4
	s_cbranch_execz .LBB100_159
.LBB100_170:                            ;   in Loop: Header=BB100_4 Depth=1
	v_xor_b32_e32 v45, 0x80000000, v45
	global_store_b64 v[32:33], v[44:45], off
	s_wait_xcnt 0x0
	s_or_b32 exec_lo, exec_lo, s2
	s_and_saveexec_b32 s2, s5
	s_cbranch_execz .LBB100_3
.LBB100_171:                            ;   in Loop: Header=BB100_4 Depth=1
	v_xor_b32_e32 v41, 0x80000000, v22
	global_store_b64 v[34:35], v[40:41], off
	s_branch .LBB100_3
.LBB100_172:
	s_cbranch_execz .LBB100_174
	s_branch .LBB100_329
.LBB100_173:
.LBB100_174:
	v_min_i64 v[14:15], 0x10000, s[12:13]
	v_dual_mov_b32 v17, 0 :: v_dual_lshlrev_b32 v16, 2, v0
	s_mov_b32 s2, exec_lo
	s_delay_alu instid0(VALU_DEP_1)
	v_cmpx_lt_i64_e64 v[16:17], v[14:15]
	s_cbranch_execz .LBB100_329
; %bb.175:
	s_load_b32 s2, s[0:1], 0xd3c
	v_dual_mov_b32 v1, v17 :: v_dual_lshlrev_b32 v16, 5, v0
	s_wait_xcnt 0x0
	s_add_nc_u64 s[0:1], s[8:9], s[10:11]
	v_dual_mov_b32 v19, 1.0 :: v_dual_mov_b32 v25, -1.0
	v_mov_b32_e32 v21, 0x3f317218
	v_add_nc_u64_e32 v[22:23], s[0:1], v[16:17]
	s_mov_b32 s3, 0
	s_mov_b32 s6, 0x7fffff
	s_mov_b64 s[4:5], 0xfe5163ab
	s_mov_b32 s10, 0xbc8cedd3
	s_mov_b32 s11, 0x3c971480
	;; [unrolled: 1-line block ×3, first 2 shown]
	s_mov_b32 s7, -1.0
	s_mov_b32 s13, 0xb94c1982
	s_mov_b32 s14, 0x37d75334
	;; [unrolled: 1-line block ×4, first 2 shown]
	s_wait_kmcnt 0x0
	s_and_b32 s2, s2, 0xffff
	s_delay_alu instid0(SALU_CYCLE_1)
	s_lshl_b32 s8, s2, 5
	s_branch .LBB100_180
.LBB100_176:                            ;   in Loop: Header=BB100_180 Depth=1
	s_or_b32 exec_lo, exec_lo, s0
	s_delay_alu instid0(VALU_DEP_1) | instskip(SKIP_2) | instid1(VALU_DEP_3)
	v_dual_mul_f32 v12, v3, v3 :: v_dual_mul_f32 v16, v18, v18
	v_dual_lshlrev_b32 v5, 30, v5 :: v_dual_bitop2_b32 v24, 1, v5 bitop3:0x40
	v_and_b32_e32 v30, 1, v20
	v_fmaak_f32 v26, s13, v12, 0x3c0881c4
	v_lshlrev_b32_e32 v20, 30, v20
	s_delay_alu instid0(VALU_DEP_4) | instskip(SKIP_1) | instid1(VALU_DEP_4)
	v_cmp_eq_u32_e32 vcc_lo, 0, v24
	v_bitop3_b32 v2, v2, v5, 0x80000000 bitop3:0x78
	v_fmaak_f32 v26, v12, v26, 0xbe2aaa9d
	s_delay_alu instid0(VALU_DEP_1) | instskip(NEXT) | instid1(VALU_DEP_1)
	v_dual_fmaak_f32 v27, s14, v12, 0xbab64f3b :: v_dual_mul_f32 v26, v12, v26
	v_fmaak_f32 v27, v12, v27, 0x3d2aabf7
	s_delay_alu instid0(VALU_DEP_2) | instskip(NEXT) | instid1(VALU_DEP_2)
	v_dual_fmaak_f32 v28, s13, v16, 0x3c0881c4 :: v_dual_fmac_f32 v3, v3, v26
	v_fmaak_f32 v27, v12, v27, 0xbf000004
	s_delay_alu instid0(VALU_DEP_2) | instskip(NEXT) | instid1(VALU_DEP_2)
	v_fmaak_f32 v28, v16, v28, 0xbe2aaa9d
	v_fma_f32 v12, v12, v27, 1.0
	s_delay_alu instid0(VALU_DEP_2) | instskip(NEXT) | instid1(VALU_DEP_2)
	v_mul_f32_e32 v28, v16, v28
	v_cndmask_b32_e32 v3, v12, v3, vcc_lo
	v_cmp_eq_u32_e32 vcc_lo, 0, v30
	s_delay_alu instid0(VALU_DEP_3) | instskip(NEXT) | instid1(VALU_DEP_3)
	v_fmac_f32_e32 v18, v18, v28
	v_xor3_b32 v2, v2, v3, v4
	v_fmaak_f32 v29, s14, v16, 0xbab64f3b
	s_delay_alu instid0(VALU_DEP_1) | instskip(NEXT) | instid1(VALU_DEP_1)
	v_fmaak_f32 v29, v16, v29, 0x3d2aabf7
	v_fmaak_f32 v29, v16, v29, 0xbf000004
	s_delay_alu instid0(VALU_DEP_1) | instskip(NEXT) | instid1(VALU_DEP_1)
	v_fma_f32 v16, v16, v29, 1.0
	v_cndmask_b32_e64 v5, -v18, v16, vcc_lo
	v_cmp_class_f32_e64 vcc_lo, v4, 0x1f8
	s_delay_alu instid0(VALU_DEP_2) | instskip(NEXT) | instid1(VALU_DEP_1)
	v_bitop3_b32 v3, v20, v5, 0x80000000 bitop3:0x6c
	v_mul_f32_e32 v2, v2, v3
	s_delay_alu instid0(VALU_DEP_1)
	v_cndmask_b32_e32 v4, 0x7fc00000, v2, vcc_lo
.LBB100_177:                            ;   in Loop: Header=BB100_180 Depth=1
	s_or_b32 exec_lo, exec_lo, s18
	v_add_nc_u32_e32 v13, -2.0, v13
	s_delay_alu instid0(VALU_DEP_2)
	v_bfi_b32 v12, 0x7fffffff, 0, v4
.LBB100_178:                            ;   in Loop: Header=BB100_180 Depth=1
	s_or_b32 exec_lo, exec_lo, s17
.LBB100_179:                            ;   in Loop: Header=BB100_180 Depth=1
	s_delay_alu instid0(SALU_CYCLE_1)
	s_or_b32 exec_lo, exec_lo, s16
	v_add_nc_u64_e32 v[0:1], s[2:3], v[0:1]
	v_xor_b32_e32 v9, 0x80000000, v9
	v_xor_b32_e32 v7, 0x80000000, v7
	;; [unrolled: 1-line block ×4, first 2 shown]
	s_clause 0x1
	global_store_b128 v[22:23], v[6:9], off
	global_store_b128 v[22:23], v[10:13], off offset:16
	v_lshlrev_b64_e32 v[2:3], 2, v[0:1]
	s_wait_xcnt 0x0
	v_add_nc_u64_e32 v[22:23], s[8:9], v[22:23]
	s_delay_alu instid0(VALU_DEP_2) | instskip(SKIP_1) | instid1(SALU_CYCLE_1)
	v_cmp_ge_i64_e32 vcc_lo, v[2:3], v[14:15]
	s_or_b32 s15, vcc_lo, s15
	s_and_not1_b32 exec_lo, exec_lo, s15
	s_cbranch_execz .LBB100_329
.LBB100_180:                            ; =>This Inner Loop Header: Depth=1
	s_clause 0x1
	global_load_b128 v[10:13], v[22:23], off
	global_load_b128 v[2:5], v[22:23], off offset:16
                                        ; implicit-def: $vgpr6
                                        ; implicit-def: $vgpr7
	s_mov_b32 s0, exec_lo
	s_wait_loadcnt 0x1
	v_and_b32_e32 v20, 0x7fffffff, v11
	s_wait_xcnt 0x0
	s_delay_alu instid0(VALU_DEP_1)
	v_cmpx_gt_u32_e32 0x7f800000, v20
	s_xor_b32 s16, exec_lo, s0
	s_cbranch_execz .LBB100_202
; %bb.181:                              ;   in Loop: Header=BB100_180 Depth=1
	v_cmp_class_f32_e64 s0, v10, 0x1f8
                                        ; implicit-def: $vgpr6
                                        ; implicit-def: $vgpr7
	s_and_saveexec_b32 s1, s0
	s_delay_alu instid0(SALU_CYCLE_1)
	s_xor_b32 s17, exec_lo, s1
	s_cbranch_execz .LBB100_199
; %bb.182:                              ;   in Loop: Header=BB100_180 Depth=1
	v_and_b32_e32 v8, 0x7fffffff, v10
                                        ; implicit-def: $vgpr6
                                        ; implicit-def: $vgpr7
	s_mov_b32 s0, exec_lo
	v_cmpx_gt_u32_e32 0x41300000, v20
	s_xor_b32 s18, exec_lo, s0
	s_cbranch_execz .LBB100_188
; %bb.183:                              ;   in Loop: Header=BB100_180 Depth=1
                                        ; implicit-def: $vgpr6
                                        ; implicit-def: $vgpr7
	s_mov_b32 s1, exec_lo
	v_cmpx_ngt_f32_e64 0x48000000, |v10|
	s_xor_b32 s19, exec_lo, s1
	s_cbranch_execz .LBB100_185
; %bb.184:                              ;   in Loop: Header=BB100_180 Depth=1
	v_and_or_b32 v16, v8, s6, 0x800000
	v_mov_b32_e32 v35, v17
	s_delay_alu instid0(VALU_DEP_2) | instskip(NEXT) | instid1(VALU_DEP_1)
	v_mul_u64_e32 v[6:7], s[4:5], v[16:17]
	v_dual_mov_b32 v27, v17 :: v_dual_mov_b32 v26, v7
	v_lshrrev_b32_e32 v7, 23, v8
	s_delay_alu instid0(VALU_DEP_2) | instskip(SKIP_1) | instid1(VALU_DEP_3)
	v_mad_nc_u64_u32 v[26:27], 0x3c439041, v16, v[26:27]
	v_mov_b32_e32 v29, v17
	v_add_nc_u32_e32 v7, 0xffffff88, v7
	s_delay_alu instid0(VALU_DEP_1) | instskip(NEXT) | instid1(VALU_DEP_4)
	v_cmp_lt_u32_e32 vcc_lo, 63, v7
	v_mov_b32_e32 v28, v27
	v_cndmask_b32_e64 v9, 0, 0xffffffc0, vcc_lo
	s_delay_alu instid0(VALU_DEP_2) | instskip(NEXT) | instid1(VALU_DEP_1)
	v_mad_nc_u64_u32 v[28:29], 0xdb629599, v16, v[28:29]
	v_dual_mov_b32 v31, v17 :: v_dual_mov_b32 v30, v29
	s_delay_alu instid0(VALU_DEP_2) | instskip(NEXT) | instid1(VALU_DEP_2)
	v_cndmask_b32_e32 v6, v28, v6, vcc_lo
	v_mad_nc_u64_u32 v[30:31], 0xf534ddc0, v16, v[30:31]
	s_delay_alu instid0(VALU_DEP_1) | instskip(NEXT) | instid1(VALU_DEP_1)
	v_dual_mov_b32 v33, v17 :: v_dual_mov_b32 v32, v31
	v_mad_nc_u64_u32 v[32:33], 0xfc2757d1, v16, v[32:33]
	s_delay_alu instid0(VALU_DEP_1) | instskip(NEXT) | instid1(VALU_DEP_1)
	v_dual_mov_b32 v34, v33 :: v_dual_cndmask_b32 v27, v32, v28
	v_mad_nc_u64_u32 v[34:35], 0x4e441529, v16, v[34:35]
	v_add_nc_u32_e32 v7, v9, v7
	s_delay_alu instid0(VALU_DEP_2) | instskip(NEXT) | instid1(VALU_DEP_2)
	v_dual_mov_b32 v37, v17 :: v_dual_mov_b32 v36, v35
	v_cmp_lt_u32_e64 s0, 31, v7
	s_delay_alu instid0(VALU_DEP_2) | instskip(NEXT) | instid1(VALU_DEP_2)
	v_mad_nc_u64_u32 v[36:37], 0xa2f9836e, v16, v[36:37]
	v_cndmask_b32_e64 v9, 0, 0xffffffe0, s0
	s_delay_alu instid0(VALU_DEP_1) | instskip(NEXT) | instid1(VALU_DEP_3)
	v_dual_cndmask_b32 v16, v34, v30 :: v_dual_add_nc_u32 v7, v9, v7
	v_dual_cndmask_b32 v18, v36, v32, vcc_lo :: v_dual_cndmask_b32 v24, v37, v34, vcc_lo
	s_delay_alu instid0(VALU_DEP_2) | instskip(NEXT) | instid1(VALU_DEP_1)
	v_cmp_lt_u32_e64 s1, 31, v7
	v_cndmask_b32_e64 v9, 0, 0xffffffe0, s1
	s_delay_alu instid0(VALU_DEP_1) | instskip(NEXT) | instid1(VALU_DEP_4)
	v_dual_add_nc_u32 v7, v9, v7 :: v_dual_cndmask_b32 v9, v30, v26, vcc_lo
	v_dual_cndmask_b32 v26, v18, v16, s0 :: v_dual_cndmask_b32 v18, v24, v18, s0
	v_cndmask_b32_e64 v16, v16, v27, s0
	s_delay_alu instid0(VALU_DEP_3) | instskip(SKIP_1) | instid1(VALU_DEP_4)
	v_dual_sub_nc_u32 v24, 32, v7 :: v_dual_cndmask_b32 v27, v27, v9, s0
	v_cmp_eq_u32_e32 vcc_lo, 0, v7
	v_cndmask_b32_e64 v18, v18, v26, s1
	s_delay_alu instid0(VALU_DEP_3) | instskip(SKIP_1) | instid1(VALU_DEP_2)
	v_dual_cndmask_b32 v26, v26, v16, s1 :: v_dual_cndmask_b32 v16, v16, v27, s1
	v_cndmask_b32_e64 v6, v9, v6, s0
	v_alignbit_b32 v29, v18, v26, v24
	s_delay_alu instid0(VALU_DEP_3) | instskip(NEXT) | instid1(VALU_DEP_3)
	v_alignbit_b32 v28, v26, v16, v24
	v_cndmask_b32_e64 v6, v27, v6, s1
	s_delay_alu instid0(VALU_DEP_3) | instskip(NEXT) | instid1(VALU_DEP_3)
	v_cndmask_b32_e32 v7, v29, v18, vcc_lo
	v_cndmask_b32_e32 v9, v28, v26, vcc_lo
	s_delay_alu instid0(VALU_DEP_3) | instskip(NEXT) | instid1(VALU_DEP_3)
	v_alignbit_b32 v24, v16, v6, v24
	v_bfe_u32 v18, v7, 29, 1
	s_delay_alu instid0(VALU_DEP_1) | instskip(NEXT) | instid1(VALU_DEP_4)
	v_dual_cndmask_b32 v16, v24, v16 :: v_dual_sub_nc_u32 v27, 0, v18
	v_alignbit_b32 v26, v7, v9, 30
	s_delay_alu instid0(VALU_DEP_2) | instskip(NEXT) | instid1(VALU_DEP_2)
	v_alignbit_b32 v9, v9, v16, 30
	v_xor_b32_e32 v26, v26, v27
	s_delay_alu instid0(VALU_DEP_2) | instskip(SKIP_1) | instid1(VALU_DEP_3)
	v_xor_b32_e32 v9, v9, v27
	v_alignbit_b32 v6, v16, v6, 30
	v_clz_i32_u32_e32 v24, v26
	s_delay_alu instid0(VALU_DEP_2) | instskip(NEXT) | instid1(VALU_DEP_2)
	v_xor_b32_e32 v6, v6, v27
	v_min_u32_e32 v24, 32, v24
	s_delay_alu instid0(VALU_DEP_1) | instskip(SKIP_1) | instid1(VALU_DEP_1)
	v_dual_lshrrev_b32 v27, 29, v7 :: v_dual_lshlrev_b32 v28, 23, v24
	v_sub_nc_u32_e32 v16, 31, v24
	v_alignbit_b32 v26, v26, v9, v16
	v_alignbit_b32 v6, v9, v6, v16
	s_delay_alu instid0(VALU_DEP_4) | instskip(NEXT) | instid1(VALU_DEP_2)
	v_lshlrev_b32_e32 v9, 31, v27
	v_alignbit_b32 v16, v26, v6, 9
	s_delay_alu instid0(VALU_DEP_2) | instskip(SKIP_1) | instid1(VALU_DEP_3)
	v_dual_lshrrev_b32 v26, 9, v26 :: v_dual_bitop2_b32 v27, 0.5, v9 bitop3:0x54
	v_or_b32_e32 v9, 0x33000000, v9
	v_clz_i32_u32_e32 v29, v16
	s_delay_alu instid0(VALU_DEP_3) | instskip(NEXT) | instid1(VALU_DEP_2)
	v_sub_nc_u32_e32 v27, v27, v28
	v_min_u32_e32 v28, 32, v29
	s_delay_alu instid0(VALU_DEP_1) | instskip(NEXT) | instid1(VALU_DEP_3)
	v_add_lshl_u32 v24, v28, v24, 23
	v_or_b32_e32 v26, v26, v27
	v_not_b32_e32 v27, v28
	s_delay_alu instid0(VALU_DEP_3) | instskip(NEXT) | instid1(VALU_DEP_3)
	v_sub_nc_u32_e32 v9, v9, v24
	v_mul_f32_e32 v29, 0x3fc90fda, v26
	s_delay_alu instid0(VALU_DEP_3) | instskip(NEXT) | instid1(VALU_DEP_2)
	v_alignbit_b32 v6, v16, v6, v27
	v_fma_f32 v16, 0x3fc90fda, v26, -v29
	s_delay_alu instid0(VALU_DEP_2) | instskip(NEXT) | instid1(VALU_DEP_2)
	v_lshrrev_b32_e32 v6, 9, v6
	v_fmac_f32_e32 v16, 0x33a22168, v26
	s_delay_alu instid0(VALU_DEP_2) | instskip(NEXT) | instid1(VALU_DEP_1)
	v_or_b32_e32 v6, v9, v6
	v_fmac_f32_e32 v16, 0x3fc90fda, v6
	s_delay_alu instid0(VALU_DEP_1) | instskip(NEXT) | instid1(VALU_DEP_1)
	v_dual_add_f32 v7, v29, v16 :: v_dual_lshrrev_b32 v6, 30, v7
	v_add_nc_u32_e32 v6, v18, v6
.LBB100_185:                            ;   in Loop: Header=BB100_180 Depth=1
	s_and_not1_saveexec_b32 s0, s19
; %bb.186:                              ;   in Loop: Header=BB100_180 Depth=1
	v_mul_f32_e64 v6, 0x3f22f983, |v10|
	s_delay_alu instid0(VALU_DEP_1) | instskip(NEXT) | instid1(VALU_DEP_1)
	v_rndne_f32_e32 v6, v6
	v_fma_f32 v7, 0xbfc90fda, v6, |v10|
	s_delay_alu instid0(VALU_DEP_1) | instskip(NEXT) | instid1(VALU_DEP_1)
	v_fmac_f32_e32 v7, 0xb3a22168, v6
	v_fmac_f32_e32 v7, 0xa7c234c4, v6
	v_cvt_i32_f32_e32 v6, v6
; %bb.187:                              ;   in Loop: Header=BB100_180 Depth=1
	s_or_b32 exec_lo, exec_lo, s0
	v_add_f32_e64 v9, 0xbf317218, |v11|
	v_cmp_nlt_f32_e64 vcc_lo, 0x42b2d4fc, |v11|
	v_cmp_gt_f32_e64 s0, 0x39800000, |v11|
	s_delay_alu instid0(VALU_DEP_3) | instskip(NEXT) | instid1(VALU_DEP_1)
	v_sub_f32_e64 v27, v9, |v11|
	v_sub_f32_e32 v26, v27, v9
	s_delay_alu instid0(VALU_DEP_1) | instskip(NEXT) | instid1(VALU_DEP_1)
	v_pk_add_f32 v[26:27], v[20:21], v[26:27]
	v_sub_f32_e32 v16, v26, v27
	s_delay_alu instid0(VALU_DEP_1) | instskip(NEXT) | instid1(VALU_DEP_1)
	v_add_f32_e32 v16, 0x3102e308, v16
	v_add_f32_e32 v18, v9, v16
	s_delay_alu instid0(VALU_DEP_1) | instskip(NEXT) | instid1(VALU_DEP_1)
	v_dual_sub_f32 v9, v9, v18 :: v_dual_mul_f32 v20, 0x3fb8aa3b, v18
	v_add_f32_e32 v9, v16, v9
	s_delay_alu instid0(VALU_DEP_2) | instskip(NEXT) | instid1(VALU_DEP_1)
	v_rndne_f32_e32 v20, v20
	v_fmac_f32_e32 v18, 0xbf317200, v20
	v_mul_f32_e32 v16, 0x35bfbc00, v20
	s_delay_alu instid0(VALU_DEP_2) | instskip(NEXT) | instid1(VALU_DEP_1)
	v_add_f32_e32 v24, v9, v18
	v_sub_f32_e32 v26, v24, v16
	s_delay_alu instid0(VALU_DEP_1) | instskip(NEXT) | instid1(VALU_DEP_1)
	v_dual_sub_f32 v18, v18, v24 :: v_dual_sub_f32 v24, v24, v26
	v_dual_add_f32 v9, v9, v18 :: v_dual_sub_f32 v16, v24, v16
	s_delay_alu instid0(VALU_DEP_1) | instskip(NEXT) | instid1(VALU_DEP_1)
	v_add_f32_e32 v9, v9, v16
	v_add_f32_e32 v27, v26, v9
	s_delay_alu instid0(VALU_DEP_1) | instskip(NEXT) | instid1(VALU_DEP_1)
	v_dual_mul_f32 v29, 0x2ea39ef3, v20 :: v_dual_mov_b32 v28, v27
	v_pk_add_f32 v[30:31], v[26:27], v[28:29] neg_lo:[0,1] neg_hi:[0,1]
	s_delay_alu instid0(VALU_DEP_1) | instskip(NEXT) | instid1(VALU_DEP_1)
	v_dual_sub_f32 v16, v27, v31 :: v_dual_add_f32 v9, v9, v30
	v_sub_f32_e32 v16, v16, v29
	s_delay_alu instid0(VALU_DEP_1) | instskip(NEXT) | instid1(VALU_DEP_1)
	v_add_f32_e32 v9, v9, v16
	v_add_f32_e32 v16, v31, v9
	s_delay_alu instid0(VALU_DEP_1) | instskip(SKIP_1) | instid1(VALU_DEP_2)
	v_sub_f32_e32 v18, v31, v16
	v_mov_b64_e32 v[30:31], s[6:7]
	v_add_f32_e32 v9, v9, v18
	s_delay_alu instid0(VALU_DEP_1) | instskip(NEXT) | instid1(VALU_DEP_1)
	v_dual_add_f32 v27, v9, v9 :: v_dual_mul_f32 v24, v16, v16
	v_fma_f32 v26, v16, v16, -v24
	s_delay_alu instid0(VALU_DEP_1) | instskip(NEXT) | instid1(VALU_DEP_1)
	v_fmac_f32_e32 v26, v16, v27
	v_dual_fmaak_f32 v18, s12, v16, 0x3c091de6 :: v_dual_add_f32 v27, v24, v26
	s_delay_alu instid0(VALU_DEP_1) | instskip(NEXT) | instid1(VALU_DEP_2)
	v_fmaak_f32 v18, v16, v18, 0x3d2aadcc
	v_sub_f32_e32 v24, v27, v24
	s_delay_alu instid0(VALU_DEP_2) | instskip(NEXT) | instid1(VALU_DEP_1)
	v_fmaak_f32 v18, v16, v18, 0x3e2aaa47
	v_fmaak_f32 v18, v16, v18, 0x3efffffc
	s_delay_alu instid0(VALU_DEP_1) | instskip(NEXT) | instid1(VALU_DEP_1)
	v_mul_f32_e32 v28, v18, v27
	v_dual_sub_f32 v24, v26, v24 :: v_dual_fma_f32 v26, v27, v18, -v28
	s_delay_alu instid0(VALU_DEP_1) | instskip(NEXT) | instid1(VALU_DEP_1)
	v_fmac_f32_e32 v26, v24, v18
	v_add_f32_e32 v18, v28, v26
	s_delay_alu instid0(VALU_DEP_1) | instskip(NEXT) | instid1(VALU_DEP_1)
	v_sub_f32_e32 v27, v18, v28
	v_dual_sub_f32 v26, v26, v27 :: v_dual_add_f32 v24, v16, v18
	s_delay_alu instid0(VALU_DEP_1) | instskip(NEXT) | instid1(VALU_DEP_1)
	v_dual_add_f32 v9, v9, v26 :: v_dual_sub_f32 v16, v24, v16
	v_sub_f32_e32 v16, v18, v16
	s_delay_alu instid0(VALU_DEP_1) | instskip(SKIP_1) | instid1(VALU_DEP_2)
	v_add_f32_e32 v26, v9, v16
	v_cvt_i32_f32_e32 v16, v20
	v_add_f32_e32 v28, v24, v26
	s_delay_alu instid0(VALU_DEP_1) | instskip(NEXT) | instid1(VALU_DEP_1)
	v_dual_add_f32 v29, 1.0, v28 :: v_dual_mov_b32 v27, v28
	v_pk_add_f32 v[30:31], v[28:29], v[30:31]
	v_pk_add_f32 v[32:33], v[28:29], v[24:25] neg_lo:[0,1] neg_hi:[0,1]
	s_delay_alu instid0(VALU_DEP_2) | instskip(NEXT) | instid1(VALU_DEP_1)
	v_mov_b32_e32 v33, v31
	v_pk_add_f32 v[26:27], v[26:27], v[32:33] neg_lo:[0,1] neg_hi:[0,1]
	s_delay_alu instid0(VALU_DEP_1) | instskip(NEXT) | instid1(VALU_DEP_1)
	v_add_f32_e32 v9, v26, v27
	v_add_f32_e32 v18, v29, v9
	s_delay_alu instid0(VALU_DEP_1) | instskip(NEXT) | instid1(VALU_DEP_1)
	v_ldexp_f32 v20, v18, v16
	v_rcp_f32_e32 v24, v20
	v_nop
	s_delay_alu instid0(TRANS32_DEP_1) | instskip(NEXT) | instid1(VALU_DEP_1)
	v_dual_sub_f32 v18, v18, v29 :: v_dual_mul_f32 v26, v20, v24
	v_dual_sub_f32 v9, v9, v18 :: v_dual_fma_f32 v28, v24, v20, -v26
	s_delay_alu instid0(VALU_DEP_1) | instskip(NEXT) | instid1(VALU_DEP_1)
	v_ldexp_f32 v9, v9, v16
	v_fmac_f32_e32 v28, v24, v9
	s_delay_alu instid0(VALU_DEP_1) | instskip(NEXT) | instid1(VALU_DEP_1)
	v_add_f32_e32 v18, v26, v28
	v_dual_sub_f32 v27, 1.0, v18 :: v_dual_mov_b32 v29, v18
	s_delay_alu instid0(VALU_DEP_1) | instskip(NEXT) | instid1(VALU_DEP_1)
	v_pk_add_f32 v[30:31], v[18:19], v[26:27] neg_lo:[0,1] neg_hi:[0,1]
	v_pk_add_f32 v[28:29], v[30:31], v[28:29] neg_lo:[0,1] neg_hi:[0,1]
	s_delay_alu instid0(VALU_DEP_1) | instskip(NEXT) | instid1(VALU_DEP_1)
	v_add_f32_e32 v16, v28, v29
	v_add_f32_e32 v29, v27, v16
	s_delay_alu instid0(VALU_DEP_1) | instskip(NEXT) | instid1(VALU_DEP_1)
	v_mul_f32_e32 v18, v24, v29
	v_mul_f32_e32 v30, v20, v18
	s_delay_alu instid0(VALU_DEP_1) | instskip(NEXT) | instid1(VALU_DEP_1)
	v_fma_f32 v26, v18, v20, -v30
	v_fmac_f32_e32 v26, v18, v9
	s_delay_alu instid0(VALU_DEP_1) | instskip(NEXT) | instid1(VALU_DEP_1)
	v_dual_sub_f32 v32, v27, v29 :: v_dual_add_f32 v28, v30, v26
	v_add_f32_e32 v16, v16, v32
	s_delay_alu instid0(VALU_DEP_2) | instskip(NEXT) | instid1(VALU_DEP_1)
	v_dual_sub_f32 v31, v29, v28 :: v_dual_mov_b32 v27, v28
	v_pk_add_f32 v[28:29], v[28:29], v[30:31] neg_lo:[0,1] neg_hi:[0,1]
	s_delay_alu instid0(VALU_DEP_1) | instskip(NEXT) | instid1(VALU_DEP_1)
	v_pk_add_f32 v[26:27], v[28:29], v[26:27] neg_lo:[0,1] neg_hi:[0,1]
	v_add_f32_e32 v16, v16, v27
	s_delay_alu instid0(VALU_DEP_1) | instskip(NEXT) | instid1(VALU_DEP_1)
	v_dual_add_f32 v27, v24, v18 :: v_dual_add_f32 v16, v26, v16
	v_sub_f32_e32 v26, v27, v24
	s_delay_alu instid0(VALU_DEP_1) | instskip(NEXT) | instid1(VALU_DEP_1)
	v_dual_add_f32 v16, v31, v16 :: v_dual_sub_f32 v18, v18, v26
	v_mul_f32_e32 v16, v24, v16
	s_delay_alu instid0(VALU_DEP_1) | instskip(NEXT) | instid1(VALU_DEP_1)
	v_add_f32_e32 v16, v18, v16
	v_add_f32_e32 v18, v27, v16
	s_delay_alu instid0(VALU_DEP_1) | instskip(NEXT) | instid1(VALU_DEP_1)
	v_ldexp_f32 v24, v18, -2
	v_dual_sub_f32 v18, v18, v27 :: v_dual_sub_f32 v26, v20, v24
	s_delay_alu instid0(VALU_DEP_1) | instskip(NEXT) | instid1(VALU_DEP_2)
	v_sub_f32_e32 v20, v20, v26
	v_sub_f32_e32 v16, v16, v18
	s_delay_alu instid0(VALU_DEP_2) | instskip(NEXT) | instid1(VALU_DEP_2)
	v_sub_f32_e32 v18, v20, v24
	v_ldexp_f32 v16, v16, -2
	v_xor_b32_e32 v20, 0x80000000, v11
	s_delay_alu instid0(VALU_DEP_3) | instskip(NEXT) | instid1(VALU_DEP_1)
	v_add_f32_e32 v9, v9, v18
	v_sub_f32_e32 v9, v9, v16
	s_delay_alu instid0(VALU_DEP_1) | instskip(NEXT) | instid1(VALU_DEP_1)
	v_dual_add_f32 v9, v26, v9 :: v_dual_mul_f32 v16, v7, v7
	v_cndmask_b32_e32 v9, 0x7f800000, v9, vcc_lo
	s_delay_alu instid0(VALU_DEP_2) | instskip(NEXT) | instid1(VALU_DEP_2)
	v_fmaak_f32 v24, s10, v16, 0x3ec54587
	v_cndmask_b32_e64 v9, v9, |v11|, s0
	s_delay_alu instid0(VALU_DEP_1) | instskip(SKIP_1) | instid1(VALU_DEP_2)
	v_bfi_b32 v9, 0x7fffffff, v9, v20
	v_fmaak_f32 v18, s11, v16, 0xbf039337
	v_fma_f32 v20, v9, v9, 1.0
	s_delay_alu instid0(VALU_DEP_2) | instskip(NEXT) | instid1(VALU_DEP_2)
	v_fmaak_f32 v18, v16, v18, 0x3f93f425
	v_cmp_gt_f32_e32 vcc_lo, 0xf800000, v20
	s_delay_alu instid0(VALU_DEP_2) | instskip(SKIP_1) | instid1(TRANS32_DEP_1)
	v_rcp_f32_e32 v18, v18
	v_nop
	v_mul_f32_e32 v18, v24, v18
	s_delay_alu instid0(VALU_DEP_1) | instskip(SKIP_1) | instid1(VALU_DEP_2)
	v_mul_f32_e32 v16, v16, v18
	v_mul_f32_e32 v18, 0x4f800000, v20
	v_fma_f32 v24, v16, v7, v7
	s_delay_alu instid0(VALU_DEP_1) | instskip(NEXT) | instid1(VALU_DEP_1)
	v_sub_f32_e32 v26, v24, v7
	v_fma_f32 v7, v16, v7, -v26
	s_delay_alu instid0(VALU_DEP_4) | instskip(SKIP_2) | instid1(TRANS32_DEP_1)
	v_cndmask_b32_e32 v18, v20, v18, vcc_lo
	v_rcp_f32_e32 v20, v24
	v_nop
	v_fma_f32 v16, v24, -v20, 1.0
	s_delay_alu instid0(VALU_DEP_1) | instskip(SKIP_1) | instid1(VALU_DEP_1)
	v_fma_f32 v7, v7, -v20, v16
	v_sqrt_f32_e32 v27, v18
	v_dual_fma_f32 v7, v7, -v20, -v20 :: v_dual_bitop2_b32 v6, 1, v6 bitop3:0x40
	s_delay_alu instid0(TRANS32_DEP_1) | instskip(NEXT) | instid1(VALU_DEP_1)
	v_dual_add_nc_u32 v26, -1, v27 :: v_dual_add_nc_u32 v16, 1, v27
	v_fma_f32 v28, -v26, v27, v18
	s_delay_alu instid0(VALU_DEP_1) | instskip(NEXT) | instid1(VALU_DEP_1)
	v_cmp_ge_f32_e64 s0, 0, v28
	v_dual_fma_f32 v20, -v16, v27, v18 :: v_dual_cndmask_b32 v26, v27, v26, s0
	v_cmp_eq_u32_e64 s0, 0, v6
	s_delay_alu instid0(VALU_DEP_1) | instskip(NEXT) | instid1(VALU_DEP_3)
	v_cndmask_b32_e64 v6, v7, v24, s0
	v_cmp_lt_f32_e64 s0, 0, v20
	s_delay_alu instid0(VALU_DEP_1) | instskip(NEXT) | instid1(VALU_DEP_3)
	v_cndmask_b32_e64 v7, v26, v16, s0
	v_xor3_b32 v16, v8, v6, v10
	s_delay_alu instid0(VALU_DEP_2) | instskip(NEXT) | instid1(VALU_DEP_2)
	v_mul_f32_e32 v8, 0x37800000, v7
	v_fma_f32 v6, v16, v16, 1.0
	s_delay_alu instid0(VALU_DEP_2) | instskip(SKIP_1) | instid1(VALU_DEP_3)
	v_cndmask_b32_e32 v8, v7, v8, vcc_lo
	v_cmp_class_f32_e64 vcc_lo, v18, 0x260
	v_mul_f32_e32 v7, v9, v6
	s_delay_alu instid0(VALU_DEP_3) | instskip(NEXT) | instid1(VALU_DEP_1)
	v_cndmask_b32_e32 v8, v8, v18, vcc_lo
	v_pk_mul_f32 v[6:7], v[8:9], v[6:7]
	s_delay_alu instid0(VALU_DEP_1) | instskip(NEXT) | instid1(VALU_DEP_1)
	v_dual_add_f32 v8, 1.0, v7 :: v_dual_mul_f32 v6, v9, v6
	v_div_scale_f32 v9, null, v8, v8, v16
	s_delay_alu instid0(VALU_DEP_1) | instskip(SKIP_1) | instid1(TRANS32_DEP_1)
	v_rcp_f32_e32 v20, v9
	v_nop
	v_fma_f32 v26, -v9, v20, 1.0
	s_delay_alu instid0(VALU_DEP_1) | instskip(SKIP_2) | instid1(VALU_DEP_2)
	v_fmac_f32_e32 v20, v26, v20
	v_div_scale_f32 v7, null, v8, v8, v6
	v_div_scale_f32 v27, vcc_lo, v6, v8, v6
	v_rcp_f32_e32 v18, v7
	v_nop
	s_delay_alu instid0(TRANS32_DEP_1) | instskip(NEXT) | instid1(VALU_DEP_1)
	v_fma_f32 v24, -v7, v18, 1.0
	v_fmac_f32_e32 v18, v24, v18
	v_div_scale_f32 v24, s0, v16, v8, v16
	s_delay_alu instid0(VALU_DEP_1) | instskip(NEXT) | instid1(VALU_DEP_1)
	v_dual_mul_f32 v26, v27, v18 :: v_dual_mul_f32 v28, v24, v20
	v_dual_fma_f32 v29, -v7, v26, v27 :: v_dual_fma_f32 v30, -v9, v28, v24
	s_delay_alu instid0(VALU_DEP_1) | instskip(NEXT) | instid1(VALU_DEP_1)
	v_dual_fmac_f32 v26, v29, v18 :: v_dual_fmac_f32 v28, v30, v20
	v_dual_fma_f32 v7, -v7, v26, v27 :: v_dual_fma_f32 v9, -v9, v28, v24
	s_delay_alu instid0(VALU_DEP_1) | instskip(SKIP_1) | instid1(VALU_DEP_2)
	v_div_fmas_f32 v7, v7, v18, v26
	s_mov_b32 vcc_lo, s0
	v_div_fmas_f32 v9, v9, v20, v28
	s_delay_alu instid0(VALU_DEP_2) | instskip(NEXT) | instid1(VALU_DEP_2)
	v_div_fixup_f32 v7, v7, v8, v6
	v_div_fixup_f32 v6, v9, v8, v16
                                        ; implicit-def: $vgpr8
.LBB100_188:                            ;   in Loop: Header=BB100_180 Depth=1
	s_and_not1_saveexec_b32 s18, s18
	s_cbranch_execz .LBB100_191
; %bb.189:                              ;   in Loop: Header=BB100_180 Depth=1
	v_lshrrev_b32_e32 v6, 23, v8
	v_cmp_ngt_f32_e64 s19, 0x48000000, |v10|
	v_and_or_b32 v16, v8, s6, 0x800000
                                        ; implicit-def: $vgpr9
	s_delay_alu instid0(VALU_DEP_3) | instskip(SKIP_1) | instid1(SALU_CYCLE_1)
	v_add_nc_u32_e32 v7, 0xffffff88, v6
                                        ; implicit-def: $vgpr6
	s_and_saveexec_b32 s0, s19
	s_xor_b32 s20, exec_lo, s0
	s_cbranch_execz .LBB100_192
; %bb.190:                              ;   in Loop: Header=BB100_180 Depth=1
	v_mul_u64_e32 v[26:27], s[4:5], v[16:17]
	v_mov_b32_e32 v29, v17
	v_cmp_lt_u32_e32 vcc_lo, 63, v7
	v_mov_b32_e32 v39, v17
	v_cndmask_b32_e64 v6, 0, 0xffffffc0, vcc_lo
	s_delay_alu instid0(VALU_DEP_1) | instskip(NEXT) | instid1(VALU_DEP_1)
	v_add_nc_u32_e32 v6, v6, v7
	v_cmp_lt_u32_e64 s0, 31, v6
	s_delay_alu instid0(VALU_DEP_1) | instskip(SKIP_1) | instid1(VALU_DEP_1)
	v_cndmask_b32_e64 v9, 0, 0xffffffe0, s0
	v_mov_b32_e32 v28, v27
	v_mad_nc_u64_u32 v[28:29], 0x3c439041, v16, v[28:29]
	s_delay_alu instid0(VALU_DEP_1) | instskip(NEXT) | instid1(VALU_DEP_1)
	v_dual_mov_b32 v31, v17 :: v_dual_mov_b32 v30, v29
	v_mad_nc_u64_u32 v[30:31], 0xdb629599, v16, v[30:31]
	s_delay_alu instid0(VALU_DEP_1) | instskip(NEXT) | instid1(VALU_DEP_1)
	v_dual_mov_b32 v33, v17 :: v_dual_mov_b32 v32, v31
	;; [unrolled: 3-line block ×4, first 2 shown]
	v_mad_nc_u64_u32 v[36:37], 0x4e441529, v16, v[36:37]
	s_delay_alu instid0(VALU_DEP_1) | instskip(NEXT) | instid1(VALU_DEP_1)
	v_dual_mov_b32 v38, v37 :: v_dual_cndmask_b32 v18, v36, v32, vcc_lo
	v_mad_nc_u64_u32 v[38:39], 0xa2f9836e, v16, v[38:39]
	s_delay_alu instid0(VALU_DEP_1) | instskip(NEXT) | instid1(VALU_DEP_1)
	v_dual_add_nc_u32 v6, v9, v6 :: v_dual_cndmask_b32 v24, v39, v36, vcc_lo
	v_cmp_lt_u32_e64 s1, 31, v6
	s_delay_alu instid0(VALU_DEP_3) | instskip(NEXT) | instid1(VALU_DEP_2)
	v_cndmask_b32_e32 v20, v38, v34, vcc_lo
	v_cndmask_b32_e64 v9, 0, 0xffffffe0, s1
	s_delay_alu instid0(VALU_DEP_1) | instskip(SKIP_1) | instid1(VALU_DEP_4)
	v_dual_cndmask_b32 v9, v32, v28 :: v_dual_add_nc_u32 v6, v9, v6
	v_cndmask_b32_e32 v27, v34, v30, vcc_lo
	v_cndmask_b32_e64 v28, v20, v18, s0
	s_delay_alu instid0(VALU_DEP_2) | instskip(NEXT) | instid1(VALU_DEP_4)
	v_dual_cndmask_b32 v20, v24, v20, s0 :: v_dual_cndmask_b32 v18, v18, v27, s0
	v_dual_cndmask_b32 v27, v27, v9, s0 :: v_dual_sub_nc_u32 v24, 32, v6
	s_delay_alu instid0(VALU_DEP_2) | instskip(NEXT) | instid1(VALU_DEP_2)
	v_cndmask_b32_e64 v20, v20, v28, s1
	v_dual_cndmask_b32 v28, v28, v18, s1 :: v_dual_cndmask_b32 v18, v18, v27, s1
	s_delay_alu instid0(VALU_DEP_1) | instskip(SKIP_2) | instid1(VALU_DEP_4)
	v_alignbit_b32 v29, v20, v28, v24
	v_cndmask_b32_e32 v26, v30, v26, vcc_lo
	v_cmp_eq_u32_e32 vcc_lo, 0, v6
	v_alignbit_b32 v30, v28, v18, v24
	s_delay_alu instid0(VALU_DEP_4) | instskip(NEXT) | instid1(VALU_DEP_2)
	v_cndmask_b32_e32 v6, v29, v20, vcc_lo
	v_dual_cndmask_b32 v9, v9, v26, s0 :: v_dual_cndmask_b32 v20, v30, v28, vcc_lo
	s_delay_alu instid0(VALU_DEP_2) | instskip(NEXT) | instid1(VALU_DEP_2)
	v_bfe_u32 v26, v6, 29, 1
	v_cndmask_b32_e64 v9, v27, v9, s1
	s_delay_alu instid0(VALU_DEP_3) | instskip(NEXT) | instid1(VALU_DEP_3)
	v_alignbit_b32 v27, v6, v20, 30
	v_sub_nc_u32_e32 v28, 0, v26
	s_delay_alu instid0(VALU_DEP_3) | instskip(NEXT) | instid1(VALU_DEP_1)
	v_alignbit_b32 v24, v18, v9, v24
	v_dual_cndmask_b32 v18, v24, v18, vcc_lo :: v_dual_bitop2_b32 v27, v27, v28 bitop3:0x14
	s_delay_alu instid0(VALU_DEP_1) | instskip(NEXT) | instid1(VALU_DEP_2)
	v_clz_i32_u32_e32 v24, v27
	v_alignbit_b32 v20, v20, v18, 30
	v_alignbit_b32 v9, v18, v9, 30
	s_delay_alu instid0(VALU_DEP_3) | instskip(NEXT) | instid1(VALU_DEP_3)
	v_min_u32_e32 v24, 32, v24
	v_xor_b32_e32 v18, v20, v28
	s_delay_alu instid0(VALU_DEP_3) | instskip(NEXT) | instid1(VALU_DEP_3)
	v_dual_lshrrev_b32 v28, 29, v6 :: v_dual_bitop2_b32 v9, v9, v28 bitop3:0x14
	v_sub_nc_u32_e32 v20, 31, v24
	s_delay_alu instid0(VALU_DEP_1) | instskip(NEXT) | instid1(VALU_DEP_3)
	v_alignbit_b32 v27, v27, v18, v20
	v_alignbit_b32 v9, v18, v9, v20
	s_delay_alu instid0(VALU_DEP_4) | instskip(SKIP_1) | instid1(VALU_DEP_3)
	v_lshlrev_b32_e32 v18, 31, v28
	v_lshlrev_b32_e32 v29, 23, v24
	v_alignbit_b32 v20, v27, v9, 9
	s_delay_alu instid0(VALU_DEP_3) | instskip(SKIP_1) | instid1(VALU_DEP_3)
	v_dual_lshrrev_b32 v27, 9, v27 :: v_dual_bitop2_b32 v28, 0.5, v18 bitop3:0x54
	v_or_b32_e32 v18, 0x33000000, v18
	v_clz_i32_u32_e32 v30, v20
	s_delay_alu instid0(VALU_DEP_3) | instskip(NEXT) | instid1(VALU_DEP_2)
	v_sub_nc_u32_e32 v28, v28, v29
	v_min_u32_e32 v29, 32, v30
	s_delay_alu instid0(VALU_DEP_1) | instskip(NEXT) | instid1(VALU_DEP_1)
	v_add_lshl_u32 v24, v29, v24, 23
	v_sub_nc_u32_e32 v18, v18, v24
	s_delay_alu instid0(VALU_DEP_4) | instskip(SKIP_1) | instid1(VALU_DEP_1)
	v_or_b32_e32 v27, v27, v28
	v_not_b32_e32 v28, v29
	v_alignbit_b32 v9, v20, v9, v28
	s_delay_alu instid0(VALU_DEP_1) | instskip(NEXT) | instid1(VALU_DEP_1)
	v_dual_mul_f32 v30, 0x3fc90fda, v27 :: v_dual_lshrrev_b32 v9, 9, v9
	v_or_b32_e32 v9, v18, v9
	s_delay_alu instid0(VALU_DEP_2) | instskip(NEXT) | instid1(VALU_DEP_1)
	v_fma_f32 v20, 0x3fc90fda, v27, -v30
	v_fmac_f32_e32 v20, 0x33a22168, v27
	s_delay_alu instid0(VALU_DEP_1) | instskip(NEXT) | instid1(VALU_DEP_1)
	v_dual_fmac_f32 v20, 0x3fc90fda, v9 :: v_dual_lshrrev_b32 v9, 30, v6
	v_add_f32_e32 v6, v30, v20
	s_delay_alu instid0(VALU_DEP_2)
	v_add_nc_u32_e32 v9, v26, v9
	s_and_not1_saveexec_b32 s0, s20
	s_branch .LBB100_193
.LBB100_191:                            ;   in Loop: Header=BB100_180 Depth=1
	s_or_b32 exec_lo, exec_lo, s18
	s_and_not1_saveexec_b32 s0, s17
	s_cbranch_execnz .LBB100_200
	s_branch .LBB100_201
.LBB100_192:                            ;   in Loop: Header=BB100_180 Depth=1
	s_and_not1_saveexec_b32 s0, s20
.LBB100_193:                            ;   in Loop: Header=BB100_180 Depth=1
	v_mul_f32_e64 v6, 0x3f22f983, |v10|
	s_delay_alu instid0(VALU_DEP_1) | instskip(NEXT) | instid1(VALU_DEP_1)
	v_rndne_f32_e32 v9, v6
	v_fma_f32 v6, 0xbfc90fda, v9, |v10|
	s_delay_alu instid0(VALU_DEP_1) | instskip(NEXT) | instid1(VALU_DEP_1)
	v_fmac_f32_e32 v6, 0xb3a22168, v9
	v_fmac_f32_e32 v6, 0xa7c234c4, v9
	v_cvt_i32_f32_e32 v9, v9
; %bb.194:                              ;   in Loop: Header=BB100_180 Depth=1
	s_or_b32 exec_lo, exec_lo, s0
                                        ; implicit-def: $vgpr20
                                        ; implicit-def: $vgpr18
	s_and_saveexec_b32 s0, s19
	s_delay_alu instid0(SALU_CYCLE_1)
	s_xor_b32 s19, exec_lo, s0
	s_cbranch_execz .LBB100_196
; %bb.195:                              ;   in Loop: Header=BB100_180 Depth=1
	v_mul_u64_e32 v[26:27], s[4:5], v[16:17]
	v_mov_b32_e32 v29, v17
	v_cmp_lt_u32_e32 vcc_lo, 63, v7
	v_mov_b32_e32 v39, v17
	v_cndmask_b32_e64 v18, 0, 0xffffffc0, vcc_lo
	s_delay_alu instid0(VALU_DEP_1) | instskip(NEXT) | instid1(VALU_DEP_1)
	v_add_nc_u32_e32 v7, v18, v7
	v_cmp_lt_u32_e64 s0, 31, v7
	s_delay_alu instid0(VALU_DEP_1) | instskip(NEXT) | instid1(VALU_DEP_1)
	v_cndmask_b32_e64 v18, 0, 0xffffffe0, s0
	v_dual_mov_b32 v28, v27 :: v_dual_add_nc_u32 v7, v18, v7
	s_delay_alu instid0(VALU_DEP_1) | instskip(NEXT) | instid1(VALU_DEP_2)
	v_cmp_lt_u32_e64 s1, 31, v7
	v_mad_nc_u64_u32 v[28:29], 0x3c439041, v16, v[28:29]
	s_delay_alu instid0(VALU_DEP_1) | instskip(NEXT) | instid1(VALU_DEP_1)
	v_dual_mov_b32 v31, v17 :: v_dual_mov_b32 v30, v29
	v_mad_nc_u64_u32 v[30:31], 0xdb629599, v16, v[30:31]
	s_delay_alu instid0(VALU_DEP_1) | instskip(NEXT) | instid1(VALU_DEP_2)
	v_dual_mov_b32 v33, v17 :: v_dual_mov_b32 v32, v31
	v_cndmask_b32_e32 v26, v30, v26, vcc_lo
	s_delay_alu instid0(VALU_DEP_2) | instskip(NEXT) | instid1(VALU_DEP_1)
	v_mad_nc_u64_u32 v[32:33], 0xf534ddc0, v16, v[32:33]
	v_dual_mov_b32 v35, v17 :: v_dual_mov_b32 v34, v33
	s_delay_alu instid0(VALU_DEP_1) | instskip(NEXT) | instid1(VALU_DEP_1)
	v_mad_nc_u64_u32 v[34:35], 0xfc2757d1, v16, v[34:35]
	v_dual_mov_b32 v37, v17 :: v_dual_mov_b32 v36, v35
	s_delay_alu instid0(VALU_DEP_2) | instskip(NEXT) | instid1(VALU_DEP_2)
	v_cndmask_b32_e32 v27, v34, v30, vcc_lo
	v_mad_nc_u64_u32 v[36:37], 0x4e441529, v16, v[36:37]
	s_delay_alu instid0(VALU_DEP_1) | instskip(NEXT) | instid1(VALU_DEP_1)
	v_mov_b32_e32 v38, v37
	v_mad_nc_u64_u32 v[38:39], 0xa2f9836e, v16, v[38:39]
	v_cndmask_b32_e64 v16, 0, 0xffffffe0, s1
	s_delay_alu instid0(VALU_DEP_4) | instskip(NEXT) | instid1(VALU_DEP_2)
	v_cndmask_b32_e32 v18, v36, v32, vcc_lo
	v_dual_cndmask_b32 v20, v38, v34 :: v_dual_add_nc_u32 v7, v16, v7
	s_delay_alu instid0(VALU_DEP_4) | instskip(SKIP_1) | instid1(VALU_DEP_3)
	v_cndmask_b32_e32 v24, v39, v36, vcc_lo
	v_cndmask_b32_e32 v16, v32, v28, vcc_lo
	v_dual_cndmask_b32 v28, v20, v18, s0 :: v_dual_cndmask_b32 v18, v18, v27, s0
	s_delay_alu instid0(VALU_DEP_2) | instskip(NEXT) | instid1(VALU_DEP_4)
	v_cndmask_b32_e64 v27, v27, v16, s0
	v_dual_cndmask_b32 v20, v24, v20, s0 :: v_dual_sub_nc_u32 v24, 32, v7
	v_cmp_eq_u32_e32 vcc_lo, 0, v7
	s_delay_alu instid0(VALU_DEP_2) | instskip(NEXT) | instid1(VALU_DEP_4)
	v_cndmask_b32_e64 v20, v20, v28, s1
	v_dual_cndmask_b32 v28, v28, v18, s1 :: v_dual_cndmask_b32 v18, v18, v27, s1
	s_delay_alu instid0(VALU_DEP_1) | instskip(NEXT) | instid1(VALU_DEP_1)
	v_alignbit_b32 v29, v20, v28, v24
	v_cndmask_b32_e32 v7, v29, v20, vcc_lo
	s_delay_alu instid0(VALU_DEP_3) | instskip(SKIP_1) | instid1(VALU_DEP_3)
	v_alignbit_b32 v30, v28, v18, v24
	v_cndmask_b32_e64 v16, v16, v26, s0
	v_bfe_u32 v26, v7, 29, 1
	s_delay_alu instid0(VALU_DEP_3) | instskip(NEXT) | instid1(VALU_DEP_2)
	v_cndmask_b32_e32 v20, v30, v28, vcc_lo
	v_dual_cndmask_b32 v16, v27, v16, s1 :: v_dual_sub_nc_u32 v28, 0, v26
	s_delay_alu instid0(VALU_DEP_2) | instskip(NEXT) | instid1(VALU_DEP_2)
	v_alignbit_b32 v27, v7, v20, 30
	v_alignbit_b32 v24, v18, v16, v24
	s_delay_alu instid0(VALU_DEP_1) | instskip(NEXT) | instid1(VALU_DEP_1)
	v_dual_cndmask_b32 v18, v24, v18, vcc_lo :: v_dual_bitop2_b32 v27, v27, v28 bitop3:0x14
	v_clz_i32_u32_e32 v24, v27
	s_delay_alu instid0(VALU_DEP_2) | instskip(SKIP_1) | instid1(VALU_DEP_3)
	v_alignbit_b32 v20, v20, v18, 30
	v_alignbit_b32 v16, v18, v16, 30
	v_min_u32_e32 v24, 32, v24
	s_delay_alu instid0(VALU_DEP_3) | instskip(NEXT) | instid1(VALU_DEP_3)
	v_xor_b32_e32 v18, v20, v28
	v_dual_lshrrev_b32 v28, 29, v7 :: v_dual_bitop2_b32 v16, v16, v28 bitop3:0x14
	s_delay_alu instid0(VALU_DEP_3) | instskip(NEXT) | instid1(VALU_DEP_1)
	v_dual_lshrrev_b32 v7, 30, v7 :: v_dual_sub_nc_u32 v20, 31, v24
	v_alignbit_b32 v27, v27, v18, v20
	s_delay_alu instid0(VALU_DEP_3) | instskip(NEXT) | instid1(VALU_DEP_4)
	v_alignbit_b32 v16, v18, v16, v20
	v_lshlrev_b32_e32 v18, 31, v28
	v_lshlrev_b32_e32 v29, 23, v24
	s_delay_alu instid0(VALU_DEP_3) | instskip(NEXT) | instid1(VALU_DEP_3)
	v_alignbit_b32 v20, v27, v16, 9
	v_dual_lshrrev_b32 v27, 9, v27 :: v_dual_bitop2_b32 v28, 0.5, v18 bitop3:0x54
	v_or_b32_e32 v18, 0x33000000, v18
	s_delay_alu instid0(VALU_DEP_3) | instskip(NEXT) | instid1(VALU_DEP_3)
	v_clz_i32_u32_e32 v30, v20
	v_sub_nc_u32_e32 v28, v28, v29
	s_delay_alu instid0(VALU_DEP_2) | instskip(NEXT) | instid1(VALU_DEP_1)
	v_min_u32_e32 v29, 32, v30
	v_add_lshl_u32 v24, v29, v24, 23
	s_delay_alu instid0(VALU_DEP_1) | instskip(NEXT) | instid1(VALU_DEP_4)
	v_sub_nc_u32_e32 v18, v18, v24
	v_or_b32_e32 v27, v27, v28
	v_not_b32_e32 v28, v29
	s_delay_alu instid0(VALU_DEP_2) | instskip(NEXT) | instid1(VALU_DEP_2)
	v_mul_f32_e32 v30, 0x3fc90fda, v27
	v_alignbit_b32 v16, v20, v16, v28
	s_delay_alu instid0(VALU_DEP_2) | instskip(NEXT) | instid1(VALU_DEP_2)
	v_fma_f32 v20, 0x3fc90fda, v27, -v30
	v_lshrrev_b32_e32 v16, 9, v16
	s_delay_alu instid0(VALU_DEP_2) | instskip(NEXT) | instid1(VALU_DEP_2)
	v_fmac_f32_e32 v20, 0x33a22168, v27
	v_or_b32_e32 v16, v18, v16
	s_delay_alu instid0(VALU_DEP_1) | instskip(NEXT) | instid1(VALU_DEP_1)
	v_fmac_f32_e32 v20, 0x3fc90fda, v16
	v_add_f32_e32 v18, v30, v20
	v_add_nc_u32_e32 v20, v26, v7
	s_and_not1_saveexec_b32 s0, s19
	s_cbranch_execnz .LBB100_197
	s_branch .LBB100_198
.LBB100_196:                            ;   in Loop: Header=BB100_180 Depth=1
	s_and_not1_saveexec_b32 s0, s19
.LBB100_197:                            ;   in Loop: Header=BB100_180 Depth=1
	v_mul_f32_e64 v7, 0x3f22f983, |v10|
	s_delay_alu instid0(VALU_DEP_1) | instskip(NEXT) | instid1(VALU_DEP_1)
	v_rndne_f32_e32 v7, v7
	v_fma_f32 v18, 0xbfc90fda, v7, |v10|
	v_cvt_i32_f32_e32 v20, v7
	s_delay_alu instid0(VALU_DEP_2) | instskip(NEXT) | instid1(VALU_DEP_1)
	v_fmac_f32_e32 v18, 0xb3a22168, v7
	v_fmac_f32_e32 v18, 0xa7c234c4, v7
.LBB100_198:                            ;   in Loop: Header=BB100_180 Depth=1
	s_or_b32 exec_lo, exec_lo, s0
	v_dual_mul_f32 v7, v6, v6 :: v_dual_bitop2_b32 v16, 1, v9 bitop3:0x40
	v_lshlrev_b32_e32 v9, 30, v9
	v_mul_f32_e64 v24, 0xbfb8aa3b, |v11|
	s_delay_alu instid0(VALU_DEP_3) | instskip(SKIP_1) | instid1(VALU_DEP_4)
	v_dual_mul_f32 v28, v18, v18 :: v_dual_fmaak_f32 v27, s14, v7, 0xbab64f3b
	v_fmaak_f32 v26, s13, v7, 0x3c0881c4
	v_bitop3_b32 v8, v8, v9, 0x80000000 bitop3:0x78
	s_delay_alu instid0(VALU_DEP_4)
	v_rndne_f32_e32 v9, v24
	v_fma_f32 v29, 0xbfb8aa3b, |v11|, -v24
	v_fmaak_f32 v30, s13, v28, 0x3c0881c4
	v_fmaak_f32 v26, v7, v26, 0xbe2aaa9d
	;; [unrolled: 1-line block ×3, first 2 shown]
	v_dual_fmaak_f32 v31, s14, v28, 0xbab64f3b :: v_dual_sub_f32 v24, v24, v9
	v_fma_f32 v29, 0xb2a5705f, |v11|, v29
	s_delay_alu instid0(VALU_DEP_3) | instskip(SKIP_3) | instid1(VALU_DEP_4)
	v_dual_mul_f32 v26, v7, v26 :: v_dual_fmaak_f32 v27, v7, v27, 0xbf000004
	v_fmaak_f32 v30, v28, v30, 0xbe2aaa9d
	v_cmp_eq_u32_e32 vcc_lo, 0, v16
	v_cvt_i32_f32_e32 v9, v9
	v_fmac_f32_e32 v6, v6, v26
	v_fma_f32 v7, v7, v27, 1.0
	v_dual_fmaak_f32 v26, v28, v31, 0x3d2aabf7 :: v_dual_mul_f32 v27, v28, v30
	s_delay_alu instid0(VALU_DEP_2) | instskip(NEXT) | instid1(VALU_DEP_2)
	v_dual_add_f32 v24, v24, v29 :: v_dual_cndmask_b32 v6, v7, v6, vcc_lo
	v_dual_fmaak_f32 v7, v28, v26, 0xbf000004 :: v_dual_fmac_f32 v18, v18, v27
	s_delay_alu instid0(VALU_DEP_2) | instskip(NEXT) | instid1(VALU_DEP_2)
	v_exp_f32_e32 v16, v24
	v_xor3_b32 v6, v8, v6, v10
	s_delay_alu instid0(VALU_DEP_2) | instskip(SKIP_1) | instid1(TRANS32_DEP_1)
	v_fma_f32 v7, v28, v7, 1.0
	v_and_b32_e32 v24, 1, v20
	v_ldexp_f32 v8, v16, v9
	v_lshlrev_b32_e32 v9, 30, v20
	s_delay_alu instid0(VALU_DEP_3) | instskip(SKIP_3) | instid1(VALU_DEP_3)
	v_cmp_eq_u32_e32 vcc_lo, 0, v24
	v_cndmask_b32_e64 v7, -v18, v7, vcc_lo
	v_cmp_nlt_f32_e64 vcc_lo, 0x42ce8ed0, |v11|
	v_mul_f32_e32 v6, 4.0, v6
	v_bitop3_b32 v7, v9, v7, 0x80000000 bitop3:0x6c
	v_cndmask_b32_e32 v8, 0, v8, vcc_lo
	v_cmp_ngt_f32_e64 vcc_lo, 0xc2b17218, |v11|
	s_delay_alu instid0(VALU_DEP_3) | instskip(SKIP_1) | instid1(VALU_DEP_4)
	v_mul_f32_e32 v6, v6, v7
	v_xor_b32_e32 v7, 0x80000000, v11
	v_cndmask_b32_e32 v8, 0x7f800000, v8, vcc_lo
	s_delay_alu instid0(VALU_DEP_2) | instskip(NEXT) | instid1(VALU_DEP_2)
	v_bfi_b32 v7, 0x7fffffff, 1.0, v7
	v_mul_f32_e32 v6, v8, v6
	s_delay_alu instid0(VALU_DEP_1)
	v_mul_f32_e32 v6, v8, v6
	s_or_b32 exec_lo, exec_lo, s18
.LBB100_199:                            ;   in Loop: Header=BB100_180 Depth=1
	s_and_not1_saveexec_b32 s0, s17
.LBB100_200:                            ;   in Loop: Header=BB100_180 Depth=1
	v_sub_f32_e32 v6, v10, v10
	s_delay_alu instid0(VALU_DEP_1)
	v_mov_b32_e32 v7, v6
.LBB100_201:                            ;   in Loop: Header=BB100_180 Depth=1
	s_or_b32 exec_lo, exec_lo, s0
.LBB100_202:                            ;   in Loop: Header=BB100_180 Depth=1
	s_and_not1_saveexec_b32 s16, s16
	s_cbranch_execz .LBB100_218
; %bb.203:                              ;   in Loop: Header=BB100_180 Depth=1
	v_xor_b32_e32 v7, 0x80000000, v11
	s_delay_alu instid0(VALU_DEP_1) | instskip(NEXT) | instid1(VALU_DEP_1)
	v_and_b32_e32 v6, 0x7fffff, v7
	v_cmp_ne_u32_e32 vcc_lo, 0, v6
                                        ; implicit-def: $vgpr6
	s_and_saveexec_b32 s0, vcc_lo
	s_delay_alu instid0(SALU_CYCLE_1)
	s_xor_b32 s0, exec_lo, s0
; %bb.204:                              ;   in Loop: Header=BB100_180 Depth=1
	v_mul_f32_e64 v6, v10, -v11
	v_cmp_eq_f32_e32 vcc_lo, 0, v10
	s_delay_alu instid0(VALU_DEP_2)
	v_cndmask_b32_e32 v6, v6, v10, vcc_lo
; %bb.205:                              ;   in Loop: Header=BB100_180 Depth=1
	s_and_not1_saveexec_b32 s17, s0
	s_cbranch_execz .LBB100_217
; %bb.206:                              ;   in Loop: Header=BB100_180 Depth=1
	s_mov_b32 s18, exec_lo
	v_cmpx_neq_f32_e64 0x7f800000, |v10|
	s_cbranch_execz .LBB100_216
; %bb.207:                              ;   in Loop: Header=BB100_180 Depth=1
	v_and_b32_e32 v6, 0x7fffffff, v10
	v_cmp_ngt_f32_e64 s19, 0x48000000, |v10|
                                        ; implicit-def: $vgpr9
	s_delay_alu instid0(VALU_DEP_2) | instskip(SKIP_1) | instid1(VALU_DEP_2)
	v_lshrrev_b32_e32 v8, 23, v6
	v_and_or_b32 v16, v6, s6, 0x800000
	v_add_nc_u32_e32 v11, 0xffffff88, v8
                                        ; implicit-def: $vgpr8
	s_and_saveexec_b32 s0, s19
	s_delay_alu instid0(SALU_CYCLE_1)
	s_xor_b32 s20, exec_lo, s0
	s_cbranch_execz .LBB100_209
; %bb.208:                              ;   in Loop: Header=BB100_180 Depth=1
	v_mul_u64_e32 v[8:9], s[4:5], v[16:17]
	v_mov_b32_e32 v27, v17
	v_cmp_lt_u32_e32 vcc_lo, 63, v11
	s_delay_alu instid0(VALU_DEP_3) | instskip(SKIP_1) | instid1(VALU_DEP_2)
	v_mov_b32_e32 v26, v9
	v_cndmask_b32_e64 v9, 0, 0xffffffc0, vcc_lo
	v_mad_nc_u64_u32 v[26:27], 0x3c439041, v16, v[26:27]
	s_delay_alu instid0(VALU_DEP_1) | instskip(NEXT) | instid1(VALU_DEP_1)
	v_dual_mov_b32 v29, v17 :: v_dual_mov_b32 v28, v27
	v_mad_nc_u64_u32 v[28:29], 0xdb629599, v16, v[28:29]
	s_delay_alu instid0(VALU_DEP_1) | instskip(NEXT) | instid1(VALU_DEP_1)
	v_dual_mov_b32 v31, v17 :: v_dual_mov_b32 v30, v29
	;; [unrolled: 3-line block ×3, first 2 shown]
	v_mad_nc_u64_u32 v[32:33], 0xfc2757d1, v16, v[32:33]
	s_delay_alu instid0(VALU_DEP_1) | instskip(NEXT) | instid1(VALU_DEP_2)
	v_dual_mov_b32 v35, v17 :: v_dual_mov_b32 v34, v33
	v_cndmask_b32_e32 v29, v32, v28, vcc_lo
	s_delay_alu instid0(VALU_DEP_2) | instskip(NEXT) | instid1(VALU_DEP_1)
	v_mad_nc_u64_u32 v[34:35], 0x4e441529, v16, v[34:35]
	v_dual_mov_b32 v36, v35 :: v_dual_add_nc_u32 v9, v9, v11
	s_delay_alu instid0(VALU_DEP_1) | instskip(NEXT) | instid1(VALU_DEP_1)
	v_cmp_lt_u32_e64 s0, 31, v9
	v_cndmask_b32_e64 v18, 0, 0xffffffe0, s0
	s_delay_alu instid0(VALU_DEP_1) | instskip(NEXT) | instid1(VALU_DEP_1)
	v_dual_mov_b32 v37, v17 :: v_dual_add_nc_u32 v9, v18, v9
	v_mad_nc_u64_u32 v[36:37], 0xa2f9836e, v16, v[36:37]
	v_cndmask_b32_e32 v20, v34, v30, vcc_lo
	s_delay_alu instid0(VALU_DEP_3) | instskip(NEXT) | instid1(VALU_DEP_1)
	v_cmp_lt_u32_e64 s1, 31, v9
	v_cndmask_b32_e64 v18, 0, 0xffffffe0, s1
	s_delay_alu instid0(VALU_DEP_4) | instskip(NEXT) | instid1(VALU_DEP_2)
	v_dual_cndmask_b32 v24, v36, v32 :: v_dual_cndmask_b32 v27, v37, v34
	v_add_nc_u32_e32 v9, v18, v9
	s_delay_alu instid0(VALU_DEP_2) | instskip(NEXT) | instid1(VALU_DEP_3)
	v_dual_cndmask_b32 v18, v30, v26, vcc_lo :: v_dual_cndmask_b32 v26, v24, v20, s0
	v_dual_cndmask_b32 v24, v27, v24, s0 :: v_dual_cndmask_b32 v20, v20, v29, s0
	s_delay_alu instid0(VALU_DEP_2) | instskip(NEXT) | instid1(VALU_DEP_2)
	v_dual_sub_nc_u32 v27, 32, v9 :: v_dual_cndmask_b32 v29, v29, v18, s0
	v_dual_cndmask_b32 v24, v24, v26, s1 :: v_dual_cndmask_b32 v26, v26, v20, s1
	s_delay_alu instid0(VALU_DEP_2) | instskip(SKIP_2) | instid1(VALU_DEP_4)
	v_cndmask_b32_e64 v20, v20, v29, s1
	v_cndmask_b32_e32 v8, v28, v8, vcc_lo
	v_cmp_eq_u32_e32 vcc_lo, 0, v9
	v_alignbit_b32 v30, v24, v26, v27
	s_delay_alu instid0(VALU_DEP_4) | instskip(NEXT) | instid1(VALU_DEP_4)
	v_alignbit_b32 v28, v26, v20, v27
	v_cndmask_b32_e64 v8, v18, v8, s0
	s_delay_alu instid0(VALU_DEP_2) | instskip(NEXT) | instid1(VALU_DEP_2)
	v_dual_cndmask_b32 v9, v30, v24 :: v_dual_cndmask_b32 v18, v28, v26
	v_cndmask_b32_e64 v8, v29, v8, s1
	s_delay_alu instid0(VALU_DEP_2) | instskip(NEXT) | instid1(VALU_DEP_2)
	v_bfe_u32 v24, v9, 29, 1
	v_alignbit_b32 v27, v20, v8, v27
	s_delay_alu instid0(VALU_DEP_2) | instskip(SKIP_1) | instid1(VALU_DEP_3)
	v_sub_nc_u32_e32 v28, 0, v24
	v_alignbit_b32 v26, v9, v18, 30
	v_cndmask_b32_e32 v20, v27, v20, vcc_lo
	s_delay_alu instid0(VALU_DEP_2) | instskip(NEXT) | instid1(VALU_DEP_2)
	v_xor_b32_e32 v26, v26, v28
	v_alignbit_b32 v18, v18, v20, 30
	v_alignbit_b32 v8, v20, v8, 30
	s_delay_alu instid0(VALU_DEP_3) | instskip(NEXT) | instid1(VALU_DEP_1)
	v_clz_i32_u32_e32 v27, v26
	v_min_u32_e32 v27, 32, v27
	s_delay_alu instid0(VALU_DEP_1) | instskip(SKIP_1) | instid1(VALU_DEP_1)
	v_dual_lshlrev_b32 v29, 23, v27 :: v_dual_bitop2_b32 v18, v18, v28 bitop3:0x14
	v_sub_nc_u32_e32 v20, 31, v27
	v_alignbit_b32 v26, v26, v18, v20
	v_dual_lshrrev_b32 v28, 29, v9 :: v_dual_bitop2_b32 v8, v8, v28 bitop3:0x14
	v_lshrrev_b32_e32 v9, 30, v9
	s_delay_alu instid0(VALU_DEP_2) | instskip(NEXT) | instid1(VALU_DEP_2)
	v_alignbit_b32 v8, v18, v8, v20
	v_dual_lshlrev_b32 v18, 31, v28 :: v_dual_add_nc_u32 v9, v24, v9
	s_delay_alu instid0(VALU_DEP_2) | instskip(NEXT) | instid1(VALU_DEP_2)
	v_alignbit_b32 v20, v26, v8, 9
	v_or_b32_e32 v28, 0.5, v18
	v_or_b32_e32 v18, 0x33000000, v18
	v_lshrrev_b32_e32 v26, 9, v26
	s_delay_alu instid0(VALU_DEP_4) | instskip(NEXT) | instid1(VALU_DEP_4)
	v_clz_i32_u32_e32 v30, v20
	v_sub_nc_u32_e32 v28, v28, v29
	s_delay_alu instid0(VALU_DEP_2) | instskip(NEXT) | instid1(VALU_DEP_1)
	v_min_u32_e32 v29, 32, v30
	v_add_lshl_u32 v27, v29, v27, 23
	s_delay_alu instid0(VALU_DEP_1) | instskip(NEXT) | instid1(VALU_DEP_4)
	v_sub_nc_u32_e32 v18, v18, v27
	v_or_b32_e32 v26, v26, v28
	v_not_b32_e32 v28, v29
	s_delay_alu instid0(VALU_DEP_2) | instskip(NEXT) | instid1(VALU_DEP_2)
	v_mul_f32_e32 v30, 0x3fc90fda, v26
	v_alignbit_b32 v8, v20, v8, v28
	s_delay_alu instid0(VALU_DEP_2) | instskip(NEXT) | instid1(VALU_DEP_2)
	v_fma_f32 v20, 0x3fc90fda, v26, -v30
	v_lshrrev_b32_e32 v8, 9, v8
	s_delay_alu instid0(VALU_DEP_2) | instskip(NEXT) | instid1(VALU_DEP_2)
	v_fmac_f32_e32 v20, 0x33a22168, v26
	v_or_b32_e32 v8, v18, v8
	s_delay_alu instid0(VALU_DEP_1) | instskip(NEXT) | instid1(VALU_DEP_1)
	v_fmac_f32_e32 v20, 0x3fc90fda, v8
	v_add_f32_e32 v8, v30, v20
.LBB100_209:                            ;   in Loop: Header=BB100_180 Depth=1
	s_or_saveexec_b32 s0, s20
	v_mul_f32_e64 v18, 0x3f22f983, |v10|
	s_delay_alu instid0(VALU_DEP_1)
	v_rndne_f32_e32 v24, v18
	s_xor_b32 exec_lo, exec_lo, s0
; %bb.210:                              ;   in Loop: Header=BB100_180 Depth=1
	s_delay_alu instid0(VALU_DEP_1) | instskip(SKIP_1) | instid1(VALU_DEP_2)
	v_fma_f32 v8, 0xbfc90fda, v24, |v10|
	v_cvt_i32_f32_e32 v9, v24
	v_fmac_f32_e32 v8, 0xb3a22168, v24
	s_delay_alu instid0(VALU_DEP_1)
	v_fmac_f32_e32 v8, 0xa7c234c4, v24
; %bb.211:                              ;   in Loop: Header=BB100_180 Depth=1
	s_or_b32 exec_lo, exec_lo, s0
                                        ; implicit-def: $vgpr20
                                        ; implicit-def: $vgpr18
	s_and_saveexec_b32 s0, s19
	s_delay_alu instid0(SALU_CYCLE_1)
	s_xor_b32 s19, exec_lo, s0
	s_cbranch_execz .LBB100_213
; %bb.212:                              ;   in Loop: Header=BB100_180 Depth=1
	v_mul_u64_e32 v[26:27], s[4:5], v[16:17]
	v_mov_b32_e32 v29, v17
	v_cmp_lt_u32_e32 vcc_lo, 63, v11
	v_mov_b32_e32 v39, v17
	v_cndmask_b32_e64 v18, 0, 0xffffffc0, vcc_lo
	s_delay_alu instid0(VALU_DEP_1) | instskip(NEXT) | instid1(VALU_DEP_1)
	v_add_nc_u32_e32 v11, v18, v11
	v_cmp_lt_u32_e64 s0, 31, v11
	s_delay_alu instid0(VALU_DEP_1) | instskip(NEXT) | instid1(VALU_DEP_1)
	v_cndmask_b32_e64 v18, 0, 0xffffffe0, s0
	v_dual_mov_b32 v28, v27 :: v_dual_add_nc_u32 v11, v18, v11
	s_delay_alu instid0(VALU_DEP_1) | instskip(NEXT) | instid1(VALU_DEP_2)
	v_cmp_lt_u32_e64 s1, 31, v11
	v_mad_nc_u64_u32 v[28:29], 0x3c439041, v16, v[28:29]
	s_delay_alu instid0(VALU_DEP_1) | instskip(NEXT) | instid1(VALU_DEP_1)
	v_dual_mov_b32 v31, v17 :: v_dual_mov_b32 v30, v29
	v_mad_nc_u64_u32 v[30:31], 0xdb629599, v16, v[30:31]
	s_delay_alu instid0(VALU_DEP_1) | instskip(NEXT) | instid1(VALU_DEP_2)
	v_dual_mov_b32 v33, v17 :: v_dual_mov_b32 v32, v31
	v_cndmask_b32_e32 v26, v30, v26, vcc_lo
	s_delay_alu instid0(VALU_DEP_2) | instskip(NEXT) | instid1(VALU_DEP_1)
	v_mad_nc_u64_u32 v[32:33], 0xf534ddc0, v16, v[32:33]
	v_dual_mov_b32 v35, v17 :: v_dual_mov_b32 v34, v33
	s_delay_alu instid0(VALU_DEP_1) | instskip(NEXT) | instid1(VALU_DEP_1)
	v_mad_nc_u64_u32 v[34:35], 0xfc2757d1, v16, v[34:35]
	v_dual_mov_b32 v37, v17 :: v_dual_mov_b32 v36, v35
	s_delay_alu instid0(VALU_DEP_2) | instskip(NEXT) | instid1(VALU_DEP_2)
	v_cndmask_b32_e32 v27, v34, v30, vcc_lo
	v_mad_nc_u64_u32 v[36:37], 0x4e441529, v16, v[36:37]
	s_delay_alu instid0(VALU_DEP_1) | instskip(NEXT) | instid1(VALU_DEP_1)
	v_mov_b32_e32 v38, v37
	v_mad_nc_u64_u32 v[38:39], 0xa2f9836e, v16, v[38:39]
	v_cndmask_b32_e64 v16, 0, 0xffffffe0, s1
	s_delay_alu instid0(VALU_DEP_4) | instskip(NEXT) | instid1(VALU_DEP_2)
	v_cndmask_b32_e32 v18, v36, v32, vcc_lo
	v_dual_cndmask_b32 v20, v38, v34 :: v_dual_add_nc_u32 v11, v16, v11
	s_delay_alu instid0(VALU_DEP_4) | instskip(SKIP_1) | instid1(VALU_DEP_3)
	v_cndmask_b32_e32 v24, v39, v36, vcc_lo
	v_cndmask_b32_e32 v16, v32, v28, vcc_lo
	v_dual_cndmask_b32 v28, v20, v18, s0 :: v_dual_cndmask_b32 v18, v18, v27, s0
	s_delay_alu instid0(VALU_DEP_2) | instskip(NEXT) | instid1(VALU_DEP_4)
	v_cndmask_b32_e64 v27, v27, v16, s0
	v_dual_cndmask_b32 v20, v24, v20, s0 :: v_dual_sub_nc_u32 v24, 32, v11
	v_cmp_eq_u32_e32 vcc_lo, 0, v11
	s_delay_alu instid0(VALU_DEP_2) | instskip(NEXT) | instid1(VALU_DEP_4)
	v_cndmask_b32_e64 v20, v20, v28, s1
	v_dual_cndmask_b32 v28, v28, v18, s1 :: v_dual_cndmask_b32 v18, v18, v27, s1
	s_delay_alu instid0(VALU_DEP_1) | instskip(NEXT) | instid1(VALU_DEP_1)
	v_alignbit_b32 v29, v20, v28, v24
	v_cndmask_b32_e32 v11, v29, v20, vcc_lo
	s_delay_alu instid0(VALU_DEP_3) | instskip(SKIP_1) | instid1(VALU_DEP_3)
	v_alignbit_b32 v30, v28, v18, v24
	v_cndmask_b32_e64 v16, v16, v26, s0
	v_bfe_u32 v26, v11, 29, 1
	s_delay_alu instid0(VALU_DEP_3) | instskip(NEXT) | instid1(VALU_DEP_2)
	v_cndmask_b32_e32 v20, v30, v28, vcc_lo
	v_dual_cndmask_b32 v16, v27, v16, s1 :: v_dual_sub_nc_u32 v28, 0, v26
	s_delay_alu instid0(VALU_DEP_2) | instskip(NEXT) | instid1(VALU_DEP_2)
	v_alignbit_b32 v27, v11, v20, 30
	v_alignbit_b32 v24, v18, v16, v24
	s_delay_alu instid0(VALU_DEP_1) | instskip(NEXT) | instid1(VALU_DEP_1)
	v_dual_cndmask_b32 v18, v24, v18, vcc_lo :: v_dual_bitop2_b32 v27, v27, v28 bitop3:0x14
	v_clz_i32_u32_e32 v24, v27
	s_delay_alu instid0(VALU_DEP_2) | instskip(SKIP_1) | instid1(VALU_DEP_3)
	v_alignbit_b32 v20, v20, v18, 30
	v_alignbit_b32 v16, v18, v16, 30
	v_min_u32_e32 v24, 32, v24
	s_delay_alu instid0(VALU_DEP_3) | instskip(NEXT) | instid1(VALU_DEP_3)
	v_xor_b32_e32 v18, v20, v28
	v_dual_lshrrev_b32 v28, 29, v11 :: v_dual_bitop2_b32 v16, v16, v28 bitop3:0x14
	s_delay_alu instid0(VALU_DEP_3) | instskip(NEXT) | instid1(VALU_DEP_1)
	v_dual_lshrrev_b32 v11, 30, v11 :: v_dual_sub_nc_u32 v20, 31, v24
	v_alignbit_b32 v27, v27, v18, v20
	s_delay_alu instid0(VALU_DEP_3) | instskip(NEXT) | instid1(VALU_DEP_4)
	v_alignbit_b32 v16, v18, v16, v20
	v_lshlrev_b32_e32 v18, 31, v28
	v_lshlrev_b32_e32 v29, 23, v24
	s_delay_alu instid0(VALU_DEP_3) | instskip(NEXT) | instid1(VALU_DEP_3)
	v_alignbit_b32 v20, v27, v16, 9
	v_dual_lshrrev_b32 v27, 9, v27 :: v_dual_bitop2_b32 v28, 0.5, v18 bitop3:0x54
	v_or_b32_e32 v18, 0x33000000, v18
	s_delay_alu instid0(VALU_DEP_3) | instskip(NEXT) | instid1(VALU_DEP_3)
	v_clz_i32_u32_e32 v30, v20
	v_sub_nc_u32_e32 v28, v28, v29
	s_delay_alu instid0(VALU_DEP_2) | instskip(NEXT) | instid1(VALU_DEP_1)
	v_min_u32_e32 v29, 32, v30
	v_add_lshl_u32 v24, v29, v24, 23
	s_delay_alu instid0(VALU_DEP_1) | instskip(NEXT) | instid1(VALU_DEP_4)
	v_sub_nc_u32_e32 v18, v18, v24
	v_or_b32_e32 v27, v27, v28
	v_not_b32_e32 v28, v29
                                        ; implicit-def: $vgpr24
	s_delay_alu instid0(VALU_DEP_2) | instskip(NEXT) | instid1(VALU_DEP_2)
	v_mul_f32_e32 v30, 0x3fc90fda, v27
	v_alignbit_b32 v16, v20, v16, v28
	s_delay_alu instid0(VALU_DEP_2) | instskip(NEXT) | instid1(VALU_DEP_2)
	v_fma_f32 v20, 0x3fc90fda, v27, -v30
	v_lshrrev_b32_e32 v16, 9, v16
	s_delay_alu instid0(VALU_DEP_2) | instskip(NEXT) | instid1(VALU_DEP_2)
	v_fmac_f32_e32 v20, 0x33a22168, v27
	v_or_b32_e32 v16, v18, v16
	s_delay_alu instid0(VALU_DEP_1) | instskip(NEXT) | instid1(VALU_DEP_1)
	v_fmac_f32_e32 v20, 0x3fc90fda, v16
	v_add_f32_e32 v18, v30, v20
	v_add_nc_u32_e32 v20, v26, v11
	s_and_not1_saveexec_b32 s0, s19
	s_cbranch_execnz .LBB100_214
	s_branch .LBB100_215
.LBB100_213:                            ;   in Loop: Header=BB100_180 Depth=1
	s_and_not1_saveexec_b32 s0, s19
.LBB100_214:                            ;   in Loop: Header=BB100_180 Depth=1
	v_fma_f32 v18, 0xbfc90fda, v24, |v10|
	v_cvt_i32_f32_e32 v20, v24
	s_delay_alu instid0(VALU_DEP_2) | instskip(NEXT) | instid1(VALU_DEP_1)
	v_fmac_f32_e32 v18, 0xb3a22168, v24
	v_fmac_f32_e32 v18, 0xa7c234c4, v24
.LBB100_215:                            ;   in Loop: Header=BB100_180 Depth=1
	s_or_b32 exec_lo, exec_lo, s0
	s_delay_alu instid0(VALU_DEP_1) | instskip(SKIP_2) | instid1(VALU_DEP_3)
	v_dual_mul_f32 v11, v8, v8 :: v_dual_mul_f32 v16, v18, v18
	v_dual_lshlrev_b32 v9, 30, v9 :: v_dual_bitop2_b32 v24, 1, v9 bitop3:0x40
	v_and_b32_e32 v30, 1, v20
	v_fmaak_f32 v26, s13, v11, 0x3c0881c4
	s_delay_alu instid0(VALU_DEP_4) | instskip(NEXT) | instid1(VALU_DEP_4)
	v_fmaak_f32 v28, s13, v16, 0x3c0881c4
	v_cmp_eq_u32_e32 vcc_lo, 0, v24
	v_bitop3_b32 v6, v6, v9, 0x80000000 bitop3:0x78
	v_lshlrev_b32_e32 v20, 30, v20
	v_fmaak_f32 v26, v11, v26, 0xbe2aaa9d
	v_fmaak_f32 v27, s14, v11, 0xbab64f3b
	;; [unrolled: 1-line block ×3, first 2 shown]
	s_delay_alu instid0(VALU_DEP_3) | instskip(NEXT) | instid1(VALU_DEP_2)
	v_dual_mul_f32 v26, v11, v26 :: v_dual_fmaak_f32 v29, s14, v16, 0xbab64f3b
	v_dual_fmaak_f32 v27, v11, v27, 0x3d2aabf7 :: v_dual_mul_f32 v28, v16, v28
	s_delay_alu instid0(VALU_DEP_2) | instskip(NEXT) | instid1(VALU_DEP_3)
	v_fmac_f32_e32 v8, v8, v26
	v_fmaak_f32 v29, v16, v29, 0x3d2aabf7
	s_delay_alu instid0(VALU_DEP_3) | instskip(NEXT) | instid1(VALU_DEP_1)
	v_dual_fmaak_f32 v27, v11, v27, 0xbf000004 :: v_dual_fmac_f32 v18, v18, v28
	v_fma_f32 v11, v11, v27, 1.0
	s_delay_alu instid0(VALU_DEP_1) | instskip(NEXT) | instid1(VALU_DEP_1)
	v_dual_fmaak_f32 v29, v16, v29, 0xbf000004 :: v_dual_cndmask_b32 v8, v11, v8
	v_fma_f32 v16, v16, v29, 1.0
	v_cmp_eq_u32_e32 vcc_lo, 0, v30
	s_delay_alu instid0(VALU_DEP_3) | instskip(NEXT) | instid1(VALU_DEP_3)
	v_xor3_b32 v6, v6, v8, v10
	v_cndmask_b32_e64 v9, -v18, v16, vcc_lo
	v_cmp_class_f32_e64 vcc_lo, v10, 0x1f8
	s_delay_alu instid0(VALU_DEP_2) | instskip(NEXT) | instid1(VALU_DEP_1)
	v_bitop3_b32 v8, v20, v9, 0x80000000 bitop3:0x6c
	v_mul_f32_e32 v6, v6, v8
	s_delay_alu instid0(VALU_DEP_1)
	v_cndmask_b32_e32 v10, 0x7fc00000, v6, vcc_lo
.LBB100_216:                            ;   in Loop: Header=BB100_180 Depth=1
	s_or_b32 exec_lo, exec_lo, s18
	v_add_nc_u32_e32 v7, -2.0, v7
	s_delay_alu instid0(VALU_DEP_2)
	v_bfi_b32 v6, 0x7fffffff, 0, v10
.LBB100_217:                            ;   in Loop: Header=BB100_180 Depth=1
	s_or_b32 exec_lo, exec_lo, s17
.LBB100_218:                            ;   in Loop: Header=BB100_180 Depth=1
	s_delay_alu instid0(SALU_CYCLE_1) | instskip(SKIP_2) | instid1(VALU_DEP_1)
	s_or_b32 exec_lo, exec_lo, s16
	v_and_b32_e32 v20, 0x7fffffff, v13
                                        ; implicit-def: $vgpr9
	s_mov_b32 s0, exec_lo
	v_cmpx_gt_u32_e32 0x7f800000, v20
	s_xor_b32 s16, exec_lo, s0
	s_cbranch_execz .LBB100_240
; %bb.219:                              ;   in Loop: Header=BB100_180 Depth=1
	v_cmp_class_f32_e64 s0, v12, 0x1f8
                                        ; implicit-def: $vgpr9
	s_and_saveexec_b32 s1, s0
	s_delay_alu instid0(SALU_CYCLE_1)
	s_xor_b32 s17, exec_lo, s1
	s_cbranch_execz .LBB100_237
; %bb.220:                              ;   in Loop: Header=BB100_180 Depth=1
	v_and_b32_e32 v10, 0x7fffffff, v12
                                        ; implicit-def: $vgpr9
	s_mov_b32 s0, exec_lo
	v_cmpx_gt_u32_e32 0x41300000, v20
	s_xor_b32 s18, exec_lo, s0
	s_cbranch_execz .LBB100_226
; %bb.221:                              ;   in Loop: Header=BB100_180 Depth=1
                                        ; implicit-def: $vgpr8
                                        ; implicit-def: $vgpr9
	s_mov_b32 s1, exec_lo
	v_cmpx_ngt_f32_e64 0x48000000, |v12|
	s_xor_b32 s19, exec_lo, s1
	s_cbranch_execz .LBB100_223
; %bb.222:                              ;   in Loop: Header=BB100_180 Depth=1
	v_and_or_b32 v16, v10, s6, 0x800000
	v_dual_mov_b32 v35, v17 :: v_dual_mov_b32 v37, v17
	s_delay_alu instid0(VALU_DEP_2) | instskip(NEXT) | instid1(VALU_DEP_1)
	v_mul_u64_e32 v[8:9], s[4:5], v[16:17]
	v_dual_mov_b32 v27, v17 :: v_dual_mov_b32 v26, v9
	v_lshrrev_b32_e32 v9, 23, v10
	s_delay_alu instid0(VALU_DEP_2) | instskip(SKIP_1) | instid1(VALU_DEP_3)
	v_mad_nc_u64_u32 v[26:27], 0x3c439041, v16, v[26:27]
	v_mov_b32_e32 v29, v17
	v_add_nc_u32_e32 v9, 0xffffff88, v9
	s_delay_alu instid0(VALU_DEP_1) | instskip(NEXT) | instid1(VALU_DEP_4)
	v_cmp_lt_u32_e32 vcc_lo, 63, v9
	v_mov_b32_e32 v28, v27
	v_cndmask_b32_e64 v11, 0, 0xffffffc0, vcc_lo
	s_delay_alu instid0(VALU_DEP_2) | instskip(NEXT) | instid1(VALU_DEP_2)
	v_mad_nc_u64_u32 v[28:29], 0xdb629599, v16, v[28:29]
	v_dual_mov_b32 v31, v17 :: v_dual_add_nc_u32 v9, v11, v9
	s_delay_alu instid0(VALU_DEP_1) | instskip(NEXT) | instid1(VALU_DEP_3)
	v_cmp_lt_u32_e64 s0, 31, v9
	v_mov_b32_e32 v30, v29
	s_delay_alu instid0(VALU_DEP_2) | instskip(NEXT) | instid1(VALU_DEP_2)
	v_cndmask_b32_e64 v11, 0, 0xffffffe0, s0
	v_mad_nc_u64_u32 v[30:31], 0xf534ddc0, v16, v[30:31]
	s_delay_alu instid0(VALU_DEP_1) | instskip(NEXT) | instid1(VALU_DEP_1)
	v_dual_mov_b32 v33, v17 :: v_dual_mov_b32 v32, v31
	v_mad_nc_u64_u32 v[32:33], 0xfc2757d1, v16, v[32:33]
	s_delay_alu instid0(VALU_DEP_1) | instskip(NEXT) | instid1(VALU_DEP_1)
	v_dual_mov_b32 v34, v33 :: v_dual_cndmask_b32 v27, v32, v28
	v_mad_nc_u64_u32 v[34:35], 0x4e441529, v16, v[34:35]
	s_delay_alu instid0(VALU_DEP_1) | instskip(NEXT) | instid1(VALU_DEP_1)
	v_mov_b32_e32 v36, v35
	v_mad_nc_u64_u32 v[36:37], 0xa2f9836e, v16, v[36:37]
	s_delay_alu instid0(VALU_DEP_3) | instskip(NEXT) | instid1(VALU_DEP_2)
	v_dual_cndmask_b32 v16, v34, v30 :: v_dual_add_nc_u32 v9, v11, v9
	v_dual_cndmask_b32 v18, v36, v32, vcc_lo :: v_dual_cndmask_b32 v24, v37, v34, vcc_lo
	s_delay_alu instid0(VALU_DEP_2) | instskip(NEXT) | instid1(VALU_DEP_1)
	v_cmp_lt_u32_e64 s1, 31, v9
	v_cndmask_b32_e64 v11, 0, 0xffffffe0, s1
	s_delay_alu instid0(VALU_DEP_1) | instskip(NEXT) | instid1(VALU_DEP_4)
	v_dual_add_nc_u32 v9, v11, v9 :: v_dual_cndmask_b32 v11, v30, v26, vcc_lo
	v_dual_cndmask_b32 v26, v18, v16, s0 :: v_dual_cndmask_b32 v18, v24, v18, s0
	s_delay_alu instid0(VALU_DEP_2) | instskip(NEXT) | instid1(VALU_DEP_2)
	v_dual_cndmask_b32 v16, v16, v27, s0 :: v_dual_sub_nc_u32 v24, 32, v9
	v_dual_cndmask_b32 v27, v27, v11, s0 :: v_dual_cndmask_b32 v18, v18, v26, s1
	s_delay_alu instid0(VALU_DEP_1) | instskip(NEXT) | instid1(VALU_DEP_1)
	v_dual_cndmask_b32 v26, v26, v16, s1 :: v_dual_cndmask_b32 v16, v16, v27, s1
	v_alignbit_b32 v29, v18, v26, v24
	v_cndmask_b32_e32 v8, v28, v8, vcc_lo
	v_cmp_eq_u32_e32 vcc_lo, 0, v9
	s_delay_alu instid0(VALU_DEP_4) | instskip(NEXT) | instid1(VALU_DEP_3)
	v_alignbit_b32 v28, v26, v16, v24
	v_dual_cndmask_b32 v9, v29, v18, vcc_lo :: v_dual_cndmask_b32 v8, v11, v8, s0
	s_delay_alu instid0(VALU_DEP_2) | instskip(NEXT) | instid1(VALU_DEP_2)
	v_cndmask_b32_e32 v11, v28, v26, vcc_lo
	v_bfe_u32 v18, v9, 29, 1
	s_delay_alu instid0(VALU_DEP_3) | instskip(NEXT) | instid1(VALU_DEP_3)
	v_cndmask_b32_e64 v8, v27, v8, s1
	v_alignbit_b32 v26, v9, v11, 30
	s_delay_alu instid0(VALU_DEP_3) | instskip(NEXT) | instid1(VALU_DEP_3)
	v_sub_nc_u32_e32 v27, 0, v18
	v_alignbit_b32 v24, v16, v8, v24
	s_delay_alu instid0(VALU_DEP_1) | instskip(NEXT) | instid1(VALU_DEP_1)
	v_dual_cndmask_b32 v16, v24, v16, vcc_lo :: v_dual_bitop2_b32 v26, v26, v27 bitop3:0x14
	v_clz_i32_u32_e32 v24, v26
	s_delay_alu instid0(VALU_DEP_2) | instskip(SKIP_1) | instid1(VALU_DEP_3)
	v_alignbit_b32 v11, v11, v16, 30
	v_alignbit_b32 v8, v16, v8, 30
	v_min_u32_e32 v24, 32, v24
	s_delay_alu instid0(VALU_DEP_3) | instskip(NEXT) | instid1(VALU_DEP_3)
	v_xor_b32_e32 v11, v11, v27
	v_dual_lshrrev_b32 v27, 29, v9 :: v_dual_bitop2_b32 v8, v8, v27 bitop3:0x14
	s_delay_alu instid0(VALU_DEP_3) | instskip(NEXT) | instid1(VALU_DEP_1)
	v_dual_sub_nc_u32 v16, 31, v24 :: v_dual_lshlrev_b32 v28, 23, v24
	v_alignbit_b32 v26, v26, v11, v16
	s_delay_alu instid0(VALU_DEP_3) | instskip(NEXT) | instid1(VALU_DEP_4)
	v_alignbit_b32 v8, v11, v8, v16
	v_lshlrev_b32_e32 v11, 31, v27
	s_delay_alu instid0(VALU_DEP_2) | instskip(NEXT) | instid1(VALU_DEP_2)
	v_alignbit_b32 v16, v26, v8, 9
	v_dual_lshrrev_b32 v26, 9, v26 :: v_dual_bitop2_b32 v27, 0.5, v11 bitop3:0x54
	v_or_b32_e32 v11, 0x33000000, v11
	s_delay_alu instid0(VALU_DEP_3) | instskip(NEXT) | instid1(VALU_DEP_3)
	v_clz_i32_u32_e32 v29, v16
	v_sub_nc_u32_e32 v27, v27, v28
	s_delay_alu instid0(VALU_DEP_2) | instskip(NEXT) | instid1(VALU_DEP_1)
	v_min_u32_e32 v28, 32, v29
	v_add_lshl_u32 v24, v28, v24, 23
	s_delay_alu instid0(VALU_DEP_3) | instskip(SKIP_1) | instid1(VALU_DEP_3)
	v_or_b32_e32 v26, v26, v27
	v_not_b32_e32 v27, v28
	v_sub_nc_u32_e32 v11, v11, v24
	s_delay_alu instid0(VALU_DEP_2) | instskip(NEXT) | instid1(VALU_DEP_1)
	v_alignbit_b32 v8, v16, v8, v27
	v_dual_mul_f32 v29, 0x3fc90fda, v26 :: v_dual_lshrrev_b32 v8, 9, v8
	s_delay_alu instid0(VALU_DEP_1) | instskip(NEXT) | instid1(VALU_DEP_2)
	v_fma_f32 v16, 0x3fc90fda, v26, -v29
	v_or_b32_e32 v8, v11, v8
	s_delay_alu instid0(VALU_DEP_2) | instskip(NEXT) | instid1(VALU_DEP_1)
	v_fmac_f32_e32 v16, 0x33a22168, v26
	v_fmac_f32_e32 v16, 0x3fc90fda, v8
	s_delay_alu instid0(VALU_DEP_1) | instskip(NEXT) | instid1(VALU_DEP_1)
	v_dual_add_f32 v9, v29, v16 :: v_dual_lshrrev_b32 v8, 30, v9
	v_add_nc_u32_e32 v8, v18, v8
.LBB100_223:                            ;   in Loop: Header=BB100_180 Depth=1
	s_and_not1_saveexec_b32 s0, s19
; %bb.224:                              ;   in Loop: Header=BB100_180 Depth=1
	v_mul_f32_e64 v8, 0x3f22f983, |v12|
	s_delay_alu instid0(VALU_DEP_1) | instskip(NEXT) | instid1(VALU_DEP_1)
	v_rndne_f32_e32 v8, v8
	v_fma_f32 v9, 0xbfc90fda, v8, |v12|
	s_delay_alu instid0(VALU_DEP_1) | instskip(NEXT) | instid1(VALU_DEP_1)
	v_fmac_f32_e32 v9, 0xb3a22168, v8
	v_fmac_f32_e32 v9, 0xa7c234c4, v8
	v_cvt_i32_f32_e32 v8, v8
; %bb.225:                              ;   in Loop: Header=BB100_180 Depth=1
	s_or_b32 exec_lo, exec_lo, s0
	v_add_f32_e64 v11, 0xbf317218, |v13|
	v_cmp_nlt_f32_e64 vcc_lo, 0x42b2d4fc, |v13|
	v_cmp_gt_f32_e64 s0, 0x39800000, |v13|
	v_and_b32_e32 v8, 1, v8
	s_delay_alu instid0(VALU_DEP_4) | instskip(NEXT) | instid1(VALU_DEP_1)
	v_sub_f32_e64 v27, v11, |v13|
	v_sub_f32_e32 v26, v27, v11
	s_delay_alu instid0(VALU_DEP_1) | instskip(NEXT) | instid1(VALU_DEP_1)
	v_pk_add_f32 v[26:27], v[20:21], v[26:27]
	v_sub_f32_e32 v16, v26, v27
	s_delay_alu instid0(VALU_DEP_1) | instskip(NEXT) | instid1(VALU_DEP_1)
	v_add_f32_e32 v16, 0x3102e308, v16
	v_add_f32_e32 v18, v11, v16
	s_delay_alu instid0(VALU_DEP_1) | instskip(NEXT) | instid1(VALU_DEP_1)
	v_dual_mul_f32 v20, 0x3fb8aa3b, v18 :: v_dual_sub_f32 v11, v11, v18
	v_rndne_f32_e32 v20, v20
	s_delay_alu instid0(VALU_DEP_1) | instskip(SKIP_1) | instid1(VALU_DEP_2)
	v_dual_add_f32 v11, v16, v11 :: v_dual_fmac_f32 v18, 0xbf317200, v20
	v_mul_f32_e32 v16, 0x35bfbc00, v20
	v_dual_mul_f32 v29, 0x2ea39ef3, v20 :: v_dual_add_f32 v24, v11, v18
	s_delay_alu instid0(VALU_DEP_1) | instskip(NEXT) | instid1(VALU_DEP_1)
	v_sub_f32_e32 v26, v24, v16
	v_dual_sub_f32 v18, v18, v24 :: v_dual_sub_f32 v24, v24, v26
	s_delay_alu instid0(VALU_DEP_1) | instskip(NEXT) | instid1(VALU_DEP_1)
	v_dual_add_f32 v11, v11, v18 :: v_dual_sub_f32 v16, v24, v16
	v_add_f32_e32 v11, v11, v16
	s_delay_alu instid0(VALU_DEP_1) | instskip(NEXT) | instid1(VALU_DEP_1)
	v_add_f32_e32 v27, v26, v11
	v_mov_b32_e32 v28, v27
	s_delay_alu instid0(VALU_DEP_1) | instskip(NEXT) | instid1(VALU_DEP_1)
	v_pk_add_f32 v[30:31], v[26:27], v[28:29] neg_lo:[0,1] neg_hi:[0,1]
	v_sub_f32_e32 v16, v27, v31
	s_delay_alu instid0(VALU_DEP_1) | instskip(NEXT) | instid1(VALU_DEP_1)
	v_dual_add_f32 v11, v11, v30 :: v_dual_sub_f32 v16, v16, v29
	v_add_f32_e32 v11, v11, v16
	s_delay_alu instid0(VALU_DEP_1) | instskip(NEXT) | instid1(VALU_DEP_1)
	v_add_f32_e32 v16, v31, v11
	v_dual_mul_f32 v24, v16, v16 :: v_dual_sub_f32 v18, v31, v16
	v_mov_b64_e32 v[30:31], s[6:7]
	s_delay_alu instid0(VALU_DEP_2) | instskip(NEXT) | instid1(VALU_DEP_1)
	v_dual_fma_f32 v26, v16, v16, -v24 :: v_dual_add_f32 v11, v11, v18
	v_add_f32_e32 v27, v11, v11
	s_delay_alu instid0(VALU_DEP_1) | instskip(NEXT) | instid1(VALU_DEP_1)
	v_fmac_f32_e32 v26, v16, v27
	v_add_f32_e32 v27, v24, v26
	s_delay_alu instid0(VALU_DEP_1) | instskip(NEXT) | instid1(VALU_DEP_1)
	v_sub_f32_e32 v24, v27, v24
	v_sub_f32_e32 v24, v26, v24
	v_fmaak_f32 v18, s12, v16, 0x3c091de6
	s_delay_alu instid0(VALU_DEP_1) | instskip(NEXT) | instid1(VALU_DEP_1)
	v_fmaak_f32 v18, v16, v18, 0x3d2aadcc
	v_fmaak_f32 v18, v16, v18, 0x3e2aaa47
	s_delay_alu instid0(VALU_DEP_1) | instskip(NEXT) | instid1(VALU_DEP_1)
	v_fmaak_f32 v18, v16, v18, 0x3efffffc
	v_mul_f32_e32 v28, v18, v27
	s_delay_alu instid0(VALU_DEP_1) | instskip(NEXT) | instid1(VALU_DEP_1)
	v_fma_f32 v26, v27, v18, -v28
	v_fmac_f32_e32 v26, v24, v18
	s_delay_alu instid0(VALU_DEP_1) | instskip(NEXT) | instid1(VALU_DEP_1)
	v_add_f32_e32 v18, v28, v26
	v_sub_f32_e32 v27, v18, v28
	s_delay_alu instid0(VALU_DEP_1) | instskip(NEXT) | instid1(VALU_DEP_1)
	v_dual_sub_f32 v26, v26, v27 :: v_dual_add_f32 v24, v16, v18
	v_dual_add_f32 v11, v11, v26 :: v_dual_sub_f32 v16, v24, v16
	s_delay_alu instid0(VALU_DEP_1) | instskip(NEXT) | instid1(VALU_DEP_1)
	v_sub_f32_e32 v16, v18, v16
	v_add_f32_e32 v26, v11, v16
	v_cvt_i32_f32_e32 v16, v20
	s_delay_alu instid0(VALU_DEP_2) | instskip(NEXT) | instid1(VALU_DEP_1)
	v_add_f32_e32 v28, v24, v26
	v_dual_add_f32 v29, 1.0, v28 :: v_dual_mov_b32 v27, v28
	s_delay_alu instid0(VALU_DEP_1) | instskip(SKIP_1) | instid1(VALU_DEP_2)
	v_pk_add_f32 v[30:31], v[28:29], v[30:31]
	v_pk_add_f32 v[32:33], v[28:29], v[24:25] neg_lo:[0,1] neg_hi:[0,1]
	v_mov_b32_e32 v33, v31
	s_delay_alu instid0(VALU_DEP_1) | instskip(NEXT) | instid1(VALU_DEP_1)
	v_pk_add_f32 v[26:27], v[26:27], v[32:33] neg_lo:[0,1] neg_hi:[0,1]
	v_add_f32_e32 v11, v26, v27
	s_delay_alu instid0(VALU_DEP_1) | instskip(NEXT) | instid1(VALU_DEP_1)
	v_add_f32_e32 v18, v29, v11
	v_ldexp_f32 v20, v18, v16
	s_delay_alu instid0(VALU_DEP_1) | instskip(SKIP_1) | instid1(TRANS32_DEP_1)
	v_rcp_f32_e32 v24, v20
	v_nop
	v_dual_sub_f32 v18, v18, v29 :: v_dual_mul_f32 v26, v20, v24
	s_delay_alu instid0(VALU_DEP_1) | instskip(NEXT) | instid1(VALU_DEP_1)
	v_dual_sub_f32 v11, v11, v18 :: v_dual_fma_f32 v28, v24, v20, -v26
	v_ldexp_f32 v11, v11, v16
	s_delay_alu instid0(VALU_DEP_1) | instskip(NEXT) | instid1(VALU_DEP_1)
	v_fmac_f32_e32 v28, v24, v11
	v_add_f32_e32 v18, v26, v28
	s_delay_alu instid0(VALU_DEP_1) | instskip(NEXT) | instid1(VALU_DEP_1)
	v_dual_sub_f32 v27, 1.0, v18 :: v_dual_mov_b32 v29, v18
	v_pk_add_f32 v[30:31], v[18:19], v[26:27] neg_lo:[0,1] neg_hi:[0,1]
	s_delay_alu instid0(VALU_DEP_1) | instskip(NEXT) | instid1(VALU_DEP_1)
	v_pk_add_f32 v[28:29], v[30:31], v[28:29] neg_lo:[0,1] neg_hi:[0,1]
	v_add_f32_e32 v16, v28, v29
	s_delay_alu instid0(VALU_DEP_1) | instskip(NEXT) | instid1(VALU_DEP_1)
	v_add_f32_e32 v29, v27, v16
	v_mul_f32_e32 v18, v24, v29
	s_delay_alu instid0(VALU_DEP_1) | instskip(NEXT) | instid1(VALU_DEP_1)
	v_mul_f32_e32 v30, v20, v18
	v_fma_f32 v26, v18, v20, -v30
	s_delay_alu instid0(VALU_DEP_1) | instskip(NEXT) | instid1(VALU_DEP_1)
	v_dual_fmac_f32 v26, v18, v11 :: v_dual_sub_f32 v32, v27, v29
	v_dual_add_f32 v28, v30, v26 :: v_dual_add_f32 v16, v16, v32
	s_delay_alu instid0(VALU_DEP_1) | instskip(NEXT) | instid1(VALU_DEP_1)
	v_dual_sub_f32 v31, v29, v28 :: v_dual_mov_b32 v27, v28
	v_pk_add_f32 v[28:29], v[28:29], v[30:31] neg_lo:[0,1] neg_hi:[0,1]
	s_delay_alu instid0(VALU_DEP_1) | instskip(NEXT) | instid1(VALU_DEP_1)
	v_pk_add_f32 v[26:27], v[28:29], v[26:27] neg_lo:[0,1] neg_hi:[0,1]
	v_add_f32_e32 v16, v16, v27
	s_delay_alu instid0(VALU_DEP_1) | instskip(NEXT) | instid1(VALU_DEP_1)
	v_dual_add_f32 v27, v24, v18 :: v_dual_add_f32 v16, v26, v16
	v_sub_f32_e32 v26, v27, v24
	s_delay_alu instid0(VALU_DEP_1) | instskip(NEXT) | instid1(VALU_DEP_1)
	v_dual_add_f32 v16, v31, v16 :: v_dual_sub_f32 v18, v18, v26
	v_mul_f32_e32 v16, v24, v16
	s_delay_alu instid0(VALU_DEP_1) | instskip(NEXT) | instid1(VALU_DEP_1)
	v_add_f32_e32 v16, v18, v16
	v_add_f32_e32 v18, v27, v16
	s_delay_alu instid0(VALU_DEP_1) | instskip(NEXT) | instid1(VALU_DEP_1)
	v_ldexp_f32 v24, v18, -2
	v_dual_sub_f32 v18, v18, v27 :: v_dual_sub_f32 v26, v20, v24
	s_delay_alu instid0(VALU_DEP_1) | instskip(NEXT) | instid1(VALU_DEP_2)
	v_sub_f32_e32 v20, v20, v26
	v_sub_f32_e32 v16, v16, v18
	s_delay_alu instid0(VALU_DEP_2) | instskip(NEXT) | instid1(VALU_DEP_2)
	v_sub_f32_e32 v18, v20, v24
	v_ldexp_f32 v16, v16, -2
	v_xor_b32_e32 v20, 0x80000000, v13
	s_delay_alu instid0(VALU_DEP_3) | instskip(NEXT) | instid1(VALU_DEP_1)
	v_add_f32_e32 v11, v11, v18
	v_dual_sub_f32 v11, v11, v16 :: v_dual_mul_f32 v16, v9, v9
	s_delay_alu instid0(VALU_DEP_1) | instskip(NEXT) | instid1(VALU_DEP_1)
	v_dual_fmaak_f32 v18, s11, v16, 0xbf039337 :: v_dual_add_f32 v11, v26, v11
	v_fmaak_f32 v18, v16, v18, 0x3f93f425
	s_delay_alu instid0(VALU_DEP_2) | instskip(NEXT) | instid1(VALU_DEP_1)
	v_cndmask_b32_e32 v11, 0x7f800000, v11, vcc_lo
	v_cndmask_b32_e64 v11, v11, |v13|, s0
	s_delay_alu instid0(VALU_DEP_3) | instskip(SKIP_2) | instid1(VALU_DEP_3)
	v_rcp_f32_e32 v13, v18
	v_nop
	v_fmaak_f32 v18, s10, v16, 0x3ec54587
	v_bfi_b32 v11, 0x7fffffff, v11, v20
	s_delay_alu instid0(TRANS32_DEP_1) | instid1(VALU_DEP_2)
	v_mul_f32_e32 v13, v18, v13
	s_delay_alu instid0(VALU_DEP_2) | instskip(NEXT) | instid1(VALU_DEP_1)
	v_fma_f32 v18, v11, v11, 1.0
	v_dual_mul_f32 v13, v16, v13 :: v_dual_mul_f32 v16, 0x4f800000, v18
	v_cmp_gt_f32_e32 vcc_lo, 0xf800000, v18
	s_delay_alu instid0(VALU_DEP_2) | instskip(NEXT) | instid1(VALU_DEP_1)
	v_dual_fma_f32 v20, v13, v9, v9 :: v_dual_cndmask_b32 v16, v18, v16, vcc_lo
	v_rcp_f32_e32 v18, v20
	v_sub_f32_e32 v24, v20, v9
	s_delay_alu instid0(VALU_DEP_2) | instskip(NEXT) | instid1(VALU_DEP_1)
	v_sqrt_f32_e32 v26, v16
	v_fma_f32 v9, v13, v9, -v24
	s_delay_alu instid0(TRANS32_DEP_2) | instskip(NEXT) | instid1(TRANS32_DEP_1)
	v_fma_f32 v13, v20, -v18, 1.0
	v_add_nc_u32_e32 v24, -1, v26
	s_delay_alu instid0(VALU_DEP_2) | instskip(NEXT) | instid1(VALU_DEP_2)
	v_fma_f32 v9, v9, -v18, v13
	v_dual_add_nc_u32 v13, 1, v26 :: v_dual_fma_f32 v27, -v24, v26, v16
	s_delay_alu instid0(VALU_DEP_2) | instskip(NEXT) | instid1(VALU_DEP_2)
	v_fma_f32 v9, v9, -v18, -v18
	v_fma_f32 v18, -v13, v26, v16
	s_delay_alu instid0(VALU_DEP_3) | instskip(NEXT) | instid1(VALU_DEP_1)
	v_cmp_ge_f32_e64 s0, 0, v27
	v_cndmask_b32_e64 v24, v26, v24, s0
	v_cmp_eq_u32_e64 s0, 0, v8
	s_delay_alu instid0(VALU_DEP_1) | instskip(SKIP_1) | instid1(VALU_DEP_1)
	v_cndmask_b32_e64 v8, v9, v20, s0
	v_cmp_lt_f32_e64 s0, 0, v18
	v_cndmask_b32_e64 v9, v24, v13, s0
	s_delay_alu instid0(VALU_DEP_3) | instskip(NEXT) | instid1(VALU_DEP_1)
	v_xor3_b32 v12, v10, v8, v12
	v_fma_f32 v8, v12, v12, 1.0
	s_delay_alu instid0(VALU_DEP_3) | instskip(NEXT) | instid1(VALU_DEP_1)
	v_mul_f32_e32 v10, 0x37800000, v9
	v_cndmask_b32_e32 v10, v9, v10, vcc_lo
	v_cmp_class_f32_e64 vcc_lo, v16, 0x260
	s_delay_alu instid0(VALU_DEP_4) | instskip(NEXT) | instid1(VALU_DEP_3)
	v_mul_f32_e32 v9, v11, v8
	v_cndmask_b32_e32 v10, v10, v16, vcc_lo
	s_delay_alu instid0(VALU_DEP_1) | instskip(NEXT) | instid1(VALU_DEP_1)
	v_pk_mul_f32 v[8:9], v[10:11], v[8:9]
	v_dual_mul_f32 v8, v11, v8 :: v_dual_add_f32 v10, 1.0, v9
	s_delay_alu instid0(VALU_DEP_1) | instskip(SKIP_1) | instid1(VALU_DEP_2)
	v_div_scale_f32 v9, null, v10, v10, v8
	v_div_scale_f32 v11, null, v10, v10, v12
	v_rcp_f32_e32 v13, v9
	s_delay_alu instid0(VALU_DEP_1) | instskip(NEXT) | instid1(TRANS32_DEP_2)
	v_rcp_f32_e32 v16, v11
	v_fma_f32 v18, -v9, v13, 1.0
	s_delay_alu instid0(TRANS32_DEP_1) | instskip(NEXT) | instid1(VALU_DEP_2)
	v_fma_f32 v20, -v11, v16, 1.0
	v_fmac_f32_e32 v13, v18, v13
	v_div_scale_f32 v18, s0, v12, v10, v12
	s_delay_alu instid0(VALU_DEP_3) | instskip(NEXT) | instid1(VALU_DEP_1)
	v_fmac_f32_e32 v16, v20, v16
	v_mul_f32_e32 v26, v18, v16
	v_div_scale_f32 v24, vcc_lo, v8, v10, v8
	s_delay_alu instid0(VALU_DEP_1) | instskip(NEXT) | instid1(VALU_DEP_1)
	v_dual_fma_f32 v28, -v11, v26, v18 :: v_dual_mul_f32 v20, v24, v13
	v_fmac_f32_e32 v26, v28, v16
	s_delay_alu instid0(VALU_DEP_1) | instskip(NEXT) | instid1(VALU_DEP_1)
	v_dual_fma_f32 v27, -v9, v20, v24 :: v_dual_fma_f32 v11, -v11, v26, v18
	v_fmac_f32_e32 v20, v27, v13
	s_delay_alu instid0(VALU_DEP_1) | instskip(NEXT) | instid1(VALU_DEP_1)
	v_fma_f32 v9, -v9, v20, v24
	v_div_fmas_f32 v9, v9, v13, v20
	s_mov_b32 vcc_lo, s0
	v_div_fmas_f32 v11, v11, v16, v26
	s_delay_alu instid0(VALU_DEP_2) | instskip(NEXT) | instid1(VALU_DEP_2)
	v_div_fixup_f32 v9, v9, v10, v8
	v_div_fixup_f32 v8, v11, v10, v12
                                        ; implicit-def: $vgpr10_vgpr11_vgpr12_vgpr13
                                        ; implicit-def: $vgpr10
.LBB100_226:                            ;   in Loop: Header=BB100_180 Depth=1
	s_and_not1_saveexec_b32 s18, s18
	s_cbranch_execz .LBB100_236
; %bb.227:                              ;   in Loop: Header=BB100_180 Depth=1
	v_lshrrev_b32_e32 v8, 23, v10
	v_cmp_ngt_f32_e64 s19, 0x48000000, |v12|
	v_and_or_b32 v16, v10, s6, 0x800000
                                        ; implicit-def: $vgpr11
	s_delay_alu instid0(VALU_DEP_3) | instskip(SKIP_1) | instid1(SALU_CYCLE_1)
	v_add_nc_u32_e32 v9, 0xffffff88, v8
                                        ; implicit-def: $vgpr8
	s_and_saveexec_b32 s0, s19
	s_xor_b32 s20, exec_lo, s0
	s_cbranch_execz .LBB100_229
; %bb.228:                              ;   in Loop: Header=BB100_180 Depth=1
	v_mul_u64_e32 v[26:27], s[4:5], v[16:17]
	v_mov_b32_e32 v29, v17
	v_cmp_lt_u32_e32 vcc_lo, 63, v9
	v_mov_b32_e32 v39, v17
	v_cndmask_b32_e64 v8, 0, 0xffffffc0, vcc_lo
	s_delay_alu instid0(VALU_DEP_1) | instskip(NEXT) | instid1(VALU_DEP_1)
	v_add_nc_u32_e32 v8, v8, v9
	v_cmp_lt_u32_e64 s0, 31, v8
	s_delay_alu instid0(VALU_DEP_1) | instskip(NEXT) | instid1(VALU_DEP_1)
	v_cndmask_b32_e64 v11, 0, 0xffffffe0, s0
	v_add_nc_u32_e32 v8, v11, v8
	v_mov_b32_e32 v28, v27
	s_delay_alu instid0(VALU_DEP_2) | instskip(NEXT) | instid1(VALU_DEP_2)
	v_cmp_lt_u32_e64 s1, 31, v8
	v_mad_nc_u64_u32 v[28:29], 0x3c439041, v16, v[28:29]
	v_mov_b32_e32 v31, v17
	s_delay_alu instid0(VALU_DEP_3) | instskip(NEXT) | instid1(VALU_DEP_3)
	v_cndmask_b32_e64 v11, 0, 0xffffffe0, s1
	v_mov_b32_e32 v30, v29
	s_delay_alu instid0(VALU_DEP_1) | instskip(NEXT) | instid1(VALU_DEP_1)
	v_mad_nc_u64_u32 v[30:31], 0xdb629599, v16, v[30:31]
	v_dual_mov_b32 v33, v17 :: v_dual_mov_b32 v32, v31
	s_delay_alu instid0(VALU_DEP_1) | instskip(NEXT) | instid1(VALU_DEP_1)
	v_mad_nc_u64_u32 v[32:33], 0xf534ddc0, v16, v[32:33]
	v_dual_mov_b32 v35, v17 :: v_dual_mov_b32 v34, v33
	;; [unrolled: 3-line block ×3, first 2 shown]
	s_delay_alu instid0(VALU_DEP_2) | instskip(NEXT) | instid1(VALU_DEP_2)
	v_cndmask_b32_e32 v27, v34, v30, vcc_lo
	v_mad_nc_u64_u32 v[36:37], 0x4e441529, v16, v[36:37]
	s_delay_alu instid0(VALU_DEP_1) | instskip(NEXT) | instid1(VALU_DEP_1)
	v_mov_b32_e32 v38, v37
	v_mad_nc_u64_u32 v[38:39], 0xa2f9836e, v16, v[38:39]
	s_delay_alu instid0(VALU_DEP_1) | instskip(NEXT) | instid1(VALU_DEP_2)
	v_dual_cndmask_b32 v18, v36, v32, vcc_lo :: v_dual_cndmask_b32 v20, v38, v34, vcc_lo
	v_cndmask_b32_e32 v24, v39, v36, vcc_lo
	v_add_nc_u32_e32 v8, v11, v8
	v_cndmask_b32_e32 v11, v32, v28, vcc_lo
	s_delay_alu instid0(VALU_DEP_4) | instskip(NEXT) | instid1(VALU_DEP_4)
	v_cndmask_b32_e64 v28, v20, v18, s0
	v_dual_cndmask_b32 v20, v24, v20, s0 :: v_dual_cndmask_b32 v18, v18, v27, s0
	s_delay_alu instid0(VALU_DEP_3) | instskip(NEXT) | instid1(VALU_DEP_2)
	v_dual_sub_nc_u32 v24, 32, v8 :: v_dual_cndmask_b32 v27, v27, v11, s0
	v_cndmask_b32_e64 v20, v20, v28, s1
	s_delay_alu instid0(VALU_DEP_2) | instskip(NEXT) | instid1(VALU_DEP_1)
	v_dual_cndmask_b32 v28, v28, v18, s1 :: v_dual_cndmask_b32 v18, v18, v27, s1
	v_alignbit_b32 v29, v20, v28, v24
	v_cndmask_b32_e32 v26, v30, v26, vcc_lo
	v_cmp_eq_u32_e32 vcc_lo, 0, v8
	s_delay_alu instid0(VALU_DEP_4) | instskip(NEXT) | instid1(VALU_DEP_3)
	v_alignbit_b32 v30, v28, v18, v24
	v_dual_cndmask_b32 v8, v29, v20, vcc_lo :: v_dual_cndmask_b32 v11, v11, v26, s0
	s_delay_alu instid0(VALU_DEP_2) | instskip(NEXT) | instid1(VALU_DEP_2)
	v_cndmask_b32_e32 v20, v30, v28, vcc_lo
	v_bfe_u32 v26, v8, 29, 1
	s_delay_alu instid0(VALU_DEP_3) | instskip(NEXT) | instid1(VALU_DEP_3)
	v_cndmask_b32_e64 v11, v27, v11, s1
	v_alignbit_b32 v27, v8, v20, 30
	s_delay_alu instid0(VALU_DEP_3) | instskip(NEXT) | instid1(VALU_DEP_3)
	v_sub_nc_u32_e32 v28, 0, v26
	v_alignbit_b32 v24, v18, v11, v24
	s_delay_alu instid0(VALU_DEP_1) | instskip(NEXT) | instid1(VALU_DEP_1)
	v_dual_cndmask_b32 v18, v24, v18, vcc_lo :: v_dual_bitop2_b32 v27, v27, v28 bitop3:0x14
	v_clz_i32_u32_e32 v24, v27
	s_delay_alu instid0(VALU_DEP_2) | instskip(SKIP_1) | instid1(VALU_DEP_3)
	v_alignbit_b32 v20, v20, v18, 30
	v_alignbit_b32 v11, v18, v11, 30
	v_min_u32_e32 v24, 32, v24
	s_delay_alu instid0(VALU_DEP_3) | instskip(NEXT) | instid1(VALU_DEP_3)
	v_xor_b32_e32 v18, v20, v28
	v_xor_b32_e32 v11, v11, v28
	v_lshrrev_b32_e32 v28, 29, v8
	s_delay_alu instid0(VALU_DEP_4) | instskip(NEXT) | instid1(VALU_DEP_1)
	v_dual_sub_nc_u32 v20, 31, v24 :: v_dual_lshlrev_b32 v29, 23, v24
	v_alignbit_b32 v27, v27, v18, v20
	s_delay_alu instid0(VALU_DEP_4) | instskip(NEXT) | instid1(VALU_DEP_4)
	v_alignbit_b32 v11, v18, v11, v20
	v_lshlrev_b32_e32 v18, 31, v28
	s_delay_alu instid0(VALU_DEP_2) | instskip(NEXT) | instid1(VALU_DEP_2)
	v_alignbit_b32 v20, v27, v11, 9
	v_or_b32_e32 v28, 0.5, v18
	v_or_b32_e32 v18, 0x33000000, v18
	v_lshrrev_b32_e32 v27, 9, v27
	s_delay_alu instid0(VALU_DEP_4) | instskip(NEXT) | instid1(VALU_DEP_4)
	v_clz_i32_u32_e32 v30, v20
	v_sub_nc_u32_e32 v28, v28, v29
	s_delay_alu instid0(VALU_DEP_2) | instskip(NEXT) | instid1(VALU_DEP_1)
	v_min_u32_e32 v29, 32, v30
	v_add_lshl_u32 v24, v29, v24, 23
	s_delay_alu instid0(VALU_DEP_1) | instskip(NEXT) | instid1(VALU_DEP_4)
	v_sub_nc_u32_e32 v18, v18, v24
	v_or_b32_e32 v27, v27, v28
	v_not_b32_e32 v28, v29
	s_delay_alu instid0(VALU_DEP_2) | instskip(NEXT) | instid1(VALU_DEP_2)
	v_mul_f32_e32 v30, 0x3fc90fda, v27
	v_alignbit_b32 v11, v20, v11, v28
	s_delay_alu instid0(VALU_DEP_2) | instskip(NEXT) | instid1(VALU_DEP_2)
	v_fma_f32 v20, 0x3fc90fda, v27, -v30
	v_lshrrev_b32_e32 v11, 9, v11
	s_delay_alu instid0(VALU_DEP_2) | instskip(NEXT) | instid1(VALU_DEP_2)
	v_fmac_f32_e32 v20, 0x33a22168, v27
	v_or_b32_e32 v11, v18, v11
	s_delay_alu instid0(VALU_DEP_1) | instskip(NEXT) | instid1(VALU_DEP_1)
	v_dual_fmac_f32 v20, 0x3fc90fda, v11 :: v_dual_lshrrev_b32 v11, 30, v8
	v_add_f32_e32 v8, v30, v20
	s_delay_alu instid0(VALU_DEP_2)
	v_add_nc_u32_e32 v11, v26, v11
	s_and_not1_saveexec_b32 s0, s20
	s_branch .LBB100_230
.LBB100_229:                            ;   in Loop: Header=BB100_180 Depth=1
	s_and_not1_saveexec_b32 s0, s20
.LBB100_230:                            ;   in Loop: Header=BB100_180 Depth=1
	v_mul_f32_e64 v8, 0x3f22f983, |v12|
	s_delay_alu instid0(VALU_DEP_1) | instskip(NEXT) | instid1(VALU_DEP_1)
	v_rndne_f32_e32 v11, v8
	v_fma_f32 v8, 0xbfc90fda, v11, |v12|
	s_delay_alu instid0(VALU_DEP_1) | instskip(NEXT) | instid1(VALU_DEP_1)
	v_fmac_f32_e32 v8, 0xb3a22168, v11
	v_fmac_f32_e32 v8, 0xa7c234c4, v11
	v_cvt_i32_f32_e32 v11, v11
; %bb.231:                              ;   in Loop: Header=BB100_180 Depth=1
	s_or_b32 exec_lo, exec_lo, s0
                                        ; implicit-def: $vgpr20
                                        ; implicit-def: $vgpr18
	s_and_saveexec_b32 s0, s19
	s_delay_alu instid0(SALU_CYCLE_1)
	s_xor_b32 s19, exec_lo, s0
	s_cbranch_execz .LBB100_233
; %bb.232:                              ;   in Loop: Header=BB100_180 Depth=1
	v_mul_u64_e32 v[26:27], s[4:5], v[16:17]
	v_mov_b32_e32 v29, v17
	v_cmp_lt_u32_e32 vcc_lo, 63, v9
	v_mov_b32_e32 v39, v17
	v_cndmask_b32_e64 v18, 0, 0xffffffc0, vcc_lo
	s_delay_alu instid0(VALU_DEP_1) | instskip(NEXT) | instid1(VALU_DEP_1)
	v_add_nc_u32_e32 v9, v18, v9
	v_cmp_lt_u32_e64 s0, 31, v9
	s_delay_alu instid0(VALU_DEP_1) | instskip(NEXT) | instid1(VALU_DEP_1)
	v_cndmask_b32_e64 v18, 0, 0xffffffe0, s0
	v_dual_mov_b32 v28, v27 :: v_dual_add_nc_u32 v9, v18, v9
	s_delay_alu instid0(VALU_DEP_1) | instskip(NEXT) | instid1(VALU_DEP_2)
	v_cmp_lt_u32_e64 s1, 31, v9
	v_mad_nc_u64_u32 v[28:29], 0x3c439041, v16, v[28:29]
	s_delay_alu instid0(VALU_DEP_1) | instskip(NEXT) | instid1(VALU_DEP_1)
	v_dual_mov_b32 v31, v17 :: v_dual_mov_b32 v30, v29
	v_mad_nc_u64_u32 v[30:31], 0xdb629599, v16, v[30:31]
	s_delay_alu instid0(VALU_DEP_1) | instskip(NEXT) | instid1(VALU_DEP_2)
	v_dual_mov_b32 v33, v17 :: v_dual_mov_b32 v32, v31
	v_cndmask_b32_e32 v26, v30, v26, vcc_lo
	s_delay_alu instid0(VALU_DEP_2) | instskip(NEXT) | instid1(VALU_DEP_1)
	v_mad_nc_u64_u32 v[32:33], 0xf534ddc0, v16, v[32:33]
	v_dual_mov_b32 v35, v17 :: v_dual_mov_b32 v34, v33
	s_delay_alu instid0(VALU_DEP_1) | instskip(NEXT) | instid1(VALU_DEP_1)
	v_mad_nc_u64_u32 v[34:35], 0xfc2757d1, v16, v[34:35]
	v_dual_mov_b32 v37, v17 :: v_dual_mov_b32 v36, v35
	s_delay_alu instid0(VALU_DEP_2) | instskip(NEXT) | instid1(VALU_DEP_2)
	v_cndmask_b32_e32 v27, v34, v30, vcc_lo
	v_mad_nc_u64_u32 v[36:37], 0x4e441529, v16, v[36:37]
	s_delay_alu instid0(VALU_DEP_1) | instskip(NEXT) | instid1(VALU_DEP_1)
	v_mov_b32_e32 v38, v37
	v_mad_nc_u64_u32 v[38:39], 0xa2f9836e, v16, v[38:39]
	v_cndmask_b32_e64 v16, 0, 0xffffffe0, s1
	s_delay_alu instid0(VALU_DEP_2) | instskip(NEXT) | instid1(VALU_DEP_2)
	v_dual_cndmask_b32 v18, v36, v32, vcc_lo :: v_dual_cndmask_b32 v20, v38, v34, vcc_lo
	v_dual_cndmask_b32 v24, v39, v36 :: v_dual_add_nc_u32 v9, v16, v9
	v_cndmask_b32_e32 v16, v32, v28, vcc_lo
	s_delay_alu instid0(VALU_DEP_3) | instskip(NEXT) | instid1(VALU_DEP_3)
	v_dual_cndmask_b32 v28, v20, v18, s0 :: v_dual_cndmask_b32 v18, v18, v27, s0
	v_dual_cndmask_b32 v20, v24, v20, s0 :: v_dual_sub_nc_u32 v24, 32, v9
	s_delay_alu instid0(VALU_DEP_3) | instskip(SKIP_1) | instid1(VALU_DEP_3)
	v_cndmask_b32_e64 v27, v27, v16, s0
	v_cmp_eq_u32_e32 vcc_lo, 0, v9
	v_cndmask_b32_e64 v20, v20, v28, s1
	s_delay_alu instid0(VALU_DEP_3) | instskip(NEXT) | instid1(VALU_DEP_1)
	v_dual_cndmask_b32 v28, v28, v18, s1 :: v_dual_cndmask_b32 v18, v18, v27, s1
	v_alignbit_b32 v29, v20, v28, v24
	s_delay_alu instid0(VALU_DEP_1) | instskip(NEXT) | instid1(VALU_DEP_3)
	v_cndmask_b32_e32 v9, v29, v20, vcc_lo
	v_alignbit_b32 v30, v28, v18, v24
	v_cndmask_b32_e64 v16, v16, v26, s0
	s_delay_alu instid0(VALU_DEP_3) | instskip(NEXT) | instid1(VALU_DEP_3)
	v_bfe_u32 v26, v9, 29, 1
	v_cndmask_b32_e32 v20, v30, v28, vcc_lo
	s_delay_alu instid0(VALU_DEP_2) | instskip(NEXT) | instid1(VALU_DEP_2)
	v_dual_cndmask_b32 v16, v27, v16, s1 :: v_dual_sub_nc_u32 v28, 0, v26
	v_alignbit_b32 v27, v9, v20, 30
	s_delay_alu instid0(VALU_DEP_2) | instskip(NEXT) | instid1(VALU_DEP_1)
	v_alignbit_b32 v24, v18, v16, v24
	v_dual_cndmask_b32 v18, v24, v18, vcc_lo :: v_dual_bitop2_b32 v27, v27, v28 bitop3:0x14
	s_delay_alu instid0(VALU_DEP_1) | instskip(NEXT) | instid1(VALU_DEP_2)
	v_clz_i32_u32_e32 v24, v27
	v_alignbit_b32 v20, v20, v18, 30
	v_alignbit_b32 v16, v18, v16, 30
	s_delay_alu instid0(VALU_DEP_3) | instskip(NEXT) | instid1(VALU_DEP_3)
	v_min_u32_e32 v24, 32, v24
	v_xor_b32_e32 v18, v20, v28
	s_delay_alu instid0(VALU_DEP_3) | instskip(NEXT) | instid1(VALU_DEP_3)
	v_dual_lshrrev_b32 v28, 29, v9 :: v_dual_bitop2_b32 v16, v16, v28 bitop3:0x14
	v_dual_lshrrev_b32 v9, 30, v9 :: v_dual_sub_nc_u32 v20, 31, v24
	s_delay_alu instid0(VALU_DEP_1) | instskip(NEXT) | instid1(VALU_DEP_3)
	v_alignbit_b32 v27, v27, v18, v20
	v_alignbit_b32 v16, v18, v16, v20
	s_delay_alu instid0(VALU_DEP_4) | instskip(SKIP_1) | instid1(VALU_DEP_3)
	v_lshlrev_b32_e32 v18, 31, v28
	v_lshlrev_b32_e32 v29, 23, v24
	v_alignbit_b32 v20, v27, v16, 9
	s_delay_alu instid0(VALU_DEP_3) | instskip(SKIP_1) | instid1(VALU_DEP_3)
	v_dual_lshrrev_b32 v27, 9, v27 :: v_dual_bitop2_b32 v28, 0.5, v18 bitop3:0x54
	v_or_b32_e32 v18, 0x33000000, v18
	v_clz_i32_u32_e32 v30, v20
	s_delay_alu instid0(VALU_DEP_3) | instskip(NEXT) | instid1(VALU_DEP_2)
	v_sub_nc_u32_e32 v28, v28, v29
	v_min_u32_e32 v29, 32, v30
	s_delay_alu instid0(VALU_DEP_1) | instskip(NEXT) | instid1(VALU_DEP_1)
	v_add_lshl_u32 v24, v29, v24, 23
	v_sub_nc_u32_e32 v18, v18, v24
	s_delay_alu instid0(VALU_DEP_4) | instskip(SKIP_1) | instid1(VALU_DEP_2)
	v_or_b32_e32 v27, v27, v28
	v_not_b32_e32 v28, v29
	v_mul_f32_e32 v30, 0x3fc90fda, v27
	s_delay_alu instid0(VALU_DEP_2) | instskip(NEXT) | instid1(VALU_DEP_2)
	v_alignbit_b32 v16, v20, v16, v28
	v_fma_f32 v20, 0x3fc90fda, v27, -v30
	s_delay_alu instid0(VALU_DEP_2) | instskip(NEXT) | instid1(VALU_DEP_2)
	v_lshrrev_b32_e32 v16, 9, v16
	v_fmac_f32_e32 v20, 0x33a22168, v27
	s_delay_alu instid0(VALU_DEP_2) | instskip(NEXT) | instid1(VALU_DEP_1)
	v_or_b32_e32 v16, v18, v16
	v_fmac_f32_e32 v20, 0x3fc90fda, v16
	s_delay_alu instid0(VALU_DEP_1)
	v_add_f32_e32 v18, v30, v20
	v_add_nc_u32_e32 v20, v26, v9
	s_and_not1_saveexec_b32 s0, s19
	s_cbranch_execnz .LBB100_234
	s_branch .LBB100_235
.LBB100_233:                            ;   in Loop: Header=BB100_180 Depth=1
	s_and_not1_saveexec_b32 s0, s19
.LBB100_234:                            ;   in Loop: Header=BB100_180 Depth=1
	v_mul_f32_e64 v9, 0x3f22f983, |v12|
	s_delay_alu instid0(VALU_DEP_1) | instskip(NEXT) | instid1(VALU_DEP_1)
	v_rndne_f32_e32 v9, v9
	v_fma_f32 v18, 0xbfc90fda, v9, |v12|
	v_cvt_i32_f32_e32 v20, v9
	s_delay_alu instid0(VALU_DEP_2) | instskip(NEXT) | instid1(VALU_DEP_1)
	v_fmac_f32_e32 v18, 0xb3a22168, v9
	v_fmac_f32_e32 v18, 0xa7c234c4, v9
.LBB100_235:                            ;   in Loop: Header=BB100_180 Depth=1
	s_or_b32 exec_lo, exec_lo, s0
	v_dual_mul_f32 v9, v8, v8 :: v_dual_bitop2_b32 v16, 1, v11 bitop3:0x40
	v_lshlrev_b32_e32 v11, 30, v11
	v_mul_f32_e64 v24, 0xbfb8aa3b, |v13|
	s_delay_alu instid0(VALU_DEP_3) | instskip(SKIP_1) | instid1(VALU_DEP_4)
	v_dual_mul_f32 v28, v18, v18 :: v_dual_fmaak_f32 v27, s14, v9, 0xbab64f3b
	v_fmaak_f32 v26, s13, v9, 0x3c0881c4
	v_bitop3_b32 v10, v10, v11, 0x80000000 bitop3:0x78
	s_delay_alu instid0(VALU_DEP_4)
	v_rndne_f32_e32 v11, v24
	v_fma_f32 v29, 0xbfb8aa3b, |v13|, -v24
	v_fmaak_f32 v30, s13, v28, 0x3c0881c4
	v_fmaak_f32 v26, v9, v26, 0xbe2aaa9d
	;; [unrolled: 1-line block ×3, first 2 shown]
	v_dual_fmaak_f32 v31, s14, v28, 0xbab64f3b :: v_dual_sub_f32 v24, v24, v11
	v_fma_f32 v29, 0xb2a5705f, |v13|, v29
	s_delay_alu instid0(VALU_DEP_3) | instskip(SKIP_3) | instid1(VALU_DEP_4)
	v_dual_mul_f32 v26, v9, v26 :: v_dual_fmaak_f32 v27, v9, v27, 0xbf000004
	v_fmaak_f32 v30, v28, v30, 0xbe2aaa9d
	v_cmp_eq_u32_e32 vcc_lo, 0, v16
	v_cvt_i32_f32_e32 v11, v11
	v_fmac_f32_e32 v8, v8, v26
	v_fma_f32 v9, v9, v27, 1.0
	v_dual_fmaak_f32 v26, v28, v31, 0x3d2aabf7 :: v_dual_mul_f32 v27, v28, v30
	s_delay_alu instid0(VALU_DEP_2) | instskip(NEXT) | instid1(VALU_DEP_2)
	v_dual_add_f32 v24, v24, v29 :: v_dual_cndmask_b32 v8, v9, v8, vcc_lo
	v_dual_fmaak_f32 v9, v28, v26, 0xbf000004 :: v_dual_fmac_f32 v18, v18, v27
	s_delay_alu instid0(VALU_DEP_2) | instskip(NEXT) | instid1(VALU_DEP_2)
	v_exp_f32_e32 v16, v24
	v_xor3_b32 v8, v10, v8, v12
	s_delay_alu instid0(VALU_DEP_2) | instskip(SKIP_1) | instid1(TRANS32_DEP_1)
	v_fma_f32 v9, v28, v9, 1.0
	v_and_b32_e32 v24, 1, v20
	v_ldexp_f32 v10, v16, v11
	v_lshlrev_b32_e32 v11, 30, v20
	s_delay_alu instid0(VALU_DEP_3) | instskip(SKIP_3) | instid1(VALU_DEP_3)
	v_cmp_eq_u32_e32 vcc_lo, 0, v24
	v_cndmask_b32_e64 v9, -v18, v9, vcc_lo
	v_cmp_nlt_f32_e64 vcc_lo, 0x42ce8ed0, |v13|
	v_mul_f32_e32 v8, 4.0, v8
	v_bitop3_b32 v9, v11, v9, 0x80000000 bitop3:0x6c
	v_cndmask_b32_e32 v10, 0, v10, vcc_lo
	v_cmp_ngt_f32_e64 vcc_lo, 0xc2b17218, |v13|
	s_delay_alu instid0(VALU_DEP_3) | instskip(SKIP_1) | instid1(VALU_DEP_4)
	v_mul_f32_e32 v8, v8, v9
	v_xor_b32_e32 v9, 0x80000000, v13
	v_cndmask_b32_e32 v10, 0x7f800000, v10, vcc_lo
	s_delay_alu instid0(VALU_DEP_2) | instskip(NEXT) | instid1(VALU_DEP_2)
	v_bfi_b32 v9, 0x7fffffff, 1.0, v9
	v_mul_f32_e32 v8, v10, v8
	s_delay_alu instid0(VALU_DEP_1)
	v_mul_f32_e32 v8, v10, v8
.LBB100_236:                            ;   in Loop: Header=BB100_180 Depth=1
	s_or_b32 exec_lo, exec_lo, s18
                                        ; implicit-def: $vgpr10_vgpr11_vgpr12_vgpr13
.LBB100_237:                            ;   in Loop: Header=BB100_180 Depth=1
	s_and_not1_saveexec_b32 s0, s17
; %bb.238:                              ;   in Loop: Header=BB100_180 Depth=1
	v_sub_f32_e32 v8, v12, v12
	s_delay_alu instid0(VALU_DEP_1)
	v_mov_b32_e32 v9, v8
; %bb.239:                              ;   in Loop: Header=BB100_180 Depth=1
	s_or_b32 exec_lo, exec_lo, s0
                                        ; implicit-def: $vgpr10_vgpr11_vgpr12_vgpr13
.LBB100_240:                            ;   in Loop: Header=BB100_180 Depth=1
	s_and_not1_saveexec_b32 s16, s16
	s_cbranch_execz .LBB100_256
; %bb.241:                              ;   in Loop: Header=BB100_180 Depth=1
	v_xor_b32_e32 v9, 0x80000000, v13
	s_mov_b32 s0, exec_lo
	s_delay_alu instid0(VALU_DEP_1) | instskip(NEXT) | instid1(VALU_DEP_1)
	v_and_b32_e32 v8, 0x7fffff, v9
	v_cmpx_ne_u32_e32 0, v8
	s_xor_b32 s0, exec_lo, s0
; %bb.242:                              ;   in Loop: Header=BB100_180 Depth=1
	v_mul_f32_e64 v8, v12, -v13
	v_cmp_eq_f32_e32 vcc_lo, 0, v12
	s_delay_alu instid0(VALU_DEP_2)
	v_cndmask_b32_e32 v8, v8, v12, vcc_lo
                                        ; implicit-def: $vgpr10_vgpr11_vgpr12_vgpr13
; %bb.243:                              ;   in Loop: Header=BB100_180 Depth=1
	s_and_not1_saveexec_b32 s17, s0
	s_cbranch_execz .LBB100_255
; %bb.244:                              ;   in Loop: Header=BB100_180 Depth=1
	s_mov_b32 s18, exec_lo
	v_cmpx_neq_f32_e64 0x7f800000, |v12|
	s_cbranch_execz .LBB100_254
; %bb.245:                              ;   in Loop: Header=BB100_180 Depth=1
	v_and_b32_e32 v8, 0x7fffffff, v12
	v_cmp_ngt_f32_e64 s19, 0x48000000, |v12|
                                        ; implicit-def: $vgpr11
	s_delay_alu instid0(VALU_DEP_2) | instskip(SKIP_1) | instid1(VALU_DEP_2)
	v_lshrrev_b32_e32 v10, 23, v8
	v_and_or_b32 v16, v8, s6, 0x800000
	v_add_nc_u32_e32 v13, 0xffffff88, v10
                                        ; implicit-def: $vgpr10
	s_and_saveexec_b32 s0, s19
	s_delay_alu instid0(SALU_CYCLE_1)
	s_xor_b32 s20, exec_lo, s0
	s_cbranch_execz .LBB100_247
; %bb.246:                              ;   in Loop: Header=BB100_180 Depth=1
	v_mul_u64_e32 v[10:11], s[4:5], v[16:17]
	v_mov_b32_e32 v27, v17
	v_cmp_lt_u32_e32 vcc_lo, 63, v13
	s_delay_alu instid0(VALU_DEP_3) | instskip(SKIP_1) | instid1(VALU_DEP_2)
	v_dual_mov_b32 v37, v17 :: v_dual_mov_b32 v26, v11
	v_cndmask_b32_e64 v11, 0, 0xffffffc0, vcc_lo
	v_mad_nc_u64_u32 v[26:27], 0x3c439041, v16, v[26:27]
	s_delay_alu instid0(VALU_DEP_2) | instskip(NEXT) | instid1(VALU_DEP_1)
	v_dual_mov_b32 v29, v17 :: v_dual_add_nc_u32 v11, v11, v13
	v_cmp_lt_u32_e64 s0, 31, v11
	s_delay_alu instid0(VALU_DEP_3) | instskip(NEXT) | instid1(VALU_DEP_2)
	v_mov_b32_e32 v28, v27
	v_cndmask_b32_e64 v18, 0, 0xffffffe0, s0
	s_delay_alu instid0(VALU_DEP_2) | instskip(NEXT) | instid1(VALU_DEP_2)
	v_mad_nc_u64_u32 v[28:29], 0xdb629599, v16, v[28:29]
	v_dual_mov_b32 v31, v17 :: v_dual_add_nc_u32 v11, v18, v11
	s_delay_alu instid0(VALU_DEP_1) | instskip(NEXT) | instid1(VALU_DEP_3)
	v_cmp_lt_u32_e64 s1, 31, v11
	v_dual_mov_b32 v30, v29 :: v_dual_cndmask_b32 v10, v28, v10, vcc_lo
	s_delay_alu instid0(VALU_DEP_2) | instskip(NEXT) | instid1(VALU_DEP_2)
	v_cndmask_b32_e64 v18, 0, 0xffffffe0, s1
	v_mad_nc_u64_u32 v[30:31], 0xf534ddc0, v16, v[30:31]
	s_delay_alu instid0(VALU_DEP_1) | instskip(NEXT) | instid1(VALU_DEP_1)
	v_dual_mov_b32 v33, v17 :: v_dual_mov_b32 v32, v31
	v_mad_nc_u64_u32 v[32:33], 0xfc2757d1, v16, v[32:33]
	s_delay_alu instid0(VALU_DEP_1) | instskip(NEXT) | instid1(VALU_DEP_2)
	v_dual_mov_b32 v35, v17 :: v_dual_mov_b32 v34, v33
	v_cndmask_b32_e32 v29, v32, v28, vcc_lo
	s_delay_alu instid0(VALU_DEP_2) | instskip(NEXT) | instid1(VALU_DEP_1)
	v_mad_nc_u64_u32 v[34:35], 0x4e441529, v16, v[34:35]
	v_mov_b32_e32 v36, v35
	s_delay_alu instid0(VALU_DEP_1) | instskip(NEXT) | instid1(VALU_DEP_1)
	v_mad_nc_u64_u32 v[36:37], 0xa2f9836e, v16, v[36:37]
	v_dual_cndmask_b32 v20, v34, v30, vcc_lo :: v_dual_cndmask_b32 v24, v36, v32, vcc_lo
	s_delay_alu instid0(VALU_DEP_2) | instskip(NEXT) | instid1(VALU_DEP_2)
	v_dual_cndmask_b32 v27, v37, v34, vcc_lo :: v_dual_add_nc_u32 v11, v18, v11
	v_dual_cndmask_b32 v18, v30, v26, vcc_lo :: v_dual_cndmask_b32 v26, v24, v20, s0
	s_delay_alu instid0(VALU_DEP_2) | instskip(NEXT) | instid1(VALU_DEP_2)
	v_dual_cndmask_b32 v24, v27, v24, s0 :: v_dual_cndmask_b32 v20, v20, v29, s0
	v_dual_sub_nc_u32 v27, 32, v11 :: v_dual_cndmask_b32 v29, v29, v18, s0
	v_cmp_eq_u32_e32 vcc_lo, 0, v11
	s_delay_alu instid0(VALU_DEP_3) | instskip(NEXT) | instid1(VALU_DEP_1)
	v_dual_cndmask_b32 v24, v24, v26, s1 :: v_dual_cndmask_b32 v26, v26, v20, s1
	v_alignbit_b32 v30, v24, v26, v27
	s_delay_alu instid0(VALU_DEP_1) | instskip(NEXT) | instid1(VALU_DEP_1)
	v_dual_cndmask_b32 v20, v20, v29, s1 :: v_dual_cndmask_b32 v11, v30, v24, vcc_lo
	v_alignbit_b32 v28, v26, v20, v27
	v_cndmask_b32_e64 v10, v18, v10, s0
	s_delay_alu instid0(VALU_DEP_3) | instskip(NEXT) | instid1(VALU_DEP_1)
	v_bfe_u32 v24, v11, 29, 1
	v_dual_cndmask_b32 v18, v28, v26, vcc_lo :: v_dual_sub_nc_u32 v28, 0, v24
	s_delay_alu instid0(VALU_DEP_3) | instskip(NEXT) | instid1(VALU_DEP_2)
	v_cndmask_b32_e64 v10, v29, v10, s1
	v_alignbit_b32 v26, v11, v18, 30
	s_delay_alu instid0(VALU_DEP_2) | instskip(NEXT) | instid1(VALU_DEP_2)
	v_alignbit_b32 v27, v20, v10, v27
	v_xor_b32_e32 v26, v26, v28
	s_delay_alu instid0(VALU_DEP_2) | instskip(NEXT) | instid1(VALU_DEP_2)
	v_cndmask_b32_e32 v20, v27, v20, vcc_lo
	v_clz_i32_u32_e32 v27, v26
	s_delay_alu instid0(VALU_DEP_2) | instskip(NEXT) | instid1(VALU_DEP_2)
	v_alignbit_b32 v18, v18, v20, 30
	v_min_u32_e32 v27, 32, v27
	s_delay_alu instid0(VALU_DEP_2) | instskip(SKIP_1) | instid1(VALU_DEP_3)
	v_xor_b32_e32 v18, v18, v28
	v_alignbit_b32 v10, v20, v10, 30
	v_dual_sub_nc_u32 v20, 31, v27 :: v_dual_lshlrev_b32 v29, 23, v27
	s_delay_alu instid0(VALU_DEP_2) | instskip(NEXT) | instid1(VALU_DEP_2)
	v_dual_lshrrev_b32 v28, 29, v11 :: v_dual_bitop2_b32 v10, v10, v28 bitop3:0x14
	v_alignbit_b32 v26, v26, v18, v20
	v_lshrrev_b32_e32 v11, 30, v11
	s_delay_alu instid0(VALU_DEP_3) | instskip(NEXT) | instid1(VALU_DEP_2)
	v_alignbit_b32 v10, v18, v10, v20
	v_dual_lshlrev_b32 v18, 31, v28 :: v_dual_add_nc_u32 v11, v24, v11
	s_delay_alu instid0(VALU_DEP_2) | instskip(NEXT) | instid1(VALU_DEP_2)
	v_alignbit_b32 v20, v26, v10, 9
	v_or_b32_e32 v28, 0.5, v18
	v_lshrrev_b32_e32 v26, 9, v26
	v_or_b32_e32 v18, 0x33000000, v18
	s_delay_alu instid0(VALU_DEP_4) | instskip(NEXT) | instid1(VALU_DEP_4)
	v_clz_i32_u32_e32 v30, v20
	v_sub_nc_u32_e32 v28, v28, v29
	s_delay_alu instid0(VALU_DEP_2) | instskip(NEXT) | instid1(VALU_DEP_2)
	v_min_u32_e32 v29, 32, v30
	v_or_b32_e32 v26, v26, v28
	s_delay_alu instid0(VALU_DEP_2) | instskip(SKIP_1) | instid1(VALU_DEP_2)
	v_not_b32_e32 v28, v29
	v_add_lshl_u32 v27, v29, v27, 23
	v_alignbit_b32 v10, v20, v10, v28
	s_delay_alu instid0(VALU_DEP_1) | instskip(SKIP_1) | instid1(VALU_DEP_2)
	v_dual_sub_nc_u32 v18, v18, v27 :: v_dual_lshrrev_b32 v10, 9, v10
	v_mul_f32_e32 v30, 0x3fc90fda, v26
	v_or_b32_e32 v10, v18, v10
	s_delay_alu instid0(VALU_DEP_2) | instskip(NEXT) | instid1(VALU_DEP_1)
	v_fma_f32 v20, 0x3fc90fda, v26, -v30
	v_fmac_f32_e32 v20, 0x33a22168, v26
	s_delay_alu instid0(VALU_DEP_1) | instskip(NEXT) | instid1(VALU_DEP_1)
	v_fmac_f32_e32 v20, 0x3fc90fda, v10
	v_add_f32_e32 v10, v30, v20
.LBB100_247:                            ;   in Loop: Header=BB100_180 Depth=1
	s_or_saveexec_b32 s0, s20
	v_mul_f32_e64 v18, 0x3f22f983, |v12|
	s_delay_alu instid0(VALU_DEP_1)
	v_rndne_f32_e32 v24, v18
	s_xor_b32 exec_lo, exec_lo, s0
; %bb.248:                              ;   in Loop: Header=BB100_180 Depth=1
	s_delay_alu instid0(VALU_DEP_1) | instskip(SKIP_1) | instid1(VALU_DEP_2)
	v_fma_f32 v10, 0xbfc90fda, v24, |v12|
	v_cvt_i32_f32_e32 v11, v24
	v_fmac_f32_e32 v10, 0xb3a22168, v24
	s_delay_alu instid0(VALU_DEP_1)
	v_fmac_f32_e32 v10, 0xa7c234c4, v24
; %bb.249:                              ;   in Loop: Header=BB100_180 Depth=1
	s_or_b32 exec_lo, exec_lo, s0
                                        ; implicit-def: $vgpr20
                                        ; implicit-def: $vgpr18
	s_and_saveexec_b32 s0, s19
	s_delay_alu instid0(SALU_CYCLE_1)
	s_xor_b32 s19, exec_lo, s0
	s_cbranch_execz .LBB100_251
; %bb.250:                              ;   in Loop: Header=BB100_180 Depth=1
	v_mul_u64_e32 v[26:27], s[4:5], v[16:17]
	v_mov_b32_e32 v29, v17
	v_cmp_lt_u32_e32 vcc_lo, 63, v13
	v_mov_b32_e32 v39, v17
	v_cndmask_b32_e64 v18, 0, 0xffffffc0, vcc_lo
	s_delay_alu instid0(VALU_DEP_1) | instskip(NEXT) | instid1(VALU_DEP_1)
	v_add_nc_u32_e32 v13, v18, v13
	v_cmp_lt_u32_e64 s0, 31, v13
	s_delay_alu instid0(VALU_DEP_1) | instskip(NEXT) | instid1(VALU_DEP_1)
	v_cndmask_b32_e64 v18, 0, 0xffffffe0, s0
	v_dual_mov_b32 v28, v27 :: v_dual_add_nc_u32 v13, v18, v13
	s_delay_alu instid0(VALU_DEP_1) | instskip(NEXT) | instid1(VALU_DEP_2)
	v_cmp_lt_u32_e64 s1, 31, v13
	v_mad_nc_u64_u32 v[28:29], 0x3c439041, v16, v[28:29]
	s_delay_alu instid0(VALU_DEP_1) | instskip(NEXT) | instid1(VALU_DEP_1)
	v_dual_mov_b32 v31, v17 :: v_dual_mov_b32 v30, v29
	v_mad_nc_u64_u32 v[30:31], 0xdb629599, v16, v[30:31]
	s_delay_alu instid0(VALU_DEP_1) | instskip(NEXT) | instid1(VALU_DEP_2)
	v_dual_mov_b32 v33, v17 :: v_dual_mov_b32 v32, v31
	v_cndmask_b32_e32 v26, v30, v26, vcc_lo
	s_delay_alu instid0(VALU_DEP_2) | instskip(NEXT) | instid1(VALU_DEP_1)
	v_mad_nc_u64_u32 v[32:33], 0xf534ddc0, v16, v[32:33]
	v_dual_mov_b32 v35, v17 :: v_dual_mov_b32 v34, v33
	s_delay_alu instid0(VALU_DEP_1) | instskip(NEXT) | instid1(VALU_DEP_1)
	v_mad_nc_u64_u32 v[34:35], 0xfc2757d1, v16, v[34:35]
	v_dual_mov_b32 v37, v17 :: v_dual_mov_b32 v36, v35
	s_delay_alu instid0(VALU_DEP_2) | instskip(NEXT) | instid1(VALU_DEP_2)
	v_cndmask_b32_e32 v27, v34, v30, vcc_lo
	v_mad_nc_u64_u32 v[36:37], 0x4e441529, v16, v[36:37]
	s_delay_alu instid0(VALU_DEP_1) | instskip(NEXT) | instid1(VALU_DEP_1)
	v_mov_b32_e32 v38, v37
	v_mad_nc_u64_u32 v[38:39], 0xa2f9836e, v16, v[38:39]
	v_cndmask_b32_e64 v16, 0, 0xffffffe0, s1
	s_delay_alu instid0(VALU_DEP_2) | instskip(NEXT) | instid1(VALU_DEP_2)
	v_dual_cndmask_b32 v18, v36, v32, vcc_lo :: v_dual_cndmask_b32 v20, v38, v34, vcc_lo
	v_dual_cndmask_b32 v24, v39, v36 :: v_dual_add_nc_u32 v13, v16, v13
	v_cndmask_b32_e32 v16, v32, v28, vcc_lo
	s_delay_alu instid0(VALU_DEP_3) | instskip(NEXT) | instid1(VALU_DEP_3)
	v_dual_cndmask_b32 v28, v20, v18, s0 :: v_dual_cndmask_b32 v18, v18, v27, s0
	v_dual_cndmask_b32 v20, v24, v20, s0 :: v_dual_sub_nc_u32 v24, 32, v13
	s_delay_alu instid0(VALU_DEP_3) | instskip(SKIP_1) | instid1(VALU_DEP_3)
	v_cndmask_b32_e64 v27, v27, v16, s0
	v_cmp_eq_u32_e32 vcc_lo, 0, v13
	v_cndmask_b32_e64 v20, v20, v28, s1
	s_delay_alu instid0(VALU_DEP_3) | instskip(NEXT) | instid1(VALU_DEP_1)
	v_dual_cndmask_b32 v28, v28, v18, s1 :: v_dual_cndmask_b32 v18, v18, v27, s1
	v_alignbit_b32 v29, v20, v28, v24
	s_delay_alu instid0(VALU_DEP_1) | instskip(NEXT) | instid1(VALU_DEP_3)
	v_cndmask_b32_e32 v13, v29, v20, vcc_lo
	v_alignbit_b32 v30, v28, v18, v24
	v_cndmask_b32_e64 v16, v16, v26, s0
	s_delay_alu instid0(VALU_DEP_3) | instskip(NEXT) | instid1(VALU_DEP_3)
	v_bfe_u32 v26, v13, 29, 1
	v_cndmask_b32_e32 v20, v30, v28, vcc_lo
	s_delay_alu instid0(VALU_DEP_2) | instskip(NEXT) | instid1(VALU_DEP_2)
	v_dual_cndmask_b32 v16, v27, v16, s1 :: v_dual_sub_nc_u32 v28, 0, v26
	v_alignbit_b32 v27, v13, v20, 30
	s_delay_alu instid0(VALU_DEP_2) | instskip(NEXT) | instid1(VALU_DEP_1)
	v_alignbit_b32 v24, v18, v16, v24
	v_dual_cndmask_b32 v18, v24, v18, vcc_lo :: v_dual_bitop2_b32 v27, v27, v28 bitop3:0x14
	s_delay_alu instid0(VALU_DEP_1) | instskip(NEXT) | instid1(VALU_DEP_2)
	v_clz_i32_u32_e32 v24, v27
	v_alignbit_b32 v20, v20, v18, 30
	v_alignbit_b32 v16, v18, v16, 30
	s_delay_alu instid0(VALU_DEP_3) | instskip(NEXT) | instid1(VALU_DEP_3)
	v_min_u32_e32 v24, 32, v24
	v_xor_b32_e32 v18, v20, v28
	s_delay_alu instid0(VALU_DEP_3) | instskip(NEXT) | instid1(VALU_DEP_3)
	v_dual_lshrrev_b32 v28, 29, v13 :: v_dual_bitop2_b32 v16, v16, v28 bitop3:0x14
	v_dual_lshrrev_b32 v13, 30, v13 :: v_dual_sub_nc_u32 v20, 31, v24
	s_delay_alu instid0(VALU_DEP_1) | instskip(NEXT) | instid1(VALU_DEP_3)
	v_alignbit_b32 v27, v27, v18, v20
	v_alignbit_b32 v16, v18, v16, v20
	s_delay_alu instid0(VALU_DEP_4) | instskip(SKIP_1) | instid1(VALU_DEP_3)
	v_lshlrev_b32_e32 v18, 31, v28
	v_lshlrev_b32_e32 v29, 23, v24
	v_alignbit_b32 v20, v27, v16, 9
	s_delay_alu instid0(VALU_DEP_3) | instskip(SKIP_1) | instid1(VALU_DEP_3)
	v_dual_lshrrev_b32 v27, 9, v27 :: v_dual_bitop2_b32 v28, 0.5, v18 bitop3:0x54
	v_or_b32_e32 v18, 0x33000000, v18
	v_clz_i32_u32_e32 v30, v20
	s_delay_alu instid0(VALU_DEP_3) | instskip(NEXT) | instid1(VALU_DEP_2)
	v_sub_nc_u32_e32 v28, v28, v29
	v_min_u32_e32 v29, 32, v30
	s_delay_alu instid0(VALU_DEP_1) | instskip(NEXT) | instid1(VALU_DEP_1)
	v_add_lshl_u32 v24, v29, v24, 23
	v_sub_nc_u32_e32 v18, v18, v24
	s_delay_alu instid0(VALU_DEP_4) | instskip(SKIP_1) | instid1(VALU_DEP_2)
	v_or_b32_e32 v27, v27, v28
	v_not_b32_e32 v28, v29
                                        ; implicit-def: $vgpr24
	v_mul_f32_e32 v30, 0x3fc90fda, v27
	s_delay_alu instid0(VALU_DEP_2) | instskip(NEXT) | instid1(VALU_DEP_2)
	v_alignbit_b32 v16, v20, v16, v28
	v_fma_f32 v20, 0x3fc90fda, v27, -v30
	s_delay_alu instid0(VALU_DEP_2) | instskip(NEXT) | instid1(VALU_DEP_2)
	v_lshrrev_b32_e32 v16, 9, v16
	v_fmac_f32_e32 v20, 0x33a22168, v27
	s_delay_alu instid0(VALU_DEP_2) | instskip(NEXT) | instid1(VALU_DEP_1)
	v_or_b32_e32 v16, v18, v16
	v_fmac_f32_e32 v20, 0x3fc90fda, v16
	s_delay_alu instid0(VALU_DEP_1)
	v_add_f32_e32 v18, v30, v20
	v_add_nc_u32_e32 v20, v26, v13
	s_and_not1_saveexec_b32 s0, s19
	s_cbranch_execnz .LBB100_252
	s_branch .LBB100_253
.LBB100_251:                            ;   in Loop: Header=BB100_180 Depth=1
	s_and_not1_saveexec_b32 s0, s19
.LBB100_252:                            ;   in Loop: Header=BB100_180 Depth=1
	v_fma_f32 v18, 0xbfc90fda, v24, |v12|
	v_cvt_i32_f32_e32 v20, v24
	s_delay_alu instid0(VALU_DEP_2) | instskip(NEXT) | instid1(VALU_DEP_1)
	v_fmac_f32_e32 v18, 0xb3a22168, v24
	v_fmac_f32_e32 v18, 0xa7c234c4, v24
.LBB100_253:                            ;   in Loop: Header=BB100_180 Depth=1
	s_or_b32 exec_lo, exec_lo, s0
	v_dual_mul_f32 v13, v10, v10 :: v_dual_bitop2_b32 v24, 1, v11 bitop3:0x40
	s_delay_alu instid0(VALU_DEP_2) | instskip(NEXT) | instid1(VALU_DEP_2)
	v_dual_mul_f32 v16, v18, v18 :: v_dual_lshlrev_b32 v11, 30, v11
	v_fmaak_f32 v26, s13, v13, 0x3c0881c4
	v_fmaak_f32 v27, s14, v13, 0xbab64f3b
	s_delay_alu instid0(VALU_DEP_3)
	v_fmaak_f32 v28, s13, v16, 0x3c0881c4
	v_cmp_eq_u32_e32 vcc_lo, 0, v24
	v_bitop3_b32 v8, v8, v11, 0x80000000 bitop3:0x78
	v_fmaak_f32 v26, v13, v26, 0xbe2aaa9d
	v_fmaak_f32 v29, s14, v16, 0xbab64f3b
	;; [unrolled: 1-line block ×3, first 2 shown]
	s_delay_alu instid0(VALU_DEP_3) | instskip(NEXT) | instid1(VALU_DEP_2)
	v_dual_fmaak_f32 v27, v13, v27, 0x3d2aabf7 :: v_dual_mul_f32 v26, v13, v26
	v_dual_fmaak_f32 v29, v16, v29, 0x3d2aabf7 :: v_dual_mul_f32 v28, v16, v28
	s_delay_alu instid0(VALU_DEP_2) | instskip(NEXT) | instid1(VALU_DEP_3)
	v_fmaak_f32 v27, v13, v27, 0xbf000004
	v_dual_fmac_f32 v10, v10, v26 :: v_dual_bitop2_b32 v30, 1, v20 bitop3:0x40
	v_lshlrev_b32_e32 v20, 30, v20
	s_delay_alu instid0(VALU_DEP_4) | instskip(NEXT) | instid1(VALU_DEP_4)
	v_fmac_f32_e32 v18, v18, v28
	v_fma_f32 v13, v13, v27, 1.0
	s_delay_alu instid0(VALU_DEP_1) | instskip(NEXT) | instid1(VALU_DEP_1)
	v_dual_fmaak_f32 v29, v16, v29, 0xbf000004 :: v_dual_cndmask_b32 v10, v13, v10
	v_fma_f32 v16, v16, v29, 1.0
	v_cmp_eq_u32_e32 vcc_lo, 0, v30
	s_delay_alu instid0(VALU_DEP_3) | instskip(NEXT) | instid1(VALU_DEP_3)
	v_xor3_b32 v8, v8, v10, v12
	v_cndmask_b32_e64 v11, -v18, v16, vcc_lo
	v_cmp_class_f32_e64 vcc_lo, v12, 0x1f8
	s_delay_alu instid0(VALU_DEP_2) | instskip(NEXT) | instid1(VALU_DEP_1)
	v_bitop3_b32 v10, v20, v11, 0x80000000 bitop3:0x6c
	v_mul_f32_e32 v8, v8, v10
	s_delay_alu instid0(VALU_DEP_1)
	v_cndmask_b32_e32 v12, 0x7fc00000, v8, vcc_lo
.LBB100_254:                            ;   in Loop: Header=BB100_180 Depth=1
	s_or_b32 exec_lo, exec_lo, s18
	v_add_nc_u32_e32 v9, -2.0, v9
	s_delay_alu instid0(VALU_DEP_2)
	v_bfi_b32 v8, 0x7fffffff, 0, v12
.LBB100_255:                            ;   in Loop: Header=BB100_180 Depth=1
	s_or_b32 exec_lo, exec_lo, s17
.LBB100_256:                            ;   in Loop: Header=BB100_180 Depth=1
	s_delay_alu instid0(SALU_CYCLE_1) | instskip(SKIP_3) | instid1(VALU_DEP_1)
	s_or_b32 exec_lo, exec_lo, s16
	s_wait_loadcnt 0x0
	v_and_b32_e32 v20, 0x7fffffff, v3
                                        ; implicit-def: $vgpr10
                                        ; implicit-def: $vgpr11
	s_mov_b32 s0, exec_lo
	v_cmpx_gt_u32_e32 0x7f800000, v20
	s_xor_b32 s16, exec_lo, s0
	s_cbranch_execz .LBB100_278
; %bb.257:                              ;   in Loop: Header=BB100_180 Depth=1
	v_cmp_class_f32_e64 s0, v2, 0x1f8
                                        ; implicit-def: $vgpr10
                                        ; implicit-def: $vgpr11
	s_and_saveexec_b32 s1, s0
	s_delay_alu instid0(SALU_CYCLE_1)
	s_xor_b32 s17, exec_lo, s1
	s_cbranch_execz .LBB100_275
; %bb.258:                              ;   in Loop: Header=BB100_180 Depth=1
	v_and_b32_e32 v12, 0x7fffffff, v2
                                        ; implicit-def: $vgpr10
                                        ; implicit-def: $vgpr11
	s_mov_b32 s0, exec_lo
	v_cmpx_gt_u32_e32 0x41300000, v20
	s_xor_b32 s18, exec_lo, s0
	s_cbranch_execz .LBB100_264
; %bb.259:                              ;   in Loop: Header=BB100_180 Depth=1
                                        ; implicit-def: $vgpr10
                                        ; implicit-def: $vgpr11
	s_mov_b32 s1, exec_lo
	v_cmpx_ngt_f32_e64 0x48000000, |v2|
	s_xor_b32 s19, exec_lo, s1
	s_cbranch_execz .LBB100_261
; %bb.260:                              ;   in Loop: Header=BB100_180 Depth=1
	v_and_or_b32 v16, v12, s6, 0x800000
	v_mov_b32_e32 v35, v17
	s_delay_alu instid0(VALU_DEP_2) | instskip(NEXT) | instid1(VALU_DEP_1)
	v_mul_u64_e32 v[10:11], s[4:5], v[16:17]
	v_dual_mov_b32 v27, v17 :: v_dual_mov_b32 v26, v11
	v_lshrrev_b32_e32 v11, 23, v12
	s_delay_alu instid0(VALU_DEP_2) | instskip(SKIP_1) | instid1(VALU_DEP_3)
	v_mad_nc_u64_u32 v[26:27], 0x3c439041, v16, v[26:27]
	v_mov_b32_e32 v29, v17
	v_add_nc_u32_e32 v11, 0xffffff88, v11
	s_delay_alu instid0(VALU_DEP_1) | instskip(NEXT) | instid1(VALU_DEP_4)
	v_cmp_lt_u32_e32 vcc_lo, 63, v11
	v_mov_b32_e32 v28, v27
	v_cndmask_b32_e64 v13, 0, 0xffffffc0, vcc_lo
	s_delay_alu instid0(VALU_DEP_2) | instskip(NEXT) | instid1(VALU_DEP_1)
	v_mad_nc_u64_u32 v[28:29], 0xdb629599, v16, v[28:29]
	v_dual_mov_b32 v31, v17 :: v_dual_mov_b32 v30, v29
	s_delay_alu instid0(VALU_DEP_2) | instskip(NEXT) | instid1(VALU_DEP_2)
	v_cndmask_b32_e32 v10, v28, v10, vcc_lo
	v_mad_nc_u64_u32 v[30:31], 0xf534ddc0, v16, v[30:31]
	s_delay_alu instid0(VALU_DEP_1) | instskip(NEXT) | instid1(VALU_DEP_1)
	v_dual_mov_b32 v33, v17 :: v_dual_mov_b32 v32, v31
	v_mad_nc_u64_u32 v[32:33], 0xfc2757d1, v16, v[32:33]
	s_delay_alu instid0(VALU_DEP_1) | instskip(NEXT) | instid1(VALU_DEP_1)
	v_dual_mov_b32 v34, v33 :: v_dual_cndmask_b32 v27, v32, v28
	v_mad_nc_u64_u32 v[34:35], 0x4e441529, v16, v[34:35]
	v_add_nc_u32_e32 v11, v13, v11
	s_delay_alu instid0(VALU_DEP_2) | instskip(NEXT) | instid1(VALU_DEP_2)
	v_dual_mov_b32 v37, v17 :: v_dual_mov_b32 v36, v35
	v_cmp_lt_u32_e64 s0, 31, v11
	s_delay_alu instid0(VALU_DEP_2) | instskip(NEXT) | instid1(VALU_DEP_2)
	v_mad_nc_u64_u32 v[36:37], 0xa2f9836e, v16, v[36:37]
	v_cndmask_b32_e64 v13, 0, 0xffffffe0, s0
	s_delay_alu instid0(VALU_DEP_1) | instskip(NEXT) | instid1(VALU_DEP_3)
	v_dual_cndmask_b32 v16, v34, v30 :: v_dual_add_nc_u32 v11, v13, v11
	v_dual_cndmask_b32 v18, v36, v32, vcc_lo :: v_dual_cndmask_b32 v24, v37, v34, vcc_lo
	s_delay_alu instid0(VALU_DEP_2) | instskip(NEXT) | instid1(VALU_DEP_1)
	v_cmp_lt_u32_e64 s1, 31, v11
	v_cndmask_b32_e64 v13, 0, 0xffffffe0, s1
	s_delay_alu instid0(VALU_DEP_1) | instskip(NEXT) | instid1(VALU_DEP_4)
	v_dual_add_nc_u32 v11, v13, v11 :: v_dual_cndmask_b32 v13, v30, v26, vcc_lo
	v_dual_cndmask_b32 v26, v18, v16, s0 :: v_dual_cndmask_b32 v18, v24, v18, s0
	v_cndmask_b32_e64 v16, v16, v27, s0
	s_delay_alu instid0(VALU_DEP_3) | instskip(SKIP_1) | instid1(VALU_DEP_4)
	v_dual_sub_nc_u32 v24, 32, v11 :: v_dual_cndmask_b32 v27, v27, v13, s0
	v_cmp_eq_u32_e32 vcc_lo, 0, v11
	v_cndmask_b32_e64 v18, v18, v26, s1
	s_delay_alu instid0(VALU_DEP_3) | instskip(SKIP_1) | instid1(VALU_DEP_2)
	v_dual_cndmask_b32 v26, v26, v16, s1 :: v_dual_cndmask_b32 v16, v16, v27, s1
	v_cndmask_b32_e64 v10, v13, v10, s0
	v_alignbit_b32 v29, v18, v26, v24
	s_delay_alu instid0(VALU_DEP_3) | instskip(NEXT) | instid1(VALU_DEP_3)
	v_alignbit_b32 v28, v26, v16, v24
	v_cndmask_b32_e64 v10, v27, v10, s1
	s_delay_alu instid0(VALU_DEP_3) | instskip(NEXT) | instid1(VALU_DEP_3)
	v_cndmask_b32_e32 v11, v29, v18, vcc_lo
	v_cndmask_b32_e32 v13, v28, v26, vcc_lo
	s_delay_alu instid0(VALU_DEP_3) | instskip(NEXT) | instid1(VALU_DEP_3)
	v_alignbit_b32 v24, v16, v10, v24
	v_bfe_u32 v18, v11, 29, 1
	s_delay_alu instid0(VALU_DEP_1) | instskip(NEXT) | instid1(VALU_DEP_4)
	v_dual_cndmask_b32 v16, v24, v16 :: v_dual_sub_nc_u32 v27, 0, v18
	v_alignbit_b32 v26, v11, v13, 30
	s_delay_alu instid0(VALU_DEP_2) | instskip(NEXT) | instid1(VALU_DEP_2)
	v_alignbit_b32 v13, v13, v16, 30
	v_xor_b32_e32 v26, v26, v27
	s_delay_alu instid0(VALU_DEP_2) | instskip(SKIP_1) | instid1(VALU_DEP_3)
	v_xor_b32_e32 v13, v13, v27
	v_alignbit_b32 v10, v16, v10, 30
	v_clz_i32_u32_e32 v24, v26
	s_delay_alu instid0(VALU_DEP_2) | instskip(NEXT) | instid1(VALU_DEP_2)
	v_xor_b32_e32 v10, v10, v27
	v_min_u32_e32 v24, 32, v24
	s_delay_alu instid0(VALU_DEP_1) | instskip(SKIP_1) | instid1(VALU_DEP_1)
	v_dual_lshrrev_b32 v27, 29, v11 :: v_dual_lshlrev_b32 v28, 23, v24
	v_sub_nc_u32_e32 v16, 31, v24
	v_alignbit_b32 v26, v26, v13, v16
	v_alignbit_b32 v10, v13, v10, v16
	s_delay_alu instid0(VALU_DEP_4) | instskip(NEXT) | instid1(VALU_DEP_2)
	v_lshlrev_b32_e32 v13, 31, v27
	v_alignbit_b32 v16, v26, v10, 9
	s_delay_alu instid0(VALU_DEP_2) | instskip(SKIP_1) | instid1(VALU_DEP_3)
	v_dual_lshrrev_b32 v26, 9, v26 :: v_dual_bitop2_b32 v27, 0.5, v13 bitop3:0x54
	v_or_b32_e32 v13, 0x33000000, v13
	v_clz_i32_u32_e32 v29, v16
	s_delay_alu instid0(VALU_DEP_3) | instskip(NEXT) | instid1(VALU_DEP_2)
	v_sub_nc_u32_e32 v27, v27, v28
	v_min_u32_e32 v28, 32, v29
	s_delay_alu instid0(VALU_DEP_1) | instskip(NEXT) | instid1(VALU_DEP_3)
	v_add_lshl_u32 v24, v28, v24, 23
	v_or_b32_e32 v26, v26, v27
	v_not_b32_e32 v27, v28
	s_delay_alu instid0(VALU_DEP_3) | instskip(NEXT) | instid1(VALU_DEP_3)
	v_sub_nc_u32_e32 v13, v13, v24
	v_mul_f32_e32 v29, 0x3fc90fda, v26
	s_delay_alu instid0(VALU_DEP_3) | instskip(NEXT) | instid1(VALU_DEP_2)
	v_alignbit_b32 v10, v16, v10, v27
	v_fma_f32 v16, 0x3fc90fda, v26, -v29
	s_delay_alu instid0(VALU_DEP_2) | instskip(NEXT) | instid1(VALU_DEP_2)
	v_lshrrev_b32_e32 v10, 9, v10
	v_fmac_f32_e32 v16, 0x33a22168, v26
	s_delay_alu instid0(VALU_DEP_2) | instskip(NEXT) | instid1(VALU_DEP_1)
	v_or_b32_e32 v10, v13, v10
	v_fmac_f32_e32 v16, 0x3fc90fda, v10
	s_delay_alu instid0(VALU_DEP_1) | instskip(NEXT) | instid1(VALU_DEP_1)
	v_dual_add_f32 v11, v29, v16 :: v_dual_lshrrev_b32 v10, 30, v11
	v_add_nc_u32_e32 v10, v18, v10
.LBB100_261:                            ;   in Loop: Header=BB100_180 Depth=1
	s_and_not1_saveexec_b32 s0, s19
; %bb.262:                              ;   in Loop: Header=BB100_180 Depth=1
	v_mul_f32_e64 v10, 0x3f22f983, |v2|
	s_delay_alu instid0(VALU_DEP_1) | instskip(NEXT) | instid1(VALU_DEP_1)
	v_rndne_f32_e32 v10, v10
	v_fma_f32 v11, 0xbfc90fda, v10, |v2|
	s_delay_alu instid0(VALU_DEP_1) | instskip(NEXT) | instid1(VALU_DEP_1)
	v_fmac_f32_e32 v11, 0xb3a22168, v10
	v_fmac_f32_e32 v11, 0xa7c234c4, v10
	v_cvt_i32_f32_e32 v10, v10
; %bb.263:                              ;   in Loop: Header=BB100_180 Depth=1
	s_or_b32 exec_lo, exec_lo, s0
	v_add_f32_e64 v13, 0xbf317218, |v3|
	v_cmp_nlt_f32_e64 vcc_lo, 0x42b2d4fc, |v3|
	v_cmp_gt_f32_e64 s0, 0x39800000, |v3|
	s_delay_alu instid0(VALU_DEP_3) | instskip(NEXT) | instid1(VALU_DEP_1)
	v_sub_f32_e64 v27, v13, |v3|
	v_sub_f32_e32 v26, v27, v13
	s_delay_alu instid0(VALU_DEP_1) | instskip(NEXT) | instid1(VALU_DEP_1)
	v_pk_add_f32 v[26:27], v[20:21], v[26:27]
	v_sub_f32_e32 v16, v26, v27
	s_delay_alu instid0(VALU_DEP_1) | instskip(NEXT) | instid1(VALU_DEP_1)
	v_add_f32_e32 v16, 0x3102e308, v16
	v_add_f32_e32 v18, v13, v16
	s_delay_alu instid0(VALU_DEP_1) | instskip(NEXT) | instid1(VALU_DEP_1)
	v_dual_sub_f32 v13, v13, v18 :: v_dual_mul_f32 v20, 0x3fb8aa3b, v18
	v_add_f32_e32 v13, v16, v13
	s_delay_alu instid0(VALU_DEP_2) | instskip(NEXT) | instid1(VALU_DEP_1)
	v_rndne_f32_e32 v20, v20
	v_fmac_f32_e32 v18, 0xbf317200, v20
	v_mul_f32_e32 v16, 0x35bfbc00, v20
	s_delay_alu instid0(VALU_DEP_2) | instskip(NEXT) | instid1(VALU_DEP_1)
	v_add_f32_e32 v24, v13, v18
	v_sub_f32_e32 v26, v24, v16
	s_delay_alu instid0(VALU_DEP_1) | instskip(NEXT) | instid1(VALU_DEP_1)
	v_dual_sub_f32 v18, v18, v24 :: v_dual_sub_f32 v24, v24, v26
	v_dual_add_f32 v13, v13, v18 :: v_dual_sub_f32 v16, v24, v16
	s_delay_alu instid0(VALU_DEP_1) | instskip(NEXT) | instid1(VALU_DEP_1)
	v_add_f32_e32 v13, v13, v16
	v_add_f32_e32 v27, v26, v13
	s_delay_alu instid0(VALU_DEP_1) | instskip(NEXT) | instid1(VALU_DEP_1)
	v_dual_mul_f32 v29, 0x2ea39ef3, v20 :: v_dual_mov_b32 v28, v27
	v_pk_add_f32 v[30:31], v[26:27], v[28:29] neg_lo:[0,1] neg_hi:[0,1]
	s_delay_alu instid0(VALU_DEP_1) | instskip(NEXT) | instid1(VALU_DEP_1)
	v_dual_sub_f32 v16, v27, v31 :: v_dual_add_f32 v13, v13, v30
	v_sub_f32_e32 v16, v16, v29
	s_delay_alu instid0(VALU_DEP_1) | instskip(NEXT) | instid1(VALU_DEP_1)
	v_add_f32_e32 v13, v13, v16
	v_add_f32_e32 v16, v31, v13
	s_delay_alu instid0(VALU_DEP_1) | instskip(SKIP_1) | instid1(VALU_DEP_2)
	v_sub_f32_e32 v18, v31, v16
	v_mov_b64_e32 v[30:31], s[6:7]
	v_add_f32_e32 v13, v13, v18
	s_delay_alu instid0(VALU_DEP_1) | instskip(NEXT) | instid1(VALU_DEP_1)
	v_dual_add_f32 v27, v13, v13 :: v_dual_mul_f32 v24, v16, v16
	v_fma_f32 v26, v16, v16, -v24
	s_delay_alu instid0(VALU_DEP_1) | instskip(NEXT) | instid1(VALU_DEP_1)
	v_fmac_f32_e32 v26, v16, v27
	v_dual_fmaak_f32 v18, s12, v16, 0x3c091de6 :: v_dual_add_f32 v27, v24, v26
	s_delay_alu instid0(VALU_DEP_1) | instskip(NEXT) | instid1(VALU_DEP_2)
	v_fmaak_f32 v18, v16, v18, 0x3d2aadcc
	v_sub_f32_e32 v24, v27, v24
	s_delay_alu instid0(VALU_DEP_2) | instskip(NEXT) | instid1(VALU_DEP_1)
	v_fmaak_f32 v18, v16, v18, 0x3e2aaa47
	v_fmaak_f32 v18, v16, v18, 0x3efffffc
	s_delay_alu instid0(VALU_DEP_1) | instskip(NEXT) | instid1(VALU_DEP_1)
	v_mul_f32_e32 v28, v18, v27
	v_dual_sub_f32 v24, v26, v24 :: v_dual_fma_f32 v26, v27, v18, -v28
	s_delay_alu instid0(VALU_DEP_1) | instskip(NEXT) | instid1(VALU_DEP_1)
	v_fmac_f32_e32 v26, v24, v18
	v_add_f32_e32 v18, v28, v26
	s_delay_alu instid0(VALU_DEP_1) | instskip(NEXT) | instid1(VALU_DEP_1)
	v_sub_f32_e32 v27, v18, v28
	v_dual_sub_f32 v26, v26, v27 :: v_dual_add_f32 v24, v16, v18
	s_delay_alu instid0(VALU_DEP_1) | instskip(NEXT) | instid1(VALU_DEP_1)
	v_dual_add_f32 v13, v13, v26 :: v_dual_sub_f32 v16, v24, v16
	v_sub_f32_e32 v16, v18, v16
	s_delay_alu instid0(VALU_DEP_1) | instskip(SKIP_1) | instid1(VALU_DEP_2)
	v_add_f32_e32 v26, v13, v16
	v_cvt_i32_f32_e32 v16, v20
	v_add_f32_e32 v28, v24, v26
	s_delay_alu instid0(VALU_DEP_1) | instskip(NEXT) | instid1(VALU_DEP_1)
	v_dual_add_f32 v29, 1.0, v28 :: v_dual_mov_b32 v27, v28
	v_pk_add_f32 v[30:31], v[28:29], v[30:31]
	v_pk_add_f32 v[32:33], v[28:29], v[24:25] neg_lo:[0,1] neg_hi:[0,1]
	s_delay_alu instid0(VALU_DEP_2) | instskip(NEXT) | instid1(VALU_DEP_1)
	v_mov_b32_e32 v33, v31
	v_pk_add_f32 v[26:27], v[26:27], v[32:33] neg_lo:[0,1] neg_hi:[0,1]
	s_delay_alu instid0(VALU_DEP_1) | instskip(NEXT) | instid1(VALU_DEP_1)
	v_add_f32_e32 v13, v26, v27
	v_add_f32_e32 v18, v29, v13
	s_delay_alu instid0(VALU_DEP_1) | instskip(NEXT) | instid1(VALU_DEP_1)
	v_ldexp_f32 v20, v18, v16
	v_rcp_f32_e32 v24, v20
	v_nop
	s_delay_alu instid0(TRANS32_DEP_1) | instskip(NEXT) | instid1(VALU_DEP_1)
	v_dual_sub_f32 v18, v18, v29 :: v_dual_mul_f32 v26, v20, v24
	v_dual_sub_f32 v13, v13, v18 :: v_dual_fma_f32 v28, v24, v20, -v26
	s_delay_alu instid0(VALU_DEP_1) | instskip(NEXT) | instid1(VALU_DEP_1)
	v_ldexp_f32 v13, v13, v16
	v_fmac_f32_e32 v28, v24, v13
	s_delay_alu instid0(VALU_DEP_1) | instskip(NEXT) | instid1(VALU_DEP_1)
	v_add_f32_e32 v18, v26, v28
	v_dual_sub_f32 v27, 1.0, v18 :: v_dual_mov_b32 v29, v18
	s_delay_alu instid0(VALU_DEP_1) | instskip(NEXT) | instid1(VALU_DEP_1)
	v_pk_add_f32 v[30:31], v[18:19], v[26:27] neg_lo:[0,1] neg_hi:[0,1]
	v_pk_add_f32 v[28:29], v[30:31], v[28:29] neg_lo:[0,1] neg_hi:[0,1]
	s_delay_alu instid0(VALU_DEP_1) | instskip(NEXT) | instid1(VALU_DEP_1)
	v_add_f32_e32 v16, v28, v29
	v_add_f32_e32 v29, v27, v16
	s_delay_alu instid0(VALU_DEP_1) | instskip(NEXT) | instid1(VALU_DEP_1)
	v_mul_f32_e32 v18, v24, v29
	v_mul_f32_e32 v30, v20, v18
	s_delay_alu instid0(VALU_DEP_1) | instskip(NEXT) | instid1(VALU_DEP_1)
	v_fma_f32 v26, v18, v20, -v30
	v_fmac_f32_e32 v26, v18, v13
	s_delay_alu instid0(VALU_DEP_1) | instskip(NEXT) | instid1(VALU_DEP_1)
	v_dual_sub_f32 v32, v27, v29 :: v_dual_add_f32 v28, v30, v26
	v_add_f32_e32 v16, v16, v32
	s_delay_alu instid0(VALU_DEP_2) | instskip(NEXT) | instid1(VALU_DEP_1)
	v_dual_sub_f32 v31, v29, v28 :: v_dual_mov_b32 v27, v28
	v_pk_add_f32 v[28:29], v[28:29], v[30:31] neg_lo:[0,1] neg_hi:[0,1]
	s_delay_alu instid0(VALU_DEP_1) | instskip(NEXT) | instid1(VALU_DEP_1)
	v_pk_add_f32 v[26:27], v[28:29], v[26:27] neg_lo:[0,1] neg_hi:[0,1]
	v_add_f32_e32 v16, v16, v27
	s_delay_alu instid0(VALU_DEP_1) | instskip(NEXT) | instid1(VALU_DEP_1)
	v_dual_add_f32 v27, v24, v18 :: v_dual_add_f32 v16, v26, v16
	v_sub_f32_e32 v26, v27, v24
	s_delay_alu instid0(VALU_DEP_1) | instskip(NEXT) | instid1(VALU_DEP_1)
	v_dual_add_f32 v16, v31, v16 :: v_dual_sub_f32 v18, v18, v26
	v_mul_f32_e32 v16, v24, v16
	s_delay_alu instid0(VALU_DEP_1) | instskip(NEXT) | instid1(VALU_DEP_1)
	v_add_f32_e32 v16, v18, v16
	v_add_f32_e32 v18, v27, v16
	s_delay_alu instid0(VALU_DEP_1) | instskip(NEXT) | instid1(VALU_DEP_1)
	v_ldexp_f32 v24, v18, -2
	v_dual_sub_f32 v18, v18, v27 :: v_dual_sub_f32 v26, v20, v24
	s_delay_alu instid0(VALU_DEP_1) | instskip(NEXT) | instid1(VALU_DEP_2)
	v_sub_f32_e32 v20, v20, v26
	v_sub_f32_e32 v16, v16, v18
	s_delay_alu instid0(VALU_DEP_2) | instskip(NEXT) | instid1(VALU_DEP_2)
	v_sub_f32_e32 v18, v20, v24
	v_ldexp_f32 v16, v16, -2
	v_xor_b32_e32 v20, 0x80000000, v3
	s_delay_alu instid0(VALU_DEP_3) | instskip(NEXT) | instid1(VALU_DEP_1)
	v_add_f32_e32 v13, v13, v18
	v_sub_f32_e32 v13, v13, v16
	s_delay_alu instid0(VALU_DEP_1) | instskip(NEXT) | instid1(VALU_DEP_1)
	v_dual_add_f32 v13, v26, v13 :: v_dual_mul_f32 v16, v11, v11
	v_cndmask_b32_e32 v13, 0x7f800000, v13, vcc_lo
	s_delay_alu instid0(VALU_DEP_2) | instskip(NEXT) | instid1(VALU_DEP_2)
	v_fmaak_f32 v24, s10, v16, 0x3ec54587
	v_cndmask_b32_e64 v13, v13, |v3|, s0
	s_delay_alu instid0(VALU_DEP_1) | instskip(SKIP_1) | instid1(VALU_DEP_2)
	v_bfi_b32 v13, 0x7fffffff, v13, v20
	v_fmaak_f32 v18, s11, v16, 0xbf039337
	v_fma_f32 v20, v13, v13, 1.0
	s_delay_alu instid0(VALU_DEP_2) | instskip(NEXT) | instid1(VALU_DEP_2)
	v_fmaak_f32 v18, v16, v18, 0x3f93f425
	v_cmp_gt_f32_e32 vcc_lo, 0xf800000, v20
	s_delay_alu instid0(VALU_DEP_2) | instskip(SKIP_1) | instid1(TRANS32_DEP_1)
	v_rcp_f32_e32 v18, v18
	v_nop
	v_mul_f32_e32 v18, v24, v18
	s_delay_alu instid0(VALU_DEP_1) | instskip(SKIP_1) | instid1(VALU_DEP_2)
	v_mul_f32_e32 v16, v16, v18
	v_mul_f32_e32 v18, 0x4f800000, v20
	v_fma_f32 v24, v16, v11, v11
	s_delay_alu instid0(VALU_DEP_1) | instskip(NEXT) | instid1(VALU_DEP_1)
	v_sub_f32_e32 v26, v24, v11
	v_fma_f32 v11, v16, v11, -v26
	s_delay_alu instid0(VALU_DEP_4) | instskip(SKIP_2) | instid1(TRANS32_DEP_1)
	v_cndmask_b32_e32 v18, v20, v18, vcc_lo
	v_rcp_f32_e32 v20, v24
	v_nop
	v_fma_f32 v16, v24, -v20, 1.0
	s_delay_alu instid0(VALU_DEP_1) | instskip(SKIP_1) | instid1(VALU_DEP_1)
	v_fma_f32 v11, v11, -v20, v16
	v_sqrt_f32_e32 v27, v18
	v_dual_fma_f32 v11, v11, -v20, -v20 :: v_dual_bitop2_b32 v10, 1, v10 bitop3:0x40
	s_delay_alu instid0(TRANS32_DEP_1) | instskip(NEXT) | instid1(VALU_DEP_1)
	v_dual_add_nc_u32 v26, -1, v27 :: v_dual_add_nc_u32 v16, 1, v27
	v_fma_f32 v28, -v26, v27, v18
	s_delay_alu instid0(VALU_DEP_1) | instskip(NEXT) | instid1(VALU_DEP_1)
	v_cmp_ge_f32_e64 s0, 0, v28
	v_dual_fma_f32 v20, -v16, v27, v18 :: v_dual_cndmask_b32 v26, v27, v26, s0
	v_cmp_eq_u32_e64 s0, 0, v10
	s_delay_alu instid0(VALU_DEP_1) | instskip(NEXT) | instid1(VALU_DEP_3)
	v_cndmask_b32_e64 v10, v11, v24, s0
	v_cmp_lt_f32_e64 s0, 0, v20
	s_delay_alu instid0(VALU_DEP_1) | instskip(NEXT) | instid1(VALU_DEP_3)
	v_cndmask_b32_e64 v11, v26, v16, s0
	v_xor3_b32 v16, v12, v10, v2
	s_delay_alu instid0(VALU_DEP_2) | instskip(NEXT) | instid1(VALU_DEP_2)
	v_mul_f32_e32 v12, 0x37800000, v11
	v_fma_f32 v10, v16, v16, 1.0
	s_delay_alu instid0(VALU_DEP_2) | instskip(SKIP_1) | instid1(VALU_DEP_3)
	v_cndmask_b32_e32 v12, v11, v12, vcc_lo
	v_cmp_class_f32_e64 vcc_lo, v18, 0x260
	v_mul_f32_e32 v11, v13, v10
	s_delay_alu instid0(VALU_DEP_3) | instskip(NEXT) | instid1(VALU_DEP_1)
	v_cndmask_b32_e32 v12, v12, v18, vcc_lo
	v_pk_mul_f32 v[10:11], v[12:13], v[10:11]
	s_delay_alu instid0(VALU_DEP_1) | instskip(NEXT) | instid1(VALU_DEP_1)
	v_dual_add_f32 v12, 1.0, v11 :: v_dual_mul_f32 v10, v13, v10
	v_div_scale_f32 v13, null, v12, v12, v16
	s_delay_alu instid0(VALU_DEP_1) | instskip(SKIP_1) | instid1(TRANS32_DEP_1)
	v_rcp_f32_e32 v20, v13
	v_nop
	v_fma_f32 v26, -v13, v20, 1.0
	s_delay_alu instid0(VALU_DEP_1) | instskip(SKIP_2) | instid1(VALU_DEP_2)
	v_fmac_f32_e32 v20, v26, v20
	v_div_scale_f32 v11, null, v12, v12, v10
	v_div_scale_f32 v27, vcc_lo, v10, v12, v10
	v_rcp_f32_e32 v18, v11
	v_nop
	s_delay_alu instid0(TRANS32_DEP_1) | instskip(NEXT) | instid1(VALU_DEP_1)
	v_fma_f32 v24, -v11, v18, 1.0
	v_fmac_f32_e32 v18, v24, v18
	v_div_scale_f32 v24, s0, v16, v12, v16
	s_delay_alu instid0(VALU_DEP_1) | instskip(NEXT) | instid1(VALU_DEP_1)
	v_dual_mul_f32 v26, v27, v18 :: v_dual_mul_f32 v28, v24, v20
	v_dual_fma_f32 v29, -v11, v26, v27 :: v_dual_fma_f32 v30, -v13, v28, v24
	s_delay_alu instid0(VALU_DEP_1) | instskip(NEXT) | instid1(VALU_DEP_1)
	v_dual_fmac_f32 v26, v29, v18 :: v_dual_fmac_f32 v28, v30, v20
	v_dual_fma_f32 v11, -v11, v26, v27 :: v_dual_fma_f32 v13, -v13, v28, v24
	s_delay_alu instid0(VALU_DEP_1) | instskip(SKIP_1) | instid1(VALU_DEP_2)
	v_div_fmas_f32 v11, v11, v18, v26
	s_mov_b32 vcc_lo, s0
	v_div_fmas_f32 v13, v13, v20, v28
	s_delay_alu instid0(VALU_DEP_2) | instskip(NEXT) | instid1(VALU_DEP_2)
	v_div_fixup_f32 v11, v11, v12, v10
	v_div_fixup_f32 v10, v13, v12, v16
                                        ; implicit-def: $vgpr12
.LBB100_264:                            ;   in Loop: Header=BB100_180 Depth=1
	s_and_not1_saveexec_b32 s18, s18
	s_cbranch_execz .LBB100_274
; %bb.265:                              ;   in Loop: Header=BB100_180 Depth=1
	v_lshrrev_b32_e32 v10, 23, v12
	v_cmp_ngt_f32_e64 s19, 0x48000000, |v2|
	v_and_or_b32 v16, v12, s6, 0x800000
                                        ; implicit-def: $vgpr13
	s_delay_alu instid0(VALU_DEP_3) | instskip(SKIP_1) | instid1(SALU_CYCLE_1)
	v_add_nc_u32_e32 v11, 0xffffff88, v10
                                        ; implicit-def: $vgpr10
	s_and_saveexec_b32 s0, s19
	s_xor_b32 s20, exec_lo, s0
	s_cbranch_execz .LBB100_267
; %bb.266:                              ;   in Loop: Header=BB100_180 Depth=1
	v_mul_u64_e32 v[26:27], s[4:5], v[16:17]
	v_mov_b32_e32 v29, v17
	v_cmp_lt_u32_e32 vcc_lo, 63, v11
	v_mov_b32_e32 v39, v17
	v_cndmask_b32_e64 v10, 0, 0xffffffc0, vcc_lo
	s_delay_alu instid0(VALU_DEP_1) | instskip(NEXT) | instid1(VALU_DEP_1)
	v_add_nc_u32_e32 v10, v10, v11
	v_cmp_lt_u32_e64 s0, 31, v10
	s_delay_alu instid0(VALU_DEP_1) | instskip(SKIP_1) | instid1(VALU_DEP_1)
	v_cndmask_b32_e64 v13, 0, 0xffffffe0, s0
	v_mov_b32_e32 v28, v27
	v_mad_nc_u64_u32 v[28:29], 0x3c439041, v16, v[28:29]
	s_delay_alu instid0(VALU_DEP_1) | instskip(NEXT) | instid1(VALU_DEP_1)
	v_dual_mov_b32 v31, v17 :: v_dual_mov_b32 v30, v29
	v_mad_nc_u64_u32 v[30:31], 0xdb629599, v16, v[30:31]
	s_delay_alu instid0(VALU_DEP_1) | instskip(NEXT) | instid1(VALU_DEP_1)
	v_dual_mov_b32 v33, v17 :: v_dual_mov_b32 v32, v31
	;; [unrolled: 3-line block ×4, first 2 shown]
	v_mad_nc_u64_u32 v[36:37], 0x4e441529, v16, v[36:37]
	s_delay_alu instid0(VALU_DEP_1) | instskip(NEXT) | instid1(VALU_DEP_1)
	v_dual_mov_b32 v38, v37 :: v_dual_cndmask_b32 v18, v36, v32, vcc_lo
	v_mad_nc_u64_u32 v[38:39], 0xa2f9836e, v16, v[38:39]
	s_delay_alu instid0(VALU_DEP_1) | instskip(NEXT) | instid1(VALU_DEP_1)
	v_dual_add_nc_u32 v10, v13, v10 :: v_dual_cndmask_b32 v24, v39, v36, vcc_lo
	v_cmp_lt_u32_e64 s1, 31, v10
	s_delay_alu instid0(VALU_DEP_3) | instskip(NEXT) | instid1(VALU_DEP_2)
	v_cndmask_b32_e32 v20, v38, v34, vcc_lo
	v_cndmask_b32_e64 v13, 0, 0xffffffe0, s1
	s_delay_alu instid0(VALU_DEP_1) | instskip(SKIP_1) | instid1(VALU_DEP_4)
	v_dual_cndmask_b32 v13, v32, v28 :: v_dual_add_nc_u32 v10, v13, v10
	v_cndmask_b32_e32 v27, v34, v30, vcc_lo
	v_cndmask_b32_e64 v28, v20, v18, s0
	s_delay_alu instid0(VALU_DEP_2) | instskip(NEXT) | instid1(VALU_DEP_4)
	v_dual_cndmask_b32 v20, v24, v20, s0 :: v_dual_cndmask_b32 v18, v18, v27, s0
	v_dual_cndmask_b32 v27, v27, v13, s0 :: v_dual_sub_nc_u32 v24, 32, v10
	s_delay_alu instid0(VALU_DEP_2) | instskip(NEXT) | instid1(VALU_DEP_2)
	v_cndmask_b32_e64 v20, v20, v28, s1
	v_dual_cndmask_b32 v28, v28, v18, s1 :: v_dual_cndmask_b32 v18, v18, v27, s1
	s_delay_alu instid0(VALU_DEP_1) | instskip(SKIP_2) | instid1(VALU_DEP_4)
	v_alignbit_b32 v29, v20, v28, v24
	v_cndmask_b32_e32 v26, v30, v26, vcc_lo
	v_cmp_eq_u32_e32 vcc_lo, 0, v10
	v_alignbit_b32 v30, v28, v18, v24
	s_delay_alu instid0(VALU_DEP_4) | instskip(NEXT) | instid1(VALU_DEP_2)
	v_cndmask_b32_e32 v10, v29, v20, vcc_lo
	v_dual_cndmask_b32 v13, v13, v26, s0 :: v_dual_cndmask_b32 v20, v30, v28, vcc_lo
	s_delay_alu instid0(VALU_DEP_2) | instskip(NEXT) | instid1(VALU_DEP_2)
	v_bfe_u32 v26, v10, 29, 1
	v_cndmask_b32_e64 v13, v27, v13, s1
	s_delay_alu instid0(VALU_DEP_3) | instskip(NEXT) | instid1(VALU_DEP_3)
	v_alignbit_b32 v27, v10, v20, 30
	v_sub_nc_u32_e32 v28, 0, v26
	s_delay_alu instid0(VALU_DEP_3) | instskip(NEXT) | instid1(VALU_DEP_1)
	v_alignbit_b32 v24, v18, v13, v24
	v_dual_cndmask_b32 v18, v24, v18, vcc_lo :: v_dual_bitop2_b32 v27, v27, v28 bitop3:0x14
	s_delay_alu instid0(VALU_DEP_1) | instskip(NEXT) | instid1(VALU_DEP_2)
	v_clz_i32_u32_e32 v24, v27
	v_alignbit_b32 v20, v20, v18, 30
	v_alignbit_b32 v13, v18, v13, 30
	s_delay_alu instid0(VALU_DEP_3) | instskip(NEXT) | instid1(VALU_DEP_3)
	v_min_u32_e32 v24, 32, v24
	v_xor_b32_e32 v18, v20, v28
	s_delay_alu instid0(VALU_DEP_3) | instskip(NEXT) | instid1(VALU_DEP_3)
	v_dual_lshrrev_b32 v28, 29, v10 :: v_dual_bitop2_b32 v13, v13, v28 bitop3:0x14
	v_sub_nc_u32_e32 v20, 31, v24
	s_delay_alu instid0(VALU_DEP_1) | instskip(NEXT) | instid1(VALU_DEP_3)
	v_alignbit_b32 v27, v27, v18, v20
	v_alignbit_b32 v13, v18, v13, v20
	s_delay_alu instid0(VALU_DEP_4) | instskip(SKIP_1) | instid1(VALU_DEP_3)
	v_lshlrev_b32_e32 v18, 31, v28
	v_lshlrev_b32_e32 v29, 23, v24
	v_alignbit_b32 v20, v27, v13, 9
	s_delay_alu instid0(VALU_DEP_3) | instskip(SKIP_1) | instid1(VALU_DEP_3)
	v_dual_lshrrev_b32 v27, 9, v27 :: v_dual_bitop2_b32 v28, 0.5, v18 bitop3:0x54
	v_or_b32_e32 v18, 0x33000000, v18
	v_clz_i32_u32_e32 v30, v20
	s_delay_alu instid0(VALU_DEP_3) | instskip(NEXT) | instid1(VALU_DEP_2)
	v_sub_nc_u32_e32 v28, v28, v29
	v_min_u32_e32 v29, 32, v30
	s_delay_alu instid0(VALU_DEP_1) | instskip(NEXT) | instid1(VALU_DEP_1)
	v_add_lshl_u32 v24, v29, v24, 23
	v_sub_nc_u32_e32 v18, v18, v24
	s_delay_alu instid0(VALU_DEP_4) | instskip(SKIP_1) | instid1(VALU_DEP_1)
	v_or_b32_e32 v27, v27, v28
	v_not_b32_e32 v28, v29
	v_alignbit_b32 v13, v20, v13, v28
	s_delay_alu instid0(VALU_DEP_1) | instskip(NEXT) | instid1(VALU_DEP_1)
	v_dual_mul_f32 v30, 0x3fc90fda, v27 :: v_dual_lshrrev_b32 v13, 9, v13
	v_or_b32_e32 v13, v18, v13
	s_delay_alu instid0(VALU_DEP_2) | instskip(NEXT) | instid1(VALU_DEP_1)
	v_fma_f32 v20, 0x3fc90fda, v27, -v30
	v_fmac_f32_e32 v20, 0x33a22168, v27
	s_delay_alu instid0(VALU_DEP_1) | instskip(NEXT) | instid1(VALU_DEP_1)
	v_dual_fmac_f32 v20, 0x3fc90fda, v13 :: v_dual_lshrrev_b32 v13, 30, v10
	v_add_f32_e32 v10, v30, v20
	s_delay_alu instid0(VALU_DEP_2)
	v_add_nc_u32_e32 v13, v26, v13
	s_and_not1_saveexec_b32 s0, s20
	s_branch .LBB100_268
.LBB100_267:                            ;   in Loop: Header=BB100_180 Depth=1
	s_and_not1_saveexec_b32 s0, s20
.LBB100_268:                            ;   in Loop: Header=BB100_180 Depth=1
	v_mul_f32_e64 v10, 0x3f22f983, |v2|
	s_delay_alu instid0(VALU_DEP_1) | instskip(NEXT) | instid1(VALU_DEP_1)
	v_rndne_f32_e32 v13, v10
	v_fma_f32 v10, 0xbfc90fda, v13, |v2|
	s_delay_alu instid0(VALU_DEP_1) | instskip(NEXT) | instid1(VALU_DEP_1)
	v_fmac_f32_e32 v10, 0xb3a22168, v13
	v_fmac_f32_e32 v10, 0xa7c234c4, v13
	v_cvt_i32_f32_e32 v13, v13
; %bb.269:                              ;   in Loop: Header=BB100_180 Depth=1
	s_or_b32 exec_lo, exec_lo, s0
                                        ; implicit-def: $vgpr20
                                        ; implicit-def: $vgpr18
	s_and_saveexec_b32 s0, s19
	s_delay_alu instid0(SALU_CYCLE_1)
	s_xor_b32 s19, exec_lo, s0
	s_cbranch_execz .LBB100_271
; %bb.270:                              ;   in Loop: Header=BB100_180 Depth=1
	v_mul_u64_e32 v[26:27], s[4:5], v[16:17]
	v_mov_b32_e32 v29, v17
	v_cmp_lt_u32_e32 vcc_lo, 63, v11
	v_mov_b32_e32 v39, v17
	v_cndmask_b32_e64 v18, 0, 0xffffffc0, vcc_lo
	s_delay_alu instid0(VALU_DEP_1) | instskip(NEXT) | instid1(VALU_DEP_1)
	v_add_nc_u32_e32 v11, v18, v11
	v_cmp_lt_u32_e64 s0, 31, v11
	s_delay_alu instid0(VALU_DEP_1) | instskip(NEXT) | instid1(VALU_DEP_1)
	v_cndmask_b32_e64 v18, 0, 0xffffffe0, s0
	v_dual_mov_b32 v28, v27 :: v_dual_add_nc_u32 v11, v18, v11
	s_delay_alu instid0(VALU_DEP_1) | instskip(NEXT) | instid1(VALU_DEP_2)
	v_cmp_lt_u32_e64 s1, 31, v11
	v_mad_nc_u64_u32 v[28:29], 0x3c439041, v16, v[28:29]
	s_delay_alu instid0(VALU_DEP_1) | instskip(NEXT) | instid1(VALU_DEP_1)
	v_dual_mov_b32 v31, v17 :: v_dual_mov_b32 v30, v29
	v_mad_nc_u64_u32 v[30:31], 0xdb629599, v16, v[30:31]
	s_delay_alu instid0(VALU_DEP_1) | instskip(NEXT) | instid1(VALU_DEP_2)
	v_dual_mov_b32 v33, v17 :: v_dual_mov_b32 v32, v31
	v_cndmask_b32_e32 v26, v30, v26, vcc_lo
	s_delay_alu instid0(VALU_DEP_2) | instskip(NEXT) | instid1(VALU_DEP_1)
	v_mad_nc_u64_u32 v[32:33], 0xf534ddc0, v16, v[32:33]
	v_dual_mov_b32 v35, v17 :: v_dual_mov_b32 v34, v33
	s_delay_alu instid0(VALU_DEP_1) | instskip(NEXT) | instid1(VALU_DEP_1)
	v_mad_nc_u64_u32 v[34:35], 0xfc2757d1, v16, v[34:35]
	v_dual_mov_b32 v37, v17 :: v_dual_mov_b32 v36, v35
	s_delay_alu instid0(VALU_DEP_2) | instskip(NEXT) | instid1(VALU_DEP_2)
	v_cndmask_b32_e32 v27, v34, v30, vcc_lo
	v_mad_nc_u64_u32 v[36:37], 0x4e441529, v16, v[36:37]
	s_delay_alu instid0(VALU_DEP_1) | instskip(NEXT) | instid1(VALU_DEP_1)
	v_mov_b32_e32 v38, v37
	v_mad_nc_u64_u32 v[38:39], 0xa2f9836e, v16, v[38:39]
	v_cndmask_b32_e64 v16, 0, 0xffffffe0, s1
	s_delay_alu instid0(VALU_DEP_4) | instskip(NEXT) | instid1(VALU_DEP_2)
	v_cndmask_b32_e32 v18, v36, v32, vcc_lo
	v_dual_cndmask_b32 v20, v38, v34 :: v_dual_add_nc_u32 v11, v16, v11
	s_delay_alu instid0(VALU_DEP_4) | instskip(SKIP_1) | instid1(VALU_DEP_3)
	v_cndmask_b32_e32 v24, v39, v36, vcc_lo
	v_cndmask_b32_e32 v16, v32, v28, vcc_lo
	v_dual_cndmask_b32 v28, v20, v18, s0 :: v_dual_cndmask_b32 v18, v18, v27, s0
	s_delay_alu instid0(VALU_DEP_2) | instskip(NEXT) | instid1(VALU_DEP_4)
	v_cndmask_b32_e64 v27, v27, v16, s0
	v_dual_cndmask_b32 v20, v24, v20, s0 :: v_dual_sub_nc_u32 v24, 32, v11
	v_cmp_eq_u32_e32 vcc_lo, 0, v11
	s_delay_alu instid0(VALU_DEP_2) | instskip(NEXT) | instid1(VALU_DEP_4)
	v_cndmask_b32_e64 v20, v20, v28, s1
	v_dual_cndmask_b32 v28, v28, v18, s1 :: v_dual_cndmask_b32 v18, v18, v27, s1
	s_delay_alu instid0(VALU_DEP_1) | instskip(NEXT) | instid1(VALU_DEP_1)
	v_alignbit_b32 v29, v20, v28, v24
	v_cndmask_b32_e32 v11, v29, v20, vcc_lo
	s_delay_alu instid0(VALU_DEP_3) | instskip(SKIP_1) | instid1(VALU_DEP_3)
	v_alignbit_b32 v30, v28, v18, v24
	v_cndmask_b32_e64 v16, v16, v26, s0
	v_bfe_u32 v26, v11, 29, 1
	s_delay_alu instid0(VALU_DEP_3) | instskip(NEXT) | instid1(VALU_DEP_2)
	v_cndmask_b32_e32 v20, v30, v28, vcc_lo
	v_dual_cndmask_b32 v16, v27, v16, s1 :: v_dual_sub_nc_u32 v28, 0, v26
	s_delay_alu instid0(VALU_DEP_2) | instskip(NEXT) | instid1(VALU_DEP_2)
	v_alignbit_b32 v27, v11, v20, 30
	v_alignbit_b32 v24, v18, v16, v24
	s_delay_alu instid0(VALU_DEP_1) | instskip(NEXT) | instid1(VALU_DEP_1)
	v_dual_cndmask_b32 v18, v24, v18, vcc_lo :: v_dual_bitop2_b32 v27, v27, v28 bitop3:0x14
	v_clz_i32_u32_e32 v24, v27
	s_delay_alu instid0(VALU_DEP_2) | instskip(SKIP_1) | instid1(VALU_DEP_3)
	v_alignbit_b32 v20, v20, v18, 30
	v_alignbit_b32 v16, v18, v16, 30
	v_min_u32_e32 v24, 32, v24
	s_delay_alu instid0(VALU_DEP_3) | instskip(NEXT) | instid1(VALU_DEP_3)
	v_xor_b32_e32 v18, v20, v28
	v_dual_lshrrev_b32 v28, 29, v11 :: v_dual_bitop2_b32 v16, v16, v28 bitop3:0x14
	s_delay_alu instid0(VALU_DEP_3) | instskip(NEXT) | instid1(VALU_DEP_1)
	v_dual_lshrrev_b32 v11, 30, v11 :: v_dual_sub_nc_u32 v20, 31, v24
	v_alignbit_b32 v27, v27, v18, v20
	s_delay_alu instid0(VALU_DEP_3) | instskip(NEXT) | instid1(VALU_DEP_4)
	v_alignbit_b32 v16, v18, v16, v20
	v_lshlrev_b32_e32 v18, 31, v28
	v_lshlrev_b32_e32 v29, 23, v24
	s_delay_alu instid0(VALU_DEP_3) | instskip(NEXT) | instid1(VALU_DEP_3)
	v_alignbit_b32 v20, v27, v16, 9
	v_dual_lshrrev_b32 v27, 9, v27 :: v_dual_bitop2_b32 v28, 0.5, v18 bitop3:0x54
	v_or_b32_e32 v18, 0x33000000, v18
	s_delay_alu instid0(VALU_DEP_3) | instskip(NEXT) | instid1(VALU_DEP_3)
	v_clz_i32_u32_e32 v30, v20
	v_sub_nc_u32_e32 v28, v28, v29
	s_delay_alu instid0(VALU_DEP_2) | instskip(NEXT) | instid1(VALU_DEP_1)
	v_min_u32_e32 v29, 32, v30
	v_add_lshl_u32 v24, v29, v24, 23
	s_delay_alu instid0(VALU_DEP_1) | instskip(NEXT) | instid1(VALU_DEP_4)
	v_sub_nc_u32_e32 v18, v18, v24
	v_or_b32_e32 v27, v27, v28
	v_not_b32_e32 v28, v29
	s_delay_alu instid0(VALU_DEP_2) | instskip(NEXT) | instid1(VALU_DEP_2)
	v_mul_f32_e32 v30, 0x3fc90fda, v27
	v_alignbit_b32 v16, v20, v16, v28
	s_delay_alu instid0(VALU_DEP_2) | instskip(NEXT) | instid1(VALU_DEP_2)
	v_fma_f32 v20, 0x3fc90fda, v27, -v30
	v_lshrrev_b32_e32 v16, 9, v16
	s_delay_alu instid0(VALU_DEP_2) | instskip(NEXT) | instid1(VALU_DEP_2)
	v_fmac_f32_e32 v20, 0x33a22168, v27
	v_or_b32_e32 v16, v18, v16
	s_delay_alu instid0(VALU_DEP_1) | instskip(NEXT) | instid1(VALU_DEP_1)
	v_fmac_f32_e32 v20, 0x3fc90fda, v16
	v_add_f32_e32 v18, v30, v20
	v_add_nc_u32_e32 v20, v26, v11
	s_and_not1_saveexec_b32 s0, s19
	s_cbranch_execnz .LBB100_272
	s_branch .LBB100_273
.LBB100_271:                            ;   in Loop: Header=BB100_180 Depth=1
	s_and_not1_saveexec_b32 s0, s19
.LBB100_272:                            ;   in Loop: Header=BB100_180 Depth=1
	v_mul_f32_e64 v11, 0x3f22f983, |v2|
	s_delay_alu instid0(VALU_DEP_1) | instskip(NEXT) | instid1(VALU_DEP_1)
	v_rndne_f32_e32 v11, v11
	v_fma_f32 v18, 0xbfc90fda, v11, |v2|
	v_cvt_i32_f32_e32 v20, v11
	s_delay_alu instid0(VALU_DEP_2) | instskip(NEXT) | instid1(VALU_DEP_1)
	v_fmac_f32_e32 v18, 0xb3a22168, v11
	v_fmac_f32_e32 v18, 0xa7c234c4, v11
.LBB100_273:                            ;   in Loop: Header=BB100_180 Depth=1
	s_or_b32 exec_lo, exec_lo, s0
	v_dual_mul_f32 v11, v10, v10 :: v_dual_bitop2_b32 v16, 1, v13 bitop3:0x40
	v_lshlrev_b32_e32 v13, 30, v13
	v_mul_f32_e64 v24, 0xbfb8aa3b, |v3|
	s_delay_alu instid0(VALU_DEP_3) | instskip(SKIP_1) | instid1(VALU_DEP_4)
	v_dual_mul_f32 v28, v18, v18 :: v_dual_fmaak_f32 v27, s14, v11, 0xbab64f3b
	v_fmaak_f32 v26, s13, v11, 0x3c0881c4
	v_bitop3_b32 v12, v12, v13, 0x80000000 bitop3:0x78
	s_delay_alu instid0(VALU_DEP_4)
	v_rndne_f32_e32 v13, v24
	v_fma_f32 v29, 0xbfb8aa3b, |v3|, -v24
	v_fmaak_f32 v30, s13, v28, 0x3c0881c4
	v_fmaak_f32 v26, v11, v26, 0xbe2aaa9d
	;; [unrolled: 1-line block ×3, first 2 shown]
	v_dual_fmaak_f32 v31, s14, v28, 0xbab64f3b :: v_dual_sub_f32 v24, v24, v13
	v_fma_f32 v29, 0xb2a5705f, |v3|, v29
	s_delay_alu instid0(VALU_DEP_3) | instskip(SKIP_3) | instid1(VALU_DEP_4)
	v_dual_mul_f32 v26, v11, v26 :: v_dual_fmaak_f32 v27, v11, v27, 0xbf000004
	v_fmaak_f32 v30, v28, v30, 0xbe2aaa9d
	v_cmp_eq_u32_e32 vcc_lo, 0, v16
	v_cvt_i32_f32_e32 v13, v13
	v_fmac_f32_e32 v10, v10, v26
	v_fma_f32 v11, v11, v27, 1.0
	v_dual_fmaak_f32 v26, v28, v31, 0x3d2aabf7 :: v_dual_mul_f32 v27, v28, v30
	s_delay_alu instid0(VALU_DEP_2) | instskip(NEXT) | instid1(VALU_DEP_2)
	v_dual_add_f32 v24, v24, v29 :: v_dual_cndmask_b32 v10, v11, v10, vcc_lo
	v_dual_fmaak_f32 v11, v28, v26, 0xbf000004 :: v_dual_fmac_f32 v18, v18, v27
	s_delay_alu instid0(VALU_DEP_2) | instskip(NEXT) | instid1(VALU_DEP_2)
	v_exp_f32_e32 v16, v24
	v_xor3_b32 v10, v12, v10, v2
	s_delay_alu instid0(VALU_DEP_2) | instskip(SKIP_1) | instid1(TRANS32_DEP_1)
	v_fma_f32 v11, v28, v11, 1.0
	v_and_b32_e32 v24, 1, v20
	v_ldexp_f32 v12, v16, v13
	v_lshlrev_b32_e32 v13, 30, v20
	s_delay_alu instid0(VALU_DEP_3) | instskip(SKIP_3) | instid1(VALU_DEP_3)
	v_cmp_eq_u32_e32 vcc_lo, 0, v24
	v_cndmask_b32_e64 v11, -v18, v11, vcc_lo
	v_cmp_nlt_f32_e64 vcc_lo, 0x42ce8ed0, |v3|
	v_mul_f32_e32 v10, 4.0, v10
	v_bitop3_b32 v11, v13, v11, 0x80000000 bitop3:0x6c
	v_cndmask_b32_e32 v12, 0, v12, vcc_lo
	v_cmp_ngt_f32_e64 vcc_lo, 0xc2b17218, |v3|
	s_delay_alu instid0(VALU_DEP_3) | instskip(SKIP_1) | instid1(VALU_DEP_4)
	v_mul_f32_e32 v10, v10, v11
	v_xor_b32_e32 v11, 0x80000000, v3
	v_cndmask_b32_e32 v12, 0x7f800000, v12, vcc_lo
	s_delay_alu instid0(VALU_DEP_2) | instskip(NEXT) | instid1(VALU_DEP_2)
	v_bfi_b32 v11, 0x7fffffff, 1.0, v11
	v_mul_f32_e32 v10, v12, v10
	s_delay_alu instid0(VALU_DEP_1)
	v_mul_f32_e32 v10, v12, v10
.LBB100_274:                            ;   in Loop: Header=BB100_180 Depth=1
	s_or_b32 exec_lo, exec_lo, s18
.LBB100_275:                            ;   in Loop: Header=BB100_180 Depth=1
	s_and_not1_saveexec_b32 s0, s17
; %bb.276:                              ;   in Loop: Header=BB100_180 Depth=1
	v_sub_f32_e32 v10, v2, v2
	s_delay_alu instid0(VALU_DEP_1)
	v_mov_b32_e32 v11, v10
; %bb.277:                              ;   in Loop: Header=BB100_180 Depth=1
	s_or_b32 exec_lo, exec_lo, s0
.LBB100_278:                            ;   in Loop: Header=BB100_180 Depth=1
	s_and_not1_saveexec_b32 s16, s16
	s_cbranch_execz .LBB100_294
; %bb.279:                              ;   in Loop: Header=BB100_180 Depth=1
	v_xor_b32_e32 v11, 0x80000000, v3
	s_delay_alu instid0(VALU_DEP_1) | instskip(NEXT) | instid1(VALU_DEP_1)
	v_and_b32_e32 v10, 0x7fffff, v11
	v_cmp_ne_u32_e32 vcc_lo, 0, v10
                                        ; implicit-def: $vgpr10
	s_and_saveexec_b32 s0, vcc_lo
	s_delay_alu instid0(SALU_CYCLE_1)
	s_xor_b32 s0, exec_lo, s0
; %bb.280:                              ;   in Loop: Header=BB100_180 Depth=1
	v_mul_f32_e64 v3, v2, -v3
	v_cmp_eq_f32_e32 vcc_lo, 0, v2
	s_delay_alu instid0(VALU_DEP_2)
	v_cndmask_b32_e32 v10, v3, v2, vcc_lo
; %bb.281:                              ;   in Loop: Header=BB100_180 Depth=1
	s_and_not1_saveexec_b32 s17, s0
	s_cbranch_execz .LBB100_293
; %bb.282:                              ;   in Loop: Header=BB100_180 Depth=1
	s_mov_b32 s18, exec_lo
	v_cmpx_neq_f32_e64 0x7f800000, |v2|
	s_cbranch_execz .LBB100_292
; %bb.283:                              ;   in Loop: Header=BB100_180 Depth=1
	v_and_b32_e32 v3, 0x7fffffff, v2
	v_cmp_ngt_f32_e64 s19, 0x48000000, |v2|
                                        ; implicit-def: $vgpr12
	s_delay_alu instid0(VALU_DEP_2) | instskip(SKIP_1) | instid1(VALU_DEP_2)
	v_lshrrev_b32_e32 v10, 23, v3
	v_and_or_b32 v16, v3, s6, 0x800000
	v_add_nc_u32_e32 v13, 0xffffff88, v10
                                        ; implicit-def: $vgpr10
	s_and_saveexec_b32 s0, s19
	s_delay_alu instid0(SALU_CYCLE_1)
	s_xor_b32 s20, exec_lo, s0
	s_cbranch_execz .LBB100_285
; %bb.284:                              ;   in Loop: Header=BB100_180 Depth=1
	v_mul_u64_e32 v[26:27], s[4:5], v[16:17]
	v_mov_b32_e32 v29, v17
	v_cmp_lt_u32_e32 vcc_lo, 63, v13
	v_mov_b32_e32 v39, v17
	v_cndmask_b32_e64 v10, 0, 0xffffffc0, vcc_lo
	s_delay_alu instid0(VALU_DEP_1) | instskip(NEXT) | instid1(VALU_DEP_1)
	v_add_nc_u32_e32 v10, v10, v13
	v_cmp_lt_u32_e64 s0, 31, v10
	s_delay_alu instid0(VALU_DEP_1) | instskip(NEXT) | instid1(VALU_DEP_1)
	v_cndmask_b32_e64 v12, 0, 0xffffffe0, s0
	v_dual_add_nc_u32 v10, v12, v10 :: v_dual_mov_b32 v28, v27
	s_delay_alu instid0(VALU_DEP_1) | instskip(NEXT) | instid1(VALU_DEP_2)
	v_cmp_lt_u32_e64 s1, 31, v10
	v_mad_nc_u64_u32 v[28:29], 0x3c439041, v16, v[28:29]
	v_mov_b32_e32 v31, v17
	s_delay_alu instid0(VALU_DEP_3) | instskip(NEXT) | instid1(VALU_DEP_3)
	v_cndmask_b32_e64 v12, 0, 0xffffffe0, s1
	v_mov_b32_e32 v30, v29
	s_delay_alu instid0(VALU_DEP_1) | instskip(NEXT) | instid1(VALU_DEP_1)
	v_mad_nc_u64_u32 v[30:31], 0xdb629599, v16, v[30:31]
	v_dual_mov_b32 v33, v17 :: v_dual_mov_b32 v32, v31
	s_delay_alu instid0(VALU_DEP_2) | instskip(NEXT) | instid1(VALU_DEP_2)
	v_cndmask_b32_e32 v26, v30, v26, vcc_lo
	v_mad_nc_u64_u32 v[32:33], 0xf534ddc0, v16, v[32:33]
	s_delay_alu instid0(VALU_DEP_1) | instskip(NEXT) | instid1(VALU_DEP_1)
	v_dual_mov_b32 v35, v17 :: v_dual_mov_b32 v34, v33
	v_mad_nc_u64_u32 v[34:35], 0xfc2757d1, v16, v[34:35]
	s_delay_alu instid0(VALU_DEP_1) | instskip(NEXT) | instid1(VALU_DEP_2)
	v_dual_mov_b32 v37, v17 :: v_dual_mov_b32 v36, v35
	v_cndmask_b32_e32 v27, v34, v30, vcc_lo
	s_delay_alu instid0(VALU_DEP_2) | instskip(NEXT) | instid1(VALU_DEP_1)
	v_mad_nc_u64_u32 v[36:37], 0x4e441529, v16, v[36:37]
	v_mov_b32_e32 v38, v37
	s_delay_alu instid0(VALU_DEP_1) | instskip(NEXT) | instid1(VALU_DEP_1)
	v_mad_nc_u64_u32 v[38:39], 0xa2f9836e, v16, v[38:39]
	v_dual_cndmask_b32 v18, v36, v32, vcc_lo :: v_dual_cndmask_b32 v20, v38, v34, vcc_lo
	s_delay_alu instid0(VALU_DEP_2) | instskip(SKIP_1) | instid1(VALU_DEP_3)
	v_dual_cndmask_b32 v24, v39, v36, vcc_lo :: v_dual_add_nc_u32 v10, v12, v10
	v_cndmask_b32_e32 v12, v32, v28, vcc_lo
	v_dual_cndmask_b32 v28, v20, v18, s0 :: v_dual_cndmask_b32 v18, v18, v27, s0
	s_delay_alu instid0(VALU_DEP_3) | instskip(NEXT) | instid1(VALU_DEP_3)
	v_dual_cndmask_b32 v20, v24, v20, s0 :: v_dual_sub_nc_u32 v24, 32, v10
	v_cndmask_b32_e64 v27, v27, v12, s0
	v_cmp_eq_u32_e32 vcc_lo, 0, v10
	s_delay_alu instid0(VALU_DEP_3) | instskip(NEXT) | instid1(VALU_DEP_3)
	v_cndmask_b32_e64 v20, v20, v28, s1
	v_dual_cndmask_b32 v28, v28, v18, s1 :: v_dual_cndmask_b32 v18, v18, v27, s1
	s_delay_alu instid0(VALU_DEP_1) | instskip(NEXT) | instid1(VALU_DEP_1)
	v_alignbit_b32 v29, v20, v28, v24
	v_cndmask_b32_e32 v10, v29, v20, vcc_lo
	s_delay_alu instid0(VALU_DEP_3) | instskip(SKIP_1) | instid1(VALU_DEP_3)
	v_alignbit_b32 v30, v28, v18, v24
	v_cndmask_b32_e64 v12, v12, v26, s0
	v_bfe_u32 v26, v10, 29, 1
	s_delay_alu instid0(VALU_DEP_3) | instskip(NEXT) | instid1(VALU_DEP_2)
	v_cndmask_b32_e32 v20, v30, v28, vcc_lo
	v_dual_cndmask_b32 v12, v27, v12, s1 :: v_dual_sub_nc_u32 v28, 0, v26
	s_delay_alu instid0(VALU_DEP_2) | instskip(NEXT) | instid1(VALU_DEP_2)
	v_alignbit_b32 v27, v10, v20, 30
	v_alignbit_b32 v24, v18, v12, v24
	s_delay_alu instid0(VALU_DEP_1) | instskip(NEXT) | instid1(VALU_DEP_1)
	v_dual_cndmask_b32 v18, v24, v18, vcc_lo :: v_dual_bitop2_b32 v27, v27, v28 bitop3:0x14
	v_clz_i32_u32_e32 v24, v27
	s_delay_alu instid0(VALU_DEP_2) | instskip(SKIP_1) | instid1(VALU_DEP_3)
	v_alignbit_b32 v20, v20, v18, 30
	v_alignbit_b32 v12, v18, v12, 30
	v_min_u32_e32 v24, 32, v24
	s_delay_alu instid0(VALU_DEP_3) | instskip(NEXT) | instid1(VALU_DEP_3)
	v_xor_b32_e32 v18, v20, v28
	v_dual_lshrrev_b32 v28, 29, v10 :: v_dual_bitop2_b32 v12, v12, v28 bitop3:0x14
	s_delay_alu instid0(VALU_DEP_3) | instskip(NEXT) | instid1(VALU_DEP_1)
	v_sub_nc_u32_e32 v20, 31, v24
	v_alignbit_b32 v27, v27, v18, v20
	s_delay_alu instid0(VALU_DEP_3) | instskip(NEXT) | instid1(VALU_DEP_4)
	v_alignbit_b32 v12, v18, v12, v20
	v_lshlrev_b32_e32 v18, 31, v28
	v_lshlrev_b32_e32 v29, 23, v24
	s_delay_alu instid0(VALU_DEP_3) | instskip(NEXT) | instid1(VALU_DEP_3)
	v_alignbit_b32 v20, v27, v12, 9
	v_dual_lshrrev_b32 v27, 9, v27 :: v_dual_bitop2_b32 v28, 0.5, v18 bitop3:0x54
	v_or_b32_e32 v18, 0x33000000, v18
	s_delay_alu instid0(VALU_DEP_3) | instskip(NEXT) | instid1(VALU_DEP_3)
	v_clz_i32_u32_e32 v30, v20
	v_sub_nc_u32_e32 v28, v28, v29
	s_delay_alu instid0(VALU_DEP_2) | instskip(NEXT) | instid1(VALU_DEP_1)
	v_min_u32_e32 v29, 32, v30
	v_add_lshl_u32 v24, v29, v24, 23
	s_delay_alu instid0(VALU_DEP_1) | instskip(NEXT) | instid1(VALU_DEP_4)
	v_sub_nc_u32_e32 v18, v18, v24
	v_or_b32_e32 v27, v27, v28
	v_not_b32_e32 v28, v29
	s_delay_alu instid0(VALU_DEP_2) | instskip(NEXT) | instid1(VALU_DEP_2)
	v_mul_f32_e32 v30, 0x3fc90fda, v27
	v_alignbit_b32 v12, v20, v12, v28
	s_delay_alu instid0(VALU_DEP_2) | instskip(NEXT) | instid1(VALU_DEP_2)
	v_fma_f32 v20, 0x3fc90fda, v27, -v30
	v_lshrrev_b32_e32 v12, 9, v12
	s_delay_alu instid0(VALU_DEP_2) | instskip(NEXT) | instid1(VALU_DEP_2)
	v_fmac_f32_e32 v20, 0x33a22168, v27
	v_or_b32_e32 v12, v18, v12
	s_delay_alu instid0(VALU_DEP_1) | instskip(NEXT) | instid1(VALU_DEP_1)
	v_fmac_f32_e32 v20, 0x3fc90fda, v12
	v_dual_lshrrev_b32 v12, 30, v10 :: v_dual_add_f32 v10, v30, v20
	s_delay_alu instid0(VALU_DEP_1)
	v_add_nc_u32_e32 v12, v26, v12
.LBB100_285:                            ;   in Loop: Header=BB100_180 Depth=1
	s_or_saveexec_b32 s0, s20
	v_mul_f32_e64 v18, 0x3f22f983, |v2|
	s_delay_alu instid0(VALU_DEP_1)
	v_rndne_f32_e32 v24, v18
	s_xor_b32 exec_lo, exec_lo, s0
; %bb.286:                              ;   in Loop: Header=BB100_180 Depth=1
	s_delay_alu instid0(VALU_DEP_1) | instskip(SKIP_1) | instid1(VALU_DEP_2)
	v_fma_f32 v10, 0xbfc90fda, v24, |v2|
	v_cvt_i32_f32_e32 v12, v24
	v_fmac_f32_e32 v10, 0xb3a22168, v24
	s_delay_alu instid0(VALU_DEP_1)
	v_fmac_f32_e32 v10, 0xa7c234c4, v24
; %bb.287:                              ;   in Loop: Header=BB100_180 Depth=1
	s_or_b32 exec_lo, exec_lo, s0
                                        ; implicit-def: $vgpr20
                                        ; implicit-def: $vgpr18
	s_and_saveexec_b32 s0, s19
	s_delay_alu instid0(SALU_CYCLE_1)
	s_xor_b32 s19, exec_lo, s0
	s_cbranch_execz .LBB100_289
; %bb.288:                              ;   in Loop: Header=BB100_180 Depth=1
	v_mul_u64_e32 v[26:27], s[4:5], v[16:17]
	v_mov_b32_e32 v29, v17
	v_cmp_lt_u32_e32 vcc_lo, 63, v13
	v_mov_b32_e32 v39, v17
	v_cndmask_b32_e64 v18, 0, 0xffffffc0, vcc_lo
	s_delay_alu instid0(VALU_DEP_1) | instskip(NEXT) | instid1(VALU_DEP_1)
	v_add_nc_u32_e32 v13, v18, v13
	v_cmp_lt_u32_e64 s0, 31, v13
	s_delay_alu instid0(VALU_DEP_1) | instskip(NEXT) | instid1(VALU_DEP_1)
	v_cndmask_b32_e64 v18, 0, 0xffffffe0, s0
	v_dual_mov_b32 v28, v27 :: v_dual_add_nc_u32 v13, v18, v13
	s_delay_alu instid0(VALU_DEP_1) | instskip(NEXT) | instid1(VALU_DEP_2)
	v_cmp_lt_u32_e64 s1, 31, v13
	v_mad_nc_u64_u32 v[28:29], 0x3c439041, v16, v[28:29]
	s_delay_alu instid0(VALU_DEP_1) | instskip(NEXT) | instid1(VALU_DEP_1)
	v_dual_mov_b32 v31, v17 :: v_dual_mov_b32 v30, v29
	v_mad_nc_u64_u32 v[30:31], 0xdb629599, v16, v[30:31]
	s_delay_alu instid0(VALU_DEP_1) | instskip(NEXT) | instid1(VALU_DEP_2)
	v_dual_mov_b32 v33, v17 :: v_dual_mov_b32 v32, v31
	v_cndmask_b32_e32 v26, v30, v26, vcc_lo
	s_delay_alu instid0(VALU_DEP_2) | instskip(NEXT) | instid1(VALU_DEP_1)
	v_mad_nc_u64_u32 v[32:33], 0xf534ddc0, v16, v[32:33]
	v_dual_mov_b32 v35, v17 :: v_dual_mov_b32 v34, v33
	s_delay_alu instid0(VALU_DEP_1) | instskip(NEXT) | instid1(VALU_DEP_1)
	v_mad_nc_u64_u32 v[34:35], 0xfc2757d1, v16, v[34:35]
	v_dual_mov_b32 v37, v17 :: v_dual_mov_b32 v36, v35
	s_delay_alu instid0(VALU_DEP_2) | instskip(NEXT) | instid1(VALU_DEP_2)
	v_cndmask_b32_e32 v27, v34, v30, vcc_lo
	v_mad_nc_u64_u32 v[36:37], 0x4e441529, v16, v[36:37]
	s_delay_alu instid0(VALU_DEP_1) | instskip(NEXT) | instid1(VALU_DEP_1)
	v_mov_b32_e32 v38, v37
	v_mad_nc_u64_u32 v[38:39], 0xa2f9836e, v16, v[38:39]
	v_cndmask_b32_e64 v16, 0, 0xffffffe0, s1
	s_delay_alu instid0(VALU_DEP_2) | instskip(NEXT) | instid1(VALU_DEP_2)
	v_dual_cndmask_b32 v18, v36, v32, vcc_lo :: v_dual_cndmask_b32 v20, v38, v34, vcc_lo
	v_dual_cndmask_b32 v24, v39, v36 :: v_dual_add_nc_u32 v13, v16, v13
	v_cndmask_b32_e32 v16, v32, v28, vcc_lo
	s_delay_alu instid0(VALU_DEP_3) | instskip(NEXT) | instid1(VALU_DEP_3)
	v_dual_cndmask_b32 v28, v20, v18, s0 :: v_dual_cndmask_b32 v18, v18, v27, s0
	v_dual_cndmask_b32 v20, v24, v20, s0 :: v_dual_sub_nc_u32 v24, 32, v13
	s_delay_alu instid0(VALU_DEP_3) | instskip(SKIP_1) | instid1(VALU_DEP_3)
	v_cndmask_b32_e64 v27, v27, v16, s0
	v_cmp_eq_u32_e32 vcc_lo, 0, v13
	v_cndmask_b32_e64 v20, v20, v28, s1
	s_delay_alu instid0(VALU_DEP_3) | instskip(NEXT) | instid1(VALU_DEP_1)
	v_dual_cndmask_b32 v28, v28, v18, s1 :: v_dual_cndmask_b32 v18, v18, v27, s1
	v_alignbit_b32 v29, v20, v28, v24
	s_delay_alu instid0(VALU_DEP_1) | instskip(NEXT) | instid1(VALU_DEP_3)
	v_cndmask_b32_e32 v13, v29, v20, vcc_lo
	v_alignbit_b32 v30, v28, v18, v24
	v_cndmask_b32_e64 v16, v16, v26, s0
	s_delay_alu instid0(VALU_DEP_3) | instskip(NEXT) | instid1(VALU_DEP_3)
	v_bfe_u32 v26, v13, 29, 1
	v_cndmask_b32_e32 v20, v30, v28, vcc_lo
	s_delay_alu instid0(VALU_DEP_2) | instskip(NEXT) | instid1(VALU_DEP_2)
	v_dual_cndmask_b32 v16, v27, v16, s1 :: v_dual_sub_nc_u32 v28, 0, v26
	v_alignbit_b32 v27, v13, v20, 30
	s_delay_alu instid0(VALU_DEP_2) | instskip(NEXT) | instid1(VALU_DEP_1)
	v_alignbit_b32 v24, v18, v16, v24
	v_dual_cndmask_b32 v18, v24, v18, vcc_lo :: v_dual_bitop2_b32 v27, v27, v28 bitop3:0x14
	s_delay_alu instid0(VALU_DEP_1) | instskip(NEXT) | instid1(VALU_DEP_2)
	v_clz_i32_u32_e32 v24, v27
	v_alignbit_b32 v20, v20, v18, 30
	v_alignbit_b32 v16, v18, v16, 30
	s_delay_alu instid0(VALU_DEP_3) | instskip(NEXT) | instid1(VALU_DEP_3)
	v_min_u32_e32 v24, 32, v24
	v_xor_b32_e32 v18, v20, v28
	s_delay_alu instid0(VALU_DEP_3) | instskip(NEXT) | instid1(VALU_DEP_3)
	v_dual_lshrrev_b32 v28, 29, v13 :: v_dual_bitop2_b32 v16, v16, v28 bitop3:0x14
	v_dual_lshrrev_b32 v13, 30, v13 :: v_dual_sub_nc_u32 v20, 31, v24
	s_delay_alu instid0(VALU_DEP_1) | instskip(NEXT) | instid1(VALU_DEP_3)
	v_alignbit_b32 v27, v27, v18, v20
	v_alignbit_b32 v16, v18, v16, v20
	s_delay_alu instid0(VALU_DEP_4) | instskip(SKIP_1) | instid1(VALU_DEP_3)
	v_lshlrev_b32_e32 v18, 31, v28
	v_lshlrev_b32_e32 v29, 23, v24
	v_alignbit_b32 v20, v27, v16, 9
	s_delay_alu instid0(VALU_DEP_3) | instskip(SKIP_1) | instid1(VALU_DEP_3)
	v_dual_lshrrev_b32 v27, 9, v27 :: v_dual_bitop2_b32 v28, 0.5, v18 bitop3:0x54
	v_or_b32_e32 v18, 0x33000000, v18
	v_clz_i32_u32_e32 v30, v20
	s_delay_alu instid0(VALU_DEP_3) | instskip(NEXT) | instid1(VALU_DEP_2)
	v_sub_nc_u32_e32 v28, v28, v29
	v_min_u32_e32 v29, 32, v30
	s_delay_alu instid0(VALU_DEP_1) | instskip(NEXT) | instid1(VALU_DEP_1)
	v_add_lshl_u32 v24, v29, v24, 23
	v_sub_nc_u32_e32 v18, v18, v24
	s_delay_alu instid0(VALU_DEP_4) | instskip(SKIP_1) | instid1(VALU_DEP_2)
	v_or_b32_e32 v27, v27, v28
	v_not_b32_e32 v28, v29
                                        ; implicit-def: $vgpr24
	v_mul_f32_e32 v30, 0x3fc90fda, v27
	s_delay_alu instid0(VALU_DEP_2) | instskip(NEXT) | instid1(VALU_DEP_2)
	v_alignbit_b32 v16, v20, v16, v28
	v_fma_f32 v20, 0x3fc90fda, v27, -v30
	s_delay_alu instid0(VALU_DEP_2) | instskip(NEXT) | instid1(VALU_DEP_2)
	v_lshrrev_b32_e32 v16, 9, v16
	v_fmac_f32_e32 v20, 0x33a22168, v27
	s_delay_alu instid0(VALU_DEP_2) | instskip(NEXT) | instid1(VALU_DEP_1)
	v_or_b32_e32 v16, v18, v16
	v_fmac_f32_e32 v20, 0x3fc90fda, v16
	s_delay_alu instid0(VALU_DEP_1)
	v_add_f32_e32 v18, v30, v20
	v_add_nc_u32_e32 v20, v26, v13
	s_and_not1_saveexec_b32 s0, s19
	s_cbranch_execnz .LBB100_290
	s_branch .LBB100_291
.LBB100_289:                            ;   in Loop: Header=BB100_180 Depth=1
	s_and_not1_saveexec_b32 s0, s19
.LBB100_290:                            ;   in Loop: Header=BB100_180 Depth=1
	v_fma_f32 v18, 0xbfc90fda, v24, |v2|
	v_cvt_i32_f32_e32 v20, v24
	s_delay_alu instid0(VALU_DEP_2) | instskip(NEXT) | instid1(VALU_DEP_1)
	v_fmac_f32_e32 v18, 0xb3a22168, v24
	v_fmac_f32_e32 v18, 0xa7c234c4, v24
.LBB100_291:                            ;   in Loop: Header=BB100_180 Depth=1
	s_or_b32 exec_lo, exec_lo, s0
	v_dual_mul_f32 v13, v10, v10 :: v_dual_bitop2_b32 v24, 1, v12 bitop3:0x40
	s_delay_alu instid0(VALU_DEP_2) | instskip(SKIP_1) | instid1(VALU_DEP_3)
	v_dual_mul_f32 v16, v18, v18 :: v_dual_bitop2_b32 v30, 1, v20 bitop3:0x40
	v_lshlrev_b32_e32 v20, 30, v20
	v_fmaak_f32 v26, s13, v13, 0x3c0881c4
	v_fmaak_f32 v27, s14, v13, 0xbab64f3b
	s_delay_alu instid0(VALU_DEP_4)
	v_fmaak_f32 v28, s13, v16, 0x3c0881c4
	v_lshlrev_b32_e32 v12, 30, v12
	v_cmp_eq_u32_e32 vcc_lo, 0, v24
	v_fmaak_f32 v26, v13, v26, 0xbe2aaa9d
	v_fmaak_f32 v29, s14, v16, 0xbab64f3b
	;; [unrolled: 1-line block ×4, first 2 shown]
	v_bitop3_b32 v3, v3, v12, 0x80000000 bitop3:0x78
	s_delay_alu instid0(VALU_DEP_4) | instskip(NEXT) | instid1(VALU_DEP_3)
	v_dual_mul_f32 v26, v13, v26 :: v_dual_fmaak_f32 v29, v16, v29, 0x3d2aabf7
	v_dual_fmaak_f32 v27, v13, v27, 0xbf000004 :: v_dual_mul_f32 v28, v16, v28
	s_delay_alu instid0(VALU_DEP_2) | instskip(NEXT) | instid1(VALU_DEP_2)
	v_dual_fmac_f32 v10, v10, v26 :: v_dual_fmaak_f32 v29, v16, v29, 0xbf000004
	v_fma_f32 v13, v13, v27, 1.0
	s_delay_alu instid0(VALU_DEP_3) | instskip(NEXT) | instid1(VALU_DEP_3)
	v_fmac_f32_e32 v18, v18, v28
	v_fma_f32 v16, v16, v29, 1.0
	s_delay_alu instid0(VALU_DEP_3) | instskip(SKIP_1) | instid1(VALU_DEP_3)
	v_cndmask_b32_e32 v10, v13, v10, vcc_lo
	v_cmp_eq_u32_e32 vcc_lo, 0, v30
	v_cndmask_b32_e64 v12, -v18, v16, vcc_lo
	s_delay_alu instid0(VALU_DEP_3) | instskip(SKIP_1) | instid1(VALU_DEP_3)
	v_xor3_b32 v3, v3, v10, v2
	v_cmp_class_f32_e64 vcc_lo, v2, 0x1f8
	v_bitop3_b32 v10, v20, v12, 0x80000000 bitop3:0x6c
	s_delay_alu instid0(VALU_DEP_1) | instskip(NEXT) | instid1(VALU_DEP_1)
	v_mul_f32_e32 v3, v3, v10
	v_cndmask_b32_e32 v2, 0x7fc00000, v3, vcc_lo
.LBB100_292:                            ;   in Loop: Header=BB100_180 Depth=1
	s_or_b32 exec_lo, exec_lo, s18
	v_add_nc_u32_e32 v11, -2.0, v11
	s_delay_alu instid0(VALU_DEP_2)
	v_bfi_b32 v10, 0x7fffffff, 0, v2
.LBB100_293:                            ;   in Loop: Header=BB100_180 Depth=1
	s_or_b32 exec_lo, exec_lo, s17
.LBB100_294:                            ;   in Loop: Header=BB100_180 Depth=1
	s_delay_alu instid0(SALU_CYCLE_1) | instskip(SKIP_2) | instid1(VALU_DEP_1)
	s_or_b32 exec_lo, exec_lo, s16
	v_and_b32_e32 v20, 0x7fffffff, v5
                                        ; implicit-def: $vgpr13
	s_mov_b32 s0, exec_lo
	v_cmpx_gt_u32_e32 0x7f800000, v20
	s_xor_b32 s16, exec_lo, s0
	s_cbranch_execz .LBB100_316
; %bb.295:                              ;   in Loop: Header=BB100_180 Depth=1
	v_cmp_class_f32_e64 s0, v4, 0x1f8
                                        ; implicit-def: $vgpr13
	s_and_saveexec_b32 s1, s0
	s_delay_alu instid0(SALU_CYCLE_1)
	s_xor_b32 s17, exec_lo, s1
	s_cbranch_execz .LBB100_313
; %bb.296:                              ;   in Loop: Header=BB100_180 Depth=1
	v_and_b32_e32 v2, 0x7fffffff, v4
                                        ; implicit-def: $vgpr13
	s_mov_b32 s0, exec_lo
	v_cmpx_gt_u32_e32 0x41300000, v20
	s_xor_b32 s18, exec_lo, s0
	s_cbranch_execz .LBB100_302
; %bb.297:                              ;   in Loop: Header=BB100_180 Depth=1
                                        ; implicit-def: $vgpr3
                                        ; implicit-def: $vgpr12
	s_mov_b32 s1, exec_lo
	v_cmpx_ngt_f32_e64 0x48000000, |v4|
	s_xor_b32 s19, exec_lo, s1
	s_cbranch_execz .LBB100_299
; %bb.298:                              ;   in Loop: Header=BB100_180 Depth=1
	v_and_or_b32 v16, v2, s6, 0x800000
	v_dual_lshrrev_b32 v3, 23, v2 :: v_dual_mov_b32 v35, v17
	s_delay_alu instid0(VALU_DEP_2) | instskip(SKIP_1) | instid1(VALU_DEP_3)
	v_mul_u64_e32 v[12:13], s[4:5], v[16:17]
	v_mov_b32_e32 v27, v17
	v_add_nc_u32_e32 v3, 0xffffff88, v3
	s_delay_alu instid0(VALU_DEP_1) | instskip(NEXT) | instid1(VALU_DEP_4)
	v_cmp_lt_u32_e32 vcc_lo, 63, v3
	v_mov_b32_e32 v26, v13
	v_cndmask_b32_e64 v13, 0, 0xffffffc0, vcc_lo
	s_delay_alu instid0(VALU_DEP_2) | instskip(NEXT) | instid1(VALU_DEP_1)
	v_mad_nc_u64_u32 v[26:27], 0x3c439041, v16, v[26:27]
	v_dual_mov_b32 v29, v17 :: v_dual_mov_b32 v28, v27
	s_delay_alu instid0(VALU_DEP_1) | instskip(NEXT) | instid1(VALU_DEP_1)
	v_mad_nc_u64_u32 v[28:29], 0xdb629599, v16, v[28:29]
	v_dual_mov_b32 v31, v17 :: v_dual_mov_b32 v30, v29
	s_delay_alu instid0(VALU_DEP_1) | instskip(NEXT) | instid1(VALU_DEP_1)
	;; [unrolled: 3-line block ×3, first 2 shown]
	v_mad_nc_u64_u32 v[32:33], 0xfc2757d1, v16, v[32:33]
	v_dual_mov_b32 v34, v33 :: v_dual_cndmask_b32 v27, v32, v28
	s_delay_alu instid0(VALU_DEP_1) | instskip(SKIP_1) | instid1(VALU_DEP_2)
	v_mad_nc_u64_u32 v[34:35], 0x4e441529, v16, v[34:35]
	v_add_nc_u32_e32 v3, v13, v3
	v_dual_mov_b32 v37, v17 :: v_dual_mov_b32 v36, v35
	s_delay_alu instid0(VALU_DEP_2) | instskip(NEXT) | instid1(VALU_DEP_2)
	v_cmp_lt_u32_e64 s0, 31, v3
	v_mad_nc_u64_u32 v[36:37], 0xa2f9836e, v16, v[36:37]
	s_delay_alu instid0(VALU_DEP_2) | instskip(NEXT) | instid1(VALU_DEP_1)
	v_cndmask_b32_e64 v13, 0, 0xffffffe0, s0
	v_dual_cndmask_b32 v16, v34, v30 :: v_dual_add_nc_u32 v3, v13, v3
	s_delay_alu instid0(VALU_DEP_3) | instskip(NEXT) | instid1(VALU_DEP_2)
	v_dual_cndmask_b32 v18, v36, v32, vcc_lo :: v_dual_cndmask_b32 v24, v37, v34, vcc_lo
	v_cmp_lt_u32_e64 s1, 31, v3
	s_delay_alu instid0(VALU_DEP_1) | instskip(NEXT) | instid1(VALU_DEP_1)
	v_cndmask_b32_e64 v13, 0, 0xffffffe0, s1
	v_dual_add_nc_u32 v3, v13, v3 :: v_dual_cndmask_b32 v13, v30, v26, vcc_lo
	s_delay_alu instid0(VALU_DEP_4) | instskip(SKIP_1) | instid1(VALU_DEP_3)
	v_dual_cndmask_b32 v26, v18, v16, s0 :: v_dual_cndmask_b32 v18, v24, v18, s0
	v_cndmask_b32_e64 v16, v16, v27, s0
	v_dual_sub_nc_u32 v24, 32, v3 :: v_dual_cndmask_b32 v27, v27, v13, s0
	s_delay_alu instid0(VALU_DEP_3) | instskip(NEXT) | instid1(VALU_DEP_2)
	v_cndmask_b32_e64 v18, v18, v26, s1
	v_dual_cndmask_b32 v26, v26, v16, s1 :: v_dual_cndmask_b32 v16, v16, v27, s1
	s_delay_alu instid0(VALU_DEP_1) | instskip(SKIP_2) | instid1(VALU_DEP_4)
	v_alignbit_b32 v29, v18, v26, v24
	v_cndmask_b32_e32 v12, v28, v12, vcc_lo
	v_cmp_eq_u32_e32 vcc_lo, 0, v3
	v_alignbit_b32 v28, v26, v16, v24
	s_delay_alu instid0(VALU_DEP_4) | instskip(NEXT) | instid1(VALU_DEP_2)
	v_cndmask_b32_e32 v3, v29, v18, vcc_lo
	v_dual_cndmask_b32 v12, v13, v12, s0 :: v_dual_cndmask_b32 v13, v28, v26, vcc_lo
	s_delay_alu instid0(VALU_DEP_2) | instskip(NEXT) | instid1(VALU_DEP_2)
	v_bfe_u32 v18, v3, 29, 1
	v_cndmask_b32_e64 v12, v27, v12, s1
	s_delay_alu instid0(VALU_DEP_3) | instskip(NEXT) | instid1(VALU_DEP_3)
	v_alignbit_b32 v26, v3, v13, 30
	v_sub_nc_u32_e32 v27, 0, v18
	s_delay_alu instid0(VALU_DEP_3) | instskip(NEXT) | instid1(VALU_DEP_1)
	v_alignbit_b32 v24, v16, v12, v24
	v_dual_cndmask_b32 v16, v24, v16, vcc_lo :: v_dual_bitop2_b32 v26, v26, v27 bitop3:0x14
	s_delay_alu instid0(VALU_DEP_1) | instskip(NEXT) | instid1(VALU_DEP_2)
	v_clz_i32_u32_e32 v24, v26
	v_alignbit_b32 v13, v13, v16, 30
	v_alignbit_b32 v12, v16, v12, 30
	s_delay_alu instid0(VALU_DEP_3) | instskip(NEXT) | instid1(VALU_DEP_3)
	v_min_u32_e32 v24, 32, v24
	v_xor_b32_e32 v13, v13, v27
	s_delay_alu instid0(VALU_DEP_3) | instskip(SKIP_1) | instid1(VALU_DEP_4)
	v_xor_b32_e32 v12, v12, v27
	v_dual_lshrrev_b32 v27, 29, v3 :: v_dual_lshrrev_b32 v3, 30, v3
	v_dual_sub_nc_u32 v16, 31, v24 :: v_dual_lshlrev_b32 v28, 23, v24
	s_delay_alu instid0(VALU_DEP_2) | instskip(NEXT) | instid1(VALU_DEP_2)
	v_add_nc_u32_e32 v3, v18, v3
	v_alignbit_b32 v26, v26, v13, v16
	v_alignbit_b32 v12, v13, v12, v16
	v_lshlrev_b32_e32 v13, 31, v27
	s_delay_alu instid0(VALU_DEP_2) | instskip(NEXT) | instid1(VALU_DEP_2)
	v_alignbit_b32 v16, v26, v12, 9
	v_dual_lshrrev_b32 v26, 9, v26 :: v_dual_bitop2_b32 v27, 0.5, v13 bitop3:0x54
	v_or_b32_e32 v13, 0x33000000, v13
	s_delay_alu instid0(VALU_DEP_3) | instskip(NEXT) | instid1(VALU_DEP_3)
	v_clz_i32_u32_e32 v29, v16
	v_sub_nc_u32_e32 v27, v27, v28
	s_delay_alu instid0(VALU_DEP_2) | instskip(NEXT) | instid1(VALU_DEP_1)
	v_min_u32_e32 v28, 32, v29
	v_add_lshl_u32 v24, v28, v24, 23
	s_delay_alu instid0(VALU_DEP_3) | instskip(SKIP_1) | instid1(VALU_DEP_3)
	v_or_b32_e32 v26, v26, v27
	v_not_b32_e32 v27, v28
	v_sub_nc_u32_e32 v13, v13, v24
	s_delay_alu instid0(VALU_DEP_2) | instskip(NEXT) | instid1(VALU_DEP_1)
	v_alignbit_b32 v12, v16, v12, v27
	v_dual_mul_f32 v29, 0x3fc90fda, v26 :: v_dual_lshrrev_b32 v12, 9, v12
	s_delay_alu instid0(VALU_DEP_1) | instskip(NEXT) | instid1(VALU_DEP_2)
	v_fma_f32 v16, 0x3fc90fda, v26, -v29
	v_or_b32_e32 v12, v13, v12
	s_delay_alu instid0(VALU_DEP_2) | instskip(NEXT) | instid1(VALU_DEP_1)
	v_fmac_f32_e32 v16, 0x33a22168, v26
	v_fmac_f32_e32 v16, 0x3fc90fda, v12
	s_delay_alu instid0(VALU_DEP_1)
	v_add_f32_e32 v12, v29, v16
.LBB100_299:                            ;   in Loop: Header=BB100_180 Depth=1
	s_and_not1_saveexec_b32 s0, s19
; %bb.300:                              ;   in Loop: Header=BB100_180 Depth=1
	v_mul_f32_e64 v3, 0x3f22f983, |v4|
	s_delay_alu instid0(VALU_DEP_1) | instskip(NEXT) | instid1(VALU_DEP_1)
	v_rndne_f32_e32 v3, v3
	v_fma_f32 v12, 0xbfc90fda, v3, |v4|
	s_delay_alu instid0(VALU_DEP_1) | instskip(NEXT) | instid1(VALU_DEP_1)
	v_fmac_f32_e32 v12, 0xb3a22168, v3
	v_fmac_f32_e32 v12, 0xa7c234c4, v3
	v_cvt_i32_f32_e32 v3, v3
; %bb.301:                              ;   in Loop: Header=BB100_180 Depth=1
	s_or_b32 exec_lo, exec_lo, s0
	v_add_f32_e64 v13, 0xbf317218, |v5|
	v_cmp_nlt_f32_e64 vcc_lo, 0x42b2d4fc, |v5|
	v_cmp_gt_f32_e64 s0, 0x39800000, |v5|
	v_and_b32_e32 v3, 1, v3
	s_delay_alu instid0(VALU_DEP_4) | instskip(NEXT) | instid1(VALU_DEP_1)
	v_sub_f32_e64 v27, v13, |v5|
	v_sub_f32_e32 v26, v27, v13
	s_delay_alu instid0(VALU_DEP_1) | instskip(NEXT) | instid1(VALU_DEP_1)
	v_pk_add_f32 v[26:27], v[20:21], v[26:27]
	v_sub_f32_e32 v16, v26, v27
	s_delay_alu instid0(VALU_DEP_1) | instskip(NEXT) | instid1(VALU_DEP_1)
	v_add_f32_e32 v16, 0x3102e308, v16
	v_add_f32_e32 v18, v13, v16
	s_delay_alu instid0(VALU_DEP_1) | instskip(NEXT) | instid1(VALU_DEP_1)
	v_dual_sub_f32 v13, v13, v18 :: v_dual_mul_f32 v20, 0x3fb8aa3b, v18
	v_add_f32_e32 v13, v16, v13
	s_delay_alu instid0(VALU_DEP_2) | instskip(NEXT) | instid1(VALU_DEP_1)
	v_rndne_f32_e32 v20, v20
	v_fmac_f32_e32 v18, 0xbf317200, v20
	v_mul_f32_e32 v16, 0x35bfbc00, v20
	s_delay_alu instid0(VALU_DEP_2) | instskip(NEXT) | instid1(VALU_DEP_1)
	v_add_f32_e32 v24, v13, v18
	v_sub_f32_e32 v26, v24, v16
	s_delay_alu instid0(VALU_DEP_1) | instskip(NEXT) | instid1(VALU_DEP_1)
	v_dual_sub_f32 v18, v18, v24 :: v_dual_sub_f32 v24, v24, v26
	v_dual_add_f32 v13, v13, v18 :: v_dual_sub_f32 v16, v24, v16
	s_delay_alu instid0(VALU_DEP_1) | instskip(NEXT) | instid1(VALU_DEP_1)
	v_add_f32_e32 v13, v13, v16
	v_add_f32_e32 v27, v26, v13
	s_delay_alu instid0(VALU_DEP_1) | instskip(NEXT) | instid1(VALU_DEP_1)
	v_dual_mul_f32 v29, 0x2ea39ef3, v20 :: v_dual_mov_b32 v28, v27
	v_pk_add_f32 v[30:31], v[26:27], v[28:29] neg_lo:[0,1] neg_hi:[0,1]
	s_delay_alu instid0(VALU_DEP_1) | instskip(NEXT) | instid1(VALU_DEP_1)
	v_dual_sub_f32 v16, v27, v31 :: v_dual_add_f32 v13, v13, v30
	v_sub_f32_e32 v16, v16, v29
	s_delay_alu instid0(VALU_DEP_1) | instskip(NEXT) | instid1(VALU_DEP_1)
	v_add_f32_e32 v13, v13, v16
	v_add_f32_e32 v16, v31, v13
	s_delay_alu instid0(VALU_DEP_1) | instskip(SKIP_1) | instid1(VALU_DEP_2)
	v_sub_f32_e32 v18, v31, v16
	v_mov_b64_e32 v[30:31], s[6:7]
	v_add_f32_e32 v13, v13, v18
	s_delay_alu instid0(VALU_DEP_1) | instskip(NEXT) | instid1(VALU_DEP_1)
	v_dual_add_f32 v27, v13, v13 :: v_dual_mul_f32 v24, v16, v16
	v_fma_f32 v26, v16, v16, -v24
	s_delay_alu instid0(VALU_DEP_1) | instskip(NEXT) | instid1(VALU_DEP_1)
	v_fmac_f32_e32 v26, v16, v27
	v_dual_fmaak_f32 v18, s12, v16, 0x3c091de6 :: v_dual_add_f32 v27, v24, v26
	s_delay_alu instid0(VALU_DEP_1) | instskip(NEXT) | instid1(VALU_DEP_2)
	v_fmaak_f32 v18, v16, v18, 0x3d2aadcc
	v_sub_f32_e32 v24, v27, v24
	s_delay_alu instid0(VALU_DEP_2) | instskip(NEXT) | instid1(VALU_DEP_1)
	v_fmaak_f32 v18, v16, v18, 0x3e2aaa47
	v_fmaak_f32 v18, v16, v18, 0x3efffffc
	s_delay_alu instid0(VALU_DEP_1) | instskip(NEXT) | instid1(VALU_DEP_1)
	v_mul_f32_e32 v28, v18, v27
	v_dual_sub_f32 v24, v26, v24 :: v_dual_fma_f32 v26, v27, v18, -v28
	s_delay_alu instid0(VALU_DEP_1) | instskip(NEXT) | instid1(VALU_DEP_1)
	v_fmac_f32_e32 v26, v24, v18
	v_add_f32_e32 v18, v28, v26
	s_delay_alu instid0(VALU_DEP_1) | instskip(NEXT) | instid1(VALU_DEP_1)
	v_sub_f32_e32 v27, v18, v28
	v_dual_sub_f32 v26, v26, v27 :: v_dual_add_f32 v24, v16, v18
	s_delay_alu instid0(VALU_DEP_1) | instskip(NEXT) | instid1(VALU_DEP_1)
	v_dual_add_f32 v13, v13, v26 :: v_dual_sub_f32 v16, v24, v16
	v_sub_f32_e32 v16, v18, v16
	s_delay_alu instid0(VALU_DEP_1) | instskip(SKIP_1) | instid1(VALU_DEP_2)
	v_add_f32_e32 v26, v13, v16
	v_cvt_i32_f32_e32 v16, v20
	v_add_f32_e32 v28, v24, v26
	s_delay_alu instid0(VALU_DEP_1) | instskip(NEXT) | instid1(VALU_DEP_1)
	v_dual_add_f32 v29, 1.0, v28 :: v_dual_mov_b32 v27, v28
	v_pk_add_f32 v[30:31], v[28:29], v[30:31]
	v_pk_add_f32 v[32:33], v[28:29], v[24:25] neg_lo:[0,1] neg_hi:[0,1]
	s_delay_alu instid0(VALU_DEP_2) | instskip(NEXT) | instid1(VALU_DEP_1)
	v_mov_b32_e32 v33, v31
	v_pk_add_f32 v[26:27], v[26:27], v[32:33] neg_lo:[0,1] neg_hi:[0,1]
	s_delay_alu instid0(VALU_DEP_1) | instskip(NEXT) | instid1(VALU_DEP_1)
	v_add_f32_e32 v13, v26, v27
	v_add_f32_e32 v18, v29, v13
	s_delay_alu instid0(VALU_DEP_1) | instskip(NEXT) | instid1(VALU_DEP_1)
	v_ldexp_f32 v20, v18, v16
	v_rcp_f32_e32 v24, v20
	v_nop
	s_delay_alu instid0(TRANS32_DEP_1) | instskip(NEXT) | instid1(VALU_DEP_1)
	v_dual_sub_f32 v18, v18, v29 :: v_dual_mul_f32 v26, v20, v24
	v_dual_sub_f32 v13, v13, v18 :: v_dual_fma_f32 v28, v24, v20, -v26
	s_delay_alu instid0(VALU_DEP_1) | instskip(NEXT) | instid1(VALU_DEP_1)
	v_ldexp_f32 v13, v13, v16
	v_fmac_f32_e32 v28, v24, v13
	s_delay_alu instid0(VALU_DEP_1) | instskip(NEXT) | instid1(VALU_DEP_1)
	v_add_f32_e32 v18, v26, v28
	v_dual_sub_f32 v27, 1.0, v18 :: v_dual_mov_b32 v29, v18
	s_delay_alu instid0(VALU_DEP_1) | instskip(NEXT) | instid1(VALU_DEP_1)
	v_pk_add_f32 v[30:31], v[18:19], v[26:27] neg_lo:[0,1] neg_hi:[0,1]
	v_pk_add_f32 v[28:29], v[30:31], v[28:29] neg_lo:[0,1] neg_hi:[0,1]
	s_delay_alu instid0(VALU_DEP_1) | instskip(NEXT) | instid1(VALU_DEP_1)
	v_add_f32_e32 v16, v28, v29
	v_add_f32_e32 v29, v27, v16
	s_delay_alu instid0(VALU_DEP_1) | instskip(NEXT) | instid1(VALU_DEP_1)
	v_mul_f32_e32 v18, v24, v29
	v_mul_f32_e32 v30, v20, v18
	s_delay_alu instid0(VALU_DEP_1) | instskip(NEXT) | instid1(VALU_DEP_1)
	v_fma_f32 v26, v18, v20, -v30
	v_fmac_f32_e32 v26, v18, v13
	s_delay_alu instid0(VALU_DEP_1) | instskip(NEXT) | instid1(VALU_DEP_1)
	v_dual_sub_f32 v32, v27, v29 :: v_dual_add_f32 v28, v30, v26
	v_add_f32_e32 v16, v16, v32
	s_delay_alu instid0(VALU_DEP_2) | instskip(NEXT) | instid1(VALU_DEP_1)
	v_dual_sub_f32 v31, v29, v28 :: v_dual_mov_b32 v27, v28
	v_pk_add_f32 v[28:29], v[28:29], v[30:31] neg_lo:[0,1] neg_hi:[0,1]
	s_delay_alu instid0(VALU_DEP_1) | instskip(NEXT) | instid1(VALU_DEP_1)
	v_pk_add_f32 v[26:27], v[28:29], v[26:27] neg_lo:[0,1] neg_hi:[0,1]
	v_add_f32_e32 v16, v16, v27
	s_delay_alu instid0(VALU_DEP_1) | instskip(NEXT) | instid1(VALU_DEP_1)
	v_dual_add_f32 v27, v24, v18 :: v_dual_add_f32 v16, v26, v16
	v_sub_f32_e32 v26, v27, v24
	s_delay_alu instid0(VALU_DEP_1) | instskip(NEXT) | instid1(VALU_DEP_1)
	v_dual_add_f32 v16, v31, v16 :: v_dual_sub_f32 v18, v18, v26
	v_mul_f32_e32 v16, v24, v16
	s_delay_alu instid0(VALU_DEP_1) | instskip(NEXT) | instid1(VALU_DEP_1)
	v_add_f32_e32 v16, v18, v16
	v_add_f32_e32 v18, v27, v16
	s_delay_alu instid0(VALU_DEP_1) | instskip(NEXT) | instid1(VALU_DEP_1)
	v_ldexp_f32 v24, v18, -2
	v_dual_sub_f32 v18, v18, v27 :: v_dual_sub_f32 v26, v20, v24
	s_delay_alu instid0(VALU_DEP_1) | instskip(NEXT) | instid1(VALU_DEP_2)
	v_sub_f32_e32 v20, v20, v26
	v_sub_f32_e32 v16, v16, v18
	s_delay_alu instid0(VALU_DEP_2) | instskip(NEXT) | instid1(VALU_DEP_2)
	v_sub_f32_e32 v18, v20, v24
	v_ldexp_f32 v16, v16, -2
	v_xor_b32_e32 v20, 0x80000000, v5
	s_delay_alu instid0(VALU_DEP_3) | instskip(NEXT) | instid1(VALU_DEP_1)
	v_add_f32_e32 v13, v13, v18
	v_sub_f32_e32 v13, v13, v16
	s_delay_alu instid0(VALU_DEP_1) | instskip(NEXT) | instid1(VALU_DEP_1)
	v_dual_add_f32 v13, v26, v13 :: v_dual_mul_f32 v16, v12, v12
	v_cndmask_b32_e32 v13, 0x7f800000, v13, vcc_lo
	s_delay_alu instid0(VALU_DEP_2) | instskip(NEXT) | instid1(VALU_DEP_2)
	v_fmaak_f32 v18, s11, v16, 0xbf039337
	v_cndmask_b32_e64 v5, v13, |v5|, s0
	s_delay_alu instid0(VALU_DEP_2) | instskip(NEXT) | instid1(VALU_DEP_2)
	v_fmaak_f32 v18, v16, v18, 0x3f93f425
	v_bfi_b32 v5, 0x7fffffff, v5, v20
	s_delay_alu instid0(VALU_DEP_2)
	v_rcp_f32_e32 v13, v18
	v_nop
	v_fmaak_f32 v18, s10, v16, 0x3ec54587
	s_delay_alu instid0(TRANS32_DEP_1) | instid1(VALU_DEP_1)
	v_mul_f32_e32 v13, v18, v13
	v_fma_f32 v18, v5, v5, 1.0
	s_delay_alu instid0(VALU_DEP_1) | instskip(SKIP_1) | instid1(VALU_DEP_2)
	v_dual_mul_f32 v13, v16, v13 :: v_dual_mul_f32 v16, 0x4f800000, v18
	v_cmp_gt_f32_e32 vcc_lo, 0xf800000, v18
	v_cndmask_b32_e32 v16, v18, v16, vcc_lo
	s_delay_alu instid0(VALU_DEP_1) | instskip(NEXT) | instid1(VALU_DEP_3)
	v_sqrt_f32_e32 v26, v16
	v_fma_f32 v20, v13, v12, v12
	s_delay_alu instid0(VALU_DEP_1)
	v_sub_f32_e32 v24, v20, v12
	s_delay_alu instid0(TRANS32_DEP_1) | instid1(VALU_DEP_1)
	v_dual_fma_f32 v12, v13, v12, -v24 :: v_dual_add_nc_u32 v24, -1, v26
	v_rcp_f32_e32 v18, v20
	v_nop
	s_delay_alu instid0(TRANS32_DEP_1) | instskip(NEXT) | instid1(VALU_DEP_1)
	v_fma_f32 v13, v20, -v18, 1.0
	v_fma_f32 v12, v12, -v18, v13
	v_dual_add_nc_u32 v13, 1, v26 :: v_dual_fma_f32 v27, -v24, v26, v16
	s_delay_alu instid0(VALU_DEP_2) | instskip(NEXT) | instid1(VALU_DEP_2)
	v_fma_f32 v12, v12, -v18, -v18
	v_fma_f32 v18, -v13, v26, v16
	s_delay_alu instid0(VALU_DEP_3) | instskip(NEXT) | instid1(VALU_DEP_1)
	v_cmp_ge_f32_e64 s0, 0, v27
	v_cndmask_b32_e64 v24, v26, v24, s0
	v_cmp_eq_u32_e64 s0, 0, v3
	s_delay_alu instid0(VALU_DEP_1) | instskip(SKIP_1) | instid1(VALU_DEP_2)
	v_cndmask_b32_e64 v3, v12, v20, s0
	v_cmp_lt_f32_e64 s0, 0, v18
	v_xor3_b32 v18, v2, v3, v4
	s_delay_alu instid0(VALU_DEP_1) | instskip(NEXT) | instid1(VALU_DEP_3)
	v_fma_f32 v2, v18, v18, 1.0
	v_cndmask_b32_e64 v12, v24, v13, s0
	s_delay_alu instid0(VALU_DEP_1) | instskip(NEXT) | instid1(VALU_DEP_1)
	v_mul_f32_e32 v3, 0x37800000, v12
	v_cndmask_b32_e32 v4, v12, v3, vcc_lo
	v_cmp_class_f32_e64 vcc_lo, v16, 0x260
	s_delay_alu instid0(VALU_DEP_2) | instskip(NEXT) | instid1(VALU_DEP_1)
	v_dual_mul_f32 v3, v5, v2 :: v_dual_cndmask_b32 v4, v4, v16
	v_pk_mul_f32 v[2:3], v[4:5], v[2:3]
	s_delay_alu instid0(VALU_DEP_1) | instskip(NEXT) | instid1(VALU_DEP_1)
	v_dual_mul_f32 v2, v5, v2 :: v_dual_add_f32 v3, 1.0, v3
	v_div_scale_f32 v4, null, v3, v3, v2
	v_div_scale_f32 v5, null, v3, v3, v18
	v_div_scale_f32 v24, vcc_lo, v2, v3, v2
	s_delay_alu instid0(VALU_DEP_3) | instskip(NEXT) | instid1(VALU_DEP_2)
	v_rcp_f32_e32 v12, v4
	v_rcp_f32_e32 v13, v5
	s_delay_alu instid0(TRANS32_DEP_2) | instskip(NEXT) | instid1(TRANS32_DEP_1)
	v_fma_f32 v16, -v4, v12, 1.0
	v_fma_f32 v20, -v5, v13, 1.0
	s_delay_alu instid0(VALU_DEP_2) | instskip(SKIP_1) | instid1(VALU_DEP_3)
	v_fmac_f32_e32 v12, v16, v12
	v_div_scale_f32 v16, s0, v18, v3, v18
	v_fmac_f32_e32 v13, v20, v13
	s_delay_alu instid0(VALU_DEP_3) | instskip(NEXT) | instid1(VALU_DEP_1)
	v_mul_f32_e32 v20, v24, v12
	v_fma_f32 v27, -v4, v20, v24
	s_delay_alu instid0(VALU_DEP_1) | instskip(NEXT) | instid1(VALU_DEP_1)
	v_dual_mul_f32 v26, v16, v13 :: v_dual_fmac_f32 v20, v27, v12
	v_fma_f32 v28, -v5, v26, v16
	s_delay_alu instid0(VALU_DEP_2) | instskip(NEXT) | instid1(VALU_DEP_2)
	v_fma_f32 v4, -v4, v20, v24
	v_fmac_f32_e32 v26, v28, v13
	s_delay_alu instid0(VALU_DEP_2) | instskip(NEXT) | instid1(VALU_DEP_2)
	v_div_fmas_f32 v4, v4, v12, v20
	v_fma_f32 v5, -v5, v26, v16
	s_mov_b32 vcc_lo, s0
	s_delay_alu instid0(VALU_DEP_1) | instskip(NEXT) | instid1(VALU_DEP_3)
	v_div_fmas_f32 v5, v5, v13, v26
	v_div_fixup_f32 v13, v4, v3, v2
	s_delay_alu instid0(VALU_DEP_2)
	v_div_fixup_f32 v12, v5, v3, v18
                                        ; implicit-def: $vgpr2_vgpr3_vgpr4_vgpr5
                                        ; implicit-def: $vgpr2
.LBB100_302:                            ;   in Loop: Header=BB100_180 Depth=1
	s_and_not1_saveexec_b32 s18, s18
	s_cbranch_execz .LBB100_312
; %bb.303:                              ;   in Loop: Header=BB100_180 Depth=1
	v_lshrrev_b32_e32 v3, 23, v2
	v_cmp_ngt_f32_e64 s19, 0x48000000, |v4|
	v_and_or_b32 v16, v2, s6, 0x800000
                                        ; implicit-def: $vgpr13
	s_delay_alu instid0(VALU_DEP_3) | instskip(SKIP_1) | instid1(SALU_CYCLE_1)
	v_add_nc_u32_e32 v12, 0xffffff88, v3
                                        ; implicit-def: $vgpr3
	s_and_saveexec_b32 s0, s19
	s_xor_b32 s20, exec_lo, s0
	s_cbranch_execz .LBB100_305
; %bb.304:                              ;   in Loop: Header=BB100_180 Depth=1
	v_mul_u64_e32 v[26:27], s[4:5], v[16:17]
	v_mov_b32_e32 v29, v17
	v_cmp_lt_u32_e32 vcc_lo, 63, v12
	v_mov_b32_e32 v39, v17
	v_cndmask_b32_e64 v3, 0, 0xffffffc0, vcc_lo
	s_delay_alu instid0(VALU_DEP_1) | instskip(NEXT) | instid1(VALU_DEP_1)
	v_add_nc_u32_e32 v3, v3, v12
	v_cmp_lt_u32_e64 s0, 31, v3
	s_delay_alu instid0(VALU_DEP_1) | instskip(SKIP_1) | instid1(VALU_DEP_1)
	v_cndmask_b32_e64 v13, 0, 0xffffffe0, s0
	v_mov_b32_e32 v28, v27
	v_mad_nc_u64_u32 v[28:29], 0x3c439041, v16, v[28:29]
	s_delay_alu instid0(VALU_DEP_1) | instskip(NEXT) | instid1(VALU_DEP_1)
	v_dual_mov_b32 v31, v17 :: v_dual_mov_b32 v30, v29
	v_mad_nc_u64_u32 v[30:31], 0xdb629599, v16, v[30:31]
	s_delay_alu instid0(VALU_DEP_1) | instskip(NEXT) | instid1(VALU_DEP_1)
	v_dual_mov_b32 v33, v17 :: v_dual_mov_b32 v32, v31
	;; [unrolled: 3-line block ×3, first 2 shown]
	v_mad_nc_u64_u32 v[34:35], 0xfc2757d1, v16, v[34:35]
	s_delay_alu instid0(VALU_DEP_1) | instskip(NEXT) | instid1(VALU_DEP_2)
	v_dual_mov_b32 v37, v17 :: v_dual_mov_b32 v36, v35
	v_cndmask_b32_e32 v27, v34, v30, vcc_lo
	s_delay_alu instid0(VALU_DEP_2) | instskip(NEXT) | instid1(VALU_DEP_1)
	v_mad_nc_u64_u32 v[36:37], 0x4e441529, v16, v[36:37]
	v_dual_mov_b32 v38, v37 :: v_dual_cndmask_b32 v18, v36, v32, vcc_lo
	s_delay_alu instid0(VALU_DEP_1) | instskip(NEXT) | instid1(VALU_DEP_1)
	v_mad_nc_u64_u32 v[38:39], 0xa2f9836e, v16, v[38:39]
	v_dual_cndmask_b32 v20, v38, v34 :: v_dual_add_nc_u32 v3, v13, v3
	s_delay_alu instid0(VALU_DEP_1) | instskip(NEXT) | instid1(VALU_DEP_3)
	v_cmp_lt_u32_e64 s1, 31, v3
	v_cndmask_b32_e32 v24, v39, v36, vcc_lo
	s_delay_alu instid0(VALU_DEP_2) | instskip(NEXT) | instid1(VALU_DEP_1)
	v_cndmask_b32_e64 v13, 0, 0xffffffe0, s1
	v_dual_add_nc_u32 v3, v13, v3 :: v_dual_cndmask_b32 v13, v32, v28, vcc_lo
	v_dual_cndmask_b32 v28, v20, v18, s0 :: v_dual_cndmask_b32 v18, v18, v27, s0
	s_delay_alu instid0(VALU_DEP_2) | instskip(NEXT) | instid1(VALU_DEP_1)
	v_dual_cndmask_b32 v20, v24, v20, s0 :: v_dual_sub_nc_u32 v24, 32, v3
	v_dual_cndmask_b32 v27, v27, v13, s0 :: v_dual_cndmask_b32 v20, v20, v28, s1
	s_delay_alu instid0(VALU_DEP_1) | instskip(NEXT) | instid1(VALU_DEP_1)
	v_dual_cndmask_b32 v28, v28, v18, s1 :: v_dual_cndmask_b32 v18, v18, v27, s1
	v_alignbit_b32 v29, v20, v28, v24
	v_cndmask_b32_e32 v26, v30, v26, vcc_lo
	v_cmp_eq_u32_e32 vcc_lo, 0, v3
	s_delay_alu instid0(VALU_DEP_4) | instskip(NEXT) | instid1(VALU_DEP_4)
	v_alignbit_b32 v30, v28, v18, v24
	v_cndmask_b32_e32 v3, v29, v20, vcc_lo
	s_delay_alu instid0(VALU_DEP_2) | instskip(NEXT) | instid1(VALU_DEP_2)
	v_dual_cndmask_b32 v13, v13, v26, s0 :: v_dual_cndmask_b32 v20, v30, v28, vcc_lo
	v_bfe_u32 v26, v3, 29, 1
	s_delay_alu instid0(VALU_DEP_2) | instskip(NEXT) | instid1(VALU_DEP_3)
	v_cndmask_b32_e64 v13, v27, v13, s1
	v_alignbit_b32 v27, v3, v20, 30
	s_delay_alu instid0(VALU_DEP_3) | instskip(NEXT) | instid1(VALU_DEP_3)
	v_sub_nc_u32_e32 v28, 0, v26
	v_alignbit_b32 v24, v18, v13, v24
	s_delay_alu instid0(VALU_DEP_1) | instskip(NEXT) | instid1(VALU_DEP_1)
	v_dual_cndmask_b32 v18, v24, v18, vcc_lo :: v_dual_bitop2_b32 v27, v27, v28 bitop3:0x14
	v_clz_i32_u32_e32 v24, v27
	s_delay_alu instid0(VALU_DEP_2) | instskip(SKIP_1) | instid1(VALU_DEP_3)
	v_alignbit_b32 v20, v20, v18, 30
	v_alignbit_b32 v13, v18, v13, 30
	v_min_u32_e32 v24, 32, v24
	s_delay_alu instid0(VALU_DEP_3) | instskip(NEXT) | instid1(VALU_DEP_3)
	v_xor_b32_e32 v18, v20, v28
	v_dual_lshrrev_b32 v28, 29, v3 :: v_dual_bitop2_b32 v13, v13, v28 bitop3:0x14
	s_delay_alu instid0(VALU_DEP_3) | instskip(NEXT) | instid1(VALU_DEP_1)
	v_sub_nc_u32_e32 v20, 31, v24
	v_alignbit_b32 v27, v27, v18, v20
	s_delay_alu instid0(VALU_DEP_3) | instskip(NEXT) | instid1(VALU_DEP_4)
	v_alignbit_b32 v13, v18, v13, v20
	v_lshlrev_b32_e32 v18, 31, v28
	v_lshlrev_b32_e32 v29, 23, v24
	s_delay_alu instid0(VALU_DEP_3) | instskip(NEXT) | instid1(VALU_DEP_3)
	v_alignbit_b32 v20, v27, v13, 9
	v_dual_lshrrev_b32 v27, 9, v27 :: v_dual_bitop2_b32 v28, 0.5, v18 bitop3:0x54
	v_or_b32_e32 v18, 0x33000000, v18
	s_delay_alu instid0(VALU_DEP_3) | instskip(NEXT) | instid1(VALU_DEP_3)
	v_clz_i32_u32_e32 v30, v20
	v_sub_nc_u32_e32 v28, v28, v29
	s_delay_alu instid0(VALU_DEP_2) | instskip(NEXT) | instid1(VALU_DEP_1)
	v_min_u32_e32 v29, 32, v30
	v_add_lshl_u32 v24, v29, v24, 23
	s_delay_alu instid0(VALU_DEP_1) | instskip(NEXT) | instid1(VALU_DEP_4)
	v_sub_nc_u32_e32 v18, v18, v24
	v_or_b32_e32 v27, v27, v28
	v_not_b32_e32 v28, v29
	s_delay_alu instid0(VALU_DEP_1) | instskip(NEXT) | instid1(VALU_DEP_1)
	v_alignbit_b32 v13, v20, v13, v28
	v_dual_mul_f32 v30, 0x3fc90fda, v27 :: v_dual_lshrrev_b32 v13, 9, v13
	s_delay_alu instid0(VALU_DEP_1) | instskip(NEXT) | instid1(VALU_DEP_2)
	v_or_b32_e32 v13, v18, v13
	v_fma_f32 v20, 0x3fc90fda, v27, -v30
	s_delay_alu instid0(VALU_DEP_1) | instskip(NEXT) | instid1(VALU_DEP_1)
	v_fmac_f32_e32 v20, 0x33a22168, v27
	v_dual_fmac_f32 v20, 0x3fc90fda, v13 :: v_dual_lshrrev_b32 v13, 30, v3
	s_delay_alu instid0(VALU_DEP_1) | instskip(NEXT) | instid1(VALU_DEP_2)
	v_add_nc_u32_e32 v13, v26, v13
	v_add_f32_e32 v3, v30, v20
	s_and_not1_saveexec_b32 s0, s20
	s_branch .LBB100_306
.LBB100_305:                            ;   in Loop: Header=BB100_180 Depth=1
	s_and_not1_saveexec_b32 s0, s20
.LBB100_306:                            ;   in Loop: Header=BB100_180 Depth=1
	v_mul_f32_e64 v3, 0x3f22f983, |v4|
	s_delay_alu instid0(VALU_DEP_1) | instskip(NEXT) | instid1(VALU_DEP_1)
	v_rndne_f32_e32 v13, v3
	v_fma_f32 v3, 0xbfc90fda, v13, |v4|
	s_delay_alu instid0(VALU_DEP_1) | instskip(NEXT) | instid1(VALU_DEP_1)
	v_fmac_f32_e32 v3, 0xb3a22168, v13
	v_fmac_f32_e32 v3, 0xa7c234c4, v13
	v_cvt_i32_f32_e32 v13, v13
; %bb.307:                              ;   in Loop: Header=BB100_180 Depth=1
	s_or_b32 exec_lo, exec_lo, s0
                                        ; implicit-def: $vgpr20
                                        ; implicit-def: $vgpr18
	s_and_saveexec_b32 s0, s19
	s_delay_alu instid0(SALU_CYCLE_1)
	s_xor_b32 s19, exec_lo, s0
	s_cbranch_execz .LBB100_309
; %bb.308:                              ;   in Loop: Header=BB100_180 Depth=1
	v_mul_u64_e32 v[26:27], s[4:5], v[16:17]
	v_mov_b32_e32 v29, v17
	v_cmp_lt_u32_e32 vcc_lo, 63, v12
	v_mov_b32_e32 v39, v17
	v_cndmask_b32_e64 v18, 0, 0xffffffc0, vcc_lo
	s_delay_alu instid0(VALU_DEP_1) | instskip(NEXT) | instid1(VALU_DEP_1)
	v_add_nc_u32_e32 v12, v18, v12
	v_cmp_lt_u32_e64 s0, 31, v12
	s_delay_alu instid0(VALU_DEP_1) | instskip(NEXT) | instid1(VALU_DEP_1)
	v_cndmask_b32_e64 v18, 0, 0xffffffe0, s0
	v_dual_add_nc_u32 v12, v18, v12 :: v_dual_mov_b32 v28, v27
	s_delay_alu instid0(VALU_DEP_1) | instskip(NEXT) | instid1(VALU_DEP_2)
	v_cmp_lt_u32_e64 s1, 31, v12
	v_mad_nc_u64_u32 v[28:29], 0x3c439041, v16, v[28:29]
	s_delay_alu instid0(VALU_DEP_1) | instskip(NEXT) | instid1(VALU_DEP_1)
	v_dual_mov_b32 v31, v17 :: v_dual_mov_b32 v30, v29
	v_mad_nc_u64_u32 v[30:31], 0xdb629599, v16, v[30:31]
	s_delay_alu instid0(VALU_DEP_1) | instskip(NEXT) | instid1(VALU_DEP_2)
	v_dual_mov_b32 v33, v17 :: v_dual_mov_b32 v32, v31
	v_cndmask_b32_e32 v26, v30, v26, vcc_lo
	s_delay_alu instid0(VALU_DEP_2) | instskip(NEXT) | instid1(VALU_DEP_1)
	v_mad_nc_u64_u32 v[32:33], 0xf534ddc0, v16, v[32:33]
	v_dual_mov_b32 v35, v17 :: v_dual_mov_b32 v34, v33
	s_delay_alu instid0(VALU_DEP_1) | instskip(NEXT) | instid1(VALU_DEP_1)
	v_mad_nc_u64_u32 v[34:35], 0xfc2757d1, v16, v[34:35]
	v_dual_mov_b32 v37, v17 :: v_dual_mov_b32 v36, v35
	s_delay_alu instid0(VALU_DEP_2) | instskip(NEXT) | instid1(VALU_DEP_2)
	v_cndmask_b32_e32 v27, v34, v30, vcc_lo
	v_mad_nc_u64_u32 v[36:37], 0x4e441529, v16, v[36:37]
	s_delay_alu instid0(VALU_DEP_1) | instskip(NEXT) | instid1(VALU_DEP_1)
	v_mov_b32_e32 v38, v37
	v_mad_nc_u64_u32 v[38:39], 0xa2f9836e, v16, v[38:39]
	v_cndmask_b32_e64 v16, 0, 0xffffffe0, s1
	s_delay_alu instid0(VALU_DEP_2) | instskip(NEXT) | instid1(VALU_DEP_3)
	v_dual_cndmask_b32 v18, v36, v32, vcc_lo :: v_dual_cndmask_b32 v20, v38, v34, vcc_lo
	v_cndmask_b32_e32 v24, v39, v36, vcc_lo
	s_delay_alu instid0(VALU_DEP_3) | instskip(SKIP_1) | instid1(VALU_DEP_4)
	v_add_nc_u32_e32 v12, v16, v12
	v_cndmask_b32_e32 v16, v32, v28, vcc_lo
	v_cndmask_b32_e64 v28, v20, v18, s0
	s_delay_alu instid0(VALU_DEP_4) | instskip(NEXT) | instid1(VALU_DEP_4)
	v_dual_cndmask_b32 v20, v24, v20, s0 :: v_dual_cndmask_b32 v18, v18, v27, s0
	v_sub_nc_u32_e32 v24, 32, v12
	s_delay_alu instid0(VALU_DEP_4) | instskip(SKIP_1) | instid1(VALU_DEP_4)
	v_cndmask_b32_e64 v27, v27, v16, s0
	v_cmp_eq_u32_e32 vcc_lo, 0, v12
	v_cndmask_b32_e64 v20, v20, v28, s1
	s_delay_alu instid0(VALU_DEP_3) | instskip(SKIP_1) | instid1(VALU_DEP_2)
	v_dual_cndmask_b32 v28, v28, v18, s1 :: v_dual_cndmask_b32 v18, v18, v27, s1
	v_cndmask_b32_e64 v16, v16, v26, s0
	v_alignbit_b32 v29, v20, v28, v24
	s_delay_alu instid0(VALU_DEP_3) | instskip(NEXT) | instid1(VALU_DEP_3)
	v_alignbit_b32 v30, v28, v18, v24
	v_cndmask_b32_e64 v16, v27, v16, s1
	s_delay_alu instid0(VALU_DEP_3) | instskip(NEXT) | instid1(VALU_DEP_3)
	v_cndmask_b32_e32 v12, v29, v20, vcc_lo
	v_cndmask_b32_e32 v20, v30, v28, vcc_lo
	s_delay_alu instid0(VALU_DEP_3) | instskip(NEXT) | instid1(VALU_DEP_3)
	v_alignbit_b32 v24, v18, v16, v24
	v_bfe_u32 v26, v12, 29, 1
	s_delay_alu instid0(VALU_DEP_3) | instskip(NEXT) | instid1(VALU_DEP_3)
	v_alignbit_b32 v27, v12, v20, 30
	v_cndmask_b32_e32 v18, v24, v18, vcc_lo
	s_delay_alu instid0(VALU_DEP_3) | instskip(NEXT) | instid1(VALU_DEP_2)
	v_sub_nc_u32_e32 v28, 0, v26
	v_alignbit_b32 v16, v18, v16, 30
	s_delay_alu instid0(VALU_DEP_2) | instskip(SKIP_1) | instid1(VALU_DEP_3)
	v_xor_b32_e32 v27, v27, v28
	v_alignbit_b32 v20, v20, v18, 30
	v_xor_b32_e32 v16, v16, v28
	s_delay_alu instid0(VALU_DEP_3) | instskip(NEXT) | instid1(VALU_DEP_3)
	v_clz_i32_u32_e32 v24, v27
	v_xor_b32_e32 v18, v20, v28
	v_dual_lshrrev_b32 v28, 29, v12 :: v_dual_lshrrev_b32 v12, 30, v12
	s_delay_alu instid0(VALU_DEP_3) | instskip(NEXT) | instid1(VALU_DEP_1)
	v_min_u32_e32 v24, 32, v24
	v_dual_sub_nc_u32 v20, 31, v24 :: v_dual_lshlrev_b32 v29, 23, v24
	s_delay_alu instid0(VALU_DEP_1) | instskip(SKIP_2) | instid1(VALU_DEP_2)
	v_alignbit_b32 v27, v27, v18, v20
	v_alignbit_b32 v16, v18, v16, v20
	v_lshlrev_b32_e32 v18, 31, v28
	v_alignbit_b32 v20, v27, v16, 9
	s_delay_alu instid0(VALU_DEP_2) | instskip(SKIP_2) | instid1(VALU_DEP_4)
	v_or_b32_e32 v28, 0.5, v18
	v_or_b32_e32 v18, 0x33000000, v18
	v_lshrrev_b32_e32 v27, 9, v27
	v_clz_i32_u32_e32 v30, v20
	s_delay_alu instid0(VALU_DEP_4) | instskip(NEXT) | instid1(VALU_DEP_2)
	v_sub_nc_u32_e32 v28, v28, v29
	v_min_u32_e32 v29, 32, v30
	s_delay_alu instid0(VALU_DEP_1) | instskip(NEXT) | instid1(VALU_DEP_1)
	v_add_lshl_u32 v24, v29, v24, 23
	v_sub_nc_u32_e32 v18, v18, v24
	s_delay_alu instid0(VALU_DEP_4) | instskip(SKIP_1) | instid1(VALU_DEP_2)
	v_or_b32_e32 v27, v27, v28
	v_not_b32_e32 v28, v29
	v_mul_f32_e32 v30, 0x3fc90fda, v27
	s_delay_alu instid0(VALU_DEP_2) | instskip(NEXT) | instid1(VALU_DEP_2)
	v_alignbit_b32 v16, v20, v16, v28
	v_fma_f32 v20, 0x3fc90fda, v27, -v30
	s_delay_alu instid0(VALU_DEP_2) | instskip(NEXT) | instid1(VALU_DEP_2)
	v_lshrrev_b32_e32 v16, 9, v16
	v_fmac_f32_e32 v20, 0x33a22168, v27
	s_delay_alu instid0(VALU_DEP_2) | instskip(NEXT) | instid1(VALU_DEP_1)
	v_or_b32_e32 v16, v18, v16
	v_fmac_f32_e32 v20, 0x3fc90fda, v16
	s_delay_alu instid0(VALU_DEP_1)
	v_add_f32_e32 v18, v30, v20
	v_add_nc_u32_e32 v20, v26, v12
	s_and_not1_saveexec_b32 s0, s19
	s_cbranch_execnz .LBB100_310
	s_branch .LBB100_311
.LBB100_309:                            ;   in Loop: Header=BB100_180 Depth=1
	s_and_not1_saveexec_b32 s0, s19
.LBB100_310:                            ;   in Loop: Header=BB100_180 Depth=1
	v_mul_f32_e64 v12, 0x3f22f983, |v4|
	s_delay_alu instid0(VALU_DEP_1) | instskip(NEXT) | instid1(VALU_DEP_1)
	v_rndne_f32_e32 v12, v12
	v_fma_f32 v18, 0xbfc90fda, v12, |v4|
	v_cvt_i32_f32_e32 v20, v12
	s_delay_alu instid0(VALU_DEP_2) | instskip(NEXT) | instid1(VALU_DEP_1)
	v_fmac_f32_e32 v18, 0xb3a22168, v12
	v_fmac_f32_e32 v18, 0xa7c234c4, v12
.LBB100_311:                            ;   in Loop: Header=BB100_180 Depth=1
	s_or_b32 exec_lo, exec_lo, s0
	v_dual_mul_f32 v12, v3, v3 :: v_dual_bitop2_b32 v16, 1, v13 bitop3:0x40
	v_lshlrev_b32_e32 v13, 30, v13
	v_mul_f32_e64 v24, 0xbfb8aa3b, |v5|
	s_delay_alu instid0(VALU_DEP_3) | instskip(SKIP_1) | instid1(VALU_DEP_4)
	v_dual_mul_f32 v28, v18, v18 :: v_dual_fmaak_f32 v27, s14, v12, 0xbab64f3b
	v_fmaak_f32 v26, s13, v12, 0x3c0881c4
	v_bitop3_b32 v2, v2, v13, 0x80000000 bitop3:0x78
	s_delay_alu instid0(VALU_DEP_4)
	v_rndne_f32_e32 v13, v24
	v_fma_f32 v29, 0xbfb8aa3b, |v5|, -v24
	v_cmp_eq_u32_e32 vcc_lo, 0, v16
	v_fmaak_f32 v26, v12, v26, 0xbe2aaa9d
	v_fmaak_f32 v27, v12, v27, 0x3d2aabf7
	v_dual_fmaak_f32 v31, s14, v28, 0xbab64f3b :: v_dual_sub_f32 v24, v24, v13
	v_fma_f32 v29, 0xb2a5705f, |v5|, v29
	s_delay_alu instid0(VALU_DEP_3) | instskip(SKIP_2) | instid1(VALU_DEP_3)
	v_dual_mul_f32 v26, v12, v26 :: v_dual_fmaak_f32 v27, v12, v27, 0xbf000004
	v_fmaak_f32 v30, s13, v28, 0x3c0881c4
	v_cvt_i32_f32_e32 v13, v13
	v_dual_add_f32 v24, v24, v29 :: v_dual_fmac_f32 v3, v3, v26
	s_delay_alu instid0(VALU_DEP_4) | instskip(NEXT) | instid1(VALU_DEP_2)
	v_fma_f32 v12, v12, v27, 1.0
	v_exp_f32_e32 v16, v24
	s_delay_alu instid0(VALU_DEP_1) | instskip(NEXT) | instid1(VALU_DEP_1)
	v_cndmask_b32_e32 v3, v12, v3, vcc_lo
	v_xor3_b32 v2, v2, v3, v4
	s_delay_alu instid0(TRANS32_DEP_1) | instskip(SKIP_2) | instid1(VALU_DEP_4)
	v_ldexp_f32 v3, v16, v13
	v_fmaak_f32 v30, v28, v30, 0xbe2aaa9d
	v_fmaak_f32 v26, v28, v31, 0x3d2aabf7
	v_dual_mul_f32 v2, 4.0, v2 :: v_dual_bitop2_b32 v24, 1, v20 bitop3:0x40
	s_delay_alu instid0(VALU_DEP_3) | instskip(NEXT) | instid1(VALU_DEP_3)
	v_mul_f32_e32 v27, v28, v30
	v_fmaak_f32 v12, v28, v26, 0xbf000004
	s_delay_alu instid0(VALU_DEP_3) | instskip(NEXT) | instid1(VALU_DEP_3)
	v_cmp_eq_u32_e32 vcc_lo, 0, v24
	v_fmac_f32_e32 v18, v18, v27
	s_delay_alu instid0(VALU_DEP_3) | instskip(NEXT) | instid1(VALU_DEP_1)
	v_fma_f32 v12, v28, v12, 1.0
	v_cndmask_b32_e64 v4, -v18, v12, vcc_lo
	v_lshlrev_b32_e32 v12, 30, v20
	v_cmp_nlt_f32_e64 vcc_lo, 0x42ce8ed0, |v5|
	s_delay_alu instid0(VALU_DEP_2) | instskip(SKIP_2) | instid1(VALU_DEP_3)
	v_bitop3_b32 v4, v12, v4, 0x80000000 bitop3:0x6c
	v_cndmask_b32_e32 v3, 0, v3, vcc_lo
	v_cmp_ngt_f32_e64 vcc_lo, 0xc2b17218, |v5|
	v_mul_f32_e32 v2, v2, v4
	v_xor_b32_e32 v4, 0x80000000, v5
	s_delay_alu instid0(VALU_DEP_4) | instskip(NEXT) | instid1(VALU_DEP_2)
	v_cndmask_b32_e32 v3, 0x7f800000, v3, vcc_lo
	v_bfi_b32 v13, 0x7fffffff, 1.0, v4
	s_delay_alu instid0(VALU_DEP_2) | instskip(NEXT) | instid1(VALU_DEP_1)
	v_mul_f32_e32 v2, v3, v2
	v_mul_f32_e32 v12, v3, v2
.LBB100_312:                            ;   in Loop: Header=BB100_180 Depth=1
	s_or_b32 exec_lo, exec_lo, s18
                                        ; implicit-def: $vgpr2_vgpr3_vgpr4_vgpr5
.LBB100_313:                            ;   in Loop: Header=BB100_180 Depth=1
	s_and_not1_saveexec_b32 s0, s17
; %bb.314:                              ;   in Loop: Header=BB100_180 Depth=1
	v_sub_f32_e32 v12, v4, v4
	s_delay_alu instid0(VALU_DEP_1)
	v_mov_b32_e32 v13, v12
; %bb.315:                              ;   in Loop: Header=BB100_180 Depth=1
	s_or_b32 exec_lo, exec_lo, s0
                                        ; implicit-def: $vgpr2_vgpr3_vgpr4_vgpr5
.LBB100_316:                            ;   in Loop: Header=BB100_180 Depth=1
	s_and_not1_saveexec_b32 s16, s16
	s_cbranch_execz .LBB100_179
; %bb.317:                              ;   in Loop: Header=BB100_180 Depth=1
	v_xor_b32_e32 v13, 0x80000000, v5
	s_mov_b32 s0, exec_lo
	s_delay_alu instid0(VALU_DEP_1) | instskip(NEXT) | instid1(VALU_DEP_1)
	v_and_b32_e32 v2, 0x7fffff, v13
	v_cmpx_ne_u32_e32 0, v2
	s_xor_b32 s0, exec_lo, s0
; %bb.318:                              ;   in Loop: Header=BB100_180 Depth=1
	v_mul_f32_e64 v2, v4, -v5
	v_cmp_eq_f32_e32 vcc_lo, 0, v4
	s_delay_alu instid0(VALU_DEP_2)
	v_cndmask_b32_e32 v12, v2, v4, vcc_lo
                                        ; implicit-def: $vgpr2_vgpr3_vgpr4_vgpr5
; %bb.319:                              ;   in Loop: Header=BB100_180 Depth=1
	s_and_not1_saveexec_b32 s17, s0
	s_cbranch_execz .LBB100_178
; %bb.320:                              ;   in Loop: Header=BB100_180 Depth=1
	s_mov_b32 s18, exec_lo
	v_cmpx_neq_f32_e64 0x7f800000, |v4|
	s_cbranch_execz .LBB100_177
; %bb.321:                              ;   in Loop: Header=BB100_180 Depth=1
	v_and_b32_e32 v2, 0x7fffffff, v4
	v_cmp_ngt_f32_e64 s19, 0x48000000, |v4|
                                        ; implicit-def: $vgpr5
	s_delay_alu instid0(VALU_DEP_2) | instskip(SKIP_1) | instid1(VALU_DEP_2)
	v_lshrrev_b32_e32 v3, 23, v2
	v_and_or_b32 v16, v2, s6, 0x800000
	v_add_nc_u32_e32 v12, 0xffffff88, v3
                                        ; implicit-def: $vgpr3
	s_and_saveexec_b32 s0, s19
	s_delay_alu instid0(SALU_CYCLE_1)
	s_xor_b32 s20, exec_lo, s0
	s_cbranch_execz .LBB100_323
; %bb.322:                              ;   in Loop: Header=BB100_180 Depth=1
	v_mul_u64_e32 v[26:27], s[4:5], v[16:17]
	v_mov_b32_e32 v29, v17
	v_cmp_lt_u32_e32 vcc_lo, 63, v12
	v_mov_b32_e32 v39, v17
	v_cndmask_b32_e64 v3, 0, 0xffffffc0, vcc_lo
	s_delay_alu instid0(VALU_DEP_1) | instskip(NEXT) | instid1(VALU_DEP_1)
	v_add_nc_u32_e32 v3, v3, v12
	v_cmp_lt_u32_e64 s0, 31, v3
	s_delay_alu instid0(VALU_DEP_1) | instskip(SKIP_1) | instid1(VALU_DEP_1)
	v_cndmask_b32_e64 v5, 0, 0xffffffe0, s0
	v_mov_b32_e32 v28, v27
	v_mad_nc_u64_u32 v[28:29], 0x3c439041, v16, v[28:29]
	s_delay_alu instid0(VALU_DEP_1) | instskip(NEXT) | instid1(VALU_DEP_1)
	v_dual_mov_b32 v31, v17 :: v_dual_mov_b32 v30, v29
	v_mad_nc_u64_u32 v[30:31], 0xdb629599, v16, v[30:31]
	s_delay_alu instid0(VALU_DEP_1) | instskip(NEXT) | instid1(VALU_DEP_1)
	v_dual_mov_b32 v33, v17 :: v_dual_mov_b32 v32, v31
	;; [unrolled: 3-line block ×3, first 2 shown]
	v_mad_nc_u64_u32 v[34:35], 0xfc2757d1, v16, v[34:35]
	s_delay_alu instid0(VALU_DEP_1) | instskip(NEXT) | instid1(VALU_DEP_2)
	v_dual_mov_b32 v37, v17 :: v_dual_mov_b32 v36, v35
	v_cndmask_b32_e32 v27, v34, v30, vcc_lo
	s_delay_alu instid0(VALU_DEP_2) | instskip(NEXT) | instid1(VALU_DEP_1)
	v_mad_nc_u64_u32 v[36:37], 0x4e441529, v16, v[36:37]
	v_dual_mov_b32 v38, v37 :: v_dual_cndmask_b32 v18, v36, v32, vcc_lo
	s_delay_alu instid0(VALU_DEP_1) | instskip(NEXT) | instid1(VALU_DEP_1)
	v_mad_nc_u64_u32 v[38:39], 0xa2f9836e, v16, v[38:39]
	v_dual_cndmask_b32 v20, v38, v34 :: v_dual_add_nc_u32 v3, v5, v3
	s_delay_alu instid0(VALU_DEP_1) | instskip(NEXT) | instid1(VALU_DEP_3)
	v_cmp_lt_u32_e64 s1, 31, v3
	v_cndmask_b32_e32 v24, v39, v36, vcc_lo
	s_delay_alu instid0(VALU_DEP_2) | instskip(NEXT) | instid1(VALU_DEP_1)
	v_cndmask_b32_e64 v5, 0, 0xffffffe0, s1
	v_dual_add_nc_u32 v3, v5, v3 :: v_dual_cndmask_b32 v5, v32, v28, vcc_lo
	v_dual_cndmask_b32 v28, v20, v18, s0 :: v_dual_cndmask_b32 v18, v18, v27, s0
	s_delay_alu instid0(VALU_DEP_2) | instskip(NEXT) | instid1(VALU_DEP_1)
	v_dual_cndmask_b32 v20, v24, v20, s0 :: v_dual_sub_nc_u32 v24, 32, v3
	v_dual_cndmask_b32 v27, v27, v5, s0 :: v_dual_cndmask_b32 v20, v20, v28, s1
	s_delay_alu instid0(VALU_DEP_1) | instskip(NEXT) | instid1(VALU_DEP_1)
	v_dual_cndmask_b32 v28, v28, v18, s1 :: v_dual_cndmask_b32 v18, v18, v27, s1
	v_alignbit_b32 v29, v20, v28, v24
	v_cndmask_b32_e32 v26, v30, v26, vcc_lo
	v_cmp_eq_u32_e32 vcc_lo, 0, v3
	s_delay_alu instid0(VALU_DEP_4) | instskip(NEXT) | instid1(VALU_DEP_4)
	v_alignbit_b32 v30, v28, v18, v24
	v_cndmask_b32_e32 v3, v29, v20, vcc_lo
	s_delay_alu instid0(VALU_DEP_2) | instskip(NEXT) | instid1(VALU_DEP_2)
	v_dual_cndmask_b32 v5, v5, v26, s0 :: v_dual_cndmask_b32 v20, v30, v28, vcc_lo
	v_bfe_u32 v26, v3, 29, 1
	s_delay_alu instid0(VALU_DEP_2) | instskip(NEXT) | instid1(VALU_DEP_3)
	v_cndmask_b32_e64 v5, v27, v5, s1
	v_alignbit_b32 v27, v3, v20, 30
	s_delay_alu instid0(VALU_DEP_3) | instskip(NEXT) | instid1(VALU_DEP_3)
	v_sub_nc_u32_e32 v28, 0, v26
	v_alignbit_b32 v24, v18, v5, v24
	s_delay_alu instid0(VALU_DEP_1) | instskip(NEXT) | instid1(VALU_DEP_1)
	v_dual_cndmask_b32 v18, v24, v18, vcc_lo :: v_dual_bitop2_b32 v27, v27, v28 bitop3:0x14
	v_clz_i32_u32_e32 v24, v27
	s_delay_alu instid0(VALU_DEP_2) | instskip(SKIP_1) | instid1(VALU_DEP_3)
	v_alignbit_b32 v20, v20, v18, 30
	v_alignbit_b32 v5, v18, v5, 30
	v_min_u32_e32 v24, 32, v24
	s_delay_alu instid0(VALU_DEP_3) | instskip(NEXT) | instid1(VALU_DEP_3)
	v_xor_b32_e32 v18, v20, v28
	v_dual_lshrrev_b32 v28, 29, v3 :: v_dual_bitop2_b32 v5, v5, v28 bitop3:0x14
	s_delay_alu instid0(VALU_DEP_3) | instskip(NEXT) | instid1(VALU_DEP_1)
	v_sub_nc_u32_e32 v20, 31, v24
	v_alignbit_b32 v27, v27, v18, v20
	s_delay_alu instid0(VALU_DEP_3) | instskip(NEXT) | instid1(VALU_DEP_4)
	v_alignbit_b32 v5, v18, v5, v20
	v_lshlrev_b32_e32 v18, 31, v28
	v_lshlrev_b32_e32 v29, 23, v24
	s_delay_alu instid0(VALU_DEP_3) | instskip(NEXT) | instid1(VALU_DEP_3)
	v_alignbit_b32 v20, v27, v5, 9
	v_dual_lshrrev_b32 v27, 9, v27 :: v_dual_bitop2_b32 v28, 0.5, v18 bitop3:0x54
	v_or_b32_e32 v18, 0x33000000, v18
	s_delay_alu instid0(VALU_DEP_3) | instskip(NEXT) | instid1(VALU_DEP_3)
	v_clz_i32_u32_e32 v30, v20
	v_sub_nc_u32_e32 v28, v28, v29
	s_delay_alu instid0(VALU_DEP_2) | instskip(NEXT) | instid1(VALU_DEP_1)
	v_min_u32_e32 v29, 32, v30
	v_add_lshl_u32 v24, v29, v24, 23
	s_delay_alu instid0(VALU_DEP_1) | instskip(NEXT) | instid1(VALU_DEP_4)
	v_sub_nc_u32_e32 v18, v18, v24
	v_or_b32_e32 v27, v27, v28
	v_not_b32_e32 v28, v29
	s_delay_alu instid0(VALU_DEP_1) | instskip(NEXT) | instid1(VALU_DEP_1)
	v_alignbit_b32 v5, v20, v5, v28
	v_dual_mul_f32 v30, 0x3fc90fda, v27 :: v_dual_lshrrev_b32 v5, 9, v5
	s_delay_alu instid0(VALU_DEP_1) | instskip(NEXT) | instid1(VALU_DEP_2)
	v_or_b32_e32 v5, v18, v5
	v_fma_f32 v20, 0x3fc90fda, v27, -v30
	s_delay_alu instid0(VALU_DEP_1) | instskip(NEXT) | instid1(VALU_DEP_1)
	v_fmac_f32_e32 v20, 0x33a22168, v27
	v_dual_fmac_f32 v20, 0x3fc90fda, v5 :: v_dual_lshrrev_b32 v5, 30, v3
	s_delay_alu instid0(VALU_DEP_1) | instskip(NEXT) | instid1(VALU_DEP_2)
	v_add_nc_u32_e32 v5, v26, v5
	v_add_f32_e32 v3, v30, v20
.LBB100_323:                            ;   in Loop: Header=BB100_180 Depth=1
	s_or_saveexec_b32 s0, s20
	v_mul_f32_e64 v18, 0x3f22f983, |v4|
	s_delay_alu instid0(VALU_DEP_1)
	v_rndne_f32_e32 v24, v18
	s_xor_b32 exec_lo, exec_lo, s0
; %bb.324:                              ;   in Loop: Header=BB100_180 Depth=1
	s_delay_alu instid0(VALU_DEP_1) | instskip(SKIP_1) | instid1(VALU_DEP_2)
	v_fma_f32 v3, 0xbfc90fda, v24, |v4|
	v_cvt_i32_f32_e32 v5, v24
	v_fmac_f32_e32 v3, 0xb3a22168, v24
	s_delay_alu instid0(VALU_DEP_1)
	v_fmac_f32_e32 v3, 0xa7c234c4, v24
; %bb.325:                              ;   in Loop: Header=BB100_180 Depth=1
	s_or_b32 exec_lo, exec_lo, s0
                                        ; implicit-def: $vgpr20
                                        ; implicit-def: $vgpr18
	s_and_saveexec_b32 s0, s19
	s_delay_alu instid0(SALU_CYCLE_1)
	s_xor_b32 s19, exec_lo, s0
	s_cbranch_execz .LBB100_327
; %bb.326:                              ;   in Loop: Header=BB100_180 Depth=1
	v_mul_u64_e32 v[26:27], s[4:5], v[16:17]
	v_mov_b32_e32 v29, v17
	v_cmp_lt_u32_e32 vcc_lo, 63, v12
	v_mov_b32_e32 v39, v17
	v_cndmask_b32_e64 v18, 0, 0xffffffc0, vcc_lo
	s_delay_alu instid0(VALU_DEP_1) | instskip(NEXT) | instid1(VALU_DEP_1)
	v_add_nc_u32_e32 v12, v18, v12
	v_cmp_lt_u32_e64 s0, 31, v12
	s_delay_alu instid0(VALU_DEP_1) | instskip(NEXT) | instid1(VALU_DEP_1)
	v_cndmask_b32_e64 v18, 0, 0xffffffe0, s0
	v_dual_add_nc_u32 v12, v18, v12 :: v_dual_mov_b32 v28, v27
	s_delay_alu instid0(VALU_DEP_1) | instskip(NEXT) | instid1(VALU_DEP_2)
	v_cmp_lt_u32_e64 s1, 31, v12
	v_mad_nc_u64_u32 v[28:29], 0x3c439041, v16, v[28:29]
	s_delay_alu instid0(VALU_DEP_1) | instskip(NEXT) | instid1(VALU_DEP_1)
	v_dual_mov_b32 v31, v17 :: v_dual_mov_b32 v30, v29
	v_mad_nc_u64_u32 v[30:31], 0xdb629599, v16, v[30:31]
	s_delay_alu instid0(VALU_DEP_1) | instskip(NEXT) | instid1(VALU_DEP_2)
	v_dual_mov_b32 v33, v17 :: v_dual_mov_b32 v32, v31
	v_cndmask_b32_e32 v26, v30, v26, vcc_lo
	s_delay_alu instid0(VALU_DEP_2) | instskip(NEXT) | instid1(VALU_DEP_1)
	v_mad_nc_u64_u32 v[32:33], 0xf534ddc0, v16, v[32:33]
	v_dual_mov_b32 v35, v17 :: v_dual_mov_b32 v34, v33
	s_delay_alu instid0(VALU_DEP_1) | instskip(NEXT) | instid1(VALU_DEP_1)
	v_mad_nc_u64_u32 v[34:35], 0xfc2757d1, v16, v[34:35]
	v_dual_mov_b32 v37, v17 :: v_dual_mov_b32 v36, v35
	s_delay_alu instid0(VALU_DEP_2) | instskip(NEXT) | instid1(VALU_DEP_2)
	v_cndmask_b32_e32 v27, v34, v30, vcc_lo
	v_mad_nc_u64_u32 v[36:37], 0x4e441529, v16, v[36:37]
	s_delay_alu instid0(VALU_DEP_1) | instskip(NEXT) | instid1(VALU_DEP_1)
	v_mov_b32_e32 v38, v37
	v_mad_nc_u64_u32 v[38:39], 0xa2f9836e, v16, v[38:39]
	v_cndmask_b32_e64 v16, 0, 0xffffffe0, s1
	s_delay_alu instid0(VALU_DEP_2) | instskip(NEXT) | instid1(VALU_DEP_3)
	v_dual_cndmask_b32 v18, v36, v32, vcc_lo :: v_dual_cndmask_b32 v20, v38, v34, vcc_lo
	v_cndmask_b32_e32 v24, v39, v36, vcc_lo
	s_delay_alu instid0(VALU_DEP_3) | instskip(SKIP_1) | instid1(VALU_DEP_4)
	v_add_nc_u32_e32 v12, v16, v12
	v_cndmask_b32_e32 v16, v32, v28, vcc_lo
	v_cndmask_b32_e64 v28, v20, v18, s0
	s_delay_alu instid0(VALU_DEP_4) | instskip(NEXT) | instid1(VALU_DEP_4)
	v_dual_cndmask_b32 v20, v24, v20, s0 :: v_dual_cndmask_b32 v18, v18, v27, s0
	v_sub_nc_u32_e32 v24, 32, v12
	s_delay_alu instid0(VALU_DEP_4) | instskip(SKIP_1) | instid1(VALU_DEP_4)
	v_cndmask_b32_e64 v27, v27, v16, s0
	v_cmp_eq_u32_e32 vcc_lo, 0, v12
	v_cndmask_b32_e64 v20, v20, v28, s1
	s_delay_alu instid0(VALU_DEP_3) | instskip(SKIP_1) | instid1(VALU_DEP_2)
	v_dual_cndmask_b32 v28, v28, v18, s1 :: v_dual_cndmask_b32 v18, v18, v27, s1
	v_cndmask_b32_e64 v16, v16, v26, s0
	v_alignbit_b32 v29, v20, v28, v24
	s_delay_alu instid0(VALU_DEP_3) | instskip(NEXT) | instid1(VALU_DEP_3)
	v_alignbit_b32 v30, v28, v18, v24
	v_cndmask_b32_e64 v16, v27, v16, s1
	s_delay_alu instid0(VALU_DEP_3) | instskip(NEXT) | instid1(VALU_DEP_3)
	v_cndmask_b32_e32 v12, v29, v20, vcc_lo
	v_cndmask_b32_e32 v20, v30, v28, vcc_lo
	s_delay_alu instid0(VALU_DEP_3) | instskip(NEXT) | instid1(VALU_DEP_3)
	v_alignbit_b32 v24, v18, v16, v24
	v_bfe_u32 v26, v12, 29, 1
	s_delay_alu instid0(VALU_DEP_3) | instskip(NEXT) | instid1(VALU_DEP_3)
	v_alignbit_b32 v27, v12, v20, 30
	v_cndmask_b32_e32 v18, v24, v18, vcc_lo
	s_delay_alu instid0(VALU_DEP_3) | instskip(NEXT) | instid1(VALU_DEP_2)
	v_sub_nc_u32_e32 v28, 0, v26
	v_alignbit_b32 v16, v18, v16, 30
	s_delay_alu instid0(VALU_DEP_2) | instskip(SKIP_1) | instid1(VALU_DEP_3)
	v_xor_b32_e32 v27, v27, v28
	v_alignbit_b32 v20, v20, v18, 30
	v_xor_b32_e32 v16, v16, v28
	s_delay_alu instid0(VALU_DEP_3) | instskip(NEXT) | instid1(VALU_DEP_3)
	v_clz_i32_u32_e32 v24, v27
	v_xor_b32_e32 v18, v20, v28
	v_dual_lshrrev_b32 v28, 29, v12 :: v_dual_lshrrev_b32 v12, 30, v12
	s_delay_alu instid0(VALU_DEP_3) | instskip(NEXT) | instid1(VALU_DEP_1)
	v_min_u32_e32 v24, 32, v24
	v_dual_sub_nc_u32 v20, 31, v24 :: v_dual_lshlrev_b32 v29, 23, v24
	s_delay_alu instid0(VALU_DEP_1) | instskip(SKIP_2) | instid1(VALU_DEP_2)
	v_alignbit_b32 v27, v27, v18, v20
	v_alignbit_b32 v16, v18, v16, v20
	v_lshlrev_b32_e32 v18, 31, v28
	v_alignbit_b32 v20, v27, v16, 9
	s_delay_alu instid0(VALU_DEP_2) | instskip(SKIP_2) | instid1(VALU_DEP_4)
	v_or_b32_e32 v28, 0.5, v18
	v_or_b32_e32 v18, 0x33000000, v18
	v_lshrrev_b32_e32 v27, 9, v27
	v_clz_i32_u32_e32 v30, v20
	s_delay_alu instid0(VALU_DEP_4) | instskip(NEXT) | instid1(VALU_DEP_2)
	v_sub_nc_u32_e32 v28, v28, v29
	v_min_u32_e32 v29, 32, v30
	s_delay_alu instid0(VALU_DEP_1) | instskip(NEXT) | instid1(VALU_DEP_1)
	v_add_lshl_u32 v24, v29, v24, 23
	v_sub_nc_u32_e32 v18, v18, v24
	s_delay_alu instid0(VALU_DEP_4) | instskip(SKIP_1) | instid1(VALU_DEP_2)
	v_or_b32_e32 v27, v27, v28
	v_not_b32_e32 v28, v29
                                        ; implicit-def: $vgpr24
	v_mul_f32_e32 v30, 0x3fc90fda, v27
	s_delay_alu instid0(VALU_DEP_2) | instskip(NEXT) | instid1(VALU_DEP_2)
	v_alignbit_b32 v16, v20, v16, v28
	v_fma_f32 v20, 0x3fc90fda, v27, -v30
	s_delay_alu instid0(VALU_DEP_2) | instskip(NEXT) | instid1(VALU_DEP_2)
	v_lshrrev_b32_e32 v16, 9, v16
	v_fmac_f32_e32 v20, 0x33a22168, v27
	s_delay_alu instid0(VALU_DEP_2) | instskip(NEXT) | instid1(VALU_DEP_1)
	v_or_b32_e32 v16, v18, v16
	v_fmac_f32_e32 v20, 0x3fc90fda, v16
	s_delay_alu instid0(VALU_DEP_1)
	v_add_f32_e32 v18, v30, v20
	v_add_nc_u32_e32 v20, v26, v12
	s_and_not1_saveexec_b32 s0, s19
	s_cbranch_execz .LBB100_176
	s_branch .LBB100_328
.LBB100_327:                            ;   in Loop: Header=BB100_180 Depth=1
	s_and_not1_saveexec_b32 s0, s19
	s_cbranch_execz .LBB100_176
.LBB100_328:                            ;   in Loop: Header=BB100_180 Depth=1
	v_fma_f32 v18, 0xbfc90fda, v24, |v4|
	v_cvt_i32_f32_e32 v20, v24
	s_delay_alu instid0(VALU_DEP_2) | instskip(NEXT) | instid1(VALU_DEP_1)
	v_fmac_f32_e32 v18, 0xb3a22168, v24
	v_fmac_f32_e32 v18, 0xa7c234c4, v24
	s_branch .LBB100_176
.LBB100_329:
	s_endpgm
	.section	.rodata,"a",@progbits
	.p2align	6, 0x0
	.amdhsa_kernel _ZN2at6native12_GLOBAL__N_125multi_tensor_apply_kernelINS1_18TensorListMetadataILi1EEENS1_14UnaryOpFunctorIN3c107complexIfEELi1ELi1ELi0EEEJNS0_3TanIS8_EEEEEvT_T0_DpT1_
		.amdhsa_group_segment_fixed_size 0
		.amdhsa_private_segment_fixed_size 0
		.amdhsa_kernarg_size 3632
		.amdhsa_user_sgpr_count 2
		.amdhsa_user_sgpr_dispatch_ptr 0
		.amdhsa_user_sgpr_queue_ptr 0
		.amdhsa_user_sgpr_kernarg_segment_ptr 1
		.amdhsa_user_sgpr_dispatch_id 0
		.amdhsa_user_sgpr_kernarg_preload_length 0
		.amdhsa_user_sgpr_kernarg_preload_offset 0
		.amdhsa_user_sgpr_private_segment_size 0
		.amdhsa_wavefront_size32 1
		.amdhsa_uses_dynamic_stack 0
		.amdhsa_enable_private_segment 0
		.amdhsa_system_sgpr_workgroup_id_x 1
		.amdhsa_system_sgpr_workgroup_id_y 0
		.amdhsa_system_sgpr_workgroup_id_z 0
		.amdhsa_system_sgpr_workgroup_info 0
		.amdhsa_system_vgpr_workitem_id 0
		.amdhsa_next_free_vgpr 60
		.amdhsa_next_free_sgpr 37
		.amdhsa_named_barrier_count 0
		.amdhsa_reserve_vcc 1
		.amdhsa_float_round_mode_32 0
		.amdhsa_float_round_mode_16_64 0
		.amdhsa_float_denorm_mode_32 3
		.amdhsa_float_denorm_mode_16_64 3
		.amdhsa_fp16_overflow 0
		.amdhsa_memory_ordered 1
		.amdhsa_forward_progress 1
		.amdhsa_inst_pref_size 255
		.amdhsa_round_robin_scheduling 0
		.amdhsa_exception_fp_ieee_invalid_op 0
		.amdhsa_exception_fp_denorm_src 0
		.amdhsa_exception_fp_ieee_div_zero 0
		.amdhsa_exception_fp_ieee_overflow 0
		.amdhsa_exception_fp_ieee_underflow 0
		.amdhsa_exception_fp_ieee_inexact 0
		.amdhsa_exception_int_div_zero 0
	.end_amdhsa_kernel
	.section	.text._ZN2at6native12_GLOBAL__N_125multi_tensor_apply_kernelINS1_18TensorListMetadataILi1EEENS1_14UnaryOpFunctorIN3c107complexIfEELi1ELi1ELi0EEEJNS0_3TanIS8_EEEEEvT_T0_DpT1_,"axG",@progbits,_ZN2at6native12_GLOBAL__N_125multi_tensor_apply_kernelINS1_18TensorListMetadataILi1EEENS1_14UnaryOpFunctorIN3c107complexIfEELi1ELi1ELi0EEEJNS0_3TanIS8_EEEEEvT_T0_DpT1_,comdat
.Lfunc_end100:
	.size	_ZN2at6native12_GLOBAL__N_125multi_tensor_apply_kernelINS1_18TensorListMetadataILi1EEENS1_14UnaryOpFunctorIN3c107complexIfEELi1ELi1ELi0EEEJNS0_3TanIS8_EEEEEvT_T0_DpT1_, .Lfunc_end100-_ZN2at6native12_GLOBAL__N_125multi_tensor_apply_kernelINS1_18TensorListMetadataILi1EEENS1_14UnaryOpFunctorIN3c107complexIfEELi1ELi1ELi0EEEJNS0_3TanIS8_EEEEEvT_T0_DpT1_
                                        ; -- End function
	.set _ZN2at6native12_GLOBAL__N_125multi_tensor_apply_kernelINS1_18TensorListMetadataILi1EEENS1_14UnaryOpFunctorIN3c107complexIfEELi1ELi1ELi0EEEJNS0_3TanIS8_EEEEEvT_T0_DpT1_.num_vgpr, 60
	.set _ZN2at6native12_GLOBAL__N_125multi_tensor_apply_kernelINS1_18TensorListMetadataILi1EEENS1_14UnaryOpFunctorIN3c107complexIfEELi1ELi1ELi0EEEJNS0_3TanIS8_EEEEEvT_T0_DpT1_.num_agpr, 0
	.set _ZN2at6native12_GLOBAL__N_125multi_tensor_apply_kernelINS1_18TensorListMetadataILi1EEENS1_14UnaryOpFunctorIN3c107complexIfEELi1ELi1ELi0EEEJNS0_3TanIS8_EEEEEvT_T0_DpT1_.numbered_sgpr, 37
	.set _ZN2at6native12_GLOBAL__N_125multi_tensor_apply_kernelINS1_18TensorListMetadataILi1EEENS1_14UnaryOpFunctorIN3c107complexIfEELi1ELi1ELi0EEEJNS0_3TanIS8_EEEEEvT_T0_DpT1_.num_named_barrier, 0
	.set _ZN2at6native12_GLOBAL__N_125multi_tensor_apply_kernelINS1_18TensorListMetadataILi1EEENS1_14UnaryOpFunctorIN3c107complexIfEELi1ELi1ELi0EEEJNS0_3TanIS8_EEEEEvT_T0_DpT1_.private_seg_size, 0
	.set _ZN2at6native12_GLOBAL__N_125multi_tensor_apply_kernelINS1_18TensorListMetadataILi1EEENS1_14UnaryOpFunctorIN3c107complexIfEELi1ELi1ELi0EEEJNS0_3TanIS8_EEEEEvT_T0_DpT1_.uses_vcc, 1
	.set _ZN2at6native12_GLOBAL__N_125multi_tensor_apply_kernelINS1_18TensorListMetadataILi1EEENS1_14UnaryOpFunctorIN3c107complexIfEELi1ELi1ELi0EEEJNS0_3TanIS8_EEEEEvT_T0_DpT1_.uses_flat_scratch, 0
	.set _ZN2at6native12_GLOBAL__N_125multi_tensor_apply_kernelINS1_18TensorListMetadataILi1EEENS1_14UnaryOpFunctorIN3c107complexIfEELi1ELi1ELi0EEEJNS0_3TanIS8_EEEEEvT_T0_DpT1_.has_dyn_sized_stack, 0
	.set _ZN2at6native12_GLOBAL__N_125multi_tensor_apply_kernelINS1_18TensorListMetadataILi1EEENS1_14UnaryOpFunctorIN3c107complexIfEELi1ELi1ELi0EEEJNS0_3TanIS8_EEEEEvT_T0_DpT1_.has_recursion, 0
	.set _ZN2at6native12_GLOBAL__N_125multi_tensor_apply_kernelINS1_18TensorListMetadataILi1EEENS1_14UnaryOpFunctorIN3c107complexIfEELi1ELi1ELi0EEEJNS0_3TanIS8_EEEEEvT_T0_DpT1_.has_indirect_call, 0
	.section	.AMDGPU.csdata,"",@progbits
; Kernel info:
; codeLenInByte = 50328
; TotalNumSgprs: 39
; NumVgprs: 60
; ScratchSize: 0
; MemoryBound: 1
; FloatMode: 240
; IeeeMode: 1
; LDSByteSize: 0 bytes/workgroup (compile time only)
; SGPRBlocks: 0
; VGPRBlocks: 3
; NumSGPRsForWavesPerEU: 39
; NumVGPRsForWavesPerEU: 60
; NamedBarCnt: 0
; Occupancy: 16
; WaveLimiterHint : 0
; COMPUTE_PGM_RSRC2:SCRATCH_EN: 0
; COMPUTE_PGM_RSRC2:USER_SGPR: 2
; COMPUTE_PGM_RSRC2:TRAP_HANDLER: 0
; COMPUTE_PGM_RSRC2:TGID_X_EN: 1
; COMPUTE_PGM_RSRC2:TGID_Y_EN: 0
; COMPUTE_PGM_RSRC2:TGID_Z_EN: 0
; COMPUTE_PGM_RSRC2:TIDIG_COMP_CNT: 0
	.section	.text._ZN2at6native12_GLOBAL__N_125multi_tensor_apply_kernelINS1_18TensorListMetadataILi1EEENS1_14UnaryOpFunctorIN3c104HalfELi1ELi1ELi0EEEJNS0_3TanIfEEEEEvT_T0_DpT1_,"axG",@progbits,_ZN2at6native12_GLOBAL__N_125multi_tensor_apply_kernelINS1_18TensorListMetadataILi1EEENS1_14UnaryOpFunctorIN3c104HalfELi1ELi1ELi0EEEJNS0_3TanIfEEEEEvT_T0_DpT1_,comdat
	.globl	_ZN2at6native12_GLOBAL__N_125multi_tensor_apply_kernelINS1_18TensorListMetadataILi1EEENS1_14UnaryOpFunctorIN3c104HalfELi1ELi1ELi0EEEJNS0_3TanIfEEEEEvT_T0_DpT1_ ; -- Begin function _ZN2at6native12_GLOBAL__N_125multi_tensor_apply_kernelINS1_18TensorListMetadataILi1EEENS1_14UnaryOpFunctorIN3c104HalfELi1ELi1ELi0EEEJNS0_3TanIfEEEEEvT_T0_DpT1_
	.p2align	8
	.type	_ZN2at6native12_GLOBAL__N_125multi_tensor_apply_kernelINS1_18TensorListMetadataILi1EEENS1_14UnaryOpFunctorIN3c104HalfELi1ELi1ELi0EEEJNS0_3TanIfEEEEEvT_T0_DpT1_,@function
_ZN2at6native12_GLOBAL__N_125multi_tensor_apply_kernelINS1_18TensorListMetadataILi1EEENS1_14UnaryOpFunctorIN3c104HalfELi1ELi1ELi0EEEJNS0_3TanIfEEEEEvT_T0_DpT1_: ; @_ZN2at6native12_GLOBAL__N_125multi_tensor_apply_kernelINS1_18TensorListMetadataILi1EEENS1_14UnaryOpFunctorIN3c104HalfELi1ELi1ELi0EEEJNS0_3TanIfEEEEEvT_T0_DpT1_
; %bb.0:
	s_bfe_u32 s2, ttmp6, 0x4000c
	s_and_b32 s3, ttmp6, 15
	s_add_co_i32 s2, s2, 1
	s_getreg_b32 s4, hwreg(HW_REG_IB_STS2, 6, 4)
	s_mul_i32 s2, ttmp9, s2
	s_delay_alu instid0(SALU_CYCLE_1)
	s_add_co_i32 s3, s3, s2
	s_cmp_eq_u32 s4, 0
	s_cselect_b32 s2, ttmp9, s3
	s_mov_b32 s3, 0
	s_load_u8 s10, s[0:1], s2 offset:0x6e0
	s_add_nc_u64 s[4:5], s[0:1], s[2:3]
	s_mul_u64 s[6:7], s[2:3], 3
	s_delay_alu instid0(SALU_CYCLE_1)
	s_add_nc_u64 s[4:5], s[4:5], s[6:7]
	s_load_b32 s6, s[4:5], 0x820
	s_wait_kmcnt 0x0
	s_clause 0x1
	s_load_b64 s[8:9], s[0:1], s10 offset:0x0 scale_offset
	s_load_b64 s[12:13], s[0:1], s10 offset:0x370 scale_offset
	s_ashr_i32 s7, s6, 31
	s_wait_kmcnt 0x0
	s_and_b64 s[4:5], s[8:9], 7
	s_and_b32 s2, s12, 3
	s_lshl_b64 s[10:11], s[6:7], 17
	s_or_b64 s[2:3], s[4:5], s[2:3]
	s_lshl_b64 s[4:5], s[6:7], 16
	s_cmp_eq_u64 s[2:3], 0
	s_sub_nc_u64 s[12:13], s[12:13], s[4:5]
	s_cbranch_scc1 .LBB101_37
; %bb.1:
	v_cmp_lt_i64_e64 s2, s[12:13], 1
	s_and_b32 vcc_lo, exec_lo, s2
	s_cbranch_vccnz .LBB101_36
; %bb.2:
	s_load_b32 s2, s[0:1], 0xd3c
	v_min_i64 v[2:3], 0x10000, s[12:13]
	v_min_u64 v[4:5], 0x10000, s[12:13]
	v_dual_mov_b32 v7, 0 :: v_dual_lshlrev_b32 v6, 1, v0
	s_mov_b32 s3, 0
	s_add_nc_u64 s[4:5], s[8:9], s[10:11]
	s_mov_b32 s7, s3
	s_delay_alu instid0(VALU_DEP_1)
	v_mov_b32_e32 v1, v7
	v_add_nc_u64_e32 v[10:11], s[4:5], v[6:7]
	s_mov_b32 s19, s3
	s_mov_b32 s15, s3
	;; [unrolled: 1-line block ×3, first 2 shown]
	s_mov_b64 s[22:23], 0
	s_mov_b32 s24, 0x7fffff
	s_mov_b32 s25, 0xbc8cedd3
	;; [unrolled: 1-line block ×3, first 2 shown]
	s_wait_kmcnt 0x0
	s_and_b32 s2, s2, 0xffff
	s_delay_alu instid0(SALU_CYCLE_1)
	v_add_nc_u64_e32 v[8:9], s[2:3], v[0:1]
	s_lshl_b32 s6, s2, 1
	s_mul_i32 s18, s2, 3
	s_lshl_b32 s14, s2, 2
	s_lshl_b32 s16, s2, 3
	s_mul_u64 s[20:21], s[2:3], 6
	s_delay_alu instid0(VALU_DEP_1) | instskip(SKIP_3) | instid1(VALU_DEP_3)
	v_lshlrev_b32_e32 v6, 1, v8
	v_add_nc_u64_e32 v[12:13], s[18:19], v[0:1]
	v_add_nc_u64_e32 v[14:15], s[6:7], v[0:1]
	s_mov_b64 s[18:19], 0xfe5163ab
	v_add_nc_u64_e32 v[16:17], s[4:5], v[6:7]
	s_branch .LBB101_4
.LBB101_3:                              ;   in Loop: Header=BB101_4 Depth=1
	s_wait_xcnt 0x0
	s_or_b32 exec_lo, exec_lo, s2
	s_add_nc_u64 s[22:23], s[22:23], s[14:15]
	v_add_nc_u64_e32 v[10:11], s[16:17], v[10:11]
	v_cmp_ge_i64_e32 vcc_lo, s[22:23], v[2:3]
	v_add_nc_u64_e32 v[16:17], s[16:17], v[16:17]
	s_cbranch_vccnz .LBB101_36
.LBB101_4:                              ; =>This Inner Loop Header: Depth=1
	v_add_nc_u64_e32 v[18:19], s[22:23], v[0:1]
	v_mov_b32_e32 v25, 0
	s_delay_alu instid0(VALU_DEP_2)
	v_cmp_lt_u64_e64 s4, v[18:19], v[4:5]
	s_and_saveexec_b32 s2, s4
	s_cbranch_execz .LBB101_6
; %bb.5:                                ;   in Loop: Header=BB101_4 Depth=1
	global_load_u16 v6, v[10:11], off
	s_wait_loadcnt 0x0
	v_cvt_f32_f16_e32 v25, v6
.LBB101_6:                              ;   in Loop: Header=BB101_4 Depth=1
	s_wait_xcnt 0x0
	s_or_b32 exec_lo, exec_lo, s2
	v_add_nc_u64_e32 v[18:19], s[22:23], v[8:9]
	v_dual_mov_b32 v22, 0 :: v_dual_mov_b32 v24, 0
	s_delay_alu instid0(VALU_DEP_2)
	v_cmp_lt_u64_e64 s3, v[18:19], v[4:5]
	s_and_saveexec_b32 s2, s3
	s_cbranch_execz .LBB101_8
; %bb.7:                                ;   in Loop: Header=BB101_4 Depth=1
	global_load_u16 v6, v[16:17], off
	s_wait_loadcnt 0x0
	v_cvt_f32_f16_e32 v24, v6
.LBB101_8:                              ;   in Loop: Header=BB101_4 Depth=1
	s_wait_xcnt 0x0
	s_or_b32 exec_lo, exec_lo, s2
	v_add_nc_u64_e32 v[18:19], s[22:23], v[14:15]
	v_add_nc_u64_e32 v[20:21], s[14:15], v[10:11]
	s_delay_alu instid0(VALU_DEP_2)
	v_cmp_lt_u64_e64 s2, v[18:19], v[4:5]
	s_and_saveexec_b32 s5, s2
	s_cbranch_execz .LBB101_10
; %bb.9:                                ;   in Loop: Header=BB101_4 Depth=1
	global_load_u16 v6, v[20:21], off
	s_wait_loadcnt 0x0
	v_cvt_f32_f16_e32 v22, v6
.LBB101_10:                             ;   in Loop: Header=BB101_4 Depth=1
	s_wait_xcnt 0x0
	s_or_b32 exec_lo, exec_lo, s5
	v_add_nc_u64_e32 v[18:19], s[22:23], v[12:13]
	v_mov_b32_e32 v23, 0
	s_delay_alu instid0(VALU_DEP_2)
	v_cmp_lt_u64_e32 vcc_lo, v[18:19], v[4:5]
	v_add_nc_u64_e32 v[18:19], s[20:21], v[10:11]
	s_and_saveexec_b32 s5, vcc_lo
	s_cbranch_execz .LBB101_12
; %bb.11:                               ;   in Loop: Header=BB101_4 Depth=1
	global_load_u16 v6, v[18:19], off
	s_wait_loadcnt 0x0
	v_cvt_f32_f16_e32 v23, v6
.LBB101_12:                             ;   in Loop: Header=BB101_4 Depth=1
	s_wait_xcnt 0x0
	s_or_b32 exec_lo, exec_lo, s5
	v_and_b32_e32 v26, 0x7fffffff, v25
                                        ; implicit-def: $vgpr28
                                        ; implicit-def: $vgpr27
	s_mov_b32 s6, exec_lo
	v_cmpx_ngt_f32_e64 0x48000000, |v25|
	s_xor_b32 s27, exec_lo, s6
	s_cbranch_execz .LBB101_14
; %bb.13:                               ;   in Loop: Header=BB101_4 Depth=1
	v_and_or_b32 v6, v26, s24, 0x800000
	v_dual_lshrrev_b32 v27, 23, v26 :: v_dual_mov_b32 v39, v7
	v_mov_b32_e32 v41, v7
	s_delay_alu instid0(VALU_DEP_3) | instskip(SKIP_1) | instid1(VALU_DEP_4)
	v_mul_u64_e32 v[28:29], s[18:19], v[6:7]
	v_mov_b32_e32 v31, v7
	v_add_nc_u32_e32 v27, 0xffffff88, v27
	s_delay_alu instid0(VALU_DEP_1) | instskip(NEXT) | instid1(VALU_DEP_4)
	v_cmp_lt_u32_e64 s5, 63, v27
	v_mov_b32_e32 v30, v29
	s_delay_alu instid0(VALU_DEP_2) | instskip(NEXT) | instid1(VALU_DEP_2)
	v_cndmask_b32_e64 v29, 0, 0xffffffc0, s5
	v_mad_nc_u64_u32 v[30:31], 0x3c439041, v6, v[30:31]
	s_delay_alu instid0(VALU_DEP_2) | instskip(NEXT) | instid1(VALU_DEP_1)
	v_dual_mov_b32 v33, v7 :: v_dual_add_nc_u32 v27, v29, v27
	v_cmp_lt_u32_e64 s6, 31, v27
	s_delay_alu instid0(VALU_DEP_3) | instskip(NEXT) | instid1(VALU_DEP_2)
	v_mov_b32_e32 v32, v31
	v_cndmask_b32_e64 v29, 0, 0xffffffe0, s6
	s_delay_alu instid0(VALU_DEP_2) | instskip(NEXT) | instid1(VALU_DEP_1)
	v_mad_nc_u64_u32 v[32:33], 0xdb629599, v6, v[32:33]
	v_dual_mov_b32 v35, v7 :: v_dual_mov_b32 v34, v33
	s_delay_alu instid0(VALU_DEP_2) | instskip(NEXT) | instid1(VALU_DEP_2)
	v_cndmask_b32_e64 v28, v32, v28, s5
	v_mad_nc_u64_u32 v[34:35], 0xf534ddc0, v6, v[34:35]
	s_delay_alu instid0(VALU_DEP_1) | instskip(NEXT) | instid1(VALU_DEP_1)
	v_dual_mov_b32 v37, v7 :: v_dual_mov_b32 v36, v35
	v_mad_nc_u64_u32 v[36:37], 0xfc2757d1, v6, v[36:37]
	s_delay_alu instid0(VALU_DEP_1) | instskip(NEXT) | instid1(VALU_DEP_1)
	v_dual_mov_b32 v38, v37 :: v_dual_cndmask_b32 v35, v36, v32, s5
	v_mad_nc_u64_u32 v[38:39], 0x4e441529, v6, v[38:39]
	s_delay_alu instid0(VALU_DEP_1) | instskip(NEXT) | instid1(VALU_DEP_1)
	v_mov_b32_e32 v40, v39
	v_mad_nc_u64_u32 v[40:41], 0xa2f9836e, v6, v[40:41]
	s_delay_alu instid0(VALU_DEP_3) | instskip(NEXT) | instid1(VALU_DEP_1)
	v_dual_add_nc_u32 v6, v29, v27 :: v_dual_cndmask_b32 v29, v38, v34, s5
	v_cmp_lt_u32_e64 s7, 31, v6
	s_delay_alu instid0(VALU_DEP_1) | instskip(NEXT) | instid1(VALU_DEP_4)
	v_cndmask_b32_e64 v27, 0, 0xffffffe0, s7
	v_dual_cndmask_b32 v31, v40, v36, s5 :: v_dual_cndmask_b32 v33, v41, v38, s5
	s_delay_alu instid0(VALU_DEP_2) | instskip(NEXT) | instid1(VALU_DEP_2)
	v_add_nc_u32_e32 v6, v27, v6
	v_dual_cndmask_b32 v27, v34, v30, s5 :: v_dual_cndmask_b32 v30, v31, v29, s6
	s_delay_alu instid0(VALU_DEP_3) | instskip(NEXT) | instid1(VALU_DEP_3)
	v_cndmask_b32_e64 v31, v33, v31, s6
	v_dual_cndmask_b32 v29, v29, v35, s6 :: v_dual_sub_nc_u32 v33, 32, v6
	s_delay_alu instid0(VALU_DEP_3) | instskip(SKIP_1) | instid1(VALU_DEP_3)
	v_cndmask_b32_e64 v34, v35, v27, s6
	v_cmp_eq_u32_e64 s5, 0, v6
	v_dual_cndmask_b32 v31, v31, v30, s7 :: v_dual_cndmask_b32 v30, v30, v29, s7
	s_delay_alu instid0(VALU_DEP_1) | instskip(NEXT) | instid1(VALU_DEP_1)
	v_alignbit_b32 v35, v31, v30, v33
	v_dual_cndmask_b32 v29, v29, v34, s7 :: v_dual_cndmask_b32 v6, v35, v31, s5
	s_delay_alu instid0(VALU_DEP_1) | instskip(NEXT) | instid1(VALU_DEP_1)
	v_alignbit_b32 v32, v30, v29, v33
	v_dual_cndmask_b32 v27, v27, v28, s6 :: v_dual_cndmask_b32 v28, v32, v30, s5
	s_delay_alu instid0(VALU_DEP_3) | instskip(NEXT) | instid1(VALU_DEP_2)
	v_bfe_u32 v30, v6, 29, 1
	v_cndmask_b32_e64 v27, v34, v27, s7
	s_delay_alu instid0(VALU_DEP_3) | instskip(NEXT) | instid1(VALU_DEP_3)
	v_alignbit_b32 v31, v6, v28, 30
	v_sub_nc_u32_e32 v32, 0, v30
	s_delay_alu instid0(VALU_DEP_3) | instskip(NEXT) | instid1(VALU_DEP_1)
	v_alignbit_b32 v33, v29, v27, v33
	v_dual_cndmask_b32 v29, v33, v29, s5 :: v_dual_bitop2_b32 v31, v31, v32 bitop3:0x14
	s_delay_alu instid0(VALU_DEP_1) | instskip(NEXT) | instid1(VALU_DEP_2)
	v_clz_i32_u32_e32 v33, v31
	v_alignbit_b32 v28, v28, v29, 30
	v_alignbit_b32 v27, v29, v27, 30
	s_delay_alu instid0(VALU_DEP_3) | instskip(NEXT) | instid1(VALU_DEP_3)
	v_min_u32_e32 v33, 32, v33
	v_xor_b32_e32 v28, v28, v32
	s_delay_alu instid0(VALU_DEP_3) | instskip(NEXT) | instid1(VALU_DEP_3)
	v_dual_lshrrev_b32 v32, 29, v6 :: v_dual_bitop2_b32 v27, v27, v32 bitop3:0x14
	v_dual_lshrrev_b32 v6, 30, v6 :: v_dual_sub_nc_u32 v29, 31, v33
	v_lshlrev_b32_e32 v34, 23, v33
	s_delay_alu instid0(VALU_DEP_2) | instskip(NEXT) | instid1(VALU_DEP_4)
	v_alignbit_b32 v31, v31, v28, v29
	v_alignbit_b32 v27, v28, v27, v29
	v_lshlrev_b32_e32 v28, 31, v32
	s_delay_alu instid0(VALU_DEP_2) | instskip(NEXT) | instid1(VALU_DEP_2)
	v_alignbit_b32 v29, v31, v27, 9
	v_dual_lshrrev_b32 v31, 9, v31 :: v_dual_bitop2_b32 v32, 0.5, v28 bitop3:0x54
	v_or_b32_e32 v28, 0x33000000, v28
	s_delay_alu instid0(VALU_DEP_3) | instskip(NEXT) | instid1(VALU_DEP_3)
	v_clz_i32_u32_e32 v35, v29
	v_sub_nc_u32_e32 v32, v32, v34
	s_delay_alu instid0(VALU_DEP_2) | instskip(NEXT) | instid1(VALU_DEP_1)
	v_min_u32_e32 v34, 32, v35
	v_add_lshl_u32 v33, v34, v33, 23
	s_delay_alu instid0(VALU_DEP_3) | instskip(SKIP_1) | instid1(VALU_DEP_2)
	v_or_b32_e32 v31, v31, v32
	v_not_b32_e32 v32, v34
	v_dual_mul_f32 v35, 0x3fc90fda, v31 :: v_dual_sub_nc_u32 v28, v28, v33
	s_delay_alu instid0(VALU_DEP_2) | instskip(NEXT) | instid1(VALU_DEP_2)
	v_alignbit_b32 v27, v29, v27, v32
	v_fma_f32 v29, 0x3fc90fda, v31, -v35
	s_delay_alu instid0(VALU_DEP_2) | instskip(NEXT) | instid1(VALU_DEP_2)
	v_lshrrev_b32_e32 v27, 9, v27
	v_fmac_f32_e32 v29, 0x33a22168, v31
	s_delay_alu instid0(VALU_DEP_2) | instskip(NEXT) | instid1(VALU_DEP_1)
	v_dual_add_nc_u32 v28, v30, v6 :: v_dual_bitop2_b32 v27, v28, v27 bitop3:0x54
	v_fmac_f32_e32 v29, 0x3fc90fda, v27
	s_delay_alu instid0(VALU_DEP_1)
	v_add_f32_e32 v27, v35, v29
.LBB101_14:                             ;   in Loop: Header=BB101_4 Depth=1
	s_and_not1_saveexec_b32 s5, s27
; %bb.15:                               ;   in Loop: Header=BB101_4 Depth=1
	v_mul_f32_e64 v6, 0x3f22f983, |v25|
	s_delay_alu instid0(VALU_DEP_1) | instskip(NEXT) | instid1(VALU_DEP_1)
	v_rndne_f32_e32 v6, v6
	v_fma_f32 v27, 0xbfc90fda, v6, |v25|
	v_cvt_i32_f32_e32 v28, v6
	s_delay_alu instid0(VALU_DEP_2) | instskip(NEXT) | instid1(VALU_DEP_1)
	v_fmac_f32_e32 v27, 0xb3a22168, v6
	v_fmac_f32_e32 v27, 0xa7c234c4, v6
; %bb.16:                               ;   in Loop: Header=BB101_4 Depth=1
	s_or_b32 exec_lo, exec_lo, s5
	v_and_b32_e32 v29, 0x7fffffff, v24
                                        ; implicit-def: $vgpr32
                                        ; implicit-def: $vgpr30
	s_mov_b32 s6, exec_lo
	v_cmpx_ngt_f32_e64 0x48000000, |v24|
	s_xor_b32 s27, exec_lo, s6
	s_cbranch_execz .LBB101_18
; %bb.17:                               ;   in Loop: Header=BB101_4 Depth=1
	v_and_or_b32 v6, v29, s24, 0x800000
	v_dual_mov_b32 v41, v7 :: v_dual_mov_b32 v43, v7
	s_delay_alu instid0(VALU_DEP_2) | instskip(NEXT) | instid1(VALU_DEP_1)
	v_mul_u64_e32 v[30:31], s[18:19], v[6:7]
	v_dual_mov_b32 v33, v7 :: v_dual_mov_b32 v32, v31
	v_lshrrev_b32_e32 v31, 23, v29
	s_delay_alu instid0(VALU_DEP_2) | instskip(SKIP_1) | instid1(VALU_DEP_3)
	v_mad_nc_u64_u32 v[32:33], 0x3c439041, v6, v[32:33]
	v_mov_b32_e32 v35, v7
	v_add_nc_u32_e32 v31, 0xffffff88, v31
	s_delay_alu instid0(VALU_DEP_1) | instskip(NEXT) | instid1(VALU_DEP_4)
	v_cmp_lt_u32_e64 s5, 63, v31
	v_mov_b32_e32 v34, v33
	s_delay_alu instid0(VALU_DEP_2) | instskip(NEXT) | instid1(VALU_DEP_2)
	v_cndmask_b32_e64 v33, 0, 0xffffffc0, s5
	v_mad_nc_u64_u32 v[34:35], 0xdb629599, v6, v[34:35]
	s_delay_alu instid0(VALU_DEP_2) | instskip(NEXT) | instid1(VALU_DEP_1)
	v_dual_mov_b32 v37, v7 :: v_dual_add_nc_u32 v31, v33, v31
	v_cmp_lt_u32_e64 s6, 31, v31
	s_delay_alu instid0(VALU_DEP_3) | instskip(NEXT) | instid1(VALU_DEP_2)
	v_mov_b32_e32 v36, v35
	v_cndmask_b32_e64 v33, 0, 0xffffffe0, s6
	v_cndmask_b32_e64 v30, v34, v30, s5
	s_delay_alu instid0(VALU_DEP_3) | instskip(NEXT) | instid1(VALU_DEP_1)
	v_mad_nc_u64_u32 v[36:37], 0xf534ddc0, v6, v[36:37]
	v_dual_mov_b32 v39, v7 :: v_dual_mov_b32 v38, v37
	s_delay_alu instid0(VALU_DEP_1) | instskip(NEXT) | instid1(VALU_DEP_1)
	v_mad_nc_u64_u32 v[38:39], 0xfc2757d1, v6, v[38:39]
	v_mov_b32_e32 v40, v39
	s_delay_alu instid0(VALU_DEP_1) | instskip(NEXT) | instid1(VALU_DEP_1)
	v_mad_nc_u64_u32 v[40:41], 0x4e441529, v6, v[40:41]
	v_mov_b32_e32 v42, v41
	s_delay_alu instid0(VALU_DEP_1) | instskip(NEXT) | instid1(VALU_DEP_3)
	v_mad_nc_u64_u32 v[42:43], 0xa2f9836e, v6, v[42:43]
	v_dual_add_nc_u32 v6, v33, v31 :: v_dual_cndmask_b32 v33, v40, v36, s5
	s_delay_alu instid0(VALU_DEP_2) | instskip(NEXT) | instid1(VALU_DEP_2)
	v_cndmask_b32_e64 v35, v42, v38, s5
	v_cmp_lt_u32_e64 s7, 31, v6
	s_delay_alu instid0(VALU_DEP_4) | instskip(NEXT) | instid1(VALU_DEP_2)
	v_dual_cndmask_b32 v37, v43, v40, s5 :: v_dual_cndmask_b32 v38, v38, v34, s5
	v_cndmask_b32_e64 v31, 0, 0xffffffe0, s7
	s_delay_alu instid0(VALU_DEP_1) | instskip(NEXT) | instid1(VALU_DEP_3)
	v_dual_add_nc_u32 v6, v31, v6 :: v_dual_cndmask_b32 v31, v36, v32, s5
	v_dual_cndmask_b32 v32, v35, v33, s6 :: v_dual_cndmask_b32 v35, v37, v35, s6
	s_delay_alu instid0(VALU_DEP_4) | instskip(NEXT) | instid1(VALU_DEP_3)
	v_cndmask_b32_e64 v33, v33, v38, s6
	v_dual_sub_nc_u32 v36, 32, v6 :: v_dual_cndmask_b32 v37, v38, v31, s6
	v_cmp_eq_u32_e64 s5, 0, v6
	s_delay_alu instid0(VALU_DEP_3) | instskip(NEXT) | instid1(VALU_DEP_1)
	v_dual_cndmask_b32 v35, v35, v32, s7 :: v_dual_cndmask_b32 v32, v32, v33, s7
	v_alignbit_b32 v38, v35, v32, v36
	s_delay_alu instid0(VALU_DEP_1) | instskip(NEXT) | instid1(VALU_DEP_1)
	v_dual_cndmask_b32 v33, v33, v37, s7 :: v_dual_cndmask_b32 v6, v38, v35, s5
	v_alignbit_b32 v34, v32, v33, v36
	s_delay_alu instid0(VALU_DEP_1) | instskip(NEXT) | instid1(VALU_DEP_3)
	v_dual_cndmask_b32 v30, v31, v30, s6 :: v_dual_cndmask_b32 v31, v34, v32, s5
	v_bfe_u32 v32, v6, 29, 1
	s_delay_alu instid0(VALU_DEP_2) | instskip(NEXT) | instid1(VALU_DEP_3)
	v_cndmask_b32_e64 v30, v37, v30, s7
	v_alignbit_b32 v34, v6, v31, 30
	s_delay_alu instid0(VALU_DEP_3) | instskip(NEXT) | instid1(VALU_DEP_3)
	v_sub_nc_u32_e32 v35, 0, v32
	v_alignbit_b32 v36, v33, v30, v36
	s_delay_alu instid0(VALU_DEP_1) | instskip(NEXT) | instid1(VALU_DEP_1)
	v_dual_cndmask_b32 v33, v36, v33, s5 :: v_dual_bitop2_b32 v34, v34, v35 bitop3:0x14
	v_clz_i32_u32_e32 v36, v34
	s_delay_alu instid0(VALU_DEP_2) | instskip(SKIP_1) | instid1(VALU_DEP_3)
	v_alignbit_b32 v31, v31, v33, 30
	v_alignbit_b32 v30, v33, v30, 30
	v_min_u32_e32 v36, 32, v36
	s_delay_alu instid0(VALU_DEP_3) | instskip(NEXT) | instid1(VALU_DEP_3)
	v_xor_b32_e32 v31, v31, v35
	v_dual_lshrrev_b32 v35, 29, v6 :: v_dual_bitop2_b32 v30, v30, v35 bitop3:0x14
	s_delay_alu instid0(VALU_DEP_3) | instskip(NEXT) | instid1(VALU_DEP_1)
	v_dual_sub_nc_u32 v33, 31, v36 :: v_dual_lshlrev_b32 v37, 23, v36
	v_alignbit_b32 v34, v34, v31, v33
	s_delay_alu instid0(VALU_DEP_3) | instskip(NEXT) | instid1(VALU_DEP_4)
	v_alignbit_b32 v30, v31, v30, v33
	v_lshlrev_b32_e32 v31, 31, v35
	s_delay_alu instid0(VALU_DEP_2) | instskip(NEXT) | instid1(VALU_DEP_2)
	v_alignbit_b32 v33, v34, v30, 9
	v_dual_lshrrev_b32 v34, 9, v34 :: v_dual_bitop2_b32 v35, 0.5, v31 bitop3:0x54
	v_or_b32_e32 v31, 0x33000000, v31
	s_delay_alu instid0(VALU_DEP_3) | instskip(NEXT) | instid1(VALU_DEP_3)
	v_clz_i32_u32_e32 v38, v33
	v_sub_nc_u32_e32 v35, v35, v37
	s_delay_alu instid0(VALU_DEP_2) | instskip(NEXT) | instid1(VALU_DEP_1)
	v_min_u32_e32 v37, 32, v38
	v_add_lshl_u32 v36, v37, v36, 23
	s_delay_alu instid0(VALU_DEP_3) | instskip(SKIP_1) | instid1(VALU_DEP_2)
	v_or_b32_e32 v34, v34, v35
	v_not_b32_e32 v35, v37
	v_dual_mul_f32 v38, 0x3fc90fda, v34 :: v_dual_sub_nc_u32 v31, v31, v36
	s_delay_alu instid0(VALU_DEP_2) | instskip(NEXT) | instid1(VALU_DEP_2)
	v_alignbit_b32 v30, v33, v30, v35
	v_fma_f32 v33, 0x3fc90fda, v34, -v38
	s_delay_alu instid0(VALU_DEP_2) | instskip(NEXT) | instid1(VALU_DEP_2)
	v_lshrrev_b32_e32 v30, 9, v30
	v_fmac_f32_e32 v33, 0x33a22168, v34
	s_delay_alu instid0(VALU_DEP_2) | instskip(NEXT) | instid1(VALU_DEP_1)
	v_or_b32_e32 v30, v31, v30
	v_fmac_f32_e32 v33, 0x3fc90fda, v30
	s_delay_alu instid0(VALU_DEP_1) | instskip(NEXT) | instid1(VALU_DEP_1)
	v_dual_lshrrev_b32 v6, 30, v6 :: v_dual_add_f32 v30, v38, v33
	v_add_nc_u32_e32 v32, v32, v6
.LBB101_18:                             ;   in Loop: Header=BB101_4 Depth=1
	s_and_not1_saveexec_b32 s5, s27
; %bb.19:                               ;   in Loop: Header=BB101_4 Depth=1
	v_mul_f32_e64 v6, 0x3f22f983, |v24|
	s_delay_alu instid0(VALU_DEP_1) | instskip(NEXT) | instid1(VALU_DEP_1)
	v_rndne_f32_e32 v6, v6
	v_fma_f32 v30, 0xbfc90fda, v6, |v24|
	v_cvt_i32_f32_e32 v32, v6
	s_delay_alu instid0(VALU_DEP_2) | instskip(NEXT) | instid1(VALU_DEP_1)
	v_fmac_f32_e32 v30, 0xb3a22168, v6
	v_fmac_f32_e32 v30, 0xa7c234c4, v6
; %bb.20:                               ;   in Loop: Header=BB101_4 Depth=1
	s_or_b32 exec_lo, exec_lo, s5
	v_and_b32_e32 v31, 0x7fffffff, v22
                                        ; implicit-def: $vgpr35
                                        ; implicit-def: $vgpr33
	s_mov_b32 s6, exec_lo
	v_cmpx_ngt_f32_e64 0x48000000, |v22|
	s_xor_b32 s27, exec_lo, s6
	s_cbranch_execz .LBB101_22
; %bb.21:                               ;   in Loop: Header=BB101_4 Depth=1
	v_and_or_b32 v6, v31, s24, 0x800000
	v_dual_lshrrev_b32 v33, 23, v31 :: v_dual_mov_b32 v45, v7
	s_delay_alu instid0(VALU_DEP_2) | instskip(SKIP_1) | instid1(VALU_DEP_3)
	v_mul_u64_e32 v[34:35], s[18:19], v[6:7]
	v_mov_b32_e32 v37, v7
	v_add_nc_u32_e32 v33, 0xffffff88, v33
	s_delay_alu instid0(VALU_DEP_1) | instskip(NEXT) | instid1(VALU_DEP_4)
	v_cmp_lt_u32_e64 s5, 63, v33
	v_mov_b32_e32 v36, v35
	s_delay_alu instid0(VALU_DEP_2) | instskip(NEXT) | instid1(VALU_DEP_2)
	v_cndmask_b32_e64 v35, 0, 0xffffffc0, s5
	v_mad_nc_u64_u32 v[36:37], 0x3c439041, v6, v[36:37]
	s_delay_alu instid0(VALU_DEP_1) | instskip(NEXT) | instid1(VALU_DEP_1)
	v_dual_mov_b32 v39, v7 :: v_dual_mov_b32 v38, v37
	v_mad_nc_u64_u32 v[38:39], 0xdb629599, v6, v[38:39]
	s_delay_alu instid0(VALU_DEP_1) | instskip(NEXT) | instid1(VALU_DEP_2)
	v_dual_mov_b32 v41, v7 :: v_dual_mov_b32 v40, v39
	v_cndmask_b32_e64 v34, v38, v34, s5
	s_delay_alu instid0(VALU_DEP_2) | instskip(NEXT) | instid1(VALU_DEP_1)
	v_mad_nc_u64_u32 v[40:41], 0xf534ddc0, v6, v[40:41]
	v_dual_mov_b32 v43, v7 :: v_dual_mov_b32 v42, v41
	s_delay_alu instid0(VALU_DEP_1) | instskip(NEXT) | instid1(VALU_DEP_1)
	v_mad_nc_u64_u32 v[42:43], 0xfc2757d1, v6, v[42:43]
	v_dual_mov_b32 v44, v43 :: v_dual_cndmask_b32 v41, v42, v38, s5
	s_delay_alu instid0(VALU_DEP_1) | instskip(SKIP_1) | instid1(VALU_DEP_2)
	v_mad_nc_u64_u32 v[44:45], 0x4e441529, v6, v[44:45]
	v_add_nc_u32_e32 v33, v35, v33
	v_dual_mov_b32 v47, v7 :: v_dual_mov_b32 v46, v45
	s_delay_alu instid0(VALU_DEP_2) | instskip(NEXT) | instid1(VALU_DEP_2)
	v_cmp_lt_u32_e64 s6, 31, v33
	v_mad_nc_u64_u32 v[46:47], 0xa2f9836e, v6, v[46:47]
	s_delay_alu instid0(VALU_DEP_2) | instskip(NEXT) | instid1(VALU_DEP_1)
	v_cndmask_b32_e64 v35, 0, 0xffffffe0, s6
	v_dual_add_nc_u32 v6, v35, v33 :: v_dual_cndmask_b32 v35, v44, v40, s5
	s_delay_alu instid0(VALU_DEP_3) | instskip(NEXT) | instid1(VALU_DEP_2)
	v_cndmask_b32_e64 v37, v46, v42, s5
	v_cmp_lt_u32_e64 s7, 31, v6
	v_cndmask_b32_e64 v39, v47, v44, s5
	s_delay_alu instid0(VALU_DEP_2) | instskip(NEXT) | instid1(VALU_DEP_1)
	v_cndmask_b32_e64 v33, 0, 0xffffffe0, s7
	v_dual_add_nc_u32 v6, v33, v6 :: v_dual_cndmask_b32 v33, v40, v36, s5
	s_delay_alu instid0(VALU_DEP_3) | instskip(NEXT) | instid1(VALU_DEP_2)
	v_dual_cndmask_b32 v36, v37, v35, s6 :: v_dual_cndmask_b32 v37, v39, v37, s6
	v_dual_cndmask_b32 v35, v35, v41, s6 :: v_dual_sub_nc_u32 v39, 32, v6
	s_delay_alu instid0(VALU_DEP_3) | instskip(SKIP_1) | instid1(VALU_DEP_3)
	v_cndmask_b32_e64 v40, v41, v33, s6
	v_cmp_eq_u32_e64 s5, 0, v6
	v_dual_cndmask_b32 v37, v37, v36, s7 :: v_dual_cndmask_b32 v36, v36, v35, s7
	s_delay_alu instid0(VALU_DEP_1) | instskip(NEXT) | instid1(VALU_DEP_1)
	v_alignbit_b32 v41, v37, v36, v39
	v_dual_cndmask_b32 v35, v35, v40, s7 :: v_dual_cndmask_b32 v6, v41, v37, s5
	s_delay_alu instid0(VALU_DEP_1) | instskip(NEXT) | instid1(VALU_DEP_1)
	v_alignbit_b32 v38, v36, v35, v39
	v_dual_cndmask_b32 v33, v33, v34, s6 :: v_dual_cndmask_b32 v34, v38, v36, s5
	s_delay_alu instid0(VALU_DEP_3) | instskip(NEXT) | instid1(VALU_DEP_2)
	v_bfe_u32 v36, v6, 29, 1
	v_cndmask_b32_e64 v33, v40, v33, s7
	s_delay_alu instid0(VALU_DEP_3) | instskip(NEXT) | instid1(VALU_DEP_3)
	v_alignbit_b32 v37, v6, v34, 30
	v_sub_nc_u32_e32 v38, 0, v36
	s_delay_alu instid0(VALU_DEP_3) | instskip(NEXT) | instid1(VALU_DEP_1)
	v_alignbit_b32 v39, v35, v33, v39
	v_dual_cndmask_b32 v35, v39, v35, s5 :: v_dual_bitop2_b32 v37, v37, v38 bitop3:0x14
	s_delay_alu instid0(VALU_DEP_1) | instskip(NEXT) | instid1(VALU_DEP_2)
	v_clz_i32_u32_e32 v39, v37
	v_alignbit_b32 v34, v34, v35, 30
	v_alignbit_b32 v33, v35, v33, 30
	s_delay_alu instid0(VALU_DEP_3) | instskip(NEXT) | instid1(VALU_DEP_3)
	v_min_u32_e32 v39, 32, v39
	v_xor_b32_e32 v34, v34, v38
	s_delay_alu instid0(VALU_DEP_3) | instskip(SKIP_1) | instid1(VALU_DEP_4)
	v_xor_b32_e32 v33, v33, v38
	v_dual_lshrrev_b32 v38, 29, v6 :: v_dual_lshrrev_b32 v6, 30, v6
	v_dual_sub_nc_u32 v35, 31, v39 :: v_dual_lshlrev_b32 v40, 23, v39
	s_delay_alu instid0(VALU_DEP_1) | instskip(NEXT) | instid1(VALU_DEP_4)
	v_alignbit_b32 v37, v37, v34, v35
	v_alignbit_b32 v33, v34, v33, v35
	s_delay_alu instid0(VALU_DEP_4) | instskip(NEXT) | instid1(VALU_DEP_2)
	v_lshlrev_b32_e32 v34, 31, v38
	v_alignbit_b32 v35, v37, v33, 9
	s_delay_alu instid0(VALU_DEP_2) | instskip(SKIP_1) | instid1(VALU_DEP_3)
	v_dual_lshrrev_b32 v37, 9, v37 :: v_dual_bitop2_b32 v38, 0.5, v34 bitop3:0x54
	v_or_b32_e32 v34, 0x33000000, v34
	v_clz_i32_u32_e32 v41, v35
	s_delay_alu instid0(VALU_DEP_3) | instskip(NEXT) | instid1(VALU_DEP_2)
	v_sub_nc_u32_e32 v38, v38, v40
	v_min_u32_e32 v40, 32, v41
	s_delay_alu instid0(VALU_DEP_1) | instskip(NEXT) | instid1(VALU_DEP_3)
	v_add_lshl_u32 v39, v40, v39, 23
	v_or_b32_e32 v37, v37, v38
	v_not_b32_e32 v38, v40
	s_delay_alu instid0(VALU_DEP_2) | instskip(NEXT) | instid1(VALU_DEP_2)
	v_dual_mul_f32 v41, 0x3fc90fda, v37 :: v_dual_sub_nc_u32 v34, v34, v39
	v_alignbit_b32 v33, v35, v33, v38
	s_delay_alu instid0(VALU_DEP_2) | instskip(NEXT) | instid1(VALU_DEP_2)
	v_fma_f32 v35, 0x3fc90fda, v37, -v41
	v_lshrrev_b32_e32 v33, 9, v33
	s_delay_alu instid0(VALU_DEP_2) | instskip(NEXT) | instid1(VALU_DEP_2)
	v_fmac_f32_e32 v35, 0x33a22168, v37
	v_or_b32_e32 v33, v34, v33
	s_delay_alu instid0(VALU_DEP_1) | instskip(NEXT) | instid1(VALU_DEP_1)
	v_fmac_f32_e32 v35, 0x3fc90fda, v33
	v_dual_add_f32 v33, v41, v35 :: v_dual_add_nc_u32 v35, v36, v6
.LBB101_22:                             ;   in Loop: Header=BB101_4 Depth=1
	s_and_not1_saveexec_b32 s5, s27
; %bb.23:                               ;   in Loop: Header=BB101_4 Depth=1
	v_mul_f32_e64 v6, 0x3f22f983, |v22|
	s_delay_alu instid0(VALU_DEP_1) | instskip(NEXT) | instid1(VALU_DEP_1)
	v_rndne_f32_e32 v6, v6
	v_fma_f32 v33, 0xbfc90fda, v6, |v22|
	v_cvt_i32_f32_e32 v35, v6
	s_delay_alu instid0(VALU_DEP_2) | instskip(NEXT) | instid1(VALU_DEP_1)
	v_fmac_f32_e32 v33, 0xb3a22168, v6
	v_fmac_f32_e32 v33, 0xa7c234c4, v6
; %bb.24:                               ;   in Loop: Header=BB101_4 Depth=1
	s_or_b32 exec_lo, exec_lo, s5
	v_and_b32_e32 v34, 0x7fffffff, v23
                                        ; implicit-def: $vgpr36
                                        ; implicit-def: $vgpr6
	s_mov_b32 s6, exec_lo
	v_cmpx_ngt_f32_e64 0x48000000, |v23|
	s_xor_b32 s27, exec_lo, s6
	s_cbranch_execnz .LBB101_30
; %bb.25:                               ;   in Loop: Header=BB101_4 Depth=1
	s_and_not1_saveexec_b32 s5, s27
	s_cbranch_execnz .LBB101_31
.LBB101_26:                             ;   in Loop: Header=BB101_4 Depth=1
	s_or_b32 exec_lo, exec_lo, s5
	s_and_saveexec_b32 s5, s4
	s_delay_alu instid0(SALU_CYCLE_1)
	s_xor_b32 s5, exec_lo, s5
	s_cbranch_execnz .LBB101_32
.LBB101_27:                             ;   in Loop: Header=BB101_4 Depth=1
	s_or_b32 exec_lo, exec_lo, s5
	s_and_saveexec_b32 s4, s3
	s_cbranch_execnz .LBB101_33
.LBB101_28:                             ;   in Loop: Header=BB101_4 Depth=1
	s_or_b32 exec_lo, exec_lo, s4
	s_and_saveexec_b32 s3, s2
	s_cbranch_execnz .LBB101_34
.LBB101_29:                             ;   in Loop: Header=BB101_4 Depth=1
	s_or_b32 exec_lo, exec_lo, s3
	s_and_saveexec_b32 s2, vcc_lo
	s_cbranch_execz .LBB101_3
	s_branch .LBB101_35
.LBB101_30:                             ;   in Loop: Header=BB101_4 Depth=1
	v_and_or_b32 v6, v34, s24, 0x800000
	v_mov_b32_e32 v47, v7
	s_delay_alu instid0(VALU_DEP_2) | instskip(NEXT) | instid1(VALU_DEP_1)
	v_mul_u64_e32 v[36:37], s[18:19], v[6:7]
	v_dual_mov_b32 v39, v7 :: v_dual_mov_b32 v38, v37
	v_lshrrev_b32_e32 v37, 23, v34
	s_delay_alu instid0(VALU_DEP_2) | instskip(SKIP_1) | instid1(VALU_DEP_3)
	v_mad_nc_u64_u32 v[38:39], 0x3c439041, v6, v[38:39]
	v_mov_b32_e32 v41, v7
	v_add_nc_u32_e32 v37, 0xffffff88, v37
	s_delay_alu instid0(VALU_DEP_1) | instskip(NEXT) | instid1(VALU_DEP_4)
	v_cmp_lt_u32_e64 s5, 63, v37
	v_mov_b32_e32 v40, v39
	s_delay_alu instid0(VALU_DEP_2) | instskip(NEXT) | instid1(VALU_DEP_2)
	v_cndmask_b32_e64 v39, 0, 0xffffffc0, s5
	v_mad_nc_u64_u32 v[40:41], 0xdb629599, v6, v[40:41]
	s_delay_alu instid0(VALU_DEP_1) | instskip(NEXT) | instid1(VALU_DEP_2)
	v_dual_mov_b32 v43, v7 :: v_dual_mov_b32 v42, v41
	v_cndmask_b32_e64 v36, v40, v36, s5
	s_delay_alu instid0(VALU_DEP_2) | instskip(NEXT) | instid1(VALU_DEP_1)
	v_mad_nc_u64_u32 v[42:43], 0xf534ddc0, v6, v[42:43]
	v_dual_mov_b32 v45, v7 :: v_dual_mov_b32 v44, v43
	s_delay_alu instid0(VALU_DEP_1) | instskip(NEXT) | instid1(VALU_DEP_1)
	v_mad_nc_u64_u32 v[44:45], 0xfc2757d1, v6, v[44:45]
	v_mov_b32_e32 v46, v45
	s_delay_alu instid0(VALU_DEP_1) | instskip(SKIP_2) | instid1(VALU_DEP_2)
	v_mad_nc_u64_u32 v[46:47], 0x4e441529, v6, v[46:47]
	v_add_nc_u32_e32 v37, v39, v37
	v_mov_b32_e32 v49, v7
	v_cmp_lt_u32_e64 s6, 31, v37
	s_delay_alu instid0(VALU_DEP_4) | instskip(NEXT) | instid1(VALU_DEP_2)
	v_mov_b32_e32 v48, v47
	v_cndmask_b32_e64 v39, 0, 0xffffffe0, s6
	s_delay_alu instid0(VALU_DEP_2) | instskip(NEXT) | instid1(VALU_DEP_2)
	v_mad_nc_u64_u32 v[48:49], 0xa2f9836e, v6, v[48:49]
	v_dual_add_nc_u32 v6, v39, v37 :: v_dual_cndmask_b32 v39, v46, v42, s5
	s_delay_alu instid0(VALU_DEP_2) | instskip(NEXT) | instid1(VALU_DEP_2)
	v_cndmask_b32_e64 v41, v48, v44, s5
	v_cmp_lt_u32_e64 s7, 31, v6
	s_delay_alu instid0(VALU_DEP_4) | instskip(NEXT) | instid1(VALU_DEP_2)
	v_dual_cndmask_b32 v43, v49, v46, s5 :: v_dual_cndmask_b32 v44, v44, v40, s5
	v_cndmask_b32_e64 v37, 0, 0xffffffe0, s7
	s_delay_alu instid0(VALU_DEP_1) | instskip(SKIP_1) | instid1(VALU_DEP_4)
	v_add_nc_u32_e32 v6, v37, v6
	v_dual_cndmask_b32 v37, v42, v38, s5 :: v_dual_cndmask_b32 v38, v41, v39, s6
	v_cndmask_b32_e64 v41, v43, v41, s6
	s_delay_alu instid0(VALU_DEP_3) | instskip(NEXT) | instid1(VALU_DEP_3)
	v_dual_cndmask_b32 v39, v39, v44, s6 :: v_dual_sub_nc_u32 v42, 32, v6
	v_cndmask_b32_e64 v43, v44, v37, s6
	v_cmp_eq_u32_e64 s5, 0, v6
	s_delay_alu instid0(VALU_DEP_3) | instskip(NEXT) | instid1(VALU_DEP_1)
	v_dual_cndmask_b32 v41, v41, v38, s7 :: v_dual_cndmask_b32 v38, v38, v39, s7
	v_alignbit_b32 v44, v41, v38, v42
	s_delay_alu instid0(VALU_DEP_1) | instskip(NEXT) | instid1(VALU_DEP_1)
	v_dual_cndmask_b32 v39, v39, v43, s7 :: v_dual_cndmask_b32 v6, v44, v41, s5
	v_alignbit_b32 v40, v38, v39, v42
	s_delay_alu instid0(VALU_DEP_1) | instskip(NEXT) | instid1(VALU_DEP_3)
	v_dual_cndmask_b32 v36, v37, v36, s6 :: v_dual_cndmask_b32 v37, v40, v38, s5
	v_bfe_u32 v38, v6, 29, 1
	s_delay_alu instid0(VALU_DEP_2) | instskip(NEXT) | instid1(VALU_DEP_3)
	v_cndmask_b32_e64 v36, v43, v36, s7
	v_alignbit_b32 v40, v6, v37, 30
	s_delay_alu instid0(VALU_DEP_3) | instskip(NEXT) | instid1(VALU_DEP_3)
	v_sub_nc_u32_e32 v41, 0, v38
	v_alignbit_b32 v42, v39, v36, v42
	s_delay_alu instid0(VALU_DEP_1) | instskip(NEXT) | instid1(VALU_DEP_1)
	v_dual_cndmask_b32 v39, v42, v39, s5 :: v_dual_bitop2_b32 v40, v40, v41 bitop3:0x14
	v_clz_i32_u32_e32 v42, v40
	s_delay_alu instid0(VALU_DEP_2) | instskip(SKIP_1) | instid1(VALU_DEP_3)
	v_alignbit_b32 v37, v37, v39, 30
	v_alignbit_b32 v36, v39, v36, 30
	v_min_u32_e32 v42, 32, v42
	s_delay_alu instid0(VALU_DEP_3) | instskip(NEXT) | instid1(VALU_DEP_3)
	v_xor_b32_e32 v37, v37, v41
	v_dual_lshrrev_b32 v41, 29, v6 :: v_dual_bitop2_b32 v36, v36, v41 bitop3:0x14
	s_delay_alu instid0(VALU_DEP_3) | instskip(NEXT) | instid1(VALU_DEP_1)
	v_dual_sub_nc_u32 v39, 31, v42 :: v_dual_lshlrev_b32 v43, 23, v42
	v_alignbit_b32 v40, v40, v37, v39
	s_delay_alu instid0(VALU_DEP_3) | instskip(NEXT) | instid1(VALU_DEP_4)
	v_alignbit_b32 v36, v37, v36, v39
	v_lshlrev_b32_e32 v37, 31, v41
	s_delay_alu instid0(VALU_DEP_2) | instskip(NEXT) | instid1(VALU_DEP_2)
	v_alignbit_b32 v39, v40, v36, 9
	v_dual_lshrrev_b32 v40, 9, v40 :: v_dual_bitop2_b32 v41, 0.5, v37 bitop3:0x54
	v_or_b32_e32 v37, 0x33000000, v37
	s_delay_alu instid0(VALU_DEP_3) | instskip(NEXT) | instid1(VALU_DEP_3)
	v_clz_i32_u32_e32 v44, v39
	v_sub_nc_u32_e32 v41, v41, v43
	s_delay_alu instid0(VALU_DEP_2) | instskip(NEXT) | instid1(VALU_DEP_1)
	v_min_u32_e32 v43, 32, v44
	v_add_lshl_u32 v42, v43, v42, 23
	s_delay_alu instid0(VALU_DEP_3) | instskip(SKIP_1) | instid1(VALU_DEP_2)
	v_or_b32_e32 v40, v40, v41
	v_not_b32_e32 v41, v43
	v_dual_mul_f32 v44, 0x3fc90fda, v40 :: v_dual_sub_nc_u32 v37, v37, v42
	s_delay_alu instid0(VALU_DEP_2) | instskip(NEXT) | instid1(VALU_DEP_2)
	v_alignbit_b32 v36, v39, v36, v41
	v_fma_f32 v39, 0x3fc90fda, v40, -v44
	s_delay_alu instid0(VALU_DEP_2) | instskip(NEXT) | instid1(VALU_DEP_2)
	v_lshrrev_b32_e32 v36, 9, v36
	v_fmac_f32_e32 v39, 0x33a22168, v40
	s_delay_alu instid0(VALU_DEP_2) | instskip(NEXT) | instid1(VALU_DEP_1)
	v_or_b32_e32 v36, v37, v36
	v_dual_fmac_f32 v39, 0x3fc90fda, v36 :: v_dual_lshrrev_b32 v36, 30, v6
	s_delay_alu instid0(VALU_DEP_1)
	v_dual_add_nc_u32 v36, v38, v36 :: v_dual_add_f32 v6, v44, v39
	s_and_not1_saveexec_b32 s5, s27
	s_cbranch_execz .LBB101_26
.LBB101_31:                             ;   in Loop: Header=BB101_4 Depth=1
	v_mul_f32_e64 v6, 0x3f22f983, |v23|
	s_delay_alu instid0(VALU_DEP_1) | instskip(NEXT) | instid1(VALU_DEP_1)
	v_rndne_f32_e32 v36, v6
	v_fma_f32 v6, 0xbfc90fda, v36, |v23|
	s_delay_alu instid0(VALU_DEP_1) | instskip(NEXT) | instid1(VALU_DEP_1)
	v_fmac_f32_e32 v6, 0xb3a22168, v36
	v_fmac_f32_e32 v6, 0xa7c234c4, v36
	v_cvt_i32_f32_e32 v36, v36
	s_or_b32 exec_lo, exec_lo, s5
	s_and_saveexec_b32 s5, s4
	s_delay_alu instid0(SALU_CYCLE_1)
	s_xor_b32 s5, exec_lo, s5
	s_cbranch_execz .LBB101_27
.LBB101_32:                             ;   in Loop: Header=BB101_4 Depth=1
	v_dual_mul_f32 v37, v27, v27 :: v_dual_bitop2_b32 v28, 1, v28 bitop3:0x40
	s_delay_alu instid0(VALU_DEP_1) | instskip(SKIP_1) | instid1(VALU_DEP_3)
	v_fmaak_f32 v38, s26, v37, 0xbf039337
	v_fmaak_f32 v39, s25, v37, 0x3ec54587
	v_cmp_eq_u32_e64 s4, 0, v28
	s_delay_alu instid0(VALU_DEP_3) | instskip(NEXT) | instid1(VALU_DEP_1)
	v_fmaak_f32 v38, v37, v38, 0x3f93f425
	v_rcp_f32_e32 v38, v38
	v_nop
	s_delay_alu instid0(TRANS32_DEP_1) | instskip(NEXT) | instid1(VALU_DEP_1)
	v_mul_f32_e32 v38, v39, v38
	v_mul_f32_e32 v37, v37, v38
	s_delay_alu instid0(VALU_DEP_1) | instskip(NEXT) | instid1(VALU_DEP_1)
	v_fma_f32 v38, v37, v27, v27
	v_rcp_f32_e32 v39, v38
	v_sub_f32_e32 v40, v38, v27
	s_delay_alu instid0(VALU_DEP_1) | instskip(NEXT) | instid1(TRANS32_DEP_1)
	v_fma_f32 v27, v37, v27, -v40
	v_fma_f32 v37, v38, -v39, 1.0
	s_delay_alu instid0(VALU_DEP_1) | instskip(NEXT) | instid1(VALU_DEP_1)
	v_fma_f32 v27, v27, -v39, v37
	v_fma_f32 v27, v27, -v39, -v39
	s_delay_alu instid0(VALU_DEP_1) | instskip(SKIP_1) | instid1(VALU_DEP_2)
	v_cndmask_b32_e64 v27, v27, v38, s4
	v_cmp_class_f32_e64 s4, v25, 0x1f8
	v_xor3_b32 v26, v26, v25, v27
	s_delay_alu instid0(VALU_DEP_1) | instskip(NEXT) | instid1(VALU_DEP_1)
	v_cndmask_b32_e64 v25, 0x7fc00000, v26, s4
	v_cvt_f16_f32_e32 v25, v25
	global_store_b16 v[10:11], v25, off
	s_wait_xcnt 0x0
	s_or_b32 exec_lo, exec_lo, s5
	s_and_saveexec_b32 s4, s3
	s_cbranch_execz .LBB101_28
.LBB101_33:                             ;   in Loop: Header=BB101_4 Depth=1
	v_mul_f32_e32 v25, v30, v30
	s_delay_alu instid0(VALU_DEP_1) | instskip(SKIP_1) | instid1(VALU_DEP_2)
	v_fmaak_f32 v26, s26, v25, 0xbf039337
	v_fmaak_f32 v27, s25, v25, 0x3ec54587
	;; [unrolled: 1-line block ×3, first 2 shown]
	s_delay_alu instid0(VALU_DEP_1) | instskip(SKIP_1) | instid1(TRANS32_DEP_1)
	v_rcp_f32_e32 v26, v26
	v_nop
	v_mul_f32_e32 v26, v27, v26
	s_delay_alu instid0(VALU_DEP_1) | instskip(NEXT) | instid1(VALU_DEP_1)
	v_mul_f32_e32 v25, v25, v26
	v_fma_f32 v26, v25, v30, v30
	s_delay_alu instid0(VALU_DEP_1) | instskip(NEXT) | instid1(VALU_DEP_1)
	v_sub_f32_e32 v28, v26, v30
	v_fma_f32 v25, v25, v30, -v28
	v_rcp_f32_e32 v27, v26
	v_nop
	s_delay_alu instid0(TRANS32_DEP_1) | instskip(NEXT) | instid1(VALU_DEP_1)
	v_fma_f32 v28, v26, -v27, 1.0
	v_dual_fma_f32 v25, v25, -v27, v28 :: v_dual_bitop2_b32 v28, 1, v32 bitop3:0x40
	s_delay_alu instid0(VALU_DEP_1) | instskip(NEXT) | instid1(VALU_DEP_2)
	v_fma_f32 v25, v25, -v27, -v27
	v_cmp_eq_u32_e64 s3, 0, v28
	s_delay_alu instid0(VALU_DEP_1) | instskip(SKIP_1) | instid1(VALU_DEP_2)
	v_cndmask_b32_e64 v25, v25, v26, s3
	v_cmp_class_f32_e64 s3, v24, 0x1f8
	v_xor3_b32 v25, v29, v24, v25
	s_delay_alu instid0(VALU_DEP_1) | instskip(NEXT) | instid1(VALU_DEP_1)
	v_cndmask_b32_e64 v24, 0x7fc00000, v25, s3
	v_cvt_f16_f32_e32 v24, v24
	global_store_b16 v[16:17], v24, off
	s_wait_xcnt 0x0
	s_or_b32 exec_lo, exec_lo, s4
	s_and_saveexec_b32 s3, s2
	s_cbranch_execz .LBB101_29
.LBB101_34:                             ;   in Loop: Header=BB101_4 Depth=1
	v_mul_f32_e32 v24, v33, v33
	s_delay_alu instid0(VALU_DEP_1) | instskip(SKIP_1) | instid1(VALU_DEP_2)
	v_fmaak_f32 v25, s26, v24, 0xbf039337
	v_fmaak_f32 v26, s25, v24, 0x3ec54587
	v_fmaak_f32 v25, v24, v25, 0x3f93f425
	s_delay_alu instid0(VALU_DEP_1) | instskip(SKIP_1) | instid1(TRANS32_DEP_1)
	v_rcp_f32_e32 v25, v25
	v_nop
	v_mul_f32_e32 v25, v26, v25
	s_delay_alu instid0(VALU_DEP_1) | instskip(NEXT) | instid1(VALU_DEP_1)
	v_mul_f32_e32 v24, v24, v25
	v_fma_f32 v25, v24, v33, v33
	s_delay_alu instid0(VALU_DEP_1) | instskip(NEXT) | instid1(VALU_DEP_1)
	v_sub_f32_e32 v27, v25, v33
	v_fma_f32 v24, v24, v33, -v27
	v_rcp_f32_e32 v26, v25
	v_nop
	s_delay_alu instid0(TRANS32_DEP_1) | instskip(NEXT) | instid1(VALU_DEP_1)
	v_fma_f32 v27, v25, -v26, 1.0
	v_dual_fma_f32 v24, v24, -v26, v27 :: v_dual_bitop2_b32 v27, 1, v35 bitop3:0x40
	s_delay_alu instid0(VALU_DEP_1) | instskip(NEXT) | instid1(VALU_DEP_2)
	v_fma_f32 v24, v24, -v26, -v26
	v_cmp_eq_u32_e64 s2, 0, v27
	s_delay_alu instid0(VALU_DEP_1) | instskip(SKIP_1) | instid1(VALU_DEP_2)
	v_cndmask_b32_e64 v24, v24, v25, s2
	v_cmp_class_f32_e64 s2, v22, 0x1f8
	v_xor3_b32 v24, v31, v22, v24
	s_delay_alu instid0(VALU_DEP_1) | instskip(NEXT) | instid1(VALU_DEP_1)
	v_cndmask_b32_e64 v22, 0x7fc00000, v24, s2
	v_cvt_f16_f32_e32 v22, v22
	global_store_b16 v[20:21], v22, off
	s_wait_xcnt 0x0
	s_or_b32 exec_lo, exec_lo, s3
	s_and_saveexec_b32 s2, vcc_lo
	s_cbranch_execz .LBB101_3
.LBB101_35:                             ;   in Loop: Header=BB101_4 Depth=1
	v_mul_f32_e32 v20, v6, v6
	s_delay_alu instid0(VALU_DEP_1) | instskip(SKIP_1) | instid1(VALU_DEP_2)
	v_fmaak_f32 v21, s26, v20, 0xbf039337
	v_fmaak_f32 v22, s25, v20, 0x3ec54587
	;; [unrolled: 1-line block ×3, first 2 shown]
	s_delay_alu instid0(VALU_DEP_1) | instskip(SKIP_1) | instid1(TRANS32_DEP_1)
	v_rcp_f32_e32 v21, v21
	v_nop
	v_mul_f32_e32 v21, v22, v21
	s_delay_alu instid0(VALU_DEP_1) | instskip(NEXT) | instid1(VALU_DEP_1)
	v_mul_f32_e32 v20, v20, v21
	v_fma_f32 v21, v20, v6, v6
	s_delay_alu instid0(VALU_DEP_1) | instskip(SKIP_1) | instid1(VALU_DEP_1)
	v_rcp_f32_e32 v22, v21
	v_sub_f32_e32 v24, v21, v6
	v_fma_f32 v6, v20, v6, -v24
	s_delay_alu instid0(TRANS32_DEP_1) | instskip(NEXT) | instid1(VALU_DEP_1)
	v_fma_f32 v20, v21, -v22, 1.0
	v_dual_fma_f32 v6, v6, -v22, v20 :: v_dual_bitop2_b32 v20, 1, v36 bitop3:0x40
	s_delay_alu instid0(VALU_DEP_1) | instskip(NEXT) | instid1(VALU_DEP_2)
	v_fma_f32 v6, v6, -v22, -v22
	v_cmp_eq_u32_e32 vcc_lo, 0, v20
	s_delay_alu instid0(VALU_DEP_2) | instskip(SKIP_1) | instid1(VALU_DEP_2)
	v_cndmask_b32_e32 v6, v6, v21, vcc_lo
	v_cmp_class_f32_e64 vcc_lo, v23, 0x1f8
	v_xor3_b32 v6, v34, v23, v6
	s_delay_alu instid0(VALU_DEP_1) | instskip(NEXT) | instid1(VALU_DEP_1)
	v_cndmask_b32_e32 v6, 0x7fc00000, v6, vcc_lo
	v_cvt_f16_f32_e32 v6, v6
	global_store_b16 v[18:19], v6, off
	s_branch .LBB101_3
.LBB101_36:
	s_cbranch_execz .LBB101_38
	s_branch .LBB101_57
.LBB101_37:
.LBB101_38:
	v_min_i64 v[2:3], 0x10000, s[12:13]
	v_dual_mov_b32 v5, 0 :: v_dual_lshlrev_b32 v4, 2, v0
	s_mov_b32 s2, exec_lo
	s_delay_alu instid0(VALU_DEP_1)
	v_cmpx_lt_i64_e64 v[4:5], v[2:3]
	s_cbranch_execz .LBB101_57
; %bb.39:
	s_load_b32 s2, s[0:1], 0xd3c
	v_dual_mov_b32 v1, v5 :: v_dual_lshlrev_b32 v4, 3, v0
	s_wait_xcnt 0x0
	s_add_nc_u64 s[0:1], s[8:9], s[10:11]
	s_mov_b32 s3, 0
	s_mov_b32 s8, 0x7fffff
	v_add_nc_u64_e32 v[6:7], s[0:1], v[4:5]
	s_mov_b64 s[4:5], 0xfe5163ab
	s_mov_b32 s9, 0xbc8cedd3
	s_mov_b32 s10, 0x3c971480
	;; [unrolled: 1-line block ×4, first 2 shown]
	s_delay_alu instid0(VALU_DEP_1) | instskip(SKIP_2) | instid1(SALU_CYCLE_1)
	v_add_nc_u64_e32 v[6:7], 4, v[6:7]
	s_wait_kmcnt 0x0
	s_and_b32 s2, s2, 0xffff
	s_lshl_b32 s6, s2, 3
	s_branch .LBB101_41
.LBB101_40:                             ;   in Loop: Header=BB101_41 Depth=1
	s_or_b32 exec_lo, exec_lo, s0
	v_dual_mul_f32 v23, v19, v19 :: v_dual_mul_f32 v25, v12, v12
	v_dual_mul_f32 v24, v15, v15 :: v_dual_mul_f32 v26, v4, v4
	v_add_nc_u64_e32 v[0:1], s[2:3], v[0:1]
	s_delay_alu instid0(VALU_DEP_3) | instskip(NEXT) | instid1(VALU_DEP_3)
	v_fmaak_f32 v27, s10, v23, 0xbf039337
	v_dual_fmaak_f32 v29, s10, v25, 0xbf039337 :: v_dual_fmaak_f32 v28, s10, v24, 0xbf039337
	s_delay_alu instid0(VALU_DEP_4) | instskip(SKIP_1) | instid1(VALU_DEP_3)
	v_fmaak_f32 v30, s10, v26, 0xbf039337
	v_dual_fmaak_f32 v31, s9, v23, 0x3ec54587 :: v_dual_fmaak_f32 v32, s9, v24, 0x3ec54587
	v_dual_fmaak_f32 v27, v23, v27, 0x3f93f425 :: v_dual_fmaak_f32 v28, v24, v28, 0x3f93f425
	s_delay_alu instid0(VALU_DEP_3) | instskip(SKIP_1) | instid1(VALU_DEP_3)
	v_dual_fmaak_f32 v29, v25, v29, 0x3f93f425 :: v_dual_fmaak_f32 v30, v26, v30, 0x3f93f425
	v_dual_fmaak_f32 v33, s9, v25, 0x3ec54587 :: v_dual_fmaak_f32 v34, s9, v26, 0x3ec54587
	v_rcp_f32_e32 v27, v27
	s_delay_alu instid0(VALU_DEP_3) | instskip(NEXT) | instid1(VALU_DEP_2)
	v_rcp_f32_e32 v28, v28
	v_rcp_f32_e32 v30, v30
	v_rcp_f32_e32 v29, v29
	v_and_b32_e32 v21, 1, v21
	v_and_b32_e32 v13, 1, v13
	v_dual_mul_f32 v27, v31, v27 :: v_dual_bitop2_b32 v22, 1, v22 bitop3:0x40
	s_delay_alu instid0(TRANS32_DEP_2) | instskip(NEXT) | instid1(TRANS32_DEP_1)
	v_dual_mul_f32 v28, v32, v28 :: v_dual_mul_f32 v30, v34, v30
	v_dual_mul_f32 v29, v33, v29 :: v_dual_bitop2_b32 v18, 1, v18 bitop3:0x40
	s_delay_alu instid0(VALU_DEP_2) | instskip(NEXT) | instid1(VALU_DEP_2)
	v_dual_mul_f32 v23, v23, v27 :: v_dual_mul_f32 v24, v24, v28
	v_dual_mul_f32 v26, v26, v30 :: v_dual_mul_f32 v25, v25, v29
	v_cmp_eq_u32_e32 vcc_lo, 0, v21
	s_delay_alu instid0(VALU_DEP_3) | instskip(NEXT) | instid1(VALU_DEP_3)
	v_fma_f32 v27, v23, v19, v19
	v_dual_fma_f32 v28, v24, v15, v15 :: v_dual_fma_f32 v30, v26, v4, v4
	s_delay_alu instid0(VALU_DEP_4) | instskip(NEXT) | instid1(VALU_DEP_3)
	v_fma_f32 v29, v25, v12, v12
	v_rcp_f32_e32 v32, v27
	v_sub_f32_e32 v31, v27, v19
	s_delay_alu instid0(VALU_DEP_3) | instskip(NEXT) | instid1(VALU_DEP_2)
	v_rcp_f32_e32 v34, v28
	v_dual_sub_f32 v33, v28, v15 :: v_dual_sub_f32 v35, v29, v12
	s_delay_alu instid0(VALU_DEP_2) | instskip(NEXT) | instid1(TRANS32_DEP_2)
	v_dual_sub_f32 v37, v30, v4 :: v_dual_fma_f32 v19, v23, v19, -v31
	v_fma_f32 v23, v27, -v32, 1.0
	v_rcp_f32_e32 v36, v29
	v_rcp_f32_e32 v38, v30
	v_dual_fma_f32 v15, v24, v15, -v33 :: v_dual_fma_f32 v12, v25, v12, -v35
	v_fma_f32 v24, v28, -v34, 1.0
	v_fma_f32 v19, v19, -v32, v23
	v_fma_f32 v4, v26, v4, -v37
	s_delay_alu instid0(TRANS32_DEP_2) | instskip(NEXT) | instid1(TRANS32_DEP_1)
	v_fma_f32 v23, v29, -v36, 1.0
	v_fma_f32 v25, v30, -v38, 1.0
	v_fma_f32 v15, v15, -v34, v24
	v_fma_f32 v19, v19, -v32, -v32
	s_delay_alu instid0(VALU_DEP_4) | instskip(NEXT) | instid1(VALU_DEP_4)
	v_fma_f32 v12, v12, -v36, v23
	v_fma_f32 v4, v4, -v38, v25
	s_delay_alu instid0(VALU_DEP_4) | instskip(NEXT) | instid1(VALU_DEP_4)
	v_fma_f32 v15, v15, -v34, -v34
	v_cndmask_b32_e32 v19, v19, v27, vcc_lo
	v_cmp_eq_u32_e32 vcc_lo, 0, v18
	v_fma_f32 v12, v12, -v36, -v36
	v_fma_f32 v4, v4, -v38, -v38
	s_delay_alu instid0(VALU_DEP_4) | instskip(SKIP_2) | instid1(VALU_DEP_2)
	v_xor3_b32 v17, v17, v16, v19
	v_cndmask_b32_e32 v15, v15, v28, vcc_lo
	v_cmp_eq_u32_e32 vcc_lo, 0, v13
	v_xor3_b32 v14, v14, v8, v15
	v_cndmask_b32_e32 v12, v12, v29, vcc_lo
	v_cmp_eq_u32_e32 vcc_lo, 0, v22
	s_delay_alu instid0(VALU_DEP_2) | instskip(SKIP_2) | instid1(VALU_DEP_2)
	v_xor3_b32 v11, v11, v10, v12
	v_cndmask_b32_e32 v4, v4, v30, vcc_lo
	v_cmp_class_f32_e64 vcc_lo, v16, 0x1f8
	v_xor3_b32 v4, v20, v9, v4
	v_cndmask_b32_e32 v13, 0x7fc00000, v17, vcc_lo
	v_cmp_class_f32_e64 vcc_lo, v8, 0x1f8
	v_cndmask_b32_e32 v12, 0x7fc00000, v14, vcc_lo
	v_cmp_class_f32_e64 vcc_lo, v9, 0x1f8
	v_lshlrev_b64_e32 v[8:9], 2, v[0:1]
	v_cndmask_b32_e32 v4, 0x7fc00000, v4, vcc_lo
	v_cmp_class_f32_e64 vcc_lo, v10, 0x1f8
	v_cndmask_b32_e32 v10, 0x7fc00000, v11, vcc_lo
	s_delay_alu instid0(VALU_DEP_3) | instskip(SKIP_1) | instid1(VALU_DEP_3)
	v_cvt_pk_f16_f32 v11, v13, v4
	v_cmp_ge_i64_e32 vcc_lo, v[8:9], v[2:3]
	v_cvt_pk_f16_f32 v10, v10, v12
	s_or_b32 s11, vcc_lo, s11
	global_store_b64 v[6:7], v[10:11], off offset:-4
	s_wait_xcnt 0x0
	v_add_nc_u64_e32 v[6:7], s[6:7], v[6:7]
	s_and_not1_b32 exec_lo, exec_lo, s11
	s_cbranch_execz .LBB101_57
.LBB101_41:                             ; =>This Inner Loop Header: Depth=1
	global_load_b64 v[8:9], v[6:7], off offset:-4
                                        ; implicit-def: $vgpr13
                                        ; implicit-def: $vgpr12
	s_mov_b32 s1, exec_lo
	s_wait_loadcnt 0x0
	v_cvt_f32_f16_e32 v10, v8
	s_delay_alu instid0(VALU_DEP_1)
	v_and_b32_e32 v11, 0x7fffffff, v10
	s_wait_xcnt 0x0
	v_cmpx_ngt_f32_e64 0x48000000, |v10|
	s_xor_b32 s12, exec_lo, s1
	s_cbranch_execz .LBB101_43
; %bb.42:                               ;   in Loop: Header=BB101_41 Depth=1
	v_and_or_b32 v4, v11, s8, 0x800000
	v_dual_mov_b32 v23, v5 :: v_dual_mov_b32 v25, v5
	s_delay_alu instid0(VALU_DEP_2) | instskip(NEXT) | instid1(VALU_DEP_1)
	v_mul_u64_e32 v[12:13], s[4:5], v[4:5]
	v_dual_mov_b32 v15, v5 :: v_dual_mov_b32 v14, v13
	v_lshrrev_b32_e32 v13, 23, v11
	s_delay_alu instid0(VALU_DEP_2) | instskip(SKIP_1) | instid1(VALU_DEP_3)
	v_mad_nc_u64_u32 v[14:15], 0x3c439041, v4, v[14:15]
	v_mov_b32_e32 v17, v5
	v_add_nc_u32_e32 v13, 0xffffff88, v13
	s_delay_alu instid0(VALU_DEP_1) | instskip(NEXT) | instid1(VALU_DEP_4)
	v_cmp_lt_u32_e32 vcc_lo, 63, v13
	v_mov_b32_e32 v16, v15
	v_cndmask_b32_e64 v15, 0, 0xffffffc0, vcc_lo
	s_delay_alu instid0(VALU_DEP_2) | instskip(NEXT) | instid1(VALU_DEP_2)
	v_mad_nc_u64_u32 v[16:17], 0xdb629599, v4, v[16:17]
	v_dual_mov_b32 v19, v5 :: v_dual_add_nc_u32 v13, v15, v13
	s_delay_alu instid0(VALU_DEP_1) | instskip(NEXT) | instid1(VALU_DEP_3)
	v_cmp_lt_u32_e64 s0, 31, v13
	v_mov_b32_e32 v18, v17
	s_delay_alu instid0(VALU_DEP_2) | instskip(SKIP_1) | instid1(VALU_DEP_3)
	v_cndmask_b32_e64 v15, 0, 0xffffffe0, s0
	v_cndmask_b32_e32 v12, v16, v12, vcc_lo
	v_mad_nc_u64_u32 v[18:19], 0xf534ddc0, v4, v[18:19]
	s_delay_alu instid0(VALU_DEP_1) | instskip(NEXT) | instid1(VALU_DEP_1)
	v_dual_mov_b32 v21, v5 :: v_dual_mov_b32 v20, v19
	v_mad_nc_u64_u32 v[20:21], 0xfc2757d1, v4, v[20:21]
	s_delay_alu instid0(VALU_DEP_1) | instskip(NEXT) | instid1(VALU_DEP_1)
	v_mov_b32_e32 v22, v21
	v_mad_nc_u64_u32 v[22:23], 0x4e441529, v4, v[22:23]
	s_delay_alu instid0(VALU_DEP_1) | instskip(NEXT) | instid1(VALU_DEP_1)
	v_mov_b32_e32 v24, v23
	v_mad_nc_u64_u32 v[24:25], 0xa2f9836e, v4, v[24:25]
	s_delay_alu instid0(VALU_DEP_3) | instskip(NEXT) | instid1(VALU_DEP_2)
	v_dual_cndmask_b32 v15, v22, v18 :: v_dual_add_nc_u32 v4, v15, v13
	v_cndmask_b32_e32 v17, v24, v20, vcc_lo
	s_delay_alu instid0(VALU_DEP_2) | instskip(NEXT) | instid1(VALU_DEP_4)
	v_cmp_lt_u32_e64 s1, 31, v4
	v_dual_cndmask_b32 v19, v25, v22 :: v_dual_cndmask_b32 v20, v20, v16
	s_delay_alu instid0(VALU_DEP_2) | instskip(NEXT) | instid1(VALU_DEP_1)
	v_cndmask_b32_e64 v13, 0, 0xffffffe0, s1
	v_dual_cndmask_b32 v13, v18, v14 :: v_dual_add_nc_u32 v4, v13, v4
	s_delay_alu instid0(VALU_DEP_3) | instskip(NEXT) | instid1(VALU_DEP_4)
	v_dual_cndmask_b32 v14, v17, v15, s0 :: v_dual_cndmask_b32 v17, v19, v17, s0
	v_cndmask_b32_e64 v15, v15, v20, s0
	s_delay_alu instid0(VALU_DEP_3) | instskip(SKIP_1) | instid1(VALU_DEP_3)
	v_dual_sub_nc_u32 v18, 32, v4 :: v_dual_cndmask_b32 v19, v20, v13, s0
	v_cmp_eq_u32_e32 vcc_lo, 0, v4
	v_dual_cndmask_b32 v17, v17, v14, s1 :: v_dual_cndmask_b32 v14, v14, v15, s1
	s_delay_alu instid0(VALU_DEP_1) | instskip(NEXT) | instid1(VALU_DEP_1)
	v_alignbit_b32 v20, v17, v14, v18
	v_dual_cndmask_b32 v15, v15, v19, s1 :: v_dual_cndmask_b32 v4, v20, v17, vcc_lo
	s_delay_alu instid0(VALU_DEP_1) | instskip(NEXT) | instid1(VALU_DEP_1)
	v_alignbit_b32 v16, v14, v15, v18
	v_dual_cndmask_b32 v12, v13, v12, s0 :: v_dual_cndmask_b32 v13, v16, v14, vcc_lo
	s_delay_alu instid0(VALU_DEP_3) | instskip(NEXT) | instid1(VALU_DEP_2)
	v_bfe_u32 v14, v4, 29, 1
	v_cndmask_b32_e64 v12, v19, v12, s1
	s_delay_alu instid0(VALU_DEP_3) | instskip(NEXT) | instid1(VALU_DEP_3)
	v_alignbit_b32 v16, v4, v13, 30
	v_sub_nc_u32_e32 v17, 0, v14
	s_delay_alu instid0(VALU_DEP_3) | instskip(NEXT) | instid1(VALU_DEP_1)
	v_alignbit_b32 v18, v15, v12, v18
	v_dual_cndmask_b32 v15, v18, v15, vcc_lo :: v_dual_bitop2_b32 v16, v16, v17 bitop3:0x14
	s_delay_alu instid0(VALU_DEP_1) | instskip(NEXT) | instid1(VALU_DEP_2)
	v_clz_i32_u32_e32 v18, v16
	v_alignbit_b32 v13, v13, v15, 30
	v_alignbit_b32 v12, v15, v12, 30
	s_delay_alu instid0(VALU_DEP_3) | instskip(NEXT) | instid1(VALU_DEP_3)
	v_min_u32_e32 v18, 32, v18
	v_xor_b32_e32 v13, v13, v17
	s_delay_alu instid0(VALU_DEP_3) | instskip(NEXT) | instid1(VALU_DEP_3)
	v_dual_lshrrev_b32 v17, 29, v4 :: v_dual_bitop2_b32 v12, v12, v17 bitop3:0x14
	v_dual_sub_nc_u32 v15, 31, v18 :: v_dual_lshlrev_b32 v19, 23, v18
	s_delay_alu instid0(VALU_DEP_1) | instskip(NEXT) | instid1(VALU_DEP_3)
	v_alignbit_b32 v16, v16, v13, v15
	v_alignbit_b32 v12, v13, v12, v15
	s_delay_alu instid0(VALU_DEP_4) | instskip(NEXT) | instid1(VALU_DEP_2)
	v_lshlrev_b32_e32 v13, 31, v17
	v_alignbit_b32 v15, v16, v12, 9
	s_delay_alu instid0(VALU_DEP_2) | instskip(SKIP_1) | instid1(VALU_DEP_3)
	v_dual_lshrrev_b32 v16, 9, v16 :: v_dual_bitop2_b32 v17, 0.5, v13 bitop3:0x54
	v_or_b32_e32 v13, 0x33000000, v13
	v_clz_i32_u32_e32 v20, v15
	s_delay_alu instid0(VALU_DEP_3) | instskip(NEXT) | instid1(VALU_DEP_2)
	v_sub_nc_u32_e32 v17, v17, v19
	v_min_u32_e32 v19, 32, v20
	s_delay_alu instid0(VALU_DEP_1) | instskip(NEXT) | instid1(VALU_DEP_3)
	v_add_lshl_u32 v18, v19, v18, 23
	v_or_b32_e32 v16, v16, v17
	v_not_b32_e32 v17, v19
	s_delay_alu instid0(VALU_DEP_2) | instskip(NEXT) | instid1(VALU_DEP_2)
	v_dual_mul_f32 v20, 0x3fc90fda, v16 :: v_dual_sub_nc_u32 v13, v13, v18
	v_alignbit_b32 v12, v15, v12, v17
	s_delay_alu instid0(VALU_DEP_2) | instskip(NEXT) | instid1(VALU_DEP_2)
	v_fma_f32 v15, 0x3fc90fda, v16, -v20
	v_lshrrev_b32_e32 v12, 9, v12
	s_delay_alu instid0(VALU_DEP_2) | instskip(NEXT) | instid1(VALU_DEP_2)
	v_fmac_f32_e32 v15, 0x33a22168, v16
	v_or_b32_e32 v12, v13, v12
	s_delay_alu instid0(VALU_DEP_1) | instskip(NEXT) | instid1(VALU_DEP_1)
	v_fmac_f32_e32 v15, 0x3fc90fda, v12
	v_dual_lshrrev_b32 v4, 30, v4 :: v_dual_add_f32 v12, v20, v15
	s_delay_alu instid0(VALU_DEP_1)
	v_add_nc_u32_e32 v13, v14, v4
.LBB101_43:                             ;   in Loop: Header=BB101_41 Depth=1
	s_and_not1_saveexec_b32 s0, s12
; %bb.44:                               ;   in Loop: Header=BB101_41 Depth=1
	v_mul_f32_e64 v4, 0x3f22f983, |v10|
	s_delay_alu instid0(VALU_DEP_1) | instskip(NEXT) | instid1(VALU_DEP_1)
	v_rndne_f32_e32 v4, v4
	v_fma_f32 v12, 0xbfc90fda, v4, |v10|
	v_cvt_i32_f32_e32 v13, v4
	s_delay_alu instid0(VALU_DEP_2) | instskip(NEXT) | instid1(VALU_DEP_1)
	v_fmac_f32_e32 v12, 0xb3a22168, v4
	v_fmac_f32_e32 v12, 0xa7c234c4, v4
; %bb.45:                               ;   in Loop: Header=BB101_41 Depth=1
	s_or_b32 exec_lo, exec_lo, s0
	v_lshrrev_b32_e32 v4, 16, v8
                                        ; implicit-def: $vgpr18
                                        ; implicit-def: $vgpr15
	s_mov_b32 s1, exec_lo
	s_delay_alu instid0(VALU_DEP_1) | instskip(NEXT) | instid1(VALU_DEP_1)
	v_cvt_f32_f16_e32 v8, v4
	v_and_b32_e32 v14, 0x7fffffff, v8
	v_cmpx_ngt_f32_e64 0x48000000, |v8|
	s_xor_b32 s12, exec_lo, s1
	s_cbranch_execz .LBB101_47
; %bb.46:                               ;   in Loop: Header=BB101_41 Depth=1
	s_delay_alu instid0(VALU_DEP_2) | instskip(SKIP_1) | instid1(VALU_DEP_2)
	v_and_or_b32 v4, v14, s8, 0x800000
	v_dual_lshrrev_b32 v15, 23, v14 :: v_dual_mov_b32 v27, v5
	v_mul_u64_e32 v[16:17], s[4:5], v[4:5]
	v_mov_b32_e32 v19, v5
	s_delay_alu instid0(VALU_DEP_3) | instskip(NEXT) | instid1(VALU_DEP_1)
	v_add_nc_u32_e32 v15, 0xffffff88, v15
	v_cmp_lt_u32_e32 vcc_lo, 63, v15
	s_delay_alu instid0(VALU_DEP_4) | instskip(SKIP_1) | instid1(VALU_DEP_2)
	v_mov_b32_e32 v18, v17
	v_cndmask_b32_e64 v17, 0, 0xffffffc0, vcc_lo
	v_mad_nc_u64_u32 v[18:19], 0x3c439041, v4, v[18:19]
	s_delay_alu instid0(VALU_DEP_1) | instskip(NEXT) | instid1(VALU_DEP_1)
	v_dual_mov_b32 v21, v5 :: v_dual_mov_b32 v20, v19
	v_mad_nc_u64_u32 v[20:21], 0xdb629599, v4, v[20:21]
	s_delay_alu instid0(VALU_DEP_1) | instskip(NEXT) | instid1(VALU_DEP_2)
	v_dual_mov_b32 v23, v5 :: v_dual_mov_b32 v22, v21
	v_cndmask_b32_e32 v16, v20, v16, vcc_lo
	s_delay_alu instid0(VALU_DEP_2) | instskip(NEXT) | instid1(VALU_DEP_1)
	v_mad_nc_u64_u32 v[22:23], 0xf534ddc0, v4, v[22:23]
	v_dual_mov_b32 v25, v5 :: v_dual_mov_b32 v24, v23
	s_delay_alu instid0(VALU_DEP_1) | instskip(NEXT) | instid1(VALU_DEP_1)
	v_mad_nc_u64_u32 v[24:25], 0xfc2757d1, v4, v[24:25]
	v_dual_mov_b32 v26, v25 :: v_dual_cndmask_b32 v23, v24, v20
	s_delay_alu instid0(VALU_DEP_1) | instskip(SKIP_1) | instid1(VALU_DEP_2)
	v_mad_nc_u64_u32 v[26:27], 0x4e441529, v4, v[26:27]
	v_add_nc_u32_e32 v15, v17, v15
	v_dual_mov_b32 v29, v5 :: v_dual_mov_b32 v28, v27
	s_delay_alu instid0(VALU_DEP_2) | instskip(NEXT) | instid1(VALU_DEP_2)
	v_cmp_lt_u32_e64 s0, 31, v15
	v_mad_nc_u64_u32 v[28:29], 0xa2f9836e, v4, v[28:29]
	s_delay_alu instid0(VALU_DEP_2) | instskip(NEXT) | instid1(VALU_DEP_1)
	v_cndmask_b32_e64 v17, 0, 0xffffffe0, s0
	v_dual_cndmask_b32 v17, v26, v22 :: v_dual_add_nc_u32 v4, v17, v15
	s_delay_alu instid0(VALU_DEP_3) | instskip(NEXT) | instid1(VALU_DEP_2)
	v_cndmask_b32_e32 v19, v28, v24, vcc_lo
	v_cmp_lt_u32_e64 s1, 31, v4
	v_cndmask_b32_e32 v21, v29, v26, vcc_lo
	s_delay_alu instid0(VALU_DEP_2) | instskip(NEXT) | instid1(VALU_DEP_1)
	v_cndmask_b32_e64 v15, 0, 0xffffffe0, s1
	v_dual_cndmask_b32 v15, v22, v18 :: v_dual_add_nc_u32 v4, v15, v4
	s_delay_alu instid0(VALU_DEP_3) | instskip(NEXT) | instid1(VALU_DEP_2)
	v_dual_cndmask_b32 v18, v19, v17, s0 :: v_dual_cndmask_b32 v19, v21, v19, s0
	v_dual_cndmask_b32 v17, v17, v23, s0 :: v_dual_sub_nc_u32 v21, 32, v4
	s_delay_alu instid0(VALU_DEP_3) | instskip(SKIP_1) | instid1(VALU_DEP_3)
	v_cndmask_b32_e64 v22, v23, v15, s0
	v_cmp_eq_u32_e32 vcc_lo, 0, v4
	v_dual_cndmask_b32 v19, v19, v18, s1 :: v_dual_cndmask_b32 v18, v18, v17, s1
	s_delay_alu instid0(VALU_DEP_1) | instskip(NEXT) | instid1(VALU_DEP_1)
	v_alignbit_b32 v23, v19, v18, v21
	v_dual_cndmask_b32 v17, v17, v22, s1 :: v_dual_cndmask_b32 v4, v23, v19, vcc_lo
	s_delay_alu instid0(VALU_DEP_1) | instskip(NEXT) | instid1(VALU_DEP_1)
	v_alignbit_b32 v20, v18, v17, v21
	v_dual_cndmask_b32 v15, v15, v16, s0 :: v_dual_cndmask_b32 v16, v20, v18, vcc_lo
	s_delay_alu instid0(VALU_DEP_3) | instskip(NEXT) | instid1(VALU_DEP_2)
	v_bfe_u32 v18, v4, 29, 1
	v_cndmask_b32_e64 v15, v22, v15, s1
	s_delay_alu instid0(VALU_DEP_3) | instskip(NEXT) | instid1(VALU_DEP_3)
	v_alignbit_b32 v19, v4, v16, 30
	v_sub_nc_u32_e32 v20, 0, v18
	s_delay_alu instid0(VALU_DEP_3) | instskip(NEXT) | instid1(VALU_DEP_1)
	v_alignbit_b32 v21, v17, v15, v21
	v_dual_cndmask_b32 v17, v21, v17, vcc_lo :: v_dual_bitop2_b32 v19, v19, v20 bitop3:0x14
	s_delay_alu instid0(VALU_DEP_1) | instskip(NEXT) | instid1(VALU_DEP_2)
	v_clz_i32_u32_e32 v21, v19
	v_alignbit_b32 v16, v16, v17, 30
	v_alignbit_b32 v15, v17, v15, 30
	s_delay_alu instid0(VALU_DEP_3) | instskip(NEXT) | instid1(VALU_DEP_3)
	v_min_u32_e32 v21, 32, v21
	v_xor_b32_e32 v16, v16, v20
	s_delay_alu instid0(VALU_DEP_3) | instskip(SKIP_1) | instid1(VALU_DEP_4)
	v_xor_b32_e32 v15, v15, v20
	v_dual_lshrrev_b32 v20, 29, v4 :: v_dual_lshrrev_b32 v4, 30, v4
	v_dual_sub_nc_u32 v17, 31, v21 :: v_dual_lshlrev_b32 v22, 23, v21
	s_delay_alu instid0(VALU_DEP_2) | instskip(NEXT) | instid1(VALU_DEP_2)
	v_add_nc_u32_e32 v18, v18, v4
	v_alignbit_b32 v19, v19, v16, v17
	v_alignbit_b32 v15, v16, v15, v17
	v_lshlrev_b32_e32 v16, 31, v20
	s_delay_alu instid0(VALU_DEP_2) | instskip(NEXT) | instid1(VALU_DEP_2)
	v_alignbit_b32 v17, v19, v15, 9
	v_dual_lshrrev_b32 v19, 9, v19 :: v_dual_bitop2_b32 v20, 0.5, v16 bitop3:0x54
	v_or_b32_e32 v16, 0x33000000, v16
	s_delay_alu instid0(VALU_DEP_3) | instskip(NEXT) | instid1(VALU_DEP_3)
	v_clz_i32_u32_e32 v23, v17
	v_sub_nc_u32_e32 v20, v20, v22
	s_delay_alu instid0(VALU_DEP_2) | instskip(NEXT) | instid1(VALU_DEP_1)
	v_min_u32_e32 v22, 32, v23
	v_add_lshl_u32 v21, v22, v21, 23
	s_delay_alu instid0(VALU_DEP_3) | instskip(SKIP_1) | instid1(VALU_DEP_2)
	v_or_b32_e32 v19, v19, v20
	v_not_b32_e32 v20, v22
	v_dual_mul_f32 v23, 0x3fc90fda, v19 :: v_dual_sub_nc_u32 v16, v16, v21
	s_delay_alu instid0(VALU_DEP_2) | instskip(NEXT) | instid1(VALU_DEP_2)
	v_alignbit_b32 v15, v17, v15, v20
	v_fma_f32 v17, 0x3fc90fda, v19, -v23
	s_delay_alu instid0(VALU_DEP_2) | instskip(NEXT) | instid1(VALU_DEP_2)
	v_lshrrev_b32_e32 v15, 9, v15
	v_fmac_f32_e32 v17, 0x33a22168, v19
	s_delay_alu instid0(VALU_DEP_2) | instskip(NEXT) | instid1(VALU_DEP_1)
	v_or_b32_e32 v15, v16, v15
	v_fmac_f32_e32 v17, 0x3fc90fda, v15
	s_delay_alu instid0(VALU_DEP_1)
	v_add_f32_e32 v15, v23, v17
.LBB101_47:                             ;   in Loop: Header=BB101_41 Depth=1
	s_and_not1_saveexec_b32 s0, s12
; %bb.48:                               ;   in Loop: Header=BB101_41 Depth=1
	v_mul_f32_e64 v4, 0x3f22f983, |v8|
	s_delay_alu instid0(VALU_DEP_1) | instskip(NEXT) | instid1(VALU_DEP_1)
	v_rndne_f32_e32 v4, v4
	v_fma_f32 v15, 0xbfc90fda, v4, |v8|
	v_cvt_i32_f32_e32 v18, v4
	s_delay_alu instid0(VALU_DEP_2) | instskip(NEXT) | instid1(VALU_DEP_1)
	v_fmac_f32_e32 v15, 0xb3a22168, v4
	v_fmac_f32_e32 v15, 0xa7c234c4, v4
; %bb.49:                               ;   in Loop: Header=BB101_41 Depth=1
	s_or_b32 exec_lo, exec_lo, s0
	v_cvt_f32_f16_e32 v16, v9
                                        ; implicit-def: $vgpr21
                                        ; implicit-def: $vgpr19
	s_mov_b32 s1, exec_lo
	s_delay_alu instid0(VALU_DEP_1)
	v_and_b32_e32 v17, 0x7fffffff, v16
	v_cmpx_ngt_f32_e64 0x48000000, |v16|
	s_xor_b32 s12, exec_lo, s1
	s_cbranch_execz .LBB101_51
; %bb.50:                               ;   in Loop: Header=BB101_41 Depth=1
	s_delay_alu instid0(VALU_DEP_2) | instskip(SKIP_1) | instid1(VALU_DEP_2)
	v_and_or_b32 v4, v17, s8, 0x800000
	v_dual_lshrrev_b32 v19, 23, v17 :: v_dual_mov_b32 v31, v5
	v_mul_u64_e32 v[20:21], s[4:5], v[4:5]
	v_mov_b32_e32 v23, v5
	s_delay_alu instid0(VALU_DEP_3) | instskip(NEXT) | instid1(VALU_DEP_1)
	v_add_nc_u32_e32 v19, 0xffffff88, v19
	v_cmp_lt_u32_e32 vcc_lo, 63, v19
	s_delay_alu instid0(VALU_DEP_4) | instskip(SKIP_1) | instid1(VALU_DEP_2)
	v_mov_b32_e32 v22, v21
	v_cndmask_b32_e64 v21, 0, 0xffffffc0, vcc_lo
	v_mad_nc_u64_u32 v[22:23], 0x3c439041, v4, v[22:23]
	s_delay_alu instid0(VALU_DEP_1) | instskip(NEXT) | instid1(VALU_DEP_1)
	v_dual_mov_b32 v25, v5 :: v_dual_mov_b32 v24, v23
	v_mad_nc_u64_u32 v[24:25], 0xdb629599, v4, v[24:25]
	s_delay_alu instid0(VALU_DEP_1) | instskip(NEXT) | instid1(VALU_DEP_2)
	v_dual_mov_b32 v27, v5 :: v_dual_mov_b32 v26, v25
	v_cndmask_b32_e32 v20, v24, v20, vcc_lo
	s_delay_alu instid0(VALU_DEP_2) | instskip(NEXT) | instid1(VALU_DEP_1)
	v_mad_nc_u64_u32 v[26:27], 0xf534ddc0, v4, v[26:27]
	v_dual_mov_b32 v29, v5 :: v_dual_mov_b32 v28, v27
	s_delay_alu instid0(VALU_DEP_1) | instskip(NEXT) | instid1(VALU_DEP_1)
	v_mad_nc_u64_u32 v[28:29], 0xfc2757d1, v4, v[28:29]
	v_dual_mov_b32 v30, v29 :: v_dual_cndmask_b32 v27, v28, v24
	s_delay_alu instid0(VALU_DEP_1) | instskip(SKIP_1) | instid1(VALU_DEP_2)
	v_mad_nc_u64_u32 v[30:31], 0x4e441529, v4, v[30:31]
	v_add_nc_u32_e32 v19, v21, v19
	v_dual_mov_b32 v33, v5 :: v_dual_mov_b32 v32, v31
	s_delay_alu instid0(VALU_DEP_2) | instskip(NEXT) | instid1(VALU_DEP_2)
	v_cmp_lt_u32_e64 s0, 31, v19
	v_mad_nc_u64_u32 v[32:33], 0xa2f9836e, v4, v[32:33]
	s_delay_alu instid0(VALU_DEP_2) | instskip(NEXT) | instid1(VALU_DEP_1)
	v_cndmask_b32_e64 v21, 0, 0xffffffe0, s0
	v_dual_cndmask_b32 v21, v30, v26 :: v_dual_add_nc_u32 v4, v21, v19
	s_delay_alu instid0(VALU_DEP_3) | instskip(NEXT) | instid1(VALU_DEP_2)
	v_cndmask_b32_e32 v23, v32, v28, vcc_lo
	v_cmp_lt_u32_e64 s1, 31, v4
	v_cndmask_b32_e32 v25, v33, v30, vcc_lo
	s_delay_alu instid0(VALU_DEP_2) | instskip(NEXT) | instid1(VALU_DEP_1)
	v_cndmask_b32_e64 v19, 0, 0xffffffe0, s1
	v_dual_cndmask_b32 v19, v26, v22 :: v_dual_add_nc_u32 v4, v19, v4
	s_delay_alu instid0(VALU_DEP_3) | instskip(NEXT) | instid1(VALU_DEP_2)
	v_dual_cndmask_b32 v22, v23, v21, s0 :: v_dual_cndmask_b32 v23, v25, v23, s0
	v_dual_cndmask_b32 v21, v21, v27, s0 :: v_dual_sub_nc_u32 v25, 32, v4
	s_delay_alu instid0(VALU_DEP_3) | instskip(SKIP_1) | instid1(VALU_DEP_3)
	v_cndmask_b32_e64 v26, v27, v19, s0
	v_cmp_eq_u32_e32 vcc_lo, 0, v4
	v_dual_cndmask_b32 v23, v23, v22, s1 :: v_dual_cndmask_b32 v22, v22, v21, s1
	s_delay_alu instid0(VALU_DEP_1) | instskip(NEXT) | instid1(VALU_DEP_1)
	v_alignbit_b32 v27, v23, v22, v25
	v_dual_cndmask_b32 v21, v21, v26, s1 :: v_dual_cndmask_b32 v4, v27, v23, vcc_lo
	s_delay_alu instid0(VALU_DEP_1) | instskip(NEXT) | instid1(VALU_DEP_1)
	v_alignbit_b32 v24, v22, v21, v25
	v_dual_cndmask_b32 v19, v19, v20, s0 :: v_dual_cndmask_b32 v20, v24, v22, vcc_lo
	s_delay_alu instid0(VALU_DEP_3) | instskip(NEXT) | instid1(VALU_DEP_2)
	v_bfe_u32 v22, v4, 29, 1
	v_cndmask_b32_e64 v19, v26, v19, s1
	s_delay_alu instid0(VALU_DEP_3) | instskip(NEXT) | instid1(VALU_DEP_3)
	v_alignbit_b32 v23, v4, v20, 30
	v_sub_nc_u32_e32 v24, 0, v22
	s_delay_alu instid0(VALU_DEP_3) | instskip(NEXT) | instid1(VALU_DEP_1)
	v_alignbit_b32 v25, v21, v19, v25
	v_dual_cndmask_b32 v21, v25, v21, vcc_lo :: v_dual_bitop2_b32 v23, v23, v24 bitop3:0x14
	s_delay_alu instid0(VALU_DEP_1) | instskip(NEXT) | instid1(VALU_DEP_2)
	v_clz_i32_u32_e32 v25, v23
	v_alignbit_b32 v20, v20, v21, 30
	v_alignbit_b32 v19, v21, v19, 30
	s_delay_alu instid0(VALU_DEP_3) | instskip(NEXT) | instid1(VALU_DEP_3)
	v_min_u32_e32 v25, 32, v25
	v_xor_b32_e32 v20, v20, v24
	s_delay_alu instid0(VALU_DEP_3) | instskip(SKIP_1) | instid1(VALU_DEP_4)
	v_xor_b32_e32 v19, v19, v24
	v_dual_lshrrev_b32 v24, 29, v4 :: v_dual_lshrrev_b32 v4, 30, v4
	v_dual_sub_nc_u32 v21, 31, v25 :: v_dual_lshlrev_b32 v26, 23, v25
	s_delay_alu instid0(VALU_DEP_1) | instskip(NEXT) | instid1(VALU_DEP_4)
	v_alignbit_b32 v23, v23, v20, v21
	v_alignbit_b32 v19, v20, v19, v21
	s_delay_alu instid0(VALU_DEP_4) | instskip(NEXT) | instid1(VALU_DEP_2)
	v_lshlrev_b32_e32 v20, 31, v24
	v_alignbit_b32 v21, v23, v19, 9
	s_delay_alu instid0(VALU_DEP_2) | instskip(SKIP_1) | instid1(VALU_DEP_3)
	v_dual_lshrrev_b32 v23, 9, v23 :: v_dual_bitop2_b32 v24, 0.5, v20 bitop3:0x54
	v_or_b32_e32 v20, 0x33000000, v20
	v_clz_i32_u32_e32 v27, v21
	s_delay_alu instid0(VALU_DEP_3) | instskip(NEXT) | instid1(VALU_DEP_2)
	v_sub_nc_u32_e32 v24, v24, v26
	v_min_u32_e32 v26, 32, v27
	s_delay_alu instid0(VALU_DEP_1) | instskip(NEXT) | instid1(VALU_DEP_3)
	v_add_lshl_u32 v25, v26, v25, 23
	v_or_b32_e32 v23, v23, v24
	v_not_b32_e32 v24, v26
	s_delay_alu instid0(VALU_DEP_2) | instskip(NEXT) | instid1(VALU_DEP_2)
	v_dual_mul_f32 v27, 0x3fc90fda, v23 :: v_dual_sub_nc_u32 v20, v20, v25
	v_alignbit_b32 v19, v21, v19, v24
	s_delay_alu instid0(VALU_DEP_2) | instskip(NEXT) | instid1(VALU_DEP_2)
	v_fma_f32 v21, 0x3fc90fda, v23, -v27
	v_lshrrev_b32_e32 v19, 9, v19
	s_delay_alu instid0(VALU_DEP_2) | instskip(NEXT) | instid1(VALU_DEP_2)
	v_fmac_f32_e32 v21, 0x33a22168, v23
	v_or_b32_e32 v19, v20, v19
	s_delay_alu instid0(VALU_DEP_1) | instskip(NEXT) | instid1(VALU_DEP_1)
	v_fmac_f32_e32 v21, 0x3fc90fda, v19
	v_dual_add_f32 v19, v27, v21 :: v_dual_add_nc_u32 v21, v22, v4
.LBB101_51:                             ;   in Loop: Header=BB101_41 Depth=1
	s_and_not1_saveexec_b32 s0, s12
; %bb.52:                               ;   in Loop: Header=BB101_41 Depth=1
	v_mul_f32_e64 v4, 0x3f22f983, |v16|
	s_delay_alu instid0(VALU_DEP_1) | instskip(NEXT) | instid1(VALU_DEP_1)
	v_rndne_f32_e32 v4, v4
	v_fma_f32 v19, 0xbfc90fda, v4, |v16|
	v_cvt_i32_f32_e32 v21, v4
	s_delay_alu instid0(VALU_DEP_2) | instskip(NEXT) | instid1(VALU_DEP_1)
	v_fmac_f32_e32 v19, 0xb3a22168, v4
	v_fmac_f32_e32 v19, 0xa7c234c4, v4
; %bb.53:                               ;   in Loop: Header=BB101_41 Depth=1
	s_or_b32 exec_lo, exec_lo, s0
	v_lshrrev_b32_e32 v4, 16, v9
                                        ; implicit-def: $vgpr22
	s_mov_b32 s1, exec_lo
	s_delay_alu instid0(VALU_DEP_1) | instskip(NEXT) | instid1(VALU_DEP_1)
	v_cvt_f32_f16_e32 v9, v4
                                        ; implicit-def: $vgpr4
	v_and_b32_e32 v20, 0x7fffffff, v9
	v_cmpx_ngt_f32_e64 0x48000000, |v9|
	s_xor_b32 s12, exec_lo, s1
	s_cbranch_execz .LBB101_55
; %bb.54:                               ;   in Loop: Header=BB101_41 Depth=1
	s_delay_alu instid0(VALU_DEP_2) | instskip(SKIP_1) | instid1(VALU_DEP_2)
	v_and_or_b32 v4, v20, s8, 0x800000
	v_mov_b32_e32 v33, v5
	v_mul_u64_e32 v[22:23], s[4:5], v[4:5]
	s_delay_alu instid0(VALU_DEP_1) | instskip(SKIP_1) | instid1(VALU_DEP_2)
	v_dual_mov_b32 v25, v5 :: v_dual_mov_b32 v24, v23
	v_lshrrev_b32_e32 v23, 23, v20
	v_mad_nc_u64_u32 v[24:25], 0x3c439041, v4, v[24:25]
	v_mov_b32_e32 v27, v5
	s_delay_alu instid0(VALU_DEP_3) | instskip(NEXT) | instid1(VALU_DEP_1)
	v_add_nc_u32_e32 v23, 0xffffff88, v23
	v_cmp_lt_u32_e32 vcc_lo, 63, v23
	s_delay_alu instid0(VALU_DEP_4) | instskip(SKIP_1) | instid1(VALU_DEP_2)
	v_mov_b32_e32 v26, v25
	v_cndmask_b32_e64 v25, 0, 0xffffffc0, vcc_lo
	v_mad_nc_u64_u32 v[26:27], 0xdb629599, v4, v[26:27]
	s_delay_alu instid0(VALU_DEP_1) | instskip(NEXT) | instid1(VALU_DEP_2)
	v_dual_mov_b32 v29, v5 :: v_dual_mov_b32 v28, v27
	v_cndmask_b32_e32 v22, v26, v22, vcc_lo
	s_delay_alu instid0(VALU_DEP_2) | instskip(NEXT) | instid1(VALU_DEP_1)
	v_mad_nc_u64_u32 v[28:29], 0xf534ddc0, v4, v[28:29]
	v_dual_mov_b32 v31, v5 :: v_dual_mov_b32 v30, v29
	s_delay_alu instid0(VALU_DEP_1) | instskip(NEXT) | instid1(VALU_DEP_1)
	v_mad_nc_u64_u32 v[30:31], 0xfc2757d1, v4, v[30:31]
	v_mov_b32_e32 v32, v31
	s_delay_alu instid0(VALU_DEP_1) | instskip(SKIP_2) | instid1(VALU_DEP_2)
	v_mad_nc_u64_u32 v[32:33], 0x4e441529, v4, v[32:33]
	v_add_nc_u32_e32 v23, v25, v23
	v_mov_b32_e32 v35, v5
	v_cmp_lt_u32_e64 s0, 31, v23
	s_delay_alu instid0(VALU_DEP_4) | instskip(NEXT) | instid1(VALU_DEP_2)
	v_mov_b32_e32 v34, v33
	v_cndmask_b32_e64 v25, 0, 0xffffffe0, s0
	s_delay_alu instid0(VALU_DEP_2) | instskip(NEXT) | instid1(VALU_DEP_2)
	v_mad_nc_u64_u32 v[34:35], 0xa2f9836e, v4, v[34:35]
	v_dual_cndmask_b32 v25, v32, v28 :: v_dual_add_nc_u32 v4, v25, v23
	s_delay_alu instid0(VALU_DEP_2) | instskip(NEXT) | instid1(VALU_DEP_2)
	v_cndmask_b32_e32 v27, v34, v30, vcc_lo
	v_cmp_lt_u32_e64 s1, 31, v4
	s_delay_alu instid0(VALU_DEP_4) | instskip(NEXT) | instid1(VALU_DEP_2)
	v_dual_cndmask_b32 v29, v35, v32 :: v_dual_cndmask_b32 v30, v30, v26
	v_cndmask_b32_e64 v23, 0, 0xffffffe0, s1
	s_delay_alu instid0(VALU_DEP_1) | instskip(SKIP_1) | instid1(VALU_DEP_4)
	v_add_nc_u32_e32 v4, v23, v4
	v_dual_cndmask_b32 v23, v28, v24, vcc_lo :: v_dual_cndmask_b32 v24, v27, v25, s0
	v_cndmask_b32_e64 v27, v29, v27, s0
	s_delay_alu instid0(VALU_DEP_3) | instskip(NEXT) | instid1(VALU_DEP_3)
	v_dual_cndmask_b32 v25, v25, v30, s0 :: v_dual_sub_nc_u32 v28, 32, v4
	v_cndmask_b32_e64 v29, v30, v23, s0
	v_cmp_eq_u32_e32 vcc_lo, 0, v4
	s_delay_alu instid0(VALU_DEP_3) | instskip(NEXT) | instid1(VALU_DEP_1)
	v_dual_cndmask_b32 v27, v27, v24, s1 :: v_dual_cndmask_b32 v24, v24, v25, s1
	v_alignbit_b32 v30, v27, v24, v28
	s_delay_alu instid0(VALU_DEP_1) | instskip(NEXT) | instid1(VALU_DEP_1)
	v_dual_cndmask_b32 v25, v25, v29, s1 :: v_dual_cndmask_b32 v4, v30, v27, vcc_lo
	v_alignbit_b32 v26, v24, v25, v28
	s_delay_alu instid0(VALU_DEP_1) | instskip(NEXT) | instid1(VALU_DEP_3)
	v_dual_cndmask_b32 v22, v23, v22, s0 :: v_dual_cndmask_b32 v23, v26, v24, vcc_lo
	v_bfe_u32 v24, v4, 29, 1
	s_delay_alu instid0(VALU_DEP_2) | instskip(NEXT) | instid1(VALU_DEP_3)
	v_cndmask_b32_e64 v22, v29, v22, s1
	v_alignbit_b32 v26, v4, v23, 30
	s_delay_alu instid0(VALU_DEP_3) | instskip(NEXT) | instid1(VALU_DEP_3)
	v_sub_nc_u32_e32 v27, 0, v24
	v_alignbit_b32 v28, v25, v22, v28
	s_delay_alu instid0(VALU_DEP_1) | instskip(NEXT) | instid1(VALU_DEP_1)
	v_dual_cndmask_b32 v25, v28, v25, vcc_lo :: v_dual_bitop2_b32 v26, v26, v27 bitop3:0x14
	v_clz_i32_u32_e32 v28, v26
	s_delay_alu instid0(VALU_DEP_2) | instskip(SKIP_1) | instid1(VALU_DEP_3)
	v_alignbit_b32 v23, v23, v25, 30
	v_alignbit_b32 v22, v25, v22, 30
	v_min_u32_e32 v28, 32, v28
	s_delay_alu instid0(VALU_DEP_3) | instskip(NEXT) | instid1(VALU_DEP_3)
	v_xor_b32_e32 v23, v23, v27
	v_dual_lshrrev_b32 v27, 29, v4 :: v_dual_bitop2_b32 v22, v22, v27 bitop3:0x14
	s_delay_alu instid0(VALU_DEP_3) | instskip(NEXT) | instid1(VALU_DEP_1)
	v_dual_sub_nc_u32 v25, 31, v28 :: v_dual_lshlrev_b32 v29, 23, v28
	v_alignbit_b32 v26, v26, v23, v25
	s_delay_alu instid0(VALU_DEP_3) | instskip(NEXT) | instid1(VALU_DEP_4)
	v_alignbit_b32 v22, v23, v22, v25
	v_lshlrev_b32_e32 v23, 31, v27
	s_delay_alu instid0(VALU_DEP_2) | instskip(NEXT) | instid1(VALU_DEP_2)
	v_alignbit_b32 v25, v26, v22, 9
	v_dual_lshrrev_b32 v26, 9, v26 :: v_dual_bitop2_b32 v27, 0.5, v23 bitop3:0x54
	v_or_b32_e32 v23, 0x33000000, v23
	s_delay_alu instid0(VALU_DEP_3) | instskip(NEXT) | instid1(VALU_DEP_3)
	v_clz_i32_u32_e32 v30, v25
	v_sub_nc_u32_e32 v27, v27, v29
	s_delay_alu instid0(VALU_DEP_2) | instskip(NEXT) | instid1(VALU_DEP_1)
	v_min_u32_e32 v29, 32, v30
	v_add_lshl_u32 v28, v29, v28, 23
	s_delay_alu instid0(VALU_DEP_3) | instskip(SKIP_1) | instid1(VALU_DEP_2)
	v_or_b32_e32 v26, v26, v27
	v_not_b32_e32 v27, v29
	v_dual_mul_f32 v30, 0x3fc90fda, v26 :: v_dual_sub_nc_u32 v23, v23, v28
	s_delay_alu instid0(VALU_DEP_2) | instskip(NEXT) | instid1(VALU_DEP_2)
	v_alignbit_b32 v22, v25, v22, v27
	v_fma_f32 v25, 0x3fc90fda, v26, -v30
	s_delay_alu instid0(VALU_DEP_2) | instskip(NEXT) | instid1(VALU_DEP_2)
	v_lshrrev_b32_e32 v22, 9, v22
	v_fmac_f32_e32 v25, 0x33a22168, v26
	s_delay_alu instid0(VALU_DEP_2) | instskip(NEXT) | instid1(VALU_DEP_1)
	v_or_b32_e32 v22, v23, v22
	v_dual_fmac_f32 v25, 0x3fc90fda, v22 :: v_dual_lshrrev_b32 v22, 30, v4
	s_delay_alu instid0(VALU_DEP_1)
	v_dual_add_nc_u32 v22, v24, v22 :: v_dual_add_f32 v4, v30, v25
.LBB101_55:                             ;   in Loop: Header=BB101_41 Depth=1
	s_and_not1_saveexec_b32 s0, s12
	s_cbranch_execz .LBB101_40
; %bb.56:                               ;   in Loop: Header=BB101_41 Depth=1
	v_mul_f32_e64 v4, 0x3f22f983, |v9|
	s_delay_alu instid0(VALU_DEP_1) | instskip(NEXT) | instid1(VALU_DEP_1)
	v_rndne_f32_e32 v22, v4
	v_fma_f32 v4, 0xbfc90fda, v22, |v9|
	s_delay_alu instid0(VALU_DEP_1) | instskip(NEXT) | instid1(VALU_DEP_1)
	v_fmac_f32_e32 v4, 0xb3a22168, v22
	v_fmac_f32_e32 v4, 0xa7c234c4, v22
	v_cvt_i32_f32_e32 v22, v22
	s_branch .LBB101_40
.LBB101_57:
	s_endpgm
	.section	.rodata,"a",@progbits
	.p2align	6, 0x0
	.amdhsa_kernel _ZN2at6native12_GLOBAL__N_125multi_tensor_apply_kernelINS1_18TensorListMetadataILi1EEENS1_14UnaryOpFunctorIN3c104HalfELi1ELi1ELi0EEEJNS0_3TanIfEEEEEvT_T0_DpT1_
		.amdhsa_group_segment_fixed_size 0
		.amdhsa_private_segment_fixed_size 0
		.amdhsa_kernarg_size 3632
		.amdhsa_user_sgpr_count 2
		.amdhsa_user_sgpr_dispatch_ptr 0
		.amdhsa_user_sgpr_queue_ptr 0
		.amdhsa_user_sgpr_kernarg_segment_ptr 1
		.amdhsa_user_sgpr_dispatch_id 0
		.amdhsa_user_sgpr_kernarg_preload_length 0
		.amdhsa_user_sgpr_kernarg_preload_offset 0
		.amdhsa_user_sgpr_private_segment_size 0
		.amdhsa_wavefront_size32 1
		.amdhsa_uses_dynamic_stack 0
		.amdhsa_enable_private_segment 0
		.amdhsa_system_sgpr_workgroup_id_x 1
		.amdhsa_system_sgpr_workgroup_id_y 0
		.amdhsa_system_sgpr_workgroup_id_z 0
		.amdhsa_system_sgpr_workgroup_info 0
		.amdhsa_system_vgpr_workitem_id 0
		.amdhsa_next_free_vgpr 50
		.amdhsa_next_free_sgpr 28
		.amdhsa_named_barrier_count 0
		.amdhsa_reserve_vcc 1
		.amdhsa_float_round_mode_32 0
		.amdhsa_float_round_mode_16_64 0
		.amdhsa_float_denorm_mode_32 3
		.amdhsa_float_denorm_mode_16_64 3
		.amdhsa_fp16_overflow 0
		.amdhsa_memory_ordered 1
		.amdhsa_forward_progress 1
		.amdhsa_inst_pref_size 70
		.amdhsa_round_robin_scheduling 0
		.amdhsa_exception_fp_ieee_invalid_op 0
		.amdhsa_exception_fp_denorm_src 0
		.amdhsa_exception_fp_ieee_div_zero 0
		.amdhsa_exception_fp_ieee_overflow 0
		.amdhsa_exception_fp_ieee_underflow 0
		.amdhsa_exception_fp_ieee_inexact 0
		.amdhsa_exception_int_div_zero 0
	.end_amdhsa_kernel
	.section	.text._ZN2at6native12_GLOBAL__N_125multi_tensor_apply_kernelINS1_18TensorListMetadataILi1EEENS1_14UnaryOpFunctorIN3c104HalfELi1ELi1ELi0EEEJNS0_3TanIfEEEEEvT_T0_DpT1_,"axG",@progbits,_ZN2at6native12_GLOBAL__N_125multi_tensor_apply_kernelINS1_18TensorListMetadataILi1EEENS1_14UnaryOpFunctorIN3c104HalfELi1ELi1ELi0EEEJNS0_3TanIfEEEEEvT_T0_DpT1_,comdat
.Lfunc_end101:
	.size	_ZN2at6native12_GLOBAL__N_125multi_tensor_apply_kernelINS1_18TensorListMetadataILi1EEENS1_14UnaryOpFunctorIN3c104HalfELi1ELi1ELi0EEEJNS0_3TanIfEEEEEvT_T0_DpT1_, .Lfunc_end101-_ZN2at6native12_GLOBAL__N_125multi_tensor_apply_kernelINS1_18TensorListMetadataILi1EEENS1_14UnaryOpFunctorIN3c104HalfELi1ELi1ELi0EEEJNS0_3TanIfEEEEEvT_T0_DpT1_
                                        ; -- End function
	.set _ZN2at6native12_GLOBAL__N_125multi_tensor_apply_kernelINS1_18TensorListMetadataILi1EEENS1_14UnaryOpFunctorIN3c104HalfELi1ELi1ELi0EEEJNS0_3TanIfEEEEEvT_T0_DpT1_.num_vgpr, 50
	.set _ZN2at6native12_GLOBAL__N_125multi_tensor_apply_kernelINS1_18TensorListMetadataILi1EEENS1_14UnaryOpFunctorIN3c104HalfELi1ELi1ELi0EEEJNS0_3TanIfEEEEEvT_T0_DpT1_.num_agpr, 0
	.set _ZN2at6native12_GLOBAL__N_125multi_tensor_apply_kernelINS1_18TensorListMetadataILi1EEENS1_14UnaryOpFunctorIN3c104HalfELi1ELi1ELi0EEEJNS0_3TanIfEEEEEvT_T0_DpT1_.numbered_sgpr, 28
	.set _ZN2at6native12_GLOBAL__N_125multi_tensor_apply_kernelINS1_18TensorListMetadataILi1EEENS1_14UnaryOpFunctorIN3c104HalfELi1ELi1ELi0EEEJNS0_3TanIfEEEEEvT_T0_DpT1_.num_named_barrier, 0
	.set _ZN2at6native12_GLOBAL__N_125multi_tensor_apply_kernelINS1_18TensorListMetadataILi1EEENS1_14UnaryOpFunctorIN3c104HalfELi1ELi1ELi0EEEJNS0_3TanIfEEEEEvT_T0_DpT1_.private_seg_size, 0
	.set _ZN2at6native12_GLOBAL__N_125multi_tensor_apply_kernelINS1_18TensorListMetadataILi1EEENS1_14UnaryOpFunctorIN3c104HalfELi1ELi1ELi0EEEJNS0_3TanIfEEEEEvT_T0_DpT1_.uses_vcc, 1
	.set _ZN2at6native12_GLOBAL__N_125multi_tensor_apply_kernelINS1_18TensorListMetadataILi1EEENS1_14UnaryOpFunctorIN3c104HalfELi1ELi1ELi0EEEJNS0_3TanIfEEEEEvT_T0_DpT1_.uses_flat_scratch, 0
	.set _ZN2at6native12_GLOBAL__N_125multi_tensor_apply_kernelINS1_18TensorListMetadataILi1EEENS1_14UnaryOpFunctorIN3c104HalfELi1ELi1ELi0EEEJNS0_3TanIfEEEEEvT_T0_DpT1_.has_dyn_sized_stack, 0
	.set _ZN2at6native12_GLOBAL__N_125multi_tensor_apply_kernelINS1_18TensorListMetadataILi1EEENS1_14UnaryOpFunctorIN3c104HalfELi1ELi1ELi0EEEJNS0_3TanIfEEEEEvT_T0_DpT1_.has_recursion, 0
	.set _ZN2at6native12_GLOBAL__N_125multi_tensor_apply_kernelINS1_18TensorListMetadataILi1EEENS1_14UnaryOpFunctorIN3c104HalfELi1ELi1ELi0EEEJNS0_3TanIfEEEEEvT_T0_DpT1_.has_indirect_call, 0
	.section	.AMDGPU.csdata,"",@progbits
; Kernel info:
; codeLenInByte = 8892
; TotalNumSgprs: 30
; NumVgprs: 50
; ScratchSize: 0
; MemoryBound: 0
; FloatMode: 240
; IeeeMode: 1
; LDSByteSize: 0 bytes/workgroup (compile time only)
; SGPRBlocks: 0
; VGPRBlocks: 3
; NumSGPRsForWavesPerEU: 30
; NumVGPRsForWavesPerEU: 50
; NamedBarCnt: 0
; Occupancy: 16
; WaveLimiterHint : 0
; COMPUTE_PGM_RSRC2:SCRATCH_EN: 0
; COMPUTE_PGM_RSRC2:USER_SGPR: 2
; COMPUTE_PGM_RSRC2:TRAP_HANDLER: 0
; COMPUTE_PGM_RSRC2:TGID_X_EN: 1
; COMPUTE_PGM_RSRC2:TGID_Y_EN: 0
; COMPUTE_PGM_RSRC2:TGID_Z_EN: 0
; COMPUTE_PGM_RSRC2:TIDIG_COMP_CNT: 0
	.section	.text._ZN2at6native12_GLOBAL__N_125multi_tensor_apply_kernelINS1_18TensorListMetadataILi1EEENS1_14UnaryOpFunctorIN3c108BFloat16ELi1ELi1ELi0EEEJNS0_3TanIfEEEEEvT_T0_DpT1_,"axG",@progbits,_ZN2at6native12_GLOBAL__N_125multi_tensor_apply_kernelINS1_18TensorListMetadataILi1EEENS1_14UnaryOpFunctorIN3c108BFloat16ELi1ELi1ELi0EEEJNS0_3TanIfEEEEEvT_T0_DpT1_,comdat
	.globl	_ZN2at6native12_GLOBAL__N_125multi_tensor_apply_kernelINS1_18TensorListMetadataILi1EEENS1_14UnaryOpFunctorIN3c108BFloat16ELi1ELi1ELi0EEEJNS0_3TanIfEEEEEvT_T0_DpT1_ ; -- Begin function _ZN2at6native12_GLOBAL__N_125multi_tensor_apply_kernelINS1_18TensorListMetadataILi1EEENS1_14UnaryOpFunctorIN3c108BFloat16ELi1ELi1ELi0EEEJNS0_3TanIfEEEEEvT_T0_DpT1_
	.p2align	8
	.type	_ZN2at6native12_GLOBAL__N_125multi_tensor_apply_kernelINS1_18TensorListMetadataILi1EEENS1_14UnaryOpFunctorIN3c108BFloat16ELi1ELi1ELi0EEEJNS0_3TanIfEEEEEvT_T0_DpT1_,@function
_ZN2at6native12_GLOBAL__N_125multi_tensor_apply_kernelINS1_18TensorListMetadataILi1EEENS1_14UnaryOpFunctorIN3c108BFloat16ELi1ELi1ELi0EEEJNS0_3TanIfEEEEEvT_T0_DpT1_: ; @_ZN2at6native12_GLOBAL__N_125multi_tensor_apply_kernelINS1_18TensorListMetadataILi1EEENS1_14UnaryOpFunctorIN3c108BFloat16ELi1ELi1ELi0EEEJNS0_3TanIfEEEEEvT_T0_DpT1_
; %bb.0:
	s_bfe_u32 s2, ttmp6, 0x4000c
	s_and_b32 s3, ttmp6, 15
	s_add_co_i32 s2, s2, 1
	s_getreg_b32 s4, hwreg(HW_REG_IB_STS2, 6, 4)
	s_mul_i32 s2, ttmp9, s2
	s_delay_alu instid0(SALU_CYCLE_1)
	s_add_co_i32 s3, s3, s2
	s_cmp_eq_u32 s4, 0
	s_cselect_b32 s2, ttmp9, s3
	s_mov_b32 s3, 0
	s_load_u8 s10, s[0:1], s2 offset:0x6e0
	s_add_nc_u64 s[4:5], s[0:1], s[2:3]
	s_mul_u64 s[6:7], s[2:3], 3
	s_delay_alu instid0(SALU_CYCLE_1)
	s_add_nc_u64 s[4:5], s[4:5], s[6:7]
	s_load_b32 s6, s[4:5], 0x820
	s_wait_kmcnt 0x0
	s_clause 0x1
	s_load_b64 s[8:9], s[0:1], s10 offset:0x0 scale_offset
	s_load_b64 s[12:13], s[0:1], s10 offset:0x370 scale_offset
	s_ashr_i32 s7, s6, 31
	s_wait_kmcnt 0x0
	s_and_b64 s[4:5], s[8:9], 7
	s_and_b32 s2, s12, 3
	s_lshl_b64 s[10:11], s[6:7], 17
	s_or_b64 s[2:3], s[4:5], s[2:3]
	s_lshl_b64 s[4:5], s[6:7], 16
	s_cmp_eq_u64 s[2:3], 0
	s_sub_nc_u64 s[12:13], s[12:13], s[4:5]
	s_cbranch_scc1 .LBB102_37
; %bb.1:
	v_cmp_lt_i64_e64 s2, s[12:13], 1
	s_and_b32 vcc_lo, exec_lo, s2
	s_cbranch_vccnz .LBB102_36
; %bb.2:
	s_load_b32 s2, s[0:1], 0xd3c
	v_min_i64 v[2:3], 0x10000, s[12:13]
	v_min_u64 v[4:5], 0x10000, s[12:13]
	v_dual_mov_b32 v7, 0 :: v_dual_lshlrev_b32 v6, 1, v0
	s_mov_b32 s3, 0
	s_add_nc_u64 s[4:5], s[8:9], s[10:11]
	s_mov_b32 s7, s3
	s_delay_alu instid0(VALU_DEP_1)
	v_mov_b32_e32 v1, v7
	v_add_nc_u64_e32 v[10:11], s[4:5], v[6:7]
	s_mov_b32 s19, s3
	s_mov_b32 s15, s3
	;; [unrolled: 1-line block ×3, first 2 shown]
	s_mov_b64 s[22:23], 0
	s_mov_b32 s24, 0x7fffff
	s_mov_b32 s25, 0xbc8cedd3
	;; [unrolled: 1-line block ×3, first 2 shown]
	s_wait_kmcnt 0x0
	s_and_b32 s2, s2, 0xffff
	s_delay_alu instid0(SALU_CYCLE_1)
	v_add_nc_u64_e32 v[8:9], s[2:3], v[0:1]
	s_lshl_b32 s6, s2, 1
	s_mul_i32 s18, s2, 3
	s_lshl_b32 s14, s2, 2
	s_lshl_b32 s16, s2, 3
	s_mul_u64 s[20:21], s[2:3], 6
	s_delay_alu instid0(VALU_DEP_1) | instskip(SKIP_3) | instid1(VALU_DEP_3)
	v_lshlrev_b32_e32 v6, 1, v8
	v_add_nc_u64_e32 v[12:13], s[18:19], v[0:1]
	v_add_nc_u64_e32 v[14:15], s[6:7], v[0:1]
	s_mov_b64 s[18:19], 0xfe5163ab
	v_add_nc_u64_e32 v[16:17], s[4:5], v[6:7]
	s_branch .LBB102_4
.LBB102_3:                              ;   in Loop: Header=BB102_4 Depth=1
	s_wait_xcnt 0x0
	s_or_b32 exec_lo, exec_lo, s2
	s_add_nc_u64 s[22:23], s[22:23], s[14:15]
	v_add_nc_u64_e32 v[10:11], s[16:17], v[10:11]
	v_cmp_ge_i64_e32 vcc_lo, s[22:23], v[2:3]
	v_add_nc_u64_e32 v[16:17], s[16:17], v[16:17]
	s_cbranch_vccnz .LBB102_36
.LBB102_4:                              ; =>This Inner Loop Header: Depth=1
	v_add_nc_u64_e32 v[18:19], s[22:23], v[0:1]
	v_mov_b32_e32 v25, 0
	s_delay_alu instid0(VALU_DEP_2)
	v_cmp_lt_u64_e64 s4, v[18:19], v[4:5]
	s_and_saveexec_b32 s2, s4
	s_cbranch_execz .LBB102_6
; %bb.5:                                ;   in Loop: Header=BB102_4 Depth=1
	global_load_u16 v6, v[10:11], off
	s_wait_loadcnt 0x0
	v_lshlrev_b32_e32 v25, 16, v6
.LBB102_6:                              ;   in Loop: Header=BB102_4 Depth=1
	s_wait_xcnt 0x0
	s_or_b32 exec_lo, exec_lo, s2
	v_add_nc_u64_e32 v[18:19], s[22:23], v[8:9]
	v_dual_mov_b32 v23, 0 :: v_dual_mov_b32 v24, 0
	s_delay_alu instid0(VALU_DEP_2)
	v_cmp_lt_u64_e64 s3, v[18:19], v[4:5]
	s_and_saveexec_b32 s2, s3
	s_cbranch_execz .LBB102_8
; %bb.7:                                ;   in Loop: Header=BB102_4 Depth=1
	global_load_u16 v6, v[16:17], off
	s_wait_loadcnt 0x0
	v_lshlrev_b32_e32 v24, 16, v6
.LBB102_8:                              ;   in Loop: Header=BB102_4 Depth=1
	s_wait_xcnt 0x0
	s_or_b32 exec_lo, exec_lo, s2
	v_add_nc_u64_e32 v[18:19], s[22:23], v[14:15]
	v_add_nc_u64_e32 v[20:21], s[14:15], v[10:11]
	s_delay_alu instid0(VALU_DEP_2)
	v_cmp_lt_u64_e64 s2, v[18:19], v[4:5]
	s_and_saveexec_b32 s5, s2
	s_cbranch_execz .LBB102_10
; %bb.9:                                ;   in Loop: Header=BB102_4 Depth=1
	global_load_u16 v6, v[20:21], off
	s_wait_loadcnt 0x0
	v_lshlrev_b32_e32 v23, 16, v6
.LBB102_10:                             ;   in Loop: Header=BB102_4 Depth=1
	s_wait_xcnt 0x0
	s_or_b32 exec_lo, exec_lo, s5
	v_add_nc_u64_e32 v[18:19], s[22:23], v[12:13]
	v_mov_b32_e32 v22, 0
	s_delay_alu instid0(VALU_DEP_2)
	v_cmp_lt_u64_e32 vcc_lo, v[18:19], v[4:5]
	v_add_nc_u64_e32 v[18:19], s[20:21], v[10:11]
	s_and_saveexec_b32 s5, vcc_lo
	s_cbranch_execz .LBB102_12
; %bb.11:                               ;   in Loop: Header=BB102_4 Depth=1
	global_load_u16 v6, v[18:19], off
	s_wait_loadcnt 0x0
	v_lshlrev_b32_e32 v22, 16, v6
.LBB102_12:                             ;   in Loop: Header=BB102_4 Depth=1
	s_wait_xcnt 0x0
	s_or_b32 exec_lo, exec_lo, s5
	v_and_b32_e32 v26, 0x7fffffff, v25
                                        ; implicit-def: $vgpr29
                                        ; implicit-def: $vgpr28
	s_mov_b32 s6, exec_lo
	v_cmpx_ngt_f32_e64 0x48000000, |v25|
	s_xor_b32 s27, exec_lo, s6
	s_cbranch_execz .LBB102_14
; %bb.13:                               ;   in Loop: Header=BB102_4 Depth=1
	v_and_or_b32 v6, v26, s24, 0x800000
	v_dual_lshrrev_b32 v27, 23, v26 :: v_dual_mov_b32 v39, v7
	v_mov_b32_e32 v41, v7
	s_delay_alu instid0(VALU_DEP_3) | instskip(SKIP_1) | instid1(VALU_DEP_4)
	v_mul_u64_e32 v[28:29], s[18:19], v[6:7]
	v_mov_b32_e32 v31, v7
	v_add_nc_u32_e32 v27, 0xffffff88, v27
	s_delay_alu instid0(VALU_DEP_1) | instskip(NEXT) | instid1(VALU_DEP_4)
	v_cmp_lt_u32_e64 s5, 63, v27
	v_mov_b32_e32 v30, v29
	s_delay_alu instid0(VALU_DEP_2) | instskip(NEXT) | instid1(VALU_DEP_2)
	v_cndmask_b32_e64 v29, 0, 0xffffffc0, s5
	v_mad_nc_u64_u32 v[30:31], 0x3c439041, v6, v[30:31]
	s_delay_alu instid0(VALU_DEP_2) | instskip(NEXT) | instid1(VALU_DEP_1)
	v_dual_mov_b32 v33, v7 :: v_dual_add_nc_u32 v27, v29, v27
	v_cmp_lt_u32_e64 s6, 31, v27
	s_delay_alu instid0(VALU_DEP_3) | instskip(NEXT) | instid1(VALU_DEP_2)
	v_mov_b32_e32 v32, v31
	v_cndmask_b32_e64 v29, 0, 0xffffffe0, s6
	s_delay_alu instid0(VALU_DEP_2) | instskip(NEXT) | instid1(VALU_DEP_1)
	v_mad_nc_u64_u32 v[32:33], 0xdb629599, v6, v[32:33]
	v_dual_mov_b32 v35, v7 :: v_dual_mov_b32 v34, v33
	s_delay_alu instid0(VALU_DEP_2) | instskip(NEXT) | instid1(VALU_DEP_2)
	v_cndmask_b32_e64 v28, v32, v28, s5
	v_mad_nc_u64_u32 v[34:35], 0xf534ddc0, v6, v[34:35]
	s_delay_alu instid0(VALU_DEP_1) | instskip(NEXT) | instid1(VALU_DEP_1)
	v_dual_mov_b32 v37, v7 :: v_dual_mov_b32 v36, v35
	v_mad_nc_u64_u32 v[36:37], 0xfc2757d1, v6, v[36:37]
	s_delay_alu instid0(VALU_DEP_1) | instskip(NEXT) | instid1(VALU_DEP_1)
	v_dual_mov_b32 v38, v37 :: v_dual_cndmask_b32 v35, v36, v32, s5
	v_mad_nc_u64_u32 v[38:39], 0x4e441529, v6, v[38:39]
	s_delay_alu instid0(VALU_DEP_1) | instskip(NEXT) | instid1(VALU_DEP_1)
	v_mov_b32_e32 v40, v39
	v_mad_nc_u64_u32 v[40:41], 0xa2f9836e, v6, v[40:41]
	s_delay_alu instid0(VALU_DEP_3) | instskip(NEXT) | instid1(VALU_DEP_1)
	v_dual_add_nc_u32 v6, v29, v27 :: v_dual_cndmask_b32 v29, v38, v34, s5
	v_cmp_lt_u32_e64 s7, 31, v6
	s_delay_alu instid0(VALU_DEP_1) | instskip(NEXT) | instid1(VALU_DEP_4)
	v_cndmask_b32_e64 v27, 0, 0xffffffe0, s7
	v_dual_cndmask_b32 v31, v40, v36, s5 :: v_dual_cndmask_b32 v33, v41, v38, s5
	s_delay_alu instid0(VALU_DEP_2) | instskip(NEXT) | instid1(VALU_DEP_2)
	v_add_nc_u32_e32 v6, v27, v6
	v_dual_cndmask_b32 v27, v34, v30, s5 :: v_dual_cndmask_b32 v30, v31, v29, s6
	s_delay_alu instid0(VALU_DEP_3) | instskip(NEXT) | instid1(VALU_DEP_3)
	v_cndmask_b32_e64 v31, v33, v31, s6
	v_dual_cndmask_b32 v29, v29, v35, s6 :: v_dual_sub_nc_u32 v33, 32, v6
	s_delay_alu instid0(VALU_DEP_3) | instskip(SKIP_1) | instid1(VALU_DEP_3)
	v_cndmask_b32_e64 v34, v35, v27, s6
	v_cmp_eq_u32_e64 s5, 0, v6
	v_dual_cndmask_b32 v31, v31, v30, s7 :: v_dual_cndmask_b32 v30, v30, v29, s7
	s_delay_alu instid0(VALU_DEP_1) | instskip(NEXT) | instid1(VALU_DEP_1)
	v_alignbit_b32 v35, v31, v30, v33
	v_dual_cndmask_b32 v29, v29, v34, s7 :: v_dual_cndmask_b32 v6, v35, v31, s5
	s_delay_alu instid0(VALU_DEP_1) | instskip(NEXT) | instid1(VALU_DEP_1)
	v_alignbit_b32 v32, v30, v29, v33
	v_dual_cndmask_b32 v27, v27, v28, s6 :: v_dual_cndmask_b32 v28, v32, v30, s5
	s_delay_alu instid0(VALU_DEP_3) | instskip(NEXT) | instid1(VALU_DEP_2)
	v_bfe_u32 v30, v6, 29, 1
	v_cndmask_b32_e64 v27, v34, v27, s7
	s_delay_alu instid0(VALU_DEP_3) | instskip(NEXT) | instid1(VALU_DEP_3)
	v_alignbit_b32 v31, v6, v28, 30
	v_sub_nc_u32_e32 v32, 0, v30
	s_delay_alu instid0(VALU_DEP_3) | instskip(NEXT) | instid1(VALU_DEP_1)
	v_alignbit_b32 v33, v29, v27, v33
	v_dual_cndmask_b32 v29, v33, v29, s5 :: v_dual_bitop2_b32 v31, v31, v32 bitop3:0x14
	s_delay_alu instid0(VALU_DEP_1) | instskip(NEXT) | instid1(VALU_DEP_2)
	v_clz_i32_u32_e32 v33, v31
	v_alignbit_b32 v28, v28, v29, 30
	v_alignbit_b32 v27, v29, v27, 30
	s_delay_alu instid0(VALU_DEP_3) | instskip(NEXT) | instid1(VALU_DEP_3)
	v_min_u32_e32 v33, 32, v33
	v_xor_b32_e32 v28, v28, v32
	s_delay_alu instid0(VALU_DEP_3) | instskip(NEXT) | instid1(VALU_DEP_3)
	v_dual_lshrrev_b32 v32, 29, v6 :: v_dual_bitop2_b32 v27, v27, v32 bitop3:0x14
	v_dual_lshrrev_b32 v6, 30, v6 :: v_dual_sub_nc_u32 v29, 31, v33
	v_lshlrev_b32_e32 v34, 23, v33
	s_delay_alu instid0(VALU_DEP_2) | instskip(NEXT) | instid1(VALU_DEP_4)
	v_alignbit_b32 v31, v31, v28, v29
	v_alignbit_b32 v27, v28, v27, v29
	v_lshlrev_b32_e32 v28, 31, v32
	s_delay_alu instid0(VALU_DEP_2) | instskip(NEXT) | instid1(VALU_DEP_2)
	v_alignbit_b32 v29, v31, v27, 9
	v_dual_lshrrev_b32 v31, 9, v31 :: v_dual_bitop2_b32 v32, 0.5, v28 bitop3:0x54
	v_or_b32_e32 v28, 0x33000000, v28
	s_delay_alu instid0(VALU_DEP_3) | instskip(NEXT) | instid1(VALU_DEP_3)
	v_clz_i32_u32_e32 v35, v29
	v_sub_nc_u32_e32 v32, v32, v34
	s_delay_alu instid0(VALU_DEP_2) | instskip(NEXT) | instid1(VALU_DEP_1)
	v_min_u32_e32 v34, 32, v35
	v_add_lshl_u32 v33, v34, v33, 23
	s_delay_alu instid0(VALU_DEP_3) | instskip(SKIP_1) | instid1(VALU_DEP_2)
	v_or_b32_e32 v31, v31, v32
	v_not_b32_e32 v32, v34
	v_dual_mul_f32 v35, 0x3fc90fda, v31 :: v_dual_sub_nc_u32 v28, v28, v33
	s_delay_alu instid0(VALU_DEP_2) | instskip(NEXT) | instid1(VALU_DEP_2)
	v_alignbit_b32 v27, v29, v27, v32
	v_fma_f32 v29, 0x3fc90fda, v31, -v35
	s_delay_alu instid0(VALU_DEP_2) | instskip(NEXT) | instid1(VALU_DEP_2)
	v_lshrrev_b32_e32 v27, 9, v27
	v_fmac_f32_e32 v29, 0x33a22168, v31
	s_delay_alu instid0(VALU_DEP_2) | instskip(NEXT) | instid1(VALU_DEP_1)
	v_or_b32_e32 v27, v28, v27
	v_fmac_f32_e32 v29, 0x3fc90fda, v27
	s_delay_alu instid0(VALU_DEP_1)
	v_dual_add_f32 v28, v35, v29 :: v_dual_add_nc_u32 v29, v30, v6
.LBB102_14:                             ;   in Loop: Header=BB102_4 Depth=1
	s_and_not1_saveexec_b32 s5, s27
; %bb.15:                               ;   in Loop: Header=BB102_4 Depth=1
	v_mul_f32_e64 v6, 0x3f22f983, |v25|
	s_delay_alu instid0(VALU_DEP_1) | instskip(NEXT) | instid1(VALU_DEP_1)
	v_rndne_f32_e32 v6, v6
	v_fma_f32 v28, 0xbfc90fda, v6, |v25|
	v_cvt_i32_f32_e32 v29, v6
	s_delay_alu instid0(VALU_DEP_2) | instskip(NEXT) | instid1(VALU_DEP_1)
	v_fmac_f32_e32 v28, 0xb3a22168, v6
	v_fmac_f32_e32 v28, 0xa7c234c4, v6
; %bb.16:                               ;   in Loop: Header=BB102_4 Depth=1
	s_or_b32 exec_lo, exec_lo, s5
	v_and_b32_e32 v27, 0x7fffffff, v24
                                        ; implicit-def: $vgpr32
                                        ; implicit-def: $vgpr31
	s_mov_b32 s6, exec_lo
	v_cmpx_ngt_f32_e64 0x48000000, |v24|
	s_xor_b32 s27, exec_lo, s6
	s_cbranch_execz .LBB102_18
; %bb.17:                               ;   in Loop: Header=BB102_4 Depth=1
	v_and_or_b32 v6, v27, s24, 0x800000
	v_dual_mov_b32 v41, v7 :: v_dual_mov_b32 v43, v7
	s_delay_alu instid0(VALU_DEP_2) | instskip(NEXT) | instid1(VALU_DEP_1)
	v_mul_u64_e32 v[30:31], s[18:19], v[6:7]
	v_dual_mov_b32 v33, v7 :: v_dual_mov_b32 v32, v31
	v_lshrrev_b32_e32 v31, 23, v27
	s_delay_alu instid0(VALU_DEP_2) | instskip(SKIP_1) | instid1(VALU_DEP_3)
	v_mad_nc_u64_u32 v[32:33], 0x3c439041, v6, v[32:33]
	v_mov_b32_e32 v35, v7
	v_add_nc_u32_e32 v31, 0xffffff88, v31
	s_delay_alu instid0(VALU_DEP_1) | instskip(NEXT) | instid1(VALU_DEP_4)
	v_cmp_lt_u32_e64 s5, 63, v31
	v_mov_b32_e32 v34, v33
	s_delay_alu instid0(VALU_DEP_2) | instskip(NEXT) | instid1(VALU_DEP_2)
	v_cndmask_b32_e64 v33, 0, 0xffffffc0, s5
	v_mad_nc_u64_u32 v[34:35], 0xdb629599, v6, v[34:35]
	s_delay_alu instid0(VALU_DEP_2) | instskip(NEXT) | instid1(VALU_DEP_1)
	v_dual_mov_b32 v37, v7 :: v_dual_add_nc_u32 v31, v33, v31
	v_cmp_lt_u32_e64 s6, 31, v31
	s_delay_alu instid0(VALU_DEP_3) | instskip(NEXT) | instid1(VALU_DEP_2)
	v_mov_b32_e32 v36, v35
	v_cndmask_b32_e64 v33, 0, 0xffffffe0, s6
	v_cndmask_b32_e64 v30, v34, v30, s5
	s_delay_alu instid0(VALU_DEP_3) | instskip(NEXT) | instid1(VALU_DEP_1)
	v_mad_nc_u64_u32 v[36:37], 0xf534ddc0, v6, v[36:37]
	v_dual_mov_b32 v39, v7 :: v_dual_mov_b32 v38, v37
	s_delay_alu instid0(VALU_DEP_1) | instskip(NEXT) | instid1(VALU_DEP_1)
	v_mad_nc_u64_u32 v[38:39], 0xfc2757d1, v6, v[38:39]
	v_mov_b32_e32 v40, v39
	s_delay_alu instid0(VALU_DEP_1) | instskip(NEXT) | instid1(VALU_DEP_1)
	v_mad_nc_u64_u32 v[40:41], 0x4e441529, v6, v[40:41]
	v_mov_b32_e32 v42, v41
	s_delay_alu instid0(VALU_DEP_1) | instskip(NEXT) | instid1(VALU_DEP_3)
	v_mad_nc_u64_u32 v[42:43], 0xa2f9836e, v6, v[42:43]
	v_dual_add_nc_u32 v6, v33, v31 :: v_dual_cndmask_b32 v33, v40, v36, s5
	s_delay_alu instid0(VALU_DEP_2) | instskip(NEXT) | instid1(VALU_DEP_2)
	v_cndmask_b32_e64 v35, v42, v38, s5
	v_cmp_lt_u32_e64 s7, 31, v6
	s_delay_alu instid0(VALU_DEP_4) | instskip(NEXT) | instid1(VALU_DEP_2)
	v_dual_cndmask_b32 v37, v43, v40, s5 :: v_dual_cndmask_b32 v38, v38, v34, s5
	v_cndmask_b32_e64 v31, 0, 0xffffffe0, s7
	s_delay_alu instid0(VALU_DEP_1) | instskip(NEXT) | instid1(VALU_DEP_3)
	v_dual_add_nc_u32 v6, v31, v6 :: v_dual_cndmask_b32 v31, v36, v32, s5
	v_dual_cndmask_b32 v32, v35, v33, s6 :: v_dual_cndmask_b32 v35, v37, v35, s6
	s_delay_alu instid0(VALU_DEP_4) | instskip(NEXT) | instid1(VALU_DEP_3)
	v_cndmask_b32_e64 v33, v33, v38, s6
	v_dual_sub_nc_u32 v36, 32, v6 :: v_dual_cndmask_b32 v37, v38, v31, s6
	v_cmp_eq_u32_e64 s5, 0, v6
	s_delay_alu instid0(VALU_DEP_3) | instskip(NEXT) | instid1(VALU_DEP_1)
	v_dual_cndmask_b32 v35, v35, v32, s7 :: v_dual_cndmask_b32 v32, v32, v33, s7
	v_alignbit_b32 v38, v35, v32, v36
	s_delay_alu instid0(VALU_DEP_1) | instskip(NEXT) | instid1(VALU_DEP_1)
	v_dual_cndmask_b32 v33, v33, v37, s7 :: v_dual_cndmask_b32 v6, v38, v35, s5
	v_alignbit_b32 v34, v32, v33, v36
	s_delay_alu instid0(VALU_DEP_1) | instskip(NEXT) | instid1(VALU_DEP_3)
	v_dual_cndmask_b32 v30, v31, v30, s6 :: v_dual_cndmask_b32 v31, v34, v32, s5
	v_bfe_u32 v32, v6, 29, 1
	s_delay_alu instid0(VALU_DEP_2) | instskip(NEXT) | instid1(VALU_DEP_3)
	v_cndmask_b32_e64 v30, v37, v30, s7
	v_alignbit_b32 v34, v6, v31, 30
	s_delay_alu instid0(VALU_DEP_3) | instskip(NEXT) | instid1(VALU_DEP_3)
	v_sub_nc_u32_e32 v35, 0, v32
	v_alignbit_b32 v36, v33, v30, v36
	s_delay_alu instid0(VALU_DEP_1) | instskip(NEXT) | instid1(VALU_DEP_1)
	v_dual_cndmask_b32 v33, v36, v33, s5 :: v_dual_bitop2_b32 v34, v34, v35 bitop3:0x14
	v_clz_i32_u32_e32 v36, v34
	s_delay_alu instid0(VALU_DEP_2) | instskip(SKIP_1) | instid1(VALU_DEP_3)
	v_alignbit_b32 v31, v31, v33, 30
	v_alignbit_b32 v30, v33, v30, 30
	v_min_u32_e32 v36, 32, v36
	s_delay_alu instid0(VALU_DEP_3) | instskip(NEXT) | instid1(VALU_DEP_3)
	v_xor_b32_e32 v31, v31, v35
	v_dual_lshrrev_b32 v35, 29, v6 :: v_dual_bitop2_b32 v30, v30, v35 bitop3:0x14
	s_delay_alu instid0(VALU_DEP_3) | instskip(NEXT) | instid1(VALU_DEP_1)
	v_dual_lshrrev_b32 v6, 30, v6 :: v_dual_sub_nc_u32 v33, 31, v36
	v_dual_lshlrev_b32 v37, 23, v36 :: v_dual_add_nc_u32 v32, v32, v6
	s_delay_alu instid0(VALU_DEP_2) | instskip(NEXT) | instid1(VALU_DEP_4)
	v_alignbit_b32 v34, v34, v31, v33
	v_alignbit_b32 v30, v31, v30, v33
	v_lshlrev_b32_e32 v31, 31, v35
	s_delay_alu instid0(VALU_DEP_2) | instskip(NEXT) | instid1(VALU_DEP_2)
	v_alignbit_b32 v33, v34, v30, 9
	v_dual_lshrrev_b32 v34, 9, v34 :: v_dual_bitop2_b32 v35, 0.5, v31 bitop3:0x54
	v_or_b32_e32 v31, 0x33000000, v31
	s_delay_alu instid0(VALU_DEP_3) | instskip(NEXT) | instid1(VALU_DEP_3)
	v_clz_i32_u32_e32 v38, v33
	v_sub_nc_u32_e32 v35, v35, v37
	s_delay_alu instid0(VALU_DEP_2) | instskip(NEXT) | instid1(VALU_DEP_1)
	v_min_u32_e32 v37, 32, v38
	v_add_lshl_u32 v36, v37, v36, 23
	s_delay_alu instid0(VALU_DEP_3) | instskip(SKIP_1) | instid1(VALU_DEP_2)
	v_or_b32_e32 v34, v34, v35
	v_not_b32_e32 v35, v37
	v_dual_mul_f32 v38, 0x3fc90fda, v34 :: v_dual_sub_nc_u32 v31, v31, v36
	s_delay_alu instid0(VALU_DEP_2) | instskip(NEXT) | instid1(VALU_DEP_2)
	v_alignbit_b32 v30, v33, v30, v35
	v_fma_f32 v33, 0x3fc90fda, v34, -v38
	s_delay_alu instid0(VALU_DEP_2) | instskip(NEXT) | instid1(VALU_DEP_2)
	v_lshrrev_b32_e32 v30, 9, v30
	v_fmac_f32_e32 v33, 0x33a22168, v34
	s_delay_alu instid0(VALU_DEP_2) | instskip(NEXT) | instid1(VALU_DEP_1)
	v_or_b32_e32 v30, v31, v30
	v_fmac_f32_e32 v33, 0x3fc90fda, v30
	s_delay_alu instid0(VALU_DEP_1)
	v_add_f32_e32 v31, v38, v33
.LBB102_18:                             ;   in Loop: Header=BB102_4 Depth=1
	s_and_not1_saveexec_b32 s5, s27
; %bb.19:                               ;   in Loop: Header=BB102_4 Depth=1
	v_mul_f32_e64 v6, 0x3f22f983, |v24|
	s_delay_alu instid0(VALU_DEP_1) | instskip(NEXT) | instid1(VALU_DEP_1)
	v_rndne_f32_e32 v6, v6
	v_fma_f32 v31, 0xbfc90fda, v6, |v24|
	v_cvt_i32_f32_e32 v32, v6
	s_delay_alu instid0(VALU_DEP_2) | instskip(NEXT) | instid1(VALU_DEP_1)
	v_fmac_f32_e32 v31, 0xb3a22168, v6
	v_fmac_f32_e32 v31, 0xa7c234c4, v6
; %bb.20:                               ;   in Loop: Header=BB102_4 Depth=1
	s_or_b32 exec_lo, exec_lo, s5
	v_and_b32_e32 v30, 0x7fffffff, v23
                                        ; implicit-def: $vgpr35
                                        ; implicit-def: $vgpr34
	s_mov_b32 s6, exec_lo
	v_cmpx_ngt_f32_e64 0x48000000, |v23|
	s_xor_b32 s27, exec_lo, s6
	s_cbranch_execz .LBB102_22
; %bb.21:                               ;   in Loop: Header=BB102_4 Depth=1
	v_and_or_b32 v6, v30, s24, 0x800000
	v_dual_lshrrev_b32 v33, 23, v30 :: v_dual_mov_b32 v45, v7
	s_delay_alu instid0(VALU_DEP_2) | instskip(SKIP_1) | instid1(VALU_DEP_3)
	v_mul_u64_e32 v[34:35], s[18:19], v[6:7]
	v_mov_b32_e32 v37, v7
	v_add_nc_u32_e32 v33, 0xffffff88, v33
	s_delay_alu instid0(VALU_DEP_1) | instskip(NEXT) | instid1(VALU_DEP_4)
	v_cmp_lt_u32_e64 s5, 63, v33
	v_mov_b32_e32 v36, v35
	s_delay_alu instid0(VALU_DEP_2) | instskip(NEXT) | instid1(VALU_DEP_2)
	v_cndmask_b32_e64 v35, 0, 0xffffffc0, s5
	v_mad_nc_u64_u32 v[36:37], 0x3c439041, v6, v[36:37]
	s_delay_alu instid0(VALU_DEP_1) | instskip(NEXT) | instid1(VALU_DEP_1)
	v_dual_mov_b32 v39, v7 :: v_dual_mov_b32 v38, v37
	v_mad_nc_u64_u32 v[38:39], 0xdb629599, v6, v[38:39]
	s_delay_alu instid0(VALU_DEP_1) | instskip(NEXT) | instid1(VALU_DEP_2)
	v_dual_mov_b32 v41, v7 :: v_dual_mov_b32 v40, v39
	v_cndmask_b32_e64 v34, v38, v34, s5
	s_delay_alu instid0(VALU_DEP_2) | instskip(NEXT) | instid1(VALU_DEP_1)
	v_mad_nc_u64_u32 v[40:41], 0xf534ddc0, v6, v[40:41]
	v_dual_mov_b32 v43, v7 :: v_dual_mov_b32 v42, v41
	s_delay_alu instid0(VALU_DEP_1) | instskip(NEXT) | instid1(VALU_DEP_1)
	v_mad_nc_u64_u32 v[42:43], 0xfc2757d1, v6, v[42:43]
	v_dual_mov_b32 v44, v43 :: v_dual_cndmask_b32 v41, v42, v38, s5
	s_delay_alu instid0(VALU_DEP_1) | instskip(SKIP_1) | instid1(VALU_DEP_2)
	v_mad_nc_u64_u32 v[44:45], 0x4e441529, v6, v[44:45]
	v_add_nc_u32_e32 v33, v35, v33
	v_dual_mov_b32 v47, v7 :: v_dual_mov_b32 v46, v45
	s_delay_alu instid0(VALU_DEP_2) | instskip(NEXT) | instid1(VALU_DEP_2)
	v_cmp_lt_u32_e64 s6, 31, v33
	v_mad_nc_u64_u32 v[46:47], 0xa2f9836e, v6, v[46:47]
	s_delay_alu instid0(VALU_DEP_2) | instskip(NEXT) | instid1(VALU_DEP_1)
	v_cndmask_b32_e64 v35, 0, 0xffffffe0, s6
	v_dual_add_nc_u32 v6, v35, v33 :: v_dual_cndmask_b32 v35, v44, v40, s5
	s_delay_alu instid0(VALU_DEP_3) | instskip(NEXT) | instid1(VALU_DEP_2)
	v_cndmask_b32_e64 v37, v46, v42, s5
	v_cmp_lt_u32_e64 s7, 31, v6
	v_cndmask_b32_e64 v39, v47, v44, s5
	s_delay_alu instid0(VALU_DEP_2) | instskip(NEXT) | instid1(VALU_DEP_1)
	v_cndmask_b32_e64 v33, 0, 0xffffffe0, s7
	v_dual_add_nc_u32 v6, v33, v6 :: v_dual_cndmask_b32 v33, v40, v36, s5
	s_delay_alu instid0(VALU_DEP_3) | instskip(NEXT) | instid1(VALU_DEP_2)
	v_dual_cndmask_b32 v36, v37, v35, s6 :: v_dual_cndmask_b32 v37, v39, v37, s6
	v_dual_cndmask_b32 v35, v35, v41, s6 :: v_dual_sub_nc_u32 v39, 32, v6
	s_delay_alu instid0(VALU_DEP_3) | instskip(SKIP_1) | instid1(VALU_DEP_3)
	v_cndmask_b32_e64 v40, v41, v33, s6
	v_cmp_eq_u32_e64 s5, 0, v6
	v_dual_cndmask_b32 v37, v37, v36, s7 :: v_dual_cndmask_b32 v36, v36, v35, s7
	s_delay_alu instid0(VALU_DEP_1) | instskip(NEXT) | instid1(VALU_DEP_1)
	v_alignbit_b32 v41, v37, v36, v39
	v_dual_cndmask_b32 v35, v35, v40, s7 :: v_dual_cndmask_b32 v6, v41, v37, s5
	s_delay_alu instid0(VALU_DEP_1) | instskip(NEXT) | instid1(VALU_DEP_1)
	v_alignbit_b32 v38, v36, v35, v39
	v_dual_cndmask_b32 v33, v33, v34, s6 :: v_dual_cndmask_b32 v34, v38, v36, s5
	s_delay_alu instid0(VALU_DEP_3) | instskip(NEXT) | instid1(VALU_DEP_2)
	v_bfe_u32 v36, v6, 29, 1
	v_cndmask_b32_e64 v33, v40, v33, s7
	s_delay_alu instid0(VALU_DEP_3) | instskip(NEXT) | instid1(VALU_DEP_3)
	v_alignbit_b32 v37, v6, v34, 30
	v_sub_nc_u32_e32 v38, 0, v36
	s_delay_alu instid0(VALU_DEP_3) | instskip(NEXT) | instid1(VALU_DEP_1)
	v_alignbit_b32 v39, v35, v33, v39
	v_dual_cndmask_b32 v35, v39, v35, s5 :: v_dual_bitop2_b32 v37, v37, v38 bitop3:0x14
	s_delay_alu instid0(VALU_DEP_1) | instskip(NEXT) | instid1(VALU_DEP_2)
	v_clz_i32_u32_e32 v39, v37
	v_alignbit_b32 v34, v34, v35, 30
	v_alignbit_b32 v33, v35, v33, 30
	s_delay_alu instid0(VALU_DEP_3) | instskip(NEXT) | instid1(VALU_DEP_3)
	v_min_u32_e32 v39, 32, v39
	v_xor_b32_e32 v34, v34, v38
	s_delay_alu instid0(VALU_DEP_3) | instskip(SKIP_1) | instid1(VALU_DEP_4)
	v_xor_b32_e32 v33, v33, v38
	v_dual_lshrrev_b32 v38, 29, v6 :: v_dual_lshrrev_b32 v6, 30, v6
	v_dual_sub_nc_u32 v35, 31, v39 :: v_dual_lshlrev_b32 v40, 23, v39
	s_delay_alu instid0(VALU_DEP_1) | instskip(NEXT) | instid1(VALU_DEP_4)
	v_alignbit_b32 v37, v37, v34, v35
	v_alignbit_b32 v33, v34, v33, v35
	s_delay_alu instid0(VALU_DEP_4) | instskip(NEXT) | instid1(VALU_DEP_2)
	v_lshlrev_b32_e32 v34, 31, v38
	v_alignbit_b32 v35, v37, v33, 9
	s_delay_alu instid0(VALU_DEP_2) | instskip(SKIP_1) | instid1(VALU_DEP_3)
	v_dual_lshrrev_b32 v37, 9, v37 :: v_dual_bitop2_b32 v38, 0.5, v34 bitop3:0x54
	v_or_b32_e32 v34, 0x33000000, v34
	v_clz_i32_u32_e32 v41, v35
	s_delay_alu instid0(VALU_DEP_3) | instskip(NEXT) | instid1(VALU_DEP_2)
	v_sub_nc_u32_e32 v38, v38, v40
	v_min_u32_e32 v40, 32, v41
	s_delay_alu instid0(VALU_DEP_1) | instskip(NEXT) | instid1(VALU_DEP_3)
	v_add_lshl_u32 v39, v40, v39, 23
	v_or_b32_e32 v37, v37, v38
	v_not_b32_e32 v38, v40
	s_delay_alu instid0(VALU_DEP_2) | instskip(NEXT) | instid1(VALU_DEP_2)
	v_dual_mul_f32 v41, 0x3fc90fda, v37 :: v_dual_sub_nc_u32 v34, v34, v39
	v_alignbit_b32 v33, v35, v33, v38
	s_delay_alu instid0(VALU_DEP_2) | instskip(NEXT) | instid1(VALU_DEP_2)
	v_fma_f32 v35, 0x3fc90fda, v37, -v41
	v_lshrrev_b32_e32 v33, 9, v33
	s_delay_alu instid0(VALU_DEP_2) | instskip(NEXT) | instid1(VALU_DEP_2)
	v_fmac_f32_e32 v35, 0x33a22168, v37
	v_or_b32_e32 v33, v34, v33
	s_delay_alu instid0(VALU_DEP_1) | instskip(NEXT) | instid1(VALU_DEP_1)
	v_fmac_f32_e32 v35, 0x3fc90fda, v33
	v_dual_add_f32 v34, v41, v35 :: v_dual_add_nc_u32 v35, v36, v6
.LBB102_22:                             ;   in Loop: Header=BB102_4 Depth=1
	s_and_not1_saveexec_b32 s5, s27
; %bb.23:                               ;   in Loop: Header=BB102_4 Depth=1
	v_mul_f32_e64 v6, 0x3f22f983, |v23|
	s_delay_alu instid0(VALU_DEP_1) | instskip(NEXT) | instid1(VALU_DEP_1)
	v_rndne_f32_e32 v6, v6
	v_fma_f32 v34, 0xbfc90fda, v6, |v23|
	v_cvt_i32_f32_e32 v35, v6
	s_delay_alu instid0(VALU_DEP_2) | instskip(NEXT) | instid1(VALU_DEP_1)
	v_fmac_f32_e32 v34, 0xb3a22168, v6
	v_fmac_f32_e32 v34, 0xa7c234c4, v6
; %bb.24:                               ;   in Loop: Header=BB102_4 Depth=1
	s_or_b32 exec_lo, exec_lo, s5
	v_and_b32_e32 v33, 0x7fffffff, v22
                                        ; implicit-def: $vgpr36
                                        ; implicit-def: $vgpr6
	s_mov_b32 s6, exec_lo
	v_cmpx_ngt_f32_e64 0x48000000, |v22|
	s_xor_b32 s27, exec_lo, s6
	s_cbranch_execnz .LBB102_30
; %bb.25:                               ;   in Loop: Header=BB102_4 Depth=1
	s_and_not1_saveexec_b32 s5, s27
	s_cbranch_execnz .LBB102_31
.LBB102_26:                             ;   in Loop: Header=BB102_4 Depth=1
	s_or_b32 exec_lo, exec_lo, s5
	s_and_saveexec_b32 s5, s4
	s_delay_alu instid0(SALU_CYCLE_1)
	s_xor_b32 s5, exec_lo, s5
	s_cbranch_execnz .LBB102_32
.LBB102_27:                             ;   in Loop: Header=BB102_4 Depth=1
	s_or_b32 exec_lo, exec_lo, s5
	s_and_saveexec_b32 s4, s3
	s_cbranch_execnz .LBB102_33
.LBB102_28:                             ;   in Loop: Header=BB102_4 Depth=1
	s_or_b32 exec_lo, exec_lo, s4
	s_and_saveexec_b32 s3, s2
	s_cbranch_execnz .LBB102_34
.LBB102_29:                             ;   in Loop: Header=BB102_4 Depth=1
	s_or_b32 exec_lo, exec_lo, s3
	s_and_saveexec_b32 s2, vcc_lo
	s_cbranch_execz .LBB102_3
	s_branch .LBB102_35
.LBB102_30:                             ;   in Loop: Header=BB102_4 Depth=1
	v_and_or_b32 v6, v33, s24, 0x800000
	v_mov_b32_e32 v47, v7
	s_delay_alu instid0(VALU_DEP_2) | instskip(NEXT) | instid1(VALU_DEP_1)
	v_mul_u64_e32 v[36:37], s[18:19], v[6:7]
	v_dual_mov_b32 v39, v7 :: v_dual_mov_b32 v38, v37
	v_lshrrev_b32_e32 v37, 23, v33
	s_delay_alu instid0(VALU_DEP_2) | instskip(SKIP_1) | instid1(VALU_DEP_3)
	v_mad_nc_u64_u32 v[38:39], 0x3c439041, v6, v[38:39]
	v_mov_b32_e32 v41, v7
	v_add_nc_u32_e32 v37, 0xffffff88, v37
	s_delay_alu instid0(VALU_DEP_1) | instskip(NEXT) | instid1(VALU_DEP_4)
	v_cmp_lt_u32_e64 s5, 63, v37
	v_mov_b32_e32 v40, v39
	s_delay_alu instid0(VALU_DEP_2) | instskip(NEXT) | instid1(VALU_DEP_2)
	v_cndmask_b32_e64 v39, 0, 0xffffffc0, s5
	v_mad_nc_u64_u32 v[40:41], 0xdb629599, v6, v[40:41]
	s_delay_alu instid0(VALU_DEP_1) | instskip(NEXT) | instid1(VALU_DEP_2)
	v_dual_mov_b32 v43, v7 :: v_dual_mov_b32 v42, v41
	v_cndmask_b32_e64 v36, v40, v36, s5
	s_delay_alu instid0(VALU_DEP_2) | instskip(NEXT) | instid1(VALU_DEP_1)
	v_mad_nc_u64_u32 v[42:43], 0xf534ddc0, v6, v[42:43]
	v_dual_mov_b32 v45, v7 :: v_dual_mov_b32 v44, v43
	s_delay_alu instid0(VALU_DEP_1) | instskip(NEXT) | instid1(VALU_DEP_1)
	v_mad_nc_u64_u32 v[44:45], 0xfc2757d1, v6, v[44:45]
	v_mov_b32_e32 v46, v45
	s_delay_alu instid0(VALU_DEP_1) | instskip(SKIP_2) | instid1(VALU_DEP_2)
	v_mad_nc_u64_u32 v[46:47], 0x4e441529, v6, v[46:47]
	v_add_nc_u32_e32 v37, v39, v37
	v_mov_b32_e32 v49, v7
	v_cmp_lt_u32_e64 s6, 31, v37
	s_delay_alu instid0(VALU_DEP_4) | instskip(NEXT) | instid1(VALU_DEP_2)
	v_mov_b32_e32 v48, v47
	v_cndmask_b32_e64 v39, 0, 0xffffffe0, s6
	s_delay_alu instid0(VALU_DEP_2) | instskip(NEXT) | instid1(VALU_DEP_2)
	v_mad_nc_u64_u32 v[48:49], 0xa2f9836e, v6, v[48:49]
	v_dual_add_nc_u32 v6, v39, v37 :: v_dual_cndmask_b32 v39, v46, v42, s5
	s_delay_alu instid0(VALU_DEP_2) | instskip(NEXT) | instid1(VALU_DEP_2)
	v_cndmask_b32_e64 v41, v48, v44, s5
	v_cmp_lt_u32_e64 s7, 31, v6
	s_delay_alu instid0(VALU_DEP_4) | instskip(NEXT) | instid1(VALU_DEP_2)
	v_dual_cndmask_b32 v43, v49, v46, s5 :: v_dual_cndmask_b32 v44, v44, v40, s5
	v_cndmask_b32_e64 v37, 0, 0xffffffe0, s7
	s_delay_alu instid0(VALU_DEP_1) | instskip(SKIP_1) | instid1(VALU_DEP_4)
	v_add_nc_u32_e32 v6, v37, v6
	v_dual_cndmask_b32 v37, v42, v38, s5 :: v_dual_cndmask_b32 v38, v41, v39, s6
	v_cndmask_b32_e64 v41, v43, v41, s6
	s_delay_alu instid0(VALU_DEP_3) | instskip(NEXT) | instid1(VALU_DEP_3)
	v_dual_cndmask_b32 v39, v39, v44, s6 :: v_dual_sub_nc_u32 v42, 32, v6
	v_cndmask_b32_e64 v43, v44, v37, s6
	v_cmp_eq_u32_e64 s5, 0, v6
	s_delay_alu instid0(VALU_DEP_3) | instskip(NEXT) | instid1(VALU_DEP_1)
	v_dual_cndmask_b32 v41, v41, v38, s7 :: v_dual_cndmask_b32 v38, v38, v39, s7
	v_alignbit_b32 v44, v41, v38, v42
	s_delay_alu instid0(VALU_DEP_1) | instskip(NEXT) | instid1(VALU_DEP_1)
	v_dual_cndmask_b32 v39, v39, v43, s7 :: v_dual_cndmask_b32 v6, v44, v41, s5
	v_alignbit_b32 v40, v38, v39, v42
	s_delay_alu instid0(VALU_DEP_1) | instskip(NEXT) | instid1(VALU_DEP_3)
	v_dual_cndmask_b32 v36, v37, v36, s6 :: v_dual_cndmask_b32 v37, v40, v38, s5
	v_bfe_u32 v38, v6, 29, 1
	s_delay_alu instid0(VALU_DEP_2) | instskip(NEXT) | instid1(VALU_DEP_3)
	v_cndmask_b32_e64 v36, v43, v36, s7
	v_alignbit_b32 v40, v6, v37, 30
	s_delay_alu instid0(VALU_DEP_3) | instskip(NEXT) | instid1(VALU_DEP_3)
	v_sub_nc_u32_e32 v41, 0, v38
	v_alignbit_b32 v42, v39, v36, v42
	s_delay_alu instid0(VALU_DEP_1) | instskip(NEXT) | instid1(VALU_DEP_1)
	v_dual_cndmask_b32 v39, v42, v39, s5 :: v_dual_bitop2_b32 v40, v40, v41 bitop3:0x14
	v_clz_i32_u32_e32 v42, v40
	s_delay_alu instid0(VALU_DEP_2) | instskip(SKIP_1) | instid1(VALU_DEP_3)
	v_alignbit_b32 v37, v37, v39, 30
	v_alignbit_b32 v36, v39, v36, 30
	v_min_u32_e32 v42, 32, v42
	s_delay_alu instid0(VALU_DEP_3) | instskip(NEXT) | instid1(VALU_DEP_3)
	v_xor_b32_e32 v37, v37, v41
	v_dual_lshrrev_b32 v41, 29, v6 :: v_dual_bitop2_b32 v36, v36, v41 bitop3:0x14
	s_delay_alu instid0(VALU_DEP_3) | instskip(NEXT) | instid1(VALU_DEP_1)
	v_dual_sub_nc_u32 v39, 31, v42 :: v_dual_lshlrev_b32 v43, 23, v42
	v_alignbit_b32 v40, v40, v37, v39
	s_delay_alu instid0(VALU_DEP_3) | instskip(NEXT) | instid1(VALU_DEP_4)
	v_alignbit_b32 v36, v37, v36, v39
	v_lshlrev_b32_e32 v37, 31, v41
	s_delay_alu instid0(VALU_DEP_2) | instskip(NEXT) | instid1(VALU_DEP_2)
	v_alignbit_b32 v39, v40, v36, 9
	v_dual_lshrrev_b32 v40, 9, v40 :: v_dual_bitop2_b32 v41, 0.5, v37 bitop3:0x54
	v_or_b32_e32 v37, 0x33000000, v37
	s_delay_alu instid0(VALU_DEP_3) | instskip(NEXT) | instid1(VALU_DEP_3)
	v_clz_i32_u32_e32 v44, v39
	v_sub_nc_u32_e32 v41, v41, v43
	s_delay_alu instid0(VALU_DEP_2) | instskip(NEXT) | instid1(VALU_DEP_1)
	v_min_u32_e32 v43, 32, v44
	v_add_lshl_u32 v42, v43, v42, 23
	s_delay_alu instid0(VALU_DEP_3) | instskip(SKIP_1) | instid1(VALU_DEP_2)
	v_or_b32_e32 v40, v40, v41
	v_not_b32_e32 v41, v43
	v_dual_mul_f32 v44, 0x3fc90fda, v40 :: v_dual_sub_nc_u32 v37, v37, v42
	s_delay_alu instid0(VALU_DEP_2) | instskip(NEXT) | instid1(VALU_DEP_2)
	v_alignbit_b32 v36, v39, v36, v41
	v_fma_f32 v39, 0x3fc90fda, v40, -v44
	s_delay_alu instid0(VALU_DEP_2) | instskip(NEXT) | instid1(VALU_DEP_2)
	v_lshrrev_b32_e32 v36, 9, v36
	v_fmac_f32_e32 v39, 0x33a22168, v40
	s_delay_alu instid0(VALU_DEP_2) | instskip(NEXT) | instid1(VALU_DEP_1)
	v_or_b32_e32 v36, v37, v36
	v_dual_fmac_f32 v39, 0x3fc90fda, v36 :: v_dual_lshrrev_b32 v36, 30, v6
	s_delay_alu instid0(VALU_DEP_1)
	v_dual_add_nc_u32 v36, v38, v36 :: v_dual_add_f32 v6, v44, v39
	s_and_not1_saveexec_b32 s5, s27
	s_cbranch_execz .LBB102_26
.LBB102_31:                             ;   in Loop: Header=BB102_4 Depth=1
	v_mul_f32_e64 v6, 0x3f22f983, |v22|
	s_delay_alu instid0(VALU_DEP_1) | instskip(NEXT) | instid1(VALU_DEP_1)
	v_rndne_f32_e32 v36, v6
	v_fma_f32 v6, 0xbfc90fda, v36, |v22|
	s_delay_alu instid0(VALU_DEP_1) | instskip(NEXT) | instid1(VALU_DEP_1)
	v_fmac_f32_e32 v6, 0xb3a22168, v36
	v_fmac_f32_e32 v6, 0xa7c234c4, v36
	v_cvt_i32_f32_e32 v36, v36
	s_or_b32 exec_lo, exec_lo, s5
	s_and_saveexec_b32 s5, s4
	s_delay_alu instid0(SALU_CYCLE_1)
	s_xor_b32 s5, exec_lo, s5
	s_cbranch_execz .LBB102_27
.LBB102_32:                             ;   in Loop: Header=BB102_4 Depth=1
	v_dual_mul_f32 v37, v28, v28 :: v_dual_bitop2_b32 v29, 1, v29 bitop3:0x40
	s_delay_alu instid0(VALU_DEP_1) | instskip(SKIP_1) | instid1(VALU_DEP_3)
	v_fmaak_f32 v38, s26, v37, 0xbf039337
	v_fmaak_f32 v39, s25, v37, 0x3ec54587
	v_cmp_eq_u32_e64 s4, 0, v29
	s_delay_alu instid0(VALU_DEP_3) | instskip(NEXT) | instid1(VALU_DEP_1)
	v_fmaak_f32 v38, v37, v38, 0x3f93f425
	v_rcp_f32_e32 v38, v38
	v_nop
	s_delay_alu instid0(TRANS32_DEP_1) | instskip(NEXT) | instid1(VALU_DEP_1)
	v_mul_f32_e32 v38, v39, v38
	v_mul_f32_e32 v37, v37, v38
	s_delay_alu instid0(VALU_DEP_1) | instskip(NEXT) | instid1(VALU_DEP_1)
	v_fma_f32 v38, v37, v28, v28
	v_rcp_f32_e32 v39, v38
	v_sub_f32_e32 v40, v38, v28
	s_delay_alu instid0(VALU_DEP_1) | instskip(NEXT) | instid1(TRANS32_DEP_1)
	v_fma_f32 v28, v37, v28, -v40
	v_fma_f32 v37, v38, -v39, 1.0
	s_delay_alu instid0(VALU_DEP_1) | instskip(NEXT) | instid1(VALU_DEP_1)
	v_fma_f32 v28, v28, -v39, v37
	v_fma_f32 v28, v28, -v39, -v39
	s_delay_alu instid0(VALU_DEP_1) | instskip(SKIP_1) | instid1(VALU_DEP_2)
	v_cndmask_b32_e64 v28, v28, v38, s4
	v_cmp_class_f32_e64 s4, v25, 0x1f8
	v_xor3_b32 v26, v26, v28, v25
	s_delay_alu instid0(VALU_DEP_1) | instskip(NEXT) | instid1(VALU_DEP_1)
	v_cndmask_b32_e64 v25, 0x7fc00000, v26, s4
	v_bfe_u32 v26, v25, 16, 1
	v_cmp_o_f32_e64 s4, v25, v25
	s_delay_alu instid0(VALU_DEP_2) | instskip(NEXT) | instid1(VALU_DEP_1)
	v_add3_u32 v26, v25, v26, 0x7fff
	v_lshrrev_b32_e32 v26, 16, v26
	s_delay_alu instid0(VALU_DEP_1)
	v_cndmask_b32_e64 v25, 0x7fc0, v26, s4
	global_store_b16 v[10:11], v25, off
	s_wait_xcnt 0x0
	s_or_b32 exec_lo, exec_lo, s5
	s_and_saveexec_b32 s4, s3
	s_cbranch_execz .LBB102_28
.LBB102_33:                             ;   in Loop: Header=BB102_4 Depth=1
	v_mul_f32_e32 v25, v31, v31
	s_delay_alu instid0(VALU_DEP_1) | instskip(SKIP_1) | instid1(VALU_DEP_2)
	v_fmaak_f32 v26, s26, v25, 0xbf039337
	v_fmaak_f32 v28, s25, v25, 0x3ec54587
	;; [unrolled: 1-line block ×3, first 2 shown]
	s_delay_alu instid0(VALU_DEP_1) | instskip(SKIP_1) | instid1(TRANS32_DEP_1)
	v_rcp_f32_e32 v26, v26
	v_nop
	v_mul_f32_e32 v26, v28, v26
	s_delay_alu instid0(VALU_DEP_1) | instskip(NEXT) | instid1(VALU_DEP_1)
	v_mul_f32_e32 v25, v25, v26
	v_fma_f32 v26, v25, v31, v31
	s_delay_alu instid0(VALU_DEP_1) | instskip(NEXT) | instid1(VALU_DEP_1)
	v_sub_f32_e32 v29, v26, v31
	v_fma_f32 v25, v25, v31, -v29
	v_rcp_f32_e32 v28, v26
	v_nop
	s_delay_alu instid0(TRANS32_DEP_1) | instskip(NEXT) | instid1(VALU_DEP_1)
	v_fma_f32 v29, v26, -v28, 1.0
	v_fma_f32 v25, v25, -v28, v29
	s_delay_alu instid0(VALU_DEP_1) | instskip(SKIP_1) | instid1(VALU_DEP_1)
	v_fma_f32 v25, v25, -v28, -v28
	v_and_b32_e32 v29, 1, v32
	v_cmp_eq_u32_e64 s3, 0, v29
	s_delay_alu instid0(VALU_DEP_1) | instskip(SKIP_1) | instid1(VALU_DEP_2)
	v_cndmask_b32_e64 v25, v25, v26, s3
	v_cmp_class_f32_e64 s3, v24, 0x1f8
	v_xor3_b32 v25, v27, v25, v24
	s_delay_alu instid0(VALU_DEP_1) | instskip(NEXT) | instid1(VALU_DEP_1)
	v_cndmask_b32_e64 v24, 0x7fc00000, v25, s3
	v_bfe_u32 v25, v24, 16, 1
	v_cmp_o_f32_e64 s3, v24, v24
	s_delay_alu instid0(VALU_DEP_2) | instskip(NEXT) | instid1(VALU_DEP_1)
	v_add3_u32 v25, v24, v25, 0x7fff
	v_lshrrev_b32_e32 v25, 16, v25
	s_delay_alu instid0(VALU_DEP_1)
	v_cndmask_b32_e64 v24, 0x7fc0, v25, s3
	global_store_b16 v[16:17], v24, off
	s_wait_xcnt 0x0
	s_or_b32 exec_lo, exec_lo, s4
	s_and_saveexec_b32 s3, s2
	s_cbranch_execz .LBB102_29
.LBB102_34:                             ;   in Loop: Header=BB102_4 Depth=1
	v_mul_f32_e32 v24, v34, v34
	s_delay_alu instid0(VALU_DEP_1) | instskip(SKIP_1) | instid1(VALU_DEP_2)
	v_fmaak_f32 v25, s26, v24, 0xbf039337
	v_fmaak_f32 v26, s25, v24, 0x3ec54587
	;; [unrolled: 1-line block ×3, first 2 shown]
	s_delay_alu instid0(VALU_DEP_1) | instskip(SKIP_1) | instid1(TRANS32_DEP_1)
	v_rcp_f32_e32 v25, v25
	v_nop
	v_mul_f32_e32 v25, v26, v25
	s_delay_alu instid0(VALU_DEP_1) | instskip(NEXT) | instid1(VALU_DEP_1)
	v_mul_f32_e32 v24, v24, v25
	v_fma_f32 v25, v24, v34, v34
	s_delay_alu instid0(VALU_DEP_1) | instskip(SKIP_1) | instid1(VALU_DEP_1)
	v_rcp_f32_e32 v26, v25
	v_sub_f32_e32 v27, v25, v34
	v_fma_f32 v24, v24, v34, -v27
	s_delay_alu instid0(TRANS32_DEP_1) | instskip(NEXT) | instid1(VALU_DEP_1)
	v_fma_f32 v27, v25, -v26, 1.0
	v_dual_fma_f32 v24, v24, -v26, v27 :: v_dual_bitop2_b32 v27, 1, v35 bitop3:0x40
	s_delay_alu instid0(VALU_DEP_1) | instskip(NEXT) | instid1(VALU_DEP_2)
	v_fma_f32 v24, v24, -v26, -v26
	v_cmp_eq_u32_e64 s2, 0, v27
	s_delay_alu instid0(VALU_DEP_1) | instskip(SKIP_1) | instid1(VALU_DEP_2)
	v_cndmask_b32_e64 v24, v24, v25, s2
	v_cmp_class_f32_e64 s2, v23, 0x1f8
	v_xor3_b32 v24, v30, v24, v23
	s_delay_alu instid0(VALU_DEP_1) | instskip(NEXT) | instid1(VALU_DEP_1)
	v_cndmask_b32_e64 v23, 0x7fc00000, v24, s2
	v_bfe_u32 v24, v23, 16, 1
	v_cmp_o_f32_e64 s2, v23, v23
	s_delay_alu instid0(VALU_DEP_2) | instskip(NEXT) | instid1(VALU_DEP_1)
	v_add3_u32 v24, v23, v24, 0x7fff
	v_lshrrev_b32_e32 v24, 16, v24
	s_delay_alu instid0(VALU_DEP_1)
	v_cndmask_b32_e64 v23, 0x7fc0, v24, s2
	global_store_b16 v[20:21], v23, off
	s_wait_xcnt 0x0
	s_or_b32 exec_lo, exec_lo, s3
	s_and_saveexec_b32 s2, vcc_lo
	s_cbranch_execz .LBB102_3
.LBB102_35:                             ;   in Loop: Header=BB102_4 Depth=1
	v_mul_f32_e32 v20, v6, v6
	s_delay_alu instid0(VALU_DEP_1) | instskip(SKIP_1) | instid1(VALU_DEP_2)
	v_fmaak_f32 v21, s26, v20, 0xbf039337
	v_fmaak_f32 v23, s25, v20, 0x3ec54587
	v_fmaak_f32 v21, v20, v21, 0x3f93f425
	s_delay_alu instid0(VALU_DEP_1) | instskip(SKIP_1) | instid1(TRANS32_DEP_1)
	v_rcp_f32_e32 v21, v21
	v_nop
	v_mul_f32_e32 v21, v23, v21
	s_delay_alu instid0(VALU_DEP_1) | instskip(NEXT) | instid1(VALU_DEP_1)
	v_mul_f32_e32 v20, v20, v21
	v_fma_f32 v21, v20, v6, v6
	s_delay_alu instid0(VALU_DEP_1) | instskip(NEXT) | instid1(VALU_DEP_1)
	v_sub_f32_e32 v24, v21, v6
	v_fma_f32 v6, v20, v6, -v24
	v_rcp_f32_e32 v23, v21
	v_nop
	s_delay_alu instid0(TRANS32_DEP_1) | instskip(NEXT) | instid1(VALU_DEP_1)
	v_fma_f32 v20, v21, -v23, 1.0
	v_dual_fma_f32 v6, v6, -v23, v20 :: v_dual_bitop2_b32 v20, 1, v36 bitop3:0x40
	s_delay_alu instid0(VALU_DEP_1) | instskip(NEXT) | instid1(VALU_DEP_2)
	v_fma_f32 v6, v6, -v23, -v23
	v_cmp_eq_u32_e32 vcc_lo, 0, v20
	s_delay_alu instid0(VALU_DEP_2) | instskip(SKIP_1) | instid1(VALU_DEP_2)
	v_cndmask_b32_e32 v6, v6, v21, vcc_lo
	v_cmp_class_f32_e64 vcc_lo, v22, 0x1f8
	v_xor3_b32 v6, v33, v6, v22
	s_delay_alu instid0(VALU_DEP_1) | instskip(NEXT) | instid1(VALU_DEP_1)
	v_cndmask_b32_e32 v6, 0x7fc00000, v6, vcc_lo
	v_bfe_u32 v20, v6, 16, 1
	v_cmp_o_f32_e32 vcc_lo, v6, v6
	s_delay_alu instid0(VALU_DEP_2) | instskip(NEXT) | instid1(VALU_DEP_1)
	v_add3_u32 v20, v6, v20, 0x7fff
	v_lshrrev_b32_e32 v20, 16, v20
	s_delay_alu instid0(VALU_DEP_1)
	v_cndmask_b32_e32 v6, 0x7fc0, v20, vcc_lo
	global_store_b16 v[18:19], v6, off
	s_branch .LBB102_3
.LBB102_36:
	s_cbranch_execz .LBB102_38
	s_branch .LBB102_57
.LBB102_37:
.LBB102_38:
	v_min_i64 v[2:3], 0x10000, s[12:13]
	v_dual_mov_b32 v5, 0 :: v_dual_lshlrev_b32 v4, 2, v0
	s_mov_b32 s2, exec_lo
	s_delay_alu instid0(VALU_DEP_1)
	v_cmpx_lt_i64_e64 v[4:5], v[2:3]
	s_cbranch_execz .LBB102_57
; %bb.39:
	s_load_b32 s2, s[0:1], 0xd3c
	v_dual_mov_b32 v1, v5 :: v_dual_lshlrev_b32 v4, 3, v0
	s_wait_xcnt 0x0
	s_add_nc_u64 s[0:1], s[8:9], s[10:11]
	s_mov_b32 s3, 0
	s_mov_b32 s8, 0x7fffff
	s_mov_b64 s[4:5], 0xfe5163ab
	v_add_nc_u64_e32 v[6:7], s[0:1], v[4:5]
	s_mov_b32 s9, 0xbc8cedd3
	s_mov_b32 s10, 0x3c971480
	;; [unrolled: 1-line block ×4, first 2 shown]
	s_wait_kmcnt 0x0
	s_and_b32 s2, s2, 0xffff
	s_delay_alu instid0(SALU_CYCLE_1)
	s_lshl_b32 s6, s2, 3
	s_branch .LBB102_41
.LBB102_40:                             ;   in Loop: Header=BB102_41 Depth=1
	s_or_b32 exec_lo, exec_lo, s0
	v_dual_mul_f32 v23, v19, v19 :: v_dual_mul_f32 v24, v16, v16
	v_mul_f32_e32 v26, v4, v4
	v_add_nc_u64_e32 v[0:1], s[2:3], v[0:1]
	v_and_b32_e32 v21, 1, v21
	s_delay_alu instid0(VALU_DEP_4) | instskip(NEXT) | instid1(VALU_DEP_4)
	v_fmaak_f32 v27, s10, v23, 0xbf039337
	v_dual_mul_f32 v25, v12, v12 :: v_dual_fmaak_f32 v30, s10, v26, 0xbf039337
	v_fmaak_f32 v28, s10, v24, 0xbf039337
	v_dual_fmaak_f32 v31, s9, v23, 0x3ec54587 :: v_dual_fmaak_f32 v32, s9, v24, 0x3ec54587
	s_delay_alu instid0(VALU_DEP_3) | instskip(NEXT) | instid1(VALU_DEP_3)
	v_fmaak_f32 v29, s10, v25, 0xbf039337
	v_dual_fmaak_f32 v27, v23, v27, 0x3f93f425 :: v_dual_fmaak_f32 v28, v24, v28, 0x3f93f425
	v_fmaak_f32 v30, v26, v30, 0x3f93f425
	v_dual_fmaak_f32 v33, s9, v25, 0x3ec54587 :: v_dual_fmaak_f32 v34, s9, v26, 0x3ec54587
	s_delay_alu instid0(VALU_DEP_4) | instskip(NEXT) | instid1(VALU_DEP_4)
	v_fmaak_f32 v29, v25, v29, 0x3f93f425
	v_rcp_f32_e32 v27, v27
	s_delay_alu instid0(VALU_DEP_3)
	v_rcp_f32_e32 v30, v30
	v_rcp_f32_e32 v28, v28
	v_cmp_eq_u32_e32 vcc_lo, 0, v21
	v_rcp_f32_e32 v29, v29
	v_and_b32_e32 v14, 1, v14
	v_dual_mul_f32 v27, v31, v27 :: v_dual_bitop2_b32 v22, 1, v22 bitop3:0x40
	s_delay_alu instid0(TRANS32_DEP_2)
	v_dual_mul_f32 v30, v34, v30 :: v_dual_mul_f32 v28, v32, v28
	s_delay_alu instid0(TRANS32_DEP_1) | instid1(VALU_DEP_2)
	v_dual_mul_f32 v29, v33, v29 :: v_dual_mul_f32 v23, v23, v27
	s_delay_alu instid0(VALU_DEP_2) | instskip(NEXT) | instid1(VALU_DEP_2)
	v_dual_mul_f32 v24, v24, v28 :: v_dual_bitop2_b32 v17, 1, v17 bitop3:0x40
	v_dual_mul_f32 v26, v26, v30 :: v_dual_mul_f32 v25, v25, v29
	s_delay_alu instid0(VALU_DEP_2) | instskip(NEXT) | instid1(VALU_DEP_2)
	v_dual_fma_f32 v27, v23, v19, v19 :: v_dual_fma_f32 v28, v24, v16, v16
	v_fma_f32 v30, v26, v4, v4
	s_delay_alu instid0(VALU_DEP_2) | instskip(NEXT) | instid1(VALU_DEP_3)
	v_rcp_f32_e32 v32, v27
	v_dual_sub_f32 v31, v27, v19 :: v_dual_fma_f32 v29, v25, v12, v12
	s_delay_alu instid0(VALU_DEP_2) | instskip(SKIP_1) | instid1(VALU_DEP_2)
	v_sub_f32_e32 v37, v30, v4
	v_rcp_f32_e32 v34, v28
	v_dual_sub_f32 v33, v28, v16 :: v_dual_fma_f32 v19, v23, v19, -v31
	s_delay_alu instid0(TRANS32_DEP_2) | instskip(NEXT) | instid1(VALU_DEP_3)
	v_fma_f32 v23, v27, -v32, 1.0
	v_fma_f32 v4, v26, v4, -v37
	v_rcp_f32_e32 v38, v30
	v_rcp_f32_e32 v36, v29
	s_delay_alu instid0(VALU_DEP_2) | instskip(NEXT) | instid1(TRANS32_DEP_1)
	v_fma_f32 v19, v19, -v32, v23
	v_fma_f32 v23, v29, -v36, 1.0
	s_delay_alu instid0(VALU_DEP_2) | instskip(SKIP_2) | instid1(VALU_DEP_3)
	v_fma_f32 v19, v19, -v32, -v32
	v_fma_f32 v16, v24, v16, -v33
	v_fma_f32 v24, v28, -v34, 1.0
	v_dual_cndmask_b32 v19, v19, v27, vcc_lo :: v_dual_sub_f32 v35, v29, v12
	s_delay_alu instid0(VALU_DEP_2) | instskip(SKIP_1) | instid1(VALU_DEP_3)
	v_fma_f32 v16, v16, -v34, v24
	v_cmp_eq_u32_e32 vcc_lo, 0, v17
	v_xor3_b32 v17, v18, v19, v8
	s_delay_alu instid0(VALU_DEP_3) | instskip(SKIP_1) | instid1(VALU_DEP_2)
	v_dual_fma_f32 v12, v25, v12, -v35 :: v_dual_fma_f32 v16, v16, -v34, -v34
	v_fma_f32 v25, v30, -v38, 1.0
	v_fma_f32 v12, v12, -v36, v23
	s_delay_alu instid0(VALU_DEP_3) | instskip(NEXT) | instid1(VALU_DEP_3)
	v_cndmask_b32_e32 v16, v16, v28, vcc_lo
	v_fma_f32 v4, v4, -v38, v25
	v_cmp_eq_u32_e32 vcc_lo, 0, v14
	s_delay_alu instid0(VALU_DEP_4) | instskip(NEXT) | instid1(VALU_DEP_4)
	v_fma_f32 v12, v12, -v36, -v36
	v_xor3_b32 v14, v15, v16, v13
	s_delay_alu instid0(VALU_DEP_4) | instskip(NEXT) | instid1(VALU_DEP_3)
	v_fma_f32 v4, v4, -v38, -v38
	v_cndmask_b32_e32 v12, v12, v29, vcc_lo
	v_cmp_eq_u32_e32 vcc_lo, 0, v22
	s_delay_alu instid0(VALU_DEP_2) | instskip(NEXT) | instid1(VALU_DEP_4)
	v_xor3_b32 v11, v11, v12, v10
	v_cndmask_b32_e32 v4, v4, v30, vcc_lo
	v_cmp_class_f32_e64 vcc_lo, v8, 0x1f8
	s_delay_alu instid0(VALU_DEP_2)
	v_xor3_b32 v4, v20, v4, v9
	v_cndmask_b32_e32 v8, 0x7fc00000, v17, vcc_lo
	v_cmp_class_f32_e64 vcc_lo, v13, 0x1f8
	v_cndmask_b32_e32 v12, 0x7fc00000, v14, vcc_lo
	v_cmp_class_f32_e64 vcc_lo, v10, 0x1f8
	;; [unrolled: 2-line block ×3, first 2 shown]
	s_delay_alu instid0(VALU_DEP_4) | instskip(SKIP_1) | instid1(VALU_DEP_4)
	v_bfe_u32 v9, v12, 16, 1
	v_bfe_u32 v11, v8, 16, 1
	v_bfe_u32 v13, v10, 16, 1
	v_cndmask_b32_e32 v4, 0x7fc00000, v4, vcc_lo
	s_delay_alu instid0(VALU_DEP_4)
	v_add3_u32 v9, v12, v9, 0x7fff
	v_cmp_o_f32_e32 vcc_lo, v12, v12
	v_add3_u32 v11, v8, v11, 0x7fff
	v_add3_u32 v13, v10, v13, 0x7fff
	v_bfe_u32 v14, v4, 16, 1
	v_and_b32_e32 v9, 0xffff0000, v9
	s_delay_alu instid0(VALU_DEP_3) | instskip(NEXT) | instid1(VALU_DEP_3)
	v_dual_lshrrev_b32 v11, 16, v11 :: v_dual_lshrrev_b32 v13, 16, v13
	v_add3_u32 v14, v4, v14, 0x7fff
	s_delay_alu instid0(VALU_DEP_3) | instskip(SKIP_1) | instid1(VALU_DEP_3)
	v_cndmask_b32_e32 v9, 0x7fc00000, v9, vcc_lo
	v_cmp_o_f32_e32 vcc_lo, v10, v10
	v_and_b32_e32 v14, 0xffff0000, v14
	v_cndmask_b32_e32 v10, 0x7fc0, v13, vcc_lo
	v_cmp_o_f32_e32 vcc_lo, v4, v4
	s_delay_alu instid0(VALU_DEP_2) | instskip(NEXT) | instid1(VALU_DEP_4)
	v_or_b32_e32 v10, v9, v10
	v_cndmask_b32_e32 v4, 0x7fc00000, v14, vcc_lo
	v_cmp_o_f32_e32 vcc_lo, v8, v8
	v_lshlrev_b64_e32 v[8:9], 2, v[0:1]
	s_delay_alu instid0(VALU_DEP_4) | instskip(SKIP_1) | instid1(VALU_DEP_3)
	v_or3_b32 v10, v10, 0, 0
	v_cndmask_b32_e32 v11, 0x7fc0, v11, vcc_lo
	v_cmp_ge_i64_e32 vcc_lo, v[8:9], v[2:3]
	s_delay_alu instid0(VALU_DEP_2) | instskip(SKIP_4) | instid1(SALU_CYCLE_1)
	v_or3_b32 v11, 0, v11, v4
	global_store_b64 v[6:7], v[10:11], off
	s_wait_xcnt 0x0
	v_add_nc_u64_e32 v[6:7], s[6:7], v[6:7]
	s_or_b32 s11, vcc_lo, s11
	s_and_not1_b32 exec_lo, exec_lo, s11
	s_cbranch_execz .LBB102_57
.LBB102_41:                             ; =>This Inner Loop Header: Depth=1
	global_load_b64 v[8:9], v[6:7], off
                                        ; implicit-def: $vgpr14
                                        ; implicit-def: $vgpr12
	s_mov_b32 s1, exec_lo
	s_wait_loadcnt 0x0
	v_lshlrev_b32_e32 v10, 16, v8
	s_delay_alu instid0(VALU_DEP_1)
	v_and_b32_e32 v11, 0x7fffffff, v10
	s_wait_xcnt 0x0
	v_cmpx_ngt_f32_e64 0x48000000, |v10|
	s_xor_b32 s12, exec_lo, s1
	s_cbranch_execz .LBB102_43
; %bb.42:                               ;   in Loop: Header=BB102_41 Depth=1
	v_and_or_b32 v4, v11, s8, 0x800000
	v_dual_mov_b32 v23, v5 :: v_dual_mov_b32 v25, v5
	s_delay_alu instid0(VALU_DEP_2) | instskip(NEXT) | instid1(VALU_DEP_1)
	v_mul_u64_e32 v[12:13], s[4:5], v[4:5]
	v_dual_mov_b32 v15, v5 :: v_dual_mov_b32 v14, v13
	v_lshrrev_b32_e32 v13, 23, v11
	s_delay_alu instid0(VALU_DEP_2) | instskip(SKIP_1) | instid1(VALU_DEP_3)
	v_mad_nc_u64_u32 v[14:15], 0x3c439041, v4, v[14:15]
	v_mov_b32_e32 v17, v5
	v_add_nc_u32_e32 v13, 0xffffff88, v13
	s_delay_alu instid0(VALU_DEP_1) | instskip(NEXT) | instid1(VALU_DEP_4)
	v_cmp_lt_u32_e32 vcc_lo, 63, v13
	v_mov_b32_e32 v16, v15
	v_cndmask_b32_e64 v15, 0, 0xffffffc0, vcc_lo
	s_delay_alu instid0(VALU_DEP_2) | instskip(NEXT) | instid1(VALU_DEP_2)
	v_mad_nc_u64_u32 v[16:17], 0xdb629599, v4, v[16:17]
	v_dual_mov_b32 v19, v5 :: v_dual_add_nc_u32 v13, v15, v13
	s_delay_alu instid0(VALU_DEP_1) | instskip(NEXT) | instid1(VALU_DEP_3)
	v_cmp_lt_u32_e64 s0, 31, v13
	v_mov_b32_e32 v18, v17
	s_delay_alu instid0(VALU_DEP_2) | instskip(SKIP_1) | instid1(VALU_DEP_3)
	v_cndmask_b32_e64 v15, 0, 0xffffffe0, s0
	v_cndmask_b32_e32 v12, v16, v12, vcc_lo
	v_mad_nc_u64_u32 v[18:19], 0xf534ddc0, v4, v[18:19]
	s_delay_alu instid0(VALU_DEP_1) | instskip(NEXT) | instid1(VALU_DEP_1)
	v_dual_mov_b32 v21, v5 :: v_dual_mov_b32 v20, v19
	v_mad_nc_u64_u32 v[20:21], 0xfc2757d1, v4, v[20:21]
	s_delay_alu instid0(VALU_DEP_1) | instskip(NEXT) | instid1(VALU_DEP_1)
	v_mov_b32_e32 v22, v21
	v_mad_nc_u64_u32 v[22:23], 0x4e441529, v4, v[22:23]
	s_delay_alu instid0(VALU_DEP_1) | instskip(NEXT) | instid1(VALU_DEP_1)
	v_mov_b32_e32 v24, v23
	v_mad_nc_u64_u32 v[24:25], 0xa2f9836e, v4, v[24:25]
	s_delay_alu instid0(VALU_DEP_3) | instskip(NEXT) | instid1(VALU_DEP_2)
	v_dual_cndmask_b32 v15, v22, v18 :: v_dual_add_nc_u32 v4, v15, v13
	v_cndmask_b32_e32 v17, v24, v20, vcc_lo
	s_delay_alu instid0(VALU_DEP_2) | instskip(NEXT) | instid1(VALU_DEP_4)
	v_cmp_lt_u32_e64 s1, 31, v4
	v_dual_cndmask_b32 v19, v25, v22 :: v_dual_cndmask_b32 v20, v20, v16
	s_delay_alu instid0(VALU_DEP_2) | instskip(NEXT) | instid1(VALU_DEP_1)
	v_cndmask_b32_e64 v13, 0, 0xffffffe0, s1
	v_dual_cndmask_b32 v13, v18, v14 :: v_dual_add_nc_u32 v4, v13, v4
	s_delay_alu instid0(VALU_DEP_3) | instskip(NEXT) | instid1(VALU_DEP_4)
	v_dual_cndmask_b32 v14, v17, v15, s0 :: v_dual_cndmask_b32 v17, v19, v17, s0
	v_cndmask_b32_e64 v15, v15, v20, s0
	s_delay_alu instid0(VALU_DEP_3) | instskip(SKIP_1) | instid1(VALU_DEP_3)
	v_dual_sub_nc_u32 v18, 32, v4 :: v_dual_cndmask_b32 v19, v20, v13, s0
	v_cmp_eq_u32_e32 vcc_lo, 0, v4
	v_dual_cndmask_b32 v17, v17, v14, s1 :: v_dual_cndmask_b32 v14, v14, v15, s1
	s_delay_alu instid0(VALU_DEP_1) | instskip(NEXT) | instid1(VALU_DEP_1)
	v_alignbit_b32 v20, v17, v14, v18
	v_dual_cndmask_b32 v15, v15, v19, s1 :: v_dual_cndmask_b32 v4, v20, v17, vcc_lo
	s_delay_alu instid0(VALU_DEP_1) | instskip(NEXT) | instid1(VALU_DEP_1)
	v_alignbit_b32 v16, v14, v15, v18
	v_dual_cndmask_b32 v12, v13, v12, s0 :: v_dual_cndmask_b32 v13, v16, v14, vcc_lo
	s_delay_alu instid0(VALU_DEP_3) | instskip(NEXT) | instid1(VALU_DEP_2)
	v_bfe_u32 v14, v4, 29, 1
	v_cndmask_b32_e64 v12, v19, v12, s1
	s_delay_alu instid0(VALU_DEP_3) | instskip(NEXT) | instid1(VALU_DEP_3)
	v_alignbit_b32 v16, v4, v13, 30
	v_sub_nc_u32_e32 v17, 0, v14
	s_delay_alu instid0(VALU_DEP_3) | instskip(NEXT) | instid1(VALU_DEP_1)
	v_alignbit_b32 v18, v15, v12, v18
	v_dual_cndmask_b32 v15, v18, v15, vcc_lo :: v_dual_bitop2_b32 v16, v16, v17 bitop3:0x14
	s_delay_alu instid0(VALU_DEP_1) | instskip(NEXT) | instid1(VALU_DEP_2)
	v_clz_i32_u32_e32 v18, v16
	v_alignbit_b32 v13, v13, v15, 30
	v_alignbit_b32 v12, v15, v12, 30
	s_delay_alu instid0(VALU_DEP_3) | instskip(NEXT) | instid1(VALU_DEP_3)
	v_min_u32_e32 v18, 32, v18
	v_xor_b32_e32 v13, v13, v17
	s_delay_alu instid0(VALU_DEP_3) | instskip(NEXT) | instid1(VALU_DEP_3)
	v_dual_lshrrev_b32 v17, 29, v4 :: v_dual_bitop2_b32 v12, v12, v17 bitop3:0x14
	v_dual_sub_nc_u32 v15, 31, v18 :: v_dual_lshlrev_b32 v19, 23, v18
	s_delay_alu instid0(VALU_DEP_1) | instskip(NEXT) | instid1(VALU_DEP_3)
	v_alignbit_b32 v16, v16, v13, v15
	v_alignbit_b32 v12, v13, v12, v15
	s_delay_alu instid0(VALU_DEP_4) | instskip(NEXT) | instid1(VALU_DEP_2)
	v_lshlrev_b32_e32 v13, 31, v17
	v_alignbit_b32 v15, v16, v12, 9
	s_delay_alu instid0(VALU_DEP_2) | instskip(SKIP_1) | instid1(VALU_DEP_3)
	v_dual_lshrrev_b32 v16, 9, v16 :: v_dual_bitop2_b32 v17, 0.5, v13 bitop3:0x54
	v_or_b32_e32 v13, 0x33000000, v13
	v_clz_i32_u32_e32 v20, v15
	s_delay_alu instid0(VALU_DEP_3) | instskip(NEXT) | instid1(VALU_DEP_2)
	v_sub_nc_u32_e32 v17, v17, v19
	v_min_u32_e32 v19, 32, v20
	s_delay_alu instid0(VALU_DEP_1) | instskip(NEXT) | instid1(VALU_DEP_3)
	v_add_lshl_u32 v18, v19, v18, 23
	v_or_b32_e32 v16, v16, v17
	v_not_b32_e32 v17, v19
	s_delay_alu instid0(VALU_DEP_2) | instskip(NEXT) | instid1(VALU_DEP_2)
	v_dual_mul_f32 v20, 0x3fc90fda, v16 :: v_dual_sub_nc_u32 v13, v13, v18
	v_alignbit_b32 v12, v15, v12, v17
	s_delay_alu instid0(VALU_DEP_2) | instskip(NEXT) | instid1(VALU_DEP_2)
	v_fma_f32 v15, 0x3fc90fda, v16, -v20
	v_lshrrev_b32_e32 v12, 9, v12
	s_delay_alu instid0(VALU_DEP_2) | instskip(NEXT) | instid1(VALU_DEP_2)
	v_fmac_f32_e32 v15, 0x33a22168, v16
	v_or_b32_e32 v12, v13, v12
	s_delay_alu instid0(VALU_DEP_1) | instskip(NEXT) | instid1(VALU_DEP_1)
	v_fmac_f32_e32 v15, 0x3fc90fda, v12
	v_dual_lshrrev_b32 v4, 30, v4 :: v_dual_add_f32 v12, v20, v15
	s_delay_alu instid0(VALU_DEP_1)
	v_add_nc_u32_e32 v14, v14, v4
.LBB102_43:                             ;   in Loop: Header=BB102_41 Depth=1
	s_and_not1_saveexec_b32 s0, s12
; %bb.44:                               ;   in Loop: Header=BB102_41 Depth=1
	v_mul_f32_e64 v4, 0x3f22f983, |v10|
	s_delay_alu instid0(VALU_DEP_1) | instskip(NEXT) | instid1(VALU_DEP_1)
	v_rndne_f32_e32 v4, v4
	v_fma_f32 v12, 0xbfc90fda, v4, |v10|
	v_cvt_i32_f32_e32 v14, v4
	s_delay_alu instid0(VALU_DEP_2) | instskip(NEXT) | instid1(VALU_DEP_1)
	v_fmac_f32_e32 v12, 0xb3a22168, v4
	v_fmac_f32_e32 v12, 0xa7c234c4, v4
; %bb.45:                               ;   in Loop: Header=BB102_41 Depth=1
	s_or_b32 exec_lo, exec_lo, s0
	v_and_b32_e32 v13, 0xffff0000, v8
                                        ; implicit-def: $vgpr17
                                        ; implicit-def: $vgpr16
	s_mov_b32 s1, exec_lo
	s_delay_alu instid0(VALU_DEP_1)
	v_and_b32_e32 v15, 0x7fffffff, v13
	v_cmpx_ngt_f32_e64 0x48000000, |v13|
	s_xor_b32 s12, exec_lo, s1
	s_cbranch_execz .LBB102_47
; %bb.46:                               ;   in Loop: Header=BB102_41 Depth=1
	s_delay_alu instid0(VALU_DEP_2) | instskip(SKIP_1) | instid1(VALU_DEP_2)
	v_and_or_b32 v4, v15, s8, 0x800000
	v_dual_mov_b32 v27, v5 :: v_dual_mov_b32 v29, v5
	v_mul_u64_e32 v[16:17], s[4:5], v[4:5]
	s_delay_alu instid0(VALU_DEP_1) | instskip(SKIP_1) | instid1(VALU_DEP_2)
	v_dual_mov_b32 v19, v5 :: v_dual_mov_b32 v18, v17
	v_lshrrev_b32_e32 v17, 23, v15
	v_mad_nc_u64_u32 v[18:19], 0x3c439041, v4, v[18:19]
	v_mov_b32_e32 v21, v5
	s_delay_alu instid0(VALU_DEP_3) | instskip(NEXT) | instid1(VALU_DEP_1)
	v_add_nc_u32_e32 v17, 0xffffff88, v17
	v_cmp_lt_u32_e32 vcc_lo, 63, v17
	s_delay_alu instid0(VALU_DEP_4) | instskip(SKIP_1) | instid1(VALU_DEP_2)
	v_mov_b32_e32 v20, v19
	v_cndmask_b32_e64 v19, 0, 0xffffffc0, vcc_lo
	v_mad_nc_u64_u32 v[20:21], 0xdb629599, v4, v[20:21]
	s_delay_alu instid0(VALU_DEP_2) | instskip(NEXT) | instid1(VALU_DEP_1)
	v_dual_mov_b32 v23, v5 :: v_dual_add_nc_u32 v17, v19, v17
	v_cmp_lt_u32_e64 s0, 31, v17
	s_delay_alu instid0(VALU_DEP_3) | instskip(NEXT) | instid1(VALU_DEP_2)
	v_mov_b32_e32 v22, v21
	v_cndmask_b32_e64 v19, 0, 0xffffffe0, s0
	v_cndmask_b32_e32 v16, v20, v16, vcc_lo
	s_delay_alu instid0(VALU_DEP_3) | instskip(NEXT) | instid1(VALU_DEP_1)
	v_mad_nc_u64_u32 v[22:23], 0xf534ddc0, v4, v[22:23]
	v_dual_mov_b32 v25, v5 :: v_dual_mov_b32 v24, v23
	s_delay_alu instid0(VALU_DEP_1) | instskip(NEXT) | instid1(VALU_DEP_1)
	v_mad_nc_u64_u32 v[24:25], 0xfc2757d1, v4, v[24:25]
	v_mov_b32_e32 v26, v25
	s_delay_alu instid0(VALU_DEP_1) | instskip(NEXT) | instid1(VALU_DEP_1)
	v_mad_nc_u64_u32 v[26:27], 0x4e441529, v4, v[26:27]
	v_mov_b32_e32 v28, v27
	s_delay_alu instid0(VALU_DEP_1) | instskip(NEXT) | instid1(VALU_DEP_3)
	v_mad_nc_u64_u32 v[28:29], 0xa2f9836e, v4, v[28:29]
	v_dual_cndmask_b32 v19, v26, v22 :: v_dual_add_nc_u32 v4, v19, v17
	s_delay_alu instid0(VALU_DEP_2) | instskip(NEXT) | instid1(VALU_DEP_2)
	v_cndmask_b32_e32 v21, v28, v24, vcc_lo
	v_cmp_lt_u32_e64 s1, 31, v4
	s_delay_alu instid0(VALU_DEP_4) | instskip(NEXT) | instid1(VALU_DEP_2)
	v_dual_cndmask_b32 v23, v29, v26 :: v_dual_cndmask_b32 v24, v24, v20
	v_cndmask_b32_e64 v17, 0, 0xffffffe0, s1
	s_delay_alu instid0(VALU_DEP_1) | instskip(NEXT) | instid1(VALU_DEP_3)
	v_dual_cndmask_b32 v17, v22, v18 :: v_dual_add_nc_u32 v4, v17, v4
	v_dual_cndmask_b32 v18, v21, v19, s0 :: v_dual_cndmask_b32 v21, v23, v21, s0
	s_delay_alu instid0(VALU_DEP_4) | instskip(NEXT) | instid1(VALU_DEP_3)
	v_cndmask_b32_e64 v19, v19, v24, s0
	v_dual_sub_nc_u32 v22, 32, v4 :: v_dual_cndmask_b32 v23, v24, v17, s0
	v_cmp_eq_u32_e32 vcc_lo, 0, v4
	s_delay_alu instid0(VALU_DEP_3) | instskip(NEXT) | instid1(VALU_DEP_1)
	v_dual_cndmask_b32 v21, v21, v18, s1 :: v_dual_cndmask_b32 v18, v18, v19, s1
	v_alignbit_b32 v24, v21, v18, v22
	s_delay_alu instid0(VALU_DEP_1) | instskip(NEXT) | instid1(VALU_DEP_1)
	v_dual_cndmask_b32 v19, v19, v23, s1 :: v_dual_cndmask_b32 v4, v24, v21, vcc_lo
	v_alignbit_b32 v20, v18, v19, v22
	s_delay_alu instid0(VALU_DEP_1) | instskip(NEXT) | instid1(VALU_DEP_3)
	v_dual_cndmask_b32 v16, v17, v16, s0 :: v_dual_cndmask_b32 v17, v20, v18, vcc_lo
	v_bfe_u32 v18, v4, 29, 1
	s_delay_alu instid0(VALU_DEP_2) | instskip(NEXT) | instid1(VALU_DEP_3)
	v_cndmask_b32_e64 v16, v23, v16, s1
	v_alignbit_b32 v20, v4, v17, 30
	s_delay_alu instid0(VALU_DEP_3) | instskip(NEXT) | instid1(VALU_DEP_3)
	v_sub_nc_u32_e32 v21, 0, v18
	v_alignbit_b32 v22, v19, v16, v22
	s_delay_alu instid0(VALU_DEP_1) | instskip(NEXT) | instid1(VALU_DEP_1)
	v_dual_cndmask_b32 v19, v22, v19, vcc_lo :: v_dual_bitop2_b32 v20, v20, v21 bitop3:0x14
	v_clz_i32_u32_e32 v22, v20
	s_delay_alu instid0(VALU_DEP_2) | instskip(SKIP_1) | instid1(VALU_DEP_3)
	v_alignbit_b32 v17, v17, v19, 30
	v_alignbit_b32 v16, v19, v16, 30
	v_min_u32_e32 v22, 32, v22
	s_delay_alu instid0(VALU_DEP_3) | instskip(NEXT) | instid1(VALU_DEP_3)
	v_xor_b32_e32 v17, v17, v21
	v_dual_lshrrev_b32 v21, 29, v4 :: v_dual_bitop2_b32 v16, v16, v21 bitop3:0x14
	s_delay_alu instid0(VALU_DEP_3) | instskip(NEXT) | instid1(VALU_DEP_1)
	v_dual_sub_nc_u32 v19, 31, v22 :: v_dual_lshlrev_b32 v23, 23, v22
	v_alignbit_b32 v20, v20, v17, v19
	s_delay_alu instid0(VALU_DEP_3) | instskip(NEXT) | instid1(VALU_DEP_4)
	v_alignbit_b32 v16, v17, v16, v19
	v_lshlrev_b32_e32 v17, 31, v21
	s_delay_alu instid0(VALU_DEP_2) | instskip(NEXT) | instid1(VALU_DEP_2)
	v_alignbit_b32 v19, v20, v16, 9
	v_dual_lshrrev_b32 v20, 9, v20 :: v_dual_bitop2_b32 v21, 0.5, v17 bitop3:0x54
	v_or_b32_e32 v17, 0x33000000, v17
	s_delay_alu instid0(VALU_DEP_3) | instskip(NEXT) | instid1(VALU_DEP_3)
	v_clz_i32_u32_e32 v24, v19
	v_sub_nc_u32_e32 v21, v21, v23
	s_delay_alu instid0(VALU_DEP_2) | instskip(NEXT) | instid1(VALU_DEP_1)
	v_min_u32_e32 v23, 32, v24
	v_add_lshl_u32 v22, v23, v22, 23
	s_delay_alu instid0(VALU_DEP_3) | instskip(SKIP_1) | instid1(VALU_DEP_2)
	v_or_b32_e32 v20, v20, v21
	v_not_b32_e32 v21, v23
	v_dual_mul_f32 v24, 0x3fc90fda, v20 :: v_dual_sub_nc_u32 v17, v17, v22
	s_delay_alu instid0(VALU_DEP_2) | instskip(NEXT) | instid1(VALU_DEP_2)
	v_alignbit_b32 v16, v19, v16, v21
	v_fma_f32 v19, 0x3fc90fda, v20, -v24
	s_delay_alu instid0(VALU_DEP_2) | instskip(NEXT) | instid1(VALU_DEP_2)
	v_lshrrev_b32_e32 v16, 9, v16
	v_fmac_f32_e32 v19, 0x33a22168, v20
	s_delay_alu instid0(VALU_DEP_2) | instskip(NEXT) | instid1(VALU_DEP_1)
	v_or_b32_e32 v16, v17, v16
	v_fmac_f32_e32 v19, 0x3fc90fda, v16
	s_delay_alu instid0(VALU_DEP_1) | instskip(NEXT) | instid1(VALU_DEP_1)
	v_dual_lshrrev_b32 v4, 30, v4 :: v_dual_add_f32 v16, v24, v19
	v_add_nc_u32_e32 v17, v18, v4
.LBB102_47:                             ;   in Loop: Header=BB102_41 Depth=1
	s_and_not1_saveexec_b32 s0, s12
; %bb.48:                               ;   in Loop: Header=BB102_41 Depth=1
	v_mul_f32_e64 v4, 0x3f22f983, |v13|
	s_delay_alu instid0(VALU_DEP_1) | instskip(NEXT) | instid1(VALU_DEP_1)
	v_rndne_f32_e32 v4, v4
	v_fma_f32 v16, 0xbfc90fda, v4, |v13|
	v_cvt_i32_f32_e32 v17, v4
	s_delay_alu instid0(VALU_DEP_2) | instskip(NEXT) | instid1(VALU_DEP_1)
	v_fmac_f32_e32 v16, 0xb3a22168, v4
	v_fmac_f32_e32 v16, 0xa7c234c4, v4
; %bb.49:                               ;   in Loop: Header=BB102_41 Depth=1
	s_or_b32 exec_lo, exec_lo, s0
	v_alignbit_b32 v4, v9, v8, 16
                                        ; implicit-def: $vgpr21
                                        ; implicit-def: $vgpr19
	s_mov_b32 s1, exec_lo
	s_delay_alu instid0(VALU_DEP_1) | instskip(NEXT) | instid1(VALU_DEP_1)
	v_and_b32_e32 v8, 0xffff0000, v4
	v_and_b32_e32 v18, 0x7fffffff, v8
	v_cmpx_ngt_f32_e64 0x48000000, |v8|
	s_xor_b32 s12, exec_lo, s1
	s_cbranch_execz .LBB102_51
; %bb.50:                               ;   in Loop: Header=BB102_41 Depth=1
	s_delay_alu instid0(VALU_DEP_2) | instskip(SKIP_1) | instid1(VALU_DEP_2)
	v_and_or_b32 v4, v18, s8, 0x800000
	v_dual_lshrrev_b32 v19, 23, v18 :: v_dual_mov_b32 v31, v5
	v_mul_u64_e32 v[20:21], s[4:5], v[4:5]
	v_mov_b32_e32 v23, v5
	s_delay_alu instid0(VALU_DEP_3) | instskip(NEXT) | instid1(VALU_DEP_1)
	v_add_nc_u32_e32 v19, 0xffffff88, v19
	v_cmp_lt_u32_e32 vcc_lo, 63, v19
	s_delay_alu instid0(VALU_DEP_4) | instskip(SKIP_1) | instid1(VALU_DEP_2)
	v_mov_b32_e32 v22, v21
	v_cndmask_b32_e64 v21, 0, 0xffffffc0, vcc_lo
	v_mad_nc_u64_u32 v[22:23], 0x3c439041, v4, v[22:23]
	s_delay_alu instid0(VALU_DEP_1) | instskip(NEXT) | instid1(VALU_DEP_1)
	v_dual_mov_b32 v25, v5 :: v_dual_mov_b32 v24, v23
	v_mad_nc_u64_u32 v[24:25], 0xdb629599, v4, v[24:25]
	s_delay_alu instid0(VALU_DEP_1) | instskip(NEXT) | instid1(VALU_DEP_2)
	v_dual_mov_b32 v27, v5 :: v_dual_mov_b32 v26, v25
	v_cndmask_b32_e32 v20, v24, v20, vcc_lo
	s_delay_alu instid0(VALU_DEP_2) | instskip(NEXT) | instid1(VALU_DEP_1)
	v_mad_nc_u64_u32 v[26:27], 0xf534ddc0, v4, v[26:27]
	v_dual_mov_b32 v29, v5 :: v_dual_mov_b32 v28, v27
	s_delay_alu instid0(VALU_DEP_1) | instskip(NEXT) | instid1(VALU_DEP_1)
	v_mad_nc_u64_u32 v[28:29], 0xfc2757d1, v4, v[28:29]
	v_dual_mov_b32 v30, v29 :: v_dual_cndmask_b32 v27, v28, v24
	s_delay_alu instid0(VALU_DEP_1) | instskip(SKIP_1) | instid1(VALU_DEP_2)
	v_mad_nc_u64_u32 v[30:31], 0x4e441529, v4, v[30:31]
	v_add_nc_u32_e32 v19, v21, v19
	v_dual_mov_b32 v33, v5 :: v_dual_mov_b32 v32, v31
	s_delay_alu instid0(VALU_DEP_2) | instskip(NEXT) | instid1(VALU_DEP_2)
	v_cmp_lt_u32_e64 s0, 31, v19
	v_mad_nc_u64_u32 v[32:33], 0xa2f9836e, v4, v[32:33]
	s_delay_alu instid0(VALU_DEP_2) | instskip(NEXT) | instid1(VALU_DEP_1)
	v_cndmask_b32_e64 v21, 0, 0xffffffe0, s0
	v_dual_cndmask_b32 v21, v30, v26 :: v_dual_add_nc_u32 v4, v21, v19
	s_delay_alu instid0(VALU_DEP_3) | instskip(NEXT) | instid1(VALU_DEP_2)
	v_cndmask_b32_e32 v23, v32, v28, vcc_lo
	v_cmp_lt_u32_e64 s1, 31, v4
	v_cndmask_b32_e32 v25, v33, v30, vcc_lo
	s_delay_alu instid0(VALU_DEP_2) | instskip(NEXT) | instid1(VALU_DEP_1)
	v_cndmask_b32_e64 v19, 0, 0xffffffe0, s1
	v_dual_cndmask_b32 v19, v26, v22 :: v_dual_add_nc_u32 v4, v19, v4
	s_delay_alu instid0(VALU_DEP_3) | instskip(NEXT) | instid1(VALU_DEP_2)
	v_dual_cndmask_b32 v22, v23, v21, s0 :: v_dual_cndmask_b32 v23, v25, v23, s0
	v_dual_cndmask_b32 v21, v21, v27, s0 :: v_dual_sub_nc_u32 v25, 32, v4
	s_delay_alu instid0(VALU_DEP_3) | instskip(SKIP_1) | instid1(VALU_DEP_3)
	v_cndmask_b32_e64 v26, v27, v19, s0
	v_cmp_eq_u32_e32 vcc_lo, 0, v4
	v_dual_cndmask_b32 v23, v23, v22, s1 :: v_dual_cndmask_b32 v22, v22, v21, s1
	s_delay_alu instid0(VALU_DEP_1) | instskip(NEXT) | instid1(VALU_DEP_1)
	v_alignbit_b32 v27, v23, v22, v25
	v_dual_cndmask_b32 v21, v21, v26, s1 :: v_dual_cndmask_b32 v4, v27, v23, vcc_lo
	s_delay_alu instid0(VALU_DEP_1) | instskip(NEXT) | instid1(VALU_DEP_1)
	v_alignbit_b32 v24, v22, v21, v25
	v_dual_cndmask_b32 v19, v19, v20, s0 :: v_dual_cndmask_b32 v20, v24, v22, vcc_lo
	s_delay_alu instid0(VALU_DEP_3) | instskip(NEXT) | instid1(VALU_DEP_2)
	v_bfe_u32 v22, v4, 29, 1
	v_cndmask_b32_e64 v19, v26, v19, s1
	s_delay_alu instid0(VALU_DEP_3) | instskip(NEXT) | instid1(VALU_DEP_3)
	v_alignbit_b32 v23, v4, v20, 30
	v_sub_nc_u32_e32 v24, 0, v22
	s_delay_alu instid0(VALU_DEP_3) | instskip(NEXT) | instid1(VALU_DEP_1)
	v_alignbit_b32 v25, v21, v19, v25
	v_dual_cndmask_b32 v21, v25, v21, vcc_lo :: v_dual_bitop2_b32 v23, v23, v24 bitop3:0x14
	s_delay_alu instid0(VALU_DEP_1) | instskip(NEXT) | instid1(VALU_DEP_2)
	v_clz_i32_u32_e32 v25, v23
	v_alignbit_b32 v20, v20, v21, 30
	v_alignbit_b32 v19, v21, v19, 30
	s_delay_alu instid0(VALU_DEP_3) | instskip(NEXT) | instid1(VALU_DEP_3)
	v_min_u32_e32 v25, 32, v25
	v_xor_b32_e32 v20, v20, v24
	s_delay_alu instid0(VALU_DEP_3) | instskip(SKIP_1) | instid1(VALU_DEP_4)
	v_xor_b32_e32 v19, v19, v24
	v_dual_lshrrev_b32 v24, 29, v4 :: v_dual_lshrrev_b32 v4, 30, v4
	v_dual_sub_nc_u32 v21, 31, v25 :: v_dual_lshlrev_b32 v26, 23, v25
	s_delay_alu instid0(VALU_DEP_1) | instskip(NEXT) | instid1(VALU_DEP_4)
	v_alignbit_b32 v23, v23, v20, v21
	v_alignbit_b32 v19, v20, v19, v21
	s_delay_alu instid0(VALU_DEP_4) | instskip(NEXT) | instid1(VALU_DEP_2)
	v_lshlrev_b32_e32 v20, 31, v24
	v_alignbit_b32 v21, v23, v19, 9
	s_delay_alu instid0(VALU_DEP_2) | instskip(SKIP_1) | instid1(VALU_DEP_3)
	v_dual_lshrrev_b32 v23, 9, v23 :: v_dual_bitop2_b32 v24, 0.5, v20 bitop3:0x54
	v_or_b32_e32 v20, 0x33000000, v20
	v_clz_i32_u32_e32 v27, v21
	s_delay_alu instid0(VALU_DEP_3) | instskip(NEXT) | instid1(VALU_DEP_2)
	v_sub_nc_u32_e32 v24, v24, v26
	v_min_u32_e32 v26, 32, v27
	s_delay_alu instid0(VALU_DEP_1) | instskip(NEXT) | instid1(VALU_DEP_3)
	v_add_lshl_u32 v25, v26, v25, 23
	v_or_b32_e32 v23, v23, v24
	v_not_b32_e32 v24, v26
	s_delay_alu instid0(VALU_DEP_2) | instskip(NEXT) | instid1(VALU_DEP_2)
	v_dual_mul_f32 v27, 0x3fc90fda, v23 :: v_dual_sub_nc_u32 v20, v20, v25
	v_alignbit_b32 v19, v21, v19, v24
	s_delay_alu instid0(VALU_DEP_2) | instskip(NEXT) | instid1(VALU_DEP_2)
	v_fma_f32 v21, 0x3fc90fda, v23, -v27
	v_lshrrev_b32_e32 v19, 9, v19
	s_delay_alu instid0(VALU_DEP_2) | instskip(NEXT) | instid1(VALU_DEP_2)
	v_fmac_f32_e32 v21, 0x33a22168, v23
	v_or_b32_e32 v19, v20, v19
	s_delay_alu instid0(VALU_DEP_1) | instskip(NEXT) | instid1(VALU_DEP_1)
	v_fmac_f32_e32 v21, 0x3fc90fda, v19
	v_dual_add_f32 v19, v27, v21 :: v_dual_add_nc_u32 v21, v22, v4
.LBB102_51:                             ;   in Loop: Header=BB102_41 Depth=1
	s_and_not1_saveexec_b32 s0, s12
; %bb.52:                               ;   in Loop: Header=BB102_41 Depth=1
	v_mul_f32_e64 v4, 0x3f22f983, |v8|
	s_delay_alu instid0(VALU_DEP_1) | instskip(NEXT) | instid1(VALU_DEP_1)
	v_rndne_f32_e32 v4, v4
	v_fma_f32 v19, 0xbfc90fda, v4, |v8|
	v_cvt_i32_f32_e32 v21, v4
	s_delay_alu instid0(VALU_DEP_2) | instskip(NEXT) | instid1(VALU_DEP_1)
	v_fmac_f32_e32 v19, 0xb3a22168, v4
	v_fmac_f32_e32 v19, 0xa7c234c4, v4
; %bb.53:                               ;   in Loop: Header=BB102_41 Depth=1
	s_or_b32 exec_lo, exec_lo, s0
	v_and_b32_e32 v9, 0xffff0000, v9
                                        ; implicit-def: $vgpr22
                                        ; implicit-def: $vgpr4
	s_mov_b32 s1, exec_lo
	s_delay_alu instid0(VALU_DEP_1)
	v_and_b32_e32 v20, 0x7fffffff, v9
	v_cmpx_ngt_f32_e64 0x48000000, |v9|
	s_xor_b32 s12, exec_lo, s1
	s_cbranch_execz .LBB102_55
; %bb.54:                               ;   in Loop: Header=BB102_41 Depth=1
	s_delay_alu instid0(VALU_DEP_2) | instskip(SKIP_1) | instid1(VALU_DEP_2)
	v_and_or_b32 v4, v20, s8, 0x800000
	v_mov_b32_e32 v33, v5
	v_mul_u64_e32 v[22:23], s[4:5], v[4:5]
	s_delay_alu instid0(VALU_DEP_1) | instskip(SKIP_1) | instid1(VALU_DEP_2)
	v_dual_mov_b32 v25, v5 :: v_dual_mov_b32 v24, v23
	v_lshrrev_b32_e32 v23, 23, v20
	v_mad_nc_u64_u32 v[24:25], 0x3c439041, v4, v[24:25]
	v_mov_b32_e32 v27, v5
	s_delay_alu instid0(VALU_DEP_3) | instskip(NEXT) | instid1(VALU_DEP_1)
	v_add_nc_u32_e32 v23, 0xffffff88, v23
	v_cmp_lt_u32_e32 vcc_lo, 63, v23
	s_delay_alu instid0(VALU_DEP_4) | instskip(SKIP_1) | instid1(VALU_DEP_2)
	v_mov_b32_e32 v26, v25
	v_cndmask_b32_e64 v25, 0, 0xffffffc0, vcc_lo
	v_mad_nc_u64_u32 v[26:27], 0xdb629599, v4, v[26:27]
	s_delay_alu instid0(VALU_DEP_1) | instskip(NEXT) | instid1(VALU_DEP_2)
	v_dual_mov_b32 v29, v5 :: v_dual_mov_b32 v28, v27
	v_cndmask_b32_e32 v22, v26, v22, vcc_lo
	s_delay_alu instid0(VALU_DEP_2) | instskip(NEXT) | instid1(VALU_DEP_1)
	v_mad_nc_u64_u32 v[28:29], 0xf534ddc0, v4, v[28:29]
	v_dual_mov_b32 v31, v5 :: v_dual_mov_b32 v30, v29
	s_delay_alu instid0(VALU_DEP_1) | instskip(NEXT) | instid1(VALU_DEP_1)
	v_mad_nc_u64_u32 v[30:31], 0xfc2757d1, v4, v[30:31]
	v_mov_b32_e32 v32, v31
	s_delay_alu instid0(VALU_DEP_1) | instskip(SKIP_2) | instid1(VALU_DEP_2)
	v_mad_nc_u64_u32 v[32:33], 0x4e441529, v4, v[32:33]
	v_add_nc_u32_e32 v23, v25, v23
	v_mov_b32_e32 v35, v5
	v_cmp_lt_u32_e64 s0, 31, v23
	s_delay_alu instid0(VALU_DEP_4) | instskip(NEXT) | instid1(VALU_DEP_2)
	v_mov_b32_e32 v34, v33
	v_cndmask_b32_e64 v25, 0, 0xffffffe0, s0
	s_delay_alu instid0(VALU_DEP_2) | instskip(NEXT) | instid1(VALU_DEP_2)
	v_mad_nc_u64_u32 v[34:35], 0xa2f9836e, v4, v[34:35]
	v_dual_cndmask_b32 v25, v32, v28 :: v_dual_add_nc_u32 v4, v25, v23
	s_delay_alu instid0(VALU_DEP_2) | instskip(NEXT) | instid1(VALU_DEP_2)
	v_cndmask_b32_e32 v27, v34, v30, vcc_lo
	v_cmp_lt_u32_e64 s1, 31, v4
	s_delay_alu instid0(VALU_DEP_4) | instskip(NEXT) | instid1(VALU_DEP_2)
	v_dual_cndmask_b32 v29, v35, v32 :: v_dual_cndmask_b32 v30, v30, v26
	v_cndmask_b32_e64 v23, 0, 0xffffffe0, s1
	s_delay_alu instid0(VALU_DEP_1) | instskip(SKIP_1) | instid1(VALU_DEP_4)
	v_add_nc_u32_e32 v4, v23, v4
	v_dual_cndmask_b32 v23, v28, v24, vcc_lo :: v_dual_cndmask_b32 v24, v27, v25, s0
	v_cndmask_b32_e64 v27, v29, v27, s0
	s_delay_alu instid0(VALU_DEP_3) | instskip(NEXT) | instid1(VALU_DEP_3)
	v_dual_cndmask_b32 v25, v25, v30, s0 :: v_dual_sub_nc_u32 v28, 32, v4
	v_cndmask_b32_e64 v29, v30, v23, s0
	v_cmp_eq_u32_e32 vcc_lo, 0, v4
	s_delay_alu instid0(VALU_DEP_3) | instskip(NEXT) | instid1(VALU_DEP_1)
	v_dual_cndmask_b32 v27, v27, v24, s1 :: v_dual_cndmask_b32 v24, v24, v25, s1
	v_alignbit_b32 v30, v27, v24, v28
	s_delay_alu instid0(VALU_DEP_1) | instskip(NEXT) | instid1(VALU_DEP_1)
	v_dual_cndmask_b32 v25, v25, v29, s1 :: v_dual_cndmask_b32 v4, v30, v27, vcc_lo
	v_alignbit_b32 v26, v24, v25, v28
	s_delay_alu instid0(VALU_DEP_1) | instskip(NEXT) | instid1(VALU_DEP_3)
	v_dual_cndmask_b32 v22, v23, v22, s0 :: v_dual_cndmask_b32 v23, v26, v24, vcc_lo
	v_bfe_u32 v24, v4, 29, 1
	s_delay_alu instid0(VALU_DEP_2) | instskip(NEXT) | instid1(VALU_DEP_3)
	v_cndmask_b32_e64 v22, v29, v22, s1
	v_alignbit_b32 v26, v4, v23, 30
	s_delay_alu instid0(VALU_DEP_3) | instskip(NEXT) | instid1(VALU_DEP_3)
	v_sub_nc_u32_e32 v27, 0, v24
	v_alignbit_b32 v28, v25, v22, v28
	s_delay_alu instid0(VALU_DEP_1) | instskip(NEXT) | instid1(VALU_DEP_1)
	v_dual_cndmask_b32 v25, v28, v25, vcc_lo :: v_dual_bitop2_b32 v26, v26, v27 bitop3:0x14
	v_clz_i32_u32_e32 v28, v26
	s_delay_alu instid0(VALU_DEP_2) | instskip(SKIP_1) | instid1(VALU_DEP_3)
	v_alignbit_b32 v23, v23, v25, 30
	v_alignbit_b32 v22, v25, v22, 30
	v_min_u32_e32 v28, 32, v28
	s_delay_alu instid0(VALU_DEP_3) | instskip(NEXT) | instid1(VALU_DEP_3)
	v_xor_b32_e32 v23, v23, v27
	v_dual_lshrrev_b32 v27, 29, v4 :: v_dual_bitop2_b32 v22, v22, v27 bitop3:0x14
	s_delay_alu instid0(VALU_DEP_3) | instskip(NEXT) | instid1(VALU_DEP_1)
	v_dual_sub_nc_u32 v25, 31, v28 :: v_dual_lshlrev_b32 v29, 23, v28
	v_alignbit_b32 v26, v26, v23, v25
	s_delay_alu instid0(VALU_DEP_3) | instskip(NEXT) | instid1(VALU_DEP_4)
	v_alignbit_b32 v22, v23, v22, v25
	v_lshlrev_b32_e32 v23, 31, v27
	s_delay_alu instid0(VALU_DEP_2) | instskip(NEXT) | instid1(VALU_DEP_2)
	v_alignbit_b32 v25, v26, v22, 9
	v_dual_lshrrev_b32 v26, 9, v26 :: v_dual_bitop2_b32 v27, 0.5, v23 bitop3:0x54
	v_or_b32_e32 v23, 0x33000000, v23
	s_delay_alu instid0(VALU_DEP_3) | instskip(NEXT) | instid1(VALU_DEP_3)
	v_clz_i32_u32_e32 v30, v25
	v_sub_nc_u32_e32 v27, v27, v29
	s_delay_alu instid0(VALU_DEP_2) | instskip(NEXT) | instid1(VALU_DEP_1)
	v_min_u32_e32 v29, 32, v30
	v_add_lshl_u32 v28, v29, v28, 23
	s_delay_alu instid0(VALU_DEP_3) | instskip(SKIP_1) | instid1(VALU_DEP_2)
	v_or_b32_e32 v26, v26, v27
	v_not_b32_e32 v27, v29
	v_dual_mul_f32 v30, 0x3fc90fda, v26 :: v_dual_sub_nc_u32 v23, v23, v28
	s_delay_alu instid0(VALU_DEP_2) | instskip(NEXT) | instid1(VALU_DEP_2)
	v_alignbit_b32 v22, v25, v22, v27
	v_fma_f32 v25, 0x3fc90fda, v26, -v30
	s_delay_alu instid0(VALU_DEP_2) | instskip(NEXT) | instid1(VALU_DEP_2)
	v_lshrrev_b32_e32 v22, 9, v22
	v_fmac_f32_e32 v25, 0x33a22168, v26
	s_delay_alu instid0(VALU_DEP_2) | instskip(NEXT) | instid1(VALU_DEP_1)
	v_or_b32_e32 v22, v23, v22
	v_dual_fmac_f32 v25, 0x3fc90fda, v22 :: v_dual_lshrrev_b32 v22, 30, v4
	s_delay_alu instid0(VALU_DEP_1)
	v_dual_add_nc_u32 v22, v24, v22 :: v_dual_add_f32 v4, v30, v25
.LBB102_55:                             ;   in Loop: Header=BB102_41 Depth=1
	s_and_not1_saveexec_b32 s0, s12
	s_cbranch_execz .LBB102_40
; %bb.56:                               ;   in Loop: Header=BB102_41 Depth=1
	v_mul_f32_e64 v4, 0x3f22f983, |v9|
	s_delay_alu instid0(VALU_DEP_1) | instskip(NEXT) | instid1(VALU_DEP_1)
	v_rndne_f32_e32 v22, v4
	v_fma_f32 v4, 0xbfc90fda, v22, |v9|
	s_delay_alu instid0(VALU_DEP_1) | instskip(NEXT) | instid1(VALU_DEP_1)
	v_fmac_f32_e32 v4, 0xb3a22168, v22
	v_fmac_f32_e32 v4, 0xa7c234c4, v22
	v_cvt_i32_f32_e32 v22, v22
	s_branch .LBB102_40
.LBB102_57:
	s_endpgm
	.section	.rodata,"a",@progbits
	.p2align	6, 0x0
	.amdhsa_kernel _ZN2at6native12_GLOBAL__N_125multi_tensor_apply_kernelINS1_18TensorListMetadataILi1EEENS1_14UnaryOpFunctorIN3c108BFloat16ELi1ELi1ELi0EEEJNS0_3TanIfEEEEEvT_T0_DpT1_
		.amdhsa_group_segment_fixed_size 0
		.amdhsa_private_segment_fixed_size 0
		.amdhsa_kernarg_size 3632
		.amdhsa_user_sgpr_count 2
		.amdhsa_user_sgpr_dispatch_ptr 0
		.amdhsa_user_sgpr_queue_ptr 0
		.amdhsa_user_sgpr_kernarg_segment_ptr 1
		.amdhsa_user_sgpr_dispatch_id 0
		.amdhsa_user_sgpr_kernarg_preload_length 0
		.amdhsa_user_sgpr_kernarg_preload_offset 0
		.amdhsa_user_sgpr_private_segment_size 0
		.amdhsa_wavefront_size32 1
		.amdhsa_uses_dynamic_stack 0
		.amdhsa_enable_private_segment 0
		.amdhsa_system_sgpr_workgroup_id_x 1
		.amdhsa_system_sgpr_workgroup_id_y 0
		.amdhsa_system_sgpr_workgroup_id_z 0
		.amdhsa_system_sgpr_workgroup_info 0
		.amdhsa_system_vgpr_workitem_id 0
		.amdhsa_next_free_vgpr 50
		.amdhsa_next_free_sgpr 28
		.amdhsa_named_barrier_count 0
		.amdhsa_reserve_vcc 1
		.amdhsa_float_round_mode_32 0
		.amdhsa_float_round_mode_16_64 0
		.amdhsa_float_denorm_mode_32 3
		.amdhsa_float_denorm_mode_16_64 3
		.amdhsa_fp16_overflow 0
		.amdhsa_memory_ordered 1
		.amdhsa_forward_progress 1
		.amdhsa_inst_pref_size 73
		.amdhsa_round_robin_scheduling 0
		.amdhsa_exception_fp_ieee_invalid_op 0
		.amdhsa_exception_fp_denorm_src 0
		.amdhsa_exception_fp_ieee_div_zero 0
		.amdhsa_exception_fp_ieee_overflow 0
		.amdhsa_exception_fp_ieee_underflow 0
		.amdhsa_exception_fp_ieee_inexact 0
		.amdhsa_exception_int_div_zero 0
	.end_amdhsa_kernel
	.section	.text._ZN2at6native12_GLOBAL__N_125multi_tensor_apply_kernelINS1_18TensorListMetadataILi1EEENS1_14UnaryOpFunctorIN3c108BFloat16ELi1ELi1ELi0EEEJNS0_3TanIfEEEEEvT_T0_DpT1_,"axG",@progbits,_ZN2at6native12_GLOBAL__N_125multi_tensor_apply_kernelINS1_18TensorListMetadataILi1EEENS1_14UnaryOpFunctorIN3c108BFloat16ELi1ELi1ELi0EEEJNS0_3TanIfEEEEEvT_T0_DpT1_,comdat
.Lfunc_end102:
	.size	_ZN2at6native12_GLOBAL__N_125multi_tensor_apply_kernelINS1_18TensorListMetadataILi1EEENS1_14UnaryOpFunctorIN3c108BFloat16ELi1ELi1ELi0EEEJNS0_3TanIfEEEEEvT_T0_DpT1_, .Lfunc_end102-_ZN2at6native12_GLOBAL__N_125multi_tensor_apply_kernelINS1_18TensorListMetadataILi1EEENS1_14UnaryOpFunctorIN3c108BFloat16ELi1ELi1ELi0EEEJNS0_3TanIfEEEEEvT_T0_DpT1_
                                        ; -- End function
	.set _ZN2at6native12_GLOBAL__N_125multi_tensor_apply_kernelINS1_18TensorListMetadataILi1EEENS1_14UnaryOpFunctorIN3c108BFloat16ELi1ELi1ELi0EEEJNS0_3TanIfEEEEEvT_T0_DpT1_.num_vgpr, 50
	.set _ZN2at6native12_GLOBAL__N_125multi_tensor_apply_kernelINS1_18TensorListMetadataILi1EEENS1_14UnaryOpFunctorIN3c108BFloat16ELi1ELi1ELi0EEEJNS0_3TanIfEEEEEvT_T0_DpT1_.num_agpr, 0
	.set _ZN2at6native12_GLOBAL__N_125multi_tensor_apply_kernelINS1_18TensorListMetadataILi1EEENS1_14UnaryOpFunctorIN3c108BFloat16ELi1ELi1ELi0EEEJNS0_3TanIfEEEEEvT_T0_DpT1_.numbered_sgpr, 28
	.set _ZN2at6native12_GLOBAL__N_125multi_tensor_apply_kernelINS1_18TensorListMetadataILi1EEENS1_14UnaryOpFunctorIN3c108BFloat16ELi1ELi1ELi0EEEJNS0_3TanIfEEEEEvT_T0_DpT1_.num_named_barrier, 0
	.set _ZN2at6native12_GLOBAL__N_125multi_tensor_apply_kernelINS1_18TensorListMetadataILi1EEENS1_14UnaryOpFunctorIN3c108BFloat16ELi1ELi1ELi0EEEJNS0_3TanIfEEEEEvT_T0_DpT1_.private_seg_size, 0
	.set _ZN2at6native12_GLOBAL__N_125multi_tensor_apply_kernelINS1_18TensorListMetadataILi1EEENS1_14UnaryOpFunctorIN3c108BFloat16ELi1ELi1ELi0EEEJNS0_3TanIfEEEEEvT_T0_DpT1_.uses_vcc, 1
	.set _ZN2at6native12_GLOBAL__N_125multi_tensor_apply_kernelINS1_18TensorListMetadataILi1EEENS1_14UnaryOpFunctorIN3c108BFloat16ELi1ELi1ELi0EEEJNS0_3TanIfEEEEEvT_T0_DpT1_.uses_flat_scratch, 0
	.set _ZN2at6native12_GLOBAL__N_125multi_tensor_apply_kernelINS1_18TensorListMetadataILi1EEENS1_14UnaryOpFunctorIN3c108BFloat16ELi1ELi1ELi0EEEJNS0_3TanIfEEEEEvT_T0_DpT1_.has_dyn_sized_stack, 0
	.set _ZN2at6native12_GLOBAL__N_125multi_tensor_apply_kernelINS1_18TensorListMetadataILi1EEENS1_14UnaryOpFunctorIN3c108BFloat16ELi1ELi1ELi0EEEJNS0_3TanIfEEEEEvT_T0_DpT1_.has_recursion, 0
	.set _ZN2at6native12_GLOBAL__N_125multi_tensor_apply_kernelINS1_18TensorListMetadataILi1EEENS1_14UnaryOpFunctorIN3c108BFloat16ELi1ELi1ELi0EEEJNS0_3TanIfEEEEEvT_T0_DpT1_.has_indirect_call, 0
	.section	.AMDGPU.csdata,"",@progbits
; Kernel info:
; codeLenInByte = 9292
; TotalNumSgprs: 30
; NumVgprs: 50
; ScratchSize: 0
; MemoryBound: 0
; FloatMode: 240
; IeeeMode: 1
; LDSByteSize: 0 bytes/workgroup (compile time only)
; SGPRBlocks: 0
; VGPRBlocks: 3
; NumSGPRsForWavesPerEU: 30
; NumVGPRsForWavesPerEU: 50
; NamedBarCnt: 0
; Occupancy: 16
; WaveLimiterHint : 0
; COMPUTE_PGM_RSRC2:SCRATCH_EN: 0
; COMPUTE_PGM_RSRC2:USER_SGPR: 2
; COMPUTE_PGM_RSRC2:TRAP_HANDLER: 0
; COMPUTE_PGM_RSRC2:TGID_X_EN: 1
; COMPUTE_PGM_RSRC2:TGID_Y_EN: 0
; COMPUTE_PGM_RSRC2:TGID_Z_EN: 0
; COMPUTE_PGM_RSRC2:TIDIG_COMP_CNT: 0
	.section	.text._ZN2at6native12_GLOBAL__N_125multi_tensor_apply_kernelINS1_18TensorListMetadataILi2EEENS1_14UnaryOpFunctorIdLi2ELi1ELi1EEEJNS0_3SinIdEEEEEvT_T0_DpT1_,"axG",@progbits,_ZN2at6native12_GLOBAL__N_125multi_tensor_apply_kernelINS1_18TensorListMetadataILi2EEENS1_14UnaryOpFunctorIdLi2ELi1ELi1EEEJNS0_3SinIdEEEEEvT_T0_DpT1_,comdat
	.globl	_ZN2at6native12_GLOBAL__N_125multi_tensor_apply_kernelINS1_18TensorListMetadataILi2EEENS1_14UnaryOpFunctorIdLi2ELi1ELi1EEEJNS0_3SinIdEEEEEvT_T0_DpT1_ ; -- Begin function _ZN2at6native12_GLOBAL__N_125multi_tensor_apply_kernelINS1_18TensorListMetadataILi2EEENS1_14UnaryOpFunctorIdLi2ELi1ELi1EEEJNS0_3SinIdEEEEEvT_T0_DpT1_
	.p2align	8
	.type	_ZN2at6native12_GLOBAL__N_125multi_tensor_apply_kernelINS1_18TensorListMetadataILi2EEENS1_14UnaryOpFunctorIdLi2ELi1ELi1EEEJNS0_3SinIdEEEEEvT_T0_DpT1_,@function
_ZN2at6native12_GLOBAL__N_125multi_tensor_apply_kernelINS1_18TensorListMetadataILi2EEENS1_14UnaryOpFunctorIdLi2ELi1ELi1EEEJNS0_3SinIdEEEEEvT_T0_DpT1_: ; @_ZN2at6native12_GLOBAL__N_125multi_tensor_apply_kernelINS1_18TensorListMetadataILi2EEENS1_14UnaryOpFunctorIdLi2ELi1ELi1EEEJNS0_3SinIdEEEEEvT_T0_DpT1_
; %bb.0:
	s_bfe_u32 s2, ttmp6, 0x4000c
	s_and_b32 s3, ttmp6, 15
	s_add_co_i32 s2, s2, 1
	s_getreg_b32 s4, hwreg(HW_REG_IB_STS2, 6, 4)
	s_mul_i32 s2, ttmp9, s2
	s_delay_alu instid0(SALU_CYCLE_1)
	s_add_co_i32 s3, s3, s2
	s_cmp_eq_u32 s4, 0
	s_cselect_b32 s2, ttmp9, s3
	s_mov_b32 s3, 0
	s_load_u8 s10, s[0:1], s2 offset:0x600
	s_add_nc_u64 s[4:5], s[0:1], s[2:3]
	s_mul_u64 s[6:7], s[2:3], 3
	s_delay_alu instid0(SALU_CYCLE_1)
	s_add_nc_u64 s[4:5], s[4:5], s[6:7]
	s_load_b32 s6, s[4:5], 0x740
	s_wait_kmcnt 0x0
	s_clause 0x2
	s_load_b64 s[12:13], s[0:1], s10 offset:0x0 scale_offset
	s_load_b64 s[14:15], s[0:1], s10 offset:0x200 scale_offset
	;; [unrolled: 1-line block ×3, first 2 shown]
	s_mov_b32 s5, s3
	s_ashr_i32 s7, s6, 31
	s_wait_xcnt 0x0
	s_lshl_b64 s[10:11], s[6:7], 19
	s_wait_kmcnt 0x0
	s_and_b64 s[18:19], s[14:15], 31
	s_add_nc_u64 s[16:17], s[12:13], s[10:11]
	s_and_b32 s4, s8, 3
	s_and_b32 s2, s16, 31
	s_or_b64 s[4:5], s[18:19], s[4:5]
	s_lshl_b64 s[6:7], s[6:7], 16
	s_or_b64 s[2:3], s[4:5], s[2:3]
	s_sub_nc_u64 s[16:17], s[8:9], s[6:7]
	s_cmp_eq_u64 s[2:3], 0
	s_mov_b32 s2, -1
	s_cbranch_scc0 .LBB103_21
; %bb.1:
	v_min_i64 v[10:11], 0x10000, s[16:17]
	v_dual_mov_b32 v12, 0 :: v_dual_lshlrev_b32 v2, 2, v0
	s_mov_b32 s9, exec_lo
	s_delay_alu instid0(VALU_DEP_1) | instskip(NEXT) | instid1(VALU_DEP_1)
	v_mov_b32_e32 v3, v12
	v_cmpx_lt_i64_e64 v[2:3], v[10:11]
	s_cbranch_execz .LBB103_20
; %bb.2:
	s_load_b32 s2, s[0:1], 0xc5c
	v_dual_mov_b32 v1, v12 :: v_dual_lshlrev_b32 v2, 5, v0
	v_mov_b32_e32 v3, v12
	v_mov_b64_e32 v[14:15], 0x3e21eeb69037ab78
	v_mov_b64_e32 v[16:17], 0xbe5ae600b42fdfa7
	s_delay_alu instid0(VALU_DEP_4)
	v_mov_b64_e32 v[20:21], v[0:1]
	s_mov_b32 s19, 0
	v_add_nc_u64_e32 v[18:19], s[10:11], v[2:3]
	s_mov_b64 s[20:21], 0x3ff921fb54442d18
	s_mov_b64 s[22:23], 0x3fe45f306dc9c883
	;; [unrolled: 1-line block ×3, first 2 shown]
	s_mov_b32 s27, s19
	s_mov_b32 s28, s19
                                        ; implicit-def: $vgpr2_vgpr3
                                        ; implicit-def: $vgpr2_vgpr3
	;; [unrolled: 1-line block ×7, first 2 shown]
	s_wait_kmcnt 0x0
	s_and_b32 s18, s2, 0xffff
	s_delay_alu instid0(SALU_CYCLE_1)
	s_lshl_b32 s26, s18, 5
	s_branch .LBB103_4
.LBB103_3:                              ;   in Loop: Header=BB103_4 Depth=1
	s_or_b32 exec_lo, exec_lo, s2
	v_mul_f64_e32 v[40:41], v[26:27], v[26:27]
	v_mul_f64_e32 v[72:73], 0.5, v[28:29]
	v_cmp_class_f64_e64 s6, v[2:3], 0x1f8
	v_mul_f64_e32 v[38:39], v[30:31], v[30:31]
	v_mul_f64_e32 v[48:49], v[34:35], v[34:35]
	v_cmp_class_f64_e64 s4, v[4:5], 0x1f8
	v_cmp_class_f64_e64 s8, v[8:9], 0x1f8
	;; [unrolled: 1-line block ×3, first 2 shown]
	v_mul_f64_e32 v[46:47], v[22:23], v[22:23]
	v_add_nc_u64_e32 v[20:21], s[18:19], v[20:21]
	v_dual_lshlrev_b32 v2, 30, v43 :: v_dual_bitop2_b32 v13, 1, v43 bitop3:0x40
	v_lshlrev_b32_e32 v8, 30, v42
	s_delay_alu instid0(VALU_DEP_2) | instskip(NEXT) | instid1(VALU_DEP_3)
	v_cmp_eq_u32_e32 vcc_lo, 0, v13
	v_dual_mul_f64 v[66:67], 0.5, v[32:33] :: v_dual_bitop2_b32 v2, v2, v7 bitop3:0x14
	s_delay_alu instid0(VALU_DEP_3)
	v_xor_b32_e32 v5, v8, v5
	v_mul_f64_e32 v[52:53], 0.5, v[40:41]
	v_mul_f64_e64 v[82:83], v[26:27], -v[40:41]
	v_fmamk_f64 v[80:81], v[40:41], 0x3de5e0b2f9a43bb8, v[16:17]
	v_mul_f64_e64 v[92:93], v[34:35], -v[48:49]
	v_mul_f64_e32 v[56:57], 0.5, v[48:49]
	s_delay_alu instid0(VALU_DEP_3) | instskip(NEXT) | instid1(VALU_DEP_1)
	v_fmaak_f64 v[80:81], v[40:41], v[80:81], 0x3ec71de3796cde01
	v_fmaak_f64 v[80:81], v[40:41], v[80:81], 0xbf2a01a019e83e5c
	s_delay_alu instid0(VALU_DEP_1) | instskip(SKIP_1) | instid1(VALU_DEP_2)
	v_fmaak_f64 v[80:81], v[40:41], v[80:81], 0x3f81111111110bb3
	v_add_f64_e64 v[60:61], -v[52:53], 1.0
	v_fmac_f64_e32 v[72:73], v[82:83], v[80:81]
	v_mul_f64_e32 v[80:81], v[40:41], v[40:41]
	v_add_f64_e64 v[64:65], -v[56:57], 1.0
	s_delay_alu instid0(VALU_DEP_4) | instskip(NEXT) | instid1(VALU_DEP_4)
	v_add_f64_e64 v[84:85], -v[60:61], 1.0
	v_fma_f64 v[72:73], v[40:41], v[72:73], -v[28:29]
	s_delay_alu instid0(VALU_DEP_3) | instskip(NEXT) | instid1(VALU_DEP_3)
	v_add_f64_e64 v[94:95], -v[64:65], 1.0
	v_add_f64_e64 v[52:53], v[84:85], -v[52:53]
	v_fmamk_f64 v[84:85], v[40:41], 0xbda907db46cc5e42, v[14:15]
	s_delay_alu instid0(VALU_DEP_4) | instskip(NEXT) | instid1(VALU_DEP_4)
	v_fmac_f64_e32 v[72:73], 0xbfc5555555555555, v[82:83]
	v_add_f64_e64 v[56:57], v[94:95], -v[56:57]
	v_mul_f64_e32 v[94:95], v[48:49], v[48:49]
	v_fma_f64 v[28:29], v[26:27], -v[28:29], v[52:53]
	v_fmaak_f64 v[52:53], v[40:41], v[84:85], 0xbe927e4fa17f65f6
	v_add_f64_e64 v[26:27], v[26:27], -v[72:73]
	s_delay_alu instid0(VALU_DEP_2) | instskip(NEXT) | instid1(VALU_DEP_1)
	v_fmaak_f64 v[52:53], v[40:41], v[52:53], 0x3efa01a019f4ec90
	v_fmaak_f64 v[52:53], v[40:41], v[52:53], 0xbf56c16c16c16967
	s_delay_alu instid0(VALU_DEP_1) | instskip(NEXT) | instid1(VALU_DEP_1)
	v_fmaak_f64 v[40:41], v[40:41], v[52:53], 0x3fa5555555555555
	v_fmac_f64_e32 v[28:29], v[80:81], v[40:41]
	v_dual_mul_f64 v[50:51], 0.5, v[38:39] :: v_dual_bitop2_b32 v40, 1, v44 bitop3:0x40
	v_mul_f64_e64 v[68:69], v[30:31], -v[38:39]
	v_fmamk_f64 v[70:71], v[38:39], 0x3de5e0b2f9a43bb8, v[16:17]
	s_delay_alu instid0(VALU_DEP_3) | instskip(SKIP_2) | instid1(VALU_DEP_4)
	v_cmp_eq_u32_e64 s7, 0, v40
	v_mul_f64_e32 v[78:79], 0.5, v[36:37]
	v_lshlrev_b64_e32 v[40:41], 2, v[20:21]
	v_fmaak_f64 v[70:71], v[38:39], v[70:71], 0x3ec71de3796cde01
	s_delay_alu instid0(VALU_DEP_1) | instskip(NEXT) | instid1(VALU_DEP_1)
	v_fmaak_f64 v[70:71], v[38:39], v[70:71], 0xbf2a01a019e83e5c
	v_fmaak_f64 v[70:71], v[38:39], v[70:71], 0x3f81111111110bb3
	v_add_f64_e32 v[28:29], v[60:61], v[28:29]
	v_add_f64_e64 v[58:59], -v[50:51], 1.0
	s_delay_alu instid0(VALU_DEP_3) | instskip(SKIP_1) | instid1(VALU_DEP_1)
	v_fmac_f64_e32 v[66:67], v[68:69], v[70:71]
	v_fmamk_f64 v[70:71], v[48:49], 0x3de5e0b2f9a43bb8, v[16:17]
	v_fmaak_f64 v[70:71], v[48:49], v[70:71], 0x3ec71de3796cde01
	s_delay_alu instid0(VALU_DEP_1) | instskip(NEXT) | instid1(VALU_DEP_1)
	v_fmaak_f64 v[70:71], v[48:49], v[70:71], 0xbf2a01a019e83e5c
	v_fmaak_f64 v[70:71], v[48:49], v[70:71], 0x3f81111111110bb3
	s_delay_alu instid0(VALU_DEP_1) | instskip(SKIP_3) | instid1(VALU_DEP_4)
	v_fmac_f64_e32 v[78:79], v[92:93], v[70:71]
	v_mul_f64_e32 v[70:71], v[38:39], v[38:39]
	v_add_f64_e64 v[76:77], -v[58:59], 1.0
	v_fma_f64 v[66:67], v[38:39], v[66:67], -v[32:33]
	v_fma_f64 v[78:79], v[48:49], v[78:79], -v[36:37]
	v_fma_f64 v[36:37], v[34:35], -v[36:37], v[56:57]
	s_delay_alu instid0(VALU_DEP_4) | instskip(SKIP_2) | instid1(VALU_DEP_2)
	v_add_f64_e64 v[50:51], v[76:77], -v[50:51]
	v_fmamk_f64 v[76:77], v[38:39], 0xbda907db46cc5e42, v[14:15]
	v_fmac_f64_e32 v[66:67], 0xbfc5555555555555, v[68:69]
	v_fmaak_f64 v[76:77], v[38:39], v[76:77], 0xbe927e4fa17f65f6
	s_delay_alu instid0(VALU_DEP_1) | instskip(NEXT) | instid1(VALU_DEP_1)
	v_fmaak_f64 v[56:57], v[38:39], v[76:77], 0x3efa01a019f4ec90
	v_fmaak_f64 v[56:57], v[38:39], v[56:57], 0xbf56c16c16c16967
	s_delay_alu instid0(VALU_DEP_1) | instskip(SKIP_4) | instid1(VALU_DEP_2)
	v_fmaak_f64 v[38:39], v[38:39], v[56:57], 0x3fa5555555555555
	v_fmac_f64_e32 v[78:79], 0xbfc5555555555555, v[92:93]
	v_fma_f64 v[32:33], v[30:31], -v[32:33], v[50:51]
	v_fmamk_f64 v[50:51], v[48:49], 0xbda907db46cc5e42, v[14:15]
	v_add_f64_e64 v[30:31], v[30:31], -v[66:67]
	v_fmaak_f64 v[50:51], v[48:49], v[50:51], 0xbe927e4fa17f65f6
	s_delay_alu instid0(VALU_DEP_1) | instskip(NEXT) | instid1(VALU_DEP_1)
	v_fmaak_f64 v[50:51], v[48:49], v[50:51], 0x3efa01a019f4ec90
	v_fmaak_f64 v[50:51], v[48:49], v[50:51], 0xbf56c16c16c16967
	v_add_f64_e64 v[34:35], v[34:35], -v[78:79]
	v_fmac_f64_e32 v[32:33], v[70:71], v[38:39]
	s_delay_alu instid0(VALU_DEP_3) | instskip(NEXT) | instid1(VALU_DEP_1)
	v_fmaak_f64 v[38:39], v[48:49], v[50:51], 0x3fa5555555555555
	v_fmac_f64_e32 v[36:37], v[94:95], v[38:39]
	v_dual_lshlrev_b32 v1, 30, v1 :: v_dual_bitop2_b32 v39, 1, v1 bitop3:0x40
	v_mul_f64_e32 v[54:55], 0.5, v[46:47]
	v_mul_f64_e64 v[86:87], v[22:23], -v[46:47]
	v_fmamk_f64 v[90:91], v[46:47], 0x3de5e0b2f9a43bb8, v[16:17]
	s_delay_alu instid0(VALU_DEP_4) | instskip(SKIP_2) | instid1(VALU_DEP_4)
	v_cmp_eq_u32_e64 s5, 0, v39
	v_dual_mul_f64 v[74:75], 0.5, v[24:25] :: v_dual_bitop2_b32 v38, 1, v42 bitop3:0x40
	v_xor_b32_e32 v1, v1, v3
	v_fmaak_f64 v[90:91], v[46:47], v[90:91], 0x3ec71de3796cde01
	s_delay_alu instid0(VALU_DEP_3) | instskip(SKIP_2) | instid1(VALU_DEP_3)
	v_cmp_eq_u32_e64 s3, 0, v38
	v_add_nc_u64_e32 v[38:39], s[14:15], v[18:19]
	v_add_nc_u64_e32 v[18:19], s[26:27], v[18:19]
	v_cndmask_b32_e64 v8, v29, v27, s3
	v_fmaak_f64 v[90:91], v[46:47], v[90:91], 0xbf2a01a019e83e5c
	v_cndmask_b32_e64 v6, v28, v26, s3
	s_delay_alu instid0(VALU_DEP_3) | instskip(NEXT) | instid1(VALU_DEP_2)
	v_bitop3_b32 v5, v8, v5, 0x80000000 bitop3:0x78
	v_dual_add_f64 v[32:33], v[58:59], v[32:33] :: v_dual_cndmask_b32 v8, 0, v6, s4
	s_delay_alu instid0(VALU_DEP_4) | instskip(SKIP_2) | instid1(VALU_DEP_3)
	v_fmaak_f64 v[90:91], v[46:47], v[90:91], 0x3f81111111110bb3
	v_add_f64_e32 v[36:37], v[64:65], v[36:37]
	v_add_f64_e64 v[62:63], -v[54:55], 1.0
	v_fmac_f64_e32 v[74:75], v[86:87], v[90:91]
	v_fmamk_f64 v[90:91], v[46:47], 0xbda907db46cc5e42, v[14:15]
	v_dual_cndmask_b32 v7, v33, v31, vcc_lo :: v_dual_cndmask_b32 v13, v32, v30, vcc_lo
	v_cmp_ge_i64_e32 vcc_lo, v[40:41], v[10:11]
	s_delay_alu instid0(VALU_DEP_2) | instskip(NEXT) | instid1(VALU_DEP_3)
	v_bitop3_b32 v7, v7, v2, 0x80000000 bitop3:0x78
	v_cndmask_b32_e64 v2, 0, v13, s2
	s_or_b32 s28, vcc_lo, s28
	v_add_f64_e64 v[88:89], -v[62:63], 1.0
	v_fma_f64 v[74:75], v[46:47], v[74:75], -v[24:25]
	s_delay_alu instid0(VALU_DEP_2) | instskip(SKIP_1) | instid1(VALU_DEP_3)
	v_add_f64_e64 v[54:55], v[88:89], -v[54:55]
	v_mul_f64_e32 v[88:89], v[46:47], v[46:47]
	v_fmac_f64_e32 v[74:75], 0xbfc5555555555555, v[86:87]
	s_delay_alu instid0(VALU_DEP_3) | instskip(SKIP_1) | instid1(VALU_DEP_3)
	v_fma_f64 v[24:25], v[22:23], -v[24:25], v[54:55]
	v_fmaak_f64 v[54:55], v[46:47], v[90:91], 0xbe927e4fa17f65f6
	v_add_f64_e64 v[22:23], v[22:23], -v[74:75]
	s_delay_alu instid0(VALU_DEP_2) | instskip(NEXT) | instid1(VALU_DEP_1)
	v_fmaak_f64 v[54:55], v[46:47], v[54:55], 0x3efa01a019f4ec90
	v_fmaak_f64 v[54:55], v[46:47], v[54:55], 0xbf56c16c16c16967
	s_delay_alu instid0(VALU_DEP_1) | instskip(NEXT) | instid1(VALU_DEP_1)
	v_fmaak_f64 v[46:47], v[46:47], v[54:55], 0x3fa5555555555555
	v_fmac_f64_e32 v[24:25], v[88:89], v[46:47]
	s_delay_alu instid0(VALU_DEP_1) | instskip(NEXT) | instid1(VALU_DEP_1)
	v_add_f64_e32 v[24:25], v[62:63], v[24:25]
	v_dual_cndmask_b32 v4, v24, v22, s5 :: v_dual_lshlrev_b32 v24, 30, v44
	s_delay_alu instid0(VALU_DEP_1) | instskip(NEXT) | instid1(VALU_DEP_2)
	v_dual_cndmask_b32 v22, v36, v34, s7 :: v_dual_cndmask_b32 v6, 0, v4, s6
	v_dual_cndmask_b32 v9, v25, v23, s5 :: v_dual_bitop2_b32 v3, v24, v9 bitop3:0x14
	s_delay_alu instid0(VALU_DEP_2) | instskip(NEXT) | instid1(VALU_DEP_2)
	v_dual_cndmask_b32 v23, v37, v35, s7 :: v_dual_cndmask_b32 v4, 0, v22, s8
	v_bitop3_b32 v1, v9, v1, 0x80000000 bitop3:0x78
	s_delay_alu instid0(VALU_DEP_2) | instskip(SKIP_2) | instid1(VALU_DEP_4)
	v_bitop3_b32 v13, v23, v3, 0x80000000 bitop3:0x78
	v_cndmask_b32_e64 v3, 0x7ff80000, v7, s2
	v_cndmask_b32_e64 v9, 0x7ff80000, v5, s4
	;; [unrolled: 1-line block ×3, first 2 shown]
	s_delay_alu instid0(VALU_DEP_4)
	v_cndmask_b32_e64 v5, 0x7ff80000, v13, s8
	s_clause 0x1
	global_store_b128 v[38:39], v[6:9], off
	global_store_b128 v[38:39], v[2:5], off offset:16
	s_wait_xcnt 0x0
	s_and_not1_b32 exec_lo, exec_lo, s28
	s_cbranch_execz .LBB103_20
.LBB103_4:                              ; =>This Inner Loop Header: Depth=1
	v_add_nc_u64_e32 v[22:23], s[12:13], v[18:19]
                                        ; implicit-def: $vgpr1
                                        ; implicit-def: $vgpr24_vgpr25
	s_clause 0x1
	global_load_b128 v[2:5], v[22:23], off
	global_load_b128 v[6:9], v[22:23], off offset:16
                                        ; implicit-def: $vgpr22_vgpr23
	s_wait_loadcnt 0x1
	v_cmp_ngt_f64_e64 s2, 0x41d00000, |v[2:3]|
	s_wait_xcnt 0x0
	s_and_saveexec_b32 s3, s2
	s_delay_alu instid0(SALU_CYCLE_1)
	s_xor_b32 s2, exec_lo, s3
	s_cbranch_execz .LBB103_6
; %bb.5:                                ;   in Loop: Header=BB103_4 Depth=1
	v_ldexp_f64 v[22:23], |v[2:3]|, 0xffffff80
	v_cmp_le_f64_e64 vcc_lo, 0x7b000000, |v[2:3]|
	v_trig_preop_f64 v[24:25], |v[2:3]|, 0
	v_and_b32_e32 v1, 0x7fffffff, v3
	v_trig_preop_f64 v[26:27], |v[2:3]|, 1
	v_trig_preop_f64 v[36:37], |v[2:3]|, 2
	s_delay_alu instid0(VALU_DEP_3) | instskip(NEXT) | instid1(VALU_DEP_1)
	v_dual_cndmask_b32 v23, v1, v23 :: v_dual_cndmask_b32 v22, v2, v22
	v_mul_f64_e32 v[28:29], v[24:25], v[22:23]
	s_delay_alu instid0(VALU_DEP_4) | instskip(NEXT) | instid1(VALU_DEP_4)
	v_mul_f64_e32 v[30:31], v[26:27], v[22:23]
	v_mul_f64_e32 v[42:43], v[36:37], v[22:23]
	s_delay_alu instid0(VALU_DEP_3) | instskip(NEXT) | instid1(VALU_DEP_3)
	v_fma_f64 v[24:25], v[24:25], v[22:23], -v[28:29]
	v_fma_f64 v[26:27], v[26:27], v[22:23], -v[30:31]
	s_delay_alu instid0(VALU_DEP_3) | instskip(NEXT) | instid1(VALU_DEP_3)
	v_fma_f64 v[22:23], v[36:37], v[22:23], -v[42:43]
	v_add_f64_e32 v[32:33], v[30:31], v[24:25]
	s_delay_alu instid0(VALU_DEP_1) | instskip(SKIP_1) | instid1(VALU_DEP_2)
	v_add_f64_e64 v[34:35], v[32:33], -v[30:31]
	v_add_f64_e32 v[40:41], v[28:29], v[32:33]
	v_add_f64_e64 v[38:39], v[32:33], -v[34:35]
	v_add_f64_e64 v[24:25], v[24:25], -v[34:35]
	s_delay_alu instid0(VALU_DEP_3) | instskip(NEXT) | instid1(VALU_DEP_3)
	v_ldexp_f64 v[34:35], v[40:41], -2
	v_add_f64_e64 v[30:31], v[30:31], -v[38:39]
	v_add_f64_e32 v[38:39], v[42:43], v[26:27]
	s_delay_alu instid0(VALU_DEP_3) | instskip(NEXT) | instid1(VALU_DEP_3)
	v_cmp_neq_f64_e64 vcc_lo, 0x7ff00000, |v[34:35]|
	v_add_f64_e32 v[24:25], v[24:25], v[30:31]
	v_fract_f64_e32 v[30:31], v[34:35]
	s_delay_alu instid0(VALU_DEP_1) | instskip(NEXT) | instid1(VALU_DEP_1)
	v_ldexp_f64 v[30:31], v[30:31], 2
	v_dual_add_f64 v[28:29], v[40:41], -v[28:29] :: v_dual_cndmask_b32 v30, 0, v30, vcc_lo
	s_delay_alu instid0(VALU_DEP_1) | instskip(SKIP_1) | instid1(VALU_DEP_1)
	v_dual_add_f64 v[28:29], v[32:33], -v[28:29] :: v_dual_cndmask_b32 v31, 0, v31, vcc_lo
	v_add_f64_e32 v[32:33], v[38:39], v[24:25]
	v_add_f64_e32 v[34:35], v[28:29], v[32:33]
	v_add_f64_e64 v[44:45], v[32:33], -v[38:39]
	s_delay_alu instid0(VALU_DEP_2) | instskip(NEXT) | instid1(VALU_DEP_2)
	v_add_f64_e32 v[40:41], v[34:35], v[30:31]
	v_add_f64_e64 v[50:51], v[32:33], -v[44:45]
	v_add_f64_e64 v[24:25], v[24:25], -v[44:45]
	;; [unrolled: 1-line block ×3, first 2 shown]
	s_delay_alu instid0(VALU_DEP_4) | instskip(SKIP_1) | instid1(VALU_DEP_3)
	v_cmp_gt_f64_e32 vcc_lo, 0, v[40:41]
	v_add_f64_e64 v[40:41], v[38:39], -v[42:43]
	v_add_f64_e64 v[28:29], v[32:33], -v[28:29]
	v_cndmask_b32_e64 v13, 0, 0x40100000, vcc_lo
	s_delay_alu instid0(VALU_DEP_3) | instskip(SKIP_2) | instid1(VALU_DEP_4)
	v_add_f64_e64 v[48:49], v[38:39], -v[40:41]
	v_add_f64_e64 v[26:27], v[26:27], -v[40:41]
	;; [unrolled: 1-line block ×3, first 2 shown]
	v_add_f64_e32 v[30:31], v[30:31], v[12:13]
	s_delay_alu instid0(VALU_DEP_4) | instskip(NEXT) | instid1(VALU_DEP_3)
	v_add_f64_e64 v[40:41], v[42:43], -v[48:49]
	v_add_f64_e32 v[24:25], v[24:25], v[38:39]
	s_delay_alu instid0(VALU_DEP_3) | instskip(NEXT) | instid1(VALU_DEP_3)
	v_add_f64_e32 v[46:47], v[34:35], v[30:31]
	v_add_f64_e32 v[26:27], v[26:27], v[40:41]
	s_delay_alu instid0(VALU_DEP_2) | instskip(NEXT) | instid1(VALU_DEP_2)
	v_cvt_i32_f64_e32 v1, v[46:47]
	v_add_f64_e32 v[24:25], v[26:27], v[24:25]
	s_delay_alu instid0(VALU_DEP_2) | instskip(NEXT) | instid1(VALU_DEP_2)
	v_cvt_f64_i32_e32 v[44:45], v1
	v_add_f64_e32 v[22:23], v[22:23], v[24:25]
	s_delay_alu instid0(VALU_DEP_2) | instskip(NEXT) | instid1(VALU_DEP_2)
	v_add_f64_e64 v[30:31], v[30:31], -v[44:45]
	v_add_f64_e32 v[22:23], v[28:29], v[22:23]
	s_delay_alu instid0(VALU_DEP_2) | instskip(NEXT) | instid1(VALU_DEP_1)
	v_add_f64_e32 v[26:27], v[34:35], v[30:31]
	v_add_f64_e64 v[24:25], v[26:27], -v[30:31]
	v_cmp_le_f64_e32 vcc_lo, 0.5, v[26:27]
	s_delay_alu instid0(VALU_DEP_2) | instskip(SKIP_2) | instid1(VALU_DEP_3)
	v_add_f64_e64 v[24:25], v[34:35], -v[24:25]
	v_cndmask_b32_e64 v13, 0, 0x3ff00000, vcc_lo
	v_add_co_ci_u32_e64 v1, null, 0, v1, vcc_lo
	v_add_f64_e32 v[22:23], v[22:23], v[24:25]
	s_delay_alu instid0(VALU_DEP_3) | instskip(NEXT) | instid1(VALU_DEP_1)
	v_add_f64_e64 v[24:25], v[26:27], -v[12:13]
	v_add_f64_e32 v[26:27], v[24:25], v[22:23]
	s_delay_alu instid0(VALU_DEP_1) | instskip(SKIP_1) | instid1(VALU_DEP_2)
	v_mul_f64_e32 v[28:29], 0x3ff921fb54442d18, v[26:27]
	v_add_f64_e64 v[24:25], v[26:27], -v[24:25]
	v_fma_f64 v[30:31], v[26:27], s[20:21], -v[28:29]
	s_delay_alu instid0(VALU_DEP_2) | instskip(NEXT) | instid1(VALU_DEP_2)
	v_add_f64_e64 v[22:23], v[22:23], -v[24:25]
	v_fmac_f64_e32 v[30:31], 0x3c91a62633145c07, v[26:27]
	s_delay_alu instid0(VALU_DEP_1) | instskip(NEXT) | instid1(VALU_DEP_1)
	v_fmac_f64_e32 v[30:31], 0x3ff921fb54442d18, v[22:23]
	v_add_f64_e32 v[22:23], v[28:29], v[30:31]
	s_delay_alu instid0(VALU_DEP_1) | instskip(NEXT) | instid1(VALU_DEP_1)
	v_add_f64_e64 v[24:25], v[22:23], -v[28:29]
	v_add_f64_e64 v[24:25], v[30:31], -v[24:25]
.LBB103_6:                              ;   in Loop: Header=BB103_4 Depth=1
	s_and_not1_saveexec_b32 s2, s2
	s_cbranch_execz .LBB103_8
; %bb.7:                                ;   in Loop: Header=BB103_4 Depth=1
	v_mul_f64_e64 v[22:23], |v[2:3]|, s[22:23]
	s_delay_alu instid0(VALU_DEP_1) | instskip(NEXT) | instid1(VALU_DEP_1)
	v_rndne_f64_e32 v[26:27], v[22:23]
	v_fma_f64 v[22:23], v[26:27], s[24:25], |v[2:3]|
	v_mul_f64_e32 v[24:25], 0xbc91a62633145c00, v[26:27]
	v_cvt_i32_f64_e32 v1, v[26:27]
	s_delay_alu instid0(VALU_DEP_3) | instskip(NEXT) | instid1(VALU_DEP_3)
	v_fmamk_f64 v[32:33], v[26:27], 0xbc91a62633145c00, v[22:23]
	v_add_f64_e32 v[28:29], v[22:23], v[24:25]
	s_delay_alu instid0(VALU_DEP_1) | instskip(NEXT) | instid1(VALU_DEP_3)
	v_add_f64_e64 v[30:31], v[22:23], -v[28:29]
	v_add_f64_e64 v[22:23], v[28:29], -v[32:33]
	s_delay_alu instid0(VALU_DEP_2) | instskip(SKIP_1) | instid1(VALU_DEP_2)
	v_add_f64_e32 v[28:29], v[30:31], v[24:25]
	v_fmamk_f64 v[24:25], v[26:27], 0x3c91a62633145c00, v[24:25]
	v_add_f64_e32 v[22:23], v[22:23], v[28:29]
	s_delay_alu instid0(VALU_DEP_1) | instskip(NEXT) | instid1(VALU_DEP_1)
	v_add_f64_e64 v[24:25], v[22:23], -v[24:25]
	v_fmac_f64_e32 v[24:25], 0xb97b839a252049c0, v[26:27]
	s_delay_alu instid0(VALU_DEP_1) | instskip(NEXT) | instid1(VALU_DEP_1)
	v_add_f64_e32 v[22:23], v[32:33], v[24:25]
	v_add_f64_e64 v[28:29], v[22:23], -v[32:33]
	s_delay_alu instid0(VALU_DEP_1)
	v_add_f64_e64 v[24:25], v[24:25], -v[28:29]
.LBB103_8:                              ;   in Loop: Header=BB103_4 Depth=1
	s_or_b32 exec_lo, exec_lo, s2
	v_cmp_ngt_f64_e64 s2, 0x41d00000, |v[4:5]|
                                        ; implicit-def: $vgpr42
                                        ; implicit-def: $vgpr26_vgpr27
                                        ; implicit-def: $vgpr28_vgpr29
	s_and_saveexec_b32 s3, s2
	s_delay_alu instid0(SALU_CYCLE_1)
	s_xor_b32 s2, exec_lo, s3
	s_cbranch_execz .LBB103_10
; %bb.9:                                ;   in Loop: Header=BB103_4 Depth=1
	v_ldexp_f64 v[26:27], |v[4:5]|, 0xffffff80
	v_cmp_le_f64_e64 vcc_lo, 0x7b000000, |v[4:5]|
	v_trig_preop_f64 v[28:29], |v[4:5]|, 0
	v_and_b32_e32 v13, 0x7fffffff, v5
	v_trig_preop_f64 v[30:31], |v[4:5]|, 1
	v_trig_preop_f64 v[40:41], |v[4:5]|, 2
	s_delay_alu instid0(VALU_DEP_3) | instskip(NEXT) | instid1(VALU_DEP_1)
	v_dual_cndmask_b32 v27, v13, v27 :: v_dual_cndmask_b32 v26, v4, v26
	v_mul_f64_e32 v[32:33], v[28:29], v[26:27]
	s_delay_alu instid0(VALU_DEP_4) | instskip(NEXT) | instid1(VALU_DEP_4)
	v_mul_f64_e32 v[34:35], v[30:31], v[26:27]
	v_mul_f64_e32 v[46:47], v[40:41], v[26:27]
	s_delay_alu instid0(VALU_DEP_3) | instskip(NEXT) | instid1(VALU_DEP_3)
	v_fma_f64 v[28:29], v[28:29], v[26:27], -v[32:33]
	v_fma_f64 v[30:31], v[30:31], v[26:27], -v[34:35]
	s_delay_alu instid0(VALU_DEP_3) | instskip(NEXT) | instid1(VALU_DEP_3)
	v_fma_f64 v[26:27], v[40:41], v[26:27], -v[46:47]
	v_add_f64_e32 v[36:37], v[34:35], v[28:29]
	s_delay_alu instid0(VALU_DEP_1) | instskip(SKIP_1) | instid1(VALU_DEP_2)
	v_add_f64_e64 v[38:39], v[36:37], -v[34:35]
	v_add_f64_e32 v[44:45], v[32:33], v[36:37]
	v_add_f64_e64 v[42:43], v[36:37], -v[38:39]
	v_add_f64_e64 v[28:29], v[28:29], -v[38:39]
	s_delay_alu instid0(VALU_DEP_3) | instskip(NEXT) | instid1(VALU_DEP_3)
	v_ldexp_f64 v[38:39], v[44:45], -2
	v_add_f64_e64 v[34:35], v[34:35], -v[42:43]
	v_add_f64_e32 v[42:43], v[46:47], v[30:31]
	s_delay_alu instid0(VALU_DEP_3) | instskip(NEXT) | instid1(VALU_DEP_3)
	v_cmp_neq_f64_e64 vcc_lo, 0x7ff00000, |v[38:39]|
	v_add_f64_e32 v[28:29], v[28:29], v[34:35]
	v_fract_f64_e32 v[34:35], v[38:39]
	s_delay_alu instid0(VALU_DEP_1) | instskip(NEXT) | instid1(VALU_DEP_1)
	v_ldexp_f64 v[34:35], v[34:35], 2
	v_dual_add_f64 v[32:33], v[44:45], -v[32:33] :: v_dual_cndmask_b32 v34, 0, v34, vcc_lo
	s_delay_alu instid0(VALU_DEP_1) | instskip(SKIP_1) | instid1(VALU_DEP_1)
	v_dual_add_f64 v[32:33], v[36:37], -v[32:33] :: v_dual_cndmask_b32 v35, 0, v35, vcc_lo
	v_add_f64_e32 v[36:37], v[42:43], v[28:29]
	v_add_f64_e32 v[38:39], v[32:33], v[36:37]
	v_add_f64_e64 v[48:49], v[36:37], -v[42:43]
	s_delay_alu instid0(VALU_DEP_2) | instskip(NEXT) | instid1(VALU_DEP_2)
	v_add_f64_e32 v[44:45], v[38:39], v[34:35]
	v_add_f64_e64 v[54:55], v[36:37], -v[48:49]
	v_add_f64_e64 v[28:29], v[28:29], -v[48:49]
	;; [unrolled: 1-line block ×3, first 2 shown]
	s_delay_alu instid0(VALU_DEP_4) | instskip(SKIP_1) | instid1(VALU_DEP_3)
	v_cmp_gt_f64_e32 vcc_lo, 0, v[44:45]
	v_add_f64_e64 v[44:45], v[42:43], -v[46:47]
	v_add_f64_e64 v[32:33], v[36:37], -v[32:33]
	v_cndmask_b32_e64 v13, 0, 0x40100000, vcc_lo
	s_delay_alu instid0(VALU_DEP_3) | instskip(SKIP_2) | instid1(VALU_DEP_4)
	v_add_f64_e64 v[52:53], v[42:43], -v[44:45]
	v_add_f64_e64 v[30:31], v[30:31], -v[44:45]
	;; [unrolled: 1-line block ×3, first 2 shown]
	v_add_f64_e32 v[34:35], v[34:35], v[12:13]
	s_delay_alu instid0(VALU_DEP_4) | instskip(NEXT) | instid1(VALU_DEP_3)
	v_add_f64_e64 v[44:45], v[46:47], -v[52:53]
	v_add_f64_e32 v[28:29], v[28:29], v[42:43]
	s_delay_alu instid0(VALU_DEP_3) | instskip(NEXT) | instid1(VALU_DEP_3)
	v_add_f64_e32 v[50:51], v[38:39], v[34:35]
	v_add_f64_e32 v[30:31], v[30:31], v[44:45]
	s_delay_alu instid0(VALU_DEP_2) | instskip(NEXT) | instid1(VALU_DEP_2)
	v_cvt_i32_f64_e32 v13, v[50:51]
	v_add_f64_e32 v[28:29], v[30:31], v[28:29]
	s_delay_alu instid0(VALU_DEP_2) | instskip(NEXT) | instid1(VALU_DEP_2)
	v_cvt_f64_i32_e32 v[48:49], v13
	v_add_f64_e32 v[26:27], v[26:27], v[28:29]
	s_delay_alu instid0(VALU_DEP_2) | instskip(NEXT) | instid1(VALU_DEP_2)
	v_add_f64_e64 v[34:35], v[34:35], -v[48:49]
	v_add_f64_e32 v[26:27], v[32:33], v[26:27]
	s_delay_alu instid0(VALU_DEP_2) | instskip(NEXT) | instid1(VALU_DEP_1)
	v_add_f64_e32 v[30:31], v[38:39], v[34:35]
	v_add_f64_e64 v[28:29], v[30:31], -v[34:35]
	v_cmp_le_f64_e32 vcc_lo, 0.5, v[30:31]
	s_delay_alu instid0(VALU_DEP_2) | instskip(SKIP_2) | instid1(VALU_DEP_3)
	v_add_f64_e64 v[28:29], v[38:39], -v[28:29]
	v_add_co_ci_u32_e64 v42, null, 0, v13, vcc_lo
	v_cndmask_b32_e64 v13, 0, 0x3ff00000, vcc_lo
	v_add_f64_e32 v[26:27], v[26:27], v[28:29]
	s_delay_alu instid0(VALU_DEP_2) | instskip(NEXT) | instid1(VALU_DEP_1)
	v_add_f64_e64 v[28:29], v[30:31], -v[12:13]
	v_add_f64_e32 v[30:31], v[28:29], v[26:27]
	s_delay_alu instid0(VALU_DEP_1) | instskip(SKIP_1) | instid1(VALU_DEP_2)
	v_mul_f64_e32 v[32:33], 0x3ff921fb54442d18, v[30:31]
	v_add_f64_e64 v[28:29], v[30:31], -v[28:29]
	v_fma_f64 v[34:35], v[30:31], s[20:21], -v[32:33]
	s_delay_alu instid0(VALU_DEP_2) | instskip(NEXT) | instid1(VALU_DEP_2)
	v_add_f64_e64 v[26:27], v[26:27], -v[28:29]
	v_fmac_f64_e32 v[34:35], 0x3c91a62633145c07, v[30:31]
	s_delay_alu instid0(VALU_DEP_1) | instskip(NEXT) | instid1(VALU_DEP_1)
	v_fmac_f64_e32 v[34:35], 0x3ff921fb54442d18, v[26:27]
	v_add_f64_e32 v[26:27], v[32:33], v[34:35]
	s_delay_alu instid0(VALU_DEP_1) | instskip(NEXT) | instid1(VALU_DEP_1)
	v_add_f64_e64 v[28:29], v[26:27], -v[32:33]
	v_add_f64_e64 v[28:29], v[34:35], -v[28:29]
.LBB103_10:                             ;   in Loop: Header=BB103_4 Depth=1
	s_and_not1_saveexec_b32 s2, s2
	s_cbranch_execz .LBB103_12
; %bb.11:                               ;   in Loop: Header=BB103_4 Depth=1
	v_mul_f64_e64 v[26:27], |v[4:5]|, s[22:23]
	s_delay_alu instid0(VALU_DEP_1) | instskip(NEXT) | instid1(VALU_DEP_1)
	v_rndne_f64_e32 v[30:31], v[26:27]
	v_fma_f64 v[26:27], v[30:31], s[24:25], |v[4:5]|
	v_mul_f64_e32 v[28:29], 0xbc91a62633145c00, v[30:31]
	v_cvt_i32_f64_e32 v42, v[30:31]
	s_delay_alu instid0(VALU_DEP_3) | instskip(NEXT) | instid1(VALU_DEP_3)
	v_fmamk_f64 v[36:37], v[30:31], 0xbc91a62633145c00, v[26:27]
	v_add_f64_e32 v[32:33], v[26:27], v[28:29]
	s_delay_alu instid0(VALU_DEP_1) | instskip(NEXT) | instid1(VALU_DEP_3)
	v_add_f64_e64 v[34:35], v[26:27], -v[32:33]
	v_add_f64_e64 v[26:27], v[32:33], -v[36:37]
	s_delay_alu instid0(VALU_DEP_2) | instskip(SKIP_1) | instid1(VALU_DEP_2)
	v_add_f64_e32 v[32:33], v[34:35], v[28:29]
	v_fmamk_f64 v[28:29], v[30:31], 0x3c91a62633145c00, v[28:29]
	v_add_f64_e32 v[26:27], v[26:27], v[32:33]
	s_delay_alu instid0(VALU_DEP_1) | instskip(NEXT) | instid1(VALU_DEP_1)
	v_add_f64_e64 v[28:29], v[26:27], -v[28:29]
	v_fmac_f64_e32 v[28:29], 0xb97b839a252049c0, v[30:31]
	s_delay_alu instid0(VALU_DEP_1) | instskip(NEXT) | instid1(VALU_DEP_1)
	v_add_f64_e32 v[26:27], v[36:37], v[28:29]
	v_add_f64_e64 v[32:33], v[26:27], -v[36:37]
	s_delay_alu instid0(VALU_DEP_1)
	v_add_f64_e64 v[28:29], v[28:29], -v[32:33]
.LBB103_12:                             ;   in Loop: Header=BB103_4 Depth=1
	s_or_b32 exec_lo, exec_lo, s2
	s_wait_loadcnt 0x0
	v_cmp_ngt_f64_e64 s2, 0x41d00000, |v[6:7]|
                                        ; implicit-def: $vgpr43
                                        ; implicit-def: $vgpr30_vgpr31
                                        ; implicit-def: $vgpr32_vgpr33
	s_and_saveexec_b32 s3, s2
	s_delay_alu instid0(SALU_CYCLE_1)
	s_xor_b32 s2, exec_lo, s3
	s_cbranch_execz .LBB103_14
; %bb.13:                               ;   in Loop: Header=BB103_4 Depth=1
	v_ldexp_f64 v[30:31], |v[6:7]|, 0xffffff80
	v_cmp_le_f64_e64 vcc_lo, 0x7b000000, |v[6:7]|
	v_trig_preop_f64 v[32:33], |v[6:7]|, 0
	v_and_b32_e32 v13, 0x7fffffff, v7
	v_trig_preop_f64 v[34:35], |v[6:7]|, 1
	v_trig_preop_f64 v[46:47], |v[6:7]|, 2
	s_delay_alu instid0(VALU_DEP_3) | instskip(NEXT) | instid1(VALU_DEP_1)
	v_dual_cndmask_b32 v31, v13, v31 :: v_dual_cndmask_b32 v30, v6, v30
	v_mul_f64_e32 v[36:37], v[32:33], v[30:31]
	s_delay_alu instid0(VALU_DEP_4) | instskip(NEXT) | instid1(VALU_DEP_4)
	v_mul_f64_e32 v[38:39], v[34:35], v[30:31]
	v_mul_f64_e32 v[52:53], v[46:47], v[30:31]
	s_delay_alu instid0(VALU_DEP_3) | instskip(NEXT) | instid1(VALU_DEP_3)
	v_fma_f64 v[32:33], v[32:33], v[30:31], -v[36:37]
	v_fma_f64 v[34:35], v[34:35], v[30:31], -v[38:39]
	s_delay_alu instid0(VALU_DEP_3) | instskip(NEXT) | instid1(VALU_DEP_3)
	v_fma_f64 v[30:31], v[46:47], v[30:31], -v[52:53]
	v_add_f64_e32 v[40:41], v[38:39], v[32:33]
	s_delay_alu instid0(VALU_DEP_1) | instskip(SKIP_1) | instid1(VALU_DEP_2)
	v_add_f64_e64 v[44:45], v[40:41], -v[38:39]
	v_add_f64_e32 v[50:51], v[36:37], v[40:41]
	v_add_f64_e64 v[48:49], v[40:41], -v[44:45]
	v_add_f64_e64 v[32:33], v[32:33], -v[44:45]
	s_delay_alu instid0(VALU_DEP_3) | instskip(SKIP_1) | instid1(VALU_DEP_4)
	v_ldexp_f64 v[44:45], v[50:51], -2
	v_add_f64_e64 v[36:37], v[50:51], -v[36:37]
	v_add_f64_e64 v[38:39], v[38:39], -v[48:49]
	v_add_f64_e32 v[48:49], v[52:53], v[34:35]
	s_delay_alu instid0(VALU_DEP_4) | instskip(NEXT) | instid1(VALU_DEP_3)
	v_cmp_neq_f64_e64 vcc_lo, 0x7ff00000, |v[44:45]|
	v_add_f64_e32 v[32:33], v[32:33], v[38:39]
	v_fract_f64_e32 v[38:39], v[44:45]
	s_delay_alu instid0(VALU_DEP_1) | instskip(NEXT) | instid1(VALU_DEP_1)
	v_ldexp_f64 v[38:39], v[38:39], 2
	v_dual_add_f64 v[36:37], v[40:41], -v[36:37] :: v_dual_cndmask_b32 v39, 0, v39, vcc_lo
	s_delay_alu instid0(VALU_DEP_2) | instskip(NEXT) | instid1(VALU_DEP_1)
	v_dual_add_f64 v[40:41], v[48:49], v[32:33] :: v_dual_cndmask_b32 v38, 0, v38, vcc_lo
	v_add_f64_e32 v[44:45], v[36:37], v[40:41]
	v_add_f64_e64 v[54:55], v[40:41], -v[48:49]
	s_delay_alu instid0(VALU_DEP_2) | instskip(NEXT) | instid1(VALU_DEP_2)
	v_add_f64_e32 v[50:51], v[44:45], v[38:39]
	v_add_f64_e64 v[60:61], v[40:41], -v[54:55]
	v_add_f64_e64 v[32:33], v[32:33], -v[54:55]
	;; [unrolled: 1-line block ×3, first 2 shown]
	s_delay_alu instid0(VALU_DEP_4) | instskip(SKIP_1) | instid1(VALU_DEP_3)
	v_cmp_gt_f64_e32 vcc_lo, 0, v[50:51]
	v_add_f64_e64 v[50:51], v[48:49], -v[52:53]
	v_add_f64_e64 v[36:37], v[40:41], -v[36:37]
	v_cndmask_b32_e64 v13, 0, 0x40100000, vcc_lo
	s_delay_alu instid0(VALU_DEP_3) | instskip(SKIP_2) | instid1(VALU_DEP_4)
	v_add_f64_e64 v[58:59], v[48:49], -v[50:51]
	v_add_f64_e64 v[34:35], v[34:35], -v[50:51]
	;; [unrolled: 1-line block ×3, first 2 shown]
	v_add_f64_e32 v[38:39], v[38:39], v[12:13]
	s_delay_alu instid0(VALU_DEP_4) | instskip(NEXT) | instid1(VALU_DEP_3)
	v_add_f64_e64 v[50:51], v[52:53], -v[58:59]
	v_add_f64_e32 v[32:33], v[32:33], v[48:49]
	s_delay_alu instid0(VALU_DEP_3) | instskip(NEXT) | instid1(VALU_DEP_3)
	v_add_f64_e32 v[56:57], v[44:45], v[38:39]
	v_add_f64_e32 v[34:35], v[34:35], v[50:51]
	s_delay_alu instid0(VALU_DEP_2) | instskip(NEXT) | instid1(VALU_DEP_2)
	v_cvt_i32_f64_e32 v13, v[56:57]
	v_add_f64_e32 v[32:33], v[34:35], v[32:33]
	s_delay_alu instid0(VALU_DEP_2) | instskip(NEXT) | instid1(VALU_DEP_2)
	v_cvt_f64_i32_e32 v[54:55], v13
	v_add_f64_e32 v[30:31], v[30:31], v[32:33]
	s_delay_alu instid0(VALU_DEP_2) | instskip(NEXT) | instid1(VALU_DEP_2)
	v_add_f64_e64 v[38:39], v[38:39], -v[54:55]
	v_add_f64_e32 v[30:31], v[36:37], v[30:31]
	s_delay_alu instid0(VALU_DEP_2) | instskip(NEXT) | instid1(VALU_DEP_1)
	v_add_f64_e32 v[34:35], v[44:45], v[38:39]
	v_add_f64_e64 v[32:33], v[34:35], -v[38:39]
	v_cmp_le_f64_e32 vcc_lo, 0.5, v[34:35]
	s_delay_alu instid0(VALU_DEP_2) | instskip(SKIP_2) | instid1(VALU_DEP_3)
	v_add_f64_e64 v[32:33], v[44:45], -v[32:33]
	v_add_co_ci_u32_e64 v43, null, 0, v13, vcc_lo
	v_cndmask_b32_e64 v13, 0, 0x3ff00000, vcc_lo
	v_add_f64_e32 v[30:31], v[30:31], v[32:33]
	s_delay_alu instid0(VALU_DEP_2) | instskip(NEXT) | instid1(VALU_DEP_1)
	v_add_f64_e64 v[32:33], v[34:35], -v[12:13]
	v_add_f64_e32 v[34:35], v[32:33], v[30:31]
	s_delay_alu instid0(VALU_DEP_1) | instskip(SKIP_1) | instid1(VALU_DEP_2)
	v_mul_f64_e32 v[36:37], 0x3ff921fb54442d18, v[34:35]
	v_add_f64_e64 v[32:33], v[34:35], -v[32:33]
	v_fma_f64 v[38:39], v[34:35], s[20:21], -v[36:37]
	s_delay_alu instid0(VALU_DEP_2) | instskip(NEXT) | instid1(VALU_DEP_2)
	v_add_f64_e64 v[30:31], v[30:31], -v[32:33]
	v_fmac_f64_e32 v[38:39], 0x3c91a62633145c07, v[34:35]
	s_delay_alu instid0(VALU_DEP_1) | instskip(NEXT) | instid1(VALU_DEP_1)
	v_fmac_f64_e32 v[38:39], 0x3ff921fb54442d18, v[30:31]
	v_add_f64_e32 v[30:31], v[36:37], v[38:39]
	s_delay_alu instid0(VALU_DEP_1) | instskip(NEXT) | instid1(VALU_DEP_1)
	v_add_f64_e64 v[32:33], v[30:31], -v[36:37]
	v_add_f64_e64 v[32:33], v[38:39], -v[32:33]
.LBB103_14:                             ;   in Loop: Header=BB103_4 Depth=1
	s_and_not1_saveexec_b32 s2, s2
	s_cbranch_execz .LBB103_16
; %bb.15:                               ;   in Loop: Header=BB103_4 Depth=1
	v_mul_f64_e64 v[30:31], |v[6:7]|, s[22:23]
	s_delay_alu instid0(VALU_DEP_1) | instskip(NEXT) | instid1(VALU_DEP_1)
	v_rndne_f64_e32 v[34:35], v[30:31]
	v_fma_f64 v[30:31], v[34:35], s[24:25], |v[6:7]|
	v_mul_f64_e32 v[32:33], 0xbc91a62633145c00, v[34:35]
	v_cvt_i32_f64_e32 v43, v[34:35]
	s_delay_alu instid0(VALU_DEP_3) | instskip(NEXT) | instid1(VALU_DEP_3)
	v_fmamk_f64 v[40:41], v[34:35], 0xbc91a62633145c00, v[30:31]
	v_add_f64_e32 v[36:37], v[30:31], v[32:33]
	s_delay_alu instid0(VALU_DEP_1) | instskip(NEXT) | instid1(VALU_DEP_3)
	v_add_f64_e64 v[38:39], v[30:31], -v[36:37]
	v_add_f64_e64 v[30:31], v[36:37], -v[40:41]
	s_delay_alu instid0(VALU_DEP_2) | instskip(SKIP_1) | instid1(VALU_DEP_2)
	v_add_f64_e32 v[36:37], v[38:39], v[32:33]
	v_fmamk_f64 v[32:33], v[34:35], 0x3c91a62633145c00, v[32:33]
	v_add_f64_e32 v[30:31], v[30:31], v[36:37]
	s_delay_alu instid0(VALU_DEP_1) | instskip(NEXT) | instid1(VALU_DEP_1)
	v_add_f64_e64 v[32:33], v[30:31], -v[32:33]
	v_fmac_f64_e32 v[32:33], 0xb97b839a252049c0, v[34:35]
	s_delay_alu instid0(VALU_DEP_1) | instskip(NEXT) | instid1(VALU_DEP_1)
	v_add_f64_e32 v[30:31], v[40:41], v[32:33]
	v_add_f64_e64 v[36:37], v[30:31], -v[40:41]
	s_delay_alu instid0(VALU_DEP_1)
	v_add_f64_e64 v[32:33], v[32:33], -v[36:37]
.LBB103_16:                             ;   in Loop: Header=BB103_4 Depth=1
	s_or_b32 exec_lo, exec_lo, s2
	v_cmp_ngt_f64_e64 s2, 0x41d00000, |v[8:9]|
                                        ; implicit-def: $vgpr44
                                        ; implicit-def: $vgpr34_vgpr35
                                        ; implicit-def: $vgpr36_vgpr37
	s_and_saveexec_b32 s3, s2
	s_delay_alu instid0(SALU_CYCLE_1)
	s_xor_b32 s2, exec_lo, s3
	s_cbranch_execz .LBB103_18
; %bb.17:                               ;   in Loop: Header=BB103_4 Depth=1
	v_cmp_le_f64_e64 vcc_lo, 0x7b000000, |v[8:9]|
	v_ldexp_f64 v[38:39], |v[8:9]|, 0xffffff80
	v_trig_preop_f64 v[34:35], |v[8:9]|, 0
	v_and_b32_e32 v13, 0x7fffffff, v9
	v_trig_preop_f64 v[36:37], |v[8:9]|, 1
	s_delay_alu instid0(VALU_DEP_2) | instskip(NEXT) | instid1(VALU_DEP_1)
	v_dual_cndmask_b32 v39, v13, v39 :: v_dual_cndmask_b32 v38, v8, v38
	v_mul_f64_e32 v[44:45], v[34:35], v[38:39]
	s_delay_alu instid0(VALU_DEP_3) | instskip(NEXT) | instid1(VALU_DEP_2)
	v_mul_f64_e32 v[40:41], v[36:37], v[38:39]
	v_fma_f64 v[34:35], v[34:35], v[38:39], -v[44:45]
	s_delay_alu instid0(VALU_DEP_2) | instskip(NEXT) | instid1(VALU_DEP_2)
	v_fma_f64 v[36:37], v[36:37], v[38:39], -v[40:41]
	v_add_f64_e32 v[46:47], v[40:41], v[34:35]
	s_delay_alu instid0(VALU_DEP_1) | instskip(SKIP_1) | instid1(VALU_DEP_2)
	v_add_f64_e64 v[54:55], v[46:47], -v[40:41]
	v_add_f64_e32 v[48:49], v[44:45], v[46:47]
	v_add_f64_e64 v[34:35], v[34:35], -v[54:55]
	v_add_f64_e64 v[54:55], v[46:47], -v[54:55]
	s_delay_alu instid0(VALU_DEP_3) | instskip(SKIP_1) | instid1(VALU_DEP_3)
	v_ldexp_f64 v[50:51], v[48:49], -2
	v_add_f64_e64 v[44:45], v[48:49], -v[44:45]
	v_add_f64_e64 v[54:55], v[40:41], -v[54:55]
	v_trig_preop_f64 v[40:41], |v[8:9]|, 2
	s_delay_alu instid0(VALU_DEP_4) | instskip(NEXT) | instid1(VALU_DEP_4)
	v_fract_f64_e32 v[52:53], v[50:51]
	v_add_f64_e64 v[44:45], v[46:47], -v[44:45]
	v_cmp_neq_f64_e64 vcc_lo, 0x7ff00000, |v[50:51]|
	v_add_f64_e32 v[34:35], v[34:35], v[54:55]
	v_mul_f64_e32 v[54:55], v[40:41], v[38:39]
	s_delay_alu instid0(VALU_DEP_1) | instskip(NEXT) | instid1(VALU_DEP_1)
	v_add_f64_e32 v[56:57], v[54:55], v[36:37]
	v_add_f64_e32 v[58:59], v[56:57], v[34:35]
	s_delay_alu instid0(VALU_DEP_1) | instskip(SKIP_1) | instid1(VALU_DEP_2)
	v_add_f64_e64 v[48:49], v[58:59], -v[56:57]
	v_add_f64_e32 v[46:47], v[44:45], v[58:59]
	v_add_f64_e64 v[34:35], v[34:35], -v[48:49]
	v_add_f64_e64 v[48:49], v[58:59], -v[48:49]
	s_delay_alu instid0(VALU_DEP_3) | instskip(NEXT) | instid1(VALU_DEP_2)
	v_add_f64_e64 v[44:45], v[46:47], -v[44:45]
	v_add_f64_e64 v[48:49], v[56:57], -v[48:49]
	s_delay_alu instid0(VALU_DEP_2) | instskip(NEXT) | instid1(VALU_DEP_2)
	v_add_f64_e64 v[44:45], v[58:59], -v[44:45]
	v_add_f64_e32 v[34:35], v[34:35], v[48:49]
	v_add_f64_e64 v[48:49], v[56:57], -v[54:55]
	s_delay_alu instid0(VALU_DEP_1) | instskip(SKIP_1) | instid1(VALU_DEP_1)
	v_add_f64_e64 v[36:37], v[36:37], -v[48:49]
	v_add_f64_e64 v[48:49], v[56:57], -v[48:49]
	;; [unrolled: 1-line block ×3, first 2 shown]
	s_delay_alu instid0(VALU_DEP_1) | instskip(NEXT) | instid1(VALU_DEP_1)
	v_add_f64_e32 v[36:37], v[36:37], v[48:49]
	v_add_f64_e32 v[34:35], v[36:37], v[34:35]
	v_fma_f64 v[36:37], v[40:41], v[38:39], -v[54:55]
	s_delay_alu instid0(VALU_DEP_1) | instskip(SKIP_1) | instid1(VALU_DEP_1)
	v_add_f64_e32 v[34:35], v[36:37], v[34:35]
	v_ldexp_f64 v[36:37], v[52:53], 2
	v_dual_add_f64 v[34:35], v[44:45], v[34:35] :: v_dual_cndmask_b32 v37, 0, v37, vcc_lo
	s_delay_alu instid0(VALU_DEP_2) | instskip(NEXT) | instid1(VALU_DEP_1)
	v_cndmask_b32_e32 v36, 0, v36, vcc_lo
	v_add_f64_e32 v[38:39], v[46:47], v[36:37]
	s_delay_alu instid0(VALU_DEP_1) | instskip(SKIP_1) | instid1(VALU_DEP_1)
	v_cmp_gt_f64_e32 vcc_lo, 0, v[38:39]
	v_cndmask_b32_e64 v13, 0, 0x40100000, vcc_lo
	v_add_f64_e32 v[36:37], v[36:37], v[12:13]
	s_delay_alu instid0(VALU_DEP_1) | instskip(NEXT) | instid1(VALU_DEP_1)
	v_add_f64_e32 v[38:39], v[46:47], v[36:37]
	v_cvt_i32_f64_e32 v13, v[38:39]
	s_delay_alu instid0(VALU_DEP_1) | instskip(NEXT) | instid1(VALU_DEP_1)
	v_cvt_f64_i32_e32 v[38:39], v13
	v_add_f64_e64 v[36:37], v[36:37], -v[38:39]
	s_delay_alu instid0(VALU_DEP_1) | instskip(NEXT) | instid1(VALU_DEP_1)
	v_add_f64_e32 v[38:39], v[46:47], v[36:37]
	v_add_f64_e64 v[36:37], v[38:39], -v[36:37]
	v_cmp_le_f64_e32 vcc_lo, 0.5, v[38:39]
	s_delay_alu instid0(VALU_DEP_2) | instskip(SKIP_2) | instid1(VALU_DEP_3)
	v_add_f64_e64 v[36:37], v[46:47], -v[36:37]
	v_add_co_ci_u32_e64 v44, null, 0, v13, vcc_lo
	v_cndmask_b32_e64 v13, 0, 0x3ff00000, vcc_lo
	v_add_f64_e32 v[34:35], v[34:35], v[36:37]
	s_delay_alu instid0(VALU_DEP_2) | instskip(NEXT) | instid1(VALU_DEP_1)
	v_add_f64_e64 v[36:37], v[38:39], -v[12:13]
	v_add_f64_e32 v[38:39], v[36:37], v[34:35]
	s_delay_alu instid0(VALU_DEP_1) | instskip(NEXT) | instid1(VALU_DEP_1)
	v_add_f64_e64 v[36:37], v[38:39], -v[36:37]
	v_add_f64_e64 v[34:35], v[34:35], -v[36:37]
	v_mul_f64_e32 v[36:37], 0x3ff921fb54442d18, v[38:39]
	s_delay_alu instid0(VALU_DEP_1) | instskip(NEXT) | instid1(VALU_DEP_1)
	v_fma_f64 v[40:41], v[38:39], s[20:21], -v[36:37]
	v_fmac_f64_e32 v[40:41], 0x3c91a62633145c07, v[38:39]
	s_delay_alu instid0(VALU_DEP_1) | instskip(NEXT) | instid1(VALU_DEP_1)
	v_fmac_f64_e32 v[40:41], 0x3ff921fb54442d18, v[34:35]
	v_add_f64_e32 v[34:35], v[36:37], v[40:41]
	s_delay_alu instid0(VALU_DEP_1) | instskip(NEXT) | instid1(VALU_DEP_1)
	v_add_f64_e64 v[36:37], v[34:35], -v[36:37]
	v_add_f64_e64 v[36:37], v[40:41], -v[36:37]
.LBB103_18:                             ;   in Loop: Header=BB103_4 Depth=1
	s_and_not1_saveexec_b32 s2, s2
	s_cbranch_execz .LBB103_3
; %bb.19:                               ;   in Loop: Header=BB103_4 Depth=1
	v_mul_f64_e64 v[34:35], |v[8:9]|, s[22:23]
	s_delay_alu instid0(VALU_DEP_1) | instskip(NEXT) | instid1(VALU_DEP_1)
	v_rndne_f64_e32 v[38:39], v[34:35]
	v_fma_f64 v[34:35], v[38:39], s[24:25], |v[8:9]|
	v_mul_f64_e32 v[36:37], 0xbc91a62633145c00, v[38:39]
	s_delay_alu instid0(VALU_DEP_2) | instskip(NEXT) | instid1(VALU_DEP_2)
	v_fmamk_f64 v[46:47], v[38:39], 0xbc91a62633145c00, v[34:35]
	v_add_f64_e32 v[40:41], v[34:35], v[36:37]
	s_delay_alu instid0(VALU_DEP_1) | instskip(NEXT) | instid1(VALU_DEP_3)
	v_add_f64_e64 v[44:45], v[34:35], -v[40:41]
	v_add_f64_e64 v[34:35], v[40:41], -v[46:47]
	s_delay_alu instid0(VALU_DEP_2) | instskip(SKIP_2) | instid1(VALU_DEP_3)
	v_add_f64_e32 v[40:41], v[44:45], v[36:37]
	v_fmamk_f64 v[36:37], v[38:39], 0x3c91a62633145c00, v[36:37]
	v_cvt_i32_f64_e32 v44, v[38:39]
	v_add_f64_e32 v[34:35], v[34:35], v[40:41]
	s_delay_alu instid0(VALU_DEP_1) | instskip(NEXT) | instid1(VALU_DEP_1)
	v_add_f64_e64 v[36:37], v[34:35], -v[36:37]
	v_fmac_f64_e32 v[36:37], 0xb97b839a252049c0, v[38:39]
	s_delay_alu instid0(VALU_DEP_1) | instskip(NEXT) | instid1(VALU_DEP_1)
	v_add_f64_e32 v[34:35], v[46:47], v[36:37]
	v_add_f64_e64 v[40:41], v[34:35], -v[46:47]
	s_delay_alu instid0(VALU_DEP_1)
	v_add_f64_e64 v[36:37], v[36:37], -v[40:41]
	s_branch .LBB103_3
.LBB103_20:
	s_or_b32 exec_lo, exec_lo, s9
	s_mov_b32 s2, 0
.LBB103_21:
	s_delay_alu instid0(SALU_CYCLE_1)
	s_and_not1_b32 vcc_lo, exec_lo, s2
	s_cbranch_vccnz .LBB103_57
; %bb.22:
	v_cmp_lt_i64_e64 s2, s[16:17], 1
	s_and_b32 vcc_lo, exec_lo, s2
	s_cbranch_vccnz .LBB103_57
; %bb.23:
	s_load_b32 s0, s[0:1], 0xc5c
	v_min_i64 v[2:3], 0x10000, s[16:17]
	v_min_u64 v[6:7], 0x10000, s[16:17]
	v_dual_mov_b32 v4, 0 :: v_dual_lshlrev_b32 v12, 3, v0
	s_wait_xcnt 0x0
	s_mov_b32 s1, 0
	v_mov_b64_e32 v[30:31], 0x3e21eeb69037ab78
	s_mov_b32 s17, s1
	v_dual_mov_b32 v13, v4 :: v_dual_mov_b32 v1, v4
	s_mov_b32 s3, s1
	s_mov_b32 s9, s1
	v_mov_b64_e32 v[32:33], 0xbe5ae600b42fdfa7
	s_delay_alu instid0(VALU_DEP_2) | instskip(SKIP_4) | instid1(SALU_CYCLE_1)
	v_add_nc_u64_e32 v[8:9], s[12:13], v[12:13]
	s_mov_b64 s[4:5], 0x3ff921fb54442d18
	s_mov_b64 s[6:7], 0x3fe45f306dc9c883
                                        ; implicit-def: $vgpr34_vgpr35
                                        ; implicit-def: $vgpr34_vgpr35
	;; [unrolled: 1-line block ×7, first 2 shown]
	s_wait_kmcnt 0x0
	s_and_b32 s0, s0, 0xffff
	v_add_nc_u64_e32 v[10:11], s[0:1], v[0:1]
	v_mad_nc_u64_u32 v[24:25], s0, 24, v[12:13]
	s_lshl_b32 s16, s0, 4
	v_mov_b32_e32 v29, v4
	v_add_nc_u64_e32 v[20:21], s[16:17], v[12:13]
	s_mul_i32 s8, s0, 3
	s_lshl_b32 s2, s0, 1
	v_lshlrev_b32_e32 v28, 3, v10
	v_add_nc_u64_e32 v[12:13], s[14:15], v[12:13]
	v_add_nc_u64_e32 v[14:15], s[8:9], v[0:1]
	;; [unrolled: 1-line block ×9, first 2 shown]
	s_mov_b64 s[8:9], 0xbff921fb54442d18
	s_lshl_b32 s12, s0, 2
	s_mov_b32 s13, s1
	s_lshl_b32 s14, s0, 5
	s_mov_b32 s15, s1
	s_mov_b64 s[16:17], 0
	s_branch .LBB103_25
.LBB103_24:                             ;   in Loop: Header=BB103_25 Depth=1
	s_wait_xcnt 0x0
	s_or_b32 exec_lo, exec_lo, s1
	s_add_nc_u64 s[16:17], s[16:17], s[12:13]
	v_add_nc_u64_e32 v[8:9], s[14:15], v[8:9]
	v_cmp_ge_i64_e32 vcc_lo, s[16:17], v[2:3]
	v_add_nc_u64_e32 v[12:13], s[14:15], v[12:13]
	v_add_nc_u64_e32 v[22:23], s[14:15], v[22:23]
	;; [unrolled: 1-line block ×7, first 2 shown]
	s_cbranch_vccnz .LBB103_57
.LBB103_25:                             ; =>This Inner Loop Header: Depth=1
	v_add_nc_u64_e32 v[34:35], s[16:17], v[0:1]
	v_dual_mov_b32 v40, 0 :: v_dual_mov_b32 v41, 0
	s_delay_alu instid0(VALU_DEP_2)
	v_cmp_lt_u64_e64 s2, v[34:35], v[6:7]
	s_and_saveexec_b32 s0, s2
	s_cbranch_execz .LBB103_27
; %bb.26:                               ;   in Loop: Header=BB103_25 Depth=1
	v_add_nc_u64_e32 v[34:35], s[10:11], v[8:9]
	global_load_b64 v[40:41], v[34:35], off
.LBB103_27:                             ;   in Loop: Header=BB103_25 Depth=1
	s_wait_xcnt 0x0
	s_or_b32 exec_lo, exec_lo, s0
	v_add_nc_u64_e32 v[34:35], s[16:17], v[10:11]
	v_dual_mov_b32 v36, 0 :: v_dual_mov_b32 v38, 0
	v_mov_b32_e32 v39, 0
	s_delay_alu instid0(VALU_DEP_3)
	v_cmp_lt_u64_e64 s1, v[34:35], v[6:7]
	s_and_saveexec_b32 s0, s1
	s_cbranch_execz .LBB103_29
; %bb.28:                               ;   in Loop: Header=BB103_25 Depth=1
	v_add_nc_u64_e32 v[34:35], s[10:11], v[26:27]
	global_load_b64 v[38:39], v[34:35], off
.LBB103_29:                             ;   in Loop: Header=BB103_25 Depth=1
	s_wait_xcnt 0x0
	s_or_b32 exec_lo, exec_lo, s0
	v_add_nc_u64_e32 v[34:35], s[16:17], v[16:17]
	v_mov_b32_e32 v37, 0
	s_delay_alu instid0(VALU_DEP_2)
	v_cmp_lt_u64_e64 s0, v[34:35], v[6:7]
	s_and_saveexec_b32 s3, s0
	s_cbranch_execz .LBB103_31
; %bb.30:                               ;   in Loop: Header=BB103_25 Depth=1
	v_add_nc_u64_e32 v[34:35], s[10:11], v[18:19]
	global_load_b64 v[36:37], v[34:35], off
.LBB103_31:                             ;   in Loop: Header=BB103_25 Depth=1
	s_wait_xcnt 0x0
	s_or_b32 exec_lo, exec_lo, s3
	v_add_nc_u64_e32 v[34:35], s[16:17], v[14:15]
	s_delay_alu instid0(VALU_DEP_1)
	v_cmp_lt_u64_e32 vcc_lo, v[34:35], v[6:7]
	v_mov_b64_e32 v[34:35], 0
	s_and_saveexec_b32 s3, vcc_lo
	s_cbranch_execz .LBB103_33
; %bb.32:                               ;   in Loop: Header=BB103_25 Depth=1
	v_add_nc_u64_e32 v[34:35], s[10:11], v[22:23]
	global_load_b64 v[34:35], v[34:35], off
.LBB103_33:                             ;   in Loop: Header=BB103_25 Depth=1
	s_wait_xcnt 0x0
	s_or_b32 exec_lo, exec_lo, s3
	s_delay_alu instid0(SALU_CYCLE_1)
	s_mov_b32 s18, exec_lo
                                        ; implicit-def: $vgpr58
                                        ; implicit-def: $vgpr42_vgpr43
                                        ; implicit-def: $vgpr44_vgpr45
	s_wait_loadcnt 0x0
	v_cmpx_ngt_f64_e64 0x41d00000, |v[40:41]|
	s_xor_b32 s18, exec_lo, s18
	s_cbranch_execz .LBB103_35
; %bb.34:                               ;   in Loop: Header=BB103_25 Depth=1
	v_ldexp_f64 v[42:43], |v[40:41]|, 0xffffff80
	v_cmp_le_f64_e64 s3, 0x7b000000, |v[40:41]|
	v_trig_preop_f64 v[44:45], |v[40:41]|, 0
	v_and_b32_e32 v5, 0x7fffffff, v41
	v_trig_preop_f64 v[46:47], |v[40:41]|, 1
	v_trig_preop_f64 v[56:57], |v[40:41]|, 2
	s_delay_alu instid0(VALU_DEP_3) | instskip(NEXT) | instid1(VALU_DEP_1)
	v_dual_cndmask_b32 v43, v5, v43, s3 :: v_dual_cndmask_b32 v42, v40, v42, s3
	v_mul_f64_e32 v[48:49], v[44:45], v[42:43]
	s_delay_alu instid0(VALU_DEP_4) | instskip(NEXT) | instid1(VALU_DEP_4)
	v_mul_f64_e32 v[50:51], v[46:47], v[42:43]
	v_mul_f64_e32 v[62:63], v[56:57], v[42:43]
	s_delay_alu instid0(VALU_DEP_3) | instskip(NEXT) | instid1(VALU_DEP_3)
	v_fma_f64 v[44:45], v[44:45], v[42:43], -v[48:49]
	v_fma_f64 v[46:47], v[46:47], v[42:43], -v[50:51]
	s_delay_alu instid0(VALU_DEP_3) | instskip(NEXT) | instid1(VALU_DEP_3)
	v_fma_f64 v[42:43], v[56:57], v[42:43], -v[62:63]
	v_add_f64_e32 v[52:53], v[50:51], v[44:45]
	s_delay_alu instid0(VALU_DEP_1) | instskip(SKIP_1) | instid1(VALU_DEP_2)
	v_add_f64_e64 v[54:55], v[52:53], -v[50:51]
	v_add_f64_e32 v[60:61], v[48:49], v[52:53]
	v_add_f64_e64 v[58:59], v[52:53], -v[54:55]
	v_add_f64_e64 v[44:45], v[44:45], -v[54:55]
	s_delay_alu instid0(VALU_DEP_3) | instskip(NEXT) | instid1(VALU_DEP_3)
	v_ldexp_f64 v[54:55], v[60:61], -2
	v_add_f64_e64 v[50:51], v[50:51], -v[58:59]
	v_add_f64_e32 v[58:59], v[62:63], v[46:47]
	s_delay_alu instid0(VALU_DEP_3) | instskip(NEXT) | instid1(VALU_DEP_3)
	v_cmp_neq_f64_e64 s3, 0x7ff00000, |v[54:55]|
	v_add_f64_e32 v[44:45], v[44:45], v[50:51]
	v_fract_f64_e32 v[50:51], v[54:55]
	s_delay_alu instid0(VALU_DEP_1) | instskip(NEXT) | instid1(VALU_DEP_1)
	v_ldexp_f64 v[50:51], v[50:51], 2
	v_dual_add_f64 v[48:49], v[60:61], -v[48:49] :: v_dual_cndmask_b32 v50, 0, v50, s3
	s_delay_alu instid0(VALU_DEP_1) | instskip(SKIP_1) | instid1(VALU_DEP_1)
	v_dual_add_f64 v[48:49], v[52:53], -v[48:49] :: v_dual_cndmask_b32 v51, 0, v51, s3
	v_add_f64_e32 v[52:53], v[58:59], v[44:45]
	v_add_f64_e32 v[54:55], v[48:49], v[52:53]
	v_add_f64_e64 v[64:65], v[52:53], -v[58:59]
	s_delay_alu instid0(VALU_DEP_2) | instskip(NEXT) | instid1(VALU_DEP_2)
	v_add_f64_e32 v[60:61], v[54:55], v[50:51]
	v_add_f64_e64 v[70:71], v[52:53], -v[64:65]
	v_add_f64_e64 v[44:45], v[44:45], -v[64:65]
	;; [unrolled: 1-line block ×3, first 2 shown]
	s_delay_alu instid0(VALU_DEP_4) | instskip(SKIP_1) | instid1(VALU_DEP_3)
	v_cmp_gt_f64_e64 s3, 0, v[60:61]
	v_add_f64_e64 v[60:61], v[58:59], -v[62:63]
	v_add_f64_e64 v[48:49], v[52:53], -v[48:49]
	s_delay_alu instid0(VALU_DEP_3) | instskip(NEXT) | instid1(VALU_DEP_3)
	v_cndmask_b32_e64 v5, 0, 0x40100000, s3
	v_add_f64_e64 v[68:69], v[58:59], -v[60:61]
	v_add_f64_e64 v[46:47], v[46:47], -v[60:61]
	;; [unrolled: 1-line block ×3, first 2 shown]
	s_delay_alu instid0(VALU_DEP_4) | instskip(NEXT) | instid1(VALU_DEP_4)
	v_add_f64_e32 v[50:51], v[50:51], v[4:5]
	v_add_f64_e64 v[60:61], v[62:63], -v[68:69]
	s_delay_alu instid0(VALU_DEP_3) | instskip(NEXT) | instid1(VALU_DEP_3)
	v_add_f64_e32 v[44:45], v[44:45], v[58:59]
	v_add_f64_e32 v[66:67], v[54:55], v[50:51]
	s_delay_alu instid0(VALU_DEP_3) | instskip(NEXT) | instid1(VALU_DEP_2)
	v_add_f64_e32 v[46:47], v[46:47], v[60:61]
	v_cvt_i32_f64_e32 v5, v[66:67]
	s_delay_alu instid0(VALU_DEP_2) | instskip(NEXT) | instid1(VALU_DEP_2)
	v_add_f64_e32 v[44:45], v[46:47], v[44:45]
	v_cvt_f64_i32_e32 v[64:65], v5
	s_delay_alu instid0(VALU_DEP_2) | instskip(NEXT) | instid1(VALU_DEP_2)
	v_add_f64_e32 v[42:43], v[42:43], v[44:45]
	v_add_f64_e64 v[50:51], v[50:51], -v[64:65]
	s_delay_alu instid0(VALU_DEP_2) | instskip(NEXT) | instid1(VALU_DEP_2)
	v_add_f64_e32 v[42:43], v[48:49], v[42:43]
	v_add_f64_e32 v[46:47], v[54:55], v[50:51]
	s_delay_alu instid0(VALU_DEP_1) | instskip(SKIP_1) | instid1(VALU_DEP_2)
	v_add_f64_e64 v[44:45], v[46:47], -v[50:51]
	v_cmp_le_f64_e64 s3, 0.5, v[46:47]
	v_add_f64_e64 v[44:45], v[54:55], -v[44:45]
	s_delay_alu instid0(VALU_DEP_2) | instskip(SKIP_1) | instid1(VALU_DEP_3)
	v_add_co_ci_u32_e64 v58, null, 0, v5, s3
	v_cndmask_b32_e64 v5, 0, 0x3ff00000, s3
	v_add_f64_e32 v[42:43], v[42:43], v[44:45]
	s_delay_alu instid0(VALU_DEP_2) | instskip(NEXT) | instid1(VALU_DEP_1)
	v_add_f64_e64 v[44:45], v[46:47], -v[4:5]
	v_add_f64_e32 v[46:47], v[44:45], v[42:43]
	s_delay_alu instid0(VALU_DEP_1) | instskip(SKIP_1) | instid1(VALU_DEP_2)
	v_mul_f64_e32 v[48:49], 0x3ff921fb54442d18, v[46:47]
	v_add_f64_e64 v[44:45], v[46:47], -v[44:45]
	v_fma_f64 v[50:51], v[46:47], s[4:5], -v[48:49]
	s_delay_alu instid0(VALU_DEP_2) | instskip(NEXT) | instid1(VALU_DEP_2)
	v_add_f64_e64 v[42:43], v[42:43], -v[44:45]
	v_fmac_f64_e32 v[50:51], 0x3c91a62633145c07, v[46:47]
	s_delay_alu instid0(VALU_DEP_1) | instskip(NEXT) | instid1(VALU_DEP_1)
	v_fmac_f64_e32 v[50:51], 0x3ff921fb54442d18, v[42:43]
	v_add_f64_e32 v[42:43], v[48:49], v[50:51]
	s_delay_alu instid0(VALU_DEP_1) | instskip(NEXT) | instid1(VALU_DEP_1)
	v_add_f64_e64 v[44:45], v[42:43], -v[48:49]
	v_add_f64_e64 v[44:45], v[50:51], -v[44:45]
.LBB103_35:                             ;   in Loop: Header=BB103_25 Depth=1
	s_and_not1_saveexec_b32 s3, s18
	s_cbranch_execz .LBB103_37
; %bb.36:                               ;   in Loop: Header=BB103_25 Depth=1
	v_mul_f64_e64 v[42:43], |v[40:41]|, s[6:7]
	s_delay_alu instid0(VALU_DEP_1) | instskip(NEXT) | instid1(VALU_DEP_1)
	v_rndne_f64_e32 v[46:47], v[42:43]
	v_fma_f64 v[42:43], v[46:47], s[8:9], |v[40:41]|
	v_mul_f64_e32 v[44:45], 0xbc91a62633145c00, v[46:47]
	v_cvt_i32_f64_e32 v58, v[46:47]
	s_delay_alu instid0(VALU_DEP_3) | instskip(NEXT) | instid1(VALU_DEP_3)
	v_fmamk_f64 v[52:53], v[46:47], 0xbc91a62633145c00, v[42:43]
	v_add_f64_e32 v[48:49], v[42:43], v[44:45]
	s_delay_alu instid0(VALU_DEP_1) | instskip(NEXT) | instid1(VALU_DEP_3)
	v_add_f64_e64 v[50:51], v[42:43], -v[48:49]
	v_add_f64_e64 v[42:43], v[48:49], -v[52:53]
	s_delay_alu instid0(VALU_DEP_2) | instskip(SKIP_1) | instid1(VALU_DEP_2)
	v_add_f64_e32 v[48:49], v[50:51], v[44:45]
	v_fmamk_f64 v[44:45], v[46:47], 0x3c91a62633145c00, v[44:45]
	v_add_f64_e32 v[42:43], v[42:43], v[48:49]
	s_delay_alu instid0(VALU_DEP_1) | instskip(NEXT) | instid1(VALU_DEP_1)
	v_add_f64_e64 v[44:45], v[42:43], -v[44:45]
	v_fmac_f64_e32 v[44:45], 0xb97b839a252049c0, v[46:47]
	s_delay_alu instid0(VALU_DEP_1) | instskip(NEXT) | instid1(VALU_DEP_1)
	v_add_f64_e32 v[42:43], v[52:53], v[44:45]
	v_add_f64_e64 v[48:49], v[42:43], -v[52:53]
	s_delay_alu instid0(VALU_DEP_1)
	v_add_f64_e64 v[44:45], v[44:45], -v[48:49]
.LBB103_37:                             ;   in Loop: Header=BB103_25 Depth=1
	s_or_b32 exec_lo, exec_lo, s3
	s_delay_alu instid0(SALU_CYCLE_1)
	s_mov_b32 s18, exec_lo
                                        ; implicit-def: $vgpr59
                                        ; implicit-def: $vgpr46_vgpr47
                                        ; implicit-def: $vgpr48_vgpr49
	v_cmpx_ngt_f64_e64 0x41d00000, |v[38:39]|
	s_xor_b32 s18, exec_lo, s18
	s_cbranch_execz .LBB103_39
; %bb.38:                               ;   in Loop: Header=BB103_25 Depth=1
	v_ldexp_f64 v[46:47], |v[38:39]|, 0xffffff80
	v_cmp_le_f64_e64 s3, 0x7b000000, |v[38:39]|
	v_trig_preop_f64 v[48:49], |v[38:39]|, 0
	v_and_b32_e32 v5, 0x7fffffff, v39
	v_trig_preop_f64 v[50:51], |v[38:39]|, 1
	v_trig_preop_f64 v[62:63], |v[38:39]|, 2
	s_delay_alu instid0(VALU_DEP_3) | instskip(NEXT) | instid1(VALU_DEP_1)
	v_dual_cndmask_b32 v47, v5, v47, s3 :: v_dual_cndmask_b32 v46, v38, v46, s3
	v_mul_f64_e32 v[52:53], v[48:49], v[46:47]
	s_delay_alu instid0(VALU_DEP_4) | instskip(NEXT) | instid1(VALU_DEP_4)
	v_mul_f64_e32 v[54:55], v[50:51], v[46:47]
	v_mul_f64_e32 v[68:69], v[62:63], v[46:47]
	s_delay_alu instid0(VALU_DEP_3) | instskip(NEXT) | instid1(VALU_DEP_3)
	v_fma_f64 v[48:49], v[48:49], v[46:47], -v[52:53]
	v_fma_f64 v[50:51], v[50:51], v[46:47], -v[54:55]
	s_delay_alu instid0(VALU_DEP_3) | instskip(NEXT) | instid1(VALU_DEP_3)
	v_fma_f64 v[46:47], v[62:63], v[46:47], -v[68:69]
	v_add_f64_e32 v[56:57], v[54:55], v[48:49]
	s_delay_alu instid0(VALU_DEP_1) | instskip(SKIP_1) | instid1(VALU_DEP_2)
	v_add_f64_e64 v[60:61], v[56:57], -v[54:55]
	v_add_f64_e32 v[66:67], v[52:53], v[56:57]
	v_add_f64_e64 v[64:65], v[56:57], -v[60:61]
	v_add_f64_e64 v[48:49], v[48:49], -v[60:61]
	s_delay_alu instid0(VALU_DEP_3) | instskip(SKIP_1) | instid1(VALU_DEP_4)
	v_ldexp_f64 v[60:61], v[66:67], -2
	v_add_f64_e64 v[52:53], v[66:67], -v[52:53]
	v_add_f64_e64 v[54:55], v[54:55], -v[64:65]
	v_add_f64_e32 v[64:65], v[68:69], v[50:51]
	s_delay_alu instid0(VALU_DEP_4) | instskip(NEXT) | instid1(VALU_DEP_3)
	v_cmp_neq_f64_e64 s3, 0x7ff00000, |v[60:61]|
	v_add_f64_e32 v[48:49], v[48:49], v[54:55]
	v_fract_f64_e32 v[54:55], v[60:61]
	s_delay_alu instid0(VALU_DEP_1) | instskip(NEXT) | instid1(VALU_DEP_1)
	v_ldexp_f64 v[54:55], v[54:55], 2
	v_dual_add_f64 v[52:53], v[56:57], -v[52:53] :: v_dual_cndmask_b32 v55, 0, v55, s3
	s_delay_alu instid0(VALU_DEP_2) | instskip(NEXT) | instid1(VALU_DEP_1)
	v_dual_add_f64 v[56:57], v[64:65], v[48:49] :: v_dual_cndmask_b32 v54, 0, v54, s3
	v_add_f64_e32 v[60:61], v[52:53], v[56:57]
	v_add_f64_e64 v[70:71], v[56:57], -v[64:65]
	s_delay_alu instid0(VALU_DEP_2) | instskip(NEXT) | instid1(VALU_DEP_2)
	v_add_f64_e32 v[66:67], v[60:61], v[54:55]
	v_add_f64_e64 v[76:77], v[56:57], -v[70:71]
	v_add_f64_e64 v[48:49], v[48:49], -v[70:71]
	;; [unrolled: 1-line block ×3, first 2 shown]
	s_delay_alu instid0(VALU_DEP_4) | instskip(SKIP_1) | instid1(VALU_DEP_3)
	v_cmp_gt_f64_e64 s3, 0, v[66:67]
	v_add_f64_e64 v[66:67], v[64:65], -v[68:69]
	v_add_f64_e64 v[52:53], v[56:57], -v[52:53]
	s_delay_alu instid0(VALU_DEP_3) | instskip(NEXT) | instid1(VALU_DEP_3)
	v_cndmask_b32_e64 v5, 0, 0x40100000, s3
	v_add_f64_e64 v[74:75], v[64:65], -v[66:67]
	v_add_f64_e64 v[50:51], v[50:51], -v[66:67]
	;; [unrolled: 1-line block ×3, first 2 shown]
	s_delay_alu instid0(VALU_DEP_4) | instskip(NEXT) | instid1(VALU_DEP_4)
	v_add_f64_e32 v[54:55], v[54:55], v[4:5]
	v_add_f64_e64 v[66:67], v[68:69], -v[74:75]
	s_delay_alu instid0(VALU_DEP_3) | instskip(NEXT) | instid1(VALU_DEP_3)
	v_add_f64_e32 v[48:49], v[48:49], v[64:65]
	v_add_f64_e32 v[72:73], v[60:61], v[54:55]
	s_delay_alu instid0(VALU_DEP_3) | instskip(NEXT) | instid1(VALU_DEP_2)
	v_add_f64_e32 v[50:51], v[50:51], v[66:67]
	v_cvt_i32_f64_e32 v5, v[72:73]
	s_delay_alu instid0(VALU_DEP_2) | instskip(NEXT) | instid1(VALU_DEP_2)
	v_add_f64_e32 v[48:49], v[50:51], v[48:49]
	v_cvt_f64_i32_e32 v[70:71], v5
	s_delay_alu instid0(VALU_DEP_2) | instskip(NEXT) | instid1(VALU_DEP_2)
	v_add_f64_e32 v[46:47], v[46:47], v[48:49]
	v_add_f64_e64 v[54:55], v[54:55], -v[70:71]
	s_delay_alu instid0(VALU_DEP_2) | instskip(NEXT) | instid1(VALU_DEP_2)
	v_add_f64_e32 v[46:47], v[52:53], v[46:47]
	v_add_f64_e32 v[50:51], v[60:61], v[54:55]
	s_delay_alu instid0(VALU_DEP_1) | instskip(SKIP_1) | instid1(VALU_DEP_2)
	v_add_f64_e64 v[48:49], v[50:51], -v[54:55]
	v_cmp_le_f64_e64 s3, 0.5, v[50:51]
	v_add_f64_e64 v[48:49], v[60:61], -v[48:49]
	s_delay_alu instid0(VALU_DEP_2) | instskip(SKIP_1) | instid1(VALU_DEP_3)
	v_add_co_ci_u32_e64 v59, null, 0, v5, s3
	v_cndmask_b32_e64 v5, 0, 0x3ff00000, s3
	v_add_f64_e32 v[46:47], v[46:47], v[48:49]
	s_delay_alu instid0(VALU_DEP_2) | instskip(NEXT) | instid1(VALU_DEP_1)
	v_add_f64_e64 v[48:49], v[50:51], -v[4:5]
	v_add_f64_e32 v[50:51], v[48:49], v[46:47]
	s_delay_alu instid0(VALU_DEP_1) | instskip(SKIP_1) | instid1(VALU_DEP_2)
	v_mul_f64_e32 v[52:53], 0x3ff921fb54442d18, v[50:51]
	v_add_f64_e64 v[48:49], v[50:51], -v[48:49]
	v_fma_f64 v[54:55], v[50:51], s[4:5], -v[52:53]
	s_delay_alu instid0(VALU_DEP_2) | instskip(NEXT) | instid1(VALU_DEP_2)
	v_add_f64_e64 v[46:47], v[46:47], -v[48:49]
	v_fmac_f64_e32 v[54:55], 0x3c91a62633145c07, v[50:51]
	s_delay_alu instid0(VALU_DEP_1) | instskip(NEXT) | instid1(VALU_DEP_1)
	v_fmac_f64_e32 v[54:55], 0x3ff921fb54442d18, v[46:47]
	v_add_f64_e32 v[46:47], v[52:53], v[54:55]
	s_delay_alu instid0(VALU_DEP_1) | instskip(NEXT) | instid1(VALU_DEP_1)
	v_add_f64_e64 v[48:49], v[46:47], -v[52:53]
	v_add_f64_e64 v[48:49], v[54:55], -v[48:49]
.LBB103_39:                             ;   in Loop: Header=BB103_25 Depth=1
	s_and_not1_saveexec_b32 s3, s18
	s_cbranch_execz .LBB103_41
; %bb.40:                               ;   in Loop: Header=BB103_25 Depth=1
	v_mul_f64_e64 v[46:47], |v[38:39]|, s[6:7]
	s_delay_alu instid0(VALU_DEP_1) | instskip(NEXT) | instid1(VALU_DEP_1)
	v_rndne_f64_e32 v[50:51], v[46:47]
	v_fma_f64 v[46:47], v[50:51], s[8:9], |v[38:39]|
	v_mul_f64_e32 v[48:49], 0xbc91a62633145c00, v[50:51]
	v_cvt_i32_f64_e32 v59, v[50:51]
	s_delay_alu instid0(VALU_DEP_3) | instskip(NEXT) | instid1(VALU_DEP_3)
	v_fmamk_f64 v[56:57], v[50:51], 0xbc91a62633145c00, v[46:47]
	v_add_f64_e32 v[52:53], v[46:47], v[48:49]
	s_delay_alu instid0(VALU_DEP_1) | instskip(NEXT) | instid1(VALU_DEP_3)
	v_add_f64_e64 v[54:55], v[46:47], -v[52:53]
	v_add_f64_e64 v[46:47], v[52:53], -v[56:57]
	s_delay_alu instid0(VALU_DEP_2) | instskip(SKIP_1) | instid1(VALU_DEP_2)
	v_add_f64_e32 v[52:53], v[54:55], v[48:49]
	v_fmamk_f64 v[48:49], v[50:51], 0x3c91a62633145c00, v[48:49]
	v_add_f64_e32 v[46:47], v[46:47], v[52:53]
	s_delay_alu instid0(VALU_DEP_1) | instskip(NEXT) | instid1(VALU_DEP_1)
	v_add_f64_e64 v[48:49], v[46:47], -v[48:49]
	v_fmac_f64_e32 v[48:49], 0xb97b839a252049c0, v[50:51]
	s_delay_alu instid0(VALU_DEP_1) | instskip(NEXT) | instid1(VALU_DEP_1)
	v_add_f64_e32 v[46:47], v[56:57], v[48:49]
	v_add_f64_e64 v[52:53], v[46:47], -v[56:57]
	s_delay_alu instid0(VALU_DEP_1)
	v_add_f64_e64 v[48:49], v[48:49], -v[52:53]
.LBB103_41:                             ;   in Loop: Header=BB103_25 Depth=1
	s_or_b32 exec_lo, exec_lo, s3
	s_delay_alu instid0(SALU_CYCLE_1)
	s_mov_b32 s18, exec_lo
                                        ; implicit-def: $vgpr60
                                        ; implicit-def: $vgpr50_vgpr51
                                        ; implicit-def: $vgpr52_vgpr53
	v_cmpx_ngt_f64_e64 0x41d00000, |v[36:37]|
	s_xor_b32 s18, exec_lo, s18
	s_cbranch_execz .LBB103_43
; %bb.42:                               ;   in Loop: Header=BB103_25 Depth=1
	v_cmp_le_f64_e64 s3, 0x7b000000, |v[36:37]|
	v_ldexp_f64 v[54:55], |v[36:37]|, 0xffffff80
	v_trig_preop_f64 v[50:51], |v[36:37]|, 0
	v_and_b32_e32 v5, 0x7fffffff, v37
	v_trig_preop_f64 v[52:53], |v[36:37]|, 1
	s_delay_alu instid0(VALU_DEP_2) | instskip(NEXT) | instid1(VALU_DEP_1)
	v_dual_cndmask_b32 v55, v5, v55, s3 :: v_dual_cndmask_b32 v54, v36, v54, s3
	v_mul_f64_e32 v[60:61], v[50:51], v[54:55]
	s_delay_alu instid0(VALU_DEP_3) | instskip(NEXT) | instid1(VALU_DEP_2)
	v_mul_f64_e32 v[56:57], v[52:53], v[54:55]
	v_fma_f64 v[50:51], v[50:51], v[54:55], -v[60:61]
	s_delay_alu instid0(VALU_DEP_2) | instskip(NEXT) | instid1(VALU_DEP_2)
	v_fma_f64 v[52:53], v[52:53], v[54:55], -v[56:57]
	v_add_f64_e32 v[62:63], v[56:57], v[50:51]
	s_delay_alu instid0(VALU_DEP_1) | instskip(SKIP_1) | instid1(VALU_DEP_2)
	v_add_f64_e64 v[70:71], v[62:63], -v[56:57]
	v_add_f64_e32 v[64:65], v[60:61], v[62:63]
	v_add_f64_e64 v[50:51], v[50:51], -v[70:71]
	v_add_f64_e64 v[70:71], v[62:63], -v[70:71]
	s_delay_alu instid0(VALU_DEP_3) | instskip(SKIP_1) | instid1(VALU_DEP_3)
	v_ldexp_f64 v[66:67], v[64:65], -2
	v_add_f64_e64 v[60:61], v[64:65], -v[60:61]
	v_add_f64_e64 v[70:71], v[56:57], -v[70:71]
	v_trig_preop_f64 v[56:57], |v[36:37]|, 2
	s_delay_alu instid0(VALU_DEP_4) | instskip(NEXT) | instid1(VALU_DEP_4)
	v_fract_f64_e32 v[68:69], v[66:67]
	v_add_f64_e64 v[60:61], v[62:63], -v[60:61]
	v_cmp_neq_f64_e64 s3, 0x7ff00000, |v[66:67]|
	v_add_f64_e32 v[50:51], v[50:51], v[70:71]
	v_mul_f64_e32 v[70:71], v[56:57], v[54:55]
	s_delay_alu instid0(VALU_DEP_1) | instskip(NEXT) | instid1(VALU_DEP_1)
	v_add_f64_e32 v[72:73], v[70:71], v[52:53]
	v_add_f64_e32 v[74:75], v[72:73], v[50:51]
	s_delay_alu instid0(VALU_DEP_1) | instskip(SKIP_1) | instid1(VALU_DEP_2)
	v_add_f64_e64 v[64:65], v[74:75], -v[72:73]
	v_add_f64_e32 v[62:63], v[60:61], v[74:75]
	v_add_f64_e64 v[50:51], v[50:51], -v[64:65]
	v_add_f64_e64 v[64:65], v[74:75], -v[64:65]
	s_delay_alu instid0(VALU_DEP_3) | instskip(NEXT) | instid1(VALU_DEP_2)
	v_add_f64_e64 v[60:61], v[62:63], -v[60:61]
	v_add_f64_e64 v[64:65], v[72:73], -v[64:65]
	s_delay_alu instid0(VALU_DEP_2) | instskip(NEXT) | instid1(VALU_DEP_2)
	v_add_f64_e64 v[60:61], v[74:75], -v[60:61]
	v_add_f64_e32 v[50:51], v[50:51], v[64:65]
	v_add_f64_e64 v[64:65], v[72:73], -v[70:71]
	s_delay_alu instid0(VALU_DEP_1) | instskip(SKIP_1) | instid1(VALU_DEP_1)
	v_add_f64_e64 v[52:53], v[52:53], -v[64:65]
	v_add_f64_e64 v[64:65], v[72:73], -v[64:65]
	;; [unrolled: 1-line block ×3, first 2 shown]
	s_delay_alu instid0(VALU_DEP_1) | instskip(NEXT) | instid1(VALU_DEP_1)
	v_add_f64_e32 v[52:53], v[52:53], v[64:65]
	v_add_f64_e32 v[50:51], v[52:53], v[50:51]
	v_fma_f64 v[52:53], v[56:57], v[54:55], -v[70:71]
	s_delay_alu instid0(VALU_DEP_1) | instskip(SKIP_1) | instid1(VALU_DEP_1)
	v_add_f64_e32 v[50:51], v[52:53], v[50:51]
	v_ldexp_f64 v[52:53], v[68:69], 2
	v_dual_add_f64 v[50:51], v[60:61], v[50:51] :: v_dual_cndmask_b32 v53, 0, v53, s3
	s_delay_alu instid0(VALU_DEP_2) | instskip(NEXT) | instid1(VALU_DEP_1)
	v_cndmask_b32_e64 v52, 0, v52, s3
	v_add_f64_e32 v[54:55], v[62:63], v[52:53]
	s_delay_alu instid0(VALU_DEP_1) | instskip(NEXT) | instid1(VALU_DEP_1)
	v_cmp_gt_f64_e64 s3, 0, v[54:55]
	v_cndmask_b32_e64 v5, 0, 0x40100000, s3
	s_delay_alu instid0(VALU_DEP_1) | instskip(NEXT) | instid1(VALU_DEP_1)
	v_add_f64_e32 v[52:53], v[52:53], v[4:5]
	v_add_f64_e32 v[54:55], v[62:63], v[52:53]
	s_delay_alu instid0(VALU_DEP_1) | instskip(NEXT) | instid1(VALU_DEP_1)
	v_cvt_i32_f64_e32 v5, v[54:55]
	v_cvt_f64_i32_e32 v[54:55], v5
	s_delay_alu instid0(VALU_DEP_1) | instskip(NEXT) | instid1(VALU_DEP_1)
	v_add_f64_e64 v[52:53], v[52:53], -v[54:55]
	v_add_f64_e32 v[54:55], v[62:63], v[52:53]
	s_delay_alu instid0(VALU_DEP_1) | instskip(SKIP_1) | instid1(VALU_DEP_2)
	v_add_f64_e64 v[52:53], v[54:55], -v[52:53]
	v_cmp_le_f64_e64 s3, 0.5, v[54:55]
	v_add_f64_e64 v[52:53], v[62:63], -v[52:53]
	s_delay_alu instid0(VALU_DEP_2) | instskip(SKIP_1) | instid1(VALU_DEP_3)
	v_add_co_ci_u32_e64 v60, null, 0, v5, s3
	v_cndmask_b32_e64 v5, 0, 0x3ff00000, s3
	v_add_f64_e32 v[50:51], v[50:51], v[52:53]
	s_delay_alu instid0(VALU_DEP_2) | instskip(NEXT) | instid1(VALU_DEP_1)
	v_add_f64_e64 v[52:53], v[54:55], -v[4:5]
	v_add_f64_e32 v[54:55], v[52:53], v[50:51]
	s_delay_alu instid0(VALU_DEP_1) | instskip(NEXT) | instid1(VALU_DEP_1)
	v_add_f64_e64 v[52:53], v[54:55], -v[52:53]
	v_add_f64_e64 v[50:51], v[50:51], -v[52:53]
	v_mul_f64_e32 v[52:53], 0x3ff921fb54442d18, v[54:55]
	s_delay_alu instid0(VALU_DEP_1) | instskip(NEXT) | instid1(VALU_DEP_1)
	v_fma_f64 v[56:57], v[54:55], s[4:5], -v[52:53]
	v_fmac_f64_e32 v[56:57], 0x3c91a62633145c07, v[54:55]
	s_delay_alu instid0(VALU_DEP_1) | instskip(NEXT) | instid1(VALU_DEP_1)
	v_fmac_f64_e32 v[56:57], 0x3ff921fb54442d18, v[50:51]
	v_add_f64_e32 v[50:51], v[52:53], v[56:57]
	s_delay_alu instid0(VALU_DEP_1) | instskip(NEXT) | instid1(VALU_DEP_1)
	v_add_f64_e64 v[52:53], v[50:51], -v[52:53]
	v_add_f64_e64 v[52:53], v[56:57], -v[52:53]
.LBB103_43:                             ;   in Loop: Header=BB103_25 Depth=1
	s_and_not1_saveexec_b32 s3, s18
	s_cbranch_execz .LBB103_45
; %bb.44:                               ;   in Loop: Header=BB103_25 Depth=1
	v_mul_f64_e64 v[50:51], |v[36:37]|, s[6:7]
	s_delay_alu instid0(VALU_DEP_1) | instskip(NEXT) | instid1(VALU_DEP_1)
	v_rndne_f64_e32 v[54:55], v[50:51]
	v_fma_f64 v[50:51], v[54:55], s[8:9], |v[36:37]|
	v_mul_f64_e32 v[52:53], 0xbc91a62633145c00, v[54:55]
	s_delay_alu instid0(VALU_DEP_2) | instskip(NEXT) | instid1(VALU_DEP_2)
	v_fmamk_f64 v[62:63], v[54:55], 0xbc91a62633145c00, v[50:51]
	v_add_f64_e32 v[56:57], v[50:51], v[52:53]
	s_delay_alu instid0(VALU_DEP_1) | instskip(NEXT) | instid1(VALU_DEP_3)
	v_add_f64_e64 v[60:61], v[50:51], -v[56:57]
	v_add_f64_e64 v[50:51], v[56:57], -v[62:63]
	s_delay_alu instid0(VALU_DEP_2) | instskip(SKIP_2) | instid1(VALU_DEP_3)
	v_add_f64_e32 v[56:57], v[60:61], v[52:53]
	v_fmamk_f64 v[52:53], v[54:55], 0x3c91a62633145c00, v[52:53]
	v_cvt_i32_f64_e32 v60, v[54:55]
	v_add_f64_e32 v[50:51], v[50:51], v[56:57]
	s_delay_alu instid0(VALU_DEP_1) | instskip(NEXT) | instid1(VALU_DEP_1)
	v_add_f64_e64 v[52:53], v[50:51], -v[52:53]
	v_fmac_f64_e32 v[52:53], 0xb97b839a252049c0, v[54:55]
	s_delay_alu instid0(VALU_DEP_1) | instskip(NEXT) | instid1(VALU_DEP_1)
	v_add_f64_e32 v[50:51], v[62:63], v[52:53]
	v_add_f64_e64 v[56:57], v[50:51], -v[62:63]
	s_delay_alu instid0(VALU_DEP_1)
	v_add_f64_e64 v[52:53], v[52:53], -v[56:57]
.LBB103_45:                             ;   in Loop: Header=BB103_25 Depth=1
	s_or_b32 exec_lo, exec_lo, s3
	s_delay_alu instid0(SALU_CYCLE_1)
	s_mov_b32 s18, exec_lo
                                        ; implicit-def: $vgpr5
                                        ; implicit-def: $vgpr54_vgpr55
                                        ; implicit-def: $vgpr56_vgpr57
	v_cmpx_ngt_f64_e64 0x41d00000, |v[34:35]|
	s_xor_b32 s18, exec_lo, s18
	s_cbranch_execnz .LBB103_51
; %bb.46:                               ;   in Loop: Header=BB103_25 Depth=1
	s_and_not1_saveexec_b32 s3, s18
	s_cbranch_execnz .LBB103_52
.LBB103_47:                             ;   in Loop: Header=BB103_25 Depth=1
	s_or_b32 exec_lo, exec_lo, s3
	s_and_saveexec_b32 s3, s2
	s_delay_alu instid0(SALU_CYCLE_1)
	s_xor_b32 s18, exec_lo, s3
	s_cbranch_execnz .LBB103_53
.LBB103_48:                             ;   in Loop: Header=BB103_25 Depth=1
	s_or_b32 exec_lo, exec_lo, s18
	s_and_saveexec_b32 s3, s1
	s_cbranch_execnz .LBB103_54
.LBB103_49:                             ;   in Loop: Header=BB103_25 Depth=1
	s_or_b32 exec_lo, exec_lo, s3
	s_and_saveexec_b32 s2, s0
	s_cbranch_execnz .LBB103_55
.LBB103_50:                             ;   in Loop: Header=BB103_25 Depth=1
	s_or_b32 exec_lo, exec_lo, s2
	s_and_saveexec_b32 s1, vcc_lo
	s_cbranch_execz .LBB103_24
	s_branch .LBB103_56
.LBB103_51:                             ;   in Loop: Header=BB103_25 Depth=1
	v_ldexp_f64 v[54:55], |v[34:35]|, 0xffffff80
	v_cmp_le_f64_e64 s3, 0x7b000000, |v[34:35]|
	v_trig_preop_f64 v[56:57], |v[34:35]|, 0
	v_and_b32_e32 v5, 0x7fffffff, v35
	v_trig_preop_f64 v[62:63], |v[34:35]|, 1
	v_trig_preop_f64 v[72:73], |v[34:35]|, 2
	s_delay_alu instid0(VALU_DEP_3) | instskip(NEXT) | instid1(VALU_DEP_1)
	v_dual_cndmask_b32 v55, v5, v55, s3 :: v_dual_cndmask_b32 v54, v34, v54, s3
	v_mul_f64_e32 v[64:65], v[56:57], v[54:55]
	s_delay_alu instid0(VALU_DEP_4) | instskip(NEXT) | instid1(VALU_DEP_4)
	v_mul_f64_e32 v[66:67], v[62:63], v[54:55]
	v_mul_f64_e32 v[78:79], v[72:73], v[54:55]
	s_delay_alu instid0(VALU_DEP_3) | instskip(NEXT) | instid1(VALU_DEP_3)
	v_fma_f64 v[56:57], v[56:57], v[54:55], -v[64:65]
	v_fma_f64 v[62:63], v[62:63], v[54:55], -v[66:67]
	s_delay_alu instid0(VALU_DEP_3) | instskip(NEXT) | instid1(VALU_DEP_3)
	v_fma_f64 v[54:55], v[72:73], v[54:55], -v[78:79]
	v_add_f64_e32 v[68:69], v[66:67], v[56:57]
	s_delay_alu instid0(VALU_DEP_1) | instskip(SKIP_1) | instid1(VALU_DEP_2)
	v_add_f64_e64 v[70:71], v[68:69], -v[66:67]
	v_add_f64_e32 v[76:77], v[64:65], v[68:69]
	v_add_f64_e64 v[74:75], v[68:69], -v[70:71]
	v_add_f64_e64 v[56:57], v[56:57], -v[70:71]
	s_delay_alu instid0(VALU_DEP_3) | instskip(NEXT) | instid1(VALU_DEP_3)
	v_ldexp_f64 v[70:71], v[76:77], -2
	v_add_f64_e64 v[66:67], v[66:67], -v[74:75]
	v_add_f64_e32 v[74:75], v[78:79], v[62:63]
	s_delay_alu instid0(VALU_DEP_3) | instskip(NEXT) | instid1(VALU_DEP_3)
	v_cmp_neq_f64_e64 s3, 0x7ff00000, |v[70:71]|
	v_add_f64_e32 v[56:57], v[56:57], v[66:67]
	v_fract_f64_e32 v[66:67], v[70:71]
	s_delay_alu instid0(VALU_DEP_1) | instskip(NEXT) | instid1(VALU_DEP_1)
	v_ldexp_f64 v[66:67], v[66:67], 2
	v_dual_add_f64 v[64:65], v[76:77], -v[64:65] :: v_dual_cndmask_b32 v66, 0, v66, s3
	s_delay_alu instid0(VALU_DEP_1) | instskip(SKIP_1) | instid1(VALU_DEP_1)
	v_dual_add_f64 v[64:65], v[68:69], -v[64:65] :: v_dual_cndmask_b32 v67, 0, v67, s3
	v_add_f64_e32 v[68:69], v[74:75], v[56:57]
	v_add_f64_e32 v[70:71], v[64:65], v[68:69]
	v_add_f64_e64 v[80:81], v[68:69], -v[74:75]
	s_delay_alu instid0(VALU_DEP_2) | instskip(NEXT) | instid1(VALU_DEP_2)
	v_add_f64_e32 v[76:77], v[70:71], v[66:67]
	v_add_f64_e64 v[86:87], v[68:69], -v[80:81]
	v_add_f64_e64 v[56:57], v[56:57], -v[80:81]
	;; [unrolled: 1-line block ×3, first 2 shown]
	s_delay_alu instid0(VALU_DEP_4) | instskip(SKIP_1) | instid1(VALU_DEP_3)
	v_cmp_gt_f64_e64 s3, 0, v[76:77]
	v_add_f64_e64 v[76:77], v[74:75], -v[78:79]
	v_add_f64_e64 v[64:65], v[68:69], -v[64:65]
	s_delay_alu instid0(VALU_DEP_3) | instskip(NEXT) | instid1(VALU_DEP_3)
	v_cndmask_b32_e64 v5, 0, 0x40100000, s3
	v_add_f64_e64 v[84:85], v[74:75], -v[76:77]
	v_add_f64_e64 v[62:63], v[62:63], -v[76:77]
	;; [unrolled: 1-line block ×3, first 2 shown]
	s_delay_alu instid0(VALU_DEP_4) | instskip(NEXT) | instid1(VALU_DEP_4)
	v_add_f64_e32 v[66:67], v[66:67], v[4:5]
	v_add_f64_e64 v[76:77], v[78:79], -v[84:85]
	s_delay_alu instid0(VALU_DEP_3) | instskip(NEXT) | instid1(VALU_DEP_3)
	v_add_f64_e32 v[56:57], v[56:57], v[74:75]
	v_add_f64_e32 v[82:83], v[70:71], v[66:67]
	s_delay_alu instid0(VALU_DEP_3) | instskip(NEXT) | instid1(VALU_DEP_2)
	v_add_f64_e32 v[62:63], v[62:63], v[76:77]
	v_cvt_i32_f64_e32 v61, v[82:83]
	s_delay_alu instid0(VALU_DEP_2) | instskip(NEXT) | instid1(VALU_DEP_2)
	v_add_f64_e32 v[56:57], v[62:63], v[56:57]
	v_cvt_f64_i32_e32 v[80:81], v61
	s_delay_alu instid0(VALU_DEP_2) | instskip(NEXT) | instid1(VALU_DEP_2)
	v_add_f64_e32 v[54:55], v[54:55], v[56:57]
	v_add_f64_e64 v[66:67], v[66:67], -v[80:81]
	s_delay_alu instid0(VALU_DEP_2) | instskip(NEXT) | instid1(VALU_DEP_2)
	v_add_f64_e32 v[54:55], v[64:65], v[54:55]
	v_add_f64_e32 v[62:63], v[70:71], v[66:67]
	s_delay_alu instid0(VALU_DEP_1) | instskip(SKIP_1) | instid1(VALU_DEP_2)
	v_add_f64_e64 v[56:57], v[62:63], -v[66:67]
	v_cmp_le_f64_e64 s3, 0.5, v[62:63]
	v_add_f64_e64 v[56:57], v[70:71], -v[56:57]
	s_delay_alu instid0(VALU_DEP_2) | instskip(NEXT) | instid1(VALU_DEP_2)
	v_cndmask_b32_e64 v5, 0, 0x3ff00000, s3
	v_add_f64_e32 v[54:55], v[54:55], v[56:57]
	s_delay_alu instid0(VALU_DEP_2) | instskip(SKIP_1) | instid1(VALU_DEP_2)
	v_add_f64_e64 v[56:57], v[62:63], -v[4:5]
	v_add_co_ci_u32_e64 v5, null, 0, v61, s3
	v_add_f64_e32 v[62:63], v[56:57], v[54:55]
	s_delay_alu instid0(VALU_DEP_1) | instskip(SKIP_1) | instid1(VALU_DEP_2)
	v_mul_f64_e32 v[64:65], 0x3ff921fb54442d18, v[62:63]
	v_add_f64_e64 v[56:57], v[62:63], -v[56:57]
	v_fma_f64 v[66:67], v[62:63], s[4:5], -v[64:65]
	s_delay_alu instid0(VALU_DEP_2) | instskip(NEXT) | instid1(VALU_DEP_2)
	v_add_f64_e64 v[54:55], v[54:55], -v[56:57]
	v_fmac_f64_e32 v[66:67], 0x3c91a62633145c07, v[62:63]
	s_delay_alu instid0(VALU_DEP_1) | instskip(NEXT) | instid1(VALU_DEP_1)
	v_fmac_f64_e32 v[66:67], 0x3ff921fb54442d18, v[54:55]
	v_add_f64_e32 v[54:55], v[64:65], v[66:67]
	s_delay_alu instid0(VALU_DEP_1) | instskip(NEXT) | instid1(VALU_DEP_1)
	v_add_f64_e64 v[56:57], v[54:55], -v[64:65]
	v_add_f64_e64 v[56:57], v[66:67], -v[56:57]
	s_and_not1_saveexec_b32 s3, s18
	s_cbranch_execz .LBB103_47
.LBB103_52:                             ;   in Loop: Header=BB103_25 Depth=1
	v_mul_f64_e64 v[54:55], |v[34:35]|, s[6:7]
	s_delay_alu instid0(VALU_DEP_1) | instskip(NEXT) | instid1(VALU_DEP_1)
	v_rndne_f64_e32 v[62:63], v[54:55]
	v_fma_f64 v[54:55], v[62:63], s[8:9], |v[34:35]|
	v_mul_f64_e32 v[56:57], 0xbc91a62633145c00, v[62:63]
	v_cvt_i32_f64_e32 v5, v[62:63]
	s_delay_alu instid0(VALU_DEP_3) | instskip(NEXT) | instid1(VALU_DEP_3)
	v_fmamk_f64 v[68:69], v[62:63], 0xbc91a62633145c00, v[54:55]
	v_add_f64_e32 v[64:65], v[54:55], v[56:57]
	s_delay_alu instid0(VALU_DEP_1) | instskip(NEXT) | instid1(VALU_DEP_3)
	v_add_f64_e64 v[66:67], v[54:55], -v[64:65]
	v_add_f64_e64 v[54:55], v[64:65], -v[68:69]
	s_delay_alu instid0(VALU_DEP_2) | instskip(SKIP_1) | instid1(VALU_DEP_2)
	v_add_f64_e32 v[64:65], v[66:67], v[56:57]
	v_fmamk_f64 v[56:57], v[62:63], 0x3c91a62633145c00, v[56:57]
	v_add_f64_e32 v[54:55], v[54:55], v[64:65]
	s_delay_alu instid0(VALU_DEP_1) | instskip(NEXT) | instid1(VALU_DEP_1)
	v_add_f64_e64 v[56:57], v[54:55], -v[56:57]
	v_fmac_f64_e32 v[56:57], 0xb97b839a252049c0, v[62:63]
	s_delay_alu instid0(VALU_DEP_1) | instskip(NEXT) | instid1(VALU_DEP_1)
	v_add_f64_e32 v[54:55], v[68:69], v[56:57]
	v_add_f64_e64 v[64:65], v[54:55], -v[68:69]
	s_delay_alu instid0(VALU_DEP_1) | instskip(SKIP_2) | instid1(SALU_CYCLE_1)
	v_add_f64_e64 v[56:57], v[56:57], -v[64:65]
	s_or_b32 exec_lo, exec_lo, s3
	s_and_saveexec_b32 s3, s2
	s_xor_b32 s18, exec_lo, s3
	s_cbranch_execz .LBB103_48
.LBB103_53:                             ;   in Loop: Header=BB103_25 Depth=1
	s_delay_alu instid0(VALU_DEP_4) | instskip(SKIP_1) | instid1(VALU_DEP_2)
	v_dual_mul_f64 v[68:69], 0.5, v[44:45] :: v_dual_bitop2_b32 v61, 1, v58 bitop3:0x40
	v_cmp_class_f64_e64 s3, v[40:41], 0x1f8
	v_cmp_eq_u32_e64 s2, 0, v61
	v_lshlrev_b32_e32 v40, 30, v58
	s_delay_alu instid0(VALU_DEP_1) | instskip(NEXT) | instid1(VALU_DEP_1)
	v_dual_mul_f64 v[62:63], v[42:43], v[42:43] :: v_dual_bitop2_b32 v40, v40, v41 bitop3:0x14
	v_mul_f64_e32 v[64:65], 0.5, v[62:63]
	v_mul_f64_e64 v[70:71], v[42:43], -v[62:63]
	v_fmamk_f64 v[74:75], v[62:63], 0x3de5e0b2f9a43bb8, v[32:33]
	s_delay_alu instid0(VALU_DEP_1) | instskip(NEXT) | instid1(VALU_DEP_1)
	v_fmaak_f64 v[74:75], v[62:63], v[74:75], 0x3ec71de3796cde01
	v_fmaak_f64 v[74:75], v[62:63], v[74:75], 0xbf2a01a019e83e5c
	s_delay_alu instid0(VALU_DEP_1) | instskip(SKIP_1) | instid1(VALU_DEP_2)
	v_fmaak_f64 v[74:75], v[62:63], v[74:75], 0x3f81111111110bb3
	v_add_f64_e64 v[66:67], -v[64:65], 1.0
	v_fmac_f64_e32 v[68:69], v[70:71], v[74:75]
	v_mul_f64_e32 v[74:75], v[62:63], v[62:63]
	s_delay_alu instid0(VALU_DEP_3) | instskip(NEXT) | instid1(VALU_DEP_3)
	v_add_f64_e64 v[72:73], -v[66:67], 1.0
	v_fma_f64 v[68:69], v[62:63], v[68:69], -v[44:45]
	s_delay_alu instid0(VALU_DEP_2) | instskip(SKIP_1) | instid1(VALU_DEP_3)
	v_add_f64_e64 v[64:65], v[72:73], -v[64:65]
	v_fmamk_f64 v[72:73], v[62:63], 0xbda907db46cc5e42, v[30:31]
	v_fmac_f64_e32 v[68:69], 0xbfc5555555555555, v[70:71]
	s_delay_alu instid0(VALU_DEP_3) | instskip(NEXT) | instid1(VALU_DEP_3)
	v_fma_f64 v[44:45], v[42:43], -v[44:45], v[64:65]
	v_fmaak_f64 v[64:65], v[62:63], v[72:73], 0xbe927e4fa17f65f6
	s_delay_alu instid0(VALU_DEP_3) | instskip(NEXT) | instid1(VALU_DEP_2)
	v_add_f64_e64 v[42:43], v[42:43], -v[68:69]
	v_fmaak_f64 v[64:65], v[62:63], v[64:65], 0x3efa01a019f4ec90
	s_delay_alu instid0(VALU_DEP_1) | instskip(NEXT) | instid1(VALU_DEP_1)
	v_fmaak_f64 v[64:65], v[62:63], v[64:65], 0xbf56c16c16c16967
	v_fmaak_f64 v[62:63], v[62:63], v[64:65], 0x3fa5555555555555
	s_delay_alu instid0(VALU_DEP_1) | instskip(NEXT) | instid1(VALU_DEP_1)
	v_fmac_f64_e32 v[44:45], v[74:75], v[62:63]
	v_add_f64_e32 v[44:45], v[66:67], v[44:45]
	s_delay_alu instid0(VALU_DEP_1) | instskip(NEXT) | instid1(VALU_DEP_1)
	v_dual_cndmask_b32 v43, v45, v43, s2 :: v_dual_cndmask_b32 v42, v44, v42, s2
	v_bitop3_b32 v43, v43, v40, 0x80000000 bitop3:0x78
	v_add_nc_u64_e32 v[40:41], s[10:11], v[12:13]
	s_delay_alu instid0(VALU_DEP_3) | instskip(NEXT) | instid1(VALU_DEP_3)
	v_cndmask_b32_e64 v42, 0, v42, s3
	v_cndmask_b32_e64 v43, 0x7ff80000, v43, s3
	global_store_b64 v[40:41], v[42:43], off
	s_wait_xcnt 0x0
	s_or_b32 exec_lo, exec_lo, s18
	s_and_saveexec_b32 s3, s1
	s_cbranch_execz .LBB103_49
.LBB103_54:                             ;   in Loop: Header=BB103_25 Depth=1
	v_mul_f64_e32 v[40:41], v[46:47], v[46:47]
	s_delay_alu instid0(VALU_DEP_4) | instskip(SKIP_2) | instid1(VALU_DEP_1)
	v_mul_f64_e32 v[62:63], 0.5, v[48:49]
	v_cmp_class_f64_e64 s2, v[38:39], 0x1f8
	v_lshlrev_b32_e32 v38, 30, v59
	v_dual_mul_f64 v[42:43], 0.5, v[40:41] :: v_dual_bitop2_b32 v38, v38, v39 bitop3:0x14
	v_mul_f64_e64 v[64:65], v[46:47], -v[40:41]
	v_fmamk_f64 v[68:69], v[40:41], 0x3de5e0b2f9a43bb8, v[32:33]
	s_delay_alu instid0(VALU_DEP_1) | instskip(NEXT) | instid1(VALU_DEP_1)
	v_fmaak_f64 v[68:69], v[40:41], v[68:69], 0x3ec71de3796cde01
	v_fmaak_f64 v[68:69], v[40:41], v[68:69], 0xbf2a01a019e83e5c
	s_delay_alu instid0(VALU_DEP_1) | instskip(SKIP_1) | instid1(VALU_DEP_2)
	v_fmaak_f64 v[68:69], v[40:41], v[68:69], 0x3f81111111110bb3
	v_add_f64_e64 v[44:45], -v[42:43], 1.0
	v_fmac_f64_e32 v[62:63], v[64:65], v[68:69]
	v_mul_f64_e32 v[68:69], v[40:41], v[40:41]
	s_delay_alu instid0(VALU_DEP_3) | instskip(NEXT) | instid1(VALU_DEP_3)
	v_add_f64_e64 v[66:67], -v[44:45], 1.0
	v_fma_f64 v[62:63], v[40:41], v[62:63], -v[48:49]
	s_delay_alu instid0(VALU_DEP_2) | instskip(SKIP_1) | instid1(VALU_DEP_3)
	v_add_f64_e64 v[42:43], v[66:67], -v[42:43]
	v_fmamk_f64 v[66:67], v[40:41], 0xbda907db46cc5e42, v[30:31]
	v_fmac_f64_e32 v[62:63], 0xbfc5555555555555, v[64:65]
	s_delay_alu instid0(VALU_DEP_3) | instskip(NEXT) | instid1(VALU_DEP_3)
	v_fma_f64 v[42:43], v[46:47], -v[48:49], v[42:43]
	v_fmaak_f64 v[48:49], v[40:41], v[66:67], 0xbe927e4fa17f65f6
	s_delay_alu instid0(VALU_DEP_1) | instskip(NEXT) | instid1(VALU_DEP_1)
	v_fmaak_f64 v[48:49], v[40:41], v[48:49], 0x3efa01a019f4ec90
	v_fmaak_f64 v[48:49], v[40:41], v[48:49], 0xbf56c16c16c16967
	s_delay_alu instid0(VALU_DEP_1) | instskip(NEXT) | instid1(VALU_DEP_1)
	v_fmaak_f64 v[40:41], v[40:41], v[48:49], 0x3fa5555555555555
	v_fmac_f64_e32 v[42:43], v[68:69], v[40:41]
	v_add_f64_e64 v[40:41], v[46:47], -v[62:63]
	s_delay_alu instid0(VALU_DEP_2) | instskip(SKIP_1) | instid1(VALU_DEP_1)
	v_add_f64_e32 v[42:43], v[44:45], v[42:43]
	v_and_b32_e32 v44, 1, v59
	v_cmp_eq_u32_e64 s1, 0, v44
	s_delay_alu instid0(VALU_DEP_1) | instskip(NEXT) | instid1(VALU_DEP_1)
	v_dual_cndmask_b32 v41, v43, v41, s1 :: v_dual_cndmask_b32 v40, v42, v40, s1
	v_bitop3_b32 v41, v41, v38, 0x80000000 bitop3:0x78
	v_add_nc_u64_e32 v[38:39], s[10:11], v[28:29]
	s_delay_alu instid0(VALU_DEP_3) | instskip(NEXT) | instid1(VALU_DEP_3)
	v_cndmask_b32_e64 v40, 0, v40, s2
	v_cndmask_b32_e64 v41, 0x7ff80000, v41, s2
	global_store_b64 v[38:39], v[40:41], off
	s_wait_xcnt 0x0
	s_or_b32 exec_lo, exec_lo, s3
	s_and_saveexec_b32 s2, s0
	s_cbranch_execz .LBB103_50
.LBB103_55:                             ;   in Loop: Header=BB103_25 Depth=1
	v_mul_f64_e32 v[38:39], v[50:51], v[50:51]
	v_cmp_class_f64_e64 s1, v[36:37], 0x1f8
	s_delay_alu instid0(VALU_DEP_4) | instskip(SKIP_1) | instid1(VALU_DEP_1)
	v_mul_f64_e32 v[44:45], 0.5, v[52:53]
	v_lshlrev_b32_e32 v36, 30, v60
	v_dual_mul_f64 v[46:47], v[50:51], -v[38:39] :: v_dual_bitop2_b32 v36, v36, v37 bitop3:0x14
	v_mul_f64_e32 v[40:41], 0.5, v[38:39]
	v_fmamk_f64 v[58:59], v[38:39], 0x3de5e0b2f9a43bb8, v[32:33]
	s_delay_alu instid0(VALU_DEP_1) | instskip(NEXT) | instid1(VALU_DEP_1)
	v_fmaak_f64 v[58:59], v[38:39], v[58:59], 0x3ec71de3796cde01
	v_fmaak_f64 v[58:59], v[38:39], v[58:59], 0xbf2a01a019e83e5c
	s_delay_alu instid0(VALU_DEP_1) | instskip(NEXT) | instid1(VALU_DEP_1)
	v_fmaak_f64 v[58:59], v[38:39], v[58:59], 0x3f81111111110bb3
	v_fmac_f64_e32 v[44:45], v[46:47], v[58:59]
	v_add_f64_e64 v[42:43], -v[40:41], 1.0
	v_mul_f64_e32 v[58:59], v[38:39], v[38:39]
	s_delay_alu instid0(VALU_DEP_3) | instskip(NEXT) | instid1(VALU_DEP_3)
	v_fma_f64 v[44:45], v[38:39], v[44:45], -v[52:53]
	v_add_f64_e64 v[48:49], -v[42:43], 1.0
	s_delay_alu instid0(VALU_DEP_2) | instskip(NEXT) | instid1(VALU_DEP_2)
	v_fmac_f64_e32 v[44:45], 0xbfc5555555555555, v[46:47]
	v_add_f64_e64 v[40:41], v[48:49], -v[40:41]
	v_fmamk_f64 v[48:49], v[38:39], 0xbda907db46cc5e42, v[30:31]
	s_delay_alu instid0(VALU_DEP_1) | instskip(NEXT) | instid1(VALU_DEP_1)
	v_fmaak_f64 v[48:49], v[38:39], v[48:49], 0xbe927e4fa17f65f6
	v_fmaak_f64 v[48:49], v[38:39], v[48:49], 0x3efa01a019f4ec90
	s_delay_alu instid0(VALU_DEP_1) | instskip(NEXT) | instid1(VALU_DEP_1)
	v_fmaak_f64 v[48:49], v[38:39], v[48:49], 0xbf56c16c16c16967
	v_fmaak_f64 v[38:39], v[38:39], v[48:49], 0x3fa5555555555555
	v_fma_f64 v[40:41], v[50:51], -v[52:53], v[40:41]
	s_delay_alu instid0(VALU_DEP_1) | instskip(SKIP_1) | instid1(VALU_DEP_2)
	v_fmac_f64_e32 v[40:41], v[58:59], v[38:39]
	v_add_f64_e64 v[38:39], v[50:51], -v[44:45]
	v_add_f64_e32 v[40:41], v[42:43], v[40:41]
	v_and_b32_e32 v42, 1, v60
	s_delay_alu instid0(VALU_DEP_1) | instskip(NEXT) | instid1(VALU_DEP_1)
	v_cmp_eq_u32_e64 s0, 0, v42
	v_dual_cndmask_b32 v39, v41, v39, s0 :: v_dual_cndmask_b32 v38, v40, v38, s0
	s_delay_alu instid0(VALU_DEP_1) | instskip(SKIP_1) | instid1(VALU_DEP_3)
	v_bitop3_b32 v39, v39, v36, 0x80000000 bitop3:0x78
	v_add_nc_u64_e32 v[36:37], s[10:11], v[20:21]
	v_cndmask_b32_e64 v38, 0, v38, s1
	s_delay_alu instid0(VALU_DEP_3)
	v_cndmask_b32_e64 v39, 0x7ff80000, v39, s1
	global_store_b64 v[36:37], v[38:39], off
	s_wait_xcnt 0x0
	s_or_b32 exec_lo, exec_lo, s2
	s_and_saveexec_b32 s1, vcc_lo
	s_cbranch_execz .LBB103_24
.LBB103_56:                             ;   in Loop: Header=BB103_25 Depth=1
	v_mul_f64_e32 v[36:37], v[54:55], v[54:55]
	s_delay_alu instid0(VALU_DEP_2) | instskip(SKIP_1) | instid1(VALU_DEP_3)
	v_mul_f64_e32 v[42:43], 0.5, v[56:57]
	v_cmp_class_f64_e64 s0, v[34:35], 0x1f8
	v_mul_f64_e32 v[38:39], 0.5, v[36:37]
	v_mul_f64_e64 v[44:45], v[54:55], -v[36:37]
	v_fmamk_f64 v[48:49], v[36:37], 0x3de5e0b2f9a43bb8, v[32:33]
	s_delay_alu instid0(VALU_DEP_1) | instskip(NEXT) | instid1(VALU_DEP_1)
	v_fmaak_f64 v[48:49], v[36:37], v[48:49], 0x3ec71de3796cde01
	v_fmaak_f64 v[48:49], v[36:37], v[48:49], 0xbf2a01a019e83e5c
	s_delay_alu instid0(VALU_DEP_1) | instskip(SKIP_1) | instid1(VALU_DEP_2)
	v_fmaak_f64 v[48:49], v[36:37], v[48:49], 0x3f81111111110bb3
	v_add_f64_e64 v[40:41], -v[38:39], 1.0
	v_fmac_f64_e32 v[42:43], v[44:45], v[48:49]
	v_mul_f64_e32 v[48:49], v[36:37], v[36:37]
	s_delay_alu instid0(VALU_DEP_3) | instskip(NEXT) | instid1(VALU_DEP_3)
	v_add_f64_e64 v[46:47], -v[40:41], 1.0
	v_fma_f64 v[42:43], v[36:37], v[42:43], -v[56:57]
	s_delay_alu instid0(VALU_DEP_2) | instskip(SKIP_1) | instid1(VALU_DEP_3)
	v_add_f64_e64 v[38:39], v[46:47], -v[38:39]
	v_fmamk_f64 v[46:47], v[36:37], 0xbda907db46cc5e42, v[30:31]
	v_fmac_f64_e32 v[42:43], 0xbfc5555555555555, v[44:45]
	s_delay_alu instid0(VALU_DEP_2) | instskip(NEXT) | instid1(VALU_DEP_1)
	v_fmaak_f64 v[46:47], v[36:37], v[46:47], 0xbe927e4fa17f65f6
	v_fmaak_f64 v[46:47], v[36:37], v[46:47], 0x3efa01a019f4ec90
	s_delay_alu instid0(VALU_DEP_1) | instskip(NEXT) | instid1(VALU_DEP_1)
	v_fmaak_f64 v[46:47], v[36:37], v[46:47], 0xbf56c16c16c16967
	v_fmaak_f64 v[36:37], v[36:37], v[46:47], 0x3fa5555555555555
	v_fma_f64 v[38:39], v[54:55], -v[56:57], v[38:39]
	s_delay_alu instid0(VALU_DEP_1) | instskip(SKIP_1) | instid1(VALU_DEP_2)
	v_fmac_f64_e32 v[38:39], v[48:49], v[36:37]
	v_add_f64_e64 v[36:37], v[54:55], -v[42:43]
	v_dual_add_f64 v[38:39], v[40:41], v[38:39] :: v_dual_bitop2_b32 v40, 1, v5 bitop3:0x40
	v_lshlrev_b32_e32 v5, 30, v5
	s_delay_alu instid0(VALU_DEP_2) | instskip(NEXT) | instid1(VALU_DEP_2)
	v_cmp_eq_u32_e32 vcc_lo, 0, v40
	v_dual_cndmask_b32 v36, v38, v36, vcc_lo :: v_dual_bitop2_b32 v5, v5, v35 bitop3:0x14
	s_delay_alu instid0(VALU_DEP_1) | instskip(NEXT) | instid1(VALU_DEP_1)
	v_dual_cndmask_b32 v36, 0, v36, s0 :: v_dual_cndmask_b32 v34, v39, v37, vcc_lo
	v_bitop3_b32 v5, v34, v5, 0x80000000 bitop3:0x78
	v_add_nc_u64_e32 v[34:35], s[10:11], v[24:25]
	s_delay_alu instid0(VALU_DEP_2)
	v_cndmask_b32_e64 v37, 0x7ff80000, v5, s0
	global_store_b64 v[34:35], v[36:37], off
	s_branch .LBB103_24
.LBB103_57:
	s_sendmsg sendmsg(MSG_DEALLOC_VGPRS)
	s_endpgm
	.section	.rodata,"a",@progbits
	.p2align	6, 0x0
	.amdhsa_kernel _ZN2at6native12_GLOBAL__N_125multi_tensor_apply_kernelINS1_18TensorListMetadataILi2EEENS1_14UnaryOpFunctorIdLi2ELi1ELi1EEEJNS0_3SinIdEEEEEvT_T0_DpT1_
		.amdhsa_group_segment_fixed_size 0
		.amdhsa_private_segment_fixed_size 0
		.amdhsa_kernarg_size 3408
		.amdhsa_user_sgpr_count 2
		.amdhsa_user_sgpr_dispatch_ptr 0
		.amdhsa_user_sgpr_queue_ptr 0
		.amdhsa_user_sgpr_kernarg_segment_ptr 1
		.amdhsa_user_sgpr_dispatch_id 0
		.amdhsa_user_sgpr_kernarg_preload_length 0
		.amdhsa_user_sgpr_kernarg_preload_offset 0
		.amdhsa_user_sgpr_private_segment_size 0
		.amdhsa_wavefront_size32 1
		.amdhsa_uses_dynamic_stack 0
		.amdhsa_enable_private_segment 0
		.amdhsa_system_sgpr_workgroup_id_x 1
		.amdhsa_system_sgpr_workgroup_id_y 0
		.amdhsa_system_sgpr_workgroup_id_z 0
		.amdhsa_system_sgpr_workgroup_info 0
		.amdhsa_system_vgpr_workitem_id 0
		.amdhsa_next_free_vgpr 96
		.amdhsa_next_free_sgpr 29
		.amdhsa_named_barrier_count 0
		.amdhsa_reserve_vcc 1
		.amdhsa_float_round_mode_32 0
		.amdhsa_float_round_mode_16_64 0
		.amdhsa_float_denorm_mode_32 3
		.amdhsa_float_denorm_mode_16_64 3
		.amdhsa_fp16_overflow 0
		.amdhsa_memory_ordered 1
		.amdhsa_forward_progress 1
		.amdhsa_inst_pref_size 80
		.amdhsa_round_robin_scheduling 0
		.amdhsa_exception_fp_ieee_invalid_op 0
		.amdhsa_exception_fp_denorm_src 0
		.amdhsa_exception_fp_ieee_div_zero 0
		.amdhsa_exception_fp_ieee_overflow 0
		.amdhsa_exception_fp_ieee_underflow 0
		.amdhsa_exception_fp_ieee_inexact 0
		.amdhsa_exception_int_div_zero 0
	.end_amdhsa_kernel
	.section	.text._ZN2at6native12_GLOBAL__N_125multi_tensor_apply_kernelINS1_18TensorListMetadataILi2EEENS1_14UnaryOpFunctorIdLi2ELi1ELi1EEEJNS0_3SinIdEEEEEvT_T0_DpT1_,"axG",@progbits,_ZN2at6native12_GLOBAL__N_125multi_tensor_apply_kernelINS1_18TensorListMetadataILi2EEENS1_14UnaryOpFunctorIdLi2ELi1ELi1EEEJNS0_3SinIdEEEEEvT_T0_DpT1_,comdat
.Lfunc_end103:
	.size	_ZN2at6native12_GLOBAL__N_125multi_tensor_apply_kernelINS1_18TensorListMetadataILi2EEENS1_14UnaryOpFunctorIdLi2ELi1ELi1EEEJNS0_3SinIdEEEEEvT_T0_DpT1_, .Lfunc_end103-_ZN2at6native12_GLOBAL__N_125multi_tensor_apply_kernelINS1_18TensorListMetadataILi2EEENS1_14UnaryOpFunctorIdLi2ELi1ELi1EEEJNS0_3SinIdEEEEEvT_T0_DpT1_
                                        ; -- End function
	.set _ZN2at6native12_GLOBAL__N_125multi_tensor_apply_kernelINS1_18TensorListMetadataILi2EEENS1_14UnaryOpFunctorIdLi2ELi1ELi1EEEJNS0_3SinIdEEEEEvT_T0_DpT1_.num_vgpr, 96
	.set _ZN2at6native12_GLOBAL__N_125multi_tensor_apply_kernelINS1_18TensorListMetadataILi2EEENS1_14UnaryOpFunctorIdLi2ELi1ELi1EEEJNS0_3SinIdEEEEEvT_T0_DpT1_.num_agpr, 0
	.set _ZN2at6native12_GLOBAL__N_125multi_tensor_apply_kernelINS1_18TensorListMetadataILi2EEENS1_14UnaryOpFunctorIdLi2ELi1ELi1EEEJNS0_3SinIdEEEEEvT_T0_DpT1_.numbered_sgpr, 29
	.set _ZN2at6native12_GLOBAL__N_125multi_tensor_apply_kernelINS1_18TensorListMetadataILi2EEENS1_14UnaryOpFunctorIdLi2ELi1ELi1EEEJNS0_3SinIdEEEEEvT_T0_DpT1_.num_named_barrier, 0
	.set _ZN2at6native12_GLOBAL__N_125multi_tensor_apply_kernelINS1_18TensorListMetadataILi2EEENS1_14UnaryOpFunctorIdLi2ELi1ELi1EEEJNS0_3SinIdEEEEEvT_T0_DpT1_.private_seg_size, 0
	.set _ZN2at6native12_GLOBAL__N_125multi_tensor_apply_kernelINS1_18TensorListMetadataILi2EEENS1_14UnaryOpFunctorIdLi2ELi1ELi1EEEJNS0_3SinIdEEEEEvT_T0_DpT1_.uses_vcc, 1
	.set _ZN2at6native12_GLOBAL__N_125multi_tensor_apply_kernelINS1_18TensorListMetadataILi2EEENS1_14UnaryOpFunctorIdLi2ELi1ELi1EEEJNS0_3SinIdEEEEEvT_T0_DpT1_.uses_flat_scratch, 0
	.set _ZN2at6native12_GLOBAL__N_125multi_tensor_apply_kernelINS1_18TensorListMetadataILi2EEENS1_14UnaryOpFunctorIdLi2ELi1ELi1EEEJNS0_3SinIdEEEEEvT_T0_DpT1_.has_dyn_sized_stack, 0
	.set _ZN2at6native12_GLOBAL__N_125multi_tensor_apply_kernelINS1_18TensorListMetadataILi2EEENS1_14UnaryOpFunctorIdLi2ELi1ELi1EEEJNS0_3SinIdEEEEEvT_T0_DpT1_.has_recursion, 0
	.set _ZN2at6native12_GLOBAL__N_125multi_tensor_apply_kernelINS1_18TensorListMetadataILi2EEENS1_14UnaryOpFunctorIdLi2ELi1ELi1EEEJNS0_3SinIdEEEEEvT_T0_DpT1_.has_indirect_call, 0
	.section	.AMDGPU.csdata,"",@progbits
; Kernel info:
; codeLenInByte = 10200
; TotalNumSgprs: 31
; NumVgprs: 96
; ScratchSize: 0
; MemoryBound: 0
; FloatMode: 240
; IeeeMode: 1
; LDSByteSize: 0 bytes/workgroup (compile time only)
; SGPRBlocks: 0
; VGPRBlocks: 5
; NumSGPRsForWavesPerEU: 31
; NumVGPRsForWavesPerEU: 96
; NamedBarCnt: 0
; Occupancy: 10
; WaveLimiterHint : 0
; COMPUTE_PGM_RSRC2:SCRATCH_EN: 0
; COMPUTE_PGM_RSRC2:USER_SGPR: 2
; COMPUTE_PGM_RSRC2:TRAP_HANDLER: 0
; COMPUTE_PGM_RSRC2:TGID_X_EN: 1
; COMPUTE_PGM_RSRC2:TGID_Y_EN: 0
; COMPUTE_PGM_RSRC2:TGID_Z_EN: 0
; COMPUTE_PGM_RSRC2:TIDIG_COMP_CNT: 0
	.section	.text._ZN2at6native12_GLOBAL__N_125multi_tensor_apply_kernelINS1_18TensorListMetadataILi2EEENS1_14UnaryOpFunctorIfLi2ELi1ELi1EEEJNS0_3SinIfEEEEEvT_T0_DpT1_,"axG",@progbits,_ZN2at6native12_GLOBAL__N_125multi_tensor_apply_kernelINS1_18TensorListMetadataILi2EEENS1_14UnaryOpFunctorIfLi2ELi1ELi1EEEJNS0_3SinIfEEEEEvT_T0_DpT1_,comdat
	.globl	_ZN2at6native12_GLOBAL__N_125multi_tensor_apply_kernelINS1_18TensorListMetadataILi2EEENS1_14UnaryOpFunctorIfLi2ELi1ELi1EEEJNS0_3SinIfEEEEEvT_T0_DpT1_ ; -- Begin function _ZN2at6native12_GLOBAL__N_125multi_tensor_apply_kernelINS1_18TensorListMetadataILi2EEENS1_14UnaryOpFunctorIfLi2ELi1ELi1EEEJNS0_3SinIfEEEEEvT_T0_DpT1_
	.p2align	8
	.type	_ZN2at6native12_GLOBAL__N_125multi_tensor_apply_kernelINS1_18TensorListMetadataILi2EEENS1_14UnaryOpFunctorIfLi2ELi1ELi1EEEJNS0_3SinIfEEEEEvT_T0_DpT1_,@function
_ZN2at6native12_GLOBAL__N_125multi_tensor_apply_kernelINS1_18TensorListMetadataILi2EEENS1_14UnaryOpFunctorIfLi2ELi1ELi1EEEJNS0_3SinIfEEEEEvT_T0_DpT1_: ; @_ZN2at6native12_GLOBAL__N_125multi_tensor_apply_kernelINS1_18TensorListMetadataILi2EEENS1_14UnaryOpFunctorIfLi2ELi1ELi1EEEJNS0_3SinIfEEEEEvT_T0_DpT1_
; %bb.0:
	s_bfe_u32 s2, ttmp6, 0x4000c
	s_and_b32 s3, ttmp6, 15
	s_add_co_i32 s2, s2, 1
	s_getreg_b32 s4, hwreg(HW_REG_IB_STS2, 6, 4)
	s_mul_i32 s2, ttmp9, s2
	s_delay_alu instid0(SALU_CYCLE_1)
	s_add_co_i32 s3, s3, s2
	s_cmp_eq_u32 s4, 0
	s_cselect_b32 s2, ttmp9, s3
	s_mov_b32 s3, 0
	s_load_u8 s11, s[0:1], s2 offset:0x600
	s_add_nc_u64 s[4:5], s[0:1], s[2:3]
	s_mul_u64 s[6:7], s[2:3], 3
	s_mov_b32 s15, s3
	s_add_nc_u64 s[6:7], s[4:5], s[6:7]
	s_load_b32 s10, s[6:7], 0x740
	s_wait_kmcnt 0x0
	s_clause 0x2
	s_load_b64 s[4:5], s[0:1], s11 offset:0x0 scale_offset
	s_load_b64 s[8:9], s[0:1], s11 offset:0x200 scale_offset
	;; [unrolled: 1-line block ×3, first 2 shown]
	s_wait_xcnt 0x0
	s_ashr_i32 s11, s10, 31
	s_delay_alu instid0(SALU_CYCLE_1)
	s_lshl_b64 s[6:7], s[10:11], 18
	s_wait_kmcnt 0x0
	s_and_b64 s[18:19], s[8:9], 15
	s_add_nc_u64 s[16:17], s[4:5], s[6:7]
	s_and_b32 s14, s12, 3
	s_and_b32 s2, s16, 15
	s_or_b64 s[14:15], s[18:19], s[14:15]
	s_lshl_b64 s[10:11], s[10:11], 16
	s_or_b64 s[2:3], s[14:15], s[2:3]
	s_sub_nc_u64 s[10:11], s[12:13], s[10:11]
	s_cmp_eq_u64 s[2:3], 0
	s_mov_b32 s2, -1
	s_cbranch_scc0 .LBB104_21
; %bb.1:
	v_min_i64 v[6:7], 0x10000, s[10:11]
	v_dual_mov_b32 v9, 0 :: v_dual_lshlrev_b32 v8, 2, v0
	s_mov_b32 s18, exec_lo
	s_delay_alu instid0(VALU_DEP_1)
	v_cmpx_lt_i64_e64 v[8:9], v[6:7]
	s_cbranch_execz .LBB104_20
; %bb.2:
	s_load_b32 s2, s[0:1], 0xc5c
	v_dual_mov_b32 v1, v9 :: v_dual_lshlrev_b32 v8, 4, v0
	s_mov_b32 s13, 0
	s_mov_b32 s19, 0x7fffff
	s_mov_b64 s[14:15], 0xfe5163ab
	s_delay_alu instid0(VALU_DEP_1)
	v_mov_b64_e32 v[12:13], v[0:1]
	v_add_nc_u64_e32 v[10:11], s[6:7], v[8:9]
	s_mov_b32 s20, 0xb94c1982
	s_mov_b32 s21, 0x37d75334
	;; [unrolled: 1-line block ×4, first 2 shown]
	s_wait_kmcnt 0x0
	s_and_b32 s12, s2, 0xffff
	s_delay_alu instid0(SALU_CYCLE_1)
	s_lshl_b32 s16, s12, 4
	s_branch .LBB104_4
.LBB104_3:                              ;   in Loop: Header=BB104_4 Depth=1
	s_or_b32 exec_lo, exec_lo, s2
	v_dual_mul_f32 v24, v21, v21 :: v_dual_bitop2_b32 v25, 1, v22 bitop3:0x40
	v_dual_lshlrev_b32 v22, 30, v22 :: v_dual_bitop2_b32 v19, v19, v4 bitop3:0x14
	v_dual_lshlrev_b32 v18, 30, v18 :: v_dual_bitop2_b32 v29, 1, v18 bitop3:0x40
	s_delay_alu instid0(VALU_DEP_3) | instskip(NEXT) | instid1(VALU_DEP_4)
	v_dual_fmaak_f32 v27, s21, v24, 0xbab64f3b :: v_dual_mul_f32 v28, v17, v17
	v_cmp_eq_u32_e32 vcc_lo, 0, v25
	s_delay_alu instid0(VALU_DEP_4) | instskip(NEXT) | instid1(VALU_DEP_3)
	v_and_b32_e32 v22, 0x80000000, v22
	v_dual_mul_f32 v30, v14, v14 :: v_dual_fmaak_f32 v27, v24, v27, 0x3d2aabf7
	v_fmaak_f32 v26, s20, v24, 0x3c0881c4
	v_mul_f32_e32 v33, v8, v8
	v_and_b32_e32 v18, 0x80000000, v18
	v_add_nc_u64_e32 v[12:13], s[12:13], v[12:13]
	v_fmaak_f32 v27, v24, v27, 0xbf000004
	v_fmaak_f32 v26, v24, v26, 0xbe2aaa9d
	;; [unrolled: 1-line block ×3, first 2 shown]
	v_xor_b32_e32 v1, v1, v2
	v_cmp_class_f32_e64 s2, v5, 0x1f8
	v_xor_b32_e32 v16, v16, v3
	v_mul_f32_e32 v26, v24, v26
	v_fmaak_f32 v32, s21, v28, 0xbab64f3b
	v_fma_f32 v24, v24, v27, 1.0
	s_delay_alu instid0(VALU_DEP_3) | instskip(NEXT) | instid1(VALU_DEP_1)
	v_fmac_f32_e32 v21, v21, v26
	v_cndmask_b32_e32 v21, v24, v21, vcc_lo
	v_fmaak_f32 v24, s20, v30, 0x3c0881c4
	v_cmp_eq_u32_e32 vcc_lo, 0, v29
	s_delay_alu instid0(VALU_DEP_3) | instskip(NEXT) | instid1(VALU_DEP_3)
	v_xor3_b32 v19, v19, v22, v21
	v_fmaak_f32 v21, v30, v24, 0xbe2aaa9d
	v_fmaak_f32 v22, s20, v33, 0x3c0881c4
	;; [unrolled: 1-line block ×3, first 2 shown]
	s_delay_alu instid0(VALU_DEP_3) | instskip(NEXT) | instid1(VALU_DEP_1)
	v_mul_f32_e32 v21, v30, v21
	v_dual_fmac_f32 v14, v14, v21 :: v_dual_fmaak_f32 v31, v28, v31, 0xbe2aaa9d
	s_delay_alu instid0(VALU_DEP_4) | instskip(NEXT) | instid1(VALU_DEP_4)
	v_fmaak_f32 v21, v33, v22, 0xbe2aaa9d
	v_fmaak_f32 v22, v33, v24, 0x3d2aabf7
	v_dual_lshlrev_b32 v15, 30, v15 :: v_dual_bitop2_b32 v24, 1, v15 bitop3:0x40
	s_delay_alu instid0(VALU_DEP_4) | instskip(NEXT) | instid1(VALU_DEP_4)
	v_mul_f32_e32 v26, v28, v31
	v_dual_fmaak_f32 v32, v28, v32, 0x3d2aabf7 :: v_dual_mul_f32 v21, v33, v21
	s_delay_alu instid0(VALU_DEP_4) | instskip(NEXT) | instid1(VALU_DEP_4)
	v_fmaak_f32 v22, v33, v22, 0xbf000004
	v_and_b32_e32 v15, 0x80000000, v15
	s_delay_alu instid0(VALU_DEP_4) | instskip(NEXT) | instid1(VALU_DEP_4)
	v_fmac_f32_e32 v17, v17, v26
	v_fmaak_f32 v27, v28, v32, 0xbf000004
	v_fmaak_f32 v26, s21, v30, 0xbab64f3b
	v_dual_fmac_f32 v8, v8, v21 :: v_dual_bitop2_b32 v21, 1, v23 bitop3:0x40
	s_delay_alu instid0(VALU_DEP_3) | instskip(NEXT) | instid1(VALU_DEP_1)
	v_fma_f32 v25, v28, v27, 1.0
	v_cndmask_b32_e32 v17, v25, v17, vcc_lo
	v_cmp_class_f32_e64 vcc_lo, v4, 0x1f8
	s_delay_alu instid0(VALU_DEP_2) | instskip(SKIP_4) | instid1(VALU_DEP_3)
	v_xor3_b32 v16, v16, v18, v17
	v_cndmask_b32_e32 v4, 0x7fc00000, v19, vcc_lo
	v_fmaak_f32 v19, v30, v26, 0x3d2aabf7
	v_cmp_eq_u32_e32 vcc_lo, 0, v24
	v_xor_b32_e32 v18, v20, v5
	v_fmaak_f32 v19, v30, v19, 0xbf000004
	s_delay_alu instid0(VALU_DEP_1) | instskip(NEXT) | instid1(VALU_DEP_1)
	v_fma_f32 v19, v30, v19, 1.0
	v_cndmask_b32_e32 v14, v19, v14, vcc_lo
	v_fma_f32 v19, v33, v22, 1.0
	v_cmp_eq_u32_e32 vcc_lo, 0, v21
	v_lshlrev_b32_e32 v22, 30, v23
	s_delay_alu instid0(VALU_DEP_4)
	v_xor3_b32 v1, v1, v15, v14
	v_lshlrev_b64_e32 v[14:15], 2, v[12:13]
	v_cndmask_b32_e32 v8, v19, v8, vcc_lo
	v_cmp_class_f32_e64 vcc_lo, v3, 0x1f8
	v_and_b32_e32 v17, 0x80000000, v22
	v_cndmask_b32_e32 v3, 0x7fc00000, v16, vcc_lo
	v_cmp_class_f32_e64 vcc_lo, v2, 0x1f8
	v_cndmask_b32_e32 v2, 0x7fc00000, v1, vcc_lo
	s_delay_alu instid0(VALU_DEP_4) | instskip(SKIP_3) | instid1(VALU_DEP_4)
	v_xor3_b32 v1, v18, v17, v8
	v_cmp_ge_i64_e32 vcc_lo, v[14:15], v[6:7]
	v_add_nc_u64_e32 v[14:15], s[8:9], v[10:11]
	v_add_nc_u64_e32 v[10:11], s[16:17], v[10:11]
	v_cndmask_b32_e64 v5, 0x7fc00000, v1, s2
	s_or_b32 s22, vcc_lo, s22
	global_store_b128 v[14:15], v[2:5], off
	s_wait_xcnt 0x0
	s_and_not1_b32 exec_lo, exec_lo, s22
	s_cbranch_execz .LBB104_20
.LBB104_4:                              ; =>This Inner Loop Header: Depth=1
	v_add_nc_u64_e32 v[2:3], s[4:5], v[10:11]
                                        ; implicit-def: $vgpr15
                                        ; implicit-def: $vgpr14
	s_mov_b32 s3, exec_lo
	global_load_b128 v[2:5], v[2:3], off
	s_wait_loadcnt 0x0
	v_and_b32_e32 v1, 0x7fffffff, v2
	s_wait_xcnt 0x0
	v_cmpx_ngt_f32_e64 0x48000000, |v2|
	s_xor_b32 s23, exec_lo, s3
	s_cbranch_execz .LBB104_6
; %bb.5:                                ;   in Loop: Header=BB104_4 Depth=1
	v_and_or_b32 v8, v1, s19, 0x800000
	v_mov_b32_e32 v25, v9
	s_delay_alu instid0(VALU_DEP_2) | instskip(NEXT) | instid1(VALU_DEP_1)
	v_mul_u64_e32 v[14:15], s[14:15], v[8:9]
	v_dual_mov_b32 v17, v9 :: v_dual_mov_b32 v16, v15
	v_lshrrev_b32_e32 v15, 23, v1
	s_delay_alu instid0(VALU_DEP_2) | instskip(SKIP_1) | instid1(VALU_DEP_3)
	v_mad_nc_u64_u32 v[16:17], 0x3c439041, v8, v[16:17]
	v_mov_b32_e32 v19, v9
	v_add_nc_u32_e32 v15, 0xffffff88, v15
	s_delay_alu instid0(VALU_DEP_1) | instskip(NEXT) | instid1(VALU_DEP_4)
	v_cmp_lt_u32_e32 vcc_lo, 63, v15
	v_mov_b32_e32 v18, v17
	v_cndmask_b32_e64 v17, 0, 0xffffffc0, vcc_lo
	s_delay_alu instid0(VALU_DEP_2) | instskip(NEXT) | instid1(VALU_DEP_1)
	v_mad_nc_u64_u32 v[18:19], 0xdb629599, v8, v[18:19]
	v_dual_mov_b32 v21, v9 :: v_dual_mov_b32 v20, v19
	s_delay_alu instid0(VALU_DEP_2) | instskip(NEXT) | instid1(VALU_DEP_2)
	v_cndmask_b32_e32 v14, v18, v14, vcc_lo
	v_mad_nc_u64_u32 v[20:21], 0xf534ddc0, v8, v[20:21]
	s_delay_alu instid0(VALU_DEP_1) | instskip(NEXT) | instid1(VALU_DEP_1)
	v_dual_mov_b32 v23, v9 :: v_dual_mov_b32 v22, v21
	v_mad_nc_u64_u32 v[22:23], 0xfc2757d1, v8, v[22:23]
	s_delay_alu instid0(VALU_DEP_1) | instskip(NEXT) | instid1(VALU_DEP_1)
	v_mov_b32_e32 v24, v23
	v_mad_nc_u64_u32 v[24:25], 0x4e441529, v8, v[24:25]
	v_add_nc_u32_e32 v15, v17, v15
	v_mov_b32_e32 v27, v9
	s_delay_alu instid0(VALU_DEP_2) | instskip(NEXT) | instid1(VALU_DEP_4)
	v_cmp_lt_u32_e64 s2, 31, v15
	v_mov_b32_e32 v26, v25
	s_delay_alu instid0(VALU_DEP_2) | instskip(NEXT) | instid1(VALU_DEP_2)
	v_cndmask_b32_e64 v17, 0, 0xffffffe0, s2
	v_mad_nc_u64_u32 v[26:27], 0xa2f9836e, v8, v[26:27]
	s_delay_alu instid0(VALU_DEP_2) | instskip(NEXT) | instid1(VALU_DEP_2)
	v_dual_cndmask_b32 v17, v24, v20 :: v_dual_add_nc_u32 v8, v17, v15
	v_cndmask_b32_e32 v19, v26, v22, vcc_lo
	s_delay_alu instid0(VALU_DEP_2) | instskip(NEXT) | instid1(VALU_DEP_4)
	v_cmp_lt_u32_e64 s3, 31, v8
	v_dual_cndmask_b32 v21, v27, v24 :: v_dual_cndmask_b32 v22, v22, v18
	s_delay_alu instid0(VALU_DEP_2) | instskip(NEXT) | instid1(VALU_DEP_1)
	v_cndmask_b32_e64 v15, 0, 0xffffffe0, s3
	v_add_nc_u32_e32 v8, v15, v8
	v_dual_cndmask_b32 v15, v20, v16, vcc_lo :: v_dual_cndmask_b32 v16, v19, v17, s2
	s_delay_alu instid0(VALU_DEP_4) | instskip(NEXT) | instid1(VALU_DEP_3)
	v_cndmask_b32_e64 v19, v21, v19, s2
	v_dual_cndmask_b32 v17, v17, v22, s2 :: v_dual_sub_nc_u32 v20, 32, v8
	s_delay_alu instid0(VALU_DEP_3) | instskip(SKIP_1) | instid1(VALU_DEP_3)
	v_cndmask_b32_e64 v21, v22, v15, s2
	v_cmp_eq_u32_e32 vcc_lo, 0, v8
	v_dual_cndmask_b32 v19, v19, v16, s3 :: v_dual_cndmask_b32 v16, v16, v17, s3
	s_delay_alu instid0(VALU_DEP_1) | instskip(NEXT) | instid1(VALU_DEP_1)
	v_alignbit_b32 v22, v19, v16, v20
	v_dual_cndmask_b32 v17, v17, v21, s3 :: v_dual_cndmask_b32 v8, v22, v19, vcc_lo
	s_delay_alu instid0(VALU_DEP_1) | instskip(NEXT) | instid1(VALU_DEP_1)
	v_alignbit_b32 v18, v16, v17, v20
	v_dual_cndmask_b32 v14, v15, v14, s2 :: v_dual_cndmask_b32 v15, v18, v16, vcc_lo
	s_delay_alu instid0(VALU_DEP_3) | instskip(NEXT) | instid1(VALU_DEP_2)
	v_bfe_u32 v16, v8, 29, 1
	v_cndmask_b32_e64 v14, v21, v14, s3
	s_delay_alu instid0(VALU_DEP_3) | instskip(NEXT) | instid1(VALU_DEP_3)
	v_alignbit_b32 v18, v8, v15, 30
	v_sub_nc_u32_e32 v19, 0, v16
	s_delay_alu instid0(VALU_DEP_3) | instskip(NEXT) | instid1(VALU_DEP_1)
	v_alignbit_b32 v20, v17, v14, v20
	v_dual_cndmask_b32 v17, v20, v17, vcc_lo :: v_dual_bitop2_b32 v18, v18, v19 bitop3:0x14
	s_delay_alu instid0(VALU_DEP_1) | instskip(NEXT) | instid1(VALU_DEP_2)
	v_clz_i32_u32_e32 v20, v18
	v_alignbit_b32 v15, v15, v17, 30
	v_alignbit_b32 v14, v17, v14, 30
	s_delay_alu instid0(VALU_DEP_3) | instskip(NEXT) | instid1(VALU_DEP_3)
	v_min_u32_e32 v20, 32, v20
	v_xor_b32_e32 v15, v15, v19
	s_delay_alu instid0(VALU_DEP_3) | instskip(SKIP_1) | instid1(VALU_DEP_4)
	v_dual_lshrrev_b32 v19, 29, v8 :: v_dual_bitop2_b32 v14, v14, v19 bitop3:0x14
	v_lshrrev_b32_e32 v8, 30, v8
	v_dual_sub_nc_u32 v17, 31, v20 :: v_dual_lshlrev_b32 v21, 23, v20
	s_delay_alu instid0(VALU_DEP_1) | instskip(NEXT) | instid1(VALU_DEP_4)
	v_alignbit_b32 v18, v18, v15, v17
	v_alignbit_b32 v14, v15, v14, v17
	v_lshlrev_b32_e32 v15, 31, v19
	s_delay_alu instid0(VALU_DEP_2) | instskip(NEXT) | instid1(VALU_DEP_2)
	v_alignbit_b32 v17, v18, v14, 9
	v_dual_lshrrev_b32 v18, 9, v18 :: v_dual_bitop2_b32 v19, 0.5, v15 bitop3:0x54
	v_or_b32_e32 v15, 0x33000000, v15
	s_delay_alu instid0(VALU_DEP_3) | instskip(NEXT) | instid1(VALU_DEP_3)
	v_clz_i32_u32_e32 v22, v17
	v_sub_nc_u32_e32 v19, v19, v21
	s_delay_alu instid0(VALU_DEP_2) | instskip(NEXT) | instid1(VALU_DEP_1)
	v_min_u32_e32 v21, 32, v22
	v_add_lshl_u32 v20, v21, v20, 23
	s_delay_alu instid0(VALU_DEP_3) | instskip(SKIP_1) | instid1(VALU_DEP_2)
	v_or_b32_e32 v18, v18, v19
	v_not_b32_e32 v19, v21
	v_dual_mul_f32 v22, 0x3fc90fda, v18 :: v_dual_sub_nc_u32 v15, v15, v20
	s_delay_alu instid0(VALU_DEP_2) | instskip(NEXT) | instid1(VALU_DEP_2)
	v_alignbit_b32 v14, v17, v14, v19
	v_fma_f32 v17, 0x3fc90fda, v18, -v22
	s_delay_alu instid0(VALU_DEP_2) | instskip(NEXT) | instid1(VALU_DEP_2)
	v_lshrrev_b32_e32 v14, 9, v14
	v_fmac_f32_e32 v17, 0x33a22168, v18
	s_delay_alu instid0(VALU_DEP_2) | instskip(NEXT) | instid1(VALU_DEP_1)
	v_dual_add_nc_u32 v15, v16, v8 :: v_dual_bitop2_b32 v14, v15, v14 bitop3:0x54
	v_fmac_f32_e32 v17, 0x3fc90fda, v14
	s_delay_alu instid0(VALU_DEP_1)
	v_add_f32_e32 v14, v22, v17
.LBB104_6:                              ;   in Loop: Header=BB104_4 Depth=1
	s_and_not1_saveexec_b32 s2, s23
; %bb.7:                                ;   in Loop: Header=BB104_4 Depth=1
	v_mul_f32_e64 v8, 0x3f22f983, |v2|
	s_delay_alu instid0(VALU_DEP_1) | instskip(NEXT) | instid1(VALU_DEP_1)
	v_rndne_f32_e32 v8, v8
	v_fma_f32 v14, 0xbfc90fda, v8, |v2|
	v_cvt_i32_f32_e32 v15, v8
	s_delay_alu instid0(VALU_DEP_2) | instskip(NEXT) | instid1(VALU_DEP_1)
	v_fmac_f32_e32 v14, 0xb3a22168, v8
	v_fmac_f32_e32 v14, 0xa7c234c4, v8
; %bb.8:                                ;   in Loop: Header=BB104_4 Depth=1
	s_or_b32 exec_lo, exec_lo, s2
	v_and_b32_e32 v16, 0x7fffffff, v3
                                        ; implicit-def: $vgpr18
                                        ; implicit-def: $vgpr17
	s_mov_b32 s3, exec_lo
	v_cmpx_ngt_f32_e64 0x48000000, |v3|
	s_xor_b32 s23, exec_lo, s3
	s_cbranch_execz .LBB104_10
; %bb.9:                                ;   in Loop: Header=BB104_4 Depth=1
	v_and_or_b32 v8, v16, s19, 0x800000
	v_dual_lshrrev_b32 v17, 23, v16 :: v_dual_mov_b32 v29, v9
	v_mov_b32_e32 v31, v9
	s_delay_alu instid0(VALU_DEP_3) | instskip(SKIP_1) | instid1(VALU_DEP_4)
	v_mul_u64_e32 v[18:19], s[14:15], v[8:9]
	v_mov_b32_e32 v21, v9
	v_add_nc_u32_e32 v17, 0xffffff88, v17
	s_delay_alu instid0(VALU_DEP_1) | instskip(NEXT) | instid1(VALU_DEP_4)
	v_cmp_lt_u32_e32 vcc_lo, 63, v17
	v_mov_b32_e32 v20, v19
	v_cndmask_b32_e64 v19, 0, 0xffffffc0, vcc_lo
	s_delay_alu instid0(VALU_DEP_2) | instskip(NEXT) | instid1(VALU_DEP_2)
	v_mad_nc_u64_u32 v[20:21], 0x3c439041, v8, v[20:21]
	v_dual_mov_b32 v23, v9 :: v_dual_add_nc_u32 v17, v19, v17
	s_delay_alu instid0(VALU_DEP_1) | instskip(NEXT) | instid1(VALU_DEP_3)
	v_cmp_lt_u32_e64 s2, 31, v17
	v_mov_b32_e32 v22, v21
	s_delay_alu instid0(VALU_DEP_2) | instskip(NEXT) | instid1(VALU_DEP_2)
	v_cndmask_b32_e64 v19, 0, 0xffffffe0, s2
	v_mad_nc_u64_u32 v[22:23], 0xdb629599, v8, v[22:23]
	s_delay_alu instid0(VALU_DEP_1) | instskip(NEXT) | instid1(VALU_DEP_2)
	v_dual_mov_b32 v25, v9 :: v_dual_mov_b32 v24, v23
	v_cndmask_b32_e32 v18, v22, v18, vcc_lo
	s_delay_alu instid0(VALU_DEP_2) | instskip(NEXT) | instid1(VALU_DEP_1)
	v_mad_nc_u64_u32 v[24:25], 0xf534ddc0, v8, v[24:25]
	v_dual_mov_b32 v27, v9 :: v_dual_mov_b32 v26, v25
	s_delay_alu instid0(VALU_DEP_1) | instskip(NEXT) | instid1(VALU_DEP_1)
	v_mad_nc_u64_u32 v[26:27], 0xfc2757d1, v8, v[26:27]
	v_dual_mov_b32 v28, v27 :: v_dual_cndmask_b32 v25, v26, v22
	s_delay_alu instid0(VALU_DEP_1) | instskip(NEXT) | instid1(VALU_DEP_1)
	v_mad_nc_u64_u32 v[28:29], 0x4e441529, v8, v[28:29]
	v_mov_b32_e32 v30, v29
	s_delay_alu instid0(VALU_DEP_1) | instskip(NEXT) | instid1(VALU_DEP_3)
	v_mad_nc_u64_u32 v[30:31], 0xa2f9836e, v8, v[30:31]
	v_dual_cndmask_b32 v19, v28, v24 :: v_dual_add_nc_u32 v8, v19, v17
	s_delay_alu instid0(VALU_DEP_1) | instskip(NEXT) | instid1(VALU_DEP_1)
	v_cmp_lt_u32_e64 s3, 31, v8
	v_cndmask_b32_e64 v17, 0, 0xffffffe0, s3
	s_delay_alu instid0(VALU_DEP_4) | instskip(NEXT) | instid1(VALU_DEP_2)
	v_dual_cndmask_b32 v21, v30, v26, vcc_lo :: v_dual_cndmask_b32 v23, v31, v28, vcc_lo
	v_add_nc_u32_e32 v8, v17, v8
	s_delay_alu instid0(VALU_DEP_2) | instskip(NEXT) | instid1(VALU_DEP_3)
	v_dual_cndmask_b32 v17, v24, v20, vcc_lo :: v_dual_cndmask_b32 v20, v21, v19, s2
	v_cndmask_b32_e64 v21, v23, v21, s2
	s_delay_alu instid0(VALU_DEP_3) | instskip(NEXT) | instid1(VALU_DEP_3)
	v_dual_cndmask_b32 v19, v19, v25, s2 :: v_dual_sub_nc_u32 v23, 32, v8
	v_cndmask_b32_e64 v24, v25, v17, s2
	v_cmp_eq_u32_e32 vcc_lo, 0, v8
	s_delay_alu instid0(VALU_DEP_3) | instskip(NEXT) | instid1(VALU_DEP_1)
	v_dual_cndmask_b32 v21, v21, v20, s3 :: v_dual_cndmask_b32 v20, v20, v19, s3
	v_alignbit_b32 v25, v21, v20, v23
	s_delay_alu instid0(VALU_DEP_1) | instskip(NEXT) | instid1(VALU_DEP_1)
	v_dual_cndmask_b32 v19, v19, v24, s3 :: v_dual_cndmask_b32 v8, v25, v21, vcc_lo
	v_alignbit_b32 v22, v20, v19, v23
	s_delay_alu instid0(VALU_DEP_1) | instskip(NEXT) | instid1(VALU_DEP_3)
	v_dual_cndmask_b32 v17, v17, v18, s2 :: v_dual_cndmask_b32 v18, v22, v20, vcc_lo
	v_bfe_u32 v20, v8, 29, 1
	s_delay_alu instid0(VALU_DEP_2) | instskip(NEXT) | instid1(VALU_DEP_3)
	v_cndmask_b32_e64 v17, v24, v17, s3
	v_alignbit_b32 v21, v8, v18, 30
	s_delay_alu instid0(VALU_DEP_3) | instskip(NEXT) | instid1(VALU_DEP_3)
	v_sub_nc_u32_e32 v22, 0, v20
	v_alignbit_b32 v23, v19, v17, v23
	s_delay_alu instid0(VALU_DEP_1) | instskip(NEXT) | instid1(VALU_DEP_1)
	v_dual_cndmask_b32 v19, v23, v19, vcc_lo :: v_dual_bitop2_b32 v21, v21, v22 bitop3:0x14
	v_clz_i32_u32_e32 v23, v21
	s_delay_alu instid0(VALU_DEP_2) | instskip(SKIP_1) | instid1(VALU_DEP_3)
	v_alignbit_b32 v18, v18, v19, 30
	v_alignbit_b32 v17, v19, v17, 30
	v_min_u32_e32 v23, 32, v23
	s_delay_alu instid0(VALU_DEP_3) | instskip(NEXT) | instid1(VALU_DEP_3)
	v_xor_b32_e32 v18, v18, v22
	v_dual_lshrrev_b32 v22, 29, v8 :: v_dual_bitop2_b32 v17, v17, v22 bitop3:0x14
	s_delay_alu instid0(VALU_DEP_3) | instskip(SKIP_1) | instid1(VALU_DEP_2)
	v_dual_lshrrev_b32 v8, 30, v8 :: v_dual_sub_nc_u32 v19, 31, v23
	v_lshlrev_b32_e32 v24, 23, v23
	v_alignbit_b32 v21, v21, v18, v19
	s_delay_alu instid0(VALU_DEP_4) | instskip(SKIP_1) | instid1(VALU_DEP_2)
	v_alignbit_b32 v17, v18, v17, v19
	v_lshlrev_b32_e32 v18, 31, v22
	v_alignbit_b32 v19, v21, v17, 9
	s_delay_alu instid0(VALU_DEP_2) | instskip(SKIP_1) | instid1(VALU_DEP_3)
	v_dual_lshrrev_b32 v21, 9, v21 :: v_dual_bitop2_b32 v22, 0.5, v18 bitop3:0x54
	v_or_b32_e32 v18, 0x33000000, v18
	v_clz_i32_u32_e32 v25, v19
	s_delay_alu instid0(VALU_DEP_3) | instskip(NEXT) | instid1(VALU_DEP_2)
	v_sub_nc_u32_e32 v22, v22, v24
	v_min_u32_e32 v24, 32, v25
	s_delay_alu instid0(VALU_DEP_1) | instskip(NEXT) | instid1(VALU_DEP_3)
	v_add_lshl_u32 v23, v24, v23, 23
	v_or_b32_e32 v21, v21, v22
	v_not_b32_e32 v22, v24
	s_delay_alu instid0(VALU_DEP_2) | instskip(NEXT) | instid1(VALU_DEP_2)
	v_dual_mul_f32 v25, 0x3fc90fda, v21 :: v_dual_sub_nc_u32 v18, v18, v23
	v_alignbit_b32 v17, v19, v17, v22
	s_delay_alu instid0(VALU_DEP_2) | instskip(NEXT) | instid1(VALU_DEP_2)
	v_fma_f32 v19, 0x3fc90fda, v21, -v25
	v_lshrrev_b32_e32 v17, 9, v17
	s_delay_alu instid0(VALU_DEP_2) | instskip(NEXT) | instid1(VALU_DEP_2)
	v_fmac_f32_e32 v19, 0x33a22168, v21
	v_dual_add_nc_u32 v18, v20, v8 :: v_dual_bitop2_b32 v17, v18, v17 bitop3:0x54
	s_delay_alu instid0(VALU_DEP_1) | instskip(NEXT) | instid1(VALU_DEP_1)
	v_fmac_f32_e32 v19, 0x3fc90fda, v17
	v_add_f32_e32 v17, v25, v19
.LBB104_10:                             ;   in Loop: Header=BB104_4 Depth=1
	s_and_not1_saveexec_b32 s2, s23
; %bb.11:                               ;   in Loop: Header=BB104_4 Depth=1
	v_mul_f32_e64 v8, 0x3f22f983, |v3|
	s_delay_alu instid0(VALU_DEP_1) | instskip(NEXT) | instid1(VALU_DEP_1)
	v_rndne_f32_e32 v8, v8
	v_fma_f32 v17, 0xbfc90fda, v8, |v3|
	v_cvt_i32_f32_e32 v18, v8
	s_delay_alu instid0(VALU_DEP_2) | instskip(NEXT) | instid1(VALU_DEP_1)
	v_fmac_f32_e32 v17, 0xb3a22168, v8
	v_fmac_f32_e32 v17, 0xa7c234c4, v8
; %bb.12:                               ;   in Loop: Header=BB104_4 Depth=1
	s_or_b32 exec_lo, exec_lo, s2
	v_and_b32_e32 v19, 0x7fffffff, v4
                                        ; implicit-def: $vgpr22
                                        ; implicit-def: $vgpr21
	s_mov_b32 s3, exec_lo
	v_cmpx_ngt_f32_e64 0x48000000, |v4|
	s_xor_b32 s23, exec_lo, s3
	s_cbranch_execz .LBB104_14
; %bb.13:                               ;   in Loop: Header=BB104_4 Depth=1
	v_and_or_b32 v8, v19, s19, 0x800000
	v_dual_mov_b32 v31, v9 :: v_dual_mov_b32 v33, v9
	s_delay_alu instid0(VALU_DEP_2) | instskip(NEXT) | instid1(VALU_DEP_1)
	v_mul_u64_e32 v[20:21], s[14:15], v[8:9]
	v_dual_mov_b32 v23, v9 :: v_dual_mov_b32 v22, v21
	v_lshrrev_b32_e32 v21, 23, v19
	s_delay_alu instid0(VALU_DEP_2) | instskip(SKIP_1) | instid1(VALU_DEP_3)
	v_mad_nc_u64_u32 v[22:23], 0x3c439041, v8, v[22:23]
	v_mov_b32_e32 v25, v9
	v_add_nc_u32_e32 v21, 0xffffff88, v21
	s_delay_alu instid0(VALU_DEP_1) | instskip(NEXT) | instid1(VALU_DEP_4)
	v_cmp_lt_u32_e32 vcc_lo, 63, v21
	v_mov_b32_e32 v24, v23
	v_cndmask_b32_e64 v23, 0, 0xffffffc0, vcc_lo
	s_delay_alu instid0(VALU_DEP_2) | instskip(NEXT) | instid1(VALU_DEP_2)
	v_mad_nc_u64_u32 v[24:25], 0xdb629599, v8, v[24:25]
	v_dual_mov_b32 v27, v9 :: v_dual_add_nc_u32 v21, v23, v21
	s_delay_alu instid0(VALU_DEP_1) | instskip(NEXT) | instid1(VALU_DEP_3)
	v_cmp_lt_u32_e64 s2, 31, v21
	v_mov_b32_e32 v26, v25
	s_delay_alu instid0(VALU_DEP_2) | instskip(SKIP_1) | instid1(VALU_DEP_3)
	v_cndmask_b32_e64 v23, 0, 0xffffffe0, s2
	v_cndmask_b32_e32 v20, v24, v20, vcc_lo
	v_mad_nc_u64_u32 v[26:27], 0xf534ddc0, v8, v[26:27]
	s_delay_alu instid0(VALU_DEP_1) | instskip(NEXT) | instid1(VALU_DEP_1)
	v_dual_mov_b32 v29, v9 :: v_dual_mov_b32 v28, v27
	v_mad_nc_u64_u32 v[28:29], 0xfc2757d1, v8, v[28:29]
	s_delay_alu instid0(VALU_DEP_1) | instskip(NEXT) | instid1(VALU_DEP_1)
	v_mov_b32_e32 v30, v29
	v_mad_nc_u64_u32 v[30:31], 0x4e441529, v8, v[30:31]
	s_delay_alu instid0(VALU_DEP_1) | instskip(NEXT) | instid1(VALU_DEP_1)
	v_mov_b32_e32 v32, v31
	v_mad_nc_u64_u32 v[32:33], 0xa2f9836e, v8, v[32:33]
	s_delay_alu instid0(VALU_DEP_3) | instskip(NEXT) | instid1(VALU_DEP_2)
	v_dual_cndmask_b32 v23, v30, v26 :: v_dual_add_nc_u32 v8, v23, v21
	v_cndmask_b32_e32 v25, v32, v28, vcc_lo
	s_delay_alu instid0(VALU_DEP_2) | instskip(NEXT) | instid1(VALU_DEP_4)
	v_cmp_lt_u32_e64 s3, 31, v8
	v_dual_cndmask_b32 v27, v33, v30 :: v_dual_cndmask_b32 v28, v28, v24
	s_delay_alu instid0(VALU_DEP_2) | instskip(NEXT) | instid1(VALU_DEP_1)
	v_cndmask_b32_e64 v21, 0, 0xffffffe0, s3
	v_dual_cndmask_b32 v21, v26, v22 :: v_dual_add_nc_u32 v8, v21, v8
	s_delay_alu instid0(VALU_DEP_3) | instskip(NEXT) | instid1(VALU_DEP_4)
	v_dual_cndmask_b32 v22, v25, v23, s2 :: v_dual_cndmask_b32 v25, v27, v25, s2
	v_cndmask_b32_e64 v23, v23, v28, s2
	s_delay_alu instid0(VALU_DEP_3) | instskip(SKIP_1) | instid1(VALU_DEP_3)
	v_dual_sub_nc_u32 v26, 32, v8 :: v_dual_cndmask_b32 v27, v28, v21, s2
	v_cmp_eq_u32_e32 vcc_lo, 0, v8
	v_dual_cndmask_b32 v25, v25, v22, s3 :: v_dual_cndmask_b32 v22, v22, v23, s3
	s_delay_alu instid0(VALU_DEP_1) | instskip(NEXT) | instid1(VALU_DEP_1)
	v_alignbit_b32 v28, v25, v22, v26
	v_dual_cndmask_b32 v23, v23, v27, s3 :: v_dual_cndmask_b32 v8, v28, v25, vcc_lo
	s_delay_alu instid0(VALU_DEP_1) | instskip(NEXT) | instid1(VALU_DEP_1)
	v_alignbit_b32 v24, v22, v23, v26
	v_dual_cndmask_b32 v20, v21, v20, s2 :: v_dual_cndmask_b32 v21, v24, v22, vcc_lo
	s_delay_alu instid0(VALU_DEP_3) | instskip(NEXT) | instid1(VALU_DEP_2)
	v_bfe_u32 v22, v8, 29, 1
	v_cndmask_b32_e64 v20, v27, v20, s3
	s_delay_alu instid0(VALU_DEP_3) | instskip(NEXT) | instid1(VALU_DEP_3)
	v_alignbit_b32 v24, v8, v21, 30
	v_sub_nc_u32_e32 v25, 0, v22
	s_delay_alu instid0(VALU_DEP_3) | instskip(NEXT) | instid1(VALU_DEP_1)
	v_alignbit_b32 v26, v23, v20, v26
	v_dual_cndmask_b32 v23, v26, v23, vcc_lo :: v_dual_bitop2_b32 v24, v24, v25 bitop3:0x14
	s_delay_alu instid0(VALU_DEP_1) | instskip(NEXT) | instid1(VALU_DEP_2)
	v_clz_i32_u32_e32 v26, v24
	v_alignbit_b32 v21, v21, v23, 30
	v_alignbit_b32 v20, v23, v20, 30
	s_delay_alu instid0(VALU_DEP_3) | instskip(NEXT) | instid1(VALU_DEP_3)
	v_min_u32_e32 v26, 32, v26
	v_xor_b32_e32 v21, v21, v25
	s_delay_alu instid0(VALU_DEP_3) | instskip(NEXT) | instid1(VALU_DEP_3)
	v_dual_lshrrev_b32 v25, 29, v8 :: v_dual_bitop2_b32 v20, v20, v25 bitop3:0x14
	v_dual_lshrrev_b32 v8, 30, v8 :: v_dual_sub_nc_u32 v23, 31, v26
	s_delay_alu instid0(VALU_DEP_1) | instskip(NEXT) | instid1(VALU_DEP_2)
	v_dual_lshlrev_b32 v27, 23, v26 :: v_dual_add_nc_u32 v22, v22, v8
	v_alignbit_b32 v24, v24, v21, v23
	s_delay_alu instid0(VALU_DEP_4) | instskip(SKIP_1) | instid1(VALU_DEP_2)
	v_alignbit_b32 v20, v21, v20, v23
	v_lshlrev_b32_e32 v21, 31, v25
	v_alignbit_b32 v23, v24, v20, 9
	s_delay_alu instid0(VALU_DEP_2) | instskip(SKIP_1) | instid1(VALU_DEP_3)
	v_dual_lshrrev_b32 v24, 9, v24 :: v_dual_bitop2_b32 v25, 0.5, v21 bitop3:0x54
	v_or_b32_e32 v21, 0x33000000, v21
	v_clz_i32_u32_e32 v28, v23
	s_delay_alu instid0(VALU_DEP_3) | instskip(NEXT) | instid1(VALU_DEP_2)
	v_sub_nc_u32_e32 v25, v25, v27
	v_min_u32_e32 v27, 32, v28
	s_delay_alu instid0(VALU_DEP_1) | instskip(NEXT) | instid1(VALU_DEP_3)
	v_add_lshl_u32 v26, v27, v26, 23
	v_or_b32_e32 v24, v24, v25
	v_not_b32_e32 v25, v27
	s_delay_alu instid0(VALU_DEP_2) | instskip(NEXT) | instid1(VALU_DEP_2)
	v_dual_mul_f32 v28, 0x3fc90fda, v24 :: v_dual_sub_nc_u32 v21, v21, v26
	v_alignbit_b32 v20, v23, v20, v25
	s_delay_alu instid0(VALU_DEP_2) | instskip(NEXT) | instid1(VALU_DEP_2)
	v_fma_f32 v23, 0x3fc90fda, v24, -v28
	v_lshrrev_b32_e32 v20, 9, v20
	s_delay_alu instid0(VALU_DEP_2) | instskip(NEXT) | instid1(VALU_DEP_2)
	v_fmac_f32_e32 v23, 0x33a22168, v24
	v_or_b32_e32 v20, v21, v20
	s_delay_alu instid0(VALU_DEP_1) | instskip(NEXT) | instid1(VALU_DEP_1)
	v_fmac_f32_e32 v23, 0x3fc90fda, v20
	v_add_f32_e32 v21, v28, v23
.LBB104_14:                             ;   in Loop: Header=BB104_4 Depth=1
	s_and_not1_saveexec_b32 s2, s23
; %bb.15:                               ;   in Loop: Header=BB104_4 Depth=1
	v_mul_f32_e64 v8, 0x3f22f983, |v4|
	s_delay_alu instid0(VALU_DEP_1) | instskip(NEXT) | instid1(VALU_DEP_1)
	v_rndne_f32_e32 v8, v8
	v_fma_f32 v21, 0xbfc90fda, v8, |v4|
	v_cvt_i32_f32_e32 v22, v8
	s_delay_alu instid0(VALU_DEP_2) | instskip(NEXT) | instid1(VALU_DEP_1)
	v_fmac_f32_e32 v21, 0xb3a22168, v8
	v_fmac_f32_e32 v21, 0xa7c234c4, v8
; %bb.16:                               ;   in Loop: Header=BB104_4 Depth=1
	s_or_b32 exec_lo, exec_lo, s2
	v_and_b32_e32 v20, 0x7fffffff, v5
                                        ; implicit-def: $vgpr23
                                        ; implicit-def: $vgpr8
	s_mov_b32 s3, exec_lo
	v_cmpx_ngt_f32_e64 0x48000000, |v5|
	s_xor_b32 s23, exec_lo, s3
	s_cbranch_execz .LBB104_18
; %bb.17:                               ;   in Loop: Header=BB104_4 Depth=1
	v_and_or_b32 v8, v20, s19, 0x800000
	v_dual_lshrrev_b32 v23, 23, v20 :: v_dual_mov_b32 v35, v9
	s_delay_alu instid0(VALU_DEP_2) | instskip(SKIP_1) | instid1(VALU_DEP_3)
	v_mul_u64_e32 v[24:25], s[14:15], v[8:9]
	v_mov_b32_e32 v27, v9
	v_add_nc_u32_e32 v23, 0xffffff88, v23
	s_delay_alu instid0(VALU_DEP_1) | instskip(NEXT) | instid1(VALU_DEP_4)
	v_cmp_lt_u32_e32 vcc_lo, 63, v23
	v_mov_b32_e32 v26, v25
	v_cndmask_b32_e64 v25, 0, 0xffffffc0, vcc_lo
	s_delay_alu instid0(VALU_DEP_2) | instskip(NEXT) | instid1(VALU_DEP_1)
	v_mad_nc_u64_u32 v[26:27], 0x3c439041, v8, v[26:27]
	v_dual_mov_b32 v29, v9 :: v_dual_mov_b32 v28, v27
	s_delay_alu instid0(VALU_DEP_1) | instskip(NEXT) | instid1(VALU_DEP_1)
	v_mad_nc_u64_u32 v[28:29], 0xdb629599, v8, v[28:29]
	v_dual_mov_b32 v31, v9 :: v_dual_mov_b32 v30, v29
	s_delay_alu instid0(VALU_DEP_2) | instskip(NEXT) | instid1(VALU_DEP_2)
	v_cndmask_b32_e32 v24, v28, v24, vcc_lo
	v_mad_nc_u64_u32 v[30:31], 0xf534ddc0, v8, v[30:31]
	s_delay_alu instid0(VALU_DEP_1) | instskip(NEXT) | instid1(VALU_DEP_1)
	v_dual_mov_b32 v33, v9 :: v_dual_mov_b32 v32, v31
	v_mad_nc_u64_u32 v[32:33], 0xfc2757d1, v8, v[32:33]
	s_delay_alu instid0(VALU_DEP_1) | instskip(NEXT) | instid1(VALU_DEP_1)
	v_dual_mov_b32 v34, v33 :: v_dual_cndmask_b32 v31, v32, v28
	v_mad_nc_u64_u32 v[34:35], 0x4e441529, v8, v[34:35]
	v_add_nc_u32_e32 v23, v25, v23
	s_delay_alu instid0(VALU_DEP_2) | instskip(NEXT) | instid1(VALU_DEP_2)
	v_dual_mov_b32 v37, v9 :: v_dual_mov_b32 v36, v35
	v_cmp_lt_u32_e64 s2, 31, v23
	s_delay_alu instid0(VALU_DEP_2) | instskip(NEXT) | instid1(VALU_DEP_2)
	v_mad_nc_u64_u32 v[36:37], 0xa2f9836e, v8, v[36:37]
	v_cndmask_b32_e64 v25, 0, 0xffffffe0, s2
	s_delay_alu instid0(VALU_DEP_1) | instskip(NEXT) | instid1(VALU_DEP_3)
	v_dual_cndmask_b32 v25, v34, v30 :: v_dual_add_nc_u32 v8, v25, v23
	v_cndmask_b32_e32 v27, v36, v32, vcc_lo
	s_delay_alu instid0(VALU_DEP_2) | instskip(SKIP_1) | instid1(VALU_DEP_2)
	v_cmp_lt_u32_e64 s3, 31, v8
	v_cndmask_b32_e32 v29, v37, v34, vcc_lo
	v_cndmask_b32_e64 v23, 0, 0xffffffe0, s3
	s_delay_alu instid0(VALU_DEP_1) | instskip(NEXT) | instid1(VALU_DEP_3)
	v_dual_cndmask_b32 v23, v30, v26 :: v_dual_add_nc_u32 v8, v23, v8
	v_dual_cndmask_b32 v26, v27, v25, s2 :: v_dual_cndmask_b32 v27, v29, v27, s2
	s_delay_alu instid0(VALU_DEP_2) | instskip(NEXT) | instid1(VALU_DEP_3)
	v_dual_cndmask_b32 v25, v25, v31, s2 :: v_dual_sub_nc_u32 v29, 32, v8
	v_cndmask_b32_e64 v30, v31, v23, s2
	v_cmp_eq_u32_e32 vcc_lo, 0, v8
	s_delay_alu instid0(VALU_DEP_3) | instskip(NEXT) | instid1(VALU_DEP_1)
	v_dual_cndmask_b32 v27, v27, v26, s3 :: v_dual_cndmask_b32 v26, v26, v25, s3
	v_alignbit_b32 v31, v27, v26, v29
	s_delay_alu instid0(VALU_DEP_1) | instskip(NEXT) | instid1(VALU_DEP_1)
	v_dual_cndmask_b32 v25, v25, v30, s3 :: v_dual_cndmask_b32 v8, v31, v27, vcc_lo
	v_alignbit_b32 v28, v26, v25, v29
	s_delay_alu instid0(VALU_DEP_1) | instskip(NEXT) | instid1(VALU_DEP_3)
	v_dual_cndmask_b32 v23, v23, v24, s2 :: v_dual_cndmask_b32 v24, v28, v26, vcc_lo
	v_bfe_u32 v26, v8, 29, 1
	s_delay_alu instid0(VALU_DEP_2) | instskip(NEXT) | instid1(VALU_DEP_3)
	v_cndmask_b32_e64 v23, v30, v23, s3
	v_alignbit_b32 v27, v8, v24, 30
	s_delay_alu instid0(VALU_DEP_3) | instskip(NEXT) | instid1(VALU_DEP_3)
	v_sub_nc_u32_e32 v28, 0, v26
	v_alignbit_b32 v29, v25, v23, v29
	s_delay_alu instid0(VALU_DEP_1) | instskip(NEXT) | instid1(VALU_DEP_1)
	v_dual_cndmask_b32 v25, v29, v25, vcc_lo :: v_dual_bitop2_b32 v27, v27, v28 bitop3:0x14
	v_clz_i32_u32_e32 v29, v27
	s_delay_alu instid0(VALU_DEP_2) | instskip(SKIP_1) | instid1(VALU_DEP_3)
	v_alignbit_b32 v24, v24, v25, 30
	v_alignbit_b32 v23, v25, v23, 30
	v_min_u32_e32 v29, 32, v29
	s_delay_alu instid0(VALU_DEP_3) | instskip(NEXT) | instid1(VALU_DEP_3)
	v_xor_b32_e32 v24, v24, v28
	v_xor_b32_e32 v23, v23, v28
	s_delay_alu instid0(VALU_DEP_3) | instskip(SKIP_1) | instid1(VALU_DEP_1)
	v_dual_lshrrev_b32 v28, 29, v8 :: v_dual_lshlrev_b32 v30, 23, v29
	v_sub_nc_u32_e32 v25, 31, v29
	v_alignbit_b32 v27, v27, v24, v25
	s_delay_alu instid0(VALU_DEP_4) | instskip(NEXT) | instid1(VALU_DEP_4)
	v_alignbit_b32 v23, v24, v23, v25
	v_lshlrev_b32_e32 v24, 31, v28
	s_delay_alu instid0(VALU_DEP_2) | instskip(NEXT) | instid1(VALU_DEP_2)
	v_alignbit_b32 v25, v27, v23, 9
	v_dual_lshrrev_b32 v27, 9, v27 :: v_dual_bitop2_b32 v28, 0.5, v24 bitop3:0x54
	v_or_b32_e32 v24, 0x33000000, v24
	s_delay_alu instid0(VALU_DEP_3) | instskip(NEXT) | instid1(VALU_DEP_3)
	v_clz_i32_u32_e32 v31, v25
	v_sub_nc_u32_e32 v28, v28, v30
	s_delay_alu instid0(VALU_DEP_2) | instskip(NEXT) | instid1(VALU_DEP_1)
	v_min_u32_e32 v30, 32, v31
	v_add_lshl_u32 v29, v30, v29, 23
	s_delay_alu instid0(VALU_DEP_3) | instskip(SKIP_1) | instid1(VALU_DEP_2)
	v_or_b32_e32 v27, v27, v28
	v_not_b32_e32 v28, v30
	v_dual_mul_f32 v31, 0x3fc90fda, v27 :: v_dual_sub_nc_u32 v24, v24, v29
	s_delay_alu instid0(VALU_DEP_2) | instskip(NEXT) | instid1(VALU_DEP_2)
	v_alignbit_b32 v23, v25, v23, v28
	v_fma_f32 v25, 0x3fc90fda, v27, -v31
	s_delay_alu instid0(VALU_DEP_2) | instskip(NEXT) | instid1(VALU_DEP_2)
	v_lshrrev_b32_e32 v23, 9, v23
	v_fmac_f32_e32 v25, 0x33a22168, v27
	s_delay_alu instid0(VALU_DEP_2) | instskip(NEXT) | instid1(VALU_DEP_1)
	v_or_b32_e32 v23, v24, v23
	v_fmac_f32_e32 v25, 0x3fc90fda, v23
	s_delay_alu instid0(VALU_DEP_1) | instskip(NEXT) | instid1(VALU_DEP_1)
	v_dual_add_f32 v8, v31, v25 :: v_dual_lshrrev_b32 v23, 30, v8
	v_add_nc_u32_e32 v23, v26, v23
.LBB104_18:                             ;   in Loop: Header=BB104_4 Depth=1
	s_and_not1_saveexec_b32 s2, s23
	s_cbranch_execz .LBB104_3
; %bb.19:                               ;   in Loop: Header=BB104_4 Depth=1
	v_mul_f32_e64 v8, 0x3f22f983, |v5|
	s_delay_alu instid0(VALU_DEP_1) | instskip(NEXT) | instid1(VALU_DEP_1)
	v_rndne_f32_e32 v23, v8
	v_fma_f32 v8, 0xbfc90fda, v23, |v5|
	s_delay_alu instid0(VALU_DEP_1) | instskip(NEXT) | instid1(VALU_DEP_1)
	v_fmac_f32_e32 v8, 0xb3a22168, v23
	v_fmac_f32_e32 v8, 0xa7c234c4, v23
	v_cvt_i32_f32_e32 v23, v23
	s_branch .LBB104_3
.LBB104_20:
	s_or_b32 exec_lo, exec_lo, s18
	s_mov_b32 s2, 0
.LBB104_21:
	s_delay_alu instid0(SALU_CYCLE_1)
	s_and_not1_b32 vcc_lo, exec_lo, s2
	s_cbranch_vccnz .LBB104_57
; %bb.22:
	v_cmp_lt_i64_e64 s2, s[10:11], 1
	s_and_b32 vcc_lo, exec_lo, s2
	s_cbranch_vccnz .LBB104_57
; %bb.23:
	s_load_b32 s0, s[0:1], 0xc5c
	v_min_i64 v[2:3], 0x10000, s[10:11]
	v_min_u64 v[6:7], 0x10000, s[10:11]
	v_dual_mov_b32 v5, 0 :: v_dual_lshlrev_b32 v4, 2, v0
	s_mov_b32 s13, 0
	s_mov_b32 s16, 0x7fffff
	;; [unrolled: 1-line block ×3, first 2 shown]
	s_delay_alu instid0(VALU_DEP_1)
	v_mov_b32_e32 v1, v5
	v_add_nc_u64_e32 v[8:9], s[4:5], v[4:5]
	v_add_nc_u64_e32 v[10:11], s[8:9], v[4:5]
	s_wait_xcnt 0x0
	s_mov_b32 s1, s13
	s_mov_b32 s3, s13
	;; [unrolled: 1-line block ×5, first 2 shown]
	s_wait_kmcnt 0x0
	s_and_b32 s12, s0, 0xffff
	s_delay_alu instid0(SALU_CYCLE_1)
	v_add_nc_u64_e32 v[12:13], s[12:13], v[0:1]
	v_mad_nc_u64_u32 v[24:25], s12, 12, v[4:5]
	s_lshl_b32 s14, s12, 3
	s_lshl_b32 s0, s12, 1
	v_add_nc_u64_e32 v[20:21], s[14:15], v[4:5]
	s_mul_i32 s2, s12, 3
	s_lshl_b32 s10, s12, 2
	v_lshlrev_b32_e32 v4, 2, v12
	v_add_nc_u64_e32 v[14:15], s[2:3], v[0:1]
	v_add_nc_u64_e32 v[16:17], s[0:1], v[0:1]
	s_lshl_b32 s12, s12, 4
	v_add_nc_u64_e32 v[18:19], s[4:5], v[20:21]
	v_add_nc_u64_e32 v[20:21], s[8:9], v[20:21]
	;; [unrolled: 1-line block ×6, first 2 shown]
	s_mov_b64 s[8:9], 0xfe5163ab
	s_mov_b64 s[14:15], 0
	s_branch .LBB104_25
.LBB104_24:                             ;   in Loop: Header=BB104_25 Depth=1
	s_wait_xcnt 0x0
	s_or_b32 exec_lo, exec_lo, s0
	s_add_nc_u64 s[14:15], s[14:15], s[10:11]
	v_add_nc_u64_e32 v[8:9], s[12:13], v[8:9]
	v_cmp_ge_i64_e32 vcc_lo, s[14:15], v[2:3]
	v_add_nc_u64_e32 v[10:11], s[12:13], v[10:11]
	v_add_nc_u64_e32 v[22:23], s[12:13], v[22:23]
	;; [unrolled: 1-line block ×7, first 2 shown]
	s_cbranch_vccnz .LBB104_57
.LBB104_25:                             ; =>This Inner Loop Header: Depth=1
	v_add_nc_u64_e32 v[30:31], s[14:15], v[0:1]
	v_mov_b32_e32 v33, 0
	s_delay_alu instid0(VALU_DEP_2)
	v_cmp_lt_u64_e64 s2, v[30:31], v[6:7]
	s_and_saveexec_b32 s0, s2
	s_cbranch_execz .LBB104_27
; %bb.26:                               ;   in Loop: Header=BB104_25 Depth=1
	v_add_nc_u64_e32 v[30:31], s[6:7], v[8:9]
	global_load_b32 v33, v[30:31], off
.LBB104_27:                             ;   in Loop: Header=BB104_25 Depth=1
	s_wait_xcnt 0x0
	s_or_b32 exec_lo, exec_lo, s0
	v_add_nc_u64_e32 v[30:31], s[14:15], v[12:13]
	v_mov_b32_e32 v32, 0
	s_delay_alu instid0(VALU_DEP_2)
	v_cmp_lt_u64_e64 s1, v[30:31], v[6:7]
	v_mov_b32_e32 v31, 0
	s_and_saveexec_b32 s0, s1
	s_cbranch_execz .LBB104_29
; %bb.28:                               ;   in Loop: Header=BB104_25 Depth=1
	v_add_nc_u64_e32 v[34:35], s[6:7], v[26:27]
	global_load_b32 v32, v[34:35], off
.LBB104_29:                             ;   in Loop: Header=BB104_25 Depth=1
	s_wait_xcnt 0x0
	s_or_b32 exec_lo, exec_lo, s0
	v_add_nc_u64_e32 v[34:35], s[14:15], v[16:17]
	s_delay_alu instid0(VALU_DEP_1)
	v_cmp_lt_u64_e64 s0, v[34:35], v[6:7]
	s_and_saveexec_b32 s3, s0
	s_cbranch_execz .LBB104_31
; %bb.30:                               ;   in Loop: Header=BB104_25 Depth=1
	v_add_nc_u64_e32 v[30:31], s[6:7], v[18:19]
	global_load_b32 v31, v[30:31], off
.LBB104_31:                             ;   in Loop: Header=BB104_25 Depth=1
	s_wait_xcnt 0x0
	s_or_b32 exec_lo, exec_lo, s3
	v_add_nc_u64_e32 v[34:35], s[14:15], v[14:15]
	v_mov_b32_e32 v30, 0
	s_delay_alu instid0(VALU_DEP_2)
	v_cmp_lt_u64_e32 vcc_lo, v[34:35], v[6:7]
	s_and_saveexec_b32 s3, vcc_lo
	s_cbranch_execz .LBB104_33
; %bb.32:                               ;   in Loop: Header=BB104_25 Depth=1
	v_add_nc_u64_e32 v[34:35], s[6:7], v[22:23]
	global_load_b32 v30, v[34:35], off
.LBB104_33:                             ;   in Loop: Header=BB104_25 Depth=1
	s_wait_xcnt 0x0
	s_or_b32 exec_lo, exec_lo, s3
	s_wait_loadcnt 0x0
	v_and_b32_e32 v34, 0x7fffffff, v33
                                        ; implicit-def: $vgpr37
                                        ; implicit-def: $vgpr35
	s_mov_b32 s4, exec_lo
	v_cmpx_ngt_f32_e64 0x48000000, |v33|
	s_xor_b32 s19, exec_lo, s4
	s_cbranch_execz .LBB104_35
; %bb.34:                               ;   in Loop: Header=BB104_25 Depth=1
	v_and_or_b32 v4, v34, s16, 0x800000
	v_dual_lshrrev_b32 v35, 23, v34 :: v_dual_mov_b32 v47, v5
	s_delay_alu instid0(VALU_DEP_2) | instskip(SKIP_1) | instid1(VALU_DEP_3)
	v_mul_u64_e32 v[36:37], s[8:9], v[4:5]
	v_mov_b32_e32 v39, v5
	v_add_nc_u32_e32 v35, 0xffffff88, v35
	s_delay_alu instid0(VALU_DEP_1) | instskip(NEXT) | instid1(VALU_DEP_4)
	v_cmp_lt_u32_e64 s3, 63, v35
	v_mov_b32_e32 v38, v37
	s_delay_alu instid0(VALU_DEP_2) | instskip(NEXT) | instid1(VALU_DEP_2)
	v_cndmask_b32_e64 v37, 0, 0xffffffc0, s3
	v_mad_nc_u64_u32 v[38:39], 0x3c439041, v4, v[38:39]
	s_delay_alu instid0(VALU_DEP_1) | instskip(NEXT) | instid1(VALU_DEP_1)
	v_dual_mov_b32 v41, v5 :: v_dual_mov_b32 v40, v39
	v_mad_nc_u64_u32 v[40:41], 0xdb629599, v4, v[40:41]
	s_delay_alu instid0(VALU_DEP_1) | instskip(NEXT) | instid1(VALU_DEP_2)
	v_dual_mov_b32 v43, v5 :: v_dual_mov_b32 v42, v41
	v_cndmask_b32_e64 v36, v40, v36, s3
	s_delay_alu instid0(VALU_DEP_2) | instskip(NEXT) | instid1(VALU_DEP_1)
	v_mad_nc_u64_u32 v[42:43], 0xf534ddc0, v4, v[42:43]
	v_dual_mov_b32 v45, v5 :: v_dual_mov_b32 v44, v43
	s_delay_alu instid0(VALU_DEP_1) | instskip(NEXT) | instid1(VALU_DEP_1)
	v_mad_nc_u64_u32 v[44:45], 0xfc2757d1, v4, v[44:45]
	v_dual_mov_b32 v46, v45 :: v_dual_cndmask_b32 v43, v44, v40, s3
	s_delay_alu instid0(VALU_DEP_1) | instskip(SKIP_1) | instid1(VALU_DEP_2)
	v_mad_nc_u64_u32 v[46:47], 0x4e441529, v4, v[46:47]
	v_add_nc_u32_e32 v35, v37, v35
	v_dual_mov_b32 v49, v5 :: v_dual_mov_b32 v48, v47
	s_delay_alu instid0(VALU_DEP_2) | instskip(NEXT) | instid1(VALU_DEP_2)
	v_cmp_lt_u32_e64 s4, 31, v35
	v_mad_nc_u64_u32 v[48:49], 0xa2f9836e, v4, v[48:49]
	s_delay_alu instid0(VALU_DEP_2) | instskip(NEXT) | instid1(VALU_DEP_1)
	v_cndmask_b32_e64 v37, 0, 0xffffffe0, s4
	v_dual_add_nc_u32 v4, v37, v35 :: v_dual_cndmask_b32 v37, v46, v42, s3
	s_delay_alu instid0(VALU_DEP_3) | instskip(NEXT) | instid1(VALU_DEP_2)
	v_cndmask_b32_e64 v39, v48, v44, s3
	v_cmp_lt_u32_e64 s5, 31, v4
	v_cndmask_b32_e64 v41, v49, v46, s3
	s_delay_alu instid0(VALU_DEP_2) | instskip(NEXT) | instid1(VALU_DEP_1)
	v_cndmask_b32_e64 v35, 0, 0xffffffe0, s5
	v_dual_add_nc_u32 v4, v35, v4 :: v_dual_cndmask_b32 v35, v42, v38, s3
	s_delay_alu instid0(VALU_DEP_3) | instskip(NEXT) | instid1(VALU_DEP_2)
	v_dual_cndmask_b32 v38, v39, v37, s4 :: v_dual_cndmask_b32 v39, v41, v39, s4
	v_dual_cndmask_b32 v37, v37, v43, s4 :: v_dual_sub_nc_u32 v41, 32, v4
	s_delay_alu instid0(VALU_DEP_3) | instskip(SKIP_1) | instid1(VALU_DEP_3)
	v_cndmask_b32_e64 v42, v43, v35, s4
	v_cmp_eq_u32_e64 s3, 0, v4
	v_dual_cndmask_b32 v39, v39, v38, s5 :: v_dual_cndmask_b32 v38, v38, v37, s5
	s_delay_alu instid0(VALU_DEP_1) | instskip(NEXT) | instid1(VALU_DEP_1)
	v_alignbit_b32 v43, v39, v38, v41
	v_dual_cndmask_b32 v37, v37, v42, s5 :: v_dual_cndmask_b32 v4, v43, v39, s3
	s_delay_alu instid0(VALU_DEP_1) | instskip(NEXT) | instid1(VALU_DEP_1)
	v_alignbit_b32 v40, v38, v37, v41
	v_dual_cndmask_b32 v35, v35, v36, s4 :: v_dual_cndmask_b32 v36, v40, v38, s3
	s_delay_alu instid0(VALU_DEP_3) | instskip(NEXT) | instid1(VALU_DEP_2)
	v_bfe_u32 v38, v4, 29, 1
	v_cndmask_b32_e64 v35, v42, v35, s5
	s_delay_alu instid0(VALU_DEP_3) | instskip(NEXT) | instid1(VALU_DEP_3)
	v_alignbit_b32 v39, v4, v36, 30
	v_sub_nc_u32_e32 v40, 0, v38
	s_delay_alu instid0(VALU_DEP_3) | instskip(NEXT) | instid1(VALU_DEP_1)
	v_alignbit_b32 v41, v37, v35, v41
	v_dual_cndmask_b32 v37, v41, v37, s3 :: v_dual_bitop2_b32 v39, v39, v40 bitop3:0x14
	s_delay_alu instid0(VALU_DEP_1) | instskip(NEXT) | instid1(VALU_DEP_2)
	v_clz_i32_u32_e32 v41, v39
	v_alignbit_b32 v36, v36, v37, 30
	v_alignbit_b32 v35, v37, v35, 30
	s_delay_alu instid0(VALU_DEP_3) | instskip(NEXT) | instid1(VALU_DEP_3)
	v_min_u32_e32 v41, 32, v41
	v_xor_b32_e32 v36, v36, v40
	s_delay_alu instid0(VALU_DEP_3) | instskip(SKIP_1) | instid1(VALU_DEP_4)
	v_xor_b32_e32 v35, v35, v40
	v_dual_lshrrev_b32 v40, 29, v4 :: v_dual_lshrrev_b32 v4, 30, v4
	v_dual_sub_nc_u32 v37, 31, v41 :: v_dual_lshlrev_b32 v42, 23, v41
	s_delay_alu instid0(VALU_DEP_1) | instskip(NEXT) | instid1(VALU_DEP_4)
	v_alignbit_b32 v39, v39, v36, v37
	v_alignbit_b32 v35, v36, v35, v37
	s_delay_alu instid0(VALU_DEP_4) | instskip(NEXT) | instid1(VALU_DEP_2)
	v_lshlrev_b32_e32 v36, 31, v40
	v_alignbit_b32 v37, v39, v35, 9
	s_delay_alu instid0(VALU_DEP_2) | instskip(SKIP_1) | instid1(VALU_DEP_3)
	v_dual_lshrrev_b32 v39, 9, v39 :: v_dual_bitop2_b32 v40, 0.5, v36 bitop3:0x54
	v_or_b32_e32 v36, 0x33000000, v36
	v_clz_i32_u32_e32 v43, v37
	s_delay_alu instid0(VALU_DEP_3) | instskip(NEXT) | instid1(VALU_DEP_2)
	v_sub_nc_u32_e32 v40, v40, v42
	v_min_u32_e32 v42, 32, v43
	s_delay_alu instid0(VALU_DEP_1) | instskip(NEXT) | instid1(VALU_DEP_3)
	v_add_lshl_u32 v41, v42, v41, 23
	v_or_b32_e32 v39, v39, v40
	v_not_b32_e32 v40, v42
	s_delay_alu instid0(VALU_DEP_2) | instskip(NEXT) | instid1(VALU_DEP_2)
	v_dual_mul_f32 v43, 0x3fc90fda, v39 :: v_dual_sub_nc_u32 v36, v36, v41
	v_alignbit_b32 v35, v37, v35, v40
	s_delay_alu instid0(VALU_DEP_2) | instskip(NEXT) | instid1(VALU_DEP_2)
	v_fma_f32 v37, 0x3fc90fda, v39, -v43
	v_lshrrev_b32_e32 v35, 9, v35
	s_delay_alu instid0(VALU_DEP_2) | instskip(NEXT) | instid1(VALU_DEP_2)
	v_fmac_f32_e32 v37, 0x33a22168, v39
	v_or_b32_e32 v35, v36, v35
	s_delay_alu instid0(VALU_DEP_1) | instskip(NEXT) | instid1(VALU_DEP_1)
	v_fmac_f32_e32 v37, 0x3fc90fda, v35
	v_dual_add_f32 v35, v43, v37 :: v_dual_add_nc_u32 v37, v38, v4
.LBB104_35:                             ;   in Loop: Header=BB104_25 Depth=1
	s_and_not1_saveexec_b32 s3, s19
; %bb.36:                               ;   in Loop: Header=BB104_25 Depth=1
	v_mul_f32_e64 v4, 0x3f22f983, |v33|
	s_delay_alu instid0(VALU_DEP_1) | instskip(NEXT) | instid1(VALU_DEP_1)
	v_rndne_f32_e32 v4, v4
	v_fma_f32 v35, 0xbfc90fda, v4, |v33|
	v_cvt_i32_f32_e32 v37, v4
	s_delay_alu instid0(VALU_DEP_2) | instskip(NEXT) | instid1(VALU_DEP_1)
	v_fmac_f32_e32 v35, 0xb3a22168, v4
	v_fmac_f32_e32 v35, 0xa7c234c4, v4
; %bb.37:                               ;   in Loop: Header=BB104_25 Depth=1
	s_or_b32 exec_lo, exec_lo, s3
	v_and_b32_e32 v36, 0x7fffffff, v32
                                        ; implicit-def: $vgpr40
                                        ; implicit-def: $vgpr38
	s_mov_b32 s4, exec_lo
	v_cmpx_ngt_f32_e64 0x48000000, |v32|
	s_xor_b32 s19, exec_lo, s4
	s_cbranch_execz .LBB104_39
; %bb.38:                               ;   in Loop: Header=BB104_25 Depth=1
	v_and_or_b32 v4, v36, s16, 0x800000
	v_mov_b32_e32 v49, v5
	s_delay_alu instid0(VALU_DEP_2) | instskip(NEXT) | instid1(VALU_DEP_1)
	v_mul_u64_e32 v[38:39], s[8:9], v[4:5]
	v_dual_mov_b32 v41, v5 :: v_dual_mov_b32 v40, v39
	v_lshrrev_b32_e32 v39, 23, v36
	s_delay_alu instid0(VALU_DEP_2) | instskip(SKIP_1) | instid1(VALU_DEP_3)
	v_mad_nc_u64_u32 v[40:41], 0x3c439041, v4, v[40:41]
	v_mov_b32_e32 v43, v5
	v_add_nc_u32_e32 v39, 0xffffff88, v39
	s_delay_alu instid0(VALU_DEP_1) | instskip(NEXT) | instid1(VALU_DEP_4)
	v_cmp_lt_u32_e64 s3, 63, v39
	v_mov_b32_e32 v42, v41
	s_delay_alu instid0(VALU_DEP_2) | instskip(NEXT) | instid1(VALU_DEP_2)
	v_cndmask_b32_e64 v41, 0, 0xffffffc0, s3
	v_mad_nc_u64_u32 v[42:43], 0xdb629599, v4, v[42:43]
	s_delay_alu instid0(VALU_DEP_1) | instskip(NEXT) | instid1(VALU_DEP_2)
	v_dual_mov_b32 v45, v5 :: v_dual_mov_b32 v44, v43
	v_cndmask_b32_e64 v38, v42, v38, s3
	s_delay_alu instid0(VALU_DEP_2) | instskip(NEXT) | instid1(VALU_DEP_1)
	v_mad_nc_u64_u32 v[44:45], 0xf534ddc0, v4, v[44:45]
	v_dual_mov_b32 v47, v5 :: v_dual_mov_b32 v46, v45
	s_delay_alu instid0(VALU_DEP_1) | instskip(NEXT) | instid1(VALU_DEP_1)
	v_mad_nc_u64_u32 v[46:47], 0xfc2757d1, v4, v[46:47]
	v_mov_b32_e32 v48, v47
	s_delay_alu instid0(VALU_DEP_1) | instskip(SKIP_2) | instid1(VALU_DEP_2)
	v_mad_nc_u64_u32 v[48:49], 0x4e441529, v4, v[48:49]
	v_add_nc_u32_e32 v39, v41, v39
	v_mov_b32_e32 v51, v5
	v_cmp_lt_u32_e64 s4, 31, v39
	s_delay_alu instid0(VALU_DEP_4) | instskip(NEXT) | instid1(VALU_DEP_2)
	v_mov_b32_e32 v50, v49
	v_cndmask_b32_e64 v41, 0, 0xffffffe0, s4
	s_delay_alu instid0(VALU_DEP_2) | instskip(NEXT) | instid1(VALU_DEP_2)
	v_mad_nc_u64_u32 v[50:51], 0xa2f9836e, v4, v[50:51]
	v_dual_add_nc_u32 v4, v41, v39 :: v_dual_cndmask_b32 v41, v48, v44, s3
	s_delay_alu instid0(VALU_DEP_2) | instskip(NEXT) | instid1(VALU_DEP_2)
	v_cndmask_b32_e64 v43, v50, v46, s3
	v_cmp_lt_u32_e64 s5, 31, v4
	s_delay_alu instid0(VALU_DEP_4) | instskip(NEXT) | instid1(VALU_DEP_2)
	v_dual_cndmask_b32 v45, v51, v48, s3 :: v_dual_cndmask_b32 v46, v46, v42, s3
	v_cndmask_b32_e64 v39, 0, 0xffffffe0, s5
	s_delay_alu instid0(VALU_DEP_1) | instskip(SKIP_1) | instid1(VALU_DEP_4)
	v_add_nc_u32_e32 v4, v39, v4
	v_dual_cndmask_b32 v39, v44, v40, s3 :: v_dual_cndmask_b32 v40, v43, v41, s4
	v_cndmask_b32_e64 v43, v45, v43, s4
	s_delay_alu instid0(VALU_DEP_3) | instskip(NEXT) | instid1(VALU_DEP_3)
	v_dual_cndmask_b32 v41, v41, v46, s4 :: v_dual_sub_nc_u32 v44, 32, v4
	v_cndmask_b32_e64 v45, v46, v39, s4
	v_cmp_eq_u32_e64 s3, 0, v4
	s_delay_alu instid0(VALU_DEP_3) | instskip(NEXT) | instid1(VALU_DEP_1)
	v_dual_cndmask_b32 v43, v43, v40, s5 :: v_dual_cndmask_b32 v40, v40, v41, s5
	v_alignbit_b32 v46, v43, v40, v44
	s_delay_alu instid0(VALU_DEP_1) | instskip(NEXT) | instid1(VALU_DEP_1)
	v_dual_cndmask_b32 v41, v41, v45, s5 :: v_dual_cndmask_b32 v4, v46, v43, s3
	v_alignbit_b32 v42, v40, v41, v44
	s_delay_alu instid0(VALU_DEP_1) | instskip(NEXT) | instid1(VALU_DEP_3)
	v_dual_cndmask_b32 v38, v39, v38, s4 :: v_dual_cndmask_b32 v39, v42, v40, s3
	v_bfe_u32 v40, v4, 29, 1
	s_delay_alu instid0(VALU_DEP_2) | instskip(NEXT) | instid1(VALU_DEP_3)
	v_cndmask_b32_e64 v38, v45, v38, s5
	v_alignbit_b32 v42, v4, v39, 30
	s_delay_alu instid0(VALU_DEP_3) | instskip(NEXT) | instid1(VALU_DEP_3)
	v_sub_nc_u32_e32 v43, 0, v40
	v_alignbit_b32 v44, v41, v38, v44
	s_delay_alu instid0(VALU_DEP_1) | instskip(NEXT) | instid1(VALU_DEP_1)
	v_dual_cndmask_b32 v41, v44, v41, s3 :: v_dual_bitop2_b32 v42, v42, v43 bitop3:0x14
	v_clz_i32_u32_e32 v44, v42
	s_delay_alu instid0(VALU_DEP_2) | instskip(SKIP_1) | instid1(VALU_DEP_3)
	v_alignbit_b32 v39, v39, v41, 30
	v_alignbit_b32 v38, v41, v38, 30
	v_min_u32_e32 v44, 32, v44
	s_delay_alu instid0(VALU_DEP_3) | instskip(NEXT) | instid1(VALU_DEP_3)
	v_xor_b32_e32 v39, v39, v43
	v_dual_lshrrev_b32 v43, 29, v4 :: v_dual_bitop2_b32 v38, v38, v43 bitop3:0x14
	v_lshrrev_b32_e32 v4, 30, v4
	s_delay_alu instid0(VALU_DEP_4) | instskip(NEXT) | instid1(VALU_DEP_2)
	v_dual_sub_nc_u32 v41, 31, v44 :: v_dual_lshlrev_b32 v45, 23, v44
	v_add_nc_u32_e32 v40, v40, v4
	s_delay_alu instid0(VALU_DEP_2) | instskip(SKIP_2) | instid1(VALU_DEP_2)
	v_alignbit_b32 v42, v42, v39, v41
	v_alignbit_b32 v38, v39, v38, v41
	v_lshlrev_b32_e32 v39, 31, v43
	v_alignbit_b32 v41, v42, v38, 9
	s_delay_alu instid0(VALU_DEP_2) | instskip(SKIP_1) | instid1(VALU_DEP_3)
	v_dual_lshrrev_b32 v42, 9, v42 :: v_dual_bitop2_b32 v43, 0.5, v39 bitop3:0x54
	v_or_b32_e32 v39, 0x33000000, v39
	v_clz_i32_u32_e32 v46, v41
	s_delay_alu instid0(VALU_DEP_3) | instskip(NEXT) | instid1(VALU_DEP_2)
	v_sub_nc_u32_e32 v43, v43, v45
	v_min_u32_e32 v45, 32, v46
	s_delay_alu instid0(VALU_DEP_1) | instskip(NEXT) | instid1(VALU_DEP_3)
	v_add_lshl_u32 v44, v45, v44, 23
	v_or_b32_e32 v42, v42, v43
	v_not_b32_e32 v43, v45
	s_delay_alu instid0(VALU_DEP_2) | instskip(NEXT) | instid1(VALU_DEP_2)
	v_dual_mul_f32 v46, 0x3fc90fda, v42 :: v_dual_sub_nc_u32 v39, v39, v44
	v_alignbit_b32 v38, v41, v38, v43
	s_delay_alu instid0(VALU_DEP_2) | instskip(NEXT) | instid1(VALU_DEP_2)
	v_fma_f32 v41, 0x3fc90fda, v42, -v46
	v_lshrrev_b32_e32 v38, 9, v38
	s_delay_alu instid0(VALU_DEP_2) | instskip(NEXT) | instid1(VALU_DEP_2)
	v_fmac_f32_e32 v41, 0x33a22168, v42
	v_or_b32_e32 v38, v39, v38
	s_delay_alu instid0(VALU_DEP_1) | instskip(NEXT) | instid1(VALU_DEP_1)
	v_fmac_f32_e32 v41, 0x3fc90fda, v38
	v_add_f32_e32 v38, v46, v41
.LBB104_39:                             ;   in Loop: Header=BB104_25 Depth=1
	s_and_not1_saveexec_b32 s3, s19
; %bb.40:                               ;   in Loop: Header=BB104_25 Depth=1
	v_mul_f32_e64 v4, 0x3f22f983, |v32|
	s_delay_alu instid0(VALU_DEP_1) | instskip(NEXT) | instid1(VALU_DEP_1)
	v_rndne_f32_e32 v4, v4
	v_fma_f32 v38, 0xbfc90fda, v4, |v32|
	v_cvt_i32_f32_e32 v40, v4
	s_delay_alu instid0(VALU_DEP_2) | instskip(NEXT) | instid1(VALU_DEP_1)
	v_fmac_f32_e32 v38, 0xb3a22168, v4
	v_fmac_f32_e32 v38, 0xa7c234c4, v4
; %bb.41:                               ;   in Loop: Header=BB104_25 Depth=1
	s_or_b32 exec_lo, exec_lo, s3
	v_and_b32_e32 v39, 0x7fffffff, v31
                                        ; implicit-def: $vgpr43
                                        ; implicit-def: $vgpr41
	s_mov_b32 s4, exec_lo
	v_cmpx_ngt_f32_e64 0x48000000, |v31|
	s_xor_b32 s19, exec_lo, s4
	s_cbranch_execz .LBB104_43
; %bb.42:                               ;   in Loop: Header=BB104_25 Depth=1
	v_and_or_b32 v4, v39, s16, 0x800000
	v_dual_lshrrev_b32 v41, 23, v39 :: v_dual_mov_b32 v53, v5
	v_mov_b32_e32 v55, v5
	s_delay_alu instid0(VALU_DEP_3) | instskip(SKIP_1) | instid1(VALU_DEP_4)
	v_mul_u64_e32 v[42:43], s[8:9], v[4:5]
	v_mov_b32_e32 v45, v5
	v_add_nc_u32_e32 v41, 0xffffff88, v41
	s_delay_alu instid0(VALU_DEP_1) | instskip(NEXT) | instid1(VALU_DEP_4)
	v_cmp_lt_u32_e64 s3, 63, v41
	v_mov_b32_e32 v44, v43
	s_delay_alu instid0(VALU_DEP_2) | instskip(NEXT) | instid1(VALU_DEP_2)
	v_cndmask_b32_e64 v43, 0, 0xffffffc0, s3
	v_mad_nc_u64_u32 v[44:45], 0x3c439041, v4, v[44:45]
	s_delay_alu instid0(VALU_DEP_2) | instskip(NEXT) | instid1(VALU_DEP_1)
	v_dual_mov_b32 v47, v5 :: v_dual_add_nc_u32 v41, v43, v41
	v_cmp_lt_u32_e64 s4, 31, v41
	s_delay_alu instid0(VALU_DEP_3) | instskip(NEXT) | instid1(VALU_DEP_2)
	v_mov_b32_e32 v46, v45
	v_cndmask_b32_e64 v43, 0, 0xffffffe0, s4
	s_delay_alu instid0(VALU_DEP_2) | instskip(NEXT) | instid1(VALU_DEP_1)
	v_mad_nc_u64_u32 v[46:47], 0xdb629599, v4, v[46:47]
	v_dual_mov_b32 v49, v5 :: v_dual_mov_b32 v48, v47
	s_delay_alu instid0(VALU_DEP_2) | instskip(NEXT) | instid1(VALU_DEP_2)
	v_cndmask_b32_e64 v42, v46, v42, s3
	v_mad_nc_u64_u32 v[48:49], 0xf534ddc0, v4, v[48:49]
	s_delay_alu instid0(VALU_DEP_1) | instskip(NEXT) | instid1(VALU_DEP_1)
	v_dual_mov_b32 v51, v5 :: v_dual_mov_b32 v50, v49
	v_mad_nc_u64_u32 v[50:51], 0xfc2757d1, v4, v[50:51]
	s_delay_alu instid0(VALU_DEP_1) | instskip(NEXT) | instid1(VALU_DEP_1)
	v_dual_mov_b32 v52, v51 :: v_dual_cndmask_b32 v49, v50, v46, s3
	v_mad_nc_u64_u32 v[52:53], 0x4e441529, v4, v[52:53]
	s_delay_alu instid0(VALU_DEP_1) | instskip(NEXT) | instid1(VALU_DEP_1)
	v_mov_b32_e32 v54, v53
	v_mad_nc_u64_u32 v[54:55], 0xa2f9836e, v4, v[54:55]
	s_delay_alu instid0(VALU_DEP_3) | instskip(NEXT) | instid1(VALU_DEP_1)
	v_dual_add_nc_u32 v4, v43, v41 :: v_dual_cndmask_b32 v43, v52, v48, s3
	v_cmp_lt_u32_e64 s5, 31, v4
	s_delay_alu instid0(VALU_DEP_1) | instskip(NEXT) | instid1(VALU_DEP_4)
	v_cndmask_b32_e64 v41, 0, 0xffffffe0, s5
	v_dual_cndmask_b32 v45, v54, v50, s3 :: v_dual_cndmask_b32 v47, v55, v52, s3
	s_delay_alu instid0(VALU_DEP_2) | instskip(NEXT) | instid1(VALU_DEP_2)
	v_add_nc_u32_e32 v4, v41, v4
	v_dual_cndmask_b32 v41, v48, v44, s3 :: v_dual_cndmask_b32 v44, v45, v43, s4
	s_delay_alu instid0(VALU_DEP_3) | instskip(NEXT) | instid1(VALU_DEP_3)
	v_cndmask_b32_e64 v45, v47, v45, s4
	v_dual_cndmask_b32 v43, v43, v49, s4 :: v_dual_sub_nc_u32 v47, 32, v4
	s_delay_alu instid0(VALU_DEP_3) | instskip(SKIP_1) | instid1(VALU_DEP_3)
	v_cndmask_b32_e64 v48, v49, v41, s4
	v_cmp_eq_u32_e64 s3, 0, v4
	v_dual_cndmask_b32 v45, v45, v44, s5 :: v_dual_cndmask_b32 v44, v44, v43, s5
	s_delay_alu instid0(VALU_DEP_1) | instskip(NEXT) | instid1(VALU_DEP_1)
	v_alignbit_b32 v49, v45, v44, v47
	v_dual_cndmask_b32 v43, v43, v48, s5 :: v_dual_cndmask_b32 v4, v49, v45, s3
	s_delay_alu instid0(VALU_DEP_1) | instskip(NEXT) | instid1(VALU_DEP_1)
	v_alignbit_b32 v46, v44, v43, v47
	v_dual_cndmask_b32 v41, v41, v42, s4 :: v_dual_cndmask_b32 v42, v46, v44, s3
	s_delay_alu instid0(VALU_DEP_3) | instskip(NEXT) | instid1(VALU_DEP_2)
	v_bfe_u32 v44, v4, 29, 1
	v_cndmask_b32_e64 v41, v48, v41, s5
	s_delay_alu instid0(VALU_DEP_3) | instskip(NEXT) | instid1(VALU_DEP_3)
	v_alignbit_b32 v45, v4, v42, 30
	v_sub_nc_u32_e32 v46, 0, v44
	s_delay_alu instid0(VALU_DEP_3) | instskip(NEXT) | instid1(VALU_DEP_1)
	v_alignbit_b32 v47, v43, v41, v47
	v_dual_cndmask_b32 v43, v47, v43, s3 :: v_dual_bitop2_b32 v45, v45, v46 bitop3:0x14
	s_delay_alu instid0(VALU_DEP_1) | instskip(NEXT) | instid1(VALU_DEP_2)
	v_clz_i32_u32_e32 v47, v45
	v_alignbit_b32 v42, v42, v43, 30
	v_alignbit_b32 v41, v43, v41, 30
	s_delay_alu instid0(VALU_DEP_3) | instskip(NEXT) | instid1(VALU_DEP_3)
	v_min_u32_e32 v47, 32, v47
	v_xor_b32_e32 v42, v42, v46
	s_delay_alu instid0(VALU_DEP_3) | instskip(NEXT) | instid1(VALU_DEP_3)
	v_dual_lshrrev_b32 v46, 29, v4 :: v_dual_bitop2_b32 v41, v41, v46 bitop3:0x14
	v_dual_lshrrev_b32 v4, 30, v4 :: v_dual_sub_nc_u32 v43, 31, v47
	v_lshlrev_b32_e32 v48, 23, v47
	s_delay_alu instid0(VALU_DEP_2) | instskip(NEXT) | instid1(VALU_DEP_4)
	v_alignbit_b32 v45, v45, v42, v43
	v_alignbit_b32 v41, v42, v41, v43
	v_lshlrev_b32_e32 v42, 31, v46
	s_delay_alu instid0(VALU_DEP_2) | instskip(NEXT) | instid1(VALU_DEP_2)
	v_alignbit_b32 v43, v45, v41, 9
	v_dual_lshrrev_b32 v45, 9, v45 :: v_dual_bitop2_b32 v46, 0.5, v42 bitop3:0x54
	v_or_b32_e32 v42, 0x33000000, v42
	s_delay_alu instid0(VALU_DEP_3) | instskip(NEXT) | instid1(VALU_DEP_3)
	v_clz_i32_u32_e32 v49, v43
	v_sub_nc_u32_e32 v46, v46, v48
	s_delay_alu instid0(VALU_DEP_2) | instskip(NEXT) | instid1(VALU_DEP_1)
	v_min_u32_e32 v48, 32, v49
	v_add_lshl_u32 v47, v48, v47, 23
	s_delay_alu instid0(VALU_DEP_3) | instskip(SKIP_1) | instid1(VALU_DEP_2)
	v_or_b32_e32 v45, v45, v46
	v_not_b32_e32 v46, v48
	v_dual_mul_f32 v49, 0x3fc90fda, v45 :: v_dual_sub_nc_u32 v42, v42, v47
	s_delay_alu instid0(VALU_DEP_2) | instskip(NEXT) | instid1(VALU_DEP_2)
	v_alignbit_b32 v41, v43, v41, v46
	v_fma_f32 v43, 0x3fc90fda, v45, -v49
	s_delay_alu instid0(VALU_DEP_2) | instskip(NEXT) | instid1(VALU_DEP_2)
	v_lshrrev_b32_e32 v41, 9, v41
	v_fmac_f32_e32 v43, 0x33a22168, v45
	s_delay_alu instid0(VALU_DEP_2) | instskip(NEXT) | instid1(VALU_DEP_1)
	v_or_b32_e32 v41, v42, v41
	v_fmac_f32_e32 v43, 0x3fc90fda, v41
	s_delay_alu instid0(VALU_DEP_1)
	v_dual_add_f32 v41, v49, v43 :: v_dual_add_nc_u32 v43, v44, v4
.LBB104_43:                             ;   in Loop: Header=BB104_25 Depth=1
	s_and_not1_saveexec_b32 s3, s19
; %bb.44:                               ;   in Loop: Header=BB104_25 Depth=1
	v_mul_f32_e64 v4, 0x3f22f983, |v31|
	s_delay_alu instid0(VALU_DEP_1) | instskip(NEXT) | instid1(VALU_DEP_1)
	v_rndne_f32_e32 v4, v4
	v_fma_f32 v41, 0xbfc90fda, v4, |v31|
	v_cvt_i32_f32_e32 v43, v4
	s_delay_alu instid0(VALU_DEP_2) | instskip(NEXT) | instid1(VALU_DEP_1)
	v_fmac_f32_e32 v41, 0xb3a22168, v4
	v_fmac_f32_e32 v41, 0xa7c234c4, v4
; %bb.45:                               ;   in Loop: Header=BB104_25 Depth=1
	s_or_b32 exec_lo, exec_lo, s3
	v_and_b32_e32 v42, 0x7fffffff, v30
                                        ; implicit-def: $vgpr44
                                        ; implicit-def: $vgpr4
	s_mov_b32 s4, exec_lo
	v_cmpx_ngt_f32_e64 0x48000000, |v30|
	s_xor_b32 s19, exec_lo, s4
	s_cbranch_execnz .LBB104_51
; %bb.46:                               ;   in Loop: Header=BB104_25 Depth=1
	s_and_not1_saveexec_b32 s3, s19
	s_cbranch_execnz .LBB104_52
.LBB104_47:                             ;   in Loop: Header=BB104_25 Depth=1
	s_or_b32 exec_lo, exec_lo, s3
	s_and_saveexec_b32 s3, s2
	s_delay_alu instid0(SALU_CYCLE_1)
	s_xor_b32 s3, exec_lo, s3
	s_cbranch_execnz .LBB104_53
.LBB104_48:                             ;   in Loop: Header=BB104_25 Depth=1
	s_or_b32 exec_lo, exec_lo, s3
	s_and_saveexec_b32 s2, s1
	s_cbranch_execnz .LBB104_54
.LBB104_49:                             ;   in Loop: Header=BB104_25 Depth=1
	s_or_b32 exec_lo, exec_lo, s2
	s_and_saveexec_b32 s1, s0
	s_cbranch_execnz .LBB104_55
.LBB104_50:                             ;   in Loop: Header=BB104_25 Depth=1
	s_or_b32 exec_lo, exec_lo, s1
	s_and_saveexec_b32 s0, vcc_lo
	s_cbranch_execz .LBB104_24
	s_branch .LBB104_56
.LBB104_51:                             ;   in Loop: Header=BB104_25 Depth=1
	v_and_or_b32 v4, v42, s16, 0x800000
	v_dual_mov_b32 v55, v5 :: v_dual_mov_b32 v57, v5
	s_delay_alu instid0(VALU_DEP_2) | instskip(NEXT) | instid1(VALU_DEP_1)
	v_mul_u64_e32 v[44:45], s[8:9], v[4:5]
	v_dual_mov_b32 v47, v5 :: v_dual_mov_b32 v46, v45
	v_lshrrev_b32_e32 v45, 23, v42
	s_delay_alu instid0(VALU_DEP_2) | instskip(SKIP_1) | instid1(VALU_DEP_3)
	v_mad_nc_u64_u32 v[46:47], 0x3c439041, v4, v[46:47]
	v_mov_b32_e32 v49, v5
	v_add_nc_u32_e32 v45, 0xffffff88, v45
	s_delay_alu instid0(VALU_DEP_1) | instskip(NEXT) | instid1(VALU_DEP_4)
	v_cmp_lt_u32_e64 s3, 63, v45
	v_mov_b32_e32 v48, v47
	s_delay_alu instid0(VALU_DEP_2) | instskip(NEXT) | instid1(VALU_DEP_2)
	v_cndmask_b32_e64 v47, 0, 0xffffffc0, s3
	v_mad_nc_u64_u32 v[48:49], 0xdb629599, v4, v[48:49]
	s_delay_alu instid0(VALU_DEP_2) | instskip(NEXT) | instid1(VALU_DEP_1)
	v_dual_mov_b32 v51, v5 :: v_dual_add_nc_u32 v45, v47, v45
	v_cmp_lt_u32_e64 s4, 31, v45
	s_delay_alu instid0(VALU_DEP_3) | instskip(NEXT) | instid1(VALU_DEP_2)
	v_mov_b32_e32 v50, v49
	v_cndmask_b32_e64 v47, 0, 0xffffffe0, s4
	v_cndmask_b32_e64 v44, v48, v44, s3
	s_delay_alu instid0(VALU_DEP_3) | instskip(NEXT) | instid1(VALU_DEP_1)
	v_mad_nc_u64_u32 v[50:51], 0xf534ddc0, v4, v[50:51]
	v_dual_mov_b32 v53, v5 :: v_dual_mov_b32 v52, v51
	s_delay_alu instid0(VALU_DEP_1) | instskip(NEXT) | instid1(VALU_DEP_1)
	v_mad_nc_u64_u32 v[52:53], 0xfc2757d1, v4, v[52:53]
	v_mov_b32_e32 v54, v53
	s_delay_alu instid0(VALU_DEP_1) | instskip(NEXT) | instid1(VALU_DEP_1)
	v_mad_nc_u64_u32 v[54:55], 0x4e441529, v4, v[54:55]
	v_mov_b32_e32 v56, v55
	s_delay_alu instid0(VALU_DEP_1) | instskip(NEXT) | instid1(VALU_DEP_3)
	v_mad_nc_u64_u32 v[56:57], 0xa2f9836e, v4, v[56:57]
	v_dual_add_nc_u32 v4, v47, v45 :: v_dual_cndmask_b32 v47, v54, v50, s3
	s_delay_alu instid0(VALU_DEP_2) | instskip(NEXT) | instid1(VALU_DEP_2)
	v_cndmask_b32_e64 v49, v56, v52, s3
	v_cmp_lt_u32_e64 s5, 31, v4
	s_delay_alu instid0(VALU_DEP_4) | instskip(NEXT) | instid1(VALU_DEP_2)
	v_dual_cndmask_b32 v51, v57, v54, s3 :: v_dual_cndmask_b32 v52, v52, v48, s3
	v_cndmask_b32_e64 v45, 0, 0xffffffe0, s5
	s_delay_alu instid0(VALU_DEP_1) | instskip(NEXT) | instid1(VALU_DEP_3)
	v_dual_add_nc_u32 v4, v45, v4 :: v_dual_cndmask_b32 v45, v50, v46, s3
	v_dual_cndmask_b32 v46, v49, v47, s4 :: v_dual_cndmask_b32 v49, v51, v49, s4
	s_delay_alu instid0(VALU_DEP_4) | instskip(NEXT) | instid1(VALU_DEP_3)
	v_cndmask_b32_e64 v47, v47, v52, s4
	v_dual_sub_nc_u32 v50, 32, v4 :: v_dual_cndmask_b32 v51, v52, v45, s4
	v_cmp_eq_u32_e64 s3, 0, v4
	s_delay_alu instid0(VALU_DEP_3) | instskip(NEXT) | instid1(VALU_DEP_1)
	v_dual_cndmask_b32 v49, v49, v46, s5 :: v_dual_cndmask_b32 v46, v46, v47, s5
	v_alignbit_b32 v52, v49, v46, v50
	s_delay_alu instid0(VALU_DEP_1) | instskip(NEXT) | instid1(VALU_DEP_1)
	v_dual_cndmask_b32 v47, v47, v51, s5 :: v_dual_cndmask_b32 v4, v52, v49, s3
	v_alignbit_b32 v48, v46, v47, v50
	s_delay_alu instid0(VALU_DEP_1) | instskip(NEXT) | instid1(VALU_DEP_3)
	v_dual_cndmask_b32 v44, v45, v44, s4 :: v_dual_cndmask_b32 v45, v48, v46, s3
	v_bfe_u32 v46, v4, 29, 1
	s_delay_alu instid0(VALU_DEP_2) | instskip(NEXT) | instid1(VALU_DEP_3)
	v_cndmask_b32_e64 v44, v51, v44, s5
	v_alignbit_b32 v48, v4, v45, 30
	s_delay_alu instid0(VALU_DEP_3) | instskip(NEXT) | instid1(VALU_DEP_3)
	v_sub_nc_u32_e32 v49, 0, v46
	v_alignbit_b32 v50, v47, v44, v50
	s_delay_alu instid0(VALU_DEP_1) | instskip(NEXT) | instid1(VALU_DEP_1)
	v_dual_cndmask_b32 v47, v50, v47, s3 :: v_dual_bitop2_b32 v48, v48, v49 bitop3:0x14
	v_clz_i32_u32_e32 v50, v48
	s_delay_alu instid0(VALU_DEP_2) | instskip(SKIP_1) | instid1(VALU_DEP_3)
	v_alignbit_b32 v45, v45, v47, 30
	v_alignbit_b32 v44, v47, v44, 30
	v_min_u32_e32 v50, 32, v50
	s_delay_alu instid0(VALU_DEP_3) | instskip(NEXT) | instid1(VALU_DEP_3)
	v_xor_b32_e32 v45, v45, v49
	v_dual_lshrrev_b32 v49, 29, v4 :: v_dual_bitop2_b32 v44, v44, v49 bitop3:0x14
	s_delay_alu instid0(VALU_DEP_3) | instskip(NEXT) | instid1(VALU_DEP_1)
	v_dual_sub_nc_u32 v47, 31, v50 :: v_dual_lshlrev_b32 v51, 23, v50
	v_alignbit_b32 v48, v48, v45, v47
	s_delay_alu instid0(VALU_DEP_3) | instskip(NEXT) | instid1(VALU_DEP_4)
	v_alignbit_b32 v44, v45, v44, v47
	v_lshlrev_b32_e32 v45, 31, v49
	s_delay_alu instid0(VALU_DEP_2) | instskip(NEXT) | instid1(VALU_DEP_2)
	v_alignbit_b32 v47, v48, v44, 9
	v_dual_lshrrev_b32 v48, 9, v48 :: v_dual_bitop2_b32 v49, 0.5, v45 bitop3:0x54
	v_or_b32_e32 v45, 0x33000000, v45
	s_delay_alu instid0(VALU_DEP_3) | instskip(NEXT) | instid1(VALU_DEP_3)
	v_clz_i32_u32_e32 v52, v47
	v_sub_nc_u32_e32 v49, v49, v51
	s_delay_alu instid0(VALU_DEP_2) | instskip(NEXT) | instid1(VALU_DEP_1)
	v_min_u32_e32 v51, 32, v52
	v_add_lshl_u32 v50, v51, v50, 23
	s_delay_alu instid0(VALU_DEP_3) | instskip(SKIP_1) | instid1(VALU_DEP_2)
	v_or_b32_e32 v48, v48, v49
	v_not_b32_e32 v49, v51
	v_dual_mul_f32 v52, 0x3fc90fda, v48 :: v_dual_sub_nc_u32 v45, v45, v50
	s_delay_alu instid0(VALU_DEP_2) | instskip(NEXT) | instid1(VALU_DEP_2)
	v_alignbit_b32 v44, v47, v44, v49
	v_fma_f32 v47, 0x3fc90fda, v48, -v52
	s_delay_alu instid0(VALU_DEP_2) | instskip(NEXT) | instid1(VALU_DEP_2)
	v_lshrrev_b32_e32 v44, 9, v44
	v_fmac_f32_e32 v47, 0x33a22168, v48
	s_delay_alu instid0(VALU_DEP_2) | instskip(NEXT) | instid1(VALU_DEP_1)
	v_or_b32_e32 v44, v45, v44
	v_fmac_f32_e32 v47, 0x3fc90fda, v44
	v_lshrrev_b32_e32 v44, 30, v4
	s_delay_alu instid0(VALU_DEP_1)
	v_dual_add_nc_u32 v44, v46, v44 :: v_dual_add_f32 v4, v52, v47
	s_and_not1_saveexec_b32 s3, s19
	s_cbranch_execz .LBB104_47
.LBB104_52:                             ;   in Loop: Header=BB104_25 Depth=1
	v_mul_f32_e64 v4, 0x3f22f983, |v30|
	s_delay_alu instid0(VALU_DEP_1) | instskip(NEXT) | instid1(VALU_DEP_1)
	v_rndne_f32_e32 v44, v4
	v_fma_f32 v4, 0xbfc90fda, v44, |v30|
	s_delay_alu instid0(VALU_DEP_1) | instskip(NEXT) | instid1(VALU_DEP_1)
	v_fmac_f32_e32 v4, 0xb3a22168, v44
	v_fmac_f32_e32 v4, 0xa7c234c4, v44
	v_cvt_i32_f32_e32 v44, v44
	s_or_b32 exec_lo, exec_lo, s3
	s_and_saveexec_b32 s3, s2
	s_delay_alu instid0(SALU_CYCLE_1)
	s_xor_b32 s3, exec_lo, s3
	s_cbranch_execz .LBB104_48
.LBB104_53:                             ;   in Loop: Header=BB104_25 Depth=1
	v_dual_mul_f32 v45, v35, v35 :: v_dual_bitop2_b32 v48, 1, v37 bitop3:0x40
	v_lshlrev_b32_e32 v37, 30, v37
	v_xor_b32_e32 v34, v34, v33
	s_delay_alu instid0(VALU_DEP_3) | instskip(NEXT) | instid1(VALU_DEP_4)
	v_fmaak_f32 v46, s17, v45, 0x3c0881c4
	v_cmp_eq_u32_e64 s2, 0, v48
	s_delay_alu instid0(VALU_DEP_4) | instskip(NEXT) | instid1(VALU_DEP_3)
	v_and_b32_e32 v37, 0x80000000, v37
	v_fmaak_f32 v46, v45, v46, 0xbe2aaa9d
	s_delay_alu instid0(VALU_DEP_1) | instskip(NEXT) | instid1(VALU_DEP_1)
	v_dual_fmaak_f32 v47, s18, v45, 0xbab64f3b :: v_dual_mul_f32 v46, v45, v46
	v_fmaak_f32 v47, v45, v47, 0x3d2aabf7
	s_delay_alu instid0(VALU_DEP_2) | instskip(NEXT) | instid1(VALU_DEP_2)
	v_fmac_f32_e32 v35, v35, v46
	v_fmaak_f32 v47, v45, v47, 0xbf000004
	s_delay_alu instid0(VALU_DEP_1) | instskip(NEXT) | instid1(VALU_DEP_1)
	v_fma_f32 v45, v45, v47, 1.0
	v_cndmask_b32_e64 v35, v45, v35, s2
	v_cmp_class_f32_e64 s2, v33, 0x1f8
	s_delay_alu instid0(VALU_DEP_2) | instskip(SKIP_1) | instid1(VALU_DEP_2)
	v_xor3_b32 v37, v34, v37, v35
	v_add_nc_u64_e32 v[34:35], s[6:7], v[10:11]
	v_cndmask_b32_e64 v33, 0x7fc00000, v37, s2
	global_store_b32 v[34:35], v33, off
	s_wait_xcnt 0x0
	s_or_b32 exec_lo, exec_lo, s3
	s_and_saveexec_b32 s2, s1
	s_cbranch_execz .LBB104_49
.LBB104_54:                             ;   in Loop: Header=BB104_25 Depth=1
	v_dual_mul_f32 v33, v38, v38 :: v_dual_bitop2_b32 v37, 1, v40 bitop3:0x40
	v_lshlrev_b32_e32 v40, 30, v40
	s_delay_alu instid0(VALU_DEP_2) | instskip(NEXT) | instid1(VALU_DEP_3)
	v_fmaak_f32 v34, s17, v33, 0x3c0881c4
	v_cmp_eq_u32_e64 s1, 0, v37
	s_delay_alu instid0(VALU_DEP_2) | instskip(NEXT) | instid1(VALU_DEP_1)
	v_fmaak_f32 v34, v33, v34, 0xbe2aaa9d
	v_dual_fmaak_f32 v35, s18, v33, 0xbab64f3b :: v_dual_mul_f32 v34, v33, v34
	s_delay_alu instid0(VALU_DEP_1) | instskip(NEXT) | instid1(VALU_DEP_1)
	v_dual_fmaak_f32 v35, v33, v35, 0x3d2aabf7 :: v_dual_fmac_f32 v38, v38, v34
	v_fmaak_f32 v35, v33, v35, 0xbf000004
	v_and_b32_e32 v34, 0x80000000, v40
	s_delay_alu instid0(VALU_DEP_2) | instskip(NEXT) | instid1(VALU_DEP_1)
	v_fma_f32 v33, v33, v35, 1.0
	v_dual_cndmask_b32 v33, v33, v38, s1 :: v_dual_bitop2_b32 v35, v36, v32 bitop3:0x14
	v_cmp_class_f32_e64 s1, v32, 0x1f8
	s_delay_alu instid0(VALU_DEP_2) | instskip(SKIP_1) | instid1(VALU_DEP_2)
	v_xor3_b32 v33, v35, v34, v33
	v_add_nc_u64_e32 v[34:35], s[6:7], v[28:29]
	v_cndmask_b32_e64 v32, 0x7fc00000, v33, s1
	global_store_b32 v[34:35], v32, off
	s_wait_xcnt 0x0
	s_or_b32 exec_lo, exec_lo, s2
	s_and_saveexec_b32 s1, s0
	s_cbranch_execz .LBB104_50
.LBB104_55:                             ;   in Loop: Header=BB104_25 Depth=1
	v_dual_mul_f32 v32, v41, v41 :: v_dual_bitop2_b32 v35, 1, v43 bitop3:0x40
	s_delay_alu instid0(VALU_DEP_1) | instskip(NEXT) | instid1(VALU_DEP_2)
	v_dual_fmaak_f32 v33, s17, v32, 0x3c0881c4 :: v_dual_lshlrev_b32 v36, 30, v43
	v_cmp_eq_u32_e64 s0, 0, v35
	s_delay_alu instid0(VALU_DEP_2) | instskip(NEXT) | instid1(VALU_DEP_1)
	v_fmaak_f32 v33, v32, v33, 0xbe2aaa9d
	v_dual_fmaak_f32 v34, s18, v32, 0xbab64f3b :: v_dual_mul_f32 v33, v32, v33
	s_delay_alu instid0(VALU_DEP_1) | instskip(NEXT) | instid1(VALU_DEP_1)
	v_dual_fmaak_f32 v34, v32, v34, 0x3d2aabf7 :: v_dual_fmac_f32 v41, v41, v33
	v_fmaak_f32 v34, v32, v34, 0xbf000004
	v_and_b32_e32 v33, 0x80000000, v36
	s_delay_alu instid0(VALU_DEP_2) | instskip(NEXT) | instid1(VALU_DEP_1)
	v_fma_f32 v32, v32, v34, 1.0
	v_dual_cndmask_b32 v32, v32, v41, s0 :: v_dual_bitop2_b32 v34, v39, v31 bitop3:0x14
	v_cmp_class_f32_e64 s0, v31, 0x1f8
	s_delay_alu instid0(VALU_DEP_2) | instskip(SKIP_1) | instid1(VALU_DEP_2)
	v_xor3_b32 v34, v34, v33, v32
	v_add_nc_u64_e32 v[32:33], s[6:7], v[20:21]
	v_cndmask_b32_e64 v31, 0x7fc00000, v34, s0
	global_store_b32 v[32:33], v31, off
	s_wait_xcnt 0x0
	s_or_b32 exec_lo, exec_lo, s1
	s_and_saveexec_b32 s0, vcc_lo
	s_cbranch_execz .LBB104_24
.LBB104_56:                             ;   in Loop: Header=BB104_25 Depth=1
	v_mul_f32_e32 v31, v4, v4
	v_dual_lshlrev_b32 v35, 30, v44 :: v_dual_bitop2_b32 v34, 1, v44 bitop3:0x40
	s_delay_alu instid0(VALU_DEP_2) | instskip(NEXT) | instid1(VALU_DEP_2)
	v_fmaak_f32 v32, s17, v31, 0x3c0881c4
	v_cmp_eq_u32_e32 vcc_lo, 0, v34
	s_delay_alu instid0(VALU_DEP_2) | instskip(NEXT) | instid1(VALU_DEP_1)
	v_fmaak_f32 v32, v31, v32, 0xbe2aaa9d
	v_dual_fmaak_f32 v33, s18, v31, 0xbab64f3b :: v_dual_mul_f32 v32, v31, v32
	s_delay_alu instid0(VALU_DEP_1) | instskip(NEXT) | instid1(VALU_DEP_1)
	v_dual_fmaak_f32 v33, v31, v33, 0x3d2aabf7 :: v_dual_fmac_f32 v4, v4, v32
	v_fmaak_f32 v33, v31, v33, 0xbf000004
	v_and_b32_e32 v32, 0x80000000, v35
	s_delay_alu instid0(VALU_DEP_2) | instskip(NEXT) | instid1(VALU_DEP_1)
	v_fma_f32 v31, v31, v33, 1.0
	v_dual_cndmask_b32 v4, v31, v4, vcc_lo :: v_dual_bitop2_b32 v31, v42, v30 bitop3:0x14
	v_cmp_class_f32_e64 vcc_lo, v30, 0x1f8
	s_delay_alu instid0(VALU_DEP_2) | instskip(SKIP_1) | instid1(VALU_DEP_2)
	v_xor3_b32 v4, v31, v32, v4
	v_add_nc_u64_e32 v[32:33], s[6:7], v[24:25]
	v_cndmask_b32_e32 v4, 0x7fc00000, v4, vcc_lo
	global_store_b32 v[32:33], v4, off
	s_branch .LBB104_24
.LBB104_57:
	s_endpgm
	.section	.rodata,"a",@progbits
	.p2align	6, 0x0
	.amdhsa_kernel _ZN2at6native12_GLOBAL__N_125multi_tensor_apply_kernelINS1_18TensorListMetadataILi2EEENS1_14UnaryOpFunctorIfLi2ELi1ELi1EEEJNS0_3SinIfEEEEEvT_T0_DpT1_
		.amdhsa_group_segment_fixed_size 0
		.amdhsa_private_segment_fixed_size 0
		.amdhsa_kernarg_size 3408
		.amdhsa_user_sgpr_count 2
		.amdhsa_user_sgpr_dispatch_ptr 0
		.amdhsa_user_sgpr_queue_ptr 0
		.amdhsa_user_sgpr_kernarg_segment_ptr 1
		.amdhsa_user_sgpr_dispatch_id 0
		.amdhsa_user_sgpr_kernarg_preload_length 0
		.amdhsa_user_sgpr_kernarg_preload_offset 0
		.amdhsa_user_sgpr_private_segment_size 0
		.amdhsa_wavefront_size32 1
		.amdhsa_uses_dynamic_stack 0
		.amdhsa_enable_private_segment 0
		.amdhsa_system_sgpr_workgroup_id_x 1
		.amdhsa_system_sgpr_workgroup_id_y 0
		.amdhsa_system_sgpr_workgroup_id_z 0
		.amdhsa_system_sgpr_workgroup_info 0
		.amdhsa_system_vgpr_workitem_id 0
		.amdhsa_next_free_vgpr 58
		.amdhsa_next_free_sgpr 24
		.amdhsa_named_barrier_count 0
		.amdhsa_reserve_vcc 1
		.amdhsa_float_round_mode_32 0
		.amdhsa_float_round_mode_16_64 0
		.amdhsa_float_denorm_mode_32 3
		.amdhsa_float_denorm_mode_16_64 3
		.amdhsa_fp16_overflow 0
		.amdhsa_memory_ordered 1
		.amdhsa_forward_progress 1
		.amdhsa_inst_pref_size 69
		.amdhsa_round_robin_scheduling 0
		.amdhsa_exception_fp_ieee_invalid_op 0
		.amdhsa_exception_fp_denorm_src 0
		.amdhsa_exception_fp_ieee_div_zero 0
		.amdhsa_exception_fp_ieee_overflow 0
		.amdhsa_exception_fp_ieee_underflow 0
		.amdhsa_exception_fp_ieee_inexact 0
		.amdhsa_exception_int_div_zero 0
	.end_amdhsa_kernel
	.section	.text._ZN2at6native12_GLOBAL__N_125multi_tensor_apply_kernelINS1_18TensorListMetadataILi2EEENS1_14UnaryOpFunctorIfLi2ELi1ELi1EEEJNS0_3SinIfEEEEEvT_T0_DpT1_,"axG",@progbits,_ZN2at6native12_GLOBAL__N_125multi_tensor_apply_kernelINS1_18TensorListMetadataILi2EEENS1_14UnaryOpFunctorIfLi2ELi1ELi1EEEJNS0_3SinIfEEEEEvT_T0_DpT1_,comdat
.Lfunc_end104:
	.size	_ZN2at6native12_GLOBAL__N_125multi_tensor_apply_kernelINS1_18TensorListMetadataILi2EEENS1_14UnaryOpFunctorIfLi2ELi1ELi1EEEJNS0_3SinIfEEEEEvT_T0_DpT1_, .Lfunc_end104-_ZN2at6native12_GLOBAL__N_125multi_tensor_apply_kernelINS1_18TensorListMetadataILi2EEENS1_14UnaryOpFunctorIfLi2ELi1ELi1EEEJNS0_3SinIfEEEEEvT_T0_DpT1_
                                        ; -- End function
	.set _ZN2at6native12_GLOBAL__N_125multi_tensor_apply_kernelINS1_18TensorListMetadataILi2EEENS1_14UnaryOpFunctorIfLi2ELi1ELi1EEEJNS0_3SinIfEEEEEvT_T0_DpT1_.num_vgpr, 58
	.set _ZN2at6native12_GLOBAL__N_125multi_tensor_apply_kernelINS1_18TensorListMetadataILi2EEENS1_14UnaryOpFunctorIfLi2ELi1ELi1EEEJNS0_3SinIfEEEEEvT_T0_DpT1_.num_agpr, 0
	.set _ZN2at6native12_GLOBAL__N_125multi_tensor_apply_kernelINS1_18TensorListMetadataILi2EEENS1_14UnaryOpFunctorIfLi2ELi1ELi1EEEJNS0_3SinIfEEEEEvT_T0_DpT1_.numbered_sgpr, 24
	.set _ZN2at6native12_GLOBAL__N_125multi_tensor_apply_kernelINS1_18TensorListMetadataILi2EEENS1_14UnaryOpFunctorIfLi2ELi1ELi1EEEJNS0_3SinIfEEEEEvT_T0_DpT1_.num_named_barrier, 0
	.set _ZN2at6native12_GLOBAL__N_125multi_tensor_apply_kernelINS1_18TensorListMetadataILi2EEENS1_14UnaryOpFunctorIfLi2ELi1ELi1EEEJNS0_3SinIfEEEEEvT_T0_DpT1_.private_seg_size, 0
	.set _ZN2at6native12_GLOBAL__N_125multi_tensor_apply_kernelINS1_18TensorListMetadataILi2EEENS1_14UnaryOpFunctorIfLi2ELi1ELi1EEEJNS0_3SinIfEEEEEvT_T0_DpT1_.uses_vcc, 1
	.set _ZN2at6native12_GLOBAL__N_125multi_tensor_apply_kernelINS1_18TensorListMetadataILi2EEENS1_14UnaryOpFunctorIfLi2ELi1ELi1EEEJNS0_3SinIfEEEEEvT_T0_DpT1_.uses_flat_scratch, 0
	.set _ZN2at6native12_GLOBAL__N_125multi_tensor_apply_kernelINS1_18TensorListMetadataILi2EEENS1_14UnaryOpFunctorIfLi2ELi1ELi1EEEJNS0_3SinIfEEEEEvT_T0_DpT1_.has_dyn_sized_stack, 0
	.set _ZN2at6native12_GLOBAL__N_125multi_tensor_apply_kernelINS1_18TensorListMetadataILi2EEENS1_14UnaryOpFunctorIfLi2ELi1ELi1EEEJNS0_3SinIfEEEEEvT_T0_DpT1_.has_recursion, 0
	.set _ZN2at6native12_GLOBAL__N_125multi_tensor_apply_kernelINS1_18TensorListMetadataILi2EEENS1_14UnaryOpFunctorIfLi2ELi1ELi1EEEJNS0_3SinIfEEEEEvT_T0_DpT1_.has_indirect_call, 0
	.section	.AMDGPU.csdata,"",@progbits
; Kernel info:
; codeLenInByte = 8780
; TotalNumSgprs: 26
; NumVgprs: 58
; ScratchSize: 0
; MemoryBound: 0
; FloatMode: 240
; IeeeMode: 1
; LDSByteSize: 0 bytes/workgroup (compile time only)
; SGPRBlocks: 0
; VGPRBlocks: 3
; NumSGPRsForWavesPerEU: 26
; NumVGPRsForWavesPerEU: 58
; NamedBarCnt: 0
; Occupancy: 16
; WaveLimiterHint : 0
; COMPUTE_PGM_RSRC2:SCRATCH_EN: 0
; COMPUTE_PGM_RSRC2:USER_SGPR: 2
; COMPUTE_PGM_RSRC2:TRAP_HANDLER: 0
; COMPUTE_PGM_RSRC2:TGID_X_EN: 1
; COMPUTE_PGM_RSRC2:TGID_Y_EN: 0
; COMPUTE_PGM_RSRC2:TGID_Z_EN: 0
; COMPUTE_PGM_RSRC2:TIDIG_COMP_CNT: 0
	.text
	.p2align	2                               ; -- Begin function _ZN6thrust23THRUST_200600_302600_NS6detail7complex5csinhERKNS0_7complexIdEE
	.type	_ZN6thrust23THRUST_200600_302600_NS6detail7complex5csinhERKNS0_7complexIdEE,@function
_ZN6thrust23THRUST_200600_302600_NS6detail7complex5csinhERKNS0_7complexIdEE: ; @_ZN6thrust23THRUST_200600_302600_NS6detail7complex5csinhERKNS0_7complexIdEE
; %bb.0:
	s_wait_loadcnt_dscnt 0x0
	s_wait_kmcnt 0x0
	v_and_b32_e32 v8, 0x7fffffff, v1
	v_and_b32_e32 v9, 0x7fffffff, v3
                                        ; implicit-def: $vgpr6_vgpr7
	s_delay_alu instid0(VALU_DEP_2) | instskip(NEXT) | instid1(VALU_DEP_2)
	v_cmp_gt_u32_e64 s0, 0x7ff00000, v8
	v_max_u32_e32 v4, v8, v9
	s_delay_alu instid0(VALU_DEP_1) | instskip(SKIP_1) | instid1(SALU_CYCLE_1)
	v_cmp_lt_u32_e32 vcc_lo, 0x7fefffff, v4
                                        ; implicit-def: $vgpr4_vgpr5
	s_and_saveexec_b32 s1, vcc_lo
	s_xor_b32 s4, exec_lo, s1
	s_cbranch_execz .LBB105_32
; %bb.1:
	v_or_b32_e32 v4, v8, v0
	v_cmp_gt_u32_e32 vcc_lo, 0x7ff00000, v9
	v_cmp_lt_u32_e64 s1, 0x7fefffff, v9
                                        ; implicit-def: $vgpr6_vgpr7
	s_delay_alu instid0(VALU_DEP_3) | instskip(SKIP_1) | instid1(SALU_CYCLE_1)
	v_cmp_ne_u32_e64 s2, 0, v4
                                        ; implicit-def: $vgpr4_vgpr5
	s_or_b32 s2, s2, vcc_lo
	s_and_saveexec_b32 s3, s2
	s_delay_alu instid0(SALU_CYCLE_1)
	s_xor_b32 s5, exec_lo, s3
	s_cbranch_execz .LBB105_29
; %bb.2:
	v_or_b32_e32 v4, v9, v2
	v_cmp_gt_u32_e64 s7, 0x7ff00000, v8
	v_cmp_lt_u32_e64 s2, 0x7fefffff, v8
                                        ; implicit-def: $vgpr6_vgpr7
	s_delay_alu instid0(VALU_DEP_3) | instskip(SKIP_1) | instid1(SALU_CYCLE_1)
	v_cmp_ne_u32_e64 s3, 0, v4
                                        ; implicit-def: $vgpr4_vgpr5
	s_or_b32 s3, s3, s7
	s_and_saveexec_b32 s6, s3
	s_delay_alu instid0(SALU_CYCLE_1)
	s_xor_b32 s3, exec_lo, s6
	s_cbranch_execz .LBB105_26
; %bb.3:
	s_and_b32 s0, s0, s1
                                        ; implicit-def: $vgpr4_vgpr5
                                        ; implicit-def: $vgpr6_vgpr7
	s_delay_alu instid0(SALU_CYCLE_1) | instskip(NEXT) | instid1(SALU_CYCLE_1)
	s_xor_b32 s0, s0, -1
	s_and_saveexec_b32 s1, s0
	s_delay_alu instid0(SALU_CYCLE_1)
	s_xor_b32 s6, exec_lo, s1
	s_cbranch_execz .LBB105_23
; %bb.4:
	s_mov_b32 s1, 0
	s_and_saveexec_b32 s8, s2
; %bb.5:
	v_and_or_b32 v4, 0xfffff, v1, v0
	s_and_not1_b32 s2, s7, exec_lo
	s_mov_b32 s1, exec_lo
	s_delay_alu instid0(VALU_DEP_1) | instskip(SKIP_1) | instid1(SALU_CYCLE_1)
	v_cmp_ne_u32_e64 s0, 0, v4
	s_and_b32 s0, s0, exec_lo
	s_or_b32 s7, s2, s0
; %bb.6:
	s_or_b32 exec_lo, exec_lo, s8
                                        ; implicit-def: $vgpr4_vgpr5
                                        ; implicit-def: $vgpr6_vgpr7
	s_and_saveexec_b32 s0, s7
	s_delay_alu instid0(SALU_CYCLE_1)
	s_xor_b32 s0, exec_lo, s0
	s_cbranch_execz .LBB105_8
; %bb.7:
	v_mul_f64_e32 v[4:5], v[0:1], v[0:1]
	v_add_f64_e64 v[8:9], v[2:3], -v[2:3]
	v_add_f64_e32 v[10:11], v[0:1], v[0:1]
	s_and_not1_b32 s1, s1, exec_lo
	s_delay_alu instid0(VALU_DEP_2) | instskip(NEXT) | instid1(VALU_DEP_2)
	v_mul_f64_e32 v[6:7], v[4:5], v[8:9]
	v_mul_f64_e32 v[4:5], v[10:11], v[8:9]
	s_or_b32 exec_lo, exec_lo, s0
	s_and_saveexec_b32 s2, s1
	s_cbranch_execz .LBB105_22
	s_branch .LBB105_9
.LBB105_8:
	s_or_b32 exec_lo, exec_lo, s0
	s_and_saveexec_b32 s2, s1
	s_cbranch_execz .LBB105_22
.LBB105_9:
                                        ; implicit-def: $vgpr4_vgpr5
                                        ; implicit-def: $vgpr6_vgpr7
	s_and_saveexec_b32 s0, vcc_lo
	s_delay_alu instid0(SALU_CYCLE_1)
	s_xor_b32 s7, exec_lo, s0
	s_cbranch_execz .LBB105_19
; %bb.10:
	v_cmp_ngt_f64_e64 s0, 0x41d00000, |v[2:3]|
                                        ; implicit-def: $vgpr12
                                        ; implicit-def: $vgpr4_vgpr5
                                        ; implicit-def: $vgpr6_vgpr7
	s_and_saveexec_b32 s1, s0
	s_delay_alu instid0(SALU_CYCLE_1)
	s_xor_b32 s1, exec_lo, s1
	s_cbranch_execz .LBB105_12
; %bb.11:
	v_ldexp_f64 v[4:5], |v[2:3]|, 0xffffff80
	v_cmp_le_f64_e64 vcc_lo, 0x7b000000, |v[2:3]|
	v_trig_preop_f64 v[6:7], |v[2:3]|, 0
	v_and_b32_e32 v8, 0x7fffffff, v3
	v_trig_preop_f64 v[18:19], |v[2:3]|, 2
	s_mov_b64 s[8:9], 0x3ff921fb54442d18
	s_delay_alu instid0(VALU_DEP_2) | instskip(SKIP_2) | instid1(VALU_DEP_2)
	v_dual_mov_b32 v26, 0 :: v_dual_cndmask_b32 v5, v8, v5
	v_cndmask_b32_e32 v4, v2, v4, vcc_lo
	v_trig_preop_f64 v[8:9], |v[2:3]|, 1
	v_mul_f64_e32 v[10:11], v[6:7], v[4:5]
	v_mul_f64_e32 v[24:25], v[18:19], v[4:5]
	s_delay_alu instid0(VALU_DEP_3) | instskip(NEXT) | instid1(VALU_DEP_3)
	v_mul_f64_e32 v[12:13], v[8:9], v[4:5]
	v_fma_f64 v[6:7], v[6:7], v[4:5], -v[10:11]
	s_delay_alu instid0(VALU_DEP_2) | instskip(NEXT) | instid1(VALU_DEP_4)
	v_fma_f64 v[8:9], v[8:9], v[4:5], -v[12:13]
	v_fma_f64 v[4:5], v[18:19], v[4:5], -v[24:25]
	s_delay_alu instid0(VALU_DEP_3) | instskip(NEXT) | instid1(VALU_DEP_1)
	v_add_f64_e32 v[14:15], v[12:13], v[6:7]
	v_add_f64_e64 v[16:17], v[14:15], -v[12:13]
	v_add_f64_e32 v[22:23], v[10:11], v[14:15]
	s_delay_alu instid0(VALU_DEP_2) | instskip(SKIP_1) | instid1(VALU_DEP_3)
	v_add_f64_e64 v[20:21], v[14:15], -v[16:17]
	v_add_f64_e64 v[6:7], v[6:7], -v[16:17]
	v_ldexp_f64 v[16:17], v[22:23], -2
	s_delay_alu instid0(VALU_DEP_3) | instskip(SKIP_1) | instid1(VALU_DEP_3)
	v_add_f64_e64 v[12:13], v[12:13], -v[20:21]
	v_add_f64_e32 v[20:21], v[24:25], v[8:9]
	v_cmp_neq_f64_e64 vcc_lo, 0x7ff00000, |v[16:17]|
	s_delay_alu instid0(VALU_DEP_3) | instskip(SKIP_1) | instid1(VALU_DEP_1)
	v_add_f64_e32 v[6:7], v[6:7], v[12:13]
	v_fract_f64_e32 v[12:13], v[16:17]
	v_ldexp_f64 v[12:13], v[12:13], 2
	s_delay_alu instid0(VALU_DEP_1) | instskip(NEXT) | instid1(VALU_DEP_1)
	v_dual_add_f64 v[10:11], v[22:23], -v[10:11] :: v_dual_cndmask_b32 v12, 0, v12, vcc_lo
	v_dual_add_f64 v[10:11], v[14:15], -v[10:11] :: v_dual_cndmask_b32 v13, 0, v13, vcc_lo
	v_add_f64_e32 v[14:15], v[20:21], v[6:7]
	s_delay_alu instid0(VALU_DEP_1) | instskip(SKIP_1) | instid1(VALU_DEP_2)
	v_add_f64_e32 v[16:17], v[10:11], v[14:15]
	v_add_f64_e64 v[28:29], v[14:15], -v[20:21]
	v_add_f64_e32 v[22:23], v[16:17], v[12:13]
	s_delay_alu instid0(VALU_DEP_2) | instskip(SKIP_2) | instid1(VALU_DEP_4)
	v_add_f64_e64 v[34:35], v[14:15], -v[28:29]
	v_add_f64_e64 v[6:7], v[6:7], -v[28:29]
	v_add_f64_e64 v[10:11], v[16:17], -v[10:11]
	v_cmp_gt_f64_e32 vcc_lo, 0, v[22:23]
	v_add_f64_e64 v[22:23], v[20:21], -v[24:25]
	s_delay_alu instid0(VALU_DEP_3) | instskip(SKIP_1) | instid1(VALU_DEP_3)
	v_add_f64_e64 v[10:11], v[14:15], -v[10:11]
	v_cndmask_b32_e64 v27, 0, 0x40100000, vcc_lo
	v_add_f64_e64 v[32:33], v[20:21], -v[22:23]
	v_add_f64_e64 v[8:9], v[8:9], -v[22:23]
	;; [unrolled: 1-line block ×3, first 2 shown]
	s_delay_alu instid0(VALU_DEP_4) | instskip(NEXT) | instid1(VALU_DEP_4)
	v_add_f64_e32 v[12:13], v[12:13], v[26:27]
	v_add_f64_e64 v[22:23], v[24:25], -v[32:33]
	s_delay_alu instid0(VALU_DEP_3) | instskip(NEXT) | instid1(VALU_DEP_3)
	v_add_f64_e32 v[6:7], v[6:7], v[20:21]
	v_add_f64_e32 v[30:31], v[16:17], v[12:13]
	s_delay_alu instid0(VALU_DEP_3) | instskip(NEXT) | instid1(VALU_DEP_2)
	v_add_f64_e32 v[8:9], v[8:9], v[22:23]
	v_cvt_i32_f64_e32 v27, v[30:31]
	s_delay_alu instid0(VALU_DEP_2) | instskip(NEXT) | instid1(VALU_DEP_2)
	v_add_f64_e32 v[6:7], v[8:9], v[6:7]
	v_cvt_f64_i32_e32 v[28:29], v27
	s_delay_alu instid0(VALU_DEP_2) | instskip(NEXT) | instid1(VALU_DEP_2)
	v_add_f64_e32 v[4:5], v[4:5], v[6:7]
	v_add_f64_e64 v[12:13], v[12:13], -v[28:29]
	s_delay_alu instid0(VALU_DEP_2) | instskip(NEXT) | instid1(VALU_DEP_2)
	v_add_f64_e32 v[4:5], v[10:11], v[4:5]
	v_add_f64_e32 v[8:9], v[16:17], v[12:13]
	s_delay_alu instid0(VALU_DEP_1) | instskip(SKIP_1) | instid1(VALU_DEP_2)
	v_add_f64_e64 v[6:7], v[8:9], -v[12:13]
	v_cmp_le_f64_e32 vcc_lo, 0.5, v[8:9]
	v_add_f64_e64 v[6:7], v[16:17], -v[6:7]
	v_add_co_ci_u32_e64 v12, null, 0, v27, vcc_lo
	v_cndmask_b32_e64 v27, 0, 0x3ff00000, vcc_lo
	s_delay_alu instid0(VALU_DEP_3) | instskip(NEXT) | instid1(VALU_DEP_2)
	v_add_f64_e32 v[4:5], v[4:5], v[6:7]
	v_add_f64_e64 v[6:7], v[8:9], -v[26:27]
	s_delay_alu instid0(VALU_DEP_1) | instskip(NEXT) | instid1(VALU_DEP_1)
	v_add_f64_e32 v[8:9], v[6:7], v[4:5]
	v_mul_f64_e32 v[10:11], 0x3ff921fb54442d18, v[8:9]
	v_add_f64_e64 v[6:7], v[8:9], -v[6:7]
	s_delay_alu instid0(VALU_DEP_2) | instskip(NEXT) | instid1(VALU_DEP_2)
	v_fma_f64 v[14:15], v[8:9], s[8:9], -v[10:11]
	v_add_f64_e64 v[4:5], v[4:5], -v[6:7]
	s_delay_alu instid0(VALU_DEP_2) | instskip(NEXT) | instid1(VALU_DEP_1)
	v_fmamk_f64 v[6:7], v[8:9], 0x3c91a62633145c07, v[14:15]
	v_fmac_f64_e32 v[6:7], 0x3ff921fb54442d18, v[4:5]
	s_delay_alu instid0(VALU_DEP_1) | instskip(NEXT) | instid1(VALU_DEP_1)
	v_add_f64_e32 v[4:5], v[10:11], v[6:7]
	v_add_f64_e64 v[8:9], v[4:5], -v[10:11]
	s_delay_alu instid0(VALU_DEP_1)
	v_add_f64_e64 v[6:7], v[6:7], -v[8:9]
	s_and_not1_saveexec_b32 s1, s1
	s_cbranch_execz .LBB105_14
	s_branch .LBB105_13
.LBB105_12:
	s_and_not1_saveexec_b32 s1, s1
	s_cbranch_execz .LBB105_14
.LBB105_13:
	s_mov_b64 s[8:9], 0x3fe45f306dc9c883
	s_delay_alu instid0(SALU_CYCLE_1) | instskip(SKIP_1) | instid1(VALU_DEP_1)
	v_mul_f64_e64 v[4:5], |v[2:3]|, s[8:9]
	s_mov_b64 s[8:9], 0xbff921fb54442d18
	v_rndne_f64_e32 v[8:9], v[4:5]
	s_delay_alu instid0(VALU_DEP_1) | instskip(SKIP_1) | instid1(VALU_DEP_2)
	v_fma_f64 v[4:5], v[8:9], s[8:9], |v[2:3]|
	v_mul_f64_e32 v[6:7], 0xbc91a62633145c00, v[8:9]
	v_fmamk_f64 v[14:15], v[8:9], 0xbc91a62633145c00, v[4:5]
	s_delay_alu instid0(VALU_DEP_2) | instskip(NEXT) | instid1(VALU_DEP_1)
	v_add_f64_e32 v[10:11], v[4:5], v[6:7]
	v_add_f64_e64 v[12:13], v[4:5], -v[10:11]
	s_delay_alu instid0(VALU_DEP_3) | instskip(NEXT) | instid1(VALU_DEP_2)
	v_add_f64_e64 v[4:5], v[10:11], -v[14:15]
	v_add_f64_e32 v[10:11], v[12:13], v[6:7]
	v_fmamk_f64 v[6:7], v[8:9], 0x3c91a62633145c00, v[6:7]
	v_cvt_i32_f64_e32 v12, v[8:9]
	s_delay_alu instid0(VALU_DEP_3) | instskip(NEXT) | instid1(VALU_DEP_1)
	v_add_f64_e32 v[4:5], v[4:5], v[10:11]
	v_add_f64_e64 v[4:5], v[4:5], -v[6:7]
	s_delay_alu instid0(VALU_DEP_1) | instskip(NEXT) | instid1(VALU_DEP_1)
	v_fmamk_f64 v[6:7], v[8:9], 0xb97b839a252049c0, v[4:5]
	v_add_f64_e32 v[4:5], v[14:15], v[6:7]
	s_delay_alu instid0(VALU_DEP_1) | instskip(NEXT) | instid1(VALU_DEP_1)
	v_add_f64_e64 v[10:11], v[4:5], -v[14:15]
	v_add_f64_e64 v[6:7], v[6:7], -v[10:11]
.LBB105_14:
	s_or_b32 exec_lo, exec_lo, s1
                                        ; implicit-def: $vgpr13
                                        ; implicit-def: $vgpr8_vgpr9
                                        ; implicit-def: $vgpr10_vgpr11
	s_and_saveexec_b32 s1, s0
	s_delay_alu instid0(SALU_CYCLE_1)
	s_xor_b32 s0, exec_lo, s1
	s_cbranch_execz .LBB105_16
; %bb.15:
	v_ldexp_f64 v[8:9], |v[2:3]|, 0xffffff80
	v_cmp_le_f64_e64 vcc_lo, 0x7b000000, |v[2:3]|
	v_trig_preop_f64 v[10:11], |v[2:3]|, 0
	v_and_b32_e32 v13, 0x7fffffff, v3
	v_trig_preop_f64 v[14:15], |v[2:3]|, 1
	v_trig_preop_f64 v[24:25], |v[2:3]|, 2
	s_mov_b64 s[8:9], 0x3ff921fb54442d18
	s_delay_alu instid0(VALU_DEP_3) | instskip(SKIP_1) | instid1(VALU_DEP_1)
	v_dual_mov_b32 v32, 0 :: v_dual_cndmask_b32 v9, v13, v9
	v_cndmask_b32_e32 v8, v2, v8, vcc_lo
	v_mul_f64_e32 v[16:17], v[10:11], v[8:9]
	v_mul_f64_e32 v[18:19], v[14:15], v[8:9]
	;; [unrolled: 1-line block ×3, first 2 shown]
	s_delay_alu instid0(VALU_DEP_3) | instskip(NEXT) | instid1(VALU_DEP_3)
	v_fma_f64 v[10:11], v[10:11], v[8:9], -v[16:17]
	v_fma_f64 v[14:15], v[14:15], v[8:9], -v[18:19]
	s_delay_alu instid0(VALU_DEP_3) | instskip(NEXT) | instid1(VALU_DEP_3)
	v_fma_f64 v[8:9], v[24:25], v[8:9], -v[30:31]
	v_add_f64_e32 v[20:21], v[18:19], v[10:11]
	s_delay_alu instid0(VALU_DEP_1) | instskip(SKIP_1) | instid1(VALU_DEP_2)
	v_add_f64_e64 v[22:23], v[20:21], -v[18:19]
	v_add_f64_e32 v[28:29], v[16:17], v[20:21]
	v_add_f64_e64 v[26:27], v[20:21], -v[22:23]
	v_add_f64_e64 v[10:11], v[10:11], -v[22:23]
	s_delay_alu instid0(VALU_DEP_3) | instskip(NEXT) | instid1(VALU_DEP_3)
	v_ldexp_f64 v[22:23], v[28:29], -2
	v_add_f64_e64 v[18:19], v[18:19], -v[26:27]
	v_add_f64_e32 v[26:27], v[30:31], v[14:15]
	s_delay_alu instid0(VALU_DEP_3) | instskip(NEXT) | instid1(VALU_DEP_3)
	v_cmp_neq_f64_e64 vcc_lo, 0x7ff00000, |v[22:23]|
	v_add_f64_e32 v[10:11], v[10:11], v[18:19]
	v_fract_f64_e32 v[18:19], v[22:23]
	s_delay_alu instid0(VALU_DEP_1) | instskip(NEXT) | instid1(VALU_DEP_1)
	v_ldexp_f64 v[18:19], v[18:19], 2
	v_dual_add_f64 v[16:17], v[28:29], -v[16:17] :: v_dual_cndmask_b32 v19, 0, v19, vcc_lo
	s_delay_alu instid0(VALU_DEP_1) | instskip(SKIP_1) | instid1(VALU_DEP_1)
	v_dual_add_f64 v[16:17], v[20:21], -v[16:17] :: v_dual_cndmask_b32 v18, 0, v18, vcc_lo
	v_add_f64_e32 v[20:21], v[26:27], v[10:11]
	v_add_f64_e32 v[22:23], v[16:17], v[20:21]
	v_add_f64_e64 v[34:35], v[20:21], -v[26:27]
	s_delay_alu instid0(VALU_DEP_2) | instskip(NEXT) | instid1(VALU_DEP_2)
	v_add_f64_e32 v[28:29], v[22:23], v[18:19]
	v_add_f64_e64 v[48:49], v[20:21], -v[34:35]
	v_add_f64_e64 v[10:11], v[10:11], -v[34:35]
	v_add_f64_e64 v[16:17], v[22:23], -v[16:17]
	s_delay_alu instid0(VALU_DEP_4) | instskip(SKIP_1) | instid1(VALU_DEP_3)
	v_cmp_gt_f64_e32 vcc_lo, 0, v[28:29]
	v_add_f64_e64 v[28:29], v[26:27], -v[30:31]
	v_add_f64_e64 v[16:17], v[20:21], -v[16:17]
	v_cndmask_b32_e64 v33, 0, 0x40100000, vcc_lo
	s_delay_alu instid0(VALU_DEP_3) | instskip(SKIP_2) | instid1(VALU_DEP_4)
	v_add_f64_e64 v[38:39], v[26:27], -v[28:29]
	v_add_f64_e64 v[14:15], v[14:15], -v[28:29]
	;; [unrolled: 1-line block ×3, first 2 shown]
	v_add_f64_e32 v[18:19], v[18:19], v[32:33]
	s_delay_alu instid0(VALU_DEP_4) | instskip(NEXT) | instid1(VALU_DEP_3)
	v_add_f64_e64 v[28:29], v[30:31], -v[38:39]
	v_add_f64_e32 v[10:11], v[10:11], v[26:27]
	s_delay_alu instid0(VALU_DEP_3) | instskip(NEXT) | instid1(VALU_DEP_3)
	v_add_f64_e32 v[36:37], v[22:23], v[18:19]
	v_add_f64_e32 v[14:15], v[14:15], v[28:29]
	s_delay_alu instid0(VALU_DEP_2) | instskip(NEXT) | instid1(VALU_DEP_2)
	v_cvt_i32_f64_e32 v13, v[36:37]
	v_add_f64_e32 v[10:11], v[14:15], v[10:11]
	s_delay_alu instid0(VALU_DEP_2) | instskip(NEXT) | instid1(VALU_DEP_2)
	v_cvt_f64_i32_e32 v[34:35], v13
	v_add_f64_e32 v[8:9], v[8:9], v[10:11]
	s_delay_alu instid0(VALU_DEP_2) | instskip(NEXT) | instid1(VALU_DEP_2)
	v_add_f64_e64 v[18:19], v[18:19], -v[34:35]
	v_add_f64_e32 v[8:9], v[16:17], v[8:9]
	s_delay_alu instid0(VALU_DEP_2) | instskip(NEXT) | instid1(VALU_DEP_1)
	v_add_f64_e32 v[14:15], v[22:23], v[18:19]
	v_add_f64_e64 v[10:11], v[14:15], -v[18:19]
	v_cmp_le_f64_e32 vcc_lo, 0.5, v[14:15]
	s_delay_alu instid0(VALU_DEP_2) | instskip(SKIP_2) | instid1(VALU_DEP_3)
	v_add_f64_e64 v[10:11], v[22:23], -v[10:11]
	v_cndmask_b32_e64 v33, 0, 0x3ff00000, vcc_lo
	v_add_co_ci_u32_e64 v13, null, 0, v13, vcc_lo
	v_add_f64_e32 v[8:9], v[8:9], v[10:11]
	s_delay_alu instid0(VALU_DEP_3) | instskip(NEXT) | instid1(VALU_DEP_1)
	v_add_f64_e64 v[10:11], v[14:15], -v[32:33]
	v_add_f64_e32 v[14:15], v[10:11], v[8:9]
	s_delay_alu instid0(VALU_DEP_1) | instskip(SKIP_1) | instid1(VALU_DEP_2)
	v_mul_f64_e32 v[16:17], 0x3ff921fb54442d18, v[14:15]
	v_add_f64_e64 v[10:11], v[14:15], -v[10:11]
	v_fma_f64 v[18:19], v[14:15], s[8:9], -v[16:17]
	s_delay_alu instid0(VALU_DEP_2) | instskip(NEXT) | instid1(VALU_DEP_2)
	v_add_f64_e64 v[8:9], v[8:9], -v[10:11]
	v_fmamk_f64 v[10:11], v[14:15], 0x3c91a62633145c07, v[18:19]
	s_delay_alu instid0(VALU_DEP_1) | instskip(NEXT) | instid1(VALU_DEP_1)
	v_fmac_f64_e32 v[10:11], 0x3ff921fb54442d18, v[8:9]
	v_add_f64_e32 v[8:9], v[16:17], v[10:11]
	s_delay_alu instid0(VALU_DEP_1) | instskip(NEXT) | instid1(VALU_DEP_1)
	v_add_f64_e64 v[14:15], v[8:9], -v[16:17]
	v_add_f64_e64 v[10:11], v[10:11], -v[14:15]
	s_and_not1_saveexec_b32 s0, s0
	s_cbranch_execnz .LBB105_17
	s_branch .LBB105_18
.LBB105_16:
	s_and_not1_saveexec_b32 s0, s0
	s_cbranch_execz .LBB105_18
.LBB105_17:
	s_mov_b64 s[8:9], 0x3fe45f306dc9c883
	s_delay_alu instid0(SALU_CYCLE_1) | instskip(SKIP_1) | instid1(VALU_DEP_1)
	v_mul_f64_e64 v[8:9], |v[2:3]|, s[8:9]
	s_mov_b64 s[8:9], 0xbff921fb54442d18
	v_rndne_f64_e32 v[14:15], v[8:9]
	s_delay_alu instid0(VALU_DEP_1) | instskip(SKIP_2) | instid1(VALU_DEP_3)
	v_fma_f64 v[8:9], v[14:15], s[8:9], |v[2:3]|
	v_mul_f64_e32 v[10:11], 0xbc91a62633145c00, v[14:15]
	v_cvt_i32_f64_e32 v13, v[14:15]
	v_fmamk_f64 v[20:21], v[14:15], 0xbc91a62633145c00, v[8:9]
	s_delay_alu instid0(VALU_DEP_3) | instskip(NEXT) | instid1(VALU_DEP_1)
	v_add_f64_e32 v[16:17], v[8:9], v[10:11]
	v_add_f64_e64 v[18:19], v[8:9], -v[16:17]
	s_delay_alu instid0(VALU_DEP_3) | instskip(NEXT) | instid1(VALU_DEP_2)
	v_add_f64_e64 v[8:9], v[16:17], -v[20:21]
	v_add_f64_e32 v[16:17], v[18:19], v[10:11]
	v_fmamk_f64 v[10:11], v[14:15], 0x3c91a62633145c00, v[10:11]
	s_delay_alu instid0(VALU_DEP_2) | instskip(NEXT) | instid1(VALU_DEP_1)
	v_add_f64_e32 v[8:9], v[8:9], v[16:17]
	v_add_f64_e64 v[8:9], v[8:9], -v[10:11]
	s_delay_alu instid0(VALU_DEP_1) | instskip(NEXT) | instid1(VALU_DEP_1)
	v_fmamk_f64 v[10:11], v[14:15], 0xb97b839a252049c0, v[8:9]
	v_add_f64_e32 v[8:9], v[20:21], v[10:11]
	s_delay_alu instid0(VALU_DEP_1) | instskip(NEXT) | instid1(VALU_DEP_1)
	v_add_f64_e64 v[16:17], v[8:9], -v[20:21]
	v_add_f64_e64 v[10:11], v[10:11], -v[16:17]
.LBB105_18:
	s_or_b32 exec_lo, exec_lo, s0
	s_delay_alu instid0(VALU_DEP_1)
	v_mul_f64_e32 v[52:53], 0.5, v[10:11]
	v_cmp_class_f64_e64 s0, v[2:3], 0x1f8
	v_and_b32_e32 v2, 1, v13
	v_mul_f64_e32 v[16:17], v[8:9], v[8:9]
	v_mov_b64_e32 v[18:19], 0xbe5ae600b42fdfa7
	v_mov_b64_e32 v[26:27], 0x3ec71de3796cde01
	;; [unrolled: 1-line block ×3, first 2 shown]
	v_cmp_eq_u32_e64 s1, 0, v2
	v_lshlrev_b32_e32 v2, 30, v13
	v_mul_f64_e32 v[14:15], v[4:5], v[4:5]
	v_mov_b64_e32 v[24:25], 0x3e21eeb69037ab78
	v_mov_b64_e32 v[32:33], 0xbe927e4fa17f65f6
	;; [unrolled: 1-line block ×3, first 2 shown]
	v_xor_b32_e32 v2, v2, v3
	v_mov_b64_e32 v[50:51], 0x3f81111111110bb3
	v_mul_f64_e64 v[54:55], v[8:9], -v[16:17]
	v_fmamk_f64 v[20:21], v[14:15], 0x3de5e0b2f9a43bb8, v[18:19]
	v_fmac_f64_e32 v[18:19], 0x3de5e0b2f9a43bb8, v[16:17]
	v_mul_f64_e32 v[22:23], 0.5, v[14:15]
	v_mul_f64_e64 v[36:37], v[4:5], -v[14:15]
	v_fmamk_f64 v[28:29], v[14:15], 0xbda907db46cc5e42, v[24:25]
	v_fmac_f64_e32 v[24:25], 0xbda907db46cc5e42, v[16:17]
	v_fmaak_f64 v[20:21], v[14:15], v[20:21], 0x3ec71de3796cde01
	s_delay_alu instid0(VALU_DEP_1) | instskip(NEXT) | instid1(VALU_DEP_1)
	v_fmaak_f64 v[20:21], v[14:15], v[20:21], 0xbf2a01a019e83e5c
	v_fmaak_f64 v[20:21], v[14:15], v[20:21], 0x3f81111111110bb3
	v_fmac_f64_e32 v[26:27], v[16:17], v[18:19]
	v_add_f64_e64 v[18:19], -v[22:23], 1.0
	v_fmac_f64_e32 v[32:33], v[16:17], v[24:25]
	s_delay_alu instid0(VALU_DEP_3) | instskip(SKIP_1) | instid1(VALU_DEP_4)
	v_fmac_f64_e32 v[34:35], v[16:17], v[26:27]
	v_mul_f64_e32 v[26:27], 0.5, v[6:7]
	v_add_f64_e64 v[38:39], -v[18:19], 1.0
	s_delay_alu instid0(VALU_DEP_4) | instskip(NEXT) | instid1(VALU_DEP_4)
	v_fmac_f64_e32 v[48:49], v[16:17], v[32:33]
	v_fmac_f64_e32 v[50:51], v[16:17], v[34:35]
	s_delay_alu instid0(VALU_DEP_4) | instskip(NEXT) | instid1(VALU_DEP_4)
	v_fmac_f64_e32 v[26:27], v[36:37], v[20:21]
	v_add_f64_e64 v[20:21], v[38:39], -v[22:23]
	v_mov_b64_e32 v[22:23], 0xbf56c16c16c16967
	v_mul_f64_e32 v[34:35], v[16:17], v[16:17]
	s_delay_alu instid0(VALU_DEP_2)
	v_fmac_f64_e32 v[22:23], v[16:17], v[48:49]
	v_fmac_f64_e32 v[52:53], v[54:55], v[50:51]
	v_fma_f64 v[26:27], v[14:15], v[26:27], -v[6:7]
	v_fma_f64 v[6:7], v[4:5], -v[6:7], v[20:21]
	v_fmaak_f64 v[20:21], v[14:15], v[28:29], 0xbe927e4fa17f65f6
	v_mov_b64_e32 v[28:29], 0x3fa5555555555555
	s_delay_alu instid0(VALU_DEP_2) | instskip(NEXT) | instid1(VALU_DEP_2)
	v_fmaak_f64 v[20:21], v[14:15], v[20:21], 0x3efa01a019f4ec90
	v_fmac_f64_e32 v[28:29], v[16:17], v[22:23]
	s_delay_alu instid0(VALU_DEP_2) | instskip(SKIP_1) | instid1(VALU_DEP_1)
	v_fmaak_f64 v[20:21], v[14:15], v[20:21], 0xbf56c16c16c16967
	v_fmac_f64_e32 v[26:27], 0xbfc5555555555555, v[36:37]
	v_add_f64_e64 v[4:5], v[4:5], -v[26:27]
	v_mul_f64_e32 v[30:31], 0.5, v[16:17]
	s_delay_alu instid0(VALU_DEP_2) | instskip(NEXT) | instid1(VALU_DEP_2)
	v_xor_b32_e32 v5, 0x80000000, v5
	v_add_f64_e64 v[24:25], -v[30:31], 1.0
	s_delay_alu instid0(VALU_DEP_1) | instskip(NEXT) | instid1(VALU_DEP_1)
	v_add_f64_e64 v[32:33], -v[24:25], 1.0
	v_add_f64_e64 v[30:31], v[32:33], -v[30:31]
	v_mul_f64_e32 v[32:33], v[14:15], v[14:15]
	v_fmaak_f64 v[14:15], v[14:15], v[20:21], 0x3fa5555555555555
	s_delay_alu instid0(VALU_DEP_3) | instskip(SKIP_1) | instid1(VALU_DEP_3)
	v_fma_f64 v[22:23], v[8:9], -v[10:11], v[30:31]
	v_fma_f64 v[10:11], v[16:17], v[52:53], -v[10:11]
	v_fmac_f64_e32 v[6:7], v[32:33], v[14:15]
	s_delay_alu instid0(VALU_DEP_3) | instskip(NEXT) | instid1(VALU_DEP_3)
	v_fmac_f64_e32 v[22:23], v[34:35], v[28:29]
	v_fmac_f64_e32 v[10:11], 0xbfc5555555555555, v[54:55]
	s_delay_alu instid0(VALU_DEP_3) | instskip(NEXT) | instid1(VALU_DEP_3)
	v_add_f64_e32 v[6:7], v[18:19], v[6:7]
	v_add_f64_e32 v[14:15], v[24:25], v[22:23]
	s_delay_alu instid0(VALU_DEP_3) | instskip(NEXT) | instid1(VALU_DEP_1)
	v_dual_add_f64 v[8:9], v[8:9], -v[10:11] :: v_dual_bitop2_b32 v10, 1, v12 bitop3:0x40
	v_cmp_eq_u32_e32 vcc_lo, 0, v10
	s_delay_alu instid0(VALU_DEP_4) | instskip(SKIP_1) | instid1(VALU_DEP_1)
	v_dual_cndmask_b32 v4, v4, v6, vcc_lo :: v_dual_lshlrev_b32 v6, 30, v12
	v_cndmask_b32_e32 v5, v5, v7, vcc_lo
	v_bitop3_b32 v3, v5, v6, 0x80000000 bitop3:0x78
	s_delay_alu instid0(VALU_DEP_1) | instskip(SKIP_1) | instid1(VALU_DEP_1)
	v_cndmask_b32_e64 v3, 0x7ff80000, v3, s0
	v_dual_cndmask_b32 v7, v14, v8, s1 :: v_dual_cndmask_b32 v8, v15, v9, s1
	v_bitop3_b32 v5, v8, v2, 0x80000000 bitop3:0x78
	s_delay_alu instid0(VALU_DEP_2) | instskip(NEXT) | instid1(VALU_DEP_2)
	v_dual_cndmask_b32 v2, 0, v4, s0 :: v_dual_cndmask_b32 v4, 0, v7, s0
	v_cndmask_b32_e64 v5, 0x7ff80000, v5, s0
	s_delay_alu instid0(VALU_DEP_2) | instskip(NEXT) | instid1(VALU_DEP_2)
	v_mul_f64_e32 v[6:7], v[0:1], v[2:3]
                                        ; implicit-def: $vgpr0_vgpr1
                                        ; implicit-def: $vgpr2_vgpr3
	v_mul_f64_e32 v[4:5], 0x7ff00000, v[4:5]
.LBB105_19:
	s_and_not1_saveexec_b32 s0, s7
	s_cbranch_execz .LBB105_21
; %bb.20:
	v_add_f64_e64 v[2:3], v[2:3], -v[2:3]
	v_mul_f64_e32 v[6:7], v[0:1], v[0:1]
	s_delay_alu instid0(VALU_DEP_2)
	v_mul_f64_e32 v[4:5], v[0:1], v[2:3]
.LBB105_21:
	s_or_b32 exec_lo, exec_lo, s0
.LBB105_22:
	s_delay_alu instid0(SALU_CYCLE_1)
	s_or_b32 exec_lo, exec_lo, s2
                                        ; implicit-def: $vgpr2_vgpr3
                                        ; implicit-def: $vgpr0_vgpr1
.LBB105_23:
	s_and_not1_saveexec_b32 s0, s6
	s_cbranch_execz .LBB105_25
; %bb.24:
	v_add_f64_e64 v[6:7], v[2:3], -v[2:3]
	s_delay_alu instid0(VALU_DEP_1)
	v_mul_f64_e32 v[4:5], v[0:1], v[6:7]
.LBB105_25:
	s_or_b32 exec_lo, exec_lo, s0
                                        ; implicit-def: $vgpr1
                                        ; implicit-def: $vgpr2_vgpr3
.LBB105_26:
	s_and_not1_saveexec_b32 s0, s3
; %bb.27:
	v_and_or_b32 v4, 0xfffff, v1, v0
	v_and_b32_e32 v5, 0x80000000, v3
	v_mov_b64_e32 v[6:7], v[0:1]
	s_delay_alu instid0(VALU_DEP_3) | instskip(NEXT) | instid1(VALU_DEP_3)
	v_cmp_eq_u32_e32 vcc_lo, 0, v4
	v_dual_cndmask_b32 v5, v5, v3 :: v_dual_cndmask_b32 v4, 0, v2
; %bb.28:
	s_or_b32 exec_lo, exec_lo, s0
                                        ; implicit-def: $vgpr2_vgpr3
                                        ; implicit-def: $vgpr0_vgpr1
.LBB105_29:
	s_and_not1_saveexec_b32 s0, s5
	s_cbranch_execz .LBB105_31
; %bb.30:
	v_dual_add_f64 v[4:5], v[2:3], -v[2:3] :: v_dual_mov_b32 v6, 0
	s_delay_alu instid0(VALU_DEP_1) | instskip(NEXT) | instid1(VALU_DEP_1)
	v_mul_f64_e32 v[0:1], v[0:1], v[4:5]
	v_bfi_b32 v7, 0x7fffffff, 0, v1
.LBB105_31:
	s_or_b32 exec_lo, exec_lo, s0
                                        ; implicit-def: $vgpr2_vgpr3
                                        ; implicit-def: $vgpr0_vgpr1
                                        ; implicit-def: $vgpr9
                                        ; implicit-def: $vgpr8
.LBB105_32:
	s_and_not1_saveexec_b32 s3, s4
	s_cbranch_execz .LBB105_82
; %bb.33:
	v_or_b32_e32 v4, v9, v2
                                        ; implicit-def: $vgpr6_vgpr7
	s_delay_alu instid0(VALU_DEP_1) | instskip(SKIP_1) | instid1(SALU_CYCLE_1)
	v_cmp_ne_u32_e32 vcc_lo, 0, v4
                                        ; implicit-def: $vgpr4_vgpr5
	s_and_saveexec_b32 s0, vcc_lo
	s_xor_b32 s4, exec_lo, s0
	s_cbranch_execz .LBB105_79
; %bb.34:
                                        ; implicit-def: $vgpr4_vgpr5
                                        ; implicit-def: $vgpr6_vgpr7
	s_mov_b32 s0, exec_lo
	v_cmpx_lt_u32_e32 0x4035ffff, v8
	s_xor_b32 s5, exec_lo, s0
	s_cbranch_execz .LBB105_68
; %bb.35:
                                        ; implicit-def: $vgpr4_vgpr5
                                        ; implicit-def: $vgpr6_vgpr7
	s_mov_b32 s0, exec_lo
	v_cmpx_lt_u32_e32 0x40862e41, v8
	s_xor_b32 s6, exec_lo, s0
	s_cbranch_execz .LBB105_57
; %bb.36:
	v_cmp_ngt_f64_e64 s2, 0x41d00000, |v[2:3]|
                                        ; implicit-def: $vgpr4_vgpr5
                                        ; implicit-def: $vgpr6_vgpr7
	s_mov_b32 s0, exec_lo
	v_cmpx_lt_u32_e32 0x4096bba9, v8
	s_xor_b32 s7, exec_lo, s0
	s_cbranch_execz .LBB105_46
; %bb.37:
                                        ; implicit-def: $vgpr12
                                        ; implicit-def: $vgpr4_vgpr5
                                        ; implicit-def: $vgpr6_vgpr7
	s_and_saveexec_b32 s0, s2
	s_delay_alu instid0(SALU_CYCLE_1)
	s_xor_b32 s0, exec_lo, s0
	s_cbranch_execz .LBB105_39
; %bb.38:
	v_ldexp_f64 v[4:5], |v[2:3]|, 0xffffff80
	v_cmp_le_f64_e64 vcc_lo, 0x7b000000, |v[2:3]|
	v_trig_preop_f64 v[6:7], |v[2:3]|, 0
	v_and_b32_e32 v8, 0x7fffffff, v3
	v_trig_preop_f64 v[18:19], |v[2:3]|, 2
	s_mov_b64 s[8:9], 0x3ff921fb54442d18
	s_delay_alu instid0(VALU_DEP_2) | instskip(SKIP_2) | instid1(VALU_DEP_2)
	v_dual_mov_b32 v26, 0 :: v_dual_cndmask_b32 v5, v8, v5
	v_cndmask_b32_e32 v4, v2, v4, vcc_lo
	v_trig_preop_f64 v[8:9], |v[2:3]|, 1
	v_mul_f64_e32 v[10:11], v[6:7], v[4:5]
	v_mul_f64_e32 v[24:25], v[18:19], v[4:5]
	s_delay_alu instid0(VALU_DEP_3) | instskip(NEXT) | instid1(VALU_DEP_3)
	v_mul_f64_e32 v[12:13], v[8:9], v[4:5]
	v_fma_f64 v[6:7], v[6:7], v[4:5], -v[10:11]
	s_delay_alu instid0(VALU_DEP_2) | instskip(NEXT) | instid1(VALU_DEP_4)
	v_fma_f64 v[8:9], v[8:9], v[4:5], -v[12:13]
	v_fma_f64 v[4:5], v[18:19], v[4:5], -v[24:25]
	s_delay_alu instid0(VALU_DEP_3) | instskip(NEXT) | instid1(VALU_DEP_1)
	v_add_f64_e32 v[14:15], v[12:13], v[6:7]
	v_add_f64_e64 v[16:17], v[14:15], -v[12:13]
	v_add_f64_e32 v[22:23], v[10:11], v[14:15]
	s_delay_alu instid0(VALU_DEP_2) | instskip(SKIP_1) | instid1(VALU_DEP_3)
	v_add_f64_e64 v[20:21], v[14:15], -v[16:17]
	v_add_f64_e64 v[6:7], v[6:7], -v[16:17]
	v_ldexp_f64 v[16:17], v[22:23], -2
	s_delay_alu instid0(VALU_DEP_3) | instskip(SKIP_1) | instid1(VALU_DEP_3)
	v_add_f64_e64 v[12:13], v[12:13], -v[20:21]
	v_add_f64_e32 v[20:21], v[24:25], v[8:9]
	v_cmp_neq_f64_e64 vcc_lo, 0x7ff00000, |v[16:17]|
	s_delay_alu instid0(VALU_DEP_3) | instskip(SKIP_1) | instid1(VALU_DEP_1)
	v_add_f64_e32 v[6:7], v[6:7], v[12:13]
	v_fract_f64_e32 v[12:13], v[16:17]
	v_ldexp_f64 v[12:13], v[12:13], 2
	s_delay_alu instid0(VALU_DEP_1) | instskip(NEXT) | instid1(VALU_DEP_1)
	v_dual_add_f64 v[10:11], v[22:23], -v[10:11] :: v_dual_cndmask_b32 v12, 0, v12, vcc_lo
	v_dual_add_f64 v[10:11], v[14:15], -v[10:11] :: v_dual_cndmask_b32 v13, 0, v13, vcc_lo
	v_add_f64_e32 v[14:15], v[20:21], v[6:7]
	s_delay_alu instid0(VALU_DEP_1) | instskip(SKIP_1) | instid1(VALU_DEP_2)
	v_add_f64_e32 v[16:17], v[10:11], v[14:15]
	v_add_f64_e64 v[28:29], v[14:15], -v[20:21]
	v_add_f64_e32 v[22:23], v[16:17], v[12:13]
	s_delay_alu instid0(VALU_DEP_2) | instskip(SKIP_2) | instid1(VALU_DEP_4)
	v_add_f64_e64 v[34:35], v[14:15], -v[28:29]
	v_add_f64_e64 v[6:7], v[6:7], -v[28:29]
	v_add_f64_e64 v[10:11], v[16:17], -v[10:11]
	v_cmp_gt_f64_e32 vcc_lo, 0, v[22:23]
	v_add_f64_e64 v[22:23], v[20:21], -v[24:25]
	s_delay_alu instid0(VALU_DEP_3) | instskip(SKIP_1) | instid1(VALU_DEP_3)
	v_add_f64_e64 v[10:11], v[14:15], -v[10:11]
	v_cndmask_b32_e64 v27, 0, 0x40100000, vcc_lo
	v_add_f64_e64 v[32:33], v[20:21], -v[22:23]
	v_add_f64_e64 v[8:9], v[8:9], -v[22:23]
	;; [unrolled: 1-line block ×3, first 2 shown]
	s_delay_alu instid0(VALU_DEP_4) | instskip(NEXT) | instid1(VALU_DEP_4)
	v_add_f64_e32 v[12:13], v[12:13], v[26:27]
	v_add_f64_e64 v[22:23], v[24:25], -v[32:33]
	s_delay_alu instid0(VALU_DEP_3) | instskip(NEXT) | instid1(VALU_DEP_3)
	v_add_f64_e32 v[6:7], v[6:7], v[20:21]
	v_add_f64_e32 v[30:31], v[16:17], v[12:13]
	s_delay_alu instid0(VALU_DEP_3) | instskip(NEXT) | instid1(VALU_DEP_2)
	v_add_f64_e32 v[8:9], v[8:9], v[22:23]
	v_cvt_i32_f64_e32 v27, v[30:31]
	s_delay_alu instid0(VALU_DEP_2) | instskip(NEXT) | instid1(VALU_DEP_2)
	v_add_f64_e32 v[6:7], v[8:9], v[6:7]
	v_cvt_f64_i32_e32 v[28:29], v27
	s_delay_alu instid0(VALU_DEP_2) | instskip(NEXT) | instid1(VALU_DEP_2)
	v_add_f64_e32 v[4:5], v[4:5], v[6:7]
	v_add_f64_e64 v[12:13], v[12:13], -v[28:29]
	s_delay_alu instid0(VALU_DEP_2) | instskip(NEXT) | instid1(VALU_DEP_2)
	v_add_f64_e32 v[4:5], v[10:11], v[4:5]
	v_add_f64_e32 v[8:9], v[16:17], v[12:13]
	s_delay_alu instid0(VALU_DEP_1) | instskip(SKIP_1) | instid1(VALU_DEP_2)
	v_add_f64_e64 v[6:7], v[8:9], -v[12:13]
	v_cmp_le_f64_e32 vcc_lo, 0.5, v[8:9]
	v_add_f64_e64 v[6:7], v[16:17], -v[6:7]
	v_add_co_ci_u32_e64 v12, null, 0, v27, vcc_lo
	v_cndmask_b32_e64 v27, 0, 0x3ff00000, vcc_lo
	s_delay_alu instid0(VALU_DEP_3) | instskip(NEXT) | instid1(VALU_DEP_2)
	v_add_f64_e32 v[4:5], v[4:5], v[6:7]
	v_add_f64_e64 v[6:7], v[8:9], -v[26:27]
	s_delay_alu instid0(VALU_DEP_1) | instskip(NEXT) | instid1(VALU_DEP_1)
	v_add_f64_e32 v[8:9], v[6:7], v[4:5]
	v_mul_f64_e32 v[10:11], 0x3ff921fb54442d18, v[8:9]
	v_add_f64_e64 v[6:7], v[8:9], -v[6:7]
	s_delay_alu instid0(VALU_DEP_2) | instskip(NEXT) | instid1(VALU_DEP_2)
	v_fma_f64 v[14:15], v[8:9], s[8:9], -v[10:11]
	v_add_f64_e64 v[4:5], v[4:5], -v[6:7]
	s_delay_alu instid0(VALU_DEP_2) | instskip(NEXT) | instid1(VALU_DEP_1)
	v_fmamk_f64 v[6:7], v[8:9], 0x3c91a62633145c07, v[14:15]
	v_fmac_f64_e32 v[6:7], 0x3ff921fb54442d18, v[4:5]
	s_delay_alu instid0(VALU_DEP_1) | instskip(NEXT) | instid1(VALU_DEP_1)
	v_add_f64_e32 v[4:5], v[10:11], v[6:7]
	v_add_f64_e64 v[8:9], v[4:5], -v[10:11]
	s_delay_alu instid0(VALU_DEP_1)
	v_add_f64_e64 v[6:7], v[6:7], -v[8:9]
	s_and_not1_saveexec_b32 s0, s0
	s_cbranch_execz .LBB105_41
	s_branch .LBB105_40
.LBB105_39:
	s_and_not1_saveexec_b32 s0, s0
	s_cbranch_execz .LBB105_41
.LBB105_40:
	s_mov_b64 s[8:9], 0x3fe45f306dc9c883
	s_delay_alu instid0(SALU_CYCLE_1) | instskip(SKIP_1) | instid1(VALU_DEP_1)
	v_mul_f64_e64 v[4:5], |v[2:3]|, s[8:9]
	s_mov_b64 s[8:9], 0xbff921fb54442d18
	v_rndne_f64_e32 v[8:9], v[4:5]
	s_delay_alu instid0(VALU_DEP_1) | instskip(SKIP_1) | instid1(VALU_DEP_2)
	v_fma_f64 v[4:5], v[8:9], s[8:9], |v[2:3]|
	v_mul_f64_e32 v[6:7], 0xbc91a62633145c00, v[8:9]
	v_fmamk_f64 v[14:15], v[8:9], 0xbc91a62633145c00, v[4:5]
	s_delay_alu instid0(VALU_DEP_2) | instskip(NEXT) | instid1(VALU_DEP_1)
	v_add_f64_e32 v[10:11], v[4:5], v[6:7]
	v_add_f64_e64 v[12:13], v[4:5], -v[10:11]
	s_delay_alu instid0(VALU_DEP_3) | instskip(NEXT) | instid1(VALU_DEP_2)
	v_add_f64_e64 v[4:5], v[10:11], -v[14:15]
	v_add_f64_e32 v[10:11], v[12:13], v[6:7]
	v_fmamk_f64 v[6:7], v[8:9], 0x3c91a62633145c00, v[6:7]
	v_cvt_i32_f64_e32 v12, v[8:9]
	s_delay_alu instid0(VALU_DEP_3) | instskip(NEXT) | instid1(VALU_DEP_1)
	v_add_f64_e32 v[4:5], v[4:5], v[10:11]
	v_add_f64_e64 v[4:5], v[4:5], -v[6:7]
	s_delay_alu instid0(VALU_DEP_1) | instskip(NEXT) | instid1(VALU_DEP_1)
	v_fmamk_f64 v[6:7], v[8:9], 0xb97b839a252049c0, v[4:5]
	v_add_f64_e32 v[4:5], v[14:15], v[6:7]
	s_delay_alu instid0(VALU_DEP_1) | instskip(NEXT) | instid1(VALU_DEP_1)
	v_add_f64_e64 v[10:11], v[4:5], -v[14:15]
	v_add_f64_e64 v[6:7], v[6:7], -v[10:11]
.LBB105_41:
	s_or_b32 exec_lo, exec_lo, s0
                                        ; implicit-def: $vgpr13
                                        ; implicit-def: $vgpr8_vgpr9
                                        ; implicit-def: $vgpr10_vgpr11
	s_and_saveexec_b32 s0, s2
	s_delay_alu instid0(SALU_CYCLE_1)
	s_xor_b32 s0, exec_lo, s0
	s_cbranch_execz .LBB105_43
; %bb.42:
	v_ldexp_f64 v[8:9], |v[2:3]|, 0xffffff80
	v_cmp_le_f64_e64 vcc_lo, 0x7b000000, |v[2:3]|
	v_trig_preop_f64 v[10:11], |v[2:3]|, 0
	v_and_b32_e32 v13, 0x7fffffff, v3
	v_trig_preop_f64 v[14:15], |v[2:3]|, 1
	v_trig_preop_f64 v[24:25], |v[2:3]|, 2
	s_mov_b64 s[8:9], 0x3ff921fb54442d18
	s_delay_alu instid0(VALU_DEP_3) | instskip(SKIP_1) | instid1(VALU_DEP_1)
	v_dual_mov_b32 v32, 0 :: v_dual_cndmask_b32 v9, v13, v9
	v_cndmask_b32_e32 v8, v2, v8, vcc_lo
	v_mul_f64_e32 v[16:17], v[10:11], v[8:9]
	v_mul_f64_e32 v[18:19], v[14:15], v[8:9]
	;; [unrolled: 1-line block ×3, first 2 shown]
	s_delay_alu instid0(VALU_DEP_3) | instskip(NEXT) | instid1(VALU_DEP_3)
	v_fma_f64 v[10:11], v[10:11], v[8:9], -v[16:17]
	v_fma_f64 v[14:15], v[14:15], v[8:9], -v[18:19]
	s_delay_alu instid0(VALU_DEP_3) | instskip(NEXT) | instid1(VALU_DEP_3)
	v_fma_f64 v[8:9], v[24:25], v[8:9], -v[30:31]
	v_add_f64_e32 v[20:21], v[18:19], v[10:11]
	s_delay_alu instid0(VALU_DEP_1) | instskip(SKIP_1) | instid1(VALU_DEP_2)
	v_add_f64_e64 v[22:23], v[20:21], -v[18:19]
	v_add_f64_e32 v[28:29], v[16:17], v[20:21]
	v_add_f64_e64 v[26:27], v[20:21], -v[22:23]
	v_add_f64_e64 v[10:11], v[10:11], -v[22:23]
	s_delay_alu instid0(VALU_DEP_3) | instskip(NEXT) | instid1(VALU_DEP_3)
	v_ldexp_f64 v[22:23], v[28:29], -2
	v_add_f64_e64 v[18:19], v[18:19], -v[26:27]
	v_add_f64_e32 v[26:27], v[30:31], v[14:15]
	s_delay_alu instid0(VALU_DEP_3) | instskip(NEXT) | instid1(VALU_DEP_3)
	v_cmp_neq_f64_e64 vcc_lo, 0x7ff00000, |v[22:23]|
	v_add_f64_e32 v[10:11], v[10:11], v[18:19]
	v_fract_f64_e32 v[18:19], v[22:23]
	s_delay_alu instid0(VALU_DEP_1) | instskip(NEXT) | instid1(VALU_DEP_1)
	v_ldexp_f64 v[18:19], v[18:19], 2
	v_dual_add_f64 v[16:17], v[28:29], -v[16:17] :: v_dual_cndmask_b32 v19, 0, v19, vcc_lo
	s_delay_alu instid0(VALU_DEP_1) | instskip(SKIP_1) | instid1(VALU_DEP_1)
	v_dual_add_f64 v[16:17], v[20:21], -v[16:17] :: v_dual_cndmask_b32 v18, 0, v18, vcc_lo
	v_add_f64_e32 v[20:21], v[26:27], v[10:11]
	v_add_f64_e32 v[22:23], v[16:17], v[20:21]
	v_add_f64_e64 v[34:35], v[20:21], -v[26:27]
	s_delay_alu instid0(VALU_DEP_2) | instskip(NEXT) | instid1(VALU_DEP_2)
	v_add_f64_e32 v[28:29], v[22:23], v[18:19]
	v_add_f64_e64 v[48:49], v[20:21], -v[34:35]
	v_add_f64_e64 v[10:11], v[10:11], -v[34:35]
	;; [unrolled: 1-line block ×3, first 2 shown]
	s_delay_alu instid0(VALU_DEP_4) | instskip(SKIP_1) | instid1(VALU_DEP_3)
	v_cmp_gt_f64_e32 vcc_lo, 0, v[28:29]
	v_add_f64_e64 v[28:29], v[26:27], -v[30:31]
	v_add_f64_e64 v[16:17], v[20:21], -v[16:17]
	v_cndmask_b32_e64 v33, 0, 0x40100000, vcc_lo
	s_delay_alu instid0(VALU_DEP_3) | instskip(SKIP_2) | instid1(VALU_DEP_4)
	v_add_f64_e64 v[38:39], v[26:27], -v[28:29]
	v_add_f64_e64 v[14:15], v[14:15], -v[28:29]
	;; [unrolled: 1-line block ×3, first 2 shown]
	v_add_f64_e32 v[18:19], v[18:19], v[32:33]
	s_delay_alu instid0(VALU_DEP_4) | instskip(NEXT) | instid1(VALU_DEP_3)
	v_add_f64_e64 v[28:29], v[30:31], -v[38:39]
	v_add_f64_e32 v[10:11], v[10:11], v[26:27]
	s_delay_alu instid0(VALU_DEP_3) | instskip(NEXT) | instid1(VALU_DEP_3)
	v_add_f64_e32 v[36:37], v[22:23], v[18:19]
	v_add_f64_e32 v[14:15], v[14:15], v[28:29]
	s_delay_alu instid0(VALU_DEP_2) | instskip(NEXT) | instid1(VALU_DEP_2)
	v_cvt_i32_f64_e32 v13, v[36:37]
	v_add_f64_e32 v[10:11], v[14:15], v[10:11]
	s_delay_alu instid0(VALU_DEP_2) | instskip(NEXT) | instid1(VALU_DEP_2)
	v_cvt_f64_i32_e32 v[34:35], v13
	v_add_f64_e32 v[8:9], v[8:9], v[10:11]
	s_delay_alu instid0(VALU_DEP_2) | instskip(NEXT) | instid1(VALU_DEP_2)
	v_add_f64_e64 v[18:19], v[18:19], -v[34:35]
	v_add_f64_e32 v[8:9], v[16:17], v[8:9]
	s_delay_alu instid0(VALU_DEP_2) | instskip(NEXT) | instid1(VALU_DEP_1)
	v_add_f64_e32 v[14:15], v[22:23], v[18:19]
	v_add_f64_e64 v[10:11], v[14:15], -v[18:19]
	v_cmp_le_f64_e32 vcc_lo, 0.5, v[14:15]
	s_delay_alu instid0(VALU_DEP_2) | instskip(SKIP_2) | instid1(VALU_DEP_3)
	v_add_f64_e64 v[10:11], v[22:23], -v[10:11]
	v_cndmask_b32_e64 v33, 0, 0x3ff00000, vcc_lo
	v_add_co_ci_u32_e64 v13, null, 0, v13, vcc_lo
	v_add_f64_e32 v[8:9], v[8:9], v[10:11]
	s_delay_alu instid0(VALU_DEP_3) | instskip(NEXT) | instid1(VALU_DEP_1)
	v_add_f64_e64 v[10:11], v[14:15], -v[32:33]
	v_add_f64_e32 v[14:15], v[10:11], v[8:9]
	s_delay_alu instid0(VALU_DEP_1) | instskip(SKIP_1) | instid1(VALU_DEP_2)
	v_mul_f64_e32 v[16:17], 0x3ff921fb54442d18, v[14:15]
	v_add_f64_e64 v[10:11], v[14:15], -v[10:11]
	v_fma_f64 v[18:19], v[14:15], s[8:9], -v[16:17]
	s_delay_alu instid0(VALU_DEP_2) | instskip(NEXT) | instid1(VALU_DEP_2)
	v_add_f64_e64 v[8:9], v[8:9], -v[10:11]
	v_fmamk_f64 v[10:11], v[14:15], 0x3c91a62633145c07, v[18:19]
	s_delay_alu instid0(VALU_DEP_1) | instskip(NEXT) | instid1(VALU_DEP_1)
	v_fmac_f64_e32 v[10:11], 0x3ff921fb54442d18, v[8:9]
	v_add_f64_e32 v[8:9], v[16:17], v[10:11]
	s_delay_alu instid0(VALU_DEP_1) | instskip(NEXT) | instid1(VALU_DEP_1)
	v_add_f64_e64 v[14:15], v[8:9], -v[16:17]
	v_add_f64_e64 v[10:11], v[10:11], -v[14:15]
	s_and_not1_saveexec_b32 s0, s0
	s_cbranch_execnz .LBB105_44
	s_branch .LBB105_45
.LBB105_43:
	s_and_not1_saveexec_b32 s0, s0
	s_cbranch_execz .LBB105_45
.LBB105_44:
	s_mov_b64 s[8:9], 0x3fe45f306dc9c883
	s_delay_alu instid0(SALU_CYCLE_1) | instskip(SKIP_1) | instid1(VALU_DEP_1)
	v_mul_f64_e64 v[8:9], |v[2:3]|, s[8:9]
	s_mov_b64 s[8:9], 0xbff921fb54442d18
	v_rndne_f64_e32 v[14:15], v[8:9]
	s_delay_alu instid0(VALU_DEP_1) | instskip(SKIP_2) | instid1(VALU_DEP_3)
	v_fma_f64 v[8:9], v[14:15], s[8:9], |v[2:3]|
	v_mul_f64_e32 v[10:11], 0xbc91a62633145c00, v[14:15]
	v_cvt_i32_f64_e32 v13, v[14:15]
	v_fmamk_f64 v[20:21], v[14:15], 0xbc91a62633145c00, v[8:9]
	s_delay_alu instid0(VALU_DEP_3) | instskip(NEXT) | instid1(VALU_DEP_1)
	v_add_f64_e32 v[16:17], v[8:9], v[10:11]
	v_add_f64_e64 v[18:19], v[8:9], -v[16:17]
	s_delay_alu instid0(VALU_DEP_3) | instskip(NEXT) | instid1(VALU_DEP_2)
	v_add_f64_e64 v[8:9], v[16:17], -v[20:21]
	v_add_f64_e32 v[16:17], v[18:19], v[10:11]
	v_fmamk_f64 v[10:11], v[14:15], 0x3c91a62633145c00, v[10:11]
	s_delay_alu instid0(VALU_DEP_2) | instskip(NEXT) | instid1(VALU_DEP_1)
	v_add_f64_e32 v[8:9], v[8:9], v[16:17]
	v_add_f64_e64 v[8:9], v[8:9], -v[10:11]
	s_delay_alu instid0(VALU_DEP_1) | instskip(NEXT) | instid1(VALU_DEP_1)
	v_fmamk_f64 v[10:11], v[14:15], 0xb97b839a252049c0, v[8:9]
	v_add_f64_e32 v[8:9], v[20:21], v[10:11]
	s_delay_alu instid0(VALU_DEP_1) | instskip(NEXT) | instid1(VALU_DEP_1)
	v_add_f64_e64 v[16:17], v[8:9], -v[20:21]
	v_add_f64_e64 v[10:11], v[10:11], -v[16:17]
.LBB105_45:
	s_or_b32 exec_lo, exec_lo, s0
	s_delay_alu instid0(VALU_DEP_1)
	v_mul_f64_e32 v[52:53], 0.5, v[10:11]
	v_cmp_class_f64_e64 s0, v[2:3], 0x1f8
	v_and_b32_e32 v2, 1, v13
	v_mul_f64_e32 v[16:17], v[8:9], v[8:9]
	v_mov_b64_e32 v[18:19], 0xbe5ae600b42fdfa7
	v_mov_b64_e32 v[26:27], 0x3ec71de3796cde01
	;; [unrolled: 1-line block ×3, first 2 shown]
	v_cmp_eq_u32_e64 s1, 0, v2
	v_lshlrev_b32_e32 v2, 30, v13
	v_mul_f64_e32 v[14:15], v[4:5], v[4:5]
	v_mov_b64_e32 v[24:25], 0x3e21eeb69037ab78
	v_mov_b64_e32 v[32:33], 0xbe927e4fa17f65f6
	;; [unrolled: 1-line block ×3, first 2 shown]
	v_xor_b32_e32 v2, v2, v3
	v_mov_b64_e32 v[50:51], 0x3f81111111110bb3
	v_ldexp_f64 v[0:1], v[0:1], 0x3ff
	v_mul_f64_e64 v[54:55], v[8:9], -v[16:17]
	v_fmamk_f64 v[20:21], v[14:15], 0x3de5e0b2f9a43bb8, v[18:19]
	v_fmac_f64_e32 v[18:19], 0x3de5e0b2f9a43bb8, v[16:17]
	v_mul_f64_e32 v[22:23], 0.5, v[14:15]
	v_mul_f64_e64 v[36:37], v[4:5], -v[14:15]
	v_fmamk_f64 v[28:29], v[14:15], 0xbda907db46cc5e42, v[24:25]
	v_fmac_f64_e32 v[24:25], 0xbda907db46cc5e42, v[16:17]
	v_fmaak_f64 v[20:21], v[14:15], v[20:21], 0x3ec71de3796cde01
	s_delay_alu instid0(VALU_DEP_1) | instskip(NEXT) | instid1(VALU_DEP_1)
	v_fmaak_f64 v[20:21], v[14:15], v[20:21], 0xbf2a01a019e83e5c
	v_fmaak_f64 v[20:21], v[14:15], v[20:21], 0x3f81111111110bb3
	v_fmac_f64_e32 v[26:27], v[16:17], v[18:19]
	v_add_f64_e64 v[18:19], -v[22:23], 1.0
	v_fmac_f64_e32 v[32:33], v[16:17], v[24:25]
	s_delay_alu instid0(VALU_DEP_3) | instskip(SKIP_1) | instid1(VALU_DEP_4)
	v_fmac_f64_e32 v[34:35], v[16:17], v[26:27]
	v_mul_f64_e32 v[26:27], 0.5, v[6:7]
	v_add_f64_e64 v[38:39], -v[18:19], 1.0
	s_delay_alu instid0(VALU_DEP_4) | instskip(NEXT) | instid1(VALU_DEP_4)
	v_fmac_f64_e32 v[48:49], v[16:17], v[32:33]
	v_fmac_f64_e32 v[50:51], v[16:17], v[34:35]
	s_delay_alu instid0(VALU_DEP_4) | instskip(NEXT) | instid1(VALU_DEP_4)
	v_fmac_f64_e32 v[26:27], v[36:37], v[20:21]
	v_add_f64_e64 v[20:21], v[38:39], -v[22:23]
	v_mov_b64_e32 v[22:23], 0xbf56c16c16c16967
	v_mul_f64_e32 v[34:35], v[16:17], v[16:17]
	s_delay_alu instid0(VALU_DEP_2)
	v_fmac_f64_e32 v[22:23], v[16:17], v[48:49]
	v_fmac_f64_e32 v[52:53], v[54:55], v[50:51]
	v_fma_f64 v[26:27], v[14:15], v[26:27], -v[6:7]
	v_fma_f64 v[6:7], v[4:5], -v[6:7], v[20:21]
	v_fmaak_f64 v[20:21], v[14:15], v[28:29], 0xbe927e4fa17f65f6
	v_mov_b64_e32 v[28:29], 0x3fa5555555555555
	s_delay_alu instid0(VALU_DEP_2) | instskip(NEXT) | instid1(VALU_DEP_2)
	v_fmaak_f64 v[20:21], v[14:15], v[20:21], 0x3efa01a019f4ec90
	v_fmac_f64_e32 v[28:29], v[16:17], v[22:23]
	s_delay_alu instid0(VALU_DEP_2) | instskip(SKIP_1) | instid1(VALU_DEP_1)
	v_fmaak_f64 v[20:21], v[14:15], v[20:21], 0xbf56c16c16c16967
	v_fmac_f64_e32 v[26:27], 0xbfc5555555555555, v[36:37]
	v_add_f64_e64 v[4:5], v[4:5], -v[26:27]
	v_mul_f64_e32 v[30:31], 0.5, v[16:17]
	s_delay_alu instid0(VALU_DEP_2) | instskip(NEXT) | instid1(VALU_DEP_2)
	v_xor_b32_e32 v5, 0x80000000, v5
	v_add_f64_e64 v[24:25], -v[30:31], 1.0
	s_delay_alu instid0(VALU_DEP_1) | instskip(NEXT) | instid1(VALU_DEP_1)
	v_add_f64_e64 v[32:33], -v[24:25], 1.0
	v_add_f64_e64 v[30:31], v[32:33], -v[30:31]
	v_mul_f64_e32 v[32:33], v[14:15], v[14:15]
	v_fmaak_f64 v[14:15], v[14:15], v[20:21], 0x3fa5555555555555
	s_delay_alu instid0(VALU_DEP_3) | instskip(SKIP_1) | instid1(VALU_DEP_3)
	v_fma_f64 v[22:23], v[8:9], -v[10:11], v[30:31]
	v_fma_f64 v[10:11], v[16:17], v[52:53], -v[10:11]
	v_fmac_f64_e32 v[6:7], v[32:33], v[14:15]
	s_delay_alu instid0(VALU_DEP_3) | instskip(NEXT) | instid1(VALU_DEP_3)
	v_fmac_f64_e32 v[22:23], v[34:35], v[28:29]
	v_fmac_f64_e32 v[10:11], 0xbfc5555555555555, v[54:55]
	s_delay_alu instid0(VALU_DEP_3) | instskip(NEXT) | instid1(VALU_DEP_3)
	v_add_f64_e32 v[6:7], v[18:19], v[6:7]
	v_add_f64_e32 v[14:15], v[24:25], v[22:23]
	s_delay_alu instid0(VALU_DEP_3) | instskip(NEXT) | instid1(VALU_DEP_1)
	v_dual_add_f64 v[8:9], v[8:9], -v[10:11] :: v_dual_bitop2_b32 v10, 1, v12 bitop3:0x40
	v_cmp_eq_u32_e32 vcc_lo, 0, v10
	v_mul_f64_e32 v[10:11], v[0:1], v[0:1]
	v_dual_cndmask_b32 v4, v4, v6, vcc_lo :: v_dual_lshlrev_b32 v6, 30, v12
	v_cndmask_b32_e32 v5, v5, v7, vcc_lo
	s_delay_alu instid0(VALU_DEP_1) | instskip(NEXT) | instid1(VALU_DEP_1)
	v_bitop3_b32 v3, v5, v6, 0x80000000 bitop3:0x78
	v_cndmask_b32_e64 v3, 0x7ff80000, v3, s0
	v_dual_cndmask_b32 v7, v14, v8, s1 :: v_dual_cndmask_b32 v8, v15, v9, s1
	s_delay_alu instid0(VALU_DEP_1) | instskip(NEXT) | instid1(VALU_DEP_2)
	v_bitop3_b32 v5, v8, v2, 0x80000000 bitop3:0x78
	v_dual_cndmask_b32 v2, 0, v4, s0 :: v_dual_cndmask_b32 v4, 0, v7, s0
	s_delay_alu instid0(VALU_DEP_2) | instskip(NEXT) | instid1(VALU_DEP_2)
	v_cndmask_b32_e64 v5, 0x7ff80000, v5, s0
	v_mul_f64_e32 v[6:7], v[0:1], v[2:3]
                                        ; implicit-def: $vgpr2_vgpr3
                                        ; implicit-def: $vgpr0_vgpr1
	s_delay_alu instid0(VALU_DEP_2)
	v_mul_f64_e32 v[4:5], v[10:11], v[4:5]
.LBB105_46:
	s_and_not1_saveexec_b32 s7, s7
	s_cbranch_execz .LBB105_56
; %bb.47:
                                        ; implicit-def: $vgpr12
                                        ; implicit-def: $vgpr4_vgpr5
                                        ; implicit-def: $vgpr6_vgpr7
	s_and_saveexec_b32 s0, s2
	s_delay_alu instid0(SALU_CYCLE_1)
	s_xor_b32 s0, exec_lo, s0
	s_cbranch_execz .LBB105_49
; %bb.48:
	v_ldexp_f64 v[4:5], |v[2:3]|, 0xffffff80
	v_cmp_le_f64_e64 vcc_lo, 0x7b000000, |v[2:3]|
	v_trig_preop_f64 v[6:7], |v[2:3]|, 0
	v_and_b32_e32 v8, 0x7fffffff, v3
	v_trig_preop_f64 v[18:19], |v[2:3]|, 2
	s_mov_b64 s[8:9], 0x3ff921fb54442d18
	s_delay_alu instid0(VALU_DEP_2) | instskip(SKIP_2) | instid1(VALU_DEP_2)
	v_dual_mov_b32 v26, 0 :: v_dual_cndmask_b32 v5, v8, v5
	v_cndmask_b32_e32 v4, v2, v4, vcc_lo
	v_trig_preop_f64 v[8:9], |v[2:3]|, 1
	v_mul_f64_e32 v[10:11], v[6:7], v[4:5]
	v_mul_f64_e32 v[24:25], v[18:19], v[4:5]
	s_delay_alu instid0(VALU_DEP_3) | instskip(NEXT) | instid1(VALU_DEP_3)
	v_mul_f64_e32 v[12:13], v[8:9], v[4:5]
	v_fma_f64 v[6:7], v[6:7], v[4:5], -v[10:11]
	s_delay_alu instid0(VALU_DEP_2) | instskip(NEXT) | instid1(VALU_DEP_4)
	v_fma_f64 v[8:9], v[8:9], v[4:5], -v[12:13]
	v_fma_f64 v[4:5], v[18:19], v[4:5], -v[24:25]
	s_delay_alu instid0(VALU_DEP_3) | instskip(NEXT) | instid1(VALU_DEP_1)
	v_add_f64_e32 v[14:15], v[12:13], v[6:7]
	v_add_f64_e64 v[16:17], v[14:15], -v[12:13]
	v_add_f64_e32 v[22:23], v[10:11], v[14:15]
	s_delay_alu instid0(VALU_DEP_2) | instskip(SKIP_1) | instid1(VALU_DEP_3)
	v_add_f64_e64 v[20:21], v[14:15], -v[16:17]
	v_add_f64_e64 v[6:7], v[6:7], -v[16:17]
	v_ldexp_f64 v[16:17], v[22:23], -2
	s_delay_alu instid0(VALU_DEP_3) | instskip(SKIP_1) | instid1(VALU_DEP_3)
	v_add_f64_e64 v[12:13], v[12:13], -v[20:21]
	v_add_f64_e32 v[20:21], v[24:25], v[8:9]
	v_cmp_neq_f64_e64 vcc_lo, 0x7ff00000, |v[16:17]|
	s_delay_alu instid0(VALU_DEP_3) | instskip(SKIP_1) | instid1(VALU_DEP_1)
	v_add_f64_e32 v[6:7], v[6:7], v[12:13]
	v_fract_f64_e32 v[12:13], v[16:17]
	v_ldexp_f64 v[12:13], v[12:13], 2
	s_delay_alu instid0(VALU_DEP_1) | instskip(NEXT) | instid1(VALU_DEP_1)
	v_dual_add_f64 v[10:11], v[22:23], -v[10:11] :: v_dual_cndmask_b32 v12, 0, v12, vcc_lo
	v_dual_add_f64 v[10:11], v[14:15], -v[10:11] :: v_dual_cndmask_b32 v13, 0, v13, vcc_lo
	v_add_f64_e32 v[14:15], v[20:21], v[6:7]
	s_delay_alu instid0(VALU_DEP_1) | instskip(SKIP_1) | instid1(VALU_DEP_2)
	v_add_f64_e32 v[16:17], v[10:11], v[14:15]
	v_add_f64_e64 v[28:29], v[14:15], -v[20:21]
	v_add_f64_e32 v[22:23], v[16:17], v[12:13]
	s_delay_alu instid0(VALU_DEP_2) | instskip(SKIP_2) | instid1(VALU_DEP_4)
	v_add_f64_e64 v[34:35], v[14:15], -v[28:29]
	v_add_f64_e64 v[6:7], v[6:7], -v[28:29]
	;; [unrolled: 1-line block ×3, first 2 shown]
	v_cmp_gt_f64_e32 vcc_lo, 0, v[22:23]
	v_add_f64_e64 v[22:23], v[20:21], -v[24:25]
	s_delay_alu instid0(VALU_DEP_3) | instskip(SKIP_1) | instid1(VALU_DEP_3)
	v_add_f64_e64 v[10:11], v[14:15], -v[10:11]
	v_cndmask_b32_e64 v27, 0, 0x40100000, vcc_lo
	v_add_f64_e64 v[32:33], v[20:21], -v[22:23]
	v_add_f64_e64 v[8:9], v[8:9], -v[22:23]
	v_add_f64_e64 v[20:21], v[20:21], -v[34:35]
	s_delay_alu instid0(VALU_DEP_4) | instskip(NEXT) | instid1(VALU_DEP_4)
	v_add_f64_e32 v[12:13], v[12:13], v[26:27]
	v_add_f64_e64 v[22:23], v[24:25], -v[32:33]
	s_delay_alu instid0(VALU_DEP_3) | instskip(NEXT) | instid1(VALU_DEP_3)
	v_add_f64_e32 v[6:7], v[6:7], v[20:21]
	v_add_f64_e32 v[30:31], v[16:17], v[12:13]
	s_delay_alu instid0(VALU_DEP_3) | instskip(NEXT) | instid1(VALU_DEP_2)
	v_add_f64_e32 v[8:9], v[8:9], v[22:23]
	v_cvt_i32_f64_e32 v27, v[30:31]
	s_delay_alu instid0(VALU_DEP_2) | instskip(NEXT) | instid1(VALU_DEP_2)
	v_add_f64_e32 v[6:7], v[8:9], v[6:7]
	v_cvt_f64_i32_e32 v[28:29], v27
	s_delay_alu instid0(VALU_DEP_2) | instskip(NEXT) | instid1(VALU_DEP_2)
	v_add_f64_e32 v[4:5], v[4:5], v[6:7]
	v_add_f64_e64 v[12:13], v[12:13], -v[28:29]
	s_delay_alu instid0(VALU_DEP_2) | instskip(NEXT) | instid1(VALU_DEP_2)
	v_add_f64_e32 v[4:5], v[10:11], v[4:5]
	v_add_f64_e32 v[8:9], v[16:17], v[12:13]
	s_delay_alu instid0(VALU_DEP_1) | instskip(SKIP_1) | instid1(VALU_DEP_2)
	v_add_f64_e64 v[6:7], v[8:9], -v[12:13]
	v_cmp_le_f64_e32 vcc_lo, 0.5, v[8:9]
	v_add_f64_e64 v[6:7], v[16:17], -v[6:7]
	v_add_co_ci_u32_e64 v12, null, 0, v27, vcc_lo
	v_cndmask_b32_e64 v27, 0, 0x3ff00000, vcc_lo
	s_delay_alu instid0(VALU_DEP_3) | instskip(NEXT) | instid1(VALU_DEP_2)
	v_add_f64_e32 v[4:5], v[4:5], v[6:7]
	v_add_f64_e64 v[6:7], v[8:9], -v[26:27]
	s_delay_alu instid0(VALU_DEP_1) | instskip(NEXT) | instid1(VALU_DEP_1)
	v_add_f64_e32 v[8:9], v[6:7], v[4:5]
	v_mul_f64_e32 v[10:11], 0x3ff921fb54442d18, v[8:9]
	v_add_f64_e64 v[6:7], v[8:9], -v[6:7]
	s_delay_alu instid0(VALU_DEP_2) | instskip(NEXT) | instid1(VALU_DEP_2)
	v_fma_f64 v[14:15], v[8:9], s[8:9], -v[10:11]
	v_add_f64_e64 v[4:5], v[4:5], -v[6:7]
	s_delay_alu instid0(VALU_DEP_2) | instskip(NEXT) | instid1(VALU_DEP_1)
	v_fmamk_f64 v[6:7], v[8:9], 0x3c91a62633145c07, v[14:15]
	v_fmac_f64_e32 v[6:7], 0x3ff921fb54442d18, v[4:5]
	s_delay_alu instid0(VALU_DEP_1) | instskip(NEXT) | instid1(VALU_DEP_1)
	v_add_f64_e32 v[4:5], v[10:11], v[6:7]
	v_add_f64_e64 v[8:9], v[4:5], -v[10:11]
	s_delay_alu instid0(VALU_DEP_1)
	v_add_f64_e64 v[6:7], v[6:7], -v[8:9]
	s_and_not1_saveexec_b32 s0, s0
	s_cbranch_execz .LBB105_51
	s_branch .LBB105_50
.LBB105_49:
	s_and_not1_saveexec_b32 s0, s0
	s_cbranch_execz .LBB105_51
.LBB105_50:
	s_mov_b64 s[8:9], 0x3fe45f306dc9c883
	s_delay_alu instid0(SALU_CYCLE_1) | instskip(SKIP_1) | instid1(VALU_DEP_1)
	v_mul_f64_e64 v[4:5], |v[2:3]|, s[8:9]
	s_mov_b64 s[8:9], 0xbff921fb54442d18
	v_rndne_f64_e32 v[8:9], v[4:5]
	s_delay_alu instid0(VALU_DEP_1) | instskip(SKIP_1) | instid1(VALU_DEP_2)
	v_fma_f64 v[4:5], v[8:9], s[8:9], |v[2:3]|
	v_mul_f64_e32 v[6:7], 0xbc91a62633145c00, v[8:9]
	v_fmamk_f64 v[14:15], v[8:9], 0xbc91a62633145c00, v[4:5]
	s_delay_alu instid0(VALU_DEP_2) | instskip(NEXT) | instid1(VALU_DEP_1)
	v_add_f64_e32 v[10:11], v[4:5], v[6:7]
	v_add_f64_e64 v[12:13], v[4:5], -v[10:11]
	s_delay_alu instid0(VALU_DEP_3) | instskip(NEXT) | instid1(VALU_DEP_2)
	v_add_f64_e64 v[4:5], v[10:11], -v[14:15]
	v_add_f64_e32 v[10:11], v[12:13], v[6:7]
	v_fmamk_f64 v[6:7], v[8:9], 0x3c91a62633145c00, v[6:7]
	v_cvt_i32_f64_e32 v12, v[8:9]
	s_delay_alu instid0(VALU_DEP_3) | instskip(NEXT) | instid1(VALU_DEP_1)
	v_add_f64_e32 v[4:5], v[4:5], v[10:11]
	v_add_f64_e64 v[4:5], v[4:5], -v[6:7]
	s_delay_alu instid0(VALU_DEP_1) | instskip(NEXT) | instid1(VALU_DEP_1)
	v_fmamk_f64 v[6:7], v[8:9], 0xb97b839a252049c0, v[4:5]
	v_add_f64_e32 v[4:5], v[14:15], v[6:7]
	s_delay_alu instid0(VALU_DEP_1) | instskip(NEXT) | instid1(VALU_DEP_1)
	v_add_f64_e64 v[10:11], v[4:5], -v[14:15]
	v_add_f64_e64 v[6:7], v[6:7], -v[10:11]
.LBB105_51:
	s_or_b32 exec_lo, exec_lo, s0
                                        ; implicit-def: $vgpr13
                                        ; implicit-def: $vgpr8_vgpr9
                                        ; implicit-def: $vgpr10_vgpr11
	s_and_saveexec_b32 s0, s2
	s_delay_alu instid0(SALU_CYCLE_1)
	s_xor_b32 s0, exec_lo, s0
	s_cbranch_execz .LBB105_53
; %bb.52:
	v_ldexp_f64 v[8:9], |v[2:3]|, 0xffffff80
	v_cmp_le_f64_e64 vcc_lo, 0x7b000000, |v[2:3]|
	v_trig_preop_f64 v[10:11], |v[2:3]|, 0
	v_and_b32_e32 v13, 0x7fffffff, v3
	v_trig_preop_f64 v[14:15], |v[2:3]|, 1
	v_trig_preop_f64 v[24:25], |v[2:3]|, 2
	s_mov_b64 s[8:9], 0x3ff921fb54442d18
	s_delay_alu instid0(VALU_DEP_3) | instskip(SKIP_1) | instid1(VALU_DEP_1)
	v_dual_mov_b32 v32, 0 :: v_dual_cndmask_b32 v9, v13, v9
	v_cndmask_b32_e32 v8, v2, v8, vcc_lo
	v_mul_f64_e32 v[16:17], v[10:11], v[8:9]
	v_mul_f64_e32 v[18:19], v[14:15], v[8:9]
	;; [unrolled: 1-line block ×3, first 2 shown]
	s_delay_alu instid0(VALU_DEP_3) | instskip(NEXT) | instid1(VALU_DEP_3)
	v_fma_f64 v[10:11], v[10:11], v[8:9], -v[16:17]
	v_fma_f64 v[14:15], v[14:15], v[8:9], -v[18:19]
	s_delay_alu instid0(VALU_DEP_3) | instskip(NEXT) | instid1(VALU_DEP_3)
	v_fma_f64 v[8:9], v[24:25], v[8:9], -v[30:31]
	v_add_f64_e32 v[20:21], v[18:19], v[10:11]
	s_delay_alu instid0(VALU_DEP_1) | instskip(SKIP_1) | instid1(VALU_DEP_2)
	v_add_f64_e64 v[22:23], v[20:21], -v[18:19]
	v_add_f64_e32 v[28:29], v[16:17], v[20:21]
	v_add_f64_e64 v[26:27], v[20:21], -v[22:23]
	v_add_f64_e64 v[10:11], v[10:11], -v[22:23]
	s_delay_alu instid0(VALU_DEP_3) | instskip(NEXT) | instid1(VALU_DEP_3)
	v_ldexp_f64 v[22:23], v[28:29], -2
	v_add_f64_e64 v[18:19], v[18:19], -v[26:27]
	v_add_f64_e32 v[26:27], v[30:31], v[14:15]
	s_delay_alu instid0(VALU_DEP_3) | instskip(NEXT) | instid1(VALU_DEP_3)
	v_cmp_neq_f64_e64 vcc_lo, 0x7ff00000, |v[22:23]|
	v_add_f64_e32 v[10:11], v[10:11], v[18:19]
	v_fract_f64_e32 v[18:19], v[22:23]
	s_delay_alu instid0(VALU_DEP_1) | instskip(NEXT) | instid1(VALU_DEP_1)
	v_ldexp_f64 v[18:19], v[18:19], 2
	v_dual_add_f64 v[16:17], v[28:29], -v[16:17] :: v_dual_cndmask_b32 v19, 0, v19, vcc_lo
	s_delay_alu instid0(VALU_DEP_1) | instskip(SKIP_1) | instid1(VALU_DEP_1)
	v_dual_add_f64 v[16:17], v[20:21], -v[16:17] :: v_dual_cndmask_b32 v18, 0, v18, vcc_lo
	v_add_f64_e32 v[20:21], v[26:27], v[10:11]
	v_add_f64_e32 v[22:23], v[16:17], v[20:21]
	v_add_f64_e64 v[34:35], v[20:21], -v[26:27]
	s_delay_alu instid0(VALU_DEP_2) | instskip(NEXT) | instid1(VALU_DEP_2)
	v_add_f64_e32 v[28:29], v[22:23], v[18:19]
	v_add_f64_e64 v[48:49], v[20:21], -v[34:35]
	v_add_f64_e64 v[10:11], v[10:11], -v[34:35]
	;; [unrolled: 1-line block ×3, first 2 shown]
	s_delay_alu instid0(VALU_DEP_4) | instskip(SKIP_1) | instid1(VALU_DEP_3)
	v_cmp_gt_f64_e32 vcc_lo, 0, v[28:29]
	v_add_f64_e64 v[28:29], v[26:27], -v[30:31]
	v_add_f64_e64 v[16:17], v[20:21], -v[16:17]
	v_cndmask_b32_e64 v33, 0, 0x40100000, vcc_lo
	s_delay_alu instid0(VALU_DEP_3) | instskip(SKIP_2) | instid1(VALU_DEP_4)
	v_add_f64_e64 v[38:39], v[26:27], -v[28:29]
	v_add_f64_e64 v[14:15], v[14:15], -v[28:29]
	;; [unrolled: 1-line block ×3, first 2 shown]
	v_add_f64_e32 v[18:19], v[18:19], v[32:33]
	s_delay_alu instid0(VALU_DEP_4) | instskip(NEXT) | instid1(VALU_DEP_3)
	v_add_f64_e64 v[28:29], v[30:31], -v[38:39]
	v_add_f64_e32 v[10:11], v[10:11], v[26:27]
	s_delay_alu instid0(VALU_DEP_3) | instskip(NEXT) | instid1(VALU_DEP_3)
	v_add_f64_e32 v[36:37], v[22:23], v[18:19]
	v_add_f64_e32 v[14:15], v[14:15], v[28:29]
	s_delay_alu instid0(VALU_DEP_2) | instskip(NEXT) | instid1(VALU_DEP_2)
	v_cvt_i32_f64_e32 v13, v[36:37]
	v_add_f64_e32 v[10:11], v[14:15], v[10:11]
	s_delay_alu instid0(VALU_DEP_2) | instskip(NEXT) | instid1(VALU_DEP_2)
	v_cvt_f64_i32_e32 v[34:35], v13
	v_add_f64_e32 v[8:9], v[8:9], v[10:11]
	s_delay_alu instid0(VALU_DEP_2) | instskip(NEXT) | instid1(VALU_DEP_2)
	v_add_f64_e64 v[18:19], v[18:19], -v[34:35]
	v_add_f64_e32 v[8:9], v[16:17], v[8:9]
	s_delay_alu instid0(VALU_DEP_2) | instskip(NEXT) | instid1(VALU_DEP_1)
	v_add_f64_e32 v[14:15], v[22:23], v[18:19]
	v_add_f64_e64 v[10:11], v[14:15], -v[18:19]
	v_cmp_le_f64_e32 vcc_lo, 0.5, v[14:15]
	s_delay_alu instid0(VALU_DEP_2) | instskip(SKIP_2) | instid1(VALU_DEP_3)
	v_add_f64_e64 v[10:11], v[22:23], -v[10:11]
	v_cndmask_b32_e64 v33, 0, 0x3ff00000, vcc_lo
	v_add_co_ci_u32_e64 v13, null, 0, v13, vcc_lo
	v_add_f64_e32 v[8:9], v[8:9], v[10:11]
	s_delay_alu instid0(VALU_DEP_3) | instskip(NEXT) | instid1(VALU_DEP_1)
	v_add_f64_e64 v[10:11], v[14:15], -v[32:33]
	v_add_f64_e32 v[14:15], v[10:11], v[8:9]
	s_delay_alu instid0(VALU_DEP_1) | instskip(SKIP_1) | instid1(VALU_DEP_2)
	v_mul_f64_e32 v[16:17], 0x3ff921fb54442d18, v[14:15]
	v_add_f64_e64 v[10:11], v[14:15], -v[10:11]
	v_fma_f64 v[18:19], v[14:15], s[8:9], -v[16:17]
	s_delay_alu instid0(VALU_DEP_2) | instskip(NEXT) | instid1(VALU_DEP_2)
	v_add_f64_e64 v[8:9], v[8:9], -v[10:11]
	v_fmamk_f64 v[10:11], v[14:15], 0x3c91a62633145c07, v[18:19]
	s_delay_alu instid0(VALU_DEP_1) | instskip(NEXT) | instid1(VALU_DEP_1)
	v_fmac_f64_e32 v[10:11], 0x3ff921fb54442d18, v[8:9]
	v_add_f64_e32 v[8:9], v[16:17], v[10:11]
	s_delay_alu instid0(VALU_DEP_1) | instskip(NEXT) | instid1(VALU_DEP_1)
	v_add_f64_e64 v[14:15], v[8:9], -v[16:17]
	v_add_f64_e64 v[10:11], v[10:11], -v[14:15]
	s_and_not1_saveexec_b32 s0, s0
	s_cbranch_execnz .LBB105_54
	s_branch .LBB105_55
.LBB105_53:
	s_and_not1_saveexec_b32 s0, s0
	s_cbranch_execz .LBB105_55
.LBB105_54:
	s_mov_b64 s[8:9], 0x3fe45f306dc9c883
	s_delay_alu instid0(SALU_CYCLE_1) | instskip(SKIP_1) | instid1(VALU_DEP_1)
	v_mul_f64_e64 v[8:9], |v[2:3]|, s[8:9]
	s_mov_b64 s[8:9], 0xbff921fb54442d18
	v_rndne_f64_e32 v[14:15], v[8:9]
	s_delay_alu instid0(VALU_DEP_1) | instskip(SKIP_2) | instid1(VALU_DEP_3)
	v_fma_f64 v[8:9], v[14:15], s[8:9], |v[2:3]|
	v_mul_f64_e32 v[10:11], 0xbc91a62633145c00, v[14:15]
	v_cvt_i32_f64_e32 v13, v[14:15]
	v_fmamk_f64 v[20:21], v[14:15], 0xbc91a62633145c00, v[8:9]
	s_delay_alu instid0(VALU_DEP_3) | instskip(NEXT) | instid1(VALU_DEP_1)
	v_add_f64_e32 v[16:17], v[8:9], v[10:11]
	v_add_f64_e64 v[18:19], v[8:9], -v[16:17]
	s_delay_alu instid0(VALU_DEP_3) | instskip(NEXT) | instid1(VALU_DEP_2)
	v_add_f64_e64 v[8:9], v[16:17], -v[20:21]
	v_add_f64_e32 v[16:17], v[18:19], v[10:11]
	v_fmamk_f64 v[10:11], v[14:15], 0x3c91a62633145c00, v[10:11]
	s_delay_alu instid0(VALU_DEP_2) | instskip(NEXT) | instid1(VALU_DEP_1)
	v_add_f64_e32 v[8:9], v[8:9], v[16:17]
	v_add_f64_e64 v[8:9], v[8:9], -v[10:11]
	s_delay_alu instid0(VALU_DEP_1) | instskip(NEXT) | instid1(VALU_DEP_1)
	v_fmamk_f64 v[10:11], v[14:15], 0xb97b839a252049c0, v[8:9]
	v_add_f64_e32 v[8:9], v[20:21], v[10:11]
	s_delay_alu instid0(VALU_DEP_1) | instskip(NEXT) | instid1(VALU_DEP_1)
	v_add_f64_e64 v[16:17], v[8:9], -v[20:21]
	v_add_f64_e64 v[10:11], v[10:11], -v[16:17]
.LBB105_55:
	s_or_b32 exec_lo, exec_lo, s0
	s_mov_b64 s[0:1], 0xc0937be319ba0da4
	s_delay_alu instid0(VALU_DEP_1)
	v_mul_f64_e32 v[16:17], v[4:5], v[4:5]
	v_add_f64_e64 v[14:15], |v[0:1]|, s[0:1]
	v_mov_b64_e32 v[24:25], 0xbe5ae600b42fdfa7
	v_mov_b64_e32 v[30:31], 0x3e21eeb69037ab78
	;; [unrolled: 1-line block ×3, first 2 shown]
	s_mov_b64 s[0:1], 0x3e5ade156a5dcb37
	v_mov_b64_e32 v[54:55], 0xbe927e4fa17f65f6
	v_mov_b64_e32 v[64:65], 0xbf2a01a019e83e5c
	s_mov_b32 s8, 0xfffff
	v_mul_f64_e32 v[22:23], 0.5, v[16:17]
	v_mul_f64_e32 v[18:19], 0x3ff71547652b82fe, v[14:15]
	v_cmp_ngt_f64_e64 s2, 0xc090cc00, v[14:15]
	v_mul_f64_e32 v[20:21], v[8:9], v[8:9]
	v_fmamk_f64 v[26:27], v[16:17], 0x3de5e0b2f9a43bb8, v[24:25]
	v_fmamk_f64 v[34:35], v[16:17], 0xbda907db46cc5e42, v[30:31]
	v_mul_f64_e64 v[48:49], v[4:5], -v[16:17]
	s_delay_alu instid0(VALU_DEP_3) | instskip(NEXT) | instid1(VALU_DEP_1)
	v_fmaak_f64 v[26:27], v[16:17], v[26:27], 0x3ec71de3796cde01
	v_fmaak_f64 v[26:27], v[16:17], v[26:27], 0xbf2a01a019e83e5c
	s_delay_alu instid0(VALU_DEP_1) | instskip(SKIP_4) | instid1(VALU_DEP_4)
	v_fmaak_f64 v[26:27], v[16:17], v[26:27], 0x3f81111111110bb3
	v_add_f64_e64 v[28:29], -v[22:23], 1.0
	v_rndne_f64_e32 v[18:19], v[18:19]
	v_fmac_f64_e32 v[24:25], 0x3de5e0b2f9a43bb8, v[20:21]
	v_fmac_f64_e32 v[30:31], 0xbda907db46cc5e42, v[20:21]
	v_add_f64_e64 v[50:51], -v[28:29], 1.0
	s_delay_alu instid0(VALU_DEP_4) | instskip(SKIP_3) | instid1(VALU_DEP_4)
	v_fmamk_f64 v[38:39], v[18:19], 0xbfe62e42fefa39ef, v[14:15]
	v_cvt_i32_f64_e32 v0, v[18:19]
	v_fmac_f64_e32 v[32:33], v[20:21], v[24:25]
	v_fmac_f64_e32 v[54:55], v[20:21], v[30:31]
	v_fmamk_f64 v[24:25], v[18:19], 0xbc7abc9e3b39803f, v[38:39]
	v_mul_f64_e32 v[38:39], 0.5, v[6:7]
	v_mov_b64_e32 v[18:19], 0x3fa5555555555555
	s_delay_alu instid0(VALU_DEP_3) | instskip(SKIP_2) | instid1(VALU_DEP_3)
	v_fmaak_f64 v[52:53], s[0:1], v[24:25], 0x3e928af3fca7ab0c
	v_cmp_nlt_f64_e64 s1, 0x40900000, v[14:15]
	v_cmp_class_f64_e64 s0, v[2:3], 0x1f8
	v_fmaak_f64 v[52:53], v[24:25], v[52:53], 0x3ec71dee623fde64
	s_delay_alu instid0(VALU_DEP_1) | instskip(SKIP_2) | instid1(VALU_DEP_3)
	v_fmaak_f64 v[52:53], v[24:25], v[52:53], 0x3efa01997c89e6b0
	v_add_f64_e64 v[22:23], v[50:51], -v[22:23]
	v_fmac_f64_e32 v[64:65], v[20:21], v[32:33]
	v_fmaak_f64 v[30:31], v[24:25], v[52:53], 0x3f2a01a014761f6e
	v_mov_b64_e32 v[32:33], 0x3f81111111110bb3
	v_fmac_f64_e32 v[38:39], v[48:49], v[26:27]
	s_delay_alu instid0(VALU_DEP_3) | instskip(SKIP_1) | instid1(VALU_DEP_2)
	v_fmaak_f64 v[26:27], v[24:25], v[30:31], 0x3f56c16c1852b7b0
	v_mov_b64_e32 v[30:31], 0x3efa01a019f4ec90
	v_fmaak_f64 v[26:27], v[24:25], v[26:27], 0x3f81111111122322
	s_delay_alu instid0(VALU_DEP_1) | instskip(NEXT) | instid1(VALU_DEP_1)
	v_fmaak_f64 v[26:27], v[24:25], v[26:27], 0x3fa55555555502a1
	v_fmaak_f64 v[26:27], v[24:25], v[26:27], 0x3fc5555555555511
	v_fmac_f64_e32 v[32:33], v[20:21], v[64:65]
	v_mul_f64_e32 v[64:65], v[16:17], v[16:17]
	s_delay_alu instid0(VALU_DEP_3) | instskip(SKIP_2) | instid1(VALU_DEP_3)
	v_fmaak_f64 v[26:27], v[24:25], v[26:27], 0x3fe000000000000b
	v_fma_f64 v[38:39], v[16:17], v[38:39], -v[6:7]
	v_fma_f64 v[6:7], v[4:5], -v[6:7], v[22:23]
	v_fma_f64 v[22:23], v[24:25], v[26:27], 1.0
	v_fmaak_f64 v[26:27], v[16:17], v[34:35], 0xbe927e4fa17f65f6
	v_mov_b64_e32 v[34:35], 0xbf56c16c16c16967
	s_delay_alu instid0(VALU_DEP_2) | instskip(NEXT) | instid1(VALU_DEP_1)
	v_fmaak_f64 v[26:27], v[16:17], v[26:27], 0x3efa01a019f4ec90
	v_fmaak_f64 v[26:27], v[16:17], v[26:27], 0xbf56c16c16c16967
	s_delay_alu instid0(VALU_DEP_1) | instskip(SKIP_1) | instid1(VALU_DEP_2)
	v_fmaak_f64 v[16:17], v[16:17], v[26:27], 0x3fa5555555555555
	v_fmac_f64_e32 v[38:39], 0xbfc5555555555555, v[48:49]
	v_fmac_f64_e32 v[6:7], v[64:65], v[16:17]
	v_fma_f64 v[16:17], v[24:25], v[22:23], 1.0
	s_delay_alu instid0(VALU_DEP_3) | instskip(NEXT) | instid1(VALU_DEP_3)
	v_add_f64_e64 v[4:5], v[4:5], -v[38:39]
	v_add_f64_e32 v[6:7], v[28:29], v[6:7]
	s_delay_alu instid0(VALU_DEP_3) | instskip(SKIP_1) | instid1(VALU_DEP_1)
	v_ldexp_f64 v[16:17], v[16:17], v0
	v_dual_lshlrev_b32 v12, 30, v12 :: v_dual_bitop2_b32 v0, 1, v12 bitop3:0x40
	v_cmp_eq_u32_e32 vcc_lo, 0, v0
	s_delay_alu instid0(VALU_DEP_4) | instskip(SKIP_3) | instid1(VALU_DEP_1)
	v_cndmask_b32_e32 v0, v4, v6, vcc_lo
	v_mul_f64_e32 v[50:51], 0.5, v[10:11]
	v_xor_b32_e32 v6, 0x80000000, v5
	v_cndmask_b32_e64 v2, 0x7ff00000, v17, s1
	v_dual_cndmask_b32 v14, v6, v7, vcc_lo :: v_dual_cndmask_b32 v2, 0, v2, s2
	v_mul_f64_e32 v[36:37], 0.5, v[20:21]
	v_mul_f64_e64 v[52:53], v[8:9], -v[20:21]
	v_fmac_f64_e32 v[30:31], v[20:21], v[54:55]
	v_mul_f64_e32 v[22:23], v[20:21], v[20:21]
	s_and_b32 vcc_lo, s2, s1
	s_delay_alu instid0(VALU_DEP_4) | instskip(NEXT) | instid1(VALU_DEP_4)
	v_add_f64_e64 v[66:67], -v[36:37], 1.0
	v_fmac_f64_e32 v[50:51], v[52:53], v[32:33]
	s_delay_alu instid0(VALU_DEP_4) | instskip(NEXT) | instid1(VALU_DEP_3)
	v_fmac_f64_e32 v[34:35], v[20:21], v[30:31]
	v_add_f64_e64 v[54:55], -v[66:67], 1.0
	s_delay_alu instid0(VALU_DEP_2) | instskip(NEXT) | instid1(VALU_DEP_2)
	v_fmac_f64_e32 v[18:19], v[20:21], v[34:35]
	v_add_f64_e64 v[30:31], v[54:55], -v[36:37]
	s_delay_alu instid0(VALU_DEP_1) | instskip(SKIP_1) | instid1(VALU_DEP_1)
	v_fma_f64 v[24:25], v[8:9], -v[10:11], v[30:31]
	v_fma_f64 v[10:11], v[20:21], v[50:51], -v[10:11]
	v_fmac_f64_e32 v[10:11], 0xbfc5555555555555, v[52:53]
	s_delay_alu instid0(VALU_DEP_1) | instskip(SKIP_3) | instid1(VALU_DEP_3)
	v_add_f64_e64 v[6:7], v[8:9], -v[10:11]
	v_bitop3_b32 v9, v14, v12, 0x80000000 bitop3:0x78
	v_dual_cndmask_b32 v10, 0, v16, vcc_lo :: v_dual_bitop2_b32 v12, 1, v13 bitop3:0x40
	v_dual_cndmask_b32 v8, 0, v0, s0 :: v_dual_lshrrev_b32 v0, 20, v2
	v_cndmask_b32_e64 v9, 0x7ff80000, v9, s0
	s_delay_alu instid0(VALU_DEP_3) | instskip(SKIP_3) | instid1(VALU_DEP_1)
	v_cmp_eq_u32_e32 vcc_lo, 0, v12
	v_lshlrev_b32_e32 v12, 30, v13
	v_fmac_f64_e32 v[24:25], v[22:23], v[18:19]
	v_and_or_b32 v11, v2, s8, 0x7fe00000
	v_dual_mul_f64 v[8:9], v[10:11], v[8:9] :: v_dual_bitop2_b32 v3, v12, v3 bitop3:0x14
	s_delay_alu instid0(VALU_DEP_3) | instskip(NEXT) | instid1(VALU_DEP_1)
	v_add_f64_e32 v[4:5], v[66:67], v[24:25]
	v_dual_cndmask_b32 v5, v5, v7 :: v_dual_add_nc_u32 v0, 0xffffff08, v0
	s_delay_alu instid0(VALU_DEP_1) | instskip(NEXT) | instid1(VALU_DEP_3)
	v_lshrrev_b16 v2, 15, v0
	v_cndmask_b32_e32 v4, v4, v6, vcc_lo
	s_delay_alu instid0(VALU_DEP_2) | instskip(NEXT) | instid1(VALU_DEP_2)
	v_add_nc_u16 v2, v0, v2
	v_cndmask_b32_e64 v4, 0, v4, s0
	s_delay_alu instid0(VALU_DEP_2) | instskip(NEXT) | instid1(VALU_DEP_1)
	v_ashrrev_i16 v2, 1, v2
	v_bfe_i32 v12, v2, 0, 16
	v_bitop3_b32 v2, v5, v3, 0x80000000 bitop3:0x78
	s_delay_alu instid0(VALU_DEP_2) | instskip(NEXT) | instid1(VALU_DEP_2)
	v_lshl_add_u32 v3, v12, 20, 0x3ff00000
	v_cndmask_b32_e64 v5, 0x7ff80000, v2, s0
	v_mov_b32_e32 v2, 0
	s_brev_b32 s0, -2
	s_delay_alu instid0(VALU_DEP_2) | instskip(NEXT) | instid1(VALU_DEP_2)
	v_mul_f64_e32 v[4:5], v[10:11], v[4:5]
	v_dual_mul_f64 v[6:7], v[8:9], v[2:3] :: v_dual_mov_b32 v8, v2
	s_delay_alu instid0(VALU_DEP_2) | instskip(SKIP_2) | instid1(VALU_DEP_1)
	v_mul_f64_e32 v[4:5], v[4:5], v[2:3]
	v_bfi_b32 v3, s0, 0x3ff00000, v1
	v_sub_nc_u32_e32 v0, v0, v12
	v_lshl_add_u32 v9, v0, 20, 0x3ff00000
	s_delay_alu instid0(VALU_DEP_1) | instskip(SKIP_1) | instid1(VALU_DEP_2)
	v_mul_f64_e32 v[6:7], v[6:7], v[8:9]
	v_mul_f64_e32 v[4:5], v[4:5], v[8:9]
	v_mul_f64_e32 v[6:7], v[2:3], v[6:7]
.LBB105_56:
	s_or_b32 exec_lo, exec_lo, s7
                                        ; implicit-def: $vgpr0_vgpr1
                                        ; implicit-def: $vgpr2_vgpr3
.LBB105_57:
	s_and_not1_saveexec_b32 s6, s6
	s_cbranch_execz .LBB105_67
; %bb.58:
	v_cmp_ngt_f64_e64 s0, 0x41d00000, |v[2:3]|
                                        ; implicit-def: $vgpr12
                                        ; implicit-def: $vgpr4_vgpr5
                                        ; implicit-def: $vgpr6_vgpr7
	s_and_saveexec_b32 s1, s0
	s_delay_alu instid0(SALU_CYCLE_1)
	s_xor_b32 s1, exec_lo, s1
	s_cbranch_execz .LBB105_60
; %bb.59:
	v_ldexp_f64 v[4:5], |v[2:3]|, 0xffffff80
	v_cmp_le_f64_e64 vcc_lo, 0x7b000000, |v[2:3]|
	v_trig_preop_f64 v[6:7], |v[2:3]|, 0
	v_and_b32_e32 v8, 0x7fffffff, v3
	v_trig_preop_f64 v[18:19], |v[2:3]|, 2
	s_mov_b64 s[8:9], 0x3ff921fb54442d18
	s_delay_alu instid0(VALU_DEP_2) | instskip(SKIP_2) | instid1(VALU_DEP_2)
	v_dual_mov_b32 v26, 0 :: v_dual_cndmask_b32 v5, v8, v5
	v_cndmask_b32_e32 v4, v2, v4, vcc_lo
	v_trig_preop_f64 v[8:9], |v[2:3]|, 1
	v_mul_f64_e32 v[10:11], v[6:7], v[4:5]
	v_mul_f64_e32 v[24:25], v[18:19], v[4:5]
	s_delay_alu instid0(VALU_DEP_3) | instskip(NEXT) | instid1(VALU_DEP_3)
	v_mul_f64_e32 v[12:13], v[8:9], v[4:5]
	v_fma_f64 v[6:7], v[6:7], v[4:5], -v[10:11]
	s_delay_alu instid0(VALU_DEP_2) | instskip(NEXT) | instid1(VALU_DEP_4)
	v_fma_f64 v[8:9], v[8:9], v[4:5], -v[12:13]
	v_fma_f64 v[4:5], v[18:19], v[4:5], -v[24:25]
	s_delay_alu instid0(VALU_DEP_3) | instskip(NEXT) | instid1(VALU_DEP_1)
	v_add_f64_e32 v[14:15], v[12:13], v[6:7]
	v_add_f64_e64 v[16:17], v[14:15], -v[12:13]
	v_add_f64_e32 v[22:23], v[10:11], v[14:15]
	s_delay_alu instid0(VALU_DEP_2) | instskip(SKIP_1) | instid1(VALU_DEP_3)
	v_add_f64_e64 v[20:21], v[14:15], -v[16:17]
	v_add_f64_e64 v[6:7], v[6:7], -v[16:17]
	v_ldexp_f64 v[16:17], v[22:23], -2
	s_delay_alu instid0(VALU_DEP_3) | instskip(SKIP_1) | instid1(VALU_DEP_3)
	v_add_f64_e64 v[12:13], v[12:13], -v[20:21]
	v_add_f64_e32 v[20:21], v[24:25], v[8:9]
	v_cmp_neq_f64_e64 vcc_lo, 0x7ff00000, |v[16:17]|
	s_delay_alu instid0(VALU_DEP_3) | instskip(SKIP_1) | instid1(VALU_DEP_1)
	v_add_f64_e32 v[6:7], v[6:7], v[12:13]
	v_fract_f64_e32 v[12:13], v[16:17]
	v_ldexp_f64 v[12:13], v[12:13], 2
	s_delay_alu instid0(VALU_DEP_1) | instskip(NEXT) | instid1(VALU_DEP_1)
	v_dual_add_f64 v[10:11], v[22:23], -v[10:11] :: v_dual_cndmask_b32 v12, 0, v12, vcc_lo
	v_dual_add_f64 v[10:11], v[14:15], -v[10:11] :: v_dual_cndmask_b32 v13, 0, v13, vcc_lo
	v_add_f64_e32 v[14:15], v[20:21], v[6:7]
	s_delay_alu instid0(VALU_DEP_1) | instskip(SKIP_1) | instid1(VALU_DEP_2)
	v_add_f64_e32 v[16:17], v[10:11], v[14:15]
	v_add_f64_e64 v[28:29], v[14:15], -v[20:21]
	v_add_f64_e32 v[22:23], v[16:17], v[12:13]
	s_delay_alu instid0(VALU_DEP_2) | instskip(SKIP_2) | instid1(VALU_DEP_4)
	v_add_f64_e64 v[34:35], v[14:15], -v[28:29]
	v_add_f64_e64 v[6:7], v[6:7], -v[28:29]
	;; [unrolled: 1-line block ×3, first 2 shown]
	v_cmp_gt_f64_e32 vcc_lo, 0, v[22:23]
	v_add_f64_e64 v[22:23], v[20:21], -v[24:25]
	s_delay_alu instid0(VALU_DEP_3) | instskip(SKIP_1) | instid1(VALU_DEP_3)
	v_add_f64_e64 v[10:11], v[14:15], -v[10:11]
	v_cndmask_b32_e64 v27, 0, 0x40100000, vcc_lo
	v_add_f64_e64 v[32:33], v[20:21], -v[22:23]
	v_add_f64_e64 v[8:9], v[8:9], -v[22:23]
	;; [unrolled: 1-line block ×3, first 2 shown]
	s_delay_alu instid0(VALU_DEP_4) | instskip(NEXT) | instid1(VALU_DEP_4)
	v_add_f64_e32 v[12:13], v[12:13], v[26:27]
	v_add_f64_e64 v[22:23], v[24:25], -v[32:33]
	s_delay_alu instid0(VALU_DEP_3) | instskip(NEXT) | instid1(VALU_DEP_3)
	v_add_f64_e32 v[6:7], v[6:7], v[20:21]
	v_add_f64_e32 v[30:31], v[16:17], v[12:13]
	s_delay_alu instid0(VALU_DEP_3) | instskip(NEXT) | instid1(VALU_DEP_2)
	v_add_f64_e32 v[8:9], v[8:9], v[22:23]
	v_cvt_i32_f64_e32 v27, v[30:31]
	s_delay_alu instid0(VALU_DEP_2) | instskip(NEXT) | instid1(VALU_DEP_2)
	v_add_f64_e32 v[6:7], v[8:9], v[6:7]
	v_cvt_f64_i32_e32 v[28:29], v27
	s_delay_alu instid0(VALU_DEP_2) | instskip(NEXT) | instid1(VALU_DEP_2)
	v_add_f64_e32 v[4:5], v[4:5], v[6:7]
	v_add_f64_e64 v[12:13], v[12:13], -v[28:29]
	s_delay_alu instid0(VALU_DEP_2) | instskip(NEXT) | instid1(VALU_DEP_2)
	v_add_f64_e32 v[4:5], v[10:11], v[4:5]
	v_add_f64_e32 v[8:9], v[16:17], v[12:13]
	s_delay_alu instid0(VALU_DEP_1) | instskip(SKIP_1) | instid1(VALU_DEP_2)
	v_add_f64_e64 v[6:7], v[8:9], -v[12:13]
	v_cmp_le_f64_e32 vcc_lo, 0.5, v[8:9]
	v_add_f64_e64 v[6:7], v[16:17], -v[6:7]
	v_add_co_ci_u32_e64 v12, null, 0, v27, vcc_lo
	v_cndmask_b32_e64 v27, 0, 0x3ff00000, vcc_lo
	s_delay_alu instid0(VALU_DEP_3) | instskip(NEXT) | instid1(VALU_DEP_2)
	v_add_f64_e32 v[4:5], v[4:5], v[6:7]
	v_add_f64_e64 v[6:7], v[8:9], -v[26:27]
	s_delay_alu instid0(VALU_DEP_1) | instskip(NEXT) | instid1(VALU_DEP_1)
	v_add_f64_e32 v[8:9], v[6:7], v[4:5]
	v_mul_f64_e32 v[10:11], 0x3ff921fb54442d18, v[8:9]
	v_add_f64_e64 v[6:7], v[8:9], -v[6:7]
	s_delay_alu instid0(VALU_DEP_2) | instskip(NEXT) | instid1(VALU_DEP_2)
	v_fma_f64 v[14:15], v[8:9], s[8:9], -v[10:11]
	v_add_f64_e64 v[4:5], v[4:5], -v[6:7]
	s_delay_alu instid0(VALU_DEP_2) | instskip(NEXT) | instid1(VALU_DEP_1)
	v_fmamk_f64 v[6:7], v[8:9], 0x3c91a62633145c07, v[14:15]
	v_fmac_f64_e32 v[6:7], 0x3ff921fb54442d18, v[4:5]
	s_delay_alu instid0(VALU_DEP_1) | instskip(NEXT) | instid1(VALU_DEP_1)
	v_add_f64_e32 v[4:5], v[10:11], v[6:7]
	v_add_f64_e64 v[8:9], v[4:5], -v[10:11]
	s_delay_alu instid0(VALU_DEP_1)
	v_add_f64_e64 v[6:7], v[6:7], -v[8:9]
	s_and_not1_saveexec_b32 s1, s1
	s_cbranch_execz .LBB105_62
	s_branch .LBB105_61
.LBB105_60:
	s_and_not1_saveexec_b32 s1, s1
	s_cbranch_execz .LBB105_62
.LBB105_61:
	s_mov_b64 s[8:9], 0x3fe45f306dc9c883
	s_delay_alu instid0(SALU_CYCLE_1) | instskip(SKIP_1) | instid1(VALU_DEP_1)
	v_mul_f64_e64 v[4:5], |v[2:3]|, s[8:9]
	s_mov_b64 s[8:9], 0xbff921fb54442d18
	v_rndne_f64_e32 v[8:9], v[4:5]
	s_delay_alu instid0(VALU_DEP_1) | instskip(SKIP_1) | instid1(VALU_DEP_2)
	v_fma_f64 v[4:5], v[8:9], s[8:9], |v[2:3]|
	v_mul_f64_e32 v[6:7], 0xbc91a62633145c00, v[8:9]
	v_fmamk_f64 v[14:15], v[8:9], 0xbc91a62633145c00, v[4:5]
	s_delay_alu instid0(VALU_DEP_2) | instskip(NEXT) | instid1(VALU_DEP_1)
	v_add_f64_e32 v[10:11], v[4:5], v[6:7]
	v_add_f64_e64 v[12:13], v[4:5], -v[10:11]
	s_delay_alu instid0(VALU_DEP_3) | instskip(NEXT) | instid1(VALU_DEP_2)
	v_add_f64_e64 v[4:5], v[10:11], -v[14:15]
	v_add_f64_e32 v[10:11], v[12:13], v[6:7]
	v_fmamk_f64 v[6:7], v[8:9], 0x3c91a62633145c00, v[6:7]
	v_cvt_i32_f64_e32 v12, v[8:9]
	s_delay_alu instid0(VALU_DEP_3) | instskip(NEXT) | instid1(VALU_DEP_1)
	v_add_f64_e32 v[4:5], v[4:5], v[10:11]
	v_add_f64_e64 v[4:5], v[4:5], -v[6:7]
	s_delay_alu instid0(VALU_DEP_1) | instskip(NEXT) | instid1(VALU_DEP_1)
	v_fmamk_f64 v[6:7], v[8:9], 0xb97b839a252049c0, v[4:5]
	v_add_f64_e32 v[4:5], v[14:15], v[6:7]
	s_delay_alu instid0(VALU_DEP_1) | instskip(NEXT) | instid1(VALU_DEP_1)
	v_add_f64_e64 v[10:11], v[4:5], -v[14:15]
	v_add_f64_e64 v[6:7], v[6:7], -v[10:11]
.LBB105_62:
	s_or_b32 exec_lo, exec_lo, s1
                                        ; implicit-def: $vgpr13
                                        ; implicit-def: $vgpr8_vgpr9
                                        ; implicit-def: $vgpr10_vgpr11
	s_and_saveexec_b32 s1, s0
	s_delay_alu instid0(SALU_CYCLE_1)
	s_xor_b32 s0, exec_lo, s1
	s_cbranch_execz .LBB105_64
; %bb.63:
	v_ldexp_f64 v[8:9], |v[2:3]|, 0xffffff80
	v_cmp_le_f64_e64 vcc_lo, 0x7b000000, |v[2:3]|
	v_trig_preop_f64 v[10:11], |v[2:3]|, 0
	v_and_b32_e32 v13, 0x7fffffff, v3
	v_trig_preop_f64 v[14:15], |v[2:3]|, 1
	v_trig_preop_f64 v[24:25], |v[2:3]|, 2
	s_mov_b64 s[8:9], 0x3ff921fb54442d18
	s_delay_alu instid0(VALU_DEP_3) | instskip(SKIP_1) | instid1(VALU_DEP_1)
	v_dual_mov_b32 v32, 0 :: v_dual_cndmask_b32 v9, v13, v9
	v_cndmask_b32_e32 v8, v2, v8, vcc_lo
	v_mul_f64_e32 v[16:17], v[10:11], v[8:9]
	v_mul_f64_e32 v[18:19], v[14:15], v[8:9]
	;; [unrolled: 1-line block ×3, first 2 shown]
	s_delay_alu instid0(VALU_DEP_3) | instskip(NEXT) | instid1(VALU_DEP_3)
	v_fma_f64 v[10:11], v[10:11], v[8:9], -v[16:17]
	v_fma_f64 v[14:15], v[14:15], v[8:9], -v[18:19]
	s_delay_alu instid0(VALU_DEP_3) | instskip(NEXT) | instid1(VALU_DEP_3)
	v_fma_f64 v[8:9], v[24:25], v[8:9], -v[30:31]
	v_add_f64_e32 v[20:21], v[18:19], v[10:11]
	s_delay_alu instid0(VALU_DEP_1) | instskip(SKIP_1) | instid1(VALU_DEP_2)
	v_add_f64_e64 v[22:23], v[20:21], -v[18:19]
	v_add_f64_e32 v[28:29], v[16:17], v[20:21]
	v_add_f64_e64 v[26:27], v[20:21], -v[22:23]
	v_add_f64_e64 v[10:11], v[10:11], -v[22:23]
	s_delay_alu instid0(VALU_DEP_3) | instskip(NEXT) | instid1(VALU_DEP_3)
	v_ldexp_f64 v[22:23], v[28:29], -2
	v_add_f64_e64 v[18:19], v[18:19], -v[26:27]
	v_add_f64_e32 v[26:27], v[30:31], v[14:15]
	s_delay_alu instid0(VALU_DEP_3) | instskip(NEXT) | instid1(VALU_DEP_3)
	v_cmp_neq_f64_e64 vcc_lo, 0x7ff00000, |v[22:23]|
	v_add_f64_e32 v[10:11], v[10:11], v[18:19]
	v_fract_f64_e32 v[18:19], v[22:23]
	s_delay_alu instid0(VALU_DEP_1) | instskip(NEXT) | instid1(VALU_DEP_1)
	v_ldexp_f64 v[18:19], v[18:19], 2
	v_dual_add_f64 v[16:17], v[28:29], -v[16:17] :: v_dual_cndmask_b32 v19, 0, v19, vcc_lo
	s_delay_alu instid0(VALU_DEP_1) | instskip(SKIP_1) | instid1(VALU_DEP_1)
	v_dual_add_f64 v[16:17], v[20:21], -v[16:17] :: v_dual_cndmask_b32 v18, 0, v18, vcc_lo
	v_add_f64_e32 v[20:21], v[26:27], v[10:11]
	v_add_f64_e32 v[22:23], v[16:17], v[20:21]
	v_add_f64_e64 v[34:35], v[20:21], -v[26:27]
	s_delay_alu instid0(VALU_DEP_2) | instskip(NEXT) | instid1(VALU_DEP_2)
	v_add_f64_e32 v[28:29], v[22:23], v[18:19]
	v_add_f64_e64 v[48:49], v[20:21], -v[34:35]
	v_add_f64_e64 v[10:11], v[10:11], -v[34:35]
	;; [unrolled: 1-line block ×3, first 2 shown]
	s_delay_alu instid0(VALU_DEP_4) | instskip(SKIP_1) | instid1(VALU_DEP_3)
	v_cmp_gt_f64_e32 vcc_lo, 0, v[28:29]
	v_add_f64_e64 v[28:29], v[26:27], -v[30:31]
	v_add_f64_e64 v[16:17], v[20:21], -v[16:17]
	v_cndmask_b32_e64 v33, 0, 0x40100000, vcc_lo
	s_delay_alu instid0(VALU_DEP_3) | instskip(SKIP_2) | instid1(VALU_DEP_4)
	v_add_f64_e64 v[38:39], v[26:27], -v[28:29]
	v_add_f64_e64 v[14:15], v[14:15], -v[28:29]
	;; [unrolled: 1-line block ×3, first 2 shown]
	v_add_f64_e32 v[18:19], v[18:19], v[32:33]
	s_delay_alu instid0(VALU_DEP_4) | instskip(NEXT) | instid1(VALU_DEP_3)
	v_add_f64_e64 v[28:29], v[30:31], -v[38:39]
	v_add_f64_e32 v[10:11], v[10:11], v[26:27]
	s_delay_alu instid0(VALU_DEP_3) | instskip(NEXT) | instid1(VALU_DEP_3)
	v_add_f64_e32 v[36:37], v[22:23], v[18:19]
	v_add_f64_e32 v[14:15], v[14:15], v[28:29]
	s_delay_alu instid0(VALU_DEP_2) | instskip(NEXT) | instid1(VALU_DEP_2)
	v_cvt_i32_f64_e32 v13, v[36:37]
	v_add_f64_e32 v[10:11], v[14:15], v[10:11]
	s_delay_alu instid0(VALU_DEP_2) | instskip(NEXT) | instid1(VALU_DEP_2)
	v_cvt_f64_i32_e32 v[34:35], v13
	v_add_f64_e32 v[8:9], v[8:9], v[10:11]
	s_delay_alu instid0(VALU_DEP_2) | instskip(NEXT) | instid1(VALU_DEP_2)
	v_add_f64_e64 v[18:19], v[18:19], -v[34:35]
	v_add_f64_e32 v[8:9], v[16:17], v[8:9]
	s_delay_alu instid0(VALU_DEP_2) | instskip(NEXT) | instid1(VALU_DEP_1)
	v_add_f64_e32 v[14:15], v[22:23], v[18:19]
	v_add_f64_e64 v[10:11], v[14:15], -v[18:19]
	v_cmp_le_f64_e32 vcc_lo, 0.5, v[14:15]
	s_delay_alu instid0(VALU_DEP_2) | instskip(SKIP_2) | instid1(VALU_DEP_3)
	v_add_f64_e64 v[10:11], v[22:23], -v[10:11]
	v_cndmask_b32_e64 v33, 0, 0x3ff00000, vcc_lo
	v_add_co_ci_u32_e64 v13, null, 0, v13, vcc_lo
	v_add_f64_e32 v[8:9], v[8:9], v[10:11]
	s_delay_alu instid0(VALU_DEP_3) | instskip(NEXT) | instid1(VALU_DEP_1)
	v_add_f64_e64 v[10:11], v[14:15], -v[32:33]
	v_add_f64_e32 v[14:15], v[10:11], v[8:9]
	s_delay_alu instid0(VALU_DEP_1) | instskip(SKIP_1) | instid1(VALU_DEP_2)
	v_mul_f64_e32 v[16:17], 0x3ff921fb54442d18, v[14:15]
	v_add_f64_e64 v[10:11], v[14:15], -v[10:11]
	v_fma_f64 v[18:19], v[14:15], s[8:9], -v[16:17]
	s_delay_alu instid0(VALU_DEP_2) | instskip(NEXT) | instid1(VALU_DEP_2)
	v_add_f64_e64 v[8:9], v[8:9], -v[10:11]
	v_fmamk_f64 v[10:11], v[14:15], 0x3c91a62633145c07, v[18:19]
	s_delay_alu instid0(VALU_DEP_1) | instskip(NEXT) | instid1(VALU_DEP_1)
	v_fmac_f64_e32 v[10:11], 0x3ff921fb54442d18, v[8:9]
	v_add_f64_e32 v[8:9], v[16:17], v[10:11]
	s_delay_alu instid0(VALU_DEP_1) | instskip(NEXT) | instid1(VALU_DEP_1)
	v_add_f64_e64 v[14:15], v[8:9], -v[16:17]
	v_add_f64_e64 v[10:11], v[10:11], -v[14:15]
	s_and_not1_saveexec_b32 s0, s0
	s_cbranch_execnz .LBB105_65
	s_branch .LBB105_66
.LBB105_64:
	s_and_not1_saveexec_b32 s0, s0
	s_cbranch_execz .LBB105_66
.LBB105_65:
	s_mov_b64 s[8:9], 0x3fe45f306dc9c883
	s_delay_alu instid0(SALU_CYCLE_1) | instskip(SKIP_1) | instid1(VALU_DEP_1)
	v_mul_f64_e64 v[8:9], |v[2:3]|, s[8:9]
	s_mov_b64 s[8:9], 0xbff921fb54442d18
	v_rndne_f64_e32 v[14:15], v[8:9]
	s_delay_alu instid0(VALU_DEP_1) | instskip(SKIP_2) | instid1(VALU_DEP_3)
	v_fma_f64 v[8:9], v[14:15], s[8:9], |v[2:3]|
	v_mul_f64_e32 v[10:11], 0xbc91a62633145c00, v[14:15]
	v_cvt_i32_f64_e32 v13, v[14:15]
	v_fmamk_f64 v[20:21], v[14:15], 0xbc91a62633145c00, v[8:9]
	s_delay_alu instid0(VALU_DEP_3) | instskip(NEXT) | instid1(VALU_DEP_1)
	v_add_f64_e32 v[16:17], v[8:9], v[10:11]
	v_add_f64_e64 v[18:19], v[8:9], -v[16:17]
	s_delay_alu instid0(VALU_DEP_3) | instskip(NEXT) | instid1(VALU_DEP_2)
	v_add_f64_e64 v[8:9], v[16:17], -v[20:21]
	v_add_f64_e32 v[16:17], v[18:19], v[10:11]
	v_fmamk_f64 v[10:11], v[14:15], 0x3c91a62633145c00, v[10:11]
	s_delay_alu instid0(VALU_DEP_2) | instskip(NEXT) | instid1(VALU_DEP_1)
	v_add_f64_e32 v[8:9], v[8:9], v[16:17]
	v_add_f64_e64 v[8:9], v[8:9], -v[10:11]
	s_delay_alu instid0(VALU_DEP_1) | instskip(NEXT) | instid1(VALU_DEP_1)
	v_fmamk_f64 v[10:11], v[14:15], 0xb97b839a252049c0, v[8:9]
	v_add_f64_e32 v[8:9], v[20:21], v[10:11]
	s_delay_alu instid0(VALU_DEP_1) | instskip(NEXT) | instid1(VALU_DEP_1)
	v_add_f64_e64 v[16:17], v[8:9], -v[20:21]
	v_add_f64_e64 v[10:11], v[10:11], -v[16:17]
.LBB105_66:
	s_or_b32 exec_lo, exec_lo, s0
	s_mov_b64 s[0:1], 0x3ff71547652b82fe
	v_mul_f64_e32 v[18:19], v[8:9], v[8:9]
	v_mul_f64_e64 v[14:15], |v[0:1]|, s[0:1]
	v_cmp_nlt_f64_e64 vcc_lo, 0x40900000, |v[0:1]|
	v_mul_f64_e32 v[16:17], v[4:5], v[4:5]
	v_mov_b64_e32 v[20:21], 0xbe5ae600b42fdfa7
	v_mov_b64_e32 v[26:27], 0x3e21eeb69037ab78
	s_mov_b64 s[0:1], 0xbfe62e42fefa39ef
	v_mov_b64_e32 v[28:29], 0x3ec71de3796cde01
	v_mov_b64_e32 v[36:37], 0xbe927e4fa17f65f6
	;; [unrolled: 1-line block ×5, first 2 shown]
	v_mul_f64_e32 v[66:67], 0.5, v[10:11]
	v_mul_f64_e32 v[34:35], 0.5, v[18:19]
	v_rndne_f64_e32 v[14:15], v[14:15]
	v_mul_f64_e64 v[68:69], v[8:9], -v[18:19]
	v_fmamk_f64 v[22:23], v[16:17], 0x3de5e0b2f9a43bb8, v[20:21]
	v_fmac_f64_e32 v[20:21], 0x3de5e0b2f9a43bb8, v[18:19]
	v_mul_f64_e32 v[24:25], 0.5, v[16:17]
	v_fmamk_f64 v[30:31], v[16:17], 0xbda907db46cc5e42, v[26:27]
	v_fmac_f64_e32 v[26:27], 0xbda907db46cc5e42, v[18:19]
	v_mul_f64_e64 v[50:51], v[4:5], -v[16:17]
	v_fmaak_f64 v[22:23], v[16:17], v[22:23], 0x3ec71de3796cde01
	s_delay_alu instid0(VALU_DEP_1) | instskip(NEXT) | instid1(VALU_DEP_1)
	v_fmaak_f64 v[22:23], v[16:17], v[22:23], 0xbf2a01a019e83e5c
	v_fmaak_f64 v[22:23], v[16:17], v[22:23], 0x3f81111111110bb3
	v_fma_f64 v[32:33], v[14:15], s[0:1], |v[0:1]|
	s_mov_b64 s[0:1], 0x3e5ade156a5dcb37
	v_fmac_f64_e32 v[28:29], v[18:19], v[20:21]
	v_add_f64_e64 v[20:21], -v[24:25], 1.0
	v_fmac_f64_e32 v[36:37], v[18:19], v[26:27]
	s_delay_alu instid0(VALU_DEP_4)
	v_fmamk_f64 v[26:27], v[14:15], 0xbc7abc9e3b39803f, v[32:33]
	v_add_f64_e64 v[32:33], -v[34:35], 1.0
	v_fmac_f64_e32 v[38:39], v[18:19], v[28:29]
	v_mul_f64_e32 v[28:29], 0.5, v[6:7]
	v_add_f64_e64 v[52:53], -v[20:21], 1.0
	v_fmac_f64_e32 v[54:55], v[18:19], v[36:37]
	v_fmaak_f64 v[48:49], s[0:1], v[26:27], 0x3e928af3fca7ab0c
	v_cmp_class_f64_e64 s1, v[2:3], 0x1f8
	v_and_b32_e32 v2, 1, v13
	s_delay_alu instid0(VALU_DEP_1) | instskip(NEXT) | instid1(VALU_DEP_4)
	v_cmp_eq_u32_e64 s2, 0, v2
	v_fmaak_f64 v[48:49], v[26:27], v[48:49], 0x3ec71dee623fde64
	s_delay_alu instid0(VALU_DEP_1) | instskip(NEXT) | instid1(VALU_DEP_1)
	v_fmaak_f64 v[48:49], v[26:27], v[48:49], 0x3efa01997c89e6b0
	v_fmaak_f64 v[48:49], v[26:27], v[48:49], 0x3f2a01a014761f6e
	v_add_f64_e64 v[36:37], -v[32:33], 1.0
	v_fmac_f64_e32 v[64:65], v[18:19], v[38:39]
	v_fmac_f64_e32 v[28:29], v[50:51], v[22:23]
	v_add_f64_e64 v[22:23], v[52:53], -v[24:25]
	v_fmaak_f64 v[38:39], v[26:27], v[48:49], 0x3f56c16c1852b7b0
	v_mul_f64_e32 v[48:49], v[18:19], v[18:19]
	s_delay_alu instid0(VALU_DEP_2) | instskip(SKIP_1) | instid1(VALU_DEP_2)
	v_fmaak_f64 v[24:25], v[26:27], v[38:39], 0x3f81111111122322
	v_mov_b64_e32 v[38:39], 0xbf56c16c16c16967
	v_fmaak_f64 v[24:25], v[26:27], v[24:25], 0x3fa55555555502a1
	s_delay_alu instid0(VALU_DEP_2) | instskip(NEXT) | instid1(VALU_DEP_2)
	v_fmac_f64_e32 v[38:39], v[18:19], v[54:55]
	v_fmaak_f64 v[24:25], v[26:27], v[24:25], 0x3fc5555555555511
	v_add_f64_e64 v[34:35], v[36:37], -v[34:35]
	v_mul_f64_e32 v[36:37], v[16:17], v[16:17]
	s_delay_alu instid0(VALU_DEP_3)
	v_fmaak_f64 v[24:25], v[26:27], v[24:25], 0x3fe000000000000b
	v_fma_f64 v[28:29], v[16:17], v[28:29], -v[6:7]
	v_fma_f64 v[6:7], v[4:5], -v[6:7], v[22:23]
	v_fmaak_f64 v[22:23], v[16:17], v[30:31], 0xbe927e4fa17f65f6
	v_mov_b64_e32 v[30:31], 0x3fa5555555555555
	v_fmac_f64_e32 v[66:67], v[68:69], v[64:65]
	v_fma_f64 v[24:25], v[26:27], v[24:25], 1.0
	s_delay_alu instid0(VALU_DEP_4) | instskip(NEXT) | instid1(VALU_DEP_1)
	v_fmaak_f64 v[22:23], v[16:17], v[22:23], 0x3efa01a019f4ec90
	v_fmaak_f64 v[22:23], v[16:17], v[22:23], 0xbf56c16c16c16967
	v_fmac_f64_e32 v[30:31], v[18:19], v[38:39]
	s_delay_alu instid0(VALU_DEP_2) | instskip(SKIP_2) | instid1(VALU_DEP_3)
	v_fmaak_f64 v[16:17], v[16:17], v[22:23], 0x3fa5555555555555
	v_fma_f64 v[22:23], v[8:9], -v[10:11], v[34:35]
	v_fmac_f64_e32 v[28:29], 0xbfc5555555555555, v[50:51]
	v_fmac_f64_e32 v[6:7], v[36:37], v[16:17]
	s_delay_alu instid0(VALU_DEP_3) | instskip(NEXT) | instid1(VALU_DEP_3)
	v_fmac_f64_e32 v[22:23], v[48:49], v[30:31]
	v_add_f64_e64 v[4:5], v[4:5], -v[28:29]
	s_delay_alu instid0(VALU_DEP_3) | instskip(NEXT) | instid1(VALU_DEP_3)
	v_add_f64_e32 v[6:7], v[20:21], v[6:7]
	v_add_f64_e32 v[16:17], v[32:33], v[22:23]
	v_fma_f64 v[10:11], v[18:19], v[66:67], -v[10:11]
	v_cvt_i32_f64_e32 v18, v[14:15]
	v_fma_f64 v[14:15], v[26:27], v[24:25], 1.0
	s_delay_alu instid0(VALU_DEP_1) | instskip(SKIP_1) | instid1(VALU_DEP_1)
	v_ldexp_f64 v[14:15], v[14:15], v18
	v_and_b32_e32 v18, 1, v12
	v_cmp_eq_u32_e64 s0, 0, v18
	s_delay_alu instid0(VALU_DEP_1) | instskip(SKIP_2) | instid1(VALU_DEP_1)
	v_dual_cndmask_b32 v0, v4, v6, s0 :: v_dual_lshlrev_b32 v6, 30, v12
	v_fmac_f64_e32 v[10:11], 0xbfc5555555555555, v[68:69]
	v_xor_b32_e32 v4, 0x80000000, v5
	v_dual_lshlrev_b32 v5, 30, v13 :: v_dual_cndmask_b32 v2, v4, v7, s0
	s_delay_alu instid0(VALU_DEP_1) | instskip(NEXT) | instid1(VALU_DEP_2)
	v_xor_b32_e32 v3, v5, v3
	v_bitop3_b32 v6, v2, v6, 0x80000000 bitop3:0x78
	v_dual_add_f64 v[8:9], v[8:9], -v[10:11] :: v_dual_cndmask_b32 v2, 0, v0, s1
	s_delay_alu instid0(VALU_DEP_1) | instskip(NEXT) | instid1(VALU_DEP_1)
	v_dual_mul_f64 v[10:11], 0.5, v[14:15] :: v_dual_cndmask_b32 v7, v16, v8, s2
	v_dual_cndmask_b32 v8, v17, v9, s2 :: v_dual_cndmask_b32 v4, 0, v10, vcc_lo
	s_delay_alu instid0(VALU_DEP_2) | instskip(NEXT) | instid1(VALU_DEP_2)
	v_cndmask_b32_e64 v0, 0, v7, s1
	v_bitop3_b32 v8, v8, v3, 0x80000000 bitop3:0x78
	v_cndmask_b32_e64 v3, 0x7ff80000, v6, s1
	s_delay_alu instid0(VALU_DEP_4) | instskip(NEXT) | instid1(VALU_DEP_1)
	v_dual_mov_b32 v6, v4 :: v_dual_cndmask_b32 v5, 0x7ff00000, v11
	v_bfi_b32 v7, 0x7fffffff, v5, v1
	s_delay_alu instid0(VALU_DEP_4) | instskip(NEXT) | instid1(VALU_DEP_2)
	v_cndmask_b32_e64 v1, 0x7ff80000, v8, s1
	v_mul_f64_e32 v[6:7], v[6:7], v[2:3]
	s_delay_alu instid0(VALU_DEP_2)
	v_mul_f64_e32 v[4:5], v[4:5], v[0:1]
.LBB105_67:
	s_or_b32 exec_lo, exec_lo, s6
                                        ; implicit-def: $vgpr0_vgpr1
                                        ; implicit-def: $vgpr2_vgpr3
.LBB105_68:
	s_and_not1_saveexec_b32 s5, s5
	s_cbranch_execz .LBB105_78
; %bb.69:
	v_cmp_ngt_f64_e64 s0, 0x41d00000, |v[2:3]|
	v_trig_preop_f64 v[16:17], |v[2:3]|, 0
	v_trig_preop_f64 v[14:15], |v[2:3]|, 1
	v_ldexp_f64 v[18:19], |v[2:3]|, 0xffffff80
	v_trig_preop_f64 v[12:13], |v[2:3]|, 2
	v_and_b32_e32 v22, 0x7fffffff, v3
                                        ; implicit-def: $vgpr20
                                        ; implicit-def: $vgpr4_vgpr5
                                        ; implicit-def: $vgpr6_vgpr7
	s_and_saveexec_b32 s1, s0
	s_delay_alu instid0(SALU_CYCLE_1)
	s_xor_b32 s1, exec_lo, s1
	s_cbranch_execz .LBB105_71
; %bb.70:
	v_cmp_le_f64_e64 vcc_lo, 0x7b000000, |v[2:3]|
	s_mov_b64 s[6:7], 0x3ff921fb54442d18
	v_dual_mov_b32 v34, 0 :: v_dual_cndmask_b32 v5, v22, v19
	v_cndmask_b32_e32 v4, v2, v18, vcc_lo
	s_delay_alu instid0(VALU_DEP_1) | instskip(SKIP_1) | instid1(VALU_DEP_2)
	v_mul_f64_e32 v[6:7], v[16:17], v[4:5]
	v_mul_f64_e32 v[8:9], v[14:15], v[4:5]
	v_fma_f64 v[10:11], v[16:17], v[4:5], -v[6:7]
	s_delay_alu instid0(VALU_DEP_1) | instskip(NEXT) | instid1(VALU_DEP_1)
	v_add_f64_e32 v[20:21], v[8:9], v[10:11]
	v_add_f64_e64 v[24:25], v[20:21], -v[8:9]
	v_add_f64_e32 v[28:29], v[6:7], v[20:21]
	s_delay_alu instid0(VALU_DEP_2) | instskip(SKIP_2) | instid1(VALU_DEP_4)
	v_add_f64_e64 v[26:27], v[20:21], -v[24:25]
	v_fma_f64 v[32:33], v[14:15], v[4:5], -v[8:9]
	v_add_f64_e64 v[10:11], v[10:11], -v[24:25]
	v_ldexp_f64 v[24:25], v[28:29], -2
	v_mul_f64_e32 v[30:31], v[12:13], v[4:5]
	v_add_f64_e64 v[8:9], v[8:9], -v[26:27]
	s_delay_alu instid0(VALU_DEP_3) | instskip(NEXT) | instid1(VALU_DEP_3)
	v_cmp_neq_f64_e64 vcc_lo, 0x7ff00000, |v[24:25]|
	v_add_f64_e32 v[26:27], v[30:31], v[32:33]
	v_fma_f64 v[4:5], v[12:13], v[4:5], -v[30:31]
	s_delay_alu instid0(VALU_DEP_4) | instskip(SKIP_1) | instid1(VALU_DEP_1)
	v_add_f64_e32 v[8:9], v[10:11], v[8:9]
	v_fract_f64_e32 v[10:11], v[24:25]
	v_ldexp_f64 v[10:11], v[10:11], 2
	s_delay_alu instid0(VALU_DEP_1) | instskip(SKIP_1) | instid1(VALU_DEP_3)
	v_cndmask_b32_e32 v11, 0, v11, vcc_lo
	v_add_f64_e64 v[6:7], v[28:29], -v[6:7]
	v_cndmask_b32_e32 v10, 0, v10, vcc_lo
	s_delay_alu instid0(VALU_DEP_2) | instskip(SKIP_1) | instid1(VALU_DEP_1)
	v_add_f64_e64 v[6:7], v[20:21], -v[6:7]
	v_add_f64_e32 v[20:21], v[26:27], v[8:9]
	v_add_f64_e32 v[24:25], v[6:7], v[20:21]
	v_add_f64_e64 v[36:37], v[20:21], -v[26:27]
	s_delay_alu instid0(VALU_DEP_2) | instskip(NEXT) | instid1(VALU_DEP_2)
	v_add_f64_e32 v[28:29], v[24:25], v[10:11]
	v_add_f64_e64 v[50:51], v[20:21], -v[36:37]
	v_add_f64_e64 v[8:9], v[8:9], -v[36:37]
	;; [unrolled: 1-line block ×3, first 2 shown]
	s_delay_alu instid0(VALU_DEP_4) | instskip(SKIP_1) | instid1(VALU_DEP_3)
	v_cmp_gt_f64_e32 vcc_lo, 0, v[28:29]
	v_add_f64_e64 v[28:29], v[26:27], -v[30:31]
	v_add_f64_e64 v[6:7], v[20:21], -v[6:7]
	v_cndmask_b32_e64 v35, 0, 0x40100000, vcc_lo
	s_delay_alu instid0(VALU_DEP_3) | instskip(SKIP_2) | instid1(VALU_DEP_4)
	v_add_f64_e64 v[48:49], v[26:27], -v[28:29]
	v_add_f64_e64 v[28:29], v[32:33], -v[28:29]
	;; [unrolled: 1-line block ×3, first 2 shown]
	v_add_f64_e32 v[10:11], v[10:11], v[34:35]
	s_delay_alu instid0(VALU_DEP_4) | instskip(NEXT) | instid1(VALU_DEP_3)
	v_add_f64_e64 v[32:33], v[30:31], -v[48:49]
	v_add_f64_e32 v[8:9], v[8:9], v[26:27]
	s_delay_alu instid0(VALU_DEP_3) | instskip(NEXT) | instid1(VALU_DEP_3)
	v_add_f64_e32 v[38:39], v[24:25], v[10:11]
	v_add_f64_e32 v[28:29], v[28:29], v[32:33]
	s_delay_alu instid0(VALU_DEP_2) | instskip(NEXT) | instid1(VALU_DEP_2)
	v_cvt_i32_f64_e32 v23, v[38:39]
	v_add_f64_e32 v[8:9], v[28:29], v[8:9]
	s_delay_alu instid0(VALU_DEP_2) | instskip(NEXT) | instid1(VALU_DEP_2)
	v_cvt_f64_i32_e32 v[36:37], v23
	v_add_f64_e32 v[4:5], v[4:5], v[8:9]
	s_delay_alu instid0(VALU_DEP_2) | instskip(NEXT) | instid1(VALU_DEP_2)
	v_add_f64_e64 v[10:11], v[10:11], -v[36:37]
	v_add_f64_e32 v[4:5], v[6:7], v[4:5]
	s_delay_alu instid0(VALU_DEP_2) | instskip(NEXT) | instid1(VALU_DEP_1)
	v_add_f64_e32 v[26:27], v[24:25], v[10:11]
	v_add_f64_e64 v[8:9], v[26:27], -v[10:11]
	v_cmp_le_f64_e32 vcc_lo, 0.5, v[26:27]
	s_delay_alu instid0(VALU_DEP_2) | instskip(SKIP_2) | instid1(VALU_DEP_3)
	v_add_f64_e64 v[6:7], v[24:25], -v[8:9]
	v_cndmask_b32_e64 v35, 0, 0x3ff00000, vcc_lo
	v_add_co_ci_u32_e64 v20, null, 0, v23, vcc_lo
	v_add_f64_e32 v[4:5], v[4:5], v[6:7]
	s_delay_alu instid0(VALU_DEP_3) | instskip(NEXT) | instid1(VALU_DEP_1)
	v_add_f64_e64 v[6:7], v[26:27], -v[34:35]
	v_add_f64_e32 v[8:9], v[6:7], v[4:5]
	s_delay_alu instid0(VALU_DEP_1) | instskip(SKIP_1) | instid1(VALU_DEP_2)
	v_mul_f64_e32 v[10:11], 0x3ff921fb54442d18, v[8:9]
	v_add_f64_e64 v[6:7], v[8:9], -v[6:7]
	v_fma_f64 v[24:25], v[8:9], s[6:7], -v[10:11]
	s_delay_alu instid0(VALU_DEP_2) | instskip(NEXT) | instid1(VALU_DEP_2)
	v_add_f64_e64 v[4:5], v[4:5], -v[6:7]
	v_fmamk_f64 v[6:7], v[8:9], 0x3c91a62633145c07, v[24:25]
	s_delay_alu instid0(VALU_DEP_1) | instskip(NEXT) | instid1(VALU_DEP_1)
	v_fmac_f64_e32 v[6:7], 0x3ff921fb54442d18, v[4:5]
	v_add_f64_e32 v[4:5], v[10:11], v[6:7]
	s_delay_alu instid0(VALU_DEP_1) | instskip(NEXT) | instid1(VALU_DEP_1)
	v_add_f64_e64 v[8:9], v[4:5], -v[10:11]
	v_add_f64_e64 v[6:7], v[6:7], -v[8:9]
	s_and_not1_saveexec_b32 s1, s1
	s_cbranch_execz .LBB105_73
	s_branch .LBB105_72
.LBB105_71:
	s_and_not1_saveexec_b32 s1, s1
	s_cbranch_execz .LBB105_73
.LBB105_72:
	s_mov_b64 s[6:7], 0x3fe45f306dc9c883
	s_delay_alu instid0(SALU_CYCLE_1) | instskip(SKIP_1) | instid1(VALU_DEP_1)
	v_mul_f64_e64 v[4:5], |v[2:3]|, s[6:7]
	s_mov_b64 s[6:7], 0xbff921fb54442d18
	v_rndne_f64_e32 v[8:9], v[4:5]
	s_delay_alu instid0(VALU_DEP_1) | instskip(SKIP_1) | instid1(VALU_DEP_2)
	v_fma_f64 v[4:5], v[8:9], s[6:7], |v[2:3]|
	v_mul_f64_e32 v[6:7], 0xbc91a62633145c00, v[8:9]
	v_fmamk_f64 v[24:25], v[8:9], 0xbc91a62633145c00, v[4:5]
	s_delay_alu instid0(VALU_DEP_2) | instskip(NEXT) | instid1(VALU_DEP_1)
	v_add_f64_e32 v[10:11], v[4:5], v[6:7]
	v_add_f64_e64 v[20:21], v[4:5], -v[10:11]
	s_delay_alu instid0(VALU_DEP_3) | instskip(NEXT) | instid1(VALU_DEP_2)
	v_add_f64_e64 v[4:5], v[10:11], -v[24:25]
	v_add_f64_e32 v[10:11], v[20:21], v[6:7]
	v_fmamk_f64 v[6:7], v[8:9], 0x3c91a62633145c00, v[6:7]
	v_cvt_i32_f64_e32 v20, v[8:9]
	s_delay_alu instid0(VALU_DEP_3) | instskip(NEXT) | instid1(VALU_DEP_1)
	v_add_f64_e32 v[4:5], v[4:5], v[10:11]
	v_add_f64_e64 v[4:5], v[4:5], -v[6:7]
	s_delay_alu instid0(VALU_DEP_1) | instskip(NEXT) | instid1(VALU_DEP_1)
	v_fmamk_f64 v[6:7], v[8:9], 0xb97b839a252049c0, v[4:5]
	v_add_f64_e32 v[4:5], v[24:25], v[6:7]
	s_delay_alu instid0(VALU_DEP_1) | instskip(NEXT) | instid1(VALU_DEP_1)
	v_add_f64_e64 v[10:11], v[4:5], -v[24:25]
	v_add_f64_e64 v[6:7], v[6:7], -v[10:11]
.LBB105_73:
	s_or_b32 exec_lo, exec_lo, s1
                                        ; implicit-def: $vgpr21
                                        ; implicit-def: $vgpr8_vgpr9
                                        ; implicit-def: $vgpr10_vgpr11
	s_and_saveexec_b32 s1, s0
	s_delay_alu instid0(SALU_CYCLE_1)
	s_xor_b32 s0, exec_lo, s1
	s_cbranch_execz .LBB105_75
; %bb.74:
	v_cmp_le_f64_e64 vcc_lo, 0x7b000000, |v[2:3]|
	s_mov_b64 s[6:7], 0x3ff921fb54442d18
	v_dual_mov_b32 v32, 0 :: v_dual_cndmask_b32 v9, v22, v19
	v_cndmask_b32_e32 v8, v2, v18, vcc_lo
	s_delay_alu instid0(VALU_DEP_1) | instskip(SKIP_1) | instid1(VALU_DEP_2)
	v_mul_f64_e32 v[10:11], v[16:17], v[8:9]
	v_mul_f64_e32 v[18:19], v[14:15], v[8:9]
	v_fma_f64 v[16:17], v[16:17], v[8:9], -v[10:11]
	s_delay_alu instid0(VALU_DEP_1) | instskip(NEXT) | instid1(VALU_DEP_1)
	v_add_f64_e32 v[22:23], v[18:19], v[16:17]
	v_add_f64_e64 v[24:25], v[22:23], -v[18:19]
	v_add_f64_e32 v[28:29], v[10:11], v[22:23]
	s_delay_alu instid0(VALU_DEP_2) | instskip(SKIP_2) | instid1(VALU_DEP_4)
	v_add_f64_e64 v[26:27], v[22:23], -v[24:25]
	v_add_f64_e64 v[16:17], v[16:17], -v[24:25]
	v_fma_f64 v[14:15], v[14:15], v[8:9], -v[18:19]
	v_ldexp_f64 v[24:25], v[28:29], -2
	s_delay_alu instid0(VALU_DEP_4) | instskip(NEXT) | instid1(VALU_DEP_2)
	v_add_f64_e64 v[18:19], v[18:19], -v[26:27]
	v_cmp_neq_f64_e64 vcc_lo, 0x7ff00000, |v[24:25]|
	s_delay_alu instid0(VALU_DEP_2) | instskip(SKIP_1) | instid1(VALU_DEP_1)
	v_add_f64_e32 v[16:17], v[16:17], v[18:19]
	v_fract_f64_e32 v[18:19], v[24:25]
	v_ldexp_f64 v[18:19], v[18:19], 2
	s_delay_alu instid0(VALU_DEP_1) | instskip(NEXT) | instid1(VALU_DEP_2)
	v_dual_mul_f64 v[30:31], v[12:13], v[8:9] :: v_dual_cndmask_b32 v19, 0, v19, vcc_lo
	v_cndmask_b32_e32 v18, 0, v18, vcc_lo
	v_add_f64_e64 v[10:11], v[28:29], -v[10:11]
	s_delay_alu instid0(VALU_DEP_3) | instskip(SKIP_1) | instid1(VALU_DEP_3)
	v_add_f64_e32 v[26:27], v[30:31], v[14:15]
	v_fma_f64 v[8:9], v[12:13], v[8:9], -v[30:31]
	v_add_f64_e64 v[10:11], v[22:23], -v[10:11]
	s_delay_alu instid0(VALU_DEP_3) | instskip(NEXT) | instid1(VALU_DEP_1)
	v_add_f64_e32 v[22:23], v[26:27], v[16:17]
	v_add_f64_e32 v[24:25], v[10:11], v[22:23]
	v_add_f64_e64 v[34:35], v[22:23], -v[26:27]
	s_delay_alu instid0(VALU_DEP_2) | instskip(NEXT) | instid1(VALU_DEP_2)
	v_add_f64_e32 v[28:29], v[24:25], v[18:19]
	v_add_f64_e64 v[48:49], v[22:23], -v[34:35]
	v_add_f64_e64 v[16:17], v[16:17], -v[34:35]
	;; [unrolled: 1-line block ×3, first 2 shown]
	s_delay_alu instid0(VALU_DEP_4) | instskip(SKIP_1) | instid1(VALU_DEP_3)
	v_cmp_gt_f64_e32 vcc_lo, 0, v[28:29]
	v_add_f64_e64 v[28:29], v[26:27], -v[30:31]
	v_add_f64_e64 v[10:11], v[22:23], -v[10:11]
	v_cndmask_b32_e64 v33, 0, 0x40100000, vcc_lo
	s_delay_alu instid0(VALU_DEP_3) | instskip(SKIP_2) | instid1(VALU_DEP_4)
	v_add_f64_e64 v[38:39], v[26:27], -v[28:29]
	v_add_f64_e64 v[14:15], v[14:15], -v[28:29]
	;; [unrolled: 1-line block ×3, first 2 shown]
	v_add_f64_e32 v[18:19], v[18:19], v[32:33]
	s_delay_alu instid0(VALU_DEP_4) | instskip(NEXT) | instid1(VALU_DEP_3)
	v_add_f64_e64 v[28:29], v[30:31], -v[38:39]
	v_add_f64_e32 v[16:17], v[16:17], v[26:27]
	s_delay_alu instid0(VALU_DEP_3) | instskip(NEXT) | instid1(VALU_DEP_3)
	v_add_f64_e32 v[36:37], v[24:25], v[18:19]
	v_add_f64_e32 v[14:15], v[14:15], v[28:29]
	s_delay_alu instid0(VALU_DEP_2) | instskip(NEXT) | instid1(VALU_DEP_2)
	v_cvt_i32_f64_e32 v21, v[36:37]
	v_add_f64_e32 v[12:13], v[14:15], v[16:17]
	s_delay_alu instid0(VALU_DEP_2) | instskip(NEXT) | instid1(VALU_DEP_2)
	v_cvt_f64_i32_e32 v[34:35], v21
	v_add_f64_e32 v[8:9], v[8:9], v[12:13]
	s_delay_alu instid0(VALU_DEP_2) | instskip(NEXT) | instid1(VALU_DEP_2)
	v_add_f64_e64 v[18:19], v[18:19], -v[34:35]
	v_add_f64_e32 v[8:9], v[10:11], v[8:9]
	s_delay_alu instid0(VALU_DEP_2) | instskip(NEXT) | instid1(VALU_DEP_1)
	v_add_f64_e32 v[14:15], v[24:25], v[18:19]
	v_add_f64_e64 v[12:13], v[14:15], -v[18:19]
	v_cmp_le_f64_e32 vcc_lo, 0.5, v[14:15]
	s_delay_alu instid0(VALU_DEP_2) | instskip(SKIP_2) | instid1(VALU_DEP_3)
	v_add_f64_e64 v[10:11], v[24:25], -v[12:13]
	v_cndmask_b32_e64 v33, 0, 0x3ff00000, vcc_lo
	v_add_co_ci_u32_e64 v21, null, 0, v21, vcc_lo
	v_add_f64_e32 v[8:9], v[8:9], v[10:11]
	s_delay_alu instid0(VALU_DEP_3) | instskip(NEXT) | instid1(VALU_DEP_1)
	v_add_f64_e64 v[10:11], v[14:15], -v[32:33]
	v_add_f64_e32 v[12:13], v[10:11], v[8:9]
	s_delay_alu instid0(VALU_DEP_1) | instskip(SKIP_1) | instid1(VALU_DEP_2)
	v_mul_f64_e32 v[14:15], 0x3ff921fb54442d18, v[12:13]
	v_add_f64_e64 v[10:11], v[12:13], -v[10:11]
	v_fma_f64 v[16:17], v[12:13], s[6:7], -v[14:15]
	s_delay_alu instid0(VALU_DEP_2) | instskip(NEXT) | instid1(VALU_DEP_2)
	v_add_f64_e64 v[8:9], v[8:9], -v[10:11]
	v_fmamk_f64 v[10:11], v[12:13], 0x3c91a62633145c07, v[16:17]
	s_delay_alu instid0(VALU_DEP_1) | instskip(NEXT) | instid1(VALU_DEP_1)
	v_fmac_f64_e32 v[10:11], 0x3ff921fb54442d18, v[8:9]
	v_add_f64_e32 v[8:9], v[14:15], v[10:11]
	s_delay_alu instid0(VALU_DEP_1) | instskip(NEXT) | instid1(VALU_DEP_1)
	v_add_f64_e64 v[12:13], v[8:9], -v[14:15]
	v_add_f64_e64 v[10:11], v[10:11], -v[12:13]
	s_and_not1_saveexec_b32 s0, s0
	s_cbranch_execnz .LBB105_76
	s_branch .LBB105_77
.LBB105_75:
	s_and_not1_saveexec_b32 s0, s0
	s_cbranch_execz .LBB105_77
.LBB105_76:
	s_mov_b64 s[6:7], 0x3fe45f306dc9c883
	s_delay_alu instid0(SALU_CYCLE_1) | instskip(SKIP_1) | instid1(VALU_DEP_1)
	v_mul_f64_e64 v[8:9], |v[2:3]|, s[6:7]
	s_mov_b64 s[6:7], 0xbff921fb54442d18
	v_rndne_f64_e32 v[12:13], v[8:9]
	s_delay_alu instid0(VALU_DEP_1) | instskip(SKIP_2) | instid1(VALU_DEP_3)
	v_fma_f64 v[8:9], v[12:13], s[6:7], |v[2:3]|
	v_mul_f64_e32 v[10:11], 0xbc91a62633145c00, v[12:13]
	v_cvt_i32_f64_e32 v21, v[12:13]
	v_fmamk_f64 v[18:19], v[12:13], 0xbc91a62633145c00, v[8:9]
	s_delay_alu instid0(VALU_DEP_3) | instskip(NEXT) | instid1(VALU_DEP_1)
	v_add_f64_e32 v[14:15], v[8:9], v[10:11]
	v_add_f64_e64 v[16:17], v[8:9], -v[14:15]
	s_delay_alu instid0(VALU_DEP_3) | instskip(NEXT) | instid1(VALU_DEP_2)
	v_add_f64_e64 v[8:9], v[14:15], -v[18:19]
	v_add_f64_e32 v[14:15], v[16:17], v[10:11]
	v_fmamk_f64 v[10:11], v[12:13], 0x3c91a62633145c00, v[10:11]
	s_delay_alu instid0(VALU_DEP_2) | instskip(NEXT) | instid1(VALU_DEP_1)
	v_add_f64_e32 v[8:9], v[8:9], v[14:15]
	v_add_f64_e64 v[8:9], v[8:9], -v[10:11]
	s_delay_alu instid0(VALU_DEP_1) | instskip(NEXT) | instid1(VALU_DEP_1)
	v_fmamk_f64 v[10:11], v[12:13], 0xb97b839a252049c0, v[8:9]
	v_add_f64_e32 v[8:9], v[18:19], v[10:11]
	s_delay_alu instid0(VALU_DEP_1) | instskip(NEXT) | instid1(VALU_DEP_1)
	v_add_f64_e64 v[14:15], v[8:9], -v[18:19]
	v_add_f64_e64 v[10:11], v[10:11], -v[14:15]
.LBB105_77:
	s_or_b32 exec_lo, exec_lo, s0
	s_mov_b64 s[0:1], 0xbfe62e42fefa39ef
	v_mov_b64_e32 v[36:37], 0x3e21eeb69037ab78
	v_add_f64_e64 v[12:13], |v[0:1]|, s[0:1]
	s_mov_b64 s[0:1], 0x3e5ade156a5dcb37
	v_mov_b64_e32 v[38:39], 0x3ec71de3796cde01
	v_mov_b64_e32 v[54:55], 0xbe927e4fa17f65f6
	;; [unrolled: 1-line block ×5, first 2 shown]
	v_mul_f64_e32 v[82:83], 0.5, v[10:11]
	v_add_f64_e64 v[14:15], v[12:13], -|v[0:1]|
	s_delay_alu instid0(VALU_DEP_1) | instskip(SKIP_1) | instid1(VALU_DEP_2)
	v_add_f64_e64 v[16:17], v[14:15], -v[12:13]
	v_add_f64_e32 v[14:15], 0x3fe62e42fefa39ef, v[14:15]
	v_add_f64_e64 v[16:17], |v[0:1]|, v[16:17]
	s_delay_alu instid0(VALU_DEP_1) | instskip(NEXT) | instid1(VALU_DEP_1)
	v_add_f64_e64 v[14:15], v[16:17], -v[14:15]
	v_add_f64_e32 v[14:15], 0xbc7abc9e3b39803f, v[14:15]
	s_delay_alu instid0(VALU_DEP_1) | instskip(NEXT) | instid1(VALU_DEP_1)
	v_add_f64_e32 v[16:17], v[12:13], v[14:15]
	v_mul_f64_e32 v[18:19], 0x3ff71547652b82fe, v[16:17]
	v_add_f64_e64 v[12:13], v[12:13], -v[16:17]
	s_delay_alu instid0(VALU_DEP_2) | instskip(NEXT) | instid1(VALU_DEP_2)
	v_rndne_f64_e32 v[18:19], v[18:19]
	v_add_f64_e32 v[12:13], v[14:15], v[12:13]
	s_delay_alu instid0(VALU_DEP_2) | instskip(SKIP_1) | instid1(VALU_DEP_2)
	v_fmamk_f64 v[14:15], v[18:19], 0xbfe62e42fefa3000, v[16:17]
	v_mul_f64_e32 v[16:17], 0xbd53de6af278e000, v[18:19]
	v_add_f64_e32 v[22:23], v[12:13], v[14:15]
	s_delay_alu instid0(VALU_DEP_1) | instskip(SKIP_1) | instid1(VALU_DEP_2)
	v_add_f64_e32 v[24:25], v[22:23], v[16:17]
	v_add_f64_e64 v[14:15], v[14:15], -v[22:23]
	v_add_f64_e64 v[22:23], v[22:23], -v[24:25]
	s_delay_alu instid0(VALU_DEP_2) | instskip(NEXT) | instid1(VALU_DEP_2)
	v_add_f64_e32 v[12:13], v[12:13], v[14:15]
	v_add_f64_e32 v[14:15], v[22:23], v[16:17]
	s_delay_alu instid0(VALU_DEP_1) | instskip(SKIP_1) | instid1(VALU_DEP_2)
	v_add_f64_e32 v[12:13], v[12:13], v[14:15]
	v_mul_f64_e32 v[14:15], 0xbac9cc01f97b57a0, v[18:19]
	v_add_f64_e32 v[16:17], v[24:25], v[12:13]
	s_delay_alu instid0(VALU_DEP_1) | instskip(SKIP_1) | instid1(VALU_DEP_2)
	v_add_f64_e32 v[22:23], v[16:17], v[14:15]
	v_add_f64_e64 v[24:25], v[24:25], -v[16:17]
	v_add_f64_e64 v[16:17], v[16:17], -v[22:23]
	s_delay_alu instid0(VALU_DEP_2) | instskip(NEXT) | instid1(VALU_DEP_2)
	v_add_f64_e32 v[12:13], v[12:13], v[24:25]
	v_add_f64_e32 v[14:15], v[16:17], v[14:15]
	s_delay_alu instid0(VALU_DEP_1) | instskip(NEXT) | instid1(VALU_DEP_1)
	v_add_f64_e32 v[12:13], v[12:13], v[14:15]
	v_add_f64_e32 v[14:15], v[22:23], v[12:13]
	s_delay_alu instid0(VALU_DEP_1) | instskip(SKIP_1) | instid1(VALU_DEP_2)
	v_add_f64_e64 v[16:17], v[22:23], -v[14:15]
	v_mul_f64_e32 v[22:23], v[14:15], v[14:15]
	v_add_f64_e32 v[12:13], v[12:13], v[16:17]
	s_delay_alu instid0(VALU_DEP_2) | instskip(NEXT) | instid1(VALU_DEP_2)
	v_fma_f64 v[16:17], v[14:15], v[14:15], -v[22:23]
	v_add_f64_e32 v[24:25], v[12:13], v[12:13]
	s_delay_alu instid0(VALU_DEP_1) | instskip(SKIP_2) | instid1(SALU_CYCLE_1)
	v_fmac_f64_e32 v[16:17], v[14:15], v[24:25]
	v_fmaak_f64 v[24:25], s[0:1], v[14:15], 0x3e928af3fca7ab0c
	s_mov_b64 s[0:1], 0x408633ce8fb9f87e
	v_cmp_ge_f64_e64 s6, |v[0:1]|, s[0:1]
	v_cmp_class_f64_e64 s1, v[2:3], 0x1f8
	v_and_b32_e32 v2, 1, v21
	v_cmp_gt_f64_e64 s0, 0x3e400000, |v[0:1]|
	v_fmaak_f64 v[24:25], v[14:15], v[24:25], 0x3ec71dee623fde64
	s_delay_alu instid0(VALU_DEP_3) | instskip(SKIP_1) | instid1(VALU_DEP_3)
	v_cmp_eq_u32_e64 s2, 0, v2
	v_lshlrev_b32_e32 v2, 30, v20
	v_fmaak_f64 v[24:25], v[14:15], v[24:25], 0x3efa01997c89e6b0
	s_delay_alu instid0(VALU_DEP_1) | instskip(NEXT) | instid1(VALU_DEP_1)
	v_fmaak_f64 v[24:25], v[14:15], v[24:25], 0x3f2a01a014761f6e
	v_fmaak_f64 v[24:25], v[14:15], v[24:25], 0x3f56c16c1852b7b0
	v_add_f64_e32 v[26:27], v[22:23], v[16:17]
	s_delay_alu instid0(VALU_DEP_2) | instskip(NEXT) | instid1(VALU_DEP_1)
	v_fmaak_f64 v[24:25], v[14:15], v[24:25], 0x3f81111111122322
	v_fmaak_f64 v[24:25], v[14:15], v[24:25], 0x3fa55555555502a1
	s_delay_alu instid0(VALU_DEP_1) | instskip(NEXT) | instid1(VALU_DEP_1)
	v_fmaak_f64 v[24:25], v[14:15], v[24:25], 0x3fc5555555555511
	v_fmaak_f64 v[24:25], v[14:15], v[24:25], 0x3fe000000000000b
	v_add_f64_e64 v[22:23], v[26:27], -v[22:23]
	s_delay_alu instid0(VALU_DEP_2) | instskip(NEXT) | instid1(VALU_DEP_2)
	v_mul_f64_e32 v[28:29], v[26:27], v[24:25]
	v_add_f64_e64 v[16:17], v[16:17], -v[22:23]
	s_delay_alu instid0(VALU_DEP_2) | instskip(NEXT) | instid1(VALU_DEP_1)
	v_fma_f64 v[22:23], v[26:27], v[24:25], -v[28:29]
	v_fmac_f64_e32 v[22:23], v[16:17], v[24:25]
	s_delay_alu instid0(VALU_DEP_1) | instskip(NEXT) | instid1(VALU_DEP_1)
	v_add_f64_e32 v[16:17], v[28:29], v[22:23]
	v_add_f64_e32 v[24:25], v[14:15], v[16:17]
	v_add_f64_e64 v[26:27], v[16:17], -v[28:29]
	s_delay_alu instid0(VALU_DEP_2) | instskip(NEXT) | instid1(VALU_DEP_2)
	v_add_f64_e64 v[14:15], v[24:25], -v[14:15]
	v_add_f64_e64 v[22:23], v[22:23], -v[26:27]
	v_cvt_i32_f64_e32 v26, v[18:19]
	s_delay_alu instid0(VALU_DEP_3) | instskip(NEXT) | instid1(VALU_DEP_3)
	v_add_f64_e64 v[14:15], v[16:17], -v[14:15]
	v_add_f64_e32 v[12:13], v[12:13], v[22:23]
	s_delay_alu instid0(VALU_DEP_1) | instskip(NEXT) | instid1(VALU_DEP_1)
	v_add_f64_e32 v[12:13], v[12:13], v[14:15]
	v_add_f64_e32 v[14:15], v[24:25], v[12:13]
	s_delay_alu instid0(VALU_DEP_1) | instskip(SKIP_1) | instid1(VALU_DEP_2)
	v_add_f64_e32 v[16:17], 1.0, v[14:15]
	v_add_f64_e64 v[22:23], v[14:15], -v[24:25]
	v_add_f64_e32 v[24:25], -1.0, v[16:17]
	s_delay_alu instid0(VALU_DEP_2) | instskip(NEXT) | instid1(VALU_DEP_2)
	v_add_f64_e64 v[12:13], v[12:13], -v[22:23]
	v_add_f64_e64 v[14:15], v[14:15], -v[24:25]
	s_delay_alu instid0(VALU_DEP_1) | instskip(NEXT) | instid1(VALU_DEP_1)
	v_add_f64_e32 v[12:13], v[12:13], v[14:15]
	v_add_f64_e32 v[14:15], v[16:17], v[12:13]
	s_delay_alu instid0(VALU_DEP_1) | instskip(SKIP_1) | instid1(VALU_DEP_2)
	v_ldexp_f64 v[18:19], v[14:15], v26
	v_add_f64_e64 v[14:15], v[14:15], -v[16:17]
	v_rcp_f64_e32 v[22:23], v[18:19]
	s_delay_alu instid0(VALU_DEP_1) | instskip(NEXT) | instid1(VALU_DEP_1)
	v_add_f64_e64 v[12:13], v[12:13], -v[14:15]
	v_ldexp_f64 v[12:13], v[12:13], v26
	s_delay_alu instid0(TRANS32_DEP_1) | instskip(NEXT) | instid1(VALU_DEP_1)
	v_fma_f64 v[24:25], -v[18:19], v[22:23], 1.0
	v_fmac_f64_e32 v[22:23], v[24:25], v[22:23]
	s_delay_alu instid0(VALU_DEP_1) | instskip(NEXT) | instid1(VALU_DEP_1)
	v_fma_f64 v[24:25], -v[18:19], v[22:23], 1.0
	v_fmac_f64_e32 v[22:23], v[24:25], v[22:23]
	s_delay_alu instid0(VALU_DEP_1) | instskip(NEXT) | instid1(VALU_DEP_1)
	v_mul_f64_e32 v[14:15], v[18:19], v[22:23]
	v_fma_f64 v[16:17], v[22:23], v[18:19], -v[14:15]
	s_delay_alu instid0(VALU_DEP_1) | instskip(NEXT) | instid1(VALU_DEP_1)
	v_fmac_f64_e32 v[16:17], v[22:23], v[12:13]
	v_add_f64_e32 v[24:25], v[14:15], v[16:17]
	s_delay_alu instid0(VALU_DEP_1) | instskip(SKIP_1) | instid1(VALU_DEP_2)
	v_add_f64_e64 v[26:27], -v[24:25], 1.0
	v_add_f64_e64 v[14:15], v[24:25], -v[14:15]
	v_add_f64_e64 v[28:29], -v[26:27], 1.0
	s_delay_alu instid0(VALU_DEP_2) | instskip(NEXT) | instid1(VALU_DEP_2)
	v_add_f64_e64 v[14:15], v[14:15], -v[16:17]
	v_add_f64_e64 v[16:17], v[28:29], -v[24:25]
	s_delay_alu instid0(VALU_DEP_1) | instskip(NEXT) | instid1(VALU_DEP_1)
	v_add_f64_e32 v[14:15], v[14:15], v[16:17]
	v_add_f64_e32 v[16:17], v[26:27], v[14:15]
	s_delay_alu instid0(VALU_DEP_1) | instskip(SKIP_1) | instid1(VALU_DEP_2)
	v_mul_f64_e32 v[24:25], v[22:23], v[16:17]
	v_add_f64_e64 v[26:27], v[26:27], -v[16:17]
	v_mul_f64_e32 v[28:29], v[18:19], v[24:25]
	s_delay_alu instid0(VALU_DEP_2) | instskip(NEXT) | instid1(VALU_DEP_2)
	v_add_f64_e32 v[14:15], v[14:15], v[26:27]
	v_fma_f64 v[30:31], v[24:25], v[18:19], -v[28:29]
	s_delay_alu instid0(VALU_DEP_1) | instskip(NEXT) | instid1(VALU_DEP_1)
	v_fmac_f64_e32 v[30:31], v[24:25], v[12:13]
	v_add_f64_e32 v[32:33], v[28:29], v[30:31]
	s_delay_alu instid0(VALU_DEP_1) | instskip(SKIP_2) | instid1(VALU_DEP_3)
	v_add_f64_e64 v[34:35], v[16:17], -v[32:33]
	v_add_f64_e64 v[26:27], v[32:33], -v[28:29]
	v_mov_b64_e32 v[28:29], 0xbe5ae600b42fdfa7
	v_add_f64_e64 v[16:17], v[16:17], -v[34:35]
	s_delay_alu instid0(VALU_DEP_3) | instskip(NEXT) | instid1(VALU_DEP_2)
	v_add_f64_e64 v[26:27], v[26:27], -v[30:31]
	v_add_f64_e64 v[16:17], v[16:17], -v[32:33]
	s_delay_alu instid0(VALU_DEP_1) | instskip(SKIP_1) | instid1(VALU_DEP_2)
	v_add_f64_e32 v[14:15], v[14:15], v[16:17]
	v_add_f64_e32 v[16:17], v[22:23], v[24:25]
	;; [unrolled: 1-line block ×3, first 2 shown]
	s_delay_alu instid0(VALU_DEP_2) | instskip(NEXT) | instid1(VALU_DEP_2)
	v_add_f64_e64 v[26:27], v[16:17], -v[22:23]
	v_add_f64_e32 v[14:15], v[34:35], v[14:15]
	s_delay_alu instid0(VALU_DEP_2) | instskip(NEXT) | instid1(VALU_DEP_2)
	v_add_f64_e64 v[24:25], v[24:25], -v[26:27]
	v_mul_f64_e32 v[14:15], v[22:23], v[14:15]
	v_mul_f64_e32 v[22:23], v[4:5], v[4:5]
	s_delay_alu instid0(VALU_DEP_2) | instskip(SKIP_1) | instid1(VALU_DEP_3)
	v_add_f64_e32 v[14:15], v[24:25], v[14:15]
	v_mul_f64_e32 v[24:25], v[8:9], v[8:9]
	v_fmamk_f64 v[30:31], v[22:23], 0x3de5e0b2f9a43bb8, v[28:29]
	v_mul_f64_e32 v[32:33], 0.5, v[22:23]
	v_fmamk_f64 v[48:49], v[22:23], 0xbda907db46cc5e42, v[36:37]
	v_mul_f64_e64 v[66:67], v[4:5], -v[22:23]
	s_delay_alu instid0(VALU_DEP_4) | instskip(NEXT) | instid1(VALU_DEP_1)
	v_fmaak_f64 v[30:31], v[22:23], v[30:31], 0x3ec71de3796cde01
	v_fmaak_f64 v[30:31], v[22:23], v[30:31], 0xbf2a01a019e83e5c
	s_delay_alu instid0(VALU_DEP_1) | instskip(SKIP_4) | instid1(VALU_DEP_4)
	v_fmaak_f64 v[30:31], v[22:23], v[30:31], 0x3f81111111110bb3
	v_add_f64_e32 v[26:27], v[16:17], v[14:15]
	v_fmac_f64_e32 v[28:29], 0x3de5e0b2f9a43bb8, v[24:25]
	v_fmac_f64_e32 v[36:37], 0xbda907db46cc5e42, v[24:25]
	v_mul_f64_e32 v[50:51], 0.5, v[24:25]
	v_ldexp_f64 v[34:35], v[26:27], -2
	s_delay_alu instid0(VALU_DEP_4)
	v_fmac_f64_e32 v[38:39], v[24:25], v[28:29]
	v_add_f64_e64 v[28:29], -v[32:33], 1.0
	v_fmac_f64_e32 v[54:55], v[24:25], v[36:37]
	v_add_f64_e64 v[36:37], -v[50:51], 1.0
	v_add_f64_e64 v[16:17], v[26:27], -v[16:17]
	v_add_f64_e64 v[52:53], v[18:19], -v[34:35]
	v_fmac_f64_e32 v[64:65], v[24:25], v[38:39]
	v_mul_f64_e32 v[38:39], 0.5, v[6:7]
	v_add_f64_e64 v[68:69], -v[28:29], 1.0
	v_fmac_f64_e32 v[70:71], v[24:25], v[54:55]
	v_add_f64_e64 v[54:55], -v[36:37], 1.0
	v_add_f64_e64 v[14:15], v[14:15], -v[16:17]
	v_add_f64_e64 v[26:27], v[18:19], -v[52:53]
	v_fmac_f64_e32 v[80:81], v[24:25], v[64:65]
	v_mul_f64_e64 v[64:65], v[8:9], -v[24:25]
	v_fmac_f64_e32 v[38:39], v[66:67], v[30:31]
	v_add_f64_e64 v[30:31], v[68:69], -v[32:33]
	v_mov_b64_e32 v[32:33], 0xbf56c16c16c16967
	v_add_f64_e64 v[50:51], v[54:55], -v[50:51]
	v_ldexp_f64 v[14:15], v[14:15], -2
	v_mul_f64_e32 v[54:55], v[22:23], v[22:23]
	v_mul_f64_e32 v[68:69], v[24:25], v[24:25]
	v_fmac_f64_e32 v[32:33], v[24:25], v[70:71]
	v_add_f64_e64 v[16:17], v[26:27], -v[34:35]
	v_add_f64_e32 v[26:27], v[18:19], v[34:35]
	v_fmac_f64_e32 v[82:83], v[64:65], v[80:81]
	v_fma_f64 v[38:39], v[22:23], v[38:39], -v[6:7]
	v_fma_f64 v[6:7], v[4:5], -v[6:7], v[30:31]
	v_fmaak_f64 v[30:31], v[22:23], v[48:49], 0xbe927e4fa17f65f6
	v_mov_b64_e32 v[48:49], 0x3fa5555555555555
	s_delay_alu instid0(VALU_DEP_2) | instskip(NEXT) | instid1(VALU_DEP_2)
	v_fmaak_f64 v[30:31], v[22:23], v[30:31], 0x3efa01a019f4ec90
	v_fmac_f64_e32 v[48:49], v[24:25], v[32:33]
	s_delay_alu instid0(VALU_DEP_2) | instskip(NEXT) | instid1(VALU_DEP_1)
	v_fmaak_f64 v[30:31], v[22:23], v[30:31], 0xbf56c16c16c16967
	v_fmaak_f64 v[22:23], v[22:23], v[30:31], 0x3fa5555555555555
	v_fma_f64 v[30:31], v[8:9], -v[10:11], v[50:51]
	v_add_f64_e32 v[16:17], v[12:13], v[16:17]
	v_add_f64_e64 v[18:19], v[26:27], -v[18:19]
	v_fma_f64 v[10:11], v[24:25], v[82:83], -v[10:11]
	v_add_f64_e32 v[12:13], v[12:13], v[14:15]
	v_fmac_f64_e32 v[38:39], 0xbfc5555555555555, v[66:67]
	v_fmac_f64_e32 v[6:7], v[54:55], v[22:23]
	;; [unrolled: 1-line block ×3, first 2 shown]
	v_add_f64_e64 v[16:17], v[16:17], -v[14:15]
	v_add_f64_e64 v[18:19], v[34:35], -v[18:19]
	v_fmac_f64_e32 v[10:11], 0xbfc5555555555555, v[64:65]
	v_add_f64_e64 v[4:5], v[4:5], -v[38:39]
	v_add_f64_e32 v[6:7], v[28:29], v[6:7]
	v_add_f64_e32 v[14:15], v[52:53], v[16:17]
	;; [unrolled: 1-line block ×4, first 2 shown]
	v_dual_add_f64 v[8:9], v[8:9], -v[10:11] :: v_dual_bitop2_b32 v18, 1, v20 bitop3:0x40
	v_xor_b32_e32 v5, 0x80000000, v5
	s_delay_alu instid0(VALU_DEP_2) | instskip(NEXT) | instid1(VALU_DEP_2)
	v_cmp_eq_u32_e32 vcc_lo, 0, v18
	v_dual_cndmask_b32 v4, v4, v6 :: v_dual_cndmask_b32 v5, v5, v7
	s_delay_alu instid0(VALU_DEP_1) | instskip(NEXT) | instid1(VALU_DEP_2)
	v_bitop3_b32 v5, v5, v2, 0x80000000 bitop3:0x78
	v_cndmask_b32_e64 v2, 0, v4, s1
	v_cndmask_b32_e64 v6, v15, 0x7ff00000, s6
	v_add_f64_e32 v[10:11], v[26:27], v[12:13]
	v_dual_lshlrev_b32 v12, 30, v21 :: v_dual_cndmask_b32 v7, v16, v8, s2
	v_cndmask_b32_e64 v8, v17, v9, s2
	v_and_b32_e32 v9, 0x7fffffff, v1
	v_cndmask_b32_e64 v14, v14, 0, s6
	s_delay_alu instid0(VALU_DEP_4) | instskip(NEXT) | instid1(VALU_DEP_3)
	v_xor_b32_e32 v3, v12, v3
	v_dual_cndmask_b32 v4, 0, v7, s1 :: v_dual_cndmask_b32 v6, v6, v9, s0
	s_delay_alu instid0(VALU_DEP_3) | instskip(NEXT) | instid1(VALU_DEP_3)
	v_cndmask_b32_e64 v0, v14, v0, s0
	v_bitop3_b32 v8, v8, v3, 0x80000000 bitop3:0x78
	v_cndmask_b32_e64 v3, 0x7ff80000, v5, s1
	s_delay_alu instid0(VALU_DEP_4) | instskip(NEXT) | instid1(VALU_DEP_3)
	v_bfi_b32 v1, 0x7fffffff, v6, v1
	v_cndmask_b32_e64 v5, 0x7ff80000, v8, s1
	s_delay_alu instid0(VALU_DEP_2) | instskip(SKIP_2) | instid1(VALU_DEP_1)
	v_mul_f64_e32 v[6:7], v[0:1], v[2:3]
	v_cndmask_b32_e64 v9, v11, 0x7ff00000, s6
	v_cndmask_b32_e64 v8, v10, 0, s6
	v_mul_f64_e32 v[4:5], v[8:9], v[4:5]
.LBB105_78:
	s_or_b32 exec_lo, exec_lo, s5
                                        ; implicit-def: $vgpr0_vgpr1
                                        ; implicit-def: $vgpr2_vgpr3
.LBB105_79:
	s_and_not1_saveexec_b32 s0, s4
	s_cbranch_execz .LBB105_81
; %bb.80:
	s_mov_b64 s[4:5], 0xbfe62e42fefa39ef
	s_delay_alu instid0(VALU_DEP_4) | instid1(SALU_CYCLE_1)
	v_add_f64_e64 v[4:5], |v[0:1]|, s[4:5]
	s_mov_b64 s[4:5], 0x3e5ade156a5dcb37
	s_delay_alu instid0(VALU_DEP_1) | instskip(NEXT) | instid1(VALU_DEP_1)
	v_add_f64_e64 v[6:7], v[4:5], -|v[0:1]|
	v_add_f64_e64 v[8:9], v[6:7], -v[4:5]
	v_add_f64_e32 v[6:7], 0x3fe62e42fefa39ef, v[6:7]
	s_delay_alu instid0(VALU_DEP_2) | instskip(NEXT) | instid1(VALU_DEP_1)
	v_add_f64_e64 v[8:9], |v[0:1]|, v[8:9]
	v_add_f64_e64 v[6:7], v[8:9], -v[6:7]
	s_delay_alu instid0(VALU_DEP_1) | instskip(NEXT) | instid1(VALU_DEP_1)
	v_add_f64_e32 v[6:7], 0xbc7abc9e3b39803f, v[6:7]
	v_add_f64_e32 v[8:9], v[4:5], v[6:7]
	s_delay_alu instid0(VALU_DEP_1) | instskip(SKIP_1) | instid1(VALU_DEP_2)
	v_mul_f64_e32 v[10:11], 0x3ff71547652b82fe, v[8:9]
	v_add_f64_e64 v[4:5], v[4:5], -v[8:9]
	v_rndne_f64_e32 v[10:11], v[10:11]
	s_delay_alu instid0(VALU_DEP_2) | instskip(NEXT) | instid1(VALU_DEP_2)
	v_add_f64_e32 v[4:5], v[6:7], v[4:5]
	v_fmamk_f64 v[6:7], v[10:11], 0xbfe62e42fefa3000, v[8:9]
	v_mul_f64_e32 v[8:9], 0xbd53de6af278e000, v[10:11]
	s_delay_alu instid0(VALU_DEP_2) | instskip(NEXT) | instid1(VALU_DEP_1)
	v_add_f64_e32 v[12:13], v[4:5], v[6:7]
	v_add_f64_e32 v[14:15], v[12:13], v[8:9]
	v_add_f64_e64 v[6:7], v[6:7], -v[12:13]
	s_delay_alu instid0(VALU_DEP_2) | instskip(NEXT) | instid1(VALU_DEP_2)
	v_add_f64_e64 v[12:13], v[12:13], -v[14:15]
	v_add_f64_e32 v[4:5], v[4:5], v[6:7]
	s_delay_alu instid0(VALU_DEP_2) | instskip(NEXT) | instid1(VALU_DEP_1)
	v_add_f64_e32 v[6:7], v[12:13], v[8:9]
	v_add_f64_e32 v[4:5], v[4:5], v[6:7]
	v_mul_f64_e32 v[6:7], 0xbac9cc01f97b57a0, v[10:11]
	s_delay_alu instid0(VALU_DEP_2) | instskip(NEXT) | instid1(VALU_DEP_1)
	v_add_f64_e32 v[8:9], v[14:15], v[4:5]
	v_add_f64_e32 v[12:13], v[8:9], v[6:7]
	v_add_f64_e64 v[14:15], v[14:15], -v[8:9]
	s_delay_alu instid0(VALU_DEP_2) | instskip(NEXT) | instid1(VALU_DEP_2)
	v_add_f64_e64 v[8:9], v[8:9], -v[12:13]
	v_add_f64_e32 v[4:5], v[4:5], v[14:15]
	s_delay_alu instid0(VALU_DEP_2) | instskip(NEXT) | instid1(VALU_DEP_1)
	v_add_f64_e32 v[6:7], v[8:9], v[6:7]
	v_add_f64_e32 v[4:5], v[4:5], v[6:7]
	s_delay_alu instid0(VALU_DEP_1) | instskip(NEXT) | instid1(VALU_DEP_1)
	v_add_f64_e32 v[6:7], v[12:13], v[4:5]
	v_add_f64_e64 v[8:9], v[12:13], -v[6:7]
	v_mul_f64_e32 v[12:13], v[6:7], v[6:7]
	s_delay_alu instid0(VALU_DEP_2) | instskip(NEXT) | instid1(VALU_DEP_2)
	v_add_f64_e32 v[4:5], v[4:5], v[8:9]
	v_fma_f64 v[8:9], v[6:7], v[6:7], -v[12:13]
	s_delay_alu instid0(VALU_DEP_2) | instskip(NEXT) | instid1(VALU_DEP_1)
	v_add_f64_e32 v[14:15], v[4:5], v[4:5]
	v_fmac_f64_e32 v[8:9], v[6:7], v[14:15]
	v_fmaak_f64 v[14:15], s[4:5], v[6:7], 0x3e928af3fca7ab0c
	s_mov_b64 s[4:5], 0x408633ce8fb9f87e
	s_delay_alu instid0(SALU_CYCLE_1) | instskip(NEXT) | instid1(VALU_DEP_2)
	v_cmp_nge_f64_e64 vcc_lo, |v[0:1]|, s[4:5]
	v_fmaak_f64 v[14:15], v[6:7], v[14:15], 0x3ec71dee623fde64
	s_delay_alu instid0(VALU_DEP_1) | instskip(NEXT) | instid1(VALU_DEP_1)
	v_fmaak_f64 v[14:15], v[6:7], v[14:15], 0x3efa01997c89e6b0
	v_fmaak_f64 v[14:15], v[6:7], v[14:15], 0x3f2a01a014761f6e
	s_delay_alu instid0(VALU_DEP_1) | instskip(SKIP_1) | instid1(VALU_DEP_2)
	v_fmaak_f64 v[14:15], v[6:7], v[14:15], 0x3f56c16c1852b7b0
	v_add_f64_e32 v[16:17], v[12:13], v[8:9]
	v_fmaak_f64 v[14:15], v[6:7], v[14:15], 0x3f81111111122322
	s_delay_alu instid0(VALU_DEP_1) | instskip(NEXT) | instid1(VALU_DEP_1)
	v_fmaak_f64 v[14:15], v[6:7], v[14:15], 0x3fa55555555502a1
	v_fmaak_f64 v[14:15], v[6:7], v[14:15], 0x3fc5555555555511
	s_delay_alu instid0(VALU_DEP_1) | instskip(SKIP_1) | instid1(VALU_DEP_2)
	v_fmaak_f64 v[14:15], v[6:7], v[14:15], 0x3fe000000000000b
	v_add_f64_e64 v[12:13], v[16:17], -v[12:13]
	v_mul_f64_e32 v[18:19], v[16:17], v[14:15]
	s_delay_alu instid0(VALU_DEP_2) | instskip(NEXT) | instid1(VALU_DEP_2)
	v_add_f64_e64 v[8:9], v[8:9], -v[12:13]
	v_fma_f64 v[12:13], v[16:17], v[14:15], -v[18:19]
	s_delay_alu instid0(VALU_DEP_1) | instskip(NEXT) | instid1(VALU_DEP_1)
	v_fmac_f64_e32 v[12:13], v[8:9], v[14:15]
	v_add_f64_e32 v[8:9], v[18:19], v[12:13]
	s_delay_alu instid0(VALU_DEP_1) | instskip(SKIP_1) | instid1(VALU_DEP_2)
	v_add_f64_e32 v[14:15], v[6:7], v[8:9]
	v_add_f64_e64 v[16:17], v[8:9], -v[18:19]
	v_add_f64_e64 v[6:7], v[14:15], -v[6:7]
	s_delay_alu instid0(VALU_DEP_2) | instskip(SKIP_1) | instid1(VALU_DEP_3)
	v_add_f64_e64 v[12:13], v[12:13], -v[16:17]
	v_cvt_i32_f64_e32 v16, v[10:11]
	v_add_f64_e64 v[6:7], v[8:9], -v[6:7]
	s_delay_alu instid0(VALU_DEP_3) | instskip(NEXT) | instid1(VALU_DEP_1)
	v_add_f64_e32 v[4:5], v[4:5], v[12:13]
	v_add_f64_e32 v[4:5], v[4:5], v[6:7]
	s_delay_alu instid0(VALU_DEP_1) | instskip(NEXT) | instid1(VALU_DEP_1)
	v_add_f64_e32 v[6:7], v[14:15], v[4:5]
	v_add_f64_e32 v[8:9], 1.0, v[6:7]
	v_add_f64_e64 v[12:13], v[6:7], -v[14:15]
	s_delay_alu instid0(VALU_DEP_2) | instskip(NEXT) | instid1(VALU_DEP_2)
	v_add_f64_e32 v[14:15], -1.0, v[8:9]
	v_add_f64_e64 v[4:5], v[4:5], -v[12:13]
	s_delay_alu instid0(VALU_DEP_2) | instskip(NEXT) | instid1(VALU_DEP_1)
	v_add_f64_e64 v[6:7], v[6:7], -v[14:15]
	v_add_f64_e32 v[4:5], v[4:5], v[6:7]
	s_delay_alu instid0(VALU_DEP_1) | instskip(NEXT) | instid1(VALU_DEP_1)
	v_add_f64_e32 v[6:7], v[8:9], v[4:5]
	v_ldexp_f64 v[10:11], v[6:7], v16
	v_add_f64_e64 v[6:7], v[6:7], -v[8:9]
	s_delay_alu instid0(VALU_DEP_2) | instskip(NEXT) | instid1(VALU_DEP_1)
	v_rcp_f64_e32 v[12:13], v[10:11]
	v_add_f64_e64 v[4:5], v[4:5], -v[6:7]
	s_delay_alu instid0(VALU_DEP_1) | instskip(NEXT) | instid1(TRANS32_DEP_1)
	v_ldexp_f64 v[4:5], v[4:5], v16
	v_fma_f64 v[14:15], -v[10:11], v[12:13], 1.0
	s_delay_alu instid0(VALU_DEP_1) | instskip(NEXT) | instid1(VALU_DEP_1)
	v_fmac_f64_e32 v[12:13], v[14:15], v[12:13]
	v_fma_f64 v[14:15], -v[10:11], v[12:13], 1.0
	s_delay_alu instid0(VALU_DEP_1) | instskip(NEXT) | instid1(VALU_DEP_1)
	v_fmac_f64_e32 v[12:13], v[14:15], v[12:13]
	v_mul_f64_e32 v[6:7], v[10:11], v[12:13]
	s_delay_alu instid0(VALU_DEP_1) | instskip(NEXT) | instid1(VALU_DEP_1)
	v_fma_f64 v[8:9], v[12:13], v[10:11], -v[6:7]
	v_fmac_f64_e32 v[8:9], v[12:13], v[4:5]
	s_delay_alu instid0(VALU_DEP_1) | instskip(NEXT) | instid1(VALU_DEP_1)
	v_add_f64_e32 v[14:15], v[6:7], v[8:9]
	v_add_f64_e64 v[16:17], -v[14:15], 1.0
	v_add_f64_e64 v[6:7], v[14:15], -v[6:7]
	s_delay_alu instid0(VALU_DEP_2) | instskip(NEXT) | instid1(VALU_DEP_2)
	v_add_f64_e64 v[18:19], -v[16:17], 1.0
	v_add_f64_e64 v[6:7], v[6:7], -v[8:9]
	s_delay_alu instid0(VALU_DEP_2) | instskip(NEXT) | instid1(VALU_DEP_1)
	v_add_f64_e64 v[8:9], v[18:19], -v[14:15]
	v_add_f64_e32 v[6:7], v[6:7], v[8:9]
	s_delay_alu instid0(VALU_DEP_1) | instskip(NEXT) | instid1(VALU_DEP_1)
	v_add_f64_e32 v[8:9], v[16:17], v[6:7]
	v_mul_f64_e32 v[14:15], v[12:13], v[8:9]
	v_add_f64_e64 v[16:17], v[16:17], -v[8:9]
	s_delay_alu instid0(VALU_DEP_2) | instskip(NEXT) | instid1(VALU_DEP_2)
	v_mul_f64_e32 v[18:19], v[10:11], v[14:15]
	v_add_f64_e32 v[6:7], v[6:7], v[16:17]
	s_delay_alu instid0(VALU_DEP_2) | instskip(NEXT) | instid1(VALU_DEP_1)
	v_fma_f64 v[20:21], v[14:15], v[10:11], -v[18:19]
	v_fmac_f64_e32 v[20:21], v[14:15], v[4:5]
	s_delay_alu instid0(VALU_DEP_1) | instskip(NEXT) | instid1(VALU_DEP_1)
	v_add_f64_e32 v[22:23], v[18:19], v[20:21]
	v_add_f64_e64 v[24:25], v[8:9], -v[22:23]
	v_add_f64_e64 v[16:17], v[22:23], -v[18:19]
	s_delay_alu instid0(VALU_DEP_2) | instskip(NEXT) | instid1(VALU_DEP_2)
	v_add_f64_e64 v[8:9], v[8:9], -v[24:25]
	v_add_f64_e64 v[16:17], v[16:17], -v[20:21]
	s_delay_alu instid0(VALU_DEP_2) | instskip(NEXT) | instid1(VALU_DEP_1)
	v_add_f64_e64 v[8:9], v[8:9], -v[22:23]
	v_add_f64_e32 v[6:7], v[6:7], v[8:9]
	v_add_f64_e32 v[8:9], v[12:13], v[14:15]
	s_delay_alu instid0(VALU_DEP_2) | instskip(NEXT) | instid1(VALU_DEP_2)
	v_add_f64_e32 v[6:7], v[16:17], v[6:7]
	v_add_f64_e64 v[16:17], v[8:9], -v[12:13]
	s_delay_alu instid0(VALU_DEP_2) | instskip(NEXT) | instid1(VALU_DEP_2)
	v_add_f64_e32 v[6:7], v[24:25], v[6:7]
	v_add_f64_e64 v[14:15], v[14:15], -v[16:17]
	s_delay_alu instid0(VALU_DEP_2) | instskip(NEXT) | instid1(VALU_DEP_1)
	v_mul_f64_e32 v[6:7], v[12:13], v[6:7]
	v_add_f64_e32 v[6:7], v[14:15], v[6:7]
	s_delay_alu instid0(VALU_DEP_1) | instskip(NEXT) | instid1(VALU_DEP_1)
	v_add_f64_e32 v[12:13], v[8:9], v[6:7]
	v_ldexp_f64 v[14:15], v[12:13], -2
	v_add_f64_e64 v[8:9], v[12:13], -v[8:9]
	s_delay_alu instid0(VALU_DEP_2) | instskip(NEXT) | instid1(VALU_DEP_2)
	v_add_f64_e64 v[16:17], v[10:11], -v[14:15]
	v_add_f64_e64 v[6:7], v[6:7], -v[8:9]
	s_delay_alu instid0(VALU_DEP_2) | instskip(NEXT) | instid1(VALU_DEP_2)
	v_add_f64_e64 v[10:11], v[10:11], -v[16:17]
	v_ldexp_f64 v[6:7], v[6:7], -2
	s_delay_alu instid0(VALU_DEP_2) | instskip(NEXT) | instid1(VALU_DEP_1)
	v_add_f64_e64 v[8:9], v[10:11], -v[14:15]
	v_add_f64_e32 v[4:5], v[4:5], v[8:9]
	s_delay_alu instid0(VALU_DEP_1) | instskip(SKIP_1) | instid1(VALU_DEP_2)
	v_add_f64_e64 v[4:5], v[4:5], -v[6:7]
	v_and_b32_e32 v7, 0x7fffffff, v1
	v_add_f64_e32 v[4:5], v[16:17], v[4:5]
	s_delay_alu instid0(VALU_DEP_1) | instskip(NEXT) | instid1(VALU_DEP_2)
	v_cndmask_b32_e32 v5, 0x7ff00000, v5, vcc_lo
	v_cndmask_b32_e32 v4, 0, v4, vcc_lo
	v_cmp_gt_f64_e64 vcc_lo, 0x3e400000, |v[0:1]|
	s_delay_alu instid0(VALU_DEP_1) | instskip(SKIP_1) | instid1(VALU_DEP_2)
	v_dual_cndmask_b32 v6, v4, v0, vcc_lo :: v_dual_cndmask_b32 v0, v5, v7, vcc_lo
	v_mov_b64_e32 v[4:5], v[2:3]
	v_bfi_b32 v7, 0x7fffffff, v0, v1
.LBB105_81:
	s_or_b32 exec_lo, exec_lo, s0
.LBB105_82:
	s_delay_alu instid0(SALU_CYCLE_1) | instskip(NEXT) | instid1(VALU_DEP_1)
	s_or_b32 exec_lo, exec_lo, s3
	v_dual_mov_b32 v0, v6 :: v_dual_mov_b32 v1, v7
	s_delay_alu instid0(VALU_DEP_2)
	v_dual_mov_b32 v2, v4 :: v_dual_mov_b32 v3, v5
	s_set_pc_i64 s[30:31]
.Lfunc_end105:
	.size	_ZN6thrust23THRUST_200600_302600_NS6detail7complex5csinhERKNS0_7complexIdEE, .Lfunc_end105-_ZN6thrust23THRUST_200600_302600_NS6detail7complex5csinhERKNS0_7complexIdEE
                                        ; -- End function
	.set .L_ZN6thrust23THRUST_200600_302600_NS6detail7complex5csinhERKNS0_7complexIdEE.num_vgpr, 84
	.set .L_ZN6thrust23THRUST_200600_302600_NS6detail7complex5csinhERKNS0_7complexIdEE.num_agpr, 0
	.set .L_ZN6thrust23THRUST_200600_302600_NS6detail7complex5csinhERKNS0_7complexIdEE.numbered_sgpr, 32
	.set .L_ZN6thrust23THRUST_200600_302600_NS6detail7complex5csinhERKNS0_7complexIdEE.num_named_barrier, 0
	.set .L_ZN6thrust23THRUST_200600_302600_NS6detail7complex5csinhERKNS0_7complexIdEE.private_seg_size, 0
	.set .L_ZN6thrust23THRUST_200600_302600_NS6detail7complex5csinhERKNS0_7complexIdEE.uses_vcc, 1
	.set .L_ZN6thrust23THRUST_200600_302600_NS6detail7complex5csinhERKNS0_7complexIdEE.uses_flat_scratch, 0
	.set .L_ZN6thrust23THRUST_200600_302600_NS6detail7complex5csinhERKNS0_7complexIdEE.has_dyn_sized_stack, 0
	.set .L_ZN6thrust23THRUST_200600_302600_NS6detail7complex5csinhERKNS0_7complexIdEE.has_recursion, 0
	.set .L_ZN6thrust23THRUST_200600_302600_NS6detail7complex5csinhERKNS0_7complexIdEE.has_indirect_call, 0
	.section	.AMDGPU.csdata,"",@progbits
; Function info:
; codeLenInByte = 15288
; TotalNumSgprs: 34
; NumVgprs: 84
; ScratchSize: 0
; MemoryBound: 0
	.section	.text._ZN2at6native12_GLOBAL__N_125multi_tensor_apply_kernelINS1_18TensorListMetadataILi2EEENS1_14UnaryOpFunctorIN3c107complexIdEELi2ELi1ELi1EEEJNS0_3SinIS8_EEEEEvT_T0_DpT1_,"axG",@progbits,_ZN2at6native12_GLOBAL__N_125multi_tensor_apply_kernelINS1_18TensorListMetadataILi2EEENS1_14UnaryOpFunctorIN3c107complexIdEELi2ELi1ELi1EEEJNS0_3SinIS8_EEEEEvT_T0_DpT1_,comdat
	.globl	_ZN2at6native12_GLOBAL__N_125multi_tensor_apply_kernelINS1_18TensorListMetadataILi2EEENS1_14UnaryOpFunctorIN3c107complexIdEELi2ELi1ELi1EEEJNS0_3SinIS8_EEEEEvT_T0_DpT1_ ; -- Begin function _ZN2at6native12_GLOBAL__N_125multi_tensor_apply_kernelINS1_18TensorListMetadataILi2EEENS1_14UnaryOpFunctorIN3c107complexIdEELi2ELi1ELi1EEEJNS0_3SinIS8_EEEEEvT_T0_DpT1_
	.p2align	8
	.type	_ZN2at6native12_GLOBAL__N_125multi_tensor_apply_kernelINS1_18TensorListMetadataILi2EEENS1_14UnaryOpFunctorIN3c107complexIdEELi2ELi1ELi1EEEJNS0_3SinIS8_EEEEEvT_T0_DpT1_,@function
_ZN2at6native12_GLOBAL__N_125multi_tensor_apply_kernelINS1_18TensorListMetadataILi2EEENS1_14UnaryOpFunctorIN3c107complexIdEELi2ELi1ELi1EEEJNS0_3SinIS8_EEEEEvT_T0_DpT1_: ; @_ZN2at6native12_GLOBAL__N_125multi_tensor_apply_kernelINS1_18TensorListMetadataILi2EEENS1_14UnaryOpFunctorIN3c107complexIdEELi2ELi1ELi1EEEJNS0_3SinIS8_EEEEEvT_T0_DpT1_
; %bb.0:
	s_mov_b64 s[10:11], s[0:1]
	s_bfe_u32 s0, ttmp6, 0x4000c
	s_and_b32 s1, ttmp6, 15
	s_add_co_i32 s0, s0, 1
	s_getreg_b32 s2, hwreg(HW_REG_IB_STS2, 6, 4)
	s_mul_i32 s0, ttmp9, s0
	v_mov_b32_e32 v60, v0
	s_add_co_i32 s1, s1, s0
	s_cmp_eq_u32 s2, 0
	s_mov_b32 s32, 0
	s_cselect_b32 s0, ttmp9, s1
	s_mov_b32 s1, 0
	s_load_u8 s14, s[10:11], s0 offset:0x600
	s_add_nc_u64 s[2:3], s[10:11], s[0:1]
	s_mul_u64 s[4:5], s[0:1], 3
	s_delay_alu instid0(SALU_CYCLE_1)
	s_add_nc_u64 s[2:3], s[2:3], s[4:5]
	s_load_b32 s4, s[2:3], 0x740
	s_wait_kmcnt 0x0
	s_clause 0x2
	s_load_b64 s[6:7], s[10:11], s14 offset:0x0 scale_offset
	s_load_b64 s[8:9], s[10:11], s14 offset:0x200 scale_offset
	;; [unrolled: 1-line block ×3, first 2 shown]
	s_ashr_i32 s5, s4, 31
	s_delay_alu instid0(SALU_CYCLE_1)
	s_lshl_b64 s[2:3], s[4:5], 20
	s_lshl_b64 s[4:5], s[4:5], 16
	s_wait_kmcnt 0x0
	s_add_nc_u64 s[16:17], s[8:9], s[2:3]
	s_add_nc_u64 s[14:15], s[6:7], s[2:3]
	s_and_b32 s2, s12, 3
	s_and_b64 s[6:7], s[16:17], 63
	s_mov_b32 s3, s1
	s_and_b32 s0, s14, 63
	s_or_b64 s[2:3], s[6:7], s[2:3]
	s_sub_nc_u64 s[12:13], s[12:13], s[4:5]
	s_or_b64 s[0:1], s[2:3], s[0:1]
	s_delay_alu instid0(SALU_CYCLE_1)
	s_cmp_eq_u64 s[0:1], 0
	s_mov_b32 s0, -1
	s_cbranch_scc0 .LBB106_5
; %bb.1:
	v_min_i64 v[62:63], 0x10000, s[12:13]
	v_dual_mov_b32 v77, 0 :: v_dual_lshlrev_b32 v76, 2, v60
	s_mov_b32 s28, exec_lo
	s_delay_alu instid0(VALU_DEP_1)
	v_cmpx_lt_i64_e64 v[76:77], v[62:63]
	s_cbranch_execz .LBB106_4
; %bb.2:
	s_load_b32 s0, s[10:11], 0xc5c
	v_dual_mov_b32 v61, v77 :: v_dual_lshlrev_b32 v76, 6, v60
	s_mov_b32 s19, 0
	s_mov_b64 s[22:23], s[14:15]
	s_mov_b32 s25, s19
	s_delay_alu instid0(VALU_DEP_1)
	v_mov_b64_e32 v[78:79], v[60:61]
	s_mov_b32 s29, s19
	s_mov_b64 s[26:27], s[16:17]
	s_get_pc_i64 s[20:21]
	s_add_nc_u64 s[20:21], s[20:21], _ZN6thrust23THRUST_200600_302600_NS6detail7complex5csinhERKNS0_7complexIdEE@rel64+4
	s_wait_kmcnt 0x0
	s_and_b32 s18, s0, 0xffff
	s_delay_alu instid0(SALU_CYCLE_1)
	s_lshl_b32 s24, s18, 6
.LBB106_3:                              ; =>This Inner Loop Header: Depth=1
	v_add_nc_u64_e32 v[0:1], s[22:23], v[76:77]
	s_clause 0x3
	global_load_b128 v[2:5], v[0:1], off
	global_load_b128 v[40:43], v[0:1], off offset:16
	global_load_b128 v[44:47], v[0:1], off offset:48
	;; [unrolled: 1-line block ×3, first 2 shown]
	s_wait_loadcnt 0x3
	s_wait_xcnt 0x0
	v_xor_b32_e32 v1, 0x80000000, v5
	v_mov_b32_e32 v0, v4
	s_swap_pc_i64 s[30:31], s[20:21]
	s_delay_alu instid0(VALU_DEP_1) | instskip(SKIP_3) | instid1(VALU_DEP_3)
	v_dual_mov_b32 v74, v0 :: v_dual_mov_b32 v72, v2
	v_xor_b32_e32 v2, 0x80000000, v43
	v_dual_mov_b32 v73, v3 :: v_dual_mov_b32 v0, v42
	v_xor_b32_e32 v75, 0x80000000, v1
	v_dual_mov_b32 v3, v41 :: v_dual_mov_b32 v1, v2
	v_mov_b32_e32 v2, v40
	s_swap_pc_i64 s[30:31], s[20:21]
	s_delay_alu instid0(VALU_DEP_1) | instskip(SKIP_3) | instid1(VALU_DEP_3)
	v_dual_mov_b32 v42, v0 :: v_dual_mov_b32 v40, v2
	v_xor_b32_e32 v2, 0x80000000, v59
	v_dual_mov_b32 v41, v3 :: v_dual_mov_b32 v0, v58
	v_xor_b32_e32 v43, 0x80000000, v1
	v_dual_mov_b32 v3, v57 :: v_dual_mov_b32 v1, v2
	;; [unrolled: 8-line block ×3, first 2 shown]
	v_mov_b32_e32 v2, v44
	s_swap_pc_i64 s[30:31], s[20:21]
	v_add_nc_u64_e32 v[78:79], s[18:19], v[78:79]
	v_add_nc_u64_e32 v[8:9], s[26:27], v[76:77]
	v_mov_b32_e32 v4, v0
	v_xor_b32_e32 v5, 0x80000000, v1
	s_add_nc_u64 s[26:27], s[26:27], s[24:25]
	s_add_nc_u64 s[22:23], s[22:23], s[24:25]
	s_clause 0x1
	global_store_b128 v[8:9], v[72:75], off
	global_store_b128 v[8:9], v[40:43], off offset:16
	v_lshlrev_b64_e32 v[6:7], 2, v[78:79]
	s_clause 0x1
	global_store_b128 v[8:9], v[56:59], off offset:32
	global_store_b128 v[8:9], v[2:5], off offset:48
	v_cmp_ge_i64_e32 vcc_lo, v[6:7], v[62:63]
	s_or_b32 s29, vcc_lo, s29
	s_wait_xcnt 0x0
	s_and_not1_b32 exec_lo, exec_lo, s29
	s_cbranch_execnz .LBB106_3
.LBB106_4:
	s_or_b32 exec_lo, exec_lo, s28
	s_mov_b32 s0, 0
.LBB106_5:
	s_delay_alu instid0(SALU_CYCLE_1)
	s_and_not1_b32 vcc_lo, exec_lo, s0
	s_cbranch_vccnz .LBB106_25
; %bb.6:
	v_cmp_lt_i64_e64 s0, s[12:13], 1
	s_and_b32 vcc_lo, exec_lo, s0
	s_cbranch_vccnz .LBB106_25
; %bb.7:
	v_min_i64 v[62:63], 0x10000, s[12:13]
	v_min_u64 v[72:73], 0x10000, s[12:13]
	s_load_b32 s0, s[10:11], 0xc5c
	v_mov_b32_e32 v61, 0
	s_mov_b32 s19, 0
	s_mov_b64 s[28:29], 0
	s_mov_b32 s21, s19
	s_mov_b32 s23, s19
	;; [unrolled: 1-line block ×3, first 2 shown]
	s_get_pc_i64 s[24:25]
	s_add_nc_u64 s[24:25], s[24:25], _ZN6thrust23THRUST_200600_302600_NS6detail7complex5csinhERKNS0_7complexIdEE@rel64+4
	s_wait_kmcnt 0x0
	s_and_b32 s18, s0, 0xffff
	s_delay_alu instid0(SALU_CYCLE_1)
	s_lshl_b32 s20, s18, 1
	s_mul_i32 s22, s18, 3
	s_lshl_b32 s26, s18, 2
	s_branch .LBB106_9
.LBB106_8:                              ;   in Loop: Header=BB106_9 Depth=1
	s_wait_xcnt 0x0
	s_or_b32 exec_lo, exec_lo, s11
	s_add_nc_u64 s[28:29], s[28:29], s[26:27]
	s_delay_alu instid0(SALU_CYCLE_1)
	v_cmp_ge_i64_e32 vcc_lo, s[28:29], v[62:63]
	s_cbranch_vccnz .LBB106_25
.LBB106_9:                              ; =>This Inner Loop Header: Depth=1
	v_add_nc_u64_e32 v[84:85], s[28:29], v[60:61]
	s_wait_loadcnt 0x0
	v_mov_b64_e32 v[46:47], 0
	v_mov_b64_e32 v[4:5], 0
	;; [unrolled: 1-line block ×3, first 2 shown]
	s_delay_alu instid0(VALU_DEP_4)
	v_cmp_lt_u64_e32 vcc_lo, v[84:85], v[72:73]
	s_and_saveexec_b32 s0, vcc_lo
	s_cbranch_execz .LBB106_11
; %bb.10:                               ;   in Loop: Header=BB106_9 Depth=1
	v_lshl_add_u64 v[0:1], v[84:85], 4, s[14:15]
	global_load_b128 v[2:5], v[0:1], off
.LBB106_11:                             ;   in Loop: Header=BB106_9 Depth=1
	s_wait_xcnt 0x0
	s_or_b32 exec_lo, exec_lo, s0
	v_add_nc_u64_e32 v[78:79], s[18:19], v[84:85]
	v_mov_b64_e32 v[44:45], 0
	s_delay_alu instid0(VALU_DEP_2)
	v_cmp_lt_u64_e64 s12, v[78:79], v[72:73]
	s_and_saveexec_b32 s0, s12
	s_cbranch_execz .LBB106_13
; %bb.12:                               ;   in Loop: Header=BB106_9 Depth=1
	v_lshl_add_u64 v[0:1], v[78:79], 4, s[14:15]
	global_load_b128 v[44:47], v[0:1], off
.LBB106_13:                             ;   in Loop: Header=BB106_9 Depth=1
	s_wait_xcnt 0x0
	s_or_b32 exec_lo, exec_lo, s0
	v_add_nc_u64_e32 v[76:77], s[20:21], v[84:85]
	v_mov_b64_e32 v[42:43], 0
	v_mov_b64_e32 v[58:59], 0
	;; [unrolled: 1-line block ×3, first 2 shown]
	s_delay_alu instid0(VALU_DEP_4)
	v_cmp_lt_u64_e64 s11, v[76:77], v[72:73]
	s_and_saveexec_b32 s0, s11
	s_cbranch_execz .LBB106_15
; %bb.14:                               ;   in Loop: Header=BB106_9 Depth=1
	v_lshl_add_u64 v[0:1], v[76:77], 4, s[14:15]
	global_load_b128 v[56:59], v[0:1], off
.LBB106_15:                             ;   in Loop: Header=BB106_9 Depth=1
	s_wait_xcnt 0x0
	s_or_b32 exec_lo, exec_lo, s0
	v_add_nc_u64_e32 v[74:75], s[22:23], v[84:85]
	v_mov_b64_e32 v[40:41], 0
	s_delay_alu instid0(VALU_DEP_2)
	v_cmp_lt_u64_e64 s10, v[74:75], v[72:73]
	s_and_saveexec_b32 s0, s10
	s_cbranch_execnz .LBB106_20
; %bb.16:                               ;   in Loop: Header=BB106_9 Depth=1
	s_or_b32 exec_lo, exec_lo, s0
	s_and_saveexec_b32 s13, vcc_lo
	s_cbranch_execnz .LBB106_21
.LBB106_17:                             ;   in Loop: Header=BB106_9 Depth=1
	s_or_b32 exec_lo, exec_lo, s13
	s_and_saveexec_b32 s13, s12
	s_cbranch_execnz .LBB106_22
.LBB106_18:                             ;   in Loop: Header=BB106_9 Depth=1
	s_or_b32 exec_lo, exec_lo, s13
	s_and_saveexec_b32 s12, s11
	s_cbranch_execnz .LBB106_23
.LBB106_19:                             ;   in Loop: Header=BB106_9 Depth=1
	s_or_b32 exec_lo, exec_lo, s12
	s_and_saveexec_b32 s11, s10
	s_cbranch_execz .LBB106_8
	s_branch .LBB106_24
.LBB106_20:                             ;   in Loop: Header=BB106_9 Depth=1
	v_lshl_add_u64 v[0:1], v[74:75], 4, s[14:15]
	global_load_b128 v[40:43], v[0:1], off
	s_wait_xcnt 0x0
	s_or_b32 exec_lo, exec_lo, s0
	s_and_saveexec_b32 s13, vcc_lo
	s_cbranch_execz .LBB106_17
.LBB106_21:                             ;   in Loop: Header=BB106_9 Depth=1
	s_wait_loadcnt 0x0
	v_xor_b32_e32 v1, 0x80000000, v5
	v_mov_b32_e32 v0, v4
	s_swap_pc_i64 s[30:31], s[24:25]
	s_delay_alu instid0(VALU_DEP_1) | instskip(NEXT) | instid1(VALU_DEP_3)
	v_mov_b32_e32 v4, v0
	v_xor_b32_e32 v5, 0x80000000, v1
	v_lshl_add_u64 v[0:1], v[84:85], 4, s[16:17]
	global_store_b128 v[0:1], v[2:5], off
	s_wait_xcnt 0x0
	s_or_b32 exec_lo, exec_lo, s13
	s_and_saveexec_b32 s13, s12
	s_cbranch_execz .LBB106_18
.LBB106_22:                             ;   in Loop: Header=BB106_9 Depth=1
	s_wait_loadcnt 0x0
	v_xor_b32_e32 v1, 0x80000000, v47
	v_dual_mov_b32 v0, v46 :: v_dual_mov_b32 v2, v44
	v_mov_b32_e32 v3, v45
	s_swap_pc_i64 s[30:31], s[24:25]
	s_delay_alu instid0(VALU_DEP_2)
	v_mov_b32_e32 v4, v0
	v_xor_b32_e32 v5, 0x80000000, v1
	v_lshl_add_u64 v[0:1], v[78:79], 4, s[16:17]
	global_store_b128 v[0:1], v[2:5], off
	s_wait_xcnt 0x0
	s_or_b32 exec_lo, exec_lo, s13
	s_and_saveexec_b32 s12, s11
	s_cbranch_execz .LBB106_19
.LBB106_23:                             ;   in Loop: Header=BB106_9 Depth=1
	s_wait_loadcnt 0x0
	v_xor_b32_e32 v1, 0x80000000, v59
	v_dual_mov_b32 v0, v58 :: v_dual_mov_b32 v2, v56
	v_mov_b32_e32 v3, v57
	s_swap_pc_i64 s[30:31], s[24:25]
	s_delay_alu instid0(VALU_DEP_2)
	v_mov_b32_e32 v4, v0
	v_xor_b32_e32 v5, 0x80000000, v1
	v_lshl_add_u64 v[0:1], v[76:77], 4, s[16:17]
	global_store_b128 v[0:1], v[2:5], off
	s_wait_xcnt 0x0
	s_or_b32 exec_lo, exec_lo, s12
	s_and_saveexec_b32 s11, s10
	s_cbranch_execz .LBB106_8
.LBB106_24:                             ;   in Loop: Header=BB106_9 Depth=1
	s_wait_loadcnt 0x0
	v_xor_b32_e32 v1, 0x80000000, v43
	v_dual_mov_b32 v0, v42 :: v_dual_mov_b32 v2, v40
	v_mov_b32_e32 v3, v41
	s_swap_pc_i64 s[30:31], s[24:25]
	s_delay_alu instid0(VALU_DEP_2)
	v_mov_b32_e32 v4, v0
	v_xor_b32_e32 v5, 0x80000000, v1
	v_lshl_add_u64 v[0:1], v[74:75], 4, s[16:17]
	global_store_b128 v[0:1], v[2:5], off
	s_branch .LBB106_8
.LBB106_25:
	s_endpgm
	.section	.rodata,"a",@progbits
	.p2align	6, 0x0
	.amdhsa_kernel _ZN2at6native12_GLOBAL__N_125multi_tensor_apply_kernelINS1_18TensorListMetadataILi2EEENS1_14UnaryOpFunctorIN3c107complexIdEELi2ELi1ELi1EEEJNS0_3SinIS8_EEEEEvT_T0_DpT1_
		.amdhsa_group_segment_fixed_size 0
		.amdhsa_private_segment_fixed_size 0
		.amdhsa_kernarg_size 3408
		.amdhsa_user_sgpr_count 2
		.amdhsa_user_sgpr_dispatch_ptr 0
		.amdhsa_user_sgpr_queue_ptr 0
		.amdhsa_user_sgpr_kernarg_segment_ptr 1
		.amdhsa_user_sgpr_dispatch_id 0
		.amdhsa_user_sgpr_kernarg_preload_length 0
		.amdhsa_user_sgpr_kernarg_preload_offset 0
		.amdhsa_user_sgpr_private_segment_size 0
		.amdhsa_wavefront_size32 1
		.amdhsa_uses_dynamic_stack 0
		.amdhsa_enable_private_segment 0
		.amdhsa_system_sgpr_workgroup_id_x 1
		.amdhsa_system_sgpr_workgroup_id_y 0
		.amdhsa_system_sgpr_workgroup_id_z 0
		.amdhsa_system_sgpr_workgroup_info 0
		.amdhsa_system_vgpr_workitem_id 0
		.amdhsa_next_free_vgpr 86
		.amdhsa_next_free_sgpr 33
		.amdhsa_named_barrier_count 0
		.amdhsa_reserve_vcc 1
		.amdhsa_float_round_mode_32 0
		.amdhsa_float_round_mode_16_64 0
		.amdhsa_float_denorm_mode_32 3
		.amdhsa_float_denorm_mode_16_64 3
		.amdhsa_fp16_overflow 0
		.amdhsa_memory_ordered 1
		.amdhsa_forward_progress 1
		.amdhsa_inst_pref_size 12
		.amdhsa_round_robin_scheduling 0
		.amdhsa_exception_fp_ieee_invalid_op 0
		.amdhsa_exception_fp_denorm_src 0
		.amdhsa_exception_fp_ieee_div_zero 0
		.amdhsa_exception_fp_ieee_overflow 0
		.amdhsa_exception_fp_ieee_underflow 0
		.amdhsa_exception_fp_ieee_inexact 0
		.amdhsa_exception_int_div_zero 0
	.end_amdhsa_kernel
	.section	.text._ZN2at6native12_GLOBAL__N_125multi_tensor_apply_kernelINS1_18TensorListMetadataILi2EEENS1_14UnaryOpFunctorIN3c107complexIdEELi2ELi1ELi1EEEJNS0_3SinIS8_EEEEEvT_T0_DpT1_,"axG",@progbits,_ZN2at6native12_GLOBAL__N_125multi_tensor_apply_kernelINS1_18TensorListMetadataILi2EEENS1_14UnaryOpFunctorIN3c107complexIdEELi2ELi1ELi1EEEJNS0_3SinIS8_EEEEEvT_T0_DpT1_,comdat
.Lfunc_end106:
	.size	_ZN2at6native12_GLOBAL__N_125multi_tensor_apply_kernelINS1_18TensorListMetadataILi2EEENS1_14UnaryOpFunctorIN3c107complexIdEELi2ELi1ELi1EEEJNS0_3SinIS8_EEEEEvT_T0_DpT1_, .Lfunc_end106-_ZN2at6native12_GLOBAL__N_125multi_tensor_apply_kernelINS1_18TensorListMetadataILi2EEENS1_14UnaryOpFunctorIN3c107complexIdEELi2ELi1ELi1EEEJNS0_3SinIS8_EEEEEvT_T0_DpT1_
                                        ; -- End function
	.set _ZN2at6native12_GLOBAL__N_125multi_tensor_apply_kernelINS1_18TensorListMetadataILi2EEENS1_14UnaryOpFunctorIN3c107complexIdEELi2ELi1ELi1EEEJNS0_3SinIS8_EEEEEvT_T0_DpT1_.num_vgpr, max(86, .L_ZN6thrust23THRUST_200600_302600_NS6detail7complex5csinhERKNS0_7complexIdEE.num_vgpr)
	.set _ZN2at6native12_GLOBAL__N_125multi_tensor_apply_kernelINS1_18TensorListMetadataILi2EEENS1_14UnaryOpFunctorIN3c107complexIdEELi2ELi1ELi1EEEJNS0_3SinIS8_EEEEEvT_T0_DpT1_.num_agpr, max(0, .L_ZN6thrust23THRUST_200600_302600_NS6detail7complex5csinhERKNS0_7complexIdEE.num_agpr)
	.set _ZN2at6native12_GLOBAL__N_125multi_tensor_apply_kernelINS1_18TensorListMetadataILi2EEENS1_14UnaryOpFunctorIN3c107complexIdEELi2ELi1ELi1EEEJNS0_3SinIS8_EEEEEvT_T0_DpT1_.numbered_sgpr, max(33, .L_ZN6thrust23THRUST_200600_302600_NS6detail7complex5csinhERKNS0_7complexIdEE.numbered_sgpr)
	.set _ZN2at6native12_GLOBAL__N_125multi_tensor_apply_kernelINS1_18TensorListMetadataILi2EEENS1_14UnaryOpFunctorIN3c107complexIdEELi2ELi1ELi1EEEJNS0_3SinIS8_EEEEEvT_T0_DpT1_.num_named_barrier, max(0, .L_ZN6thrust23THRUST_200600_302600_NS6detail7complex5csinhERKNS0_7complexIdEE.num_named_barrier)
	.set _ZN2at6native12_GLOBAL__N_125multi_tensor_apply_kernelINS1_18TensorListMetadataILi2EEENS1_14UnaryOpFunctorIN3c107complexIdEELi2ELi1ELi1EEEJNS0_3SinIS8_EEEEEvT_T0_DpT1_.private_seg_size, 0+max(.L_ZN6thrust23THRUST_200600_302600_NS6detail7complex5csinhERKNS0_7complexIdEE.private_seg_size)
	.set _ZN2at6native12_GLOBAL__N_125multi_tensor_apply_kernelINS1_18TensorListMetadataILi2EEENS1_14UnaryOpFunctorIN3c107complexIdEELi2ELi1ELi1EEEJNS0_3SinIS8_EEEEEvT_T0_DpT1_.uses_vcc, or(1, .L_ZN6thrust23THRUST_200600_302600_NS6detail7complex5csinhERKNS0_7complexIdEE.uses_vcc)
	.set _ZN2at6native12_GLOBAL__N_125multi_tensor_apply_kernelINS1_18TensorListMetadataILi2EEENS1_14UnaryOpFunctorIN3c107complexIdEELi2ELi1ELi1EEEJNS0_3SinIS8_EEEEEvT_T0_DpT1_.uses_flat_scratch, or(0, .L_ZN6thrust23THRUST_200600_302600_NS6detail7complex5csinhERKNS0_7complexIdEE.uses_flat_scratch)
	.set _ZN2at6native12_GLOBAL__N_125multi_tensor_apply_kernelINS1_18TensorListMetadataILi2EEENS1_14UnaryOpFunctorIN3c107complexIdEELi2ELi1ELi1EEEJNS0_3SinIS8_EEEEEvT_T0_DpT1_.has_dyn_sized_stack, or(0, .L_ZN6thrust23THRUST_200600_302600_NS6detail7complex5csinhERKNS0_7complexIdEE.has_dyn_sized_stack)
	.set _ZN2at6native12_GLOBAL__N_125multi_tensor_apply_kernelINS1_18TensorListMetadataILi2EEENS1_14UnaryOpFunctorIN3c107complexIdEELi2ELi1ELi1EEEJNS0_3SinIS8_EEEEEvT_T0_DpT1_.has_recursion, or(0, .L_ZN6thrust23THRUST_200600_302600_NS6detail7complex5csinhERKNS0_7complexIdEE.has_recursion)
	.set _ZN2at6native12_GLOBAL__N_125multi_tensor_apply_kernelINS1_18TensorListMetadataILi2EEENS1_14UnaryOpFunctorIN3c107complexIdEELi2ELi1ELi1EEEJNS0_3SinIS8_EEEEEvT_T0_DpT1_.has_indirect_call, or(0, .L_ZN6thrust23THRUST_200600_302600_NS6detail7complex5csinhERKNS0_7complexIdEE.has_indirect_call)
	.section	.AMDGPU.csdata,"",@progbits
; Kernel info:
; codeLenInByte = 1456
; TotalNumSgprs: 35
; NumVgprs: 86
; ScratchSize: 0
; MemoryBound: 1
; FloatMode: 240
; IeeeMode: 1
; LDSByteSize: 0 bytes/workgroup (compile time only)
; SGPRBlocks: 0
; VGPRBlocks: 5
; NumSGPRsForWavesPerEU: 35
; NumVGPRsForWavesPerEU: 86
; NamedBarCnt: 0
; Occupancy: 10
; WaveLimiterHint : 0
; COMPUTE_PGM_RSRC2:SCRATCH_EN: 0
; COMPUTE_PGM_RSRC2:USER_SGPR: 2
; COMPUTE_PGM_RSRC2:TRAP_HANDLER: 0
; COMPUTE_PGM_RSRC2:TGID_X_EN: 1
; COMPUTE_PGM_RSRC2:TGID_Y_EN: 0
; COMPUTE_PGM_RSRC2:TGID_Z_EN: 0
; COMPUTE_PGM_RSRC2:TIDIG_COMP_CNT: 0
	.text
	.p2align	2                               ; -- Begin function _ZN6thrust23THRUST_200600_302600_NS6detail7complex6csinhfERKNS0_7complexIfEE
	.type	_ZN6thrust23THRUST_200600_302600_NS6detail7complex6csinhfERKNS0_7complexIfEE,@function
_ZN6thrust23THRUST_200600_302600_NS6detail7complex6csinhfERKNS0_7complexIfEE: ; @_ZN6thrust23THRUST_200600_302600_NS6detail7complex6csinhfERKNS0_7complexIfEE
; %bb.0:
                                        ; kill: def $vgpr1 killed $vgpr1 def $vgpr0
	s_wait_loadcnt_dscnt 0x0
	s_wait_kmcnt 0x0
	v_mov_b32_e32 v2, v0
	v_and_b32_e32 v3, 0x7fffffff, v1
	s_mov_b32 s1, exec_lo
	s_delay_alu instid0(VALU_DEP_2) | instskip(NEXT) | instid1(VALU_DEP_1)
	v_and_b32_e32 v4, 0x7fffffff, v2
	v_max_u32_e32 v0, v4, v3
	v_cmp_gt_u32_e64 s0, 0x7f800000, v4
	s_delay_alu instid0(VALU_DEP_2)
	v_cmpx_lt_u32_e32 0x7f7fffff, v0
	s_xor_b32 s5, exec_lo, s1
	s_cbranch_execz .LBB107_10
; %bb.1:
	v_cmp_ne_u32_e64 s2, 0, v4
	v_cmp_gt_u32_e32 vcc_lo, 0x7f800000, v3
	v_cmp_lt_u32_e64 s1, 0x7f7fffff, v3
	s_or_b32 s2, s2, vcc_lo
	s_delay_alu instid0(SALU_CYCLE_1) | instskip(NEXT) | instid1(SALU_CYCLE_1)
	s_and_saveexec_b32 s3, s2
	s_xor_b32 s6, exec_lo, s3
	s_cbranch_execz .LBB107_77
; %bb.2:
	v_cmp_ne_u32_e64 s3, 0, v3
	v_cmp_gt_u32_e64 s4, 0x7f800000, v4
	v_cmp_lt_u32_e64 s2, 0x7f7fffff, v4
	s_or_b32 s3, s3, s4
	s_delay_alu instid0(SALU_CYCLE_1) | instskip(NEXT) | instid1(SALU_CYCLE_1)
	s_and_saveexec_b32 s4, s3
	s_xor_b32 s3, exec_lo, s4
	s_cbranch_execz .LBB107_74
; %bb.3:
	s_and_b32 s0, s0, s1
	s_delay_alu instid0(SALU_CYCLE_1) | instskip(NEXT) | instid1(SALU_CYCLE_1)
	s_xor_b32 s0, s0, -1
	s_and_saveexec_b32 s1, s0
	s_delay_alu instid0(SALU_CYCLE_1)
	s_xor_b32 s4, exec_lo, s1
	s_cbranch_execz .LBB107_71
; %bb.4:
	v_and_b32_e32 v0, 0x7fffff, v2
	s_xor_b32 s1, s2, -1
	s_delay_alu instid0(VALU_DEP_1) | instskip(SKIP_1) | instid1(SALU_CYCLE_1)
	v_cmp_ne_u32_e64 s0, 0, v0
	s_or_b32 s0, s1, s0
	s_and_saveexec_b32 s1, s0
	s_delay_alu instid0(SALU_CYCLE_1)
	s_xor_b32 s0, exec_lo, s1
; %bb.5:
	v_dual_mul_f32 v0, v2, v2 :: v_dual_sub_f32 v4, v1, v1
	v_add_f32_e32 v1, v2, v2
                                        ; implicit-def: $vgpr2
                                        ; implicit-def: $vgpr3
	s_delay_alu instid0(VALU_DEP_1)
	v_pk_mul_f32 v[0:1], v[0:1], v[4:5] op_sel_hi:[1,0]
; %bb.6:
	s_and_not1_saveexec_b32 s2, s0
	s_cbranch_execz .LBB107_70
; %bb.7:
	s_and_saveexec_b32 s0, vcc_lo
	s_delay_alu instid0(SALU_CYCLE_1)
	s_xor_b32 s7, exec_lo, s0
	s_cbranch_execz .LBB107_67
; %bb.8:
	v_cmp_ngt_f32_e64 s8, 0x48000000, |v1|
                                        ; implicit-def: $vgpr4
                                        ; implicit-def: $vgpr0
	s_and_saveexec_b32 s0, s8
	s_delay_alu instid0(SALU_CYCLE_1)
	s_xor_b32 s9, exec_lo, s0
	s_cbranch_execz .LBB107_60
; %bb.9:
	s_mov_b32 s0, 0x7fffff
	v_mov_b32_e32 v5, 0
	v_and_or_b32 v4, v3, s0, 0x800000
	s_mov_b64 s[0:1], 0xfe5163ab
	v_lshrrev_b32_e32 v0, 23, v3
	s_delay_alu instid0(VALU_DEP_2) | instskip(NEXT) | instid1(VALU_DEP_1)
	v_mul_u64_e32 v[6:7], s[0:1], v[4:5]
	v_dual_mov_b32 v8, v7 :: v_dual_mov_b32 v9, v5
	v_dual_mov_b32 v11, v5 :: v_dual_mov_b32 v13, v5
	s_delay_alu instid0(VALU_DEP_4) | instskip(SKIP_1) | instid1(VALU_DEP_4)
	v_dual_mov_b32 v15, v5 :: v_dual_add_nc_u32 v0, 0xffffff88, v0
	v_mov_b32_e32 v19, v5
	v_mad_nc_u64_u32 v[8:9], 0x3c439041, v4, v[8:9]
	s_delay_alu instid0(VALU_DEP_3) | instskip(SKIP_1) | instid1(VALU_DEP_3)
	v_cmp_lt_u32_e32 vcc_lo, 63, v0
	v_cndmask_b32_e64 v7, 0, 0xffffffc0, vcc_lo
	v_mov_b32_e32 v10, v9
	s_delay_alu instid0(VALU_DEP_1) | instskip(NEXT) | instid1(VALU_DEP_1)
	v_mad_nc_u64_u32 v[10:11], 0xdb629599, v4, v[10:11]
	v_dual_mov_b32 v12, v11 :: v_dual_cndmask_b32 v6, v10, v6, vcc_lo
	s_delay_alu instid0(VALU_DEP_1) | instskip(NEXT) | instid1(VALU_DEP_1)
	v_mad_nc_u64_u32 v[12:13], 0xf534ddc0, v4, v[12:13]
	v_mov_b32_e32 v14, v13
	s_delay_alu instid0(VALU_DEP_1) | instskip(NEXT) | instid1(VALU_DEP_1)
	v_mad_nc_u64_u32 v[14:15], 0xfc2757d1, v4, v[14:15]
	v_dual_mov_b32 v17, v5 :: v_dual_mov_b32 v16, v15
	s_delay_alu instid0(VALU_DEP_2) | instskip(NEXT) | instid1(VALU_DEP_2)
	v_cndmask_b32_e32 v11, v14, v10, vcc_lo
	v_mad_nc_u64_u32 v[16:17], 0x4e441529, v4, v[16:17]
	s_delay_alu instid0(VALU_DEP_1) | instskip(NEXT) | instid1(VALU_DEP_1)
	v_dual_add_nc_u32 v0, v7, v0 :: v_dual_mov_b32 v18, v17
	v_cmp_lt_u32_e64 s0, 31, v0
	s_delay_alu instid0(VALU_DEP_3) | instskip(NEXT) | instid1(VALU_DEP_3)
	v_cndmask_b32_e32 v9, v16, v12, vcc_lo
	v_mad_nc_u64_u32 v[4:5], 0xa2f9836e, v4, v[18:19]
	s_delay_alu instid0(VALU_DEP_3) | instskip(NEXT) | instid1(VALU_DEP_1)
	v_cndmask_b32_e64 v7, 0, 0xffffffe0, s0
	v_dual_add_nc_u32 v0, v7, v0 :: v_dual_cndmask_b32 v4, v4, v14, vcc_lo
	s_delay_alu instid0(VALU_DEP_1) | instskip(NEXT) | instid1(VALU_DEP_4)
	v_cmp_lt_u32_e64 s1, 31, v0
	v_cndmask_b32_e32 v5, v5, v16, vcc_lo
	s_delay_alu instid0(VALU_DEP_2) | instskip(NEXT) | instid1(VALU_DEP_1)
	v_cndmask_b32_e64 v7, 0, 0xffffffe0, s1
	v_add_nc_u32_e32 v0, v7, v0
	v_cndmask_b32_e32 v7, v12, v8, vcc_lo
	s_delay_alu instid0(VALU_DEP_4) | instskip(NEXT) | instid1(VALU_DEP_3)
	v_dual_cndmask_b32 v8, v4, v9, s0 :: v_dual_cndmask_b32 v4, v5, v4, s0
	v_dual_cndmask_b32 v5, v9, v11, s0 :: v_dual_sub_nc_u32 v9, 32, v0
	s_delay_alu instid0(VALU_DEP_3) | instskip(SKIP_1) | instid1(VALU_DEP_4)
	v_cndmask_b32_e64 v11, v11, v7, s0
	v_cmp_eq_u32_e32 vcc_lo, 0, v0
	v_cndmask_b32_e64 v4, v4, v8, s1
	s_delay_alu instid0(VALU_DEP_3) | instskip(NEXT) | instid1(VALU_DEP_1)
	v_dual_cndmask_b32 v8, v8, v5, s1 :: v_dual_cndmask_b32 v5, v5, v11, s1
	v_alignbit_b32 v12, v4, v8, v9
	s_delay_alu instid0(VALU_DEP_2) | instskip(NEXT) | instid1(VALU_DEP_2)
	v_alignbit_b32 v10, v8, v5, v9
	v_dual_cndmask_b32 v0, v12, v4, vcc_lo :: v_dual_cndmask_b32 v4, v7, v6, s0
	s_delay_alu instid0(VALU_DEP_1) | instskip(NEXT) | instid1(VALU_DEP_1)
	v_bfe_u32 v7, v0, 29, 1
	v_dual_cndmask_b32 v6, v10, v8, vcc_lo :: v_dual_sub_nc_u32 v10, 0, v7
	s_delay_alu instid0(VALU_DEP_1) | instskip(NEXT) | instid1(VALU_DEP_1)
	v_alignbit_b32 v8, v0, v6, 30
	v_dual_cndmask_b32 v4, v11, v4, s1 :: v_dual_bitop2_b32 v8, v8, v10 bitop3:0x14
	s_delay_alu instid0(VALU_DEP_1) | instskip(NEXT) | instid1(VALU_DEP_1)
	v_alignbit_b32 v9, v5, v4, v9
	v_cndmask_b32_e32 v5, v9, v5, vcc_lo
	s_delay_alu instid0(VALU_DEP_3) | instskip(NEXT) | instid1(VALU_DEP_2)
	v_clz_i32_u32_e32 v9, v8
	v_alignbit_b32 v4, v5, v4, 30
	s_delay_alu instid0(VALU_DEP_2) | instskip(NEXT) | instid1(VALU_DEP_2)
	v_min_u32_e32 v9, 32, v9
	v_xor_b32_e32 v4, v4, v10
	v_alignbit_b32 v6, v6, v5, 30
	s_delay_alu instid0(VALU_DEP_1) | instskip(SKIP_1) | instid1(VALU_DEP_1)
	v_dual_lshlrev_b32 v11, 23, v9 :: v_dual_bitop2_b32 v5, v6, v10 bitop3:0x14
	v_dual_sub_nc_u32 v6, 31, v9 :: v_dual_lshrrev_b32 v10, 29, v0
	v_alignbit_b32 v8, v8, v5, v6
	v_alignbit_b32 v4, v5, v4, v6
	s_delay_alu instid0(VALU_DEP_3) | instskip(NEXT) | instid1(VALU_DEP_2)
	v_lshlrev_b32_e32 v5, 31, v10
	v_alignbit_b32 v6, v8, v4, 9
	s_delay_alu instid0(VALU_DEP_2) | instskip(NEXT) | instid1(VALU_DEP_2)
	v_dual_lshrrev_b32 v8, 9, v8 :: v_dual_bitop2_b32 v10, 0.5, v5 bitop3:0x54
	v_clz_i32_u32_e32 v12, v6
	s_delay_alu instid0(VALU_DEP_2) | instskip(SKIP_1) | instid1(VALU_DEP_3)
	v_sub_nc_u32_e32 v10, v10, v11
	v_or_b32_e32 v5, 0x33000000, v5
	v_min_u32_e32 v11, 32, v12
	s_delay_alu instid0(VALU_DEP_1) | instskip(NEXT) | instid1(VALU_DEP_4)
	v_add_lshl_u32 v9, v11, v9, 23
	v_or_b32_e32 v8, v8, v10
	v_not_b32_e32 v10, v11
	s_delay_alu instid0(VALU_DEP_2) | instskip(NEXT) | instid1(VALU_DEP_2)
	v_dual_mul_f32 v12, 0x3fc90fda, v8 :: v_dual_sub_nc_u32 v5, v5, v9
	v_alignbit_b32 v4, v6, v4, v10
	s_delay_alu instid0(VALU_DEP_2) | instskip(NEXT) | instid1(VALU_DEP_2)
	v_fma_f32 v6, 0x3fc90fda, v8, -v12
	v_lshrrev_b32_e32 v4, 9, v4
	s_delay_alu instid0(VALU_DEP_2) | instskip(NEXT) | instid1(VALU_DEP_2)
	v_fmamk_f32 v6, v8, 0x33a22168, v6
	v_or_b32_e32 v4, v5, v4
	s_delay_alu instid0(VALU_DEP_1) | instskip(NEXT) | instid1(VALU_DEP_1)
	v_fmac_f32_e32 v6, 0x3fc90fda, v4
	v_dual_lshrrev_b32 v4, 30, v0 :: v_dual_add_f32 v0, v12, v6
	s_delay_alu instid0(VALU_DEP_1)
	v_add_nc_u32_e32 v4, v7, v4
	s_and_not1_saveexec_b32 s0, s9
	s_branch .LBB107_61
.LBB107_10:
	s_and_not1_saveexec_b32 s2, s5
	s_cbranch_execz .LBB107_80
.LBB107_11:
	s_mov_b32 s0, exec_lo
	v_cmpx_ne_u32_e32 0, v3
	s_xor_b32 s3, exec_lo, s0
	s_cbranch_execz .LBB107_57
; %bb.12:
	s_mov_b32 s0, exec_lo
	v_cmpx_lt_u32_e32 0x410fffff, v4
	s_xor_b32 s4, exec_lo, s0
	s_cbranch_execz .LBB107_46
; %bb.13:
	s_mov_b32 s0, exec_lo
	v_cmpx_lt_u32_e32 0x42b17217, v4
	;; [unrolled: 5-line block ×3, first 2 shown]
	s_xor_b32 s6, exec_lo, s0
	s_cbranch_execz .LBB107_24
; %bb.15:
	v_cmp_ngt_f32_e64 s7, 0x48000000, |v1|
                                        ; implicit-def: $vgpr4
                                        ; implicit-def: $vgpr0
	s_and_saveexec_b32 s0, s7
	s_delay_alu instid0(SALU_CYCLE_1)
	s_xor_b32 s8, exec_lo, s0
	s_cbranch_execz .LBB107_17
; %bb.16:
	s_mov_b32 s0, 0x7fffff
	v_mov_b32_e32 v5, 0
	v_and_or_b32 v4, v3, s0, 0x800000
	s_mov_b64 s[0:1], 0xfe5163ab
	v_lshrrev_b32_e32 v0, 23, v3
	s_delay_alu instid0(VALU_DEP_2) | instskip(NEXT) | instid1(VALU_DEP_1)
	v_mul_u64_e32 v[6:7], s[0:1], v[4:5]
	v_dual_mov_b32 v8, v7 :: v_dual_mov_b32 v9, v5
	v_dual_mov_b32 v11, v5 :: v_dual_mov_b32 v13, v5
	s_delay_alu instid0(VALU_DEP_4) | instskip(SKIP_1) | instid1(VALU_DEP_4)
	v_dual_mov_b32 v15, v5 :: v_dual_add_nc_u32 v0, 0xffffff88, v0
	v_mov_b32_e32 v19, v5
	v_mad_nc_u64_u32 v[8:9], 0x3c439041, v4, v[8:9]
	s_delay_alu instid0(VALU_DEP_3) | instskip(SKIP_1) | instid1(VALU_DEP_3)
	v_cmp_lt_u32_e32 vcc_lo, 63, v0
	v_cndmask_b32_e64 v7, 0, 0xffffffc0, vcc_lo
	v_mov_b32_e32 v10, v9
	s_delay_alu instid0(VALU_DEP_1) | instskip(NEXT) | instid1(VALU_DEP_1)
	v_mad_nc_u64_u32 v[10:11], 0xdb629599, v4, v[10:11]
	v_dual_mov_b32 v12, v11 :: v_dual_cndmask_b32 v6, v10, v6, vcc_lo
	s_delay_alu instid0(VALU_DEP_1) | instskip(NEXT) | instid1(VALU_DEP_1)
	v_mad_nc_u64_u32 v[12:13], 0xf534ddc0, v4, v[12:13]
	v_mov_b32_e32 v14, v13
	s_delay_alu instid0(VALU_DEP_1) | instskip(NEXT) | instid1(VALU_DEP_1)
	v_mad_nc_u64_u32 v[14:15], 0xfc2757d1, v4, v[14:15]
	v_dual_mov_b32 v17, v5 :: v_dual_mov_b32 v16, v15
	s_delay_alu instid0(VALU_DEP_2) | instskip(NEXT) | instid1(VALU_DEP_2)
	v_cndmask_b32_e32 v11, v14, v10, vcc_lo
	v_mad_nc_u64_u32 v[16:17], 0x4e441529, v4, v[16:17]
	s_delay_alu instid0(VALU_DEP_1) | instskip(NEXT) | instid1(VALU_DEP_1)
	v_dual_add_nc_u32 v0, v7, v0 :: v_dual_mov_b32 v18, v17
	v_cmp_lt_u32_e64 s0, 31, v0
	s_delay_alu instid0(VALU_DEP_3) | instskip(NEXT) | instid1(VALU_DEP_3)
	v_cndmask_b32_e32 v9, v16, v12, vcc_lo
	v_mad_nc_u64_u32 v[4:5], 0xa2f9836e, v4, v[18:19]
	s_delay_alu instid0(VALU_DEP_3) | instskip(NEXT) | instid1(VALU_DEP_1)
	v_cndmask_b32_e64 v7, 0, 0xffffffe0, s0
	v_dual_add_nc_u32 v0, v7, v0 :: v_dual_cndmask_b32 v4, v4, v14, vcc_lo
	s_delay_alu instid0(VALU_DEP_1) | instskip(NEXT) | instid1(VALU_DEP_4)
	v_cmp_lt_u32_e64 s1, 31, v0
	v_cndmask_b32_e32 v5, v5, v16, vcc_lo
	s_delay_alu instid0(VALU_DEP_2) | instskip(NEXT) | instid1(VALU_DEP_1)
	v_cndmask_b32_e64 v7, 0, 0xffffffe0, s1
	v_add_nc_u32_e32 v0, v7, v0
	v_cndmask_b32_e32 v7, v12, v8, vcc_lo
	s_delay_alu instid0(VALU_DEP_4) | instskip(NEXT) | instid1(VALU_DEP_3)
	v_dual_cndmask_b32 v8, v4, v9, s0 :: v_dual_cndmask_b32 v4, v5, v4, s0
	v_dual_cndmask_b32 v5, v9, v11, s0 :: v_dual_sub_nc_u32 v9, 32, v0
	s_delay_alu instid0(VALU_DEP_3) | instskip(SKIP_1) | instid1(VALU_DEP_4)
	v_cndmask_b32_e64 v11, v11, v7, s0
	v_cmp_eq_u32_e32 vcc_lo, 0, v0
	v_cndmask_b32_e64 v4, v4, v8, s1
	s_delay_alu instid0(VALU_DEP_3) | instskip(NEXT) | instid1(VALU_DEP_1)
	v_dual_cndmask_b32 v8, v8, v5, s1 :: v_dual_cndmask_b32 v5, v5, v11, s1
	v_alignbit_b32 v12, v4, v8, v9
	s_delay_alu instid0(VALU_DEP_2) | instskip(NEXT) | instid1(VALU_DEP_2)
	v_alignbit_b32 v10, v8, v5, v9
	v_dual_cndmask_b32 v0, v12, v4, vcc_lo :: v_dual_cndmask_b32 v4, v7, v6, s0
	s_delay_alu instid0(VALU_DEP_1) | instskip(NEXT) | instid1(VALU_DEP_1)
	v_bfe_u32 v7, v0, 29, 1
	v_dual_cndmask_b32 v6, v10, v8, vcc_lo :: v_dual_sub_nc_u32 v10, 0, v7
	s_delay_alu instid0(VALU_DEP_1) | instskip(NEXT) | instid1(VALU_DEP_1)
	v_alignbit_b32 v8, v0, v6, 30
	v_dual_cndmask_b32 v4, v11, v4, s1 :: v_dual_bitop2_b32 v8, v8, v10 bitop3:0x14
	s_delay_alu instid0(VALU_DEP_1) | instskip(NEXT) | instid1(VALU_DEP_1)
	v_alignbit_b32 v9, v5, v4, v9
	v_cndmask_b32_e32 v5, v9, v5, vcc_lo
	s_delay_alu instid0(VALU_DEP_3) | instskip(NEXT) | instid1(VALU_DEP_2)
	v_clz_i32_u32_e32 v9, v8
	v_alignbit_b32 v4, v5, v4, 30
	s_delay_alu instid0(VALU_DEP_2) | instskip(NEXT) | instid1(VALU_DEP_2)
	v_min_u32_e32 v9, 32, v9
	v_xor_b32_e32 v4, v4, v10
	v_alignbit_b32 v6, v6, v5, 30
	s_delay_alu instid0(VALU_DEP_1) | instskip(SKIP_1) | instid1(VALU_DEP_1)
	v_dual_lshlrev_b32 v11, 23, v9 :: v_dual_bitop2_b32 v5, v6, v10 bitop3:0x14
	v_dual_sub_nc_u32 v6, 31, v9 :: v_dual_lshrrev_b32 v10, 29, v0
	v_alignbit_b32 v8, v8, v5, v6
	v_alignbit_b32 v4, v5, v4, v6
	s_delay_alu instid0(VALU_DEP_3) | instskip(NEXT) | instid1(VALU_DEP_2)
	v_lshlrev_b32_e32 v5, 31, v10
	v_alignbit_b32 v6, v8, v4, 9
	s_delay_alu instid0(VALU_DEP_2) | instskip(NEXT) | instid1(VALU_DEP_2)
	v_dual_lshrrev_b32 v8, 9, v8 :: v_dual_bitop2_b32 v10, 0.5, v5 bitop3:0x54
	v_clz_i32_u32_e32 v12, v6
	s_delay_alu instid0(VALU_DEP_2) | instskip(SKIP_1) | instid1(VALU_DEP_3)
	v_sub_nc_u32_e32 v10, v10, v11
	v_or_b32_e32 v5, 0x33000000, v5
	v_min_u32_e32 v11, 32, v12
	s_delay_alu instid0(VALU_DEP_1) | instskip(NEXT) | instid1(VALU_DEP_4)
	v_add_lshl_u32 v9, v11, v9, 23
	v_or_b32_e32 v8, v8, v10
	v_not_b32_e32 v10, v11
	s_delay_alu instid0(VALU_DEP_2) | instskip(NEXT) | instid1(VALU_DEP_2)
	v_dual_mul_f32 v12, 0x3fc90fda, v8 :: v_dual_sub_nc_u32 v5, v5, v9
	v_alignbit_b32 v4, v6, v4, v10
	s_delay_alu instid0(VALU_DEP_2) | instskip(NEXT) | instid1(VALU_DEP_2)
	v_fma_f32 v6, 0x3fc90fda, v8, -v12
	v_lshrrev_b32_e32 v4, 9, v4
	s_delay_alu instid0(VALU_DEP_2) | instskip(NEXT) | instid1(VALU_DEP_2)
	v_fmamk_f32 v6, v8, 0x33a22168, v6
	v_or_b32_e32 v4, v5, v4
	s_delay_alu instid0(VALU_DEP_1) | instskip(NEXT) | instid1(VALU_DEP_1)
	v_fmac_f32_e32 v6, 0x3fc90fda, v4
	v_dual_lshrrev_b32 v4, 30, v0 :: v_dual_add_f32 v0, v12, v6
	s_delay_alu instid0(VALU_DEP_1)
	v_add_nc_u32_e32 v4, v7, v4
	s_and_not1_saveexec_b32 s0, s8
	s_branch .LBB107_18
.LBB107_17:
	s_and_not1_saveexec_b32 s0, s8
.LBB107_18:
	v_mul_f32_e64 v0, 0x3f22f983, |v1|
	s_delay_alu instid0(VALU_DEP_1) | instskip(NEXT) | instid1(VALU_DEP_1)
	v_rndne_f32_e32 v4, v0
	v_fma_f32 v0, 0xbfc90fda, v4, |v1|
	s_delay_alu instid0(VALU_DEP_1) | instskip(NEXT) | instid1(VALU_DEP_1)
	v_fmamk_f32 v0, v4, 0xb3a22168, v0
	v_fmamk_f32 v0, v4, 0xa7c234c4, v0
	v_cvt_i32_f32_e32 v4, v4
; %bb.19:
	s_or_b32 exec_lo, exec_lo, s0
                                        ; implicit-def: $vgpr6
                                        ; implicit-def: $vgpr5
	s_and_saveexec_b32 s0, s7
	s_delay_alu instid0(SALU_CYCLE_1)
	s_xor_b32 s7, exec_lo, s0
	s_cbranch_execz .LBB107_21
; %bb.20:
	s_mov_b32 s0, 0x7fffff
	v_mov_b32_e32 v7, 0
	v_and_or_b32 v6, v3, s0, 0x800000
	s_mov_b64 s[0:1], 0xfe5163ab
	v_lshrrev_b32_e32 v5, 23, v3
	s_delay_alu instid0(VALU_DEP_2) | instskip(NEXT) | instid1(VALU_DEP_1)
	v_mul_u64_e32 v[8:9], s[0:1], v[6:7]
	v_dual_mov_b32 v10, v9 :: v_dual_mov_b32 v11, v7
	v_dual_mov_b32 v13, v7 :: v_dual_mov_b32 v15, v7
	;; [unrolled: 1-line block ×3, first 2 shown]
	s_delay_alu instid0(VALU_DEP_3) | instskip(NEXT) | instid1(VALU_DEP_1)
	v_mad_nc_u64_u32 v[10:11], 0x3c439041, v6, v[10:11]
	v_mov_b32_e32 v12, v11
	s_delay_alu instid0(VALU_DEP_1) | instskip(NEXT) | instid1(VALU_DEP_1)
	v_mad_nc_u64_u32 v[12:13], 0xdb629599, v6, v[12:13]
	v_mov_b32_e32 v14, v13
	s_delay_alu instid0(VALU_DEP_1) | instskip(NEXT) | instid1(VALU_DEP_1)
	;; [unrolled: 3-line block ×3, first 2 shown]
	v_mad_nc_u64_u32 v[16:17], 0xfc2757d1, v6, v[16:17]
	v_dual_mov_b32 v19, v7 :: v_dual_mov_b32 v18, v17
	s_delay_alu instid0(VALU_DEP_1) | instskip(NEXT) | instid1(VALU_DEP_1)
	v_mad_nc_u64_u32 v[18:19], 0x4e441529, v6, v[18:19]
	v_dual_mov_b32 v20, v19 :: v_dual_add_nc_u32 v5, 0xffffff88, v5
	s_delay_alu instid0(VALU_DEP_1) | instskip(NEXT) | instid1(VALU_DEP_2)
	v_cmp_lt_u32_e32 vcc_lo, 63, v5
	v_mad_nc_u64_u32 v[6:7], 0xa2f9836e, v6, v[20:21]
	v_cndmask_b32_e64 v9, 0, 0xffffffc0, vcc_lo
	v_dual_cndmask_b32 v11, v18, v14 :: v_dual_cndmask_b32 v8, v12, v8
	s_delay_alu instid0(VALU_DEP_2) | instskip(NEXT) | instid1(VALU_DEP_1)
	v_add_nc_u32_e32 v5, v9, v5
	v_cmp_lt_u32_e64 s0, 31, v5
	v_dual_cndmask_b32 v6, v6, v16 :: v_dual_cndmask_b32 v7, v7, v18
	s_delay_alu instid0(VALU_DEP_2) | instskip(NEXT) | instid1(VALU_DEP_1)
	v_cndmask_b32_e64 v9, 0, 0xffffffe0, s0
	v_add_nc_u32_e32 v5, v9, v5
	s_delay_alu instid0(VALU_DEP_1) | instskip(NEXT) | instid1(VALU_DEP_1)
	v_cmp_lt_u32_e64 s1, 31, v5
	v_cndmask_b32_e64 v9, 0, 0xffffffe0, s1
	s_delay_alu instid0(VALU_DEP_1) | instskip(SKIP_2) | instid1(VALU_DEP_3)
	v_dual_cndmask_b32 v13, v16, v12, vcc_lo :: v_dual_add_nc_u32 v5, v9, v5
	v_cndmask_b32_e32 v9, v14, v10, vcc_lo
	v_dual_cndmask_b32 v10, v6, v11, s0 :: v_dual_cndmask_b32 v6, v7, v6, s0
	v_cndmask_b32_e64 v7, v11, v13, s0
	s_delay_alu instid0(VALU_DEP_4) | instskip(NEXT) | instid1(VALU_DEP_4)
	v_sub_nc_u32_e32 v11, 32, v5
	v_cndmask_b32_e64 v13, v13, v9, s0
	v_cmp_eq_u32_e32 vcc_lo, 0, v5
	v_cndmask_b32_e64 v6, v6, v10, s1
	s_delay_alu instid0(VALU_DEP_3) | instskip(NEXT) | instid1(VALU_DEP_1)
	v_dual_cndmask_b32 v10, v10, v7, s1 :: v_dual_cndmask_b32 v7, v7, v13, s1
	v_alignbit_b32 v14, v6, v10, v11
	s_delay_alu instid0(VALU_DEP_2) | instskip(NEXT) | instid1(VALU_DEP_2)
	v_alignbit_b32 v12, v10, v7, v11
	v_dual_cndmask_b32 v5, v14, v6, vcc_lo :: v_dual_cndmask_b32 v6, v9, v8, s0
	s_delay_alu instid0(VALU_DEP_1) | instskip(NEXT) | instid1(VALU_DEP_1)
	v_bfe_u32 v9, v5, 29, 1
	v_dual_cndmask_b32 v8, v12, v10, vcc_lo :: v_dual_sub_nc_u32 v12, 0, v9
	s_delay_alu instid0(VALU_DEP_1) | instskip(NEXT) | instid1(VALU_DEP_1)
	v_alignbit_b32 v10, v5, v8, 30
	v_dual_cndmask_b32 v6, v13, v6, s1 :: v_dual_bitop2_b32 v10, v10, v12 bitop3:0x14
	s_delay_alu instid0(VALU_DEP_1) | instskip(NEXT) | instid1(VALU_DEP_1)
	v_alignbit_b32 v11, v7, v6, v11
	v_cndmask_b32_e32 v7, v11, v7, vcc_lo
	s_delay_alu instid0(VALU_DEP_3) | instskip(NEXT) | instid1(VALU_DEP_2)
	v_clz_i32_u32_e32 v11, v10
	v_alignbit_b32 v6, v7, v6, 30
	s_delay_alu instid0(VALU_DEP_2) | instskip(NEXT) | instid1(VALU_DEP_2)
	v_min_u32_e32 v11, 32, v11
	v_xor_b32_e32 v6, v6, v12
	v_alignbit_b32 v8, v8, v7, 30
	s_delay_alu instid0(VALU_DEP_1) | instskip(SKIP_1) | instid1(VALU_DEP_1)
	v_dual_lshlrev_b32 v13, 23, v11 :: v_dual_bitop2_b32 v7, v8, v12 bitop3:0x14
	v_dual_sub_nc_u32 v8, 31, v11 :: v_dual_lshrrev_b32 v12, 29, v5
	v_alignbit_b32 v10, v10, v7, v8
	v_alignbit_b32 v6, v7, v6, v8
	s_delay_alu instid0(VALU_DEP_3) | instskip(NEXT) | instid1(VALU_DEP_2)
	v_lshlrev_b32_e32 v7, 31, v12
	v_alignbit_b32 v8, v10, v6, 9
	s_delay_alu instid0(VALU_DEP_2) | instskip(NEXT) | instid1(VALU_DEP_2)
	v_dual_lshrrev_b32 v10, 9, v10 :: v_dual_bitop2_b32 v12, 0.5, v7 bitop3:0x54
	v_clz_i32_u32_e32 v14, v8
	s_delay_alu instid0(VALU_DEP_2) | instskip(SKIP_1) | instid1(VALU_DEP_3)
	v_sub_nc_u32_e32 v12, v12, v13
	v_or_b32_e32 v7, 0x33000000, v7
	v_min_u32_e32 v13, 32, v14
	s_delay_alu instid0(VALU_DEP_1) | instskip(NEXT) | instid1(VALU_DEP_4)
	v_add_lshl_u32 v11, v13, v11, 23
	v_or_b32_e32 v10, v10, v12
	v_not_b32_e32 v12, v13
	s_delay_alu instid0(VALU_DEP_2) | instskip(NEXT) | instid1(VALU_DEP_2)
	v_dual_mul_f32 v14, 0x3fc90fda, v10 :: v_dual_sub_nc_u32 v7, v7, v11
	v_alignbit_b32 v6, v8, v6, v12
	s_delay_alu instid0(VALU_DEP_2) | instskip(NEXT) | instid1(VALU_DEP_2)
	v_fma_f32 v8, 0x3fc90fda, v10, -v14
	v_lshrrev_b32_e32 v6, 9, v6
	s_delay_alu instid0(VALU_DEP_2) | instskip(NEXT) | instid1(VALU_DEP_2)
	v_fmamk_f32 v8, v10, 0x33a22168, v8
	v_or_b32_e32 v6, v7, v6
	s_delay_alu instid0(VALU_DEP_1) | instskip(NEXT) | instid1(VALU_DEP_1)
	v_fmac_f32_e32 v8, 0x3fc90fda, v6
	v_dual_add_f32 v5, v14, v8 :: v_dual_lshrrev_b32 v6, 30, v5
	s_delay_alu instid0(VALU_DEP_1)
	v_add_nc_u32_e32 v6, v9, v6
	s_and_not1_saveexec_b32 s0, s7
	s_cbranch_execnz .LBB107_22
	s_branch .LBB107_23
.LBB107_21:
	s_and_not1_saveexec_b32 s0, s7
.LBB107_22:
	v_mul_f32_e64 v5, 0x3f22f983, |v1|
	s_delay_alu instid0(VALU_DEP_1) | instskip(NEXT) | instid1(VALU_DEP_1)
	v_rndne_f32_e32 v6, v5
	v_fma_f32 v5, 0xbfc90fda, v6, |v1|
	s_delay_alu instid0(VALU_DEP_1) | instskip(NEXT) | instid1(VALU_DEP_1)
	v_fmamk_f32 v5, v6, 0xb3a22168, v5
	v_fmamk_f32 v5, v6, 0xa7c234c4, v5
	v_cvt_i32_f32_e32 v6, v6
.LBB107_23:
	s_or_b32 exec_lo, exec_lo, s0
	s_delay_alu instid0(VALU_DEP_2) | instskip(SKIP_3) | instid1(VALU_DEP_2)
	v_dual_mul_f32 v7, v0, v0 :: v_dual_mul_f32 v8, v5, v5
	s_mov_b32 s0, 0xb94c1982
	s_mov_b32 s1, 0x37d75334
	v_dual_lshlrev_b32 v4, 30, v4 :: v_dual_bitop2_b32 v11, 1, v4 bitop3:0x40
	v_dual_fmaak_f32 v9, s0, v7, 0x3c0881c4 :: v_dual_fmaak_f32 v12, s0, v8, 0x3c0881c4
	v_dual_fmaak_f32 v10, s1, v7, 0xbab64f3b :: v_dual_fmaak_f32 v13, s1, v8, 0xbab64f3b
	s_delay_alu instid0(VALU_DEP_3) | instskip(NEXT) | instid1(VALU_DEP_3)
	v_cmp_eq_u32_e32 vcc_lo, 0, v11
	v_dual_fmaak_f32 v9, v7, v9, 0xbe2aaa9d :: v_dual_fmaak_f32 v12, v8, v12, 0xbe2aaa9d
	s_delay_alu instid0(VALU_DEP_3) | instskip(NEXT) | instid1(VALU_DEP_2)
	v_dual_fmaak_f32 v10, v7, v10, 0x3d2aabf7 :: v_dual_fmaak_f32 v13, v8, v13, 0x3d2aabf7
	v_dual_mul_f32 v9, v7, v9 :: v_dual_bitop2_b32 v14, 1, v6 bitop3:0x40
	s_delay_alu instid0(VALU_DEP_3) | instskip(NEXT) | instid1(VALU_DEP_3)
	v_mul_f32_e32 v12, v8, v12
	v_dual_fmaak_f32 v10, v7, v10, 0xbf000004 :: v_dual_fmaak_f32 v13, v8, v13, 0xbf000004
	s_delay_alu instid0(VALU_DEP_3) | instskip(NEXT) | instid1(VALU_DEP_3)
	v_dual_lshlrev_b32 v6, 30, v6 :: v_dual_fmac_f32 v0, v0, v9
	v_fmac_f32_e32 v5, v5, v12
	s_delay_alu instid0(VALU_DEP_3) | instskip(NEXT) | instid1(VALU_DEP_4)
	v_fma_f32 v7, v7, v10, 1.0
	v_fma_f32 v8, v8, v13, 1.0
	v_mul_f32_e32 v2, 0x7f000000, v2
	v_and_or_b32 v3, 0x80000000, v6, v3
	s_delay_alu instid0(VALU_DEP_4) | instskip(SKIP_3) | instid1(VALU_DEP_2)
	v_cndmask_b32_e64 v0, -v0, v7, vcc_lo
	v_cmp_eq_u32_e32 vcc_lo, 0, v14
	v_cndmask_b32_e32 v5, v8, v5, vcc_lo
	v_cmp_class_f32_e64 vcc_lo, v1, 0x1f8
	v_xor3_b32 v1, v3, v5, v1
	v_mul_f32_e32 v3, v2, v2
	v_bitop3_b32 v0, v4, v0, 0x80000000 bitop3:0x6c
	s_delay_alu instid0(VALU_DEP_3) | instskip(NEXT) | instid1(VALU_DEP_1)
	v_cndmask_b32_e32 v1, 0x7fc00000, v1, vcc_lo
	v_dual_cndmask_b32 v0, 0x7fc00000, v0 :: v_dual_mul_f32 v1, v3, v1
                                        ; implicit-def: $vgpr3
	s_delay_alu instid0(VALU_DEP_1)
	v_mul_f32_e32 v0, v2, v0
                                        ; implicit-def: $vgpr2
.LBB107_24:
	s_and_not1_saveexec_b32 s6, s6
	s_cbranch_execz .LBB107_34
; %bb.25:
	s_delay_alu instid0(VALU_DEP_2) | instskip(SKIP_1) | instid1(SALU_CYCLE_1)
	v_cmp_ngt_f32_e64 s7, 0x48000000, |v1|
                                        ; implicit-def: $vgpr4
                                        ; implicit-def: $vgpr0
	s_and_saveexec_b32 s0, s7
	s_xor_b32 s8, exec_lo, s0
	s_cbranch_execz .LBB107_27
; %bb.26:
	s_mov_b32 s0, 0x7fffff
	v_mov_b32_e32 v5, 0
	v_and_or_b32 v4, v3, s0, 0x800000
	s_mov_b64 s[0:1], 0xfe5163ab
	v_lshrrev_b32_e32 v0, 23, v3
	s_delay_alu instid0(VALU_DEP_2) | instskip(NEXT) | instid1(VALU_DEP_1)
	v_mul_u64_e32 v[6:7], s[0:1], v[4:5]
	v_dual_mov_b32 v8, v7 :: v_dual_mov_b32 v9, v5
	v_dual_mov_b32 v11, v5 :: v_dual_mov_b32 v13, v5
	s_delay_alu instid0(VALU_DEP_4) | instskip(SKIP_1) | instid1(VALU_DEP_4)
	v_dual_mov_b32 v15, v5 :: v_dual_add_nc_u32 v0, 0xffffff88, v0
	v_mov_b32_e32 v19, v5
	v_mad_nc_u64_u32 v[8:9], 0x3c439041, v4, v[8:9]
	s_delay_alu instid0(VALU_DEP_3) | instskip(SKIP_1) | instid1(VALU_DEP_3)
	v_cmp_lt_u32_e32 vcc_lo, 63, v0
	v_cndmask_b32_e64 v7, 0, 0xffffffc0, vcc_lo
	v_mov_b32_e32 v10, v9
	s_delay_alu instid0(VALU_DEP_1) | instskip(NEXT) | instid1(VALU_DEP_1)
	v_mad_nc_u64_u32 v[10:11], 0xdb629599, v4, v[10:11]
	v_dual_mov_b32 v12, v11 :: v_dual_cndmask_b32 v6, v10, v6, vcc_lo
	s_delay_alu instid0(VALU_DEP_1) | instskip(NEXT) | instid1(VALU_DEP_1)
	v_mad_nc_u64_u32 v[12:13], 0xf534ddc0, v4, v[12:13]
	v_mov_b32_e32 v14, v13
	s_delay_alu instid0(VALU_DEP_1) | instskip(NEXT) | instid1(VALU_DEP_1)
	v_mad_nc_u64_u32 v[14:15], 0xfc2757d1, v4, v[14:15]
	v_dual_mov_b32 v17, v5 :: v_dual_mov_b32 v16, v15
	s_delay_alu instid0(VALU_DEP_2) | instskip(NEXT) | instid1(VALU_DEP_2)
	v_cndmask_b32_e32 v11, v14, v10, vcc_lo
	v_mad_nc_u64_u32 v[16:17], 0x4e441529, v4, v[16:17]
	s_delay_alu instid0(VALU_DEP_1) | instskip(NEXT) | instid1(VALU_DEP_1)
	v_dual_add_nc_u32 v0, v7, v0 :: v_dual_mov_b32 v18, v17
	v_cmp_lt_u32_e64 s0, 31, v0
	s_delay_alu instid0(VALU_DEP_3) | instskip(NEXT) | instid1(VALU_DEP_3)
	v_cndmask_b32_e32 v9, v16, v12, vcc_lo
	v_mad_nc_u64_u32 v[4:5], 0xa2f9836e, v4, v[18:19]
	s_delay_alu instid0(VALU_DEP_3) | instskip(NEXT) | instid1(VALU_DEP_1)
	v_cndmask_b32_e64 v7, 0, 0xffffffe0, s0
	v_dual_add_nc_u32 v0, v7, v0 :: v_dual_cndmask_b32 v4, v4, v14, vcc_lo
	s_delay_alu instid0(VALU_DEP_1) | instskip(NEXT) | instid1(VALU_DEP_4)
	v_cmp_lt_u32_e64 s1, 31, v0
	v_cndmask_b32_e32 v5, v5, v16, vcc_lo
	s_delay_alu instid0(VALU_DEP_2) | instskip(NEXT) | instid1(VALU_DEP_1)
	v_cndmask_b32_e64 v7, 0, 0xffffffe0, s1
	v_add_nc_u32_e32 v0, v7, v0
	v_cndmask_b32_e32 v7, v12, v8, vcc_lo
	s_delay_alu instid0(VALU_DEP_4) | instskip(NEXT) | instid1(VALU_DEP_3)
	v_dual_cndmask_b32 v8, v4, v9, s0 :: v_dual_cndmask_b32 v4, v5, v4, s0
	v_dual_cndmask_b32 v5, v9, v11, s0 :: v_dual_sub_nc_u32 v9, 32, v0
	s_delay_alu instid0(VALU_DEP_3) | instskip(SKIP_1) | instid1(VALU_DEP_4)
	v_cndmask_b32_e64 v11, v11, v7, s0
	v_cmp_eq_u32_e32 vcc_lo, 0, v0
	v_cndmask_b32_e64 v4, v4, v8, s1
	s_delay_alu instid0(VALU_DEP_3) | instskip(NEXT) | instid1(VALU_DEP_1)
	v_dual_cndmask_b32 v8, v8, v5, s1 :: v_dual_cndmask_b32 v5, v5, v11, s1
	v_alignbit_b32 v12, v4, v8, v9
	s_delay_alu instid0(VALU_DEP_2) | instskip(NEXT) | instid1(VALU_DEP_2)
	v_alignbit_b32 v10, v8, v5, v9
	v_dual_cndmask_b32 v0, v12, v4, vcc_lo :: v_dual_cndmask_b32 v4, v7, v6, s0
	s_delay_alu instid0(VALU_DEP_1) | instskip(NEXT) | instid1(VALU_DEP_1)
	v_bfe_u32 v7, v0, 29, 1
	v_dual_cndmask_b32 v6, v10, v8, vcc_lo :: v_dual_sub_nc_u32 v10, 0, v7
	s_delay_alu instid0(VALU_DEP_1) | instskip(NEXT) | instid1(VALU_DEP_1)
	v_alignbit_b32 v8, v0, v6, 30
	v_dual_cndmask_b32 v4, v11, v4, s1 :: v_dual_bitop2_b32 v8, v8, v10 bitop3:0x14
	s_delay_alu instid0(VALU_DEP_1) | instskip(NEXT) | instid1(VALU_DEP_1)
	v_alignbit_b32 v9, v5, v4, v9
	v_cndmask_b32_e32 v5, v9, v5, vcc_lo
	s_delay_alu instid0(VALU_DEP_3) | instskip(NEXT) | instid1(VALU_DEP_2)
	v_clz_i32_u32_e32 v9, v8
	v_alignbit_b32 v4, v5, v4, 30
	s_delay_alu instid0(VALU_DEP_2) | instskip(NEXT) | instid1(VALU_DEP_2)
	v_min_u32_e32 v9, 32, v9
	v_xor_b32_e32 v4, v4, v10
	v_alignbit_b32 v6, v6, v5, 30
	s_delay_alu instid0(VALU_DEP_1) | instskip(SKIP_1) | instid1(VALU_DEP_1)
	v_dual_lshlrev_b32 v11, 23, v9 :: v_dual_bitop2_b32 v5, v6, v10 bitop3:0x14
	v_dual_sub_nc_u32 v6, 31, v9 :: v_dual_lshrrev_b32 v10, 29, v0
	v_alignbit_b32 v8, v8, v5, v6
	v_alignbit_b32 v4, v5, v4, v6
	s_delay_alu instid0(VALU_DEP_3) | instskip(NEXT) | instid1(VALU_DEP_2)
	v_lshlrev_b32_e32 v5, 31, v10
	v_alignbit_b32 v6, v8, v4, 9
	s_delay_alu instid0(VALU_DEP_2) | instskip(NEXT) | instid1(VALU_DEP_2)
	v_dual_lshrrev_b32 v8, 9, v8 :: v_dual_bitop2_b32 v10, 0.5, v5 bitop3:0x54
	v_clz_i32_u32_e32 v12, v6
	s_delay_alu instid0(VALU_DEP_2) | instskip(SKIP_1) | instid1(VALU_DEP_3)
	v_sub_nc_u32_e32 v10, v10, v11
	v_or_b32_e32 v5, 0x33000000, v5
	v_min_u32_e32 v11, 32, v12
	s_delay_alu instid0(VALU_DEP_1) | instskip(NEXT) | instid1(VALU_DEP_4)
	v_add_lshl_u32 v9, v11, v9, 23
	v_or_b32_e32 v8, v8, v10
	v_not_b32_e32 v10, v11
	s_delay_alu instid0(VALU_DEP_2) | instskip(NEXT) | instid1(VALU_DEP_2)
	v_dual_mul_f32 v12, 0x3fc90fda, v8 :: v_dual_sub_nc_u32 v5, v5, v9
	v_alignbit_b32 v4, v6, v4, v10
	s_delay_alu instid0(VALU_DEP_2) | instskip(NEXT) | instid1(VALU_DEP_2)
	v_fma_f32 v6, 0x3fc90fda, v8, -v12
	v_lshrrev_b32_e32 v4, 9, v4
	s_delay_alu instid0(VALU_DEP_2) | instskip(NEXT) | instid1(VALU_DEP_2)
	v_fmamk_f32 v6, v8, 0x33a22168, v6
	v_or_b32_e32 v4, v5, v4
	s_delay_alu instid0(VALU_DEP_1) | instskip(NEXT) | instid1(VALU_DEP_1)
	v_fmac_f32_e32 v6, 0x3fc90fda, v4
	v_dual_lshrrev_b32 v4, 30, v0 :: v_dual_add_f32 v0, v12, v6
	s_delay_alu instid0(VALU_DEP_1)
	v_add_nc_u32_e32 v4, v7, v4
	s_and_not1_saveexec_b32 s0, s8
	s_branch .LBB107_28
.LBB107_27:
	s_and_not1_saveexec_b32 s0, s8
.LBB107_28:
	v_mul_f32_e64 v0, 0x3f22f983, |v1|
	s_delay_alu instid0(VALU_DEP_1) | instskip(NEXT) | instid1(VALU_DEP_1)
	v_rndne_f32_e32 v4, v0
	v_fma_f32 v0, 0xbfc90fda, v4, |v1|
	s_delay_alu instid0(VALU_DEP_1) | instskip(NEXT) | instid1(VALU_DEP_1)
	v_fmamk_f32 v0, v4, 0xb3a22168, v0
	v_fmamk_f32 v0, v4, 0xa7c234c4, v0
	v_cvt_i32_f32_e32 v4, v4
; %bb.29:
	s_or_b32 exec_lo, exec_lo, s0
                                        ; implicit-def: $vgpr6
                                        ; implicit-def: $vgpr5
	s_and_saveexec_b32 s0, s7
	s_delay_alu instid0(SALU_CYCLE_1)
	s_xor_b32 s7, exec_lo, s0
	s_cbranch_execz .LBB107_31
; %bb.30:
	s_mov_b32 s0, 0x7fffff
	v_mov_b32_e32 v7, 0
	v_and_or_b32 v6, v3, s0, 0x800000
	s_mov_b64 s[0:1], 0xfe5163ab
	v_lshrrev_b32_e32 v5, 23, v3
	s_delay_alu instid0(VALU_DEP_2) | instskip(NEXT) | instid1(VALU_DEP_1)
	v_mul_u64_e32 v[8:9], s[0:1], v[6:7]
	v_dual_mov_b32 v10, v9 :: v_dual_mov_b32 v11, v7
	v_dual_mov_b32 v13, v7 :: v_dual_mov_b32 v15, v7
	;; [unrolled: 1-line block ×3, first 2 shown]
	s_delay_alu instid0(VALU_DEP_3) | instskip(NEXT) | instid1(VALU_DEP_1)
	v_mad_nc_u64_u32 v[10:11], 0x3c439041, v6, v[10:11]
	v_mov_b32_e32 v12, v11
	s_delay_alu instid0(VALU_DEP_1) | instskip(NEXT) | instid1(VALU_DEP_1)
	v_mad_nc_u64_u32 v[12:13], 0xdb629599, v6, v[12:13]
	v_mov_b32_e32 v14, v13
	s_delay_alu instid0(VALU_DEP_1) | instskip(NEXT) | instid1(VALU_DEP_1)
	;; [unrolled: 3-line block ×3, first 2 shown]
	v_mad_nc_u64_u32 v[16:17], 0xfc2757d1, v6, v[16:17]
	v_dual_mov_b32 v19, v7 :: v_dual_mov_b32 v18, v17
	s_delay_alu instid0(VALU_DEP_1) | instskip(NEXT) | instid1(VALU_DEP_1)
	v_mad_nc_u64_u32 v[18:19], 0x4e441529, v6, v[18:19]
	v_dual_mov_b32 v20, v19 :: v_dual_add_nc_u32 v5, 0xffffff88, v5
	s_delay_alu instid0(VALU_DEP_1) | instskip(NEXT) | instid1(VALU_DEP_2)
	v_cmp_lt_u32_e32 vcc_lo, 63, v5
	v_mad_nc_u64_u32 v[6:7], 0xa2f9836e, v6, v[20:21]
	v_cndmask_b32_e64 v9, 0, 0xffffffc0, vcc_lo
	v_dual_cndmask_b32 v11, v18, v14 :: v_dual_cndmask_b32 v8, v12, v8
	s_delay_alu instid0(VALU_DEP_2) | instskip(NEXT) | instid1(VALU_DEP_1)
	v_add_nc_u32_e32 v5, v9, v5
	v_cmp_lt_u32_e64 s0, 31, v5
	v_dual_cndmask_b32 v6, v6, v16 :: v_dual_cndmask_b32 v7, v7, v18
	s_delay_alu instid0(VALU_DEP_2) | instskip(NEXT) | instid1(VALU_DEP_1)
	v_cndmask_b32_e64 v9, 0, 0xffffffe0, s0
	v_add_nc_u32_e32 v5, v9, v5
	s_delay_alu instid0(VALU_DEP_1) | instskip(NEXT) | instid1(VALU_DEP_1)
	v_cmp_lt_u32_e64 s1, 31, v5
	v_cndmask_b32_e64 v9, 0, 0xffffffe0, s1
	s_delay_alu instid0(VALU_DEP_1) | instskip(SKIP_2) | instid1(VALU_DEP_3)
	v_dual_cndmask_b32 v13, v16, v12, vcc_lo :: v_dual_add_nc_u32 v5, v9, v5
	v_cndmask_b32_e32 v9, v14, v10, vcc_lo
	v_dual_cndmask_b32 v10, v6, v11, s0 :: v_dual_cndmask_b32 v6, v7, v6, s0
	v_cndmask_b32_e64 v7, v11, v13, s0
	s_delay_alu instid0(VALU_DEP_4) | instskip(NEXT) | instid1(VALU_DEP_4)
	v_sub_nc_u32_e32 v11, 32, v5
	v_cndmask_b32_e64 v13, v13, v9, s0
	v_cmp_eq_u32_e32 vcc_lo, 0, v5
	v_cndmask_b32_e64 v6, v6, v10, s1
	s_delay_alu instid0(VALU_DEP_3) | instskip(NEXT) | instid1(VALU_DEP_1)
	v_dual_cndmask_b32 v10, v10, v7, s1 :: v_dual_cndmask_b32 v7, v7, v13, s1
	v_alignbit_b32 v14, v6, v10, v11
	s_delay_alu instid0(VALU_DEP_2) | instskip(NEXT) | instid1(VALU_DEP_2)
	v_alignbit_b32 v12, v10, v7, v11
	v_dual_cndmask_b32 v5, v14, v6, vcc_lo :: v_dual_cndmask_b32 v6, v9, v8, s0
	s_delay_alu instid0(VALU_DEP_1) | instskip(NEXT) | instid1(VALU_DEP_1)
	v_bfe_u32 v9, v5, 29, 1
	v_dual_cndmask_b32 v8, v12, v10, vcc_lo :: v_dual_sub_nc_u32 v12, 0, v9
	s_delay_alu instid0(VALU_DEP_1) | instskip(NEXT) | instid1(VALU_DEP_1)
	v_alignbit_b32 v10, v5, v8, 30
	v_dual_cndmask_b32 v6, v13, v6, s1 :: v_dual_bitop2_b32 v10, v10, v12 bitop3:0x14
	s_delay_alu instid0(VALU_DEP_1) | instskip(NEXT) | instid1(VALU_DEP_1)
	v_alignbit_b32 v11, v7, v6, v11
	v_cndmask_b32_e32 v7, v11, v7, vcc_lo
	s_delay_alu instid0(VALU_DEP_3) | instskip(NEXT) | instid1(VALU_DEP_2)
	v_clz_i32_u32_e32 v11, v10
	v_alignbit_b32 v6, v7, v6, 30
	s_delay_alu instid0(VALU_DEP_2) | instskip(NEXT) | instid1(VALU_DEP_2)
	v_min_u32_e32 v11, 32, v11
	v_xor_b32_e32 v6, v6, v12
	v_alignbit_b32 v8, v8, v7, 30
	s_delay_alu instid0(VALU_DEP_1) | instskip(SKIP_1) | instid1(VALU_DEP_1)
	v_dual_lshlrev_b32 v13, 23, v11 :: v_dual_bitop2_b32 v7, v8, v12 bitop3:0x14
	v_dual_sub_nc_u32 v8, 31, v11 :: v_dual_lshrrev_b32 v12, 29, v5
	v_alignbit_b32 v10, v10, v7, v8
	v_alignbit_b32 v6, v7, v6, v8
	s_delay_alu instid0(VALU_DEP_3) | instskip(NEXT) | instid1(VALU_DEP_2)
	v_lshlrev_b32_e32 v7, 31, v12
	v_alignbit_b32 v8, v10, v6, 9
	s_delay_alu instid0(VALU_DEP_2) | instskip(NEXT) | instid1(VALU_DEP_2)
	v_dual_lshrrev_b32 v10, 9, v10 :: v_dual_bitop2_b32 v12, 0.5, v7 bitop3:0x54
	v_clz_i32_u32_e32 v14, v8
	s_delay_alu instid0(VALU_DEP_2) | instskip(SKIP_1) | instid1(VALU_DEP_3)
	v_sub_nc_u32_e32 v12, v12, v13
	v_or_b32_e32 v7, 0x33000000, v7
	v_min_u32_e32 v13, 32, v14
	s_delay_alu instid0(VALU_DEP_1) | instskip(NEXT) | instid1(VALU_DEP_4)
	v_add_lshl_u32 v11, v13, v11, 23
	v_or_b32_e32 v10, v10, v12
	v_not_b32_e32 v12, v13
	s_delay_alu instid0(VALU_DEP_2) | instskip(NEXT) | instid1(VALU_DEP_2)
	v_dual_mul_f32 v14, 0x3fc90fda, v10 :: v_dual_sub_nc_u32 v7, v7, v11
	v_alignbit_b32 v6, v8, v6, v12
	s_delay_alu instid0(VALU_DEP_2) | instskip(NEXT) | instid1(VALU_DEP_2)
	v_fma_f32 v8, 0x3fc90fda, v10, -v14
	v_lshrrev_b32_e32 v6, 9, v6
	s_delay_alu instid0(VALU_DEP_2) | instskip(NEXT) | instid1(VALU_DEP_2)
	v_fmamk_f32 v8, v10, 0x33a22168, v8
	v_or_b32_e32 v6, v7, v6
	s_delay_alu instid0(VALU_DEP_1) | instskip(NEXT) | instid1(VALU_DEP_1)
	v_fmac_f32_e32 v8, 0x3fc90fda, v6
	v_dual_add_f32 v5, v14, v8 :: v_dual_lshrrev_b32 v6, 30, v5
	s_delay_alu instid0(VALU_DEP_1)
	v_add_nc_u32_e32 v6, v9, v6
	s_and_not1_saveexec_b32 s0, s7
	s_cbranch_execnz .LBB107_32
	s_branch .LBB107_33
.LBB107_31:
	s_and_not1_saveexec_b32 s0, s7
.LBB107_32:
	v_mul_f32_e64 v5, 0x3f22f983, |v1|
	s_delay_alu instid0(VALU_DEP_1) | instskip(NEXT) | instid1(VALU_DEP_1)
	v_rndne_f32_e32 v6, v5
	v_fma_f32 v5, 0xbfc90fda, v6, |v1|
	s_delay_alu instid0(VALU_DEP_1) | instskip(NEXT) | instid1(VALU_DEP_1)
	v_fmamk_f32 v5, v6, 0xb3a22168, v5
	v_fmamk_f32 v5, v6, 0xa7c234c4, v5
	v_cvt_i32_f32_e32 v6, v6
.LBB107_33:
	s_or_b32 exec_lo, exec_lo, s0
	v_add_f32_e64 v7, 0xc322e3bc, |v2|
	s_mov_b32 s0, 0x37d75334
	s_mov_b32 s1, 0xb94c1982
	v_bfi_b32 v2, 0x7fffffff, 1.0, v2
	s_delay_alu instid0(VALU_DEP_2) | instskip(SKIP_2) | instid1(VALU_DEP_3)
	v_dual_mul_f32 v11, v5, v5 :: v_dual_mul_f32 v8, 0x3fb8aa3b, v7
	v_cmp_ngt_f32_e32 vcc_lo, 0xc2ce8ed0, v7
	v_and_b32_e32 v12, 1, v6
	v_fmaak_f32 v14, s1, v11, 0x3c0881c4
	s_delay_alu instid0(VALU_DEP_4) | instskip(SKIP_2) | instid1(VALU_DEP_2)
	v_fma_f32 v9, 0x3fb8aa3b, v7, -v8
	v_rndne_f32_e32 v10, v8
	v_fmaak_f32 v15, s0, v11, 0xbab64f3b
	v_dual_fmamk_f32 v9, v7, 0x32a5705f, v9 :: v_dual_sub_f32 v8, v8, v10
	s_delay_alu instid0(VALU_DEP_1) | instskip(SKIP_2) | instid1(VALU_DEP_3)
	v_dual_fmaak_f32 v15, v11, v15, 0x3d2aabf7 :: v_dual_add_f32 v8, v8, v9
	v_cvt_i32_f32_e32 v9, v10
	v_dual_lshlrev_b32 v10, 30, v4 :: v_dual_bitop2_b32 v4, 1, v4 bitop3:0x40
	v_fmaak_f32 v15, v11, v15, 0xbf000004
	s_delay_alu instid0(VALU_DEP_4) | instskip(SKIP_1) | instid1(TRANS32_DEP_1)
	v_exp_f32_e32 v8, v8
	v_nop
	v_ldexp_f32 v8, v8, v9
	v_mul_f32_e32 v9, v0, v0
	s_delay_alu instid0(VALU_DEP_2) | instskip(SKIP_1) | instid1(VALU_DEP_3)
	v_cndmask_b32_e32 v8, 0, v8, vcc_lo
	v_cmp_nlt_f32_e32 vcc_lo, 0x42b17218, v7
	v_dual_fmaak_f32 v13, s1, v9, 0x3c0881c4 :: v_dual_lshlrev_b32 v6, 30, v6
	s_delay_alu instid0(VALU_DEP_3) | instskip(SKIP_1) | instid1(VALU_DEP_3)
	v_cndmask_b32_e32 v7, 0x7f800000, v8, vcc_lo
	v_fmaak_f32 v8, s0, v9, 0xbab64f3b
	v_dual_fmaak_f32 v13, v9, v13, 0xbe2aaa9d :: v_dual_fmaak_f32 v14, v11, v14, 0xbe2aaa9d
	v_cmp_eq_u32_e32 vcc_lo, 0, v4
	s_delay_alu instid0(VALU_DEP_4) | instskip(NEXT) | instid1(VALU_DEP_3)
	v_lshrrev_b32_e32 v16, 23, v7
	v_dual_fmaak_f32 v8, v9, v8, 0x3d2aabf7 :: v_dual_mul_f32 v13, v9, v13
	s_delay_alu instid0(VALU_DEP_4) | instskip(SKIP_1) | instid1(VALU_DEP_4)
	v_mul_f32_e32 v14, v11, v14
	v_and_or_b32 v3, 0x80000000, v6, v3
	v_subrev_nc_u32_e32 v16, 20, v16
	s_delay_alu instid0(VALU_DEP_4) | instskip(SKIP_2) | instid1(VALU_DEP_3)
	v_fmaak_f32 v8, v9, v8, 0xbf000004
	s_mov_b32 s0, 0x7fffff
	v_fmac_f32_e32 v0, v0, v13
	v_lshrrev_b16 v17, 15, v16
	s_delay_alu instid0(VALU_DEP_3) | instskip(SKIP_2) | instid1(VALU_DEP_4)
	v_fma_f32 v8, v9, v8, 1.0
	v_fmac_f32_e32 v5, v5, v14
	v_fma_f32 v9, v11, v15, 1.0
	v_add_nc_u16 v11, v16, v17
	s_delay_alu instid0(VALU_DEP_4) | instskip(SKIP_1) | instid1(VALU_DEP_2)
	v_cndmask_b32_e64 v0, -v0, v8, vcc_lo
	v_cmp_eq_u32_e32 vcc_lo, 0, v12
	v_bitop3_b32 v0, v10, v0, 0x80000000 bitop3:0x6c
	v_cndmask_b32_e32 v4, v9, v5, vcc_lo
	v_ashrrev_i16 v5, 1, v11
	v_cmp_class_f32_e64 vcc_lo, v1, 0x1f8
	s_delay_alu instid0(VALU_DEP_3) | instskip(NEXT) | instid1(VALU_DEP_3)
	v_xor3_b32 v3, v3, v4, v1
	v_bfe_i32 v4, v5, 0, 16
	v_cndmask_b32_e32 v6, 0x7fc00000, v0, vcc_lo
	v_and_or_b32 v1, v7, s0, 0x7f000000
	s_delay_alu instid0(VALU_DEP_4) | instskip(NEXT) | instid1(VALU_DEP_4)
	v_cndmask_b32_e32 v5, 0x7fc00000, v3, vcc_lo
	v_sub_nc_u32_e32 v3, v16, v4
	v_lshl_add_u32 v0, v4, 23, 1.0
	s_delay_alu instid0(VALU_DEP_4) | instskip(NEXT) | instid1(VALU_DEP_3)
	v_mul_f32_e32 v4, v6, v1
	v_lshl_add_u32 v6, v3, 23, 1.0
	s_delay_alu instid0(VALU_DEP_3) | instskip(NEXT) | instid1(VALU_DEP_3)
	v_mov_b32_e32 v7, v0
	v_pk_mul_f32 v[0:1], v[4:5], v[0:1]
	s_delay_alu instid0(VALU_DEP_3) | instskip(NEXT) | instid1(VALU_DEP_2)
	v_mov_b32_e32 v3, v6
	v_pk_mul_f32 v[0:1], v[0:1], v[6:7]
	s_delay_alu instid0(VALU_DEP_1)
	v_pk_mul_f32 v[0:1], v[2:3], v[0:1]
.LBB107_34:
	s_or_b32 exec_lo, exec_lo, s6
                                        ; implicit-def: $vgpr2
                                        ; implicit-def: $vgpr3
.LBB107_35:
	s_and_not1_saveexec_b32 s5, s5
	s_cbranch_execz .LBB107_45
; %bb.36:
	s_delay_alu instid0(VALU_DEP_1) | instskip(SKIP_1) | instid1(SALU_CYCLE_1)
	v_cmp_ngt_f32_e64 s6, 0x48000000, |v1|
                                        ; implicit-def: $vgpr0
                                        ; implicit-def: $vgpr4
	s_and_saveexec_b32 s0, s6
	s_xor_b32 s7, exec_lo, s0
	s_cbranch_execz .LBB107_38
; %bb.37:
	s_mov_b32 s0, 0x7fffff
	v_mov_b32_e32 v5, 0
	v_and_or_b32 v4, v3, s0, 0x800000
	s_mov_b64 s[0:1], 0xfe5163ab
	v_lshrrev_b32_e32 v0, 23, v3
	s_delay_alu instid0(VALU_DEP_2) | instskip(NEXT) | instid1(VALU_DEP_1)
	v_mul_u64_e32 v[6:7], s[0:1], v[4:5]
	v_dual_mov_b32 v8, v7 :: v_dual_mov_b32 v9, v5
	v_dual_mov_b32 v11, v5 :: v_dual_mov_b32 v13, v5
	s_delay_alu instid0(VALU_DEP_4) | instskip(SKIP_1) | instid1(VALU_DEP_4)
	v_dual_mov_b32 v15, v5 :: v_dual_add_nc_u32 v0, 0xffffff88, v0
	v_mov_b32_e32 v19, v5
	v_mad_nc_u64_u32 v[8:9], 0x3c439041, v4, v[8:9]
	s_delay_alu instid0(VALU_DEP_3) | instskip(SKIP_1) | instid1(VALU_DEP_3)
	v_cmp_lt_u32_e32 vcc_lo, 63, v0
	v_cndmask_b32_e64 v7, 0, 0xffffffc0, vcc_lo
	v_mov_b32_e32 v10, v9
	s_delay_alu instid0(VALU_DEP_1) | instskip(NEXT) | instid1(VALU_DEP_1)
	v_mad_nc_u64_u32 v[10:11], 0xdb629599, v4, v[10:11]
	v_dual_mov_b32 v12, v11 :: v_dual_cndmask_b32 v6, v10, v6, vcc_lo
	s_delay_alu instid0(VALU_DEP_1) | instskip(NEXT) | instid1(VALU_DEP_1)
	v_mad_nc_u64_u32 v[12:13], 0xf534ddc0, v4, v[12:13]
	v_mov_b32_e32 v14, v13
	s_delay_alu instid0(VALU_DEP_1) | instskip(NEXT) | instid1(VALU_DEP_1)
	v_mad_nc_u64_u32 v[14:15], 0xfc2757d1, v4, v[14:15]
	v_dual_mov_b32 v17, v5 :: v_dual_mov_b32 v16, v15
	s_delay_alu instid0(VALU_DEP_2) | instskip(NEXT) | instid1(VALU_DEP_2)
	v_cndmask_b32_e32 v11, v14, v10, vcc_lo
	v_mad_nc_u64_u32 v[16:17], 0x4e441529, v4, v[16:17]
	s_delay_alu instid0(VALU_DEP_1) | instskip(NEXT) | instid1(VALU_DEP_1)
	v_dual_add_nc_u32 v0, v7, v0 :: v_dual_mov_b32 v18, v17
	v_cmp_lt_u32_e64 s0, 31, v0
	s_delay_alu instid0(VALU_DEP_3) | instskip(NEXT) | instid1(VALU_DEP_3)
	v_cndmask_b32_e32 v9, v16, v12, vcc_lo
	v_mad_nc_u64_u32 v[4:5], 0xa2f9836e, v4, v[18:19]
	s_delay_alu instid0(VALU_DEP_3) | instskip(NEXT) | instid1(VALU_DEP_1)
	v_cndmask_b32_e64 v7, 0, 0xffffffe0, s0
	v_dual_add_nc_u32 v0, v7, v0 :: v_dual_cndmask_b32 v4, v4, v14, vcc_lo
	s_delay_alu instid0(VALU_DEP_1) | instskip(NEXT) | instid1(VALU_DEP_4)
	v_cmp_lt_u32_e64 s1, 31, v0
	v_cndmask_b32_e32 v5, v5, v16, vcc_lo
	s_delay_alu instid0(VALU_DEP_2) | instskip(NEXT) | instid1(VALU_DEP_1)
	v_cndmask_b32_e64 v7, 0, 0xffffffe0, s1
	v_add_nc_u32_e32 v0, v7, v0
	v_cndmask_b32_e32 v7, v12, v8, vcc_lo
	s_delay_alu instid0(VALU_DEP_4) | instskip(NEXT) | instid1(VALU_DEP_3)
	v_dual_cndmask_b32 v8, v4, v9, s0 :: v_dual_cndmask_b32 v4, v5, v4, s0
	v_dual_cndmask_b32 v5, v9, v11, s0 :: v_dual_sub_nc_u32 v9, 32, v0
	s_delay_alu instid0(VALU_DEP_3) | instskip(SKIP_1) | instid1(VALU_DEP_4)
	v_cndmask_b32_e64 v11, v11, v7, s0
	v_cmp_eq_u32_e32 vcc_lo, 0, v0
	v_cndmask_b32_e64 v4, v4, v8, s1
	s_delay_alu instid0(VALU_DEP_3) | instskip(NEXT) | instid1(VALU_DEP_1)
	v_dual_cndmask_b32 v8, v8, v5, s1 :: v_dual_cndmask_b32 v5, v5, v11, s1
	v_alignbit_b32 v12, v4, v8, v9
	s_delay_alu instid0(VALU_DEP_2) | instskip(NEXT) | instid1(VALU_DEP_2)
	v_alignbit_b32 v10, v8, v5, v9
	v_dual_cndmask_b32 v0, v12, v4, vcc_lo :: v_dual_cndmask_b32 v4, v7, v6, s0
	s_delay_alu instid0(VALU_DEP_1) | instskip(NEXT) | instid1(VALU_DEP_1)
	v_bfe_u32 v7, v0, 29, 1
	v_dual_cndmask_b32 v6, v10, v8, vcc_lo :: v_dual_sub_nc_u32 v10, 0, v7
	s_delay_alu instid0(VALU_DEP_1) | instskip(NEXT) | instid1(VALU_DEP_1)
	v_alignbit_b32 v8, v0, v6, 30
	v_dual_cndmask_b32 v4, v11, v4, s1 :: v_dual_bitop2_b32 v8, v8, v10 bitop3:0x14
	s_delay_alu instid0(VALU_DEP_1) | instskip(NEXT) | instid1(VALU_DEP_1)
	v_alignbit_b32 v9, v5, v4, v9
	v_cndmask_b32_e32 v5, v9, v5, vcc_lo
	s_delay_alu instid0(VALU_DEP_3) | instskip(NEXT) | instid1(VALU_DEP_2)
	v_clz_i32_u32_e32 v9, v8
	v_alignbit_b32 v4, v5, v4, 30
	s_delay_alu instid0(VALU_DEP_2) | instskip(NEXT) | instid1(VALU_DEP_2)
	v_min_u32_e32 v9, 32, v9
	v_xor_b32_e32 v4, v4, v10
	v_alignbit_b32 v6, v6, v5, 30
	s_delay_alu instid0(VALU_DEP_1) | instskip(SKIP_1) | instid1(VALU_DEP_1)
	v_dual_lshlrev_b32 v11, 23, v9 :: v_dual_bitop2_b32 v5, v6, v10 bitop3:0x14
	v_dual_sub_nc_u32 v6, 31, v9 :: v_dual_lshrrev_b32 v10, 29, v0
	v_alignbit_b32 v8, v8, v5, v6
	v_alignbit_b32 v4, v5, v4, v6
	s_delay_alu instid0(VALU_DEP_3) | instskip(NEXT) | instid1(VALU_DEP_2)
	v_lshlrev_b32_e32 v5, 31, v10
	v_alignbit_b32 v6, v8, v4, 9
	s_delay_alu instid0(VALU_DEP_2) | instskip(NEXT) | instid1(VALU_DEP_2)
	v_dual_lshrrev_b32 v8, 9, v8 :: v_dual_bitop2_b32 v10, 0.5, v5 bitop3:0x54
	v_clz_i32_u32_e32 v12, v6
	s_delay_alu instid0(VALU_DEP_2) | instskip(SKIP_1) | instid1(VALU_DEP_3)
	v_sub_nc_u32_e32 v10, v10, v11
	v_or_b32_e32 v5, 0x33000000, v5
	v_min_u32_e32 v11, 32, v12
	s_delay_alu instid0(VALU_DEP_1) | instskip(NEXT) | instid1(VALU_DEP_4)
	v_add_lshl_u32 v9, v11, v9, 23
	v_or_b32_e32 v8, v8, v10
	v_not_b32_e32 v10, v11
	s_delay_alu instid0(VALU_DEP_2) | instskip(NEXT) | instid1(VALU_DEP_2)
	v_dual_mul_f32 v12, 0x3fc90fda, v8 :: v_dual_sub_nc_u32 v5, v5, v9
	v_alignbit_b32 v4, v6, v4, v10
	s_delay_alu instid0(VALU_DEP_2) | instskip(NEXT) | instid1(VALU_DEP_2)
	v_fma_f32 v6, 0x3fc90fda, v8, -v12
	v_lshrrev_b32_e32 v4, 9, v4
	s_delay_alu instid0(VALU_DEP_2) | instskip(NEXT) | instid1(VALU_DEP_2)
	v_fmamk_f32 v6, v8, 0x33a22168, v6
	v_or_b32_e32 v4, v5, v4
	s_delay_alu instid0(VALU_DEP_1) | instskip(NEXT) | instid1(VALU_DEP_1)
	v_fmac_f32_e32 v6, 0x3fc90fda, v4
	v_dual_lshrrev_b32 v0, 30, v0 :: v_dual_add_f32 v4, v12, v6
	s_delay_alu instid0(VALU_DEP_1)
	v_add_nc_u32_e32 v0, v7, v0
	s_and_not1_saveexec_b32 s0, s7
	s_branch .LBB107_39
.LBB107_38:
	s_and_not1_saveexec_b32 s0, s7
.LBB107_39:
	v_mul_f32_e64 v0, 0x3f22f983, |v1|
	s_delay_alu instid0(VALU_DEP_1) | instskip(NEXT) | instid1(VALU_DEP_1)
	v_rndne_f32_e32 v0, v0
	v_fma_f32 v4, 0xbfc90fda, v0, |v1|
	s_delay_alu instid0(VALU_DEP_1) | instskip(NEXT) | instid1(VALU_DEP_1)
	v_fmamk_f32 v4, v0, 0xb3a22168, v4
	v_fmamk_f32 v4, v0, 0xa7c234c4, v4
	v_cvt_i32_f32_e32 v0, v0
; %bb.40:
	s_or_b32 exec_lo, exec_lo, s0
                                        ; implicit-def: $vgpr6
                                        ; implicit-def: $vgpr5
	s_and_saveexec_b32 s0, s6
	s_delay_alu instid0(SALU_CYCLE_1)
	s_xor_b32 s6, exec_lo, s0
	s_cbranch_execz .LBB107_42
; %bb.41:
	s_mov_b32 s0, 0x7fffff
	v_mov_b32_e32 v7, 0
	v_and_or_b32 v6, v3, s0, 0x800000
	s_mov_b64 s[0:1], 0xfe5163ab
	v_lshrrev_b32_e32 v5, 23, v3
	s_delay_alu instid0(VALU_DEP_2) | instskip(NEXT) | instid1(VALU_DEP_1)
	v_mul_u64_e32 v[8:9], s[0:1], v[6:7]
	v_dual_mov_b32 v10, v9 :: v_dual_mov_b32 v11, v7
	v_dual_mov_b32 v13, v7 :: v_dual_mov_b32 v15, v7
	v_dual_mov_b32 v17, v7 :: v_dual_mov_b32 v21, v7
	s_delay_alu instid0(VALU_DEP_3) | instskip(NEXT) | instid1(VALU_DEP_1)
	v_mad_nc_u64_u32 v[10:11], 0x3c439041, v6, v[10:11]
	v_mov_b32_e32 v12, v11
	s_delay_alu instid0(VALU_DEP_1) | instskip(NEXT) | instid1(VALU_DEP_1)
	v_mad_nc_u64_u32 v[12:13], 0xdb629599, v6, v[12:13]
	v_mov_b32_e32 v14, v13
	s_delay_alu instid0(VALU_DEP_1) | instskip(NEXT) | instid1(VALU_DEP_1)
	;; [unrolled: 3-line block ×3, first 2 shown]
	v_mad_nc_u64_u32 v[16:17], 0xfc2757d1, v6, v[16:17]
	v_dual_mov_b32 v19, v7 :: v_dual_mov_b32 v18, v17
	s_delay_alu instid0(VALU_DEP_1) | instskip(NEXT) | instid1(VALU_DEP_1)
	v_mad_nc_u64_u32 v[18:19], 0x4e441529, v6, v[18:19]
	v_dual_mov_b32 v20, v19 :: v_dual_add_nc_u32 v5, 0xffffff88, v5
	s_delay_alu instid0(VALU_DEP_1) | instskip(NEXT) | instid1(VALU_DEP_2)
	v_cmp_lt_u32_e32 vcc_lo, 63, v5
	v_mad_nc_u64_u32 v[6:7], 0xa2f9836e, v6, v[20:21]
	v_cndmask_b32_e64 v9, 0, 0xffffffc0, vcc_lo
	v_dual_cndmask_b32 v11, v18, v14 :: v_dual_cndmask_b32 v8, v12, v8
	s_delay_alu instid0(VALU_DEP_2) | instskip(NEXT) | instid1(VALU_DEP_1)
	v_add_nc_u32_e32 v5, v9, v5
	v_cmp_lt_u32_e64 s0, 31, v5
	v_dual_cndmask_b32 v6, v6, v16 :: v_dual_cndmask_b32 v7, v7, v18
	s_delay_alu instid0(VALU_DEP_2) | instskip(NEXT) | instid1(VALU_DEP_1)
	v_cndmask_b32_e64 v9, 0, 0xffffffe0, s0
	v_add_nc_u32_e32 v5, v9, v5
	s_delay_alu instid0(VALU_DEP_1) | instskip(NEXT) | instid1(VALU_DEP_1)
	v_cmp_lt_u32_e64 s1, 31, v5
	v_cndmask_b32_e64 v9, 0, 0xffffffe0, s1
	s_delay_alu instid0(VALU_DEP_1) | instskip(SKIP_2) | instid1(VALU_DEP_3)
	v_dual_cndmask_b32 v13, v16, v12, vcc_lo :: v_dual_add_nc_u32 v5, v9, v5
	v_cndmask_b32_e32 v9, v14, v10, vcc_lo
	v_dual_cndmask_b32 v10, v6, v11, s0 :: v_dual_cndmask_b32 v6, v7, v6, s0
	v_cndmask_b32_e64 v7, v11, v13, s0
	s_delay_alu instid0(VALU_DEP_4) | instskip(NEXT) | instid1(VALU_DEP_4)
	v_sub_nc_u32_e32 v11, 32, v5
	v_cndmask_b32_e64 v13, v13, v9, s0
	v_cmp_eq_u32_e32 vcc_lo, 0, v5
	v_cndmask_b32_e64 v6, v6, v10, s1
	s_delay_alu instid0(VALU_DEP_3) | instskip(NEXT) | instid1(VALU_DEP_1)
	v_dual_cndmask_b32 v10, v10, v7, s1 :: v_dual_cndmask_b32 v7, v7, v13, s1
	v_alignbit_b32 v14, v6, v10, v11
	s_delay_alu instid0(VALU_DEP_2) | instskip(NEXT) | instid1(VALU_DEP_2)
	v_alignbit_b32 v12, v10, v7, v11
	v_dual_cndmask_b32 v5, v14, v6, vcc_lo :: v_dual_cndmask_b32 v6, v9, v8, s0
	s_delay_alu instid0(VALU_DEP_1) | instskip(NEXT) | instid1(VALU_DEP_1)
	v_bfe_u32 v9, v5, 29, 1
	v_dual_cndmask_b32 v8, v12, v10, vcc_lo :: v_dual_sub_nc_u32 v12, 0, v9
	s_delay_alu instid0(VALU_DEP_1) | instskip(NEXT) | instid1(VALU_DEP_1)
	v_alignbit_b32 v10, v5, v8, 30
	v_dual_cndmask_b32 v6, v13, v6, s1 :: v_dual_bitop2_b32 v10, v10, v12 bitop3:0x14
	s_delay_alu instid0(VALU_DEP_1) | instskip(NEXT) | instid1(VALU_DEP_1)
	v_alignbit_b32 v11, v7, v6, v11
	v_cndmask_b32_e32 v7, v11, v7, vcc_lo
	s_delay_alu instid0(VALU_DEP_3) | instskip(NEXT) | instid1(VALU_DEP_2)
	v_clz_i32_u32_e32 v11, v10
	v_alignbit_b32 v6, v7, v6, 30
	s_delay_alu instid0(VALU_DEP_2) | instskip(NEXT) | instid1(VALU_DEP_2)
	v_min_u32_e32 v11, 32, v11
	v_xor_b32_e32 v6, v6, v12
	v_alignbit_b32 v8, v8, v7, 30
	s_delay_alu instid0(VALU_DEP_1) | instskip(SKIP_1) | instid1(VALU_DEP_1)
	v_dual_lshlrev_b32 v13, 23, v11 :: v_dual_bitop2_b32 v7, v8, v12 bitop3:0x14
	v_dual_sub_nc_u32 v8, 31, v11 :: v_dual_lshrrev_b32 v12, 29, v5
	v_alignbit_b32 v10, v10, v7, v8
	v_alignbit_b32 v6, v7, v6, v8
	s_delay_alu instid0(VALU_DEP_3) | instskip(NEXT) | instid1(VALU_DEP_2)
	v_lshlrev_b32_e32 v7, 31, v12
	v_alignbit_b32 v8, v10, v6, 9
	s_delay_alu instid0(VALU_DEP_2) | instskip(NEXT) | instid1(VALU_DEP_2)
	v_dual_lshrrev_b32 v10, 9, v10 :: v_dual_bitop2_b32 v12, 0.5, v7 bitop3:0x54
	v_clz_i32_u32_e32 v14, v8
	s_delay_alu instid0(VALU_DEP_2) | instskip(SKIP_1) | instid1(VALU_DEP_3)
	v_sub_nc_u32_e32 v12, v12, v13
	v_or_b32_e32 v7, 0x33000000, v7
	v_min_u32_e32 v13, 32, v14
	s_delay_alu instid0(VALU_DEP_1) | instskip(NEXT) | instid1(VALU_DEP_4)
	v_add_lshl_u32 v11, v13, v11, 23
	v_or_b32_e32 v10, v10, v12
	v_not_b32_e32 v12, v13
	s_delay_alu instid0(VALU_DEP_2) | instskip(NEXT) | instid1(VALU_DEP_2)
	v_dual_mul_f32 v14, 0x3fc90fda, v10 :: v_dual_sub_nc_u32 v7, v7, v11
	v_alignbit_b32 v6, v8, v6, v12
	s_delay_alu instid0(VALU_DEP_2) | instskip(NEXT) | instid1(VALU_DEP_2)
	v_fma_f32 v8, 0x3fc90fda, v10, -v14
	v_lshrrev_b32_e32 v6, 9, v6
	s_delay_alu instid0(VALU_DEP_2) | instskip(NEXT) | instid1(VALU_DEP_2)
	v_fmamk_f32 v8, v10, 0x33a22168, v8
	v_or_b32_e32 v6, v7, v6
	s_delay_alu instid0(VALU_DEP_1) | instskip(NEXT) | instid1(VALU_DEP_1)
	v_fmac_f32_e32 v8, 0x3fc90fda, v6
	v_dual_add_f32 v5, v14, v8 :: v_dual_lshrrev_b32 v6, 30, v5
	s_delay_alu instid0(VALU_DEP_1)
	v_add_nc_u32_e32 v6, v9, v6
	s_and_not1_saveexec_b32 s0, s6
	s_cbranch_execnz .LBB107_43
	s_branch .LBB107_44
.LBB107_42:
	s_and_not1_saveexec_b32 s0, s6
.LBB107_43:
	v_mul_f32_e64 v5, 0x3f22f983, |v1|
	s_delay_alu instid0(VALU_DEP_1) | instskip(NEXT) | instid1(VALU_DEP_1)
	v_rndne_f32_e32 v6, v5
	v_fma_f32 v5, 0xbfc90fda, v6, |v1|
	s_delay_alu instid0(VALU_DEP_1) | instskip(NEXT) | instid1(VALU_DEP_1)
	v_fmamk_f32 v5, v6, 0xb3a22168, v5
	v_fmamk_f32 v5, v6, 0xa7c234c4, v5
	v_cvt_i32_f32_e32 v6, v6
.LBB107_44:
	s_or_b32 exec_lo, exec_lo, s0
	v_mul_f32_e64 v7, 0x3fb8aa3b, |v2|
	s_delay_alu instid0(VALU_DEP_3) | instskip(SKIP_2) | instid1(VALU_DEP_2)
	v_dual_mul_f32 v8, v4, v4 :: v_dual_mul_f32 v12, v5, v5
	s_mov_b32 s0, 0xb94c1982
	s_mov_b32 s1, 0x37d75334
	v_rndne_f32_e32 v9, v7
	v_fma_f32 v10, 0x3fb8aa3b, |v2|, -v7
	v_and_b32_e32 v11, 1, v0
	v_cmp_ngt_f32_e64 vcc_lo, 0xc2ce8ed0, |v2|
	v_dual_lshlrev_b32 v6, 30, v6 :: v_dual_bitop2_b32 v13, 1, v6 bitop3:0x40
	v_sub_f32_e32 v7, v7, v9
	v_fma_f32 v10, 0x32a5705f, |v2|, v10
	v_fmaak_f32 v14, s0, v8, 0x3c0881c4
	v_cvt_i32_f32_e32 v9, v9
	v_and_or_b32 v3, 0x80000000, v6, v3
	s_delay_alu instid0(VALU_DEP_4) | instskip(NEXT) | instid1(VALU_DEP_4)
	v_dual_add_f32 v7, v7, v10 :: v_dual_lshlrev_b32 v0, 30, v0
	v_fmaak_f32 v14, v8, v14, 0xbe2aaa9d
	v_fmaak_f32 v15, s1, v8, 0xbab64f3b
	;; [unrolled: 1-line block ×3, first 2 shown]
	s_delay_alu instid0(VALU_DEP_4) | instskip(NEXT) | instid1(VALU_DEP_2)
	v_exp_f32_e32 v7, v7
	v_dual_mul_f32 v14, v8, v14 :: v_dual_fmaak_f32 v15, v8, v15, 0x3d2aabf7
	s_delay_alu instid0(VALU_DEP_1) | instskip(NEXT) | instid1(TRANS32_DEP_1)
	v_fmaak_f32 v15, v8, v15, 0xbf000004
	v_ldexp_f32 v7, v7, v9
	v_fmaak_f32 v10, v12, v10, 0x3d2aabf7
	s_delay_alu instid0(VALU_DEP_3) | instskip(NEXT) | instid1(VALU_DEP_3)
	v_fma_f32 v8, v8, v15, 1.0
	v_dual_cndmask_b32 v7, 0, v7 :: v_dual_fmac_f32 v4, v4, v14
	v_cmp_eq_u32_e32 vcc_lo, 0, v11
	s_delay_alu instid0(VALU_DEP_4) | instskip(NEXT) | instid1(VALU_DEP_3)
	v_fmaak_f32 v10, v12, v10, 0xbf000004
	v_cndmask_b32_e64 v4, -v4, v8, vcc_lo
	v_cmp_nlt_f32_e64 vcc_lo, 0x42b17218, |v2|
	s_delay_alu instid0(VALU_DEP_3) | instskip(SKIP_2) | instid1(VALU_DEP_2)
	v_fma_f32 v9, v12, v10, 1.0
	v_cndmask_b32_e32 v7, 0x7f800000, v7, vcc_lo
	v_cmp_eq_u32_e32 vcc_lo, 0, v13
	v_mul_f32_e32 v6, 0.5, v7
	v_fmaak_f32 v16, s0, v12, 0x3c0881c4
	v_bitop3_b32 v0, v0, v4, 0x80000000 bitop3:0x6c
	s_delay_alu instid0(VALU_DEP_2) | instskip(NEXT) | instid1(VALU_DEP_1)
	v_fmaak_f32 v16, v12, v16, 0xbe2aaa9d
	v_mul_f32_e32 v16, v12, v16
	s_delay_alu instid0(VALU_DEP_1) | instskip(NEXT) | instid1(VALU_DEP_1)
	v_fmac_f32_e32 v5, v5, v16
	v_cndmask_b32_e32 v5, v9, v5, vcc_lo
	v_cmp_class_f32_e64 vcc_lo, v1, 0x1f8
	s_delay_alu instid0(VALU_DEP_2) | instskip(SKIP_2) | instid1(VALU_DEP_3)
	v_xor3_b32 v3, v3, v5, v1
	v_cndmask_b32_e32 v0, 0x7fc00000, v0, vcc_lo
	v_bfi_b32 v1, 0x7fffffff, v6, v2
	v_cndmask_b32_e32 v2, 0x7fc00000, v3, vcc_lo
	s_delay_alu instid0(VALU_DEP_1)
	v_dual_mul_f32 v0, v1, v0 :: v_dual_mul_f32 v1, v6, v2
.LBB107_45:
	s_or_b32 exec_lo, exec_lo, s5
                                        ; implicit-def: $vgpr2
                                        ; implicit-def: $vgpr3
.LBB107_46:
	s_and_not1_saveexec_b32 s4, s4
	s_cbranch_execz .LBB107_56
; %bb.47:
	s_delay_alu instid0(VALU_DEP_1) | instskip(SKIP_2) | instid1(SALU_CYCLE_1)
	v_cmp_ngt_f32_e64 s5, 0x48000000, |v1|
	v_lshrrev_b32_e32 v6, 23, v3
                                        ; implicit-def: $vgpr4
                                        ; implicit-def: $vgpr0
	s_and_saveexec_b32 s0, s5
	s_xor_b32 s6, exec_lo, s0
	s_cbranch_execz .LBB107_49
; %bb.48:
	s_mov_b32 s0, 0x7fffff
	v_mov_b32_e32 v5, 0
	v_and_or_b32 v4, v3, s0, 0x800000
	s_mov_b64 s[0:1], 0xfe5163ab
	s_delay_alu instid0(VALU_DEP_1) | instid1(SALU_CYCLE_1)
	v_mul_u64_e32 v[8:9], s[0:1], v[4:5]
	s_delay_alu instid0(VALU_DEP_1) | instskip(SKIP_2) | instid1(VALU_DEP_3)
	v_dual_mov_b32 v10, v9 :: v_dual_mov_b32 v11, v5
	v_dual_mov_b32 v13, v5 :: v_dual_add_nc_u32 v0, 0xffffff88, v6
	v_dual_mov_b32 v21, v5 :: v_dual_mov_b32 v15, v5
	v_mad_nc_u64_u32 v[10:11], 0x3c439041, v4, v[10:11]
	v_mov_b32_e32 v17, v5
	s_delay_alu instid0(VALU_DEP_4) | instskip(SKIP_3) | instid1(VALU_DEP_2)
	v_cmp_lt_u32_e32 vcc_lo, 63, v0
	v_mov_b32_e32 v19, v5
	v_cndmask_b32_e64 v7, 0, 0xffffffc0, vcc_lo
	v_mov_b32_e32 v12, v11
	v_add_nc_u32_e32 v0, v7, v0
	s_delay_alu instid0(VALU_DEP_2) | instskip(NEXT) | instid1(VALU_DEP_2)
	v_mad_nc_u64_u32 v[12:13], 0xdb629599, v4, v[12:13]
	v_cmp_lt_u32_e64 s0, 31, v0
	s_delay_alu instid0(VALU_DEP_1) | instskip(NEXT) | instid1(VALU_DEP_3)
	v_cndmask_b32_e64 v7, 0, 0xffffffe0, s0
	v_mov_b32_e32 v14, v13
	s_delay_alu instid0(VALU_DEP_1) | instskip(NEXT) | instid1(VALU_DEP_1)
	v_mad_nc_u64_u32 v[14:15], 0xf534ddc0, v4, v[14:15]
	v_mov_b32_e32 v16, v15
	s_delay_alu instid0(VALU_DEP_1) | instskip(NEXT) | instid1(VALU_DEP_1)
	v_mad_nc_u64_u32 v[16:17], 0xfc2757d1, v4, v[16:17]
	;; [unrolled: 3-line block ×3, first 2 shown]
	v_dual_mov_b32 v20, v19 :: v_dual_cndmask_b32 v9, v18, v14
	s_delay_alu instid0(VALU_DEP_1) | instskip(NEXT) | instid1(VALU_DEP_1)
	v_mad_nc_u64_u32 v[4:5], 0xa2f9836e, v4, v[20:21]
	v_dual_cndmask_b32 v5, v5, v18 :: v_dual_add_nc_u32 v0, v7, v0
	s_delay_alu instid0(VALU_DEP_1) | instskip(NEXT) | instid1(VALU_DEP_3)
	v_cmp_lt_u32_e64 s1, 31, v0
	v_cndmask_b32_e32 v4, v4, v16, vcc_lo
	s_delay_alu instid0(VALU_DEP_2) | instskip(NEXT) | instid1(VALU_DEP_1)
	v_cndmask_b32_e64 v7, 0, 0xffffffe0, s1
	v_dual_cndmask_b32 v7, v14, v10 :: v_dual_add_nc_u32 v0, v7, v0
	s_delay_alu instid0(VALU_DEP_3) | instskip(SKIP_2) | instid1(VALU_DEP_2)
	v_cndmask_b32_e64 v10, v4, v9, s0
	v_cndmask_b32_e32 v11, v16, v12, vcc_lo
	v_cndmask_b32_e64 v4, v5, v4, s0
	v_dual_cndmask_b32 v5, v9, v11, s0 :: v_dual_sub_nc_u32 v9, 32, v0
	s_delay_alu instid0(VALU_DEP_1) | instskip(SKIP_2) | instid1(VALU_DEP_2)
	v_dual_cndmask_b32 v4, v4, v10, s1 :: v_dual_cndmask_b32 v10, v10, v5, s1
	v_dual_cndmask_b32 v11, v11, v7, s0 :: v_dual_cndmask_b32 v8, v12, v8, vcc_lo
	v_cmp_eq_u32_e32 vcc_lo, 0, v0
	v_cndmask_b32_e64 v5, v5, v11, s1
	s_delay_alu instid0(VALU_DEP_4) | instskip(NEXT) | instid1(VALU_DEP_2)
	v_alignbit_b32 v13, v4, v10, v9
	v_alignbit_b32 v12, v10, v5, v9
	s_delay_alu instid0(VALU_DEP_2) | instskip(NEXT) | instid1(VALU_DEP_2)
	v_cndmask_b32_e32 v0, v13, v4, vcc_lo
	v_dual_cndmask_b32 v4, v7, v8, s0 :: v_dual_cndmask_b32 v7, v12, v10, vcc_lo
	s_delay_alu instid0(VALU_DEP_1) | instskip(NEXT) | instid1(VALU_DEP_3)
	v_cndmask_b32_e64 v4, v11, v4, s1
	v_bfe_u32 v8, v0, 29, 1
	s_delay_alu instid0(VALU_DEP_3) | instskip(NEXT) | instid1(VALU_DEP_3)
	v_alignbit_b32 v10, v0, v7, 30
	v_alignbit_b32 v9, v5, v4, v9
	s_delay_alu instid0(VALU_DEP_1) | instskip(NEXT) | instid1(VALU_DEP_1)
	v_dual_sub_nc_u32 v11, 0, v8 :: v_dual_cndmask_b32 v5, v9, v5, vcc_lo
	v_xor_b32_e32 v10, v10, v11
	s_delay_alu instid0(VALU_DEP_2) | instskip(NEXT) | instid1(VALU_DEP_2)
	v_alignbit_b32 v7, v7, v5, 30
	v_clz_i32_u32_e32 v9, v10
	v_alignbit_b32 v4, v5, v4, 30
	s_delay_alu instid0(VALU_DEP_2) | instskip(NEXT) | instid1(VALU_DEP_4)
	v_min_u32_e32 v9, 32, v9
	v_xor_b32_e32 v5, v7, v11
	s_delay_alu instid0(VALU_DEP_3) | instskip(NEXT) | instid1(VALU_DEP_3)
	v_dual_lshrrev_b32 v11, 29, v0 :: v_dual_bitop2_b32 v4, v4, v11 bitop3:0x14
	v_dual_sub_nc_u32 v7, 31, v9 :: v_dual_lshlrev_b32 v12, 23, v9
	s_delay_alu instid0(VALU_DEP_1) | instskip(NEXT) | instid1(VALU_DEP_3)
	v_alignbit_b32 v10, v10, v5, v7
	v_alignbit_b32 v4, v5, v4, v7
	s_delay_alu instid0(VALU_DEP_4) | instskip(NEXT) | instid1(VALU_DEP_2)
	v_lshlrev_b32_e32 v5, 31, v11
	v_alignbit_b32 v7, v10, v4, 9
	s_delay_alu instid0(VALU_DEP_2) | instskip(SKIP_1) | instid1(VALU_DEP_3)
	v_dual_lshrrev_b32 v10, 9, v10 :: v_dual_bitop2_b32 v11, 0.5, v5 bitop3:0x54
	v_or_b32_e32 v5, 0x33000000, v5
	v_clz_i32_u32_e32 v13, v7
	s_delay_alu instid0(VALU_DEP_3) | instskip(NEXT) | instid1(VALU_DEP_2)
	v_sub_nc_u32_e32 v11, v11, v12
	v_min_u32_e32 v12, 32, v13
	s_delay_alu instid0(VALU_DEP_1) | instskip(NEXT) | instid1(VALU_DEP_1)
	v_add_lshl_u32 v9, v12, v9, 23
	v_dual_sub_nc_u32 v5, v5, v9 :: v_dual_bitop2_b32 v10, v10, v11 bitop3:0x54
	v_not_b32_e32 v11, v12
	s_delay_alu instid0(VALU_DEP_1) | instskip(NEXT) | instid1(VALU_DEP_1)
	v_alignbit_b32 v4, v7, v4, v11
	v_dual_mul_f32 v13, 0x3fc90fda, v10 :: v_dual_lshrrev_b32 v4, 9, v4
	s_delay_alu instid0(VALU_DEP_1) | instskip(NEXT) | instid1(VALU_DEP_2)
	v_or_b32_e32 v4, v5, v4
	v_fma_f32 v7, 0x3fc90fda, v10, -v13
	s_delay_alu instid0(VALU_DEP_1) | instskip(NEXT) | instid1(VALU_DEP_1)
	v_fmamk_f32 v7, v10, 0x33a22168, v7
	v_fmac_f32_e32 v7, 0x3fc90fda, v4
	s_delay_alu instid0(VALU_DEP_1) | instskip(NEXT) | instid1(VALU_DEP_1)
	v_dual_lshrrev_b32 v4, 30, v0 :: v_dual_add_f32 v0, v13, v7
	v_add_nc_u32_e32 v4, v8, v4
	s_or_saveexec_b32 s0, s6
	v_mul_f32_e64 v8, 0x3f22f983, |v1|
	s_xor_b32 exec_lo, exec_lo, s0
	s_branch .LBB107_50
.LBB107_49:
	s_or_saveexec_b32 s0, s6
	v_mul_f32_e64 v8, 0x3f22f983, |v1|
	s_xor_b32 exec_lo, exec_lo, s0
.LBB107_50:
	s_delay_alu instid0(VALU_DEP_1) | instskip(NEXT) | instid1(VALU_DEP_1)
	v_rndne_f32_e32 v4, v8
	v_fma_f32 v0, 0xbfc90fda, v4, |v1|
	s_delay_alu instid0(VALU_DEP_1) | instskip(NEXT) | instid1(VALU_DEP_1)
	v_fmamk_f32 v0, v4, 0xb3a22168, v0
	v_fmamk_f32 v0, v4, 0xa7c234c4, v0
	v_cvt_i32_f32_e32 v4, v4
; %bb.51:
	s_or_b32 exec_lo, exec_lo, s0
                                        ; implicit-def: $vgpr7
                                        ; implicit-def: $vgpr5
	s_and_saveexec_b32 s0, s5
	s_delay_alu instid0(SALU_CYCLE_1)
	s_xor_b32 s5, exec_lo, s0
	s_cbranch_execz .LBB107_53
; %bb.52:
	s_mov_b32 s0, 0x7fffff
	v_mov_b32_e32 v9, 0
	v_and_or_b32 v8, v3, s0, 0x800000
	s_mov_b64 s[0:1], 0xfe5163ab
	v_add_nc_u32_e32 v5, 0xffffff88, v6
	s_delay_alu instid0(VALU_DEP_2) | instskip(NEXT) | instid1(VALU_DEP_2)
	v_mul_u64_e32 v[10:11], s[0:1], v[8:9]
	v_cmp_lt_u32_e32 vcc_lo, 63, v5
	s_delay_alu instid0(VALU_DEP_2) | instskip(SKIP_2) | instid1(VALU_DEP_3)
	v_dual_mov_b32 v12, v11 :: v_dual_mov_b32 v13, v9
	v_dual_mov_b32 v15, v9 :: v_dual_mov_b32 v17, v9
	;; [unrolled: 1-line block ×3, first 2 shown]
	v_mad_nc_u64_u32 v[12:13], 0x3c439041, v8, v[12:13]
	v_cndmask_b32_e64 v11, 0, 0xffffffc0, vcc_lo
	s_delay_alu instid0(VALU_DEP_2) | instskip(NEXT) | instid1(VALU_DEP_1)
	v_mov_b32_e32 v14, v13
	v_mad_nc_u64_u32 v[14:15], 0xdb629599, v8, v[14:15]
	s_delay_alu instid0(VALU_DEP_1) | instskip(NEXT) | instid1(VALU_DEP_1)
	v_dual_mov_b32 v16, v15 :: v_dual_cndmask_b32 v10, v14, v10, vcc_lo
	v_mad_nc_u64_u32 v[16:17], 0xf534ddc0, v8, v[16:17]
	s_delay_alu instid0(VALU_DEP_1) | instskip(NEXT) | instid1(VALU_DEP_1)
	v_mov_b32_e32 v18, v17
	v_mad_nc_u64_u32 v[18:19], 0xfc2757d1, v8, v[18:19]
	s_delay_alu instid0(VALU_DEP_1) | instskip(NEXT) | instid1(VALU_DEP_1)
	v_mov_b32_e32 v20, v19
	v_mad_nc_u64_u32 v[6:7], 0x4e441529, v8, v[20:21]
	s_delay_alu instid0(VALU_DEP_1) | instskip(NEXT) | instid1(VALU_DEP_1)
	v_dual_add_nc_u32 v5, v11, v5 :: v_dual_cndmask_b32 v11, v6, v16, vcc_lo
	v_cmp_lt_u32_e64 s0, 31, v5
	s_delay_alu instid0(VALU_DEP_3) | instskip(NEXT) | instid1(VALU_DEP_2)
	v_mov_b32_e32 v20, v7
	v_cndmask_b32_e64 v7, 0, 0xffffffe0, s0
	s_delay_alu instid0(VALU_DEP_1) | instskip(NEXT) | instid1(VALU_DEP_3)
	v_add_nc_u32_e32 v5, v7, v5
	v_mad_nc_u64_u32 v[8:9], 0xa2f9836e, v8, v[20:21]
	s_delay_alu instid0(VALU_DEP_2) | instskip(NEXT) | instid1(VALU_DEP_1)
	v_cmp_lt_u32_e64 s1, 31, v5
	v_cndmask_b32_e64 v7, 0, 0xffffffe0, s1
	s_delay_alu instid0(VALU_DEP_3) | instskip(NEXT) | instid1(VALU_DEP_2)
	v_cndmask_b32_e32 v8, v8, v18, vcc_lo
	v_dual_cndmask_b32 v6, v9, v6 :: v_dual_add_nc_u32 v5, v7, v5
	v_dual_cndmask_b32 v9, v18, v14, vcc_lo :: v_dual_cndmask_b32 v7, v16, v12, vcc_lo
	s_delay_alu instid0(VALU_DEP_2) | instskip(NEXT) | instid1(VALU_DEP_3)
	v_dual_cndmask_b32 v12, v8, v11, s0 :: v_dual_cndmask_b32 v6, v6, v8, s0
	v_cmp_eq_u32_e32 vcc_lo, 0, v5
	s_delay_alu instid0(VALU_DEP_3) | instskip(NEXT) | instid1(VALU_DEP_4)
	v_cndmask_b32_e64 v8, v11, v9, s0
	v_dual_sub_nc_u32 v11, 32, v5 :: v_dual_cndmask_b32 v9, v9, v7, s0
	s_delay_alu instid0(VALU_DEP_4) | instskip(NEXT) | instid1(VALU_DEP_3)
	v_cndmask_b32_e64 v6, v6, v12, s1
	v_cndmask_b32_e64 v12, v12, v8, s1
	s_delay_alu instid0(VALU_DEP_3) | instskip(NEXT) | instid1(VALU_DEP_2)
	v_cndmask_b32_e64 v8, v8, v9, s1
	v_alignbit_b32 v13, v6, v12, v11
	s_delay_alu instid0(VALU_DEP_2) | instskip(NEXT) | instid1(VALU_DEP_2)
	v_alignbit_b32 v14, v12, v8, v11
	v_cndmask_b32_e32 v5, v13, v6, vcc_lo
	s_delay_alu instid0(VALU_DEP_2) | instskip(NEXT) | instid1(VALU_DEP_2)
	v_dual_cndmask_b32 v6, v7, v10, s0 :: v_dual_cndmask_b32 v7, v14, v12, vcc_lo
	v_bfe_u32 v10, v5, 29, 1
	s_delay_alu instid0(VALU_DEP_1) | instskip(NEXT) | instid1(VALU_DEP_3)
	v_sub_nc_u32_e32 v12, 0, v10
	v_cndmask_b32_e64 v6, v9, v6, s1
	s_delay_alu instid0(VALU_DEP_4) | instskip(NEXT) | instid1(VALU_DEP_1)
	v_alignbit_b32 v9, v5, v7, 30
	v_xor_b32_e32 v9, v9, v12
	s_delay_alu instid0(VALU_DEP_3) | instskip(NEXT) | instid1(VALU_DEP_1)
	v_alignbit_b32 v11, v8, v6, v11
	v_cndmask_b32_e32 v8, v11, v8, vcc_lo
	s_delay_alu instid0(VALU_DEP_3) | instskip(NEXT) | instid1(VALU_DEP_2)
	v_clz_i32_u32_e32 v11, v9
	v_alignbit_b32 v7, v7, v8, 30
	s_delay_alu instid0(VALU_DEP_2) | instskip(SKIP_1) | instid1(VALU_DEP_2)
	v_min_u32_e32 v11, 32, v11
	v_alignbit_b32 v6, v8, v6, 30
	v_dual_sub_nc_u32 v8, 31, v11 :: v_dual_bitop2_b32 v7, v7, v12 bitop3:0x14
	s_delay_alu instid0(VALU_DEP_2) | instskip(NEXT) | instid1(VALU_DEP_2)
	v_dual_lshrrev_b32 v12, 29, v5 :: v_dual_bitop2_b32 v6, v6, v12 bitop3:0x14
	v_alignbit_b32 v9, v9, v7, v8
	s_delay_alu instid0(VALU_DEP_2) | instskip(NEXT) | instid1(VALU_DEP_3)
	v_alignbit_b32 v6, v7, v6, v8
	v_lshlrev_b32_e32 v7, 31, v12
	s_delay_alu instid0(VALU_DEP_2) | instskip(NEXT) | instid1(VALU_DEP_2)
	v_alignbit_b32 v8, v9, v6, 9
	v_dual_lshrrev_b32 v9, 9, v9 :: v_dual_bitop2_b32 v12, 0.5, v7 bitop3:0x54
	v_lshlrev_b32_e32 v13, 23, v11
	v_or_b32_e32 v7, 0x33000000, v7
	s_delay_alu instid0(VALU_DEP_4) | instskip(NEXT) | instid1(VALU_DEP_3)
	v_clz_i32_u32_e32 v14, v8
	v_sub_nc_u32_e32 v12, v12, v13
	s_delay_alu instid0(VALU_DEP_2) | instskip(NEXT) | instid1(VALU_DEP_1)
	v_min_u32_e32 v13, 32, v14
	v_add_lshl_u32 v11, v13, v11, 23
	s_delay_alu instid0(VALU_DEP_1) | instskip(SKIP_1) | instid1(VALU_DEP_2)
	v_dual_sub_nc_u32 v7, v7, v11 :: v_dual_bitop2_b32 v9, v9, v12 bitop3:0x54
	v_not_b32_e32 v12, v13
	v_mul_f32_e32 v14, 0x3fc90fda, v9
	s_delay_alu instid0(VALU_DEP_2) | instskip(NEXT) | instid1(VALU_DEP_2)
	v_alignbit_b32 v6, v8, v6, v12
	v_fma_f32 v8, 0x3fc90fda, v9, -v14
	s_delay_alu instid0(VALU_DEP_2) | instskip(NEXT) | instid1(VALU_DEP_2)
	v_lshrrev_b32_e32 v6, 9, v6
	v_fmamk_f32 v8, v9, 0x33a22168, v8
	s_delay_alu instid0(VALU_DEP_2) | instskip(NEXT) | instid1(VALU_DEP_1)
	v_or_b32_e32 v6, v7, v6
	v_fmac_f32_e32 v8, 0x3fc90fda, v6
	v_lshrrev_b32_e32 v6, 30, v5
	s_delay_alu instid0(VALU_DEP_1) | instskip(NEXT) | instid1(VALU_DEP_3)
	v_add_nc_u32_e32 v7, v10, v6
	v_add_f32_e32 v5, v14, v8
                                        ; implicit-def: $vgpr8
	s_and_not1_saveexec_b32 s0, s5
	s_cbranch_execnz .LBB107_54
	s_branch .LBB107_55
.LBB107_53:
	s_and_not1_saveexec_b32 s0, s5
.LBB107_54:
	v_rndne_f32_e32 v6, v8
	s_delay_alu instid0(VALU_DEP_1) | instskip(SKIP_1) | instid1(VALU_DEP_2)
	v_fma_f32 v5, 0xbfc90fda, v6, |v1|
	v_cvt_i32_f32_e32 v7, v6
	v_fmamk_f32 v5, v6, 0xb3a22168, v5
	s_delay_alu instid0(VALU_DEP_1)
	v_fmamk_f32 v5, v6, 0xa7c234c4, v5
.LBB107_55:
	s_or_b32 exec_lo, exec_lo, s0
	v_add_f32_e64 v6, 0xbf317218, |v2|
	s_mov_b32 s0, 0x3ab42872
	s_mov_b32 s1, 0x37d75334
	s_delay_alu instid0(VALU_DEP_1) | instskip(NEXT) | instid1(VALU_DEP_1)
	v_sub_f32_e64 v8, v6, |v2|
	v_dual_sub_f32 v9, v8, v6 :: v_dual_add_f32 v8, 0x3f317218, v8
	s_delay_alu instid0(VALU_DEP_1) | instskip(NEXT) | instid1(VALU_DEP_1)
	v_add_f32_e64 v9, |v2|, v9
	v_sub_f32_e32 v8, v9, v8
	s_delay_alu instid0(VALU_DEP_1) | instskip(NEXT) | instid1(VALU_DEP_1)
	v_add_f32_e32 v8, 0x3102e308, v8
	v_add_f32_e32 v9, v6, v8
	s_delay_alu instid0(VALU_DEP_1) | instskip(NEXT) | instid1(VALU_DEP_1)
	v_sub_f32_e32 v6, v6, v9
	v_add_f32_e32 v6, v8, v6
	v_mul_f32_e32 v10, 0x3fb8aa3b, v9
	s_delay_alu instid0(VALU_DEP_1) | instskip(NEXT) | instid1(VALU_DEP_1)
	v_rndne_f32_e32 v10, v10
	v_fmamk_f32 v8, v10, 0xbf317200, v9
	s_delay_alu instid0(VALU_DEP_1) | instskip(NEXT) | instid1(VALU_DEP_1)
	v_add_f32_e32 v11, v6, v8
	v_dual_mul_f32 v9, 0x35bfbc00, v10 :: v_dual_sub_f32 v8, v8, v11
	s_delay_alu instid0(VALU_DEP_1) | instskip(NEXT) | instid1(VALU_DEP_1)
	v_dual_sub_f32 v12, v11, v9 :: v_dual_add_f32 v6, v6, v8
	v_sub_f32_e32 v11, v11, v12
	s_delay_alu instid0(VALU_DEP_1) | instskip(NEXT) | instid1(VALU_DEP_1)
	v_sub_f32_e32 v8, v11, v9
	v_add_f32_e32 v6, v6, v8
	s_delay_alu instid0(VALU_DEP_1) | instskip(SKIP_1) | instid1(VALU_DEP_1)
	v_add_f32_e32 v9, v12, v6
	v_mul_f32_e32 v8, 0x2ea39ef3, v10
	v_dual_sub_f32 v12, v12, v9 :: v_dual_sub_f32 v11, v9, v8
	s_delay_alu instid0(VALU_DEP_1) | instskip(NEXT) | instid1(VALU_DEP_1)
	v_dual_add_f32 v6, v6, v12 :: v_dual_sub_f32 v9, v9, v11
	v_sub_f32_e32 v8, v9, v8
	s_delay_alu instid0(VALU_DEP_1) | instskip(NEXT) | instid1(VALU_DEP_1)
	v_add_f32_e32 v6, v6, v8
	v_add_f32_e32 v8, v11, v6
	s_delay_alu instid0(VALU_DEP_1) | instskip(NEXT) | instid1(VALU_DEP_1)
	v_sub_f32_e32 v9, v11, v8
	v_add_f32_e32 v6, v6, v9
	s_delay_alu instid0(VALU_DEP_1) | instskip(SKIP_2) | instid1(VALU_DEP_2)
	v_dual_add_f32 v13, v6, v6 :: v_dual_mul_f32 v11, v8, v8
	v_fmaak_f32 v9, s0, v8, 0x3c091de6
	s_mov_b32 s0, 0xb94c1982
	v_fma_f32 v12, v8, v8, -v11
	s_delay_alu instid0(VALU_DEP_2) | instskip(NEXT) | instid1(VALU_DEP_2)
	v_fmaak_f32 v9, v8, v9, 0x3d2aadcc
	v_fmac_f32_e32 v12, v8, v13
	s_delay_alu instid0(VALU_DEP_2) | instskip(NEXT) | instid1(VALU_DEP_2)
	v_fmaak_f32 v9, v8, v9, 0x3e2aaa47
	v_add_f32_e32 v13, v11, v12
	s_delay_alu instid0(VALU_DEP_2) | instskip(NEXT) | instid1(VALU_DEP_2)
	v_fmaak_f32 v9, v8, v9, 0x3efffffc
	v_sub_f32_e32 v11, v13, v11
	s_delay_alu instid0(VALU_DEP_1) | instskip(NEXT) | instid1(VALU_DEP_1)
	v_dual_sub_f32 v11, v12, v11 :: v_dual_mul_f32 v14, v9, v13
	v_fma_f32 v12, v13, v9, -v14
	s_delay_alu instid0(VALU_DEP_1) | instskip(NEXT) | instid1(VALU_DEP_1)
	v_fmac_f32_e32 v12, v11, v9
	v_add_f32_e32 v9, v14, v12
	s_delay_alu instid0(VALU_DEP_1) | instskip(NEXT) | instid1(VALU_DEP_1)
	v_dual_add_f32 v11, v8, v9 :: v_dual_sub_f32 v13, v9, v14
	v_dual_sub_f32 v8, v11, v8 :: v_dual_sub_f32 v12, v12, v13
	s_delay_alu instid0(VALU_DEP_1) | instskip(NEXT) | instid1(VALU_DEP_2)
	v_sub_f32_e32 v8, v9, v8
	v_add_f32_e32 v6, v6, v12
	s_delay_alu instid0(VALU_DEP_1) | instskip(NEXT) | instid1(VALU_DEP_1)
	v_add_f32_e32 v6, v6, v8
	v_add_f32_e32 v8, v11, v6
	s_delay_alu instid0(VALU_DEP_1) | instskip(NEXT) | instid1(VALU_DEP_1)
	v_dual_add_f32 v9, 1.0, v8 :: v_dual_sub_f32 v11, v8, v11
	v_dual_add_f32 v12, -1.0, v9 :: v_dual_sub_f32 v6, v6, v11
	s_delay_alu instid0(VALU_DEP_1) | instskip(NEXT) | instid1(VALU_DEP_1)
	v_sub_f32_e32 v8, v8, v12
	v_add_f32_e32 v6, v6, v8
	v_cvt_i32_f32_e32 v8, v10
	s_delay_alu instid0(VALU_DEP_2) | instskip(NEXT) | instid1(VALU_DEP_1)
	v_add_f32_e32 v10, v9, v6
	v_sub_f32_e32 v9, v10, v9
	s_delay_alu instid0(VALU_DEP_1) | instskip(NEXT) | instid1(VALU_DEP_4)
	v_sub_f32_e32 v6, v6, v9
	v_ldexp_f32 v11, v10, v8
	s_delay_alu instid0(VALU_DEP_2) | instskip(NEXT) | instid1(VALU_DEP_2)
	v_ldexp_f32 v6, v6, v8
	v_rcp_f32_e32 v12, v11
	v_nop
	s_delay_alu instid0(TRANS32_DEP_1) | instskip(NEXT) | instid1(VALU_DEP_1)
	v_mul_f32_e32 v9, v11, v12
	v_fma_f32 v8, v12, v11, -v9
	s_delay_alu instid0(VALU_DEP_1) | instskip(NEXT) | instid1(VALU_DEP_1)
	v_fmac_f32_e32 v8, v12, v6
	v_add_f32_e32 v10, v9, v8
	s_delay_alu instid0(VALU_DEP_1) | instskip(NEXT) | instid1(VALU_DEP_1)
	v_sub_f32_e32 v13, 1.0, v10
	v_sub_f32_e32 v14, 1.0, v13
	v_sub_f32_e32 v9, v10, v9
	s_delay_alu instid0(VALU_DEP_1) | instskip(NEXT) | instid1(VALU_DEP_1)
	v_dual_sub_f32 v8, v9, v8 :: v_dual_sub_f32 v9, v14, v10
	v_add_f32_e32 v8, v8, v9
	s_delay_alu instid0(VALU_DEP_1) | instskip(NEXT) | instid1(VALU_DEP_1)
	v_add_f32_e32 v9, v13, v8
	v_mul_f32_e32 v10, v12, v9
	s_delay_alu instid0(VALU_DEP_1) | instskip(NEXT) | instid1(VALU_DEP_1)
	v_mul_f32_e32 v14, v11, v10
	v_fma_f32 v15, v10, v11, -v14
	s_delay_alu instid0(VALU_DEP_1) | instskip(NEXT) | instid1(VALU_DEP_1)
	v_dual_fmac_f32 v15, v10, v6 :: v_dual_sub_f32 v13, v13, v9
	v_dual_add_f32 v16, v14, v15 :: v_dual_add_f32 v8, v8, v13
	s_delay_alu instid0(VALU_DEP_1) | instskip(NEXT) | instid1(VALU_DEP_1)
	v_dual_sub_f32 v17, v9, v16 :: v_dual_sub_f32 v13, v16, v14
	v_sub_f32_e32 v9, v9, v17
	s_delay_alu instid0(VALU_DEP_2) | instskip(SKIP_1) | instid1(VALU_DEP_3)
	v_sub_f32_e32 v13, v13, v15
	v_dual_lshlrev_b32 v7, 30, v7 :: v_dual_bitop2_b32 v15, 1, v7 bitop3:0x40
	v_sub_f32_e32 v9, v9, v16
	s_delay_alu instid0(VALU_DEP_2) | instskip(NEXT) | instid1(VALU_DEP_2)
	v_and_or_b32 v3, 0x80000000, v7, v3
	v_add_f32_e32 v8, v8, v9
	s_delay_alu instid0(VALU_DEP_1) | instskip(NEXT) | instid1(VALU_DEP_1)
	v_dual_add_f32 v9, v12, v10 :: v_dual_add_f32 v8, v13, v8
	v_sub_f32_e32 v13, v9, v12
	s_delay_alu instid0(VALU_DEP_1) | instskip(SKIP_1) | instid1(VALU_DEP_1)
	v_sub_f32_e32 v10, v10, v13
	v_mul_f32_e32 v13, v5, v5
	v_dual_add_f32 v8, v17, v8 :: v_dual_fmaak_f32 v19, s0, v13, 0x3c0881c4
	s_delay_alu instid0(VALU_DEP_1) | instskip(NEXT) | instid1(VALU_DEP_2)
	v_mul_f32_e32 v8, v12, v8
	v_dual_mul_f32 v12, v0, v0 :: v_dual_fmaak_f32 v19, v13, v19, 0xbe2aaa9d
	s_delay_alu instid0(VALU_DEP_1) | instskip(SKIP_1) | instid1(VALU_DEP_4)
	v_fmaak_f32 v16, s0, v12, 0x3c0881c4
	v_dual_fmaak_f32 v17, s1, v12, 0xbab64f3b :: v_dual_fmaak_f32 v20, s1, v13, 0xbab64f3b
	v_add_f32_e32 v8, v10, v8
	v_dual_lshlrev_b32 v4, 30, v4 :: v_dual_bitop2_b32 v10, 1, v4 bitop3:0x40
	s_delay_alu instid0(VALU_DEP_4) | instskip(NEXT) | instid1(VALU_DEP_3)
	v_fmaak_f32 v7, v12, v16, 0xbe2aaa9d
	v_dual_fmaak_f32 v17, v12, v17, 0x3d2aabf7 :: v_dual_add_f32 v14, v9, v8
	s_delay_alu instid0(VALU_DEP_3) | instskip(SKIP_1) | instid1(VALU_DEP_4)
	v_cmp_eq_u32_e32 vcc_lo, 0, v10
	v_cmp_lt_f32_e64 s0, 0x42b2d4fc, |v2|
	v_dual_mul_f32 v7, v12, v7 :: v_dual_fmaak_f32 v20, v13, v20, 0x3d2aabf7
	s_delay_alu instid0(VALU_DEP_4) | instskip(SKIP_4) | instid1(VALU_DEP_4)
	v_sub_f32_e32 v9, v14, v9
	v_ldexp_f32 v18, v14, -2
	v_mul_f32_e32 v19, v13, v19
	v_fmaak_f32 v17, v12, v17, 0xbf000004
	v_fmac_f32_e32 v0, v0, v7
	v_dual_sub_f32 v8, v8, v9 :: v_dual_sub_f32 v16, v11, v18
	v_cmp_gt_f32_e64 s1, 0x39800000, |v2|
	s_delay_alu instid0(VALU_DEP_2) | instskip(NEXT) | instid1(VALU_DEP_3)
	v_ldexp_f32 v8, v8, -2
	v_sub_f32_e32 v14, v11, v16
	s_delay_alu instid0(VALU_DEP_1) | instskip(SKIP_2) | instid1(VALU_DEP_3)
	v_dual_sub_f32 v9, v14, v18 :: v_dual_add_f32 v7, v11, v18
	v_fmaak_f32 v14, v13, v20, 0xbf000004
	v_fma_f32 v12, v12, v17, 1.0
	v_dual_fmac_f32 v5, v5, v19 :: v_dual_add_f32 v9, v6, v9
	s_delay_alu instid0(VALU_DEP_4) | instskip(NEXT) | instid1(VALU_DEP_4)
	v_sub_f32_e32 v11, v7, v11
	v_fma_f32 v13, v13, v14, 1.0
	s_delay_alu instid0(VALU_DEP_4) | instskip(SKIP_1) | instid1(VALU_DEP_4)
	v_cndmask_b32_e64 v0, -v0, v12, vcc_lo
	v_cmp_eq_u32_e32 vcc_lo, 0, v15
	v_dual_sub_f32 v9, v9, v8 :: v_dual_sub_f32 v10, v18, v11
	v_add_f32_e32 v6, v6, v8
	s_delay_alu instid0(VALU_DEP_4) | instskip(SKIP_1) | instid1(VALU_DEP_4)
	v_bitop3_b32 v0, v4, v0, 0x80000000 bitop3:0x6c
	v_cndmask_b32_e32 v5, v13, v5, vcc_lo
	v_add_f32_e32 v8, v16, v9
	v_cmp_class_f32_e64 vcc_lo, v1, 0x1f8
	s_delay_alu instid0(VALU_DEP_3) | instskip(NEXT) | instid1(VALU_DEP_3)
	v_xor3_b32 v1, v3, v5, v1
	v_cndmask_b32_e64 v4, v8, 0x7f800000, s0
	s_delay_alu instid0(VALU_DEP_2) | instskip(NEXT) | instid1(VALU_DEP_2)
	v_dual_add_f32 v6, v6, v10 :: v_dual_cndmask_b32 v1, 0x7fc00000, v1
	v_cndmask_b32_e64 v3, v4, |v2|, s1
	v_cndmask_b32_e32 v0, 0x7fc00000, v0, vcc_lo
	s_delay_alu instid0(VALU_DEP_2) | instskip(NEXT) | instid1(VALU_DEP_1)
	v_bfi_b32 v2, 0x7fffffff, v3, v2
	v_dual_add_f32 v4, v7, v6 :: v_dual_mul_f32 v0, v2, v0
	s_delay_alu instid0(VALU_DEP_1) | instskip(NEXT) | instid1(VALU_DEP_1)
	v_cndmask_b32_e64 v3, v4, 0x7f800000, s0
	v_mul_f32_e32 v1, v3, v1
.LBB107_56:
	s_or_b32 exec_lo, exec_lo, s4
                                        ; implicit-def: $vgpr2
                                        ; implicit-def: $vgpr4
.LBB107_57:
	s_and_not1_saveexec_b32 s0, s3
	s_cbranch_execz .LBB107_59
; %bb.58:
	v_add_f32_e64 v0, 0xbf317218, |v2|
	s_mov_b32 s1, 0x3ab42872
	v_cmp_nlt_f32_e64 vcc_lo, 0x42b2d4fc, |v2|
	s_delay_alu instid0(VALU_DEP_2) | instskip(NEXT) | instid1(VALU_DEP_1)
	v_sub_f32_e64 v7, v0, |v2|
	v_dual_mov_b32 v5, 0x3f317218 :: v_dual_sub_f32 v6, v7, v0
	s_delay_alu instid0(VALU_DEP_1) | instskip(NEXT) | instid1(VALU_DEP_1)
	v_pk_add_f32 v[4:5], v[4:5], v[6:7]
	v_sub_f32_e32 v3, v4, v5
	s_delay_alu instid0(VALU_DEP_1) | instskip(NEXT) | instid1(VALU_DEP_1)
	v_add_f32_e32 v3, 0x3102e308, v3
	v_add_f32_e32 v4, v0, v3
	s_delay_alu instid0(VALU_DEP_1) | instskip(NEXT) | instid1(VALU_DEP_1)
	v_sub_f32_e32 v0, v0, v4
	v_add_f32_e32 v0, v3, v0
	v_mul_f32_e32 v5, 0x3fb8aa3b, v4
	s_delay_alu instid0(VALU_DEP_1) | instskip(NEXT) | instid1(VALU_DEP_1)
	v_rndne_f32_e32 v12, v5
	v_fmamk_f32 v3, v12, 0xbf317200, v4
	s_delay_alu instid0(VALU_DEP_1) | instskip(NEXT) | instid1(VALU_DEP_1)
	v_dual_mul_f32 v7, 0x2ea39ef3, v12 :: v_dual_add_f32 v6, v0, v3
	v_sub_f32_e32 v3, v3, v6
	s_delay_alu instid0(VALU_DEP_1) | instskip(NEXT) | instid1(VALU_DEP_1)
	v_dual_mul_f32 v5, 0x35bfbc00, v12 :: v_dual_add_f32 v0, v0, v3
	v_sub_f32_e32 v4, v6, v5
	s_delay_alu instid0(VALU_DEP_1) | instskip(NEXT) | instid1(VALU_DEP_1)
	v_sub_f32_e32 v6, v6, v4
	v_sub_f32_e32 v3, v6, v5
	s_delay_alu instid0(VALU_DEP_1) | instskip(NEXT) | instid1(VALU_DEP_1)
	v_add_f32_e32 v0, v0, v3
	v_add_f32_e32 v5, v4, v0
	s_delay_alu instid0(VALU_DEP_1) | instskip(NEXT) | instid1(VALU_DEP_1)
	v_mov_b32_e32 v6, v5
	v_pk_add_f32 v[8:9], v[4:5], v[6:7] neg_lo:[0,1] neg_hi:[0,1]
	s_delay_alu instid0(VALU_DEP_1) | instskip(NEXT) | instid1(VALU_DEP_1)
	v_dual_sub_f32 v3, v5, v9 :: v_dual_add_f32 v0, v0, v8
	v_sub_f32_e32 v3, v3, v7
	s_delay_alu instid0(VALU_DEP_1) | instskip(NEXT) | instid1(VALU_DEP_1)
	v_add_f32_e32 v0, v0, v3
	v_add_f32_e32 v3, v9, v0
	s_delay_alu instid0(VALU_DEP_1) | instskip(NEXT) | instid1(VALU_DEP_1)
	v_sub_f32_e32 v4, v9, v3
	v_add_f32_e32 v0, v0, v4
	s_delay_alu instid0(VALU_DEP_1) | instskip(SKIP_2) | instid1(SALU_CYCLE_1)
	v_dual_add_f32 v7, v0, v0 :: v_dual_mul_f32 v5, v3, v3
	v_fmaak_f32 v4, s1, v3, 0x3c091de6
	s_mov_b32 s1, -1.0
	v_mov_b64_e32 v[10:11], s[0:1]
	s_delay_alu instid0(VALU_DEP_3) | instskip(SKIP_1) | instid1(VALU_DEP_2)
	v_fma_f32 v6, v3, v3, -v5
	v_cmp_gt_f32_e64 s1, 0x39800000, |v2|
	v_fmac_f32_e32 v6, v3, v7
	s_delay_alu instid0(VALU_DEP_1) | instskip(NEXT) | instid1(VALU_DEP_1)
	v_dual_fmaak_f32 v4, v3, v4, 0x3d2aadcc :: v_dual_add_f32 v7, v5, v6
	v_sub_f32_e32 v5, v7, v5
	s_delay_alu instid0(VALU_DEP_2) | instskip(NEXT) | instid1(VALU_DEP_1)
	v_fmaak_f32 v4, v3, v4, 0x3e2aaa47
	v_fmaak_f32 v4, v3, v4, 0x3efffffc
	s_delay_alu instid0(VALU_DEP_1) | instskip(NEXT) | instid1(VALU_DEP_1)
	v_dual_mul_f32 v8, v4, v7 :: v_dual_sub_f32 v5, v6, v5
	v_fma_f32 v6, v7, v4, -v8
	s_delay_alu instid0(VALU_DEP_1) | instskip(NEXT) | instid1(VALU_DEP_1)
	v_fmac_f32_e32 v6, v5, v4
	v_add_f32_e32 v5, v8, v6
	s_delay_alu instid0(VALU_DEP_1) | instskip(NEXT) | instid1(VALU_DEP_1)
	v_add_f32_e32 v4, v3, v5
	v_dual_sub_f32 v3, v4, v3 :: v_dual_sub_f32 v7, v5, v8
	s_delay_alu instid0(VALU_DEP_1) | instskip(NEXT) | instid1(VALU_DEP_2)
	v_sub_f32_e32 v3, v5, v3
	v_dual_sub_f32 v6, v6, v7 :: v_dual_mov_b32 v5, -1.0
	s_delay_alu instid0(VALU_DEP_1) | instskip(NEXT) | instid1(VALU_DEP_1)
	v_add_f32_e32 v0, v0, v6
	v_add_f32_e32 v6, v0, v3
	v_cvt_i32_f32_e32 v3, v12
	s_delay_alu instid0(VALU_DEP_2) | instskip(NEXT) | instid1(VALU_DEP_1)
	v_add_f32_e32 v8, v4, v6
	v_dual_add_f32 v9, 1.0, v8 :: v_dual_mov_b32 v7, v8
	s_delay_alu instid0(VALU_DEP_1) | instskip(SKIP_1) | instid1(VALU_DEP_2)
	v_pk_add_f32 v[10:11], v[8:9], v[10:11]
	v_pk_add_f32 v[4:5], v[8:9], v[4:5] neg_lo:[0,1] neg_hi:[0,1]
	v_mov_b32_e32 v5, v11
	s_delay_alu instid0(VALU_DEP_1) | instskip(NEXT) | instid1(VALU_DEP_1)
	v_pk_add_f32 v[4:5], v[6:7], v[4:5] neg_lo:[0,1] neg_hi:[0,1]
	v_add_f32_e32 v0, v4, v5
	s_delay_alu instid0(VALU_DEP_1) | instskip(NEXT) | instid1(VALU_DEP_1)
	v_add_f32_e32 v4, v9, v0
	v_ldexp_f32 v10, v4, v3
	s_delay_alu instid0(VALU_DEP_1)
	v_rcp_f32_e32 v11, v10
	v_dual_sub_f32 v4, v4, v9 :: v_dual_mov_b32 v9, 1.0
	s_delay_alu instid0(TRANS32_DEP_1) | instid1(VALU_DEP_1)
	v_dual_sub_f32 v0, v0, v4 :: v_dual_mul_f32 v4, v10, v11
	s_delay_alu instid0(VALU_DEP_1) | instskip(NEXT) | instid1(VALU_DEP_2)
	v_ldexp_f32 v0, v0, v3
	v_fma_f32 v6, v11, v10, -v4
	s_delay_alu instid0(VALU_DEP_1) | instskip(NEXT) | instid1(VALU_DEP_1)
	v_fmac_f32_e32 v6, v11, v0
	v_add_f32_e32 v8, v4, v6
	s_delay_alu instid0(VALU_DEP_1) | instskip(NEXT) | instid1(VALU_DEP_1)
	v_dual_sub_f32 v5, 1.0, v8 :: v_dual_mov_b32 v7, v8
	v_pk_add_f32 v[8:9], v[8:9], v[4:5] neg_lo:[0,1] neg_hi:[0,1]
	s_delay_alu instid0(VALU_DEP_1) | instskip(NEXT) | instid1(VALU_DEP_1)
	v_pk_add_f32 v[6:7], v[8:9], v[6:7] neg_lo:[0,1] neg_hi:[0,1]
	v_add_f32_e32 v3, v6, v7
	s_delay_alu instid0(VALU_DEP_1) | instskip(NEXT) | instid1(VALU_DEP_1)
	v_add_f32_e32 v7, v5, v3
	v_mul_f32_e32 v12, v11, v7
	s_delay_alu instid0(VALU_DEP_1) | instskip(NEXT) | instid1(VALU_DEP_1)
	v_dual_mul_f32 v8, v10, v12 :: v_dual_sub_f32 v13, v5, v7
	v_dual_fma_f32 v4, v12, v10, -v8 :: v_dual_add_f32 v3, v3, v13
	s_delay_alu instid0(VALU_DEP_1) | instskip(NEXT) | instid1(VALU_DEP_1)
	v_fmac_f32_e32 v4, v12, v0
	v_add_f32_e32 v6, v8, v4
	s_delay_alu instid0(VALU_DEP_1) | instskip(NEXT) | instid1(VALU_DEP_1)
	v_dual_sub_f32 v9, v7, v6 :: v_dual_mov_b32 v5, v6
	v_pk_add_f32 v[6:7], v[6:7], v[8:9] neg_lo:[0,1] neg_hi:[0,1]
	s_delay_alu instid0(VALU_DEP_1) | instskip(NEXT) | instid1(VALU_DEP_1)
	v_pk_add_f32 v[4:5], v[6:7], v[4:5] neg_lo:[0,1] neg_hi:[0,1]
	v_add_f32_e32 v3, v3, v5
	s_delay_alu instid0(VALU_DEP_1) | instskip(NEXT) | instid1(VALU_DEP_1)
	v_dual_add_f32 v3, v4, v3 :: v_dual_add_f32 v4, v11, v12
	v_sub_f32_e32 v5, v4, v11
	s_delay_alu instid0(VALU_DEP_1) | instskip(NEXT) | instid1(VALU_DEP_1)
	v_dual_add_f32 v3, v9, v3 :: v_dual_sub_f32 v5, v12, v5
	v_mul_f32_e32 v3, v11, v3
	s_delay_alu instid0(VALU_DEP_1) | instskip(NEXT) | instid1(VALU_DEP_1)
	v_add_f32_e32 v3, v5, v3
	v_add_f32_e32 v5, v4, v3
	s_delay_alu instid0(VALU_DEP_1) | instskip(NEXT) | instid1(VALU_DEP_1)
	v_sub_f32_e32 v4, v5, v4
	v_sub_f32_e32 v3, v3, v4
	v_ldexp_f32 v6, v5, -2
	s_delay_alu instid0(VALU_DEP_2) | instskip(NEXT) | instid1(VALU_DEP_2)
	v_ldexp_f32 v3, v3, -2
	v_sub_f32_e32 v7, v10, v6
	s_delay_alu instid0(VALU_DEP_1) | instskip(NEXT) | instid1(VALU_DEP_1)
	v_sub_f32_e32 v5, v10, v7
	v_sub_f32_e32 v4, v5, v6
	s_delay_alu instid0(VALU_DEP_1) | instskip(NEXT) | instid1(VALU_DEP_1)
	v_add_f32_e32 v0, v0, v4
	v_sub_f32_e32 v0, v0, v3
	s_delay_alu instid0(VALU_DEP_1) | instskip(NEXT) | instid1(VALU_DEP_1)
	v_add_f32_e32 v0, v7, v0
	v_cndmask_b32_e32 v0, 0x7f800000, v0, vcc_lo
	s_delay_alu instid0(VALU_DEP_1) | instskip(NEXT) | instid1(VALU_DEP_1)
	v_cndmask_b32_e64 v0, v0, |v2|, s1
	v_bfi_b32 v0, 0x7fffffff, v0, v2
.LBB107_59:
	s_or_b32 exec_lo, exec_lo, s0
	s_delay_alu instid0(SALU_CYCLE_1)
	s_or_b32 exec_lo, exec_lo, s2
	s_set_pc_i64 s[30:31]
.LBB107_60:
	s_and_not1_saveexec_b32 s0, s9
.LBB107_61:
	v_mul_f32_e64 v0, 0x3f22f983, |v1|
	s_delay_alu instid0(VALU_DEP_1) | instskip(NEXT) | instid1(VALU_DEP_1)
	v_rndne_f32_e32 v4, v0
	v_fma_f32 v0, 0xbfc90fda, v4, |v1|
	s_delay_alu instid0(VALU_DEP_1) | instskip(NEXT) | instid1(VALU_DEP_1)
	v_fmamk_f32 v0, v4, 0xb3a22168, v0
	v_fmamk_f32 v0, v4, 0xa7c234c4, v0
	v_cvt_i32_f32_e32 v4, v4
; %bb.62:
	s_or_b32 exec_lo, exec_lo, s0
                                        ; implicit-def: $vgpr6
                                        ; implicit-def: $vgpr5
	s_and_saveexec_b32 s0, s8
	s_delay_alu instid0(SALU_CYCLE_1)
	s_xor_b32 s8, exec_lo, s0
	s_cbranch_execz .LBB107_64
; %bb.63:
	s_mov_b32 s0, 0x7fffff
	v_mov_b32_e32 v7, 0
	v_and_or_b32 v6, v3, s0, 0x800000
	s_mov_b64 s[0:1], 0xfe5163ab
	v_lshrrev_b32_e32 v5, 23, v3
	s_delay_alu instid0(VALU_DEP_2) | instskip(NEXT) | instid1(VALU_DEP_1)
	v_mul_u64_e32 v[8:9], s[0:1], v[6:7]
	v_dual_mov_b32 v10, v9 :: v_dual_mov_b32 v11, v7
	v_dual_mov_b32 v13, v7 :: v_dual_mov_b32 v15, v7
	;; [unrolled: 1-line block ×3, first 2 shown]
	s_delay_alu instid0(VALU_DEP_3) | instskip(NEXT) | instid1(VALU_DEP_1)
	v_mad_nc_u64_u32 v[10:11], 0x3c439041, v6, v[10:11]
	v_mov_b32_e32 v12, v11
	s_delay_alu instid0(VALU_DEP_1) | instskip(NEXT) | instid1(VALU_DEP_1)
	v_mad_nc_u64_u32 v[12:13], 0xdb629599, v6, v[12:13]
	v_mov_b32_e32 v14, v13
	s_delay_alu instid0(VALU_DEP_1) | instskip(NEXT) | instid1(VALU_DEP_1)
	;; [unrolled: 3-line block ×3, first 2 shown]
	v_mad_nc_u64_u32 v[16:17], 0xfc2757d1, v6, v[16:17]
	v_dual_mov_b32 v19, v7 :: v_dual_mov_b32 v18, v17
	s_delay_alu instid0(VALU_DEP_1) | instskip(NEXT) | instid1(VALU_DEP_1)
	v_mad_nc_u64_u32 v[18:19], 0x4e441529, v6, v[18:19]
	v_dual_mov_b32 v20, v19 :: v_dual_add_nc_u32 v5, 0xffffff88, v5
	s_delay_alu instid0(VALU_DEP_1) | instskip(NEXT) | instid1(VALU_DEP_2)
	v_cmp_lt_u32_e32 vcc_lo, 63, v5
	v_mad_nc_u64_u32 v[6:7], 0xa2f9836e, v6, v[20:21]
	v_cndmask_b32_e64 v9, 0, 0xffffffc0, vcc_lo
	v_dual_cndmask_b32 v11, v18, v14 :: v_dual_cndmask_b32 v8, v12, v8
	s_delay_alu instid0(VALU_DEP_2) | instskip(NEXT) | instid1(VALU_DEP_1)
	v_add_nc_u32_e32 v5, v9, v5
	v_cmp_lt_u32_e64 s0, 31, v5
	v_dual_cndmask_b32 v6, v6, v16 :: v_dual_cndmask_b32 v7, v7, v18
	s_delay_alu instid0(VALU_DEP_2) | instskip(NEXT) | instid1(VALU_DEP_1)
	v_cndmask_b32_e64 v9, 0, 0xffffffe0, s0
	v_add_nc_u32_e32 v5, v9, v5
	s_delay_alu instid0(VALU_DEP_1) | instskip(NEXT) | instid1(VALU_DEP_1)
	v_cmp_lt_u32_e64 s1, 31, v5
	v_cndmask_b32_e64 v9, 0, 0xffffffe0, s1
	s_delay_alu instid0(VALU_DEP_1) | instskip(SKIP_2) | instid1(VALU_DEP_3)
	v_dual_cndmask_b32 v13, v16, v12, vcc_lo :: v_dual_add_nc_u32 v5, v9, v5
	v_cndmask_b32_e32 v9, v14, v10, vcc_lo
	v_dual_cndmask_b32 v10, v6, v11, s0 :: v_dual_cndmask_b32 v6, v7, v6, s0
	v_cndmask_b32_e64 v7, v11, v13, s0
	s_delay_alu instid0(VALU_DEP_4) | instskip(NEXT) | instid1(VALU_DEP_4)
	v_sub_nc_u32_e32 v11, 32, v5
	v_cndmask_b32_e64 v13, v13, v9, s0
	v_cmp_eq_u32_e32 vcc_lo, 0, v5
	v_cndmask_b32_e64 v6, v6, v10, s1
	s_delay_alu instid0(VALU_DEP_3) | instskip(NEXT) | instid1(VALU_DEP_1)
	v_dual_cndmask_b32 v10, v10, v7, s1 :: v_dual_cndmask_b32 v7, v7, v13, s1
	v_alignbit_b32 v14, v6, v10, v11
	s_delay_alu instid0(VALU_DEP_2) | instskip(NEXT) | instid1(VALU_DEP_2)
	v_alignbit_b32 v12, v10, v7, v11
	v_dual_cndmask_b32 v5, v14, v6, vcc_lo :: v_dual_cndmask_b32 v6, v9, v8, s0
	s_delay_alu instid0(VALU_DEP_1) | instskip(NEXT) | instid1(VALU_DEP_1)
	v_bfe_u32 v9, v5, 29, 1
	v_dual_cndmask_b32 v8, v12, v10, vcc_lo :: v_dual_sub_nc_u32 v12, 0, v9
	s_delay_alu instid0(VALU_DEP_1) | instskip(NEXT) | instid1(VALU_DEP_1)
	v_alignbit_b32 v10, v5, v8, 30
	v_dual_cndmask_b32 v6, v13, v6, s1 :: v_dual_bitop2_b32 v10, v10, v12 bitop3:0x14
	s_delay_alu instid0(VALU_DEP_1) | instskip(NEXT) | instid1(VALU_DEP_1)
	v_alignbit_b32 v11, v7, v6, v11
	v_cndmask_b32_e32 v7, v11, v7, vcc_lo
	s_delay_alu instid0(VALU_DEP_3) | instskip(NEXT) | instid1(VALU_DEP_2)
	v_clz_i32_u32_e32 v11, v10
	v_alignbit_b32 v6, v7, v6, 30
	s_delay_alu instid0(VALU_DEP_2) | instskip(NEXT) | instid1(VALU_DEP_2)
	v_min_u32_e32 v11, 32, v11
	v_xor_b32_e32 v6, v6, v12
	v_alignbit_b32 v8, v8, v7, 30
	s_delay_alu instid0(VALU_DEP_1) | instskip(SKIP_1) | instid1(VALU_DEP_1)
	v_dual_lshlrev_b32 v13, 23, v11 :: v_dual_bitop2_b32 v7, v8, v12 bitop3:0x14
	v_dual_sub_nc_u32 v8, 31, v11 :: v_dual_lshrrev_b32 v12, 29, v5
	v_alignbit_b32 v10, v10, v7, v8
	v_alignbit_b32 v6, v7, v6, v8
	s_delay_alu instid0(VALU_DEP_3) | instskip(NEXT) | instid1(VALU_DEP_2)
	v_lshlrev_b32_e32 v7, 31, v12
	v_alignbit_b32 v8, v10, v6, 9
	s_delay_alu instid0(VALU_DEP_2) | instskip(NEXT) | instid1(VALU_DEP_2)
	v_dual_lshrrev_b32 v10, 9, v10 :: v_dual_bitop2_b32 v12, 0.5, v7 bitop3:0x54
	v_clz_i32_u32_e32 v14, v8
	s_delay_alu instid0(VALU_DEP_2) | instskip(SKIP_1) | instid1(VALU_DEP_3)
	v_sub_nc_u32_e32 v12, v12, v13
	v_or_b32_e32 v7, 0x33000000, v7
	v_min_u32_e32 v13, 32, v14
	s_delay_alu instid0(VALU_DEP_1) | instskip(NEXT) | instid1(VALU_DEP_4)
	v_add_lshl_u32 v11, v13, v11, 23
	v_or_b32_e32 v10, v10, v12
	v_not_b32_e32 v12, v13
	s_delay_alu instid0(VALU_DEP_2) | instskip(NEXT) | instid1(VALU_DEP_2)
	v_dual_mul_f32 v14, 0x3fc90fda, v10 :: v_dual_sub_nc_u32 v7, v7, v11
	v_alignbit_b32 v6, v8, v6, v12
	s_delay_alu instid0(VALU_DEP_2) | instskip(NEXT) | instid1(VALU_DEP_2)
	v_fma_f32 v8, 0x3fc90fda, v10, -v14
	v_lshrrev_b32_e32 v6, 9, v6
	s_delay_alu instid0(VALU_DEP_2) | instskip(NEXT) | instid1(VALU_DEP_2)
	v_fmamk_f32 v8, v10, 0x33a22168, v8
	v_or_b32_e32 v6, v7, v6
	s_delay_alu instid0(VALU_DEP_1) | instskip(NEXT) | instid1(VALU_DEP_1)
	v_fmac_f32_e32 v8, 0x3fc90fda, v6
	v_dual_add_f32 v5, v14, v8 :: v_dual_lshrrev_b32 v6, 30, v5
	s_delay_alu instid0(VALU_DEP_1)
	v_add_nc_u32_e32 v6, v9, v6
	s_and_not1_saveexec_b32 s0, s8
	s_cbranch_execnz .LBB107_65
	s_branch .LBB107_66
.LBB107_64:
	s_and_not1_saveexec_b32 s0, s8
.LBB107_65:
	v_mul_f32_e64 v5, 0x3f22f983, |v1|
	s_delay_alu instid0(VALU_DEP_1) | instskip(NEXT) | instid1(VALU_DEP_1)
	v_rndne_f32_e32 v6, v5
	v_fma_f32 v5, 0xbfc90fda, v6, |v1|
	s_delay_alu instid0(VALU_DEP_1) | instskip(NEXT) | instid1(VALU_DEP_1)
	v_fmamk_f32 v5, v6, 0xb3a22168, v5
	v_fmamk_f32 v5, v6, 0xa7c234c4, v5
	v_cvt_i32_f32_e32 v6, v6
.LBB107_66:
	s_or_b32 exec_lo, exec_lo, s0
	s_delay_alu instid0(VALU_DEP_2) | instskip(SKIP_3) | instid1(VALU_DEP_2)
	v_dual_mul_f32 v7, v0, v0 :: v_dual_mul_f32 v8, v5, v5
	s_mov_b32 s0, 0xb94c1982
	s_mov_b32 s1, 0x37d75334
	v_dual_lshlrev_b32 v4, 30, v4 :: v_dual_bitop2_b32 v11, 1, v4 bitop3:0x40
	v_dual_fmaak_f32 v9, s0, v7, 0x3c0881c4 :: v_dual_fmaak_f32 v12, s0, v8, 0x3c0881c4
	v_dual_fmaak_f32 v10, s1, v7, 0xbab64f3b :: v_dual_fmaak_f32 v13, s1, v8, 0xbab64f3b
	s_delay_alu instid0(VALU_DEP_3) | instskip(NEXT) | instid1(VALU_DEP_3)
	v_cmp_eq_u32_e32 vcc_lo, 0, v11
	v_dual_fmaak_f32 v9, v7, v9, 0xbe2aaa9d :: v_dual_fmaak_f32 v12, v8, v12, 0xbe2aaa9d
	s_delay_alu instid0(VALU_DEP_3) | instskip(NEXT) | instid1(VALU_DEP_2)
	v_dual_fmaak_f32 v10, v7, v10, 0x3d2aabf7 :: v_dual_fmaak_f32 v13, v8, v13, 0x3d2aabf7
	v_dual_mul_f32 v9, v7, v9 :: v_dual_bitop2_b32 v14, 1, v6 bitop3:0x40
	s_delay_alu instid0(VALU_DEP_3) | instskip(NEXT) | instid1(VALU_DEP_3)
	v_mul_f32_e32 v12, v8, v12
	v_dual_fmaak_f32 v10, v7, v10, 0xbf000004 :: v_dual_fmaak_f32 v13, v8, v13, 0xbf000004
	s_delay_alu instid0(VALU_DEP_3) | instskip(NEXT) | instid1(VALU_DEP_3)
	v_dual_lshlrev_b32 v6, 30, v6 :: v_dual_fmac_f32 v0, v0, v9
	v_fmac_f32_e32 v5, v5, v12
	s_delay_alu instid0(VALU_DEP_3) | instskip(NEXT) | instid1(VALU_DEP_4)
	v_fma_f32 v7, v7, v10, 1.0
	v_fma_f32 v8, v8, v13, 1.0
	s_delay_alu instid0(VALU_DEP_4) | instskip(NEXT) | instid1(VALU_DEP_3)
	v_and_or_b32 v3, 0x80000000, v6, v3
	v_cndmask_b32_e64 v0, -v0, v7, vcc_lo
	v_cmp_eq_u32_e32 vcc_lo, 0, v14
	s_delay_alu instid0(VALU_DEP_2) | instskip(SKIP_2) | instid1(VALU_DEP_3)
	v_bitop3_b32 v0, v4, v0, 0x80000000 bitop3:0x6c
	v_cndmask_b32_e32 v5, v8, v5, vcc_lo
	v_cmp_class_f32_e64 vcc_lo, v1, 0x1f8
	v_cndmask_b32_e32 v0, 0x7fc00000, v0, vcc_lo
	s_delay_alu instid0(VALU_DEP_1) | instskip(NEXT) | instid1(VALU_DEP_4)
	v_mul_f32_e32 v0, v2, v0
	v_xor3_b32 v3, v3, v5, v1
                                        ; implicit-def: $vgpr2
	s_delay_alu instid0(VALU_DEP_1) | instskip(NEXT) | instid1(VALU_DEP_1)
	v_mul_f32_e32 v1, 0x7f800000, v3
	v_cndmask_b32_e32 v1, 0x7fc00000, v1, vcc_lo
.LBB107_67:
	s_and_not1_saveexec_b32 s0, s7
; %bb.68:
	s_delay_alu instid0(VALU_DEP_1) | instskip(NEXT) | instid1(VALU_DEP_1)
	v_sub_f32_e32 v3, v1, v1
	v_pk_mul_f32 v[0:1], v[2:3], v[2:3] op_sel_hi:[0,1]
; %bb.69:
	s_or_b32 exec_lo, exec_lo, s0
.LBB107_70:
	s_delay_alu instid0(SALU_CYCLE_1)
	s_or_b32 exec_lo, exec_lo, s2
                                        ; implicit-def: $vgpr2
.LBB107_71:
	s_and_not1_saveexec_b32 s0, s4
; %bb.72:
	s_delay_alu instid0(VALU_DEP_1) | instskip(NEXT) | instid1(VALU_DEP_1)
	v_sub_f32_e32 v0, v1, v1
	v_mul_f32_e32 v1, v2, v0
; %bb.73:
	s_or_b32 exec_lo, exec_lo, s0
                                        ; implicit-def: $vgpr2
.LBB107_74:
	s_and_not1_saveexec_b32 s0, s3
; %bb.75:
	v_and_b32_e32 v0, 0x7fffff, v2
	s_delay_alu instid0(VALU_DEP_2) | instskip(NEXT) | instid1(VALU_DEP_2)
	v_bfi_b32 v3, 0x7fffffff, 0, v1
	v_cmp_eq_u32_e32 vcc_lo, 0, v0
	s_delay_alu instid0(VALU_DEP_2)
	v_dual_mov_b32 v0, v2 :: v_dual_cndmask_b32 v1, v3, v1
; %bb.76:
	s_or_b32 exec_lo, exec_lo, s0
                                        ; implicit-def: $vgpr2
.LBB107_77:
	s_and_not1_saveexec_b32 s0, s6
; %bb.78:
	s_delay_alu instid0(VALU_DEP_1) | instskip(NEXT) | instid1(VALU_DEP_1)
	v_sub_f32_e32 v1, v1, v1
	v_mul_f32_e32 v0, v2, v1
	s_delay_alu instid0(VALU_DEP_1)
	v_bfi_b32 v0, 0x7fffffff, 0, v0
; %bb.79:
	s_or_b32 exec_lo, exec_lo, s0
                                        ; implicit-def: $vgpr2
                                        ; implicit-def: $vgpr4
                                        ; implicit-def: $vgpr3
	s_and_not1_saveexec_b32 s2, s5
	s_cbranch_execnz .LBB107_11
.LBB107_80:
	s_or_b32 exec_lo, exec_lo, s2
	s_set_pc_i64 s[30:31]
.Lfunc_end107:
	.size	_ZN6thrust23THRUST_200600_302600_NS6detail7complex6csinhfERKNS0_7complexIfEE, .Lfunc_end107-_ZN6thrust23THRUST_200600_302600_NS6detail7complex6csinhfERKNS0_7complexIfEE
                                        ; -- End function
	.set .L_ZN6thrust23THRUST_200600_302600_NS6detail7complex6csinhfERKNS0_7complexIfEE.num_vgpr, 22
	.set .L_ZN6thrust23THRUST_200600_302600_NS6detail7complex6csinhfERKNS0_7complexIfEE.num_agpr, 0
	.set .L_ZN6thrust23THRUST_200600_302600_NS6detail7complex6csinhfERKNS0_7complexIfEE.numbered_sgpr, 32
	.set .L_ZN6thrust23THRUST_200600_302600_NS6detail7complex6csinhfERKNS0_7complexIfEE.num_named_barrier, 0
	.set .L_ZN6thrust23THRUST_200600_302600_NS6detail7complex6csinhfERKNS0_7complexIfEE.private_seg_size, 0
	.set .L_ZN6thrust23THRUST_200600_302600_NS6detail7complex6csinhfERKNS0_7complexIfEE.uses_vcc, 1
	.set .L_ZN6thrust23THRUST_200600_302600_NS6detail7complex6csinhfERKNS0_7complexIfEE.uses_flat_scratch, 0
	.set .L_ZN6thrust23THRUST_200600_302600_NS6detail7complex6csinhfERKNS0_7complexIfEE.has_dyn_sized_stack, 0
	.set .L_ZN6thrust23THRUST_200600_302600_NS6detail7complex6csinhfERKNS0_7complexIfEE.has_recursion, 0
	.set .L_ZN6thrust23THRUST_200600_302600_NS6detail7complex6csinhfERKNS0_7complexIfEE.has_indirect_call, 0
	.section	.AMDGPU.csdata,"",@progbits
; Function info:
; codeLenInByte = 12316
; TotalNumSgprs: 34
; NumVgprs: 22
; ScratchSize: 0
; MemoryBound: 0
	.section	.text._ZN2at6native12_GLOBAL__N_125multi_tensor_apply_kernelINS1_18TensorListMetadataILi2EEENS1_14UnaryOpFunctorIN3c107complexIfEELi2ELi1ELi1EEEJNS0_3SinIS8_EEEEEvT_T0_DpT1_,"axG",@progbits,_ZN2at6native12_GLOBAL__N_125multi_tensor_apply_kernelINS1_18TensorListMetadataILi2EEENS1_14UnaryOpFunctorIN3c107complexIfEELi2ELi1ELi1EEEJNS0_3SinIS8_EEEEEvT_T0_DpT1_,comdat
	.globl	_ZN2at6native12_GLOBAL__N_125multi_tensor_apply_kernelINS1_18TensorListMetadataILi2EEENS1_14UnaryOpFunctorIN3c107complexIfEELi2ELi1ELi1EEEJNS0_3SinIS8_EEEEEvT_T0_DpT1_ ; -- Begin function _ZN2at6native12_GLOBAL__N_125multi_tensor_apply_kernelINS1_18TensorListMetadataILi2EEENS1_14UnaryOpFunctorIN3c107complexIfEELi2ELi1ELi1EEEJNS0_3SinIS8_EEEEEvT_T0_DpT1_
	.p2align	8
	.type	_ZN2at6native12_GLOBAL__N_125multi_tensor_apply_kernelINS1_18TensorListMetadataILi2EEENS1_14UnaryOpFunctorIN3c107complexIfEELi2ELi1ELi1EEEJNS0_3SinIS8_EEEEEvT_T0_DpT1_,@function
_ZN2at6native12_GLOBAL__N_125multi_tensor_apply_kernelINS1_18TensorListMetadataILi2EEENS1_14UnaryOpFunctorIN3c107complexIfEELi2ELi1ELi1EEEJNS0_3SinIS8_EEEEEvT_T0_DpT1_: ; @_ZN2at6native12_GLOBAL__N_125multi_tensor_apply_kernelINS1_18TensorListMetadataILi2EEENS1_14UnaryOpFunctorIN3c107complexIfEELi2ELi1ELi1EEEJNS0_3SinIS8_EEEEEvT_T0_DpT1_
; %bb.0:
	s_mov_b64 s[10:11], s[0:1]
	s_bfe_u32 s0, ttmp6, 0x4000c
	s_and_b32 s1, ttmp6, 15
	s_add_co_i32 s0, s0, 1
	s_getreg_b32 s2, hwreg(HW_REG_IB_STS2, 6, 4)
	s_mul_i32 s0, ttmp9, s0
	v_mov_b32_e32 v22, v0
	s_add_co_i32 s1, s1, s0
	s_cmp_eq_u32 s2, 0
	s_mov_b32 s32, 0
	s_cselect_b32 s0, ttmp9, s1
	s_mov_b32 s1, 0
	s_load_u8 s8, s[10:11], s0 offset:0x600
	s_add_nc_u64 s[2:3], s[10:11], s[0:1]
	s_mul_u64 s[4:5], s[0:1], 3
	s_delay_alu instid0(SALU_CYCLE_1)
	s_add_nc_u64 s[2:3], s[2:3], s[4:5]
	s_load_b32 s4, s[2:3], 0x740
	s_wait_kmcnt 0x0
	s_clause 0x2
	s_load_b64 s[12:13], s[10:11], s8 offset:0x0 scale_offset
	s_load_b64 s[18:19], s[10:11], s8 offset:0x200 scale_offset
	;; [unrolled: 1-line block ×3, first 2 shown]
	s_mov_b32 s3, s1
	s_ashr_i32 s5, s4, 31
	s_delay_alu instid0(SALU_CYCLE_1)
	s_lshl_b64 s[14:15], s[4:5], 19
	s_wait_kmcnt 0x0
	s_and_b32 s2, s6, 3
	s_add_nc_u64 s[22:23], s[18:19], s[14:15]
	s_add_nc_u64 s[20:21], s[12:13], s[14:15]
	s_and_b64 s[8:9], s[22:23], 31
	s_and_b32 s0, s20, 31
	s_or_b64 s[2:3], s[8:9], s[2:3]
	s_lshl_b64 s[4:5], s[4:5], 16
	s_or_b64 s[0:1], s[2:3], s[0:1]
	s_sub_nc_u64 s[16:17], s[6:7], s[4:5]
	s_cmp_eq_u64 s[0:1], 0
	s_mov_b32 s0, -1
	s_cbranch_scc0 .LBB108_5
; %bb.1:
	v_min_i64 v[24:25], 0x10000, s[16:17]
	v_dual_mov_b32 v27, 0 :: v_dual_lshlrev_b32 v26, 2, v22
	s_mov_b32 s33, exec_lo
	s_delay_alu instid0(VALU_DEP_1)
	v_cmpx_lt_i64_e64 v[26:27], v[24:25]
	s_cbranch_execz .LBB108_4
; %bb.2:
	s_load_b32 s0, s[10:11], 0xc5c
	v_dual_mov_b32 v23, v27 :: v_dual_lshlrev_b32 v26, 5, v22
	s_mov_b32 s25, 0
	s_get_pc_i64 s[26:27]
	s_add_nc_u64 s[26:27], s[26:27], _ZN6thrust23THRUST_200600_302600_NS6detail7complex6csinhfERKNS0_7complexIfEE@rel64+4
	s_mov_b32 s29, s25
	v_mov_b64_e32 v[28:29], v[22:23]
	s_mov_b32 s34, s25
	s_wait_kmcnt 0x0
	s_and_b32 s24, s0, 0xffff
	s_delay_alu instid0(SALU_CYCLE_1)
	s_lshl_b32 s28, s24, 5
.LBB108_3:                              ; =>This Inner Loop Header: Depth=1
	v_add_nc_u64_e32 v[0:1], s[20:21], v[26:27]
	s_clause 0x1
	global_load_b128 v[30:33], v[0:1], off
	global_load_b128 v[34:37], v[0:1], off offset:16
	s_wait_loadcnt 0x1
	s_wait_xcnt 0x0
	v_xor_b32_e32 v0, 0x80000000, v31
	v_mov_b32_e32 v1, v30
	s_swap_pc_i64 s[30:31], s[26:27]
	s_delay_alu instid0(VALU_DEP_1) | instskip(SKIP_2) | instid1(VALU_DEP_2)
	v_mov_b32_e32 v30, v1
	v_xor_b32_e32 v1, 0x80000000, v33
	v_xor_b32_e32 v31, 0x80000000, v0
	v_dual_mov_b32 v0, v1 :: v_dual_mov_b32 v1, v32
	s_swap_pc_i64 s[30:31], s[26:27]
	s_delay_alu instid0(VALU_DEP_1) | instskip(SKIP_1) | instid1(VALU_DEP_3)
	v_mov_b32_e32 v32, v1
	v_xor_b32_e32 v1, 0x80000000, v35
	v_xor_b32_e32 v33, 0x80000000, v0
	s_delay_alu instid0(VALU_DEP_2) | instskip(SKIP_1) | instid1(VALU_DEP_1)
	v_dual_mov_b32 v0, v1 :: v_dual_mov_b32 v1, v34
	s_swap_pc_i64 s[30:31], s[26:27]
	v_mov_b32_e32 v34, v1
	v_xor_b32_e32 v1, 0x80000000, v37
	s_delay_alu instid0(VALU_DEP_3) | instskip(NEXT) | instid1(VALU_DEP_2)
	v_xor_b32_e32 v35, 0x80000000, v0
	v_dual_mov_b32 v0, v1 :: v_dual_mov_b32 v1, v36
	s_swap_pc_i64 s[30:31], s[26:27]
	v_add_nc_u64_e32 v[28:29], s[24:25], v[28:29]
	s_delay_alu instid0(VALU_DEP_2) | instskip(NEXT) | instid1(VALU_DEP_3)
	v_mov_b32_e32 v36, v1
	v_xor_b32_e32 v37, 0x80000000, v0
	s_add_nc_u64 s[20:21], s[20:21], s[28:29]
	s_delay_alu instid0(VALU_DEP_3) | instskip(NEXT) | instid1(VALU_DEP_1)
	v_lshlrev_b64_e32 v[2:3], 2, v[28:29]
	v_cmp_ge_i64_e32 vcc_lo, v[2:3], v[24:25]
	v_add_nc_u64_e32 v[2:3], s[22:23], v[26:27]
	s_add_nc_u64 s[22:23], s[22:23], s[28:29]
	s_clause 0x1
	global_store_b128 v[2:3], v[30:33], off
	global_store_b128 v[2:3], v[34:37], off offset:16
	s_or_b32 s34, vcc_lo, s34
	s_wait_xcnt 0x0
	s_and_not1_b32 exec_lo, exec_lo, s34
	s_cbranch_execnz .LBB108_3
.LBB108_4:
	s_or_b32 exec_lo, exec_lo, s33
	s_mov_b32 s0, 0
.LBB108_5:
	s_delay_alu instid0(SALU_CYCLE_1)
	s_and_not1_b32 vcc_lo, exec_lo, s0
	s_cbranch_vccnz .LBB108_25
; %bb.6:
	v_cmp_lt_i64_e64 s0, s[16:17], 1
	s_and_b32 vcc_lo, exec_lo, s0
	s_cbranch_vccnz .LBB108_25
; %bb.7:
	s_load_b32 s0, s[10:11], 0xc5c
	v_min_i64 v[24:25], 0x10000, s[16:17]
	v_min_u64 v[26:27], 0x10000, s[16:17]
	v_dual_mov_b32 v23, 0 :: v_dual_lshlrev_b32 v0, 3, v22
	s_mov_b32 s21, 0
	s_mov_b64 s[22:23], 0
	s_mov_b32 s5, s21
	s_delay_alu instid0(VALU_DEP_1) | instskip(SKIP_3) | instid1(VALU_DEP_1)
	v_dual_mov_b32 v1, v23 :: v_dual_mov_b32 v3, v23
	s_mov_b32 s1, s21
	s_mov_b32 s3, s21
	;; [unrolled: 1-line block ×3, first 2 shown]
	v_add_nc_u64_e32 v[28:29], s[12:13], v[0:1]
	v_add_nc_u64_e32 v[30:31], s[18:19], v[0:1]
	s_wait_kmcnt 0x0
	s_and_b32 s20, s0, 0xffff
	s_delay_alu instid0(SALU_CYCLE_1)
	v_add_nc_u64_e32 v[32:33], s[20:21], v[22:23]
	v_mad_nc_u64_u32 v[4:5], s20, 24, v[0:1]
	s_lshl_b32 s4, s20, 4
	s_lshl_b32 s0, s20, 1
	v_add_nc_u64_e32 v[0:1], s[4:5], v[0:1]
	s_mul_i32 s2, s20, 3
	v_add_nc_u64_e32 v[36:37], s[0:1], v[22:23]
	v_lshlrev_b32_e32 v2, 3, v32
	v_add_nc_u64_e32 v[34:35], s[2:3], v[22:23]
	s_lshl_b32 s16, s20, 2
	s_lshl_b32 s20, s20, 5
	v_add_nc_u64_e32 v[38:39], s[12:13], v[0:1]
	v_add_nc_u64_e32 v[40:41], s[18:19], v[0:1]
	;; [unrolled: 1-line block ×6, first 2 shown]
	s_get_pc_i64 s[18:19]
	s_add_nc_u64 s[18:19], s[18:19], _ZN6thrust23THRUST_200600_302600_NS6detail7complex6csinhfERKNS0_7complexIfEE@rel64+4
	s_branch .LBB108_9
.LBB108_8:                              ;   in Loop: Header=BB108_9 Depth=1
	s_wait_xcnt 0x0
	s_or_b32 exec_lo, exec_lo, s11
	s_add_nc_u64 s[22:23], s[22:23], s[16:17]
	v_add_nc_u64_e32 v[28:29], s[20:21], v[28:29]
	v_cmp_ge_i64_e32 vcc_lo, s[22:23], v[24:25]
	v_add_nc_u64_e32 v[30:31], s[20:21], v[30:31]
	v_add_nc_u64_e32 v[42:43], s[20:21], v[42:43]
	;; [unrolled: 1-line block ×7, first 2 shown]
	s_cbranch_vccnz .LBB108_25
.LBB108_9:                              ; =>This Inner Loop Header: Depth=1
	v_add_nc_u64_e32 v[0:1], s[22:23], v[22:23]
	s_wait_loadcnt 0x0
	v_dual_mov_b32 v2, 0 :: v_dual_mov_b32 v3, 0
	s_delay_alu instid0(VALU_DEP_2)
	v_cmp_lt_u64_e32 vcc_lo, v[0:1], v[26:27]
	s_and_saveexec_b32 s0, vcc_lo
	s_cbranch_execz .LBB108_11
; %bb.10:                               ;   in Loop: Header=BB108_9 Depth=1
	v_add_nc_u64_e32 v[0:1], s[14:15], v[28:29]
	global_load_b64 v[2:3], v[0:1], off
.LBB108_11:                             ;   in Loop: Header=BB108_9 Depth=1
	s_wait_xcnt 0x0
	s_or_b32 exec_lo, exec_lo, s0
	v_add_nc_u64_e32 v[0:1], s[22:23], v[32:33]
	v_dual_mov_b32 v50, 0 :: v_dual_mov_b32 v54, 0
	v_mov_b32_e32 v55, 0
	s_delay_alu instid0(VALU_DEP_3)
	v_cmp_lt_u64_e64 s12, v[0:1], v[26:27]
	s_and_saveexec_b32 s0, s12
	s_cbranch_execz .LBB108_13
; %bb.12:                               ;   in Loop: Header=BB108_9 Depth=1
	v_add_nc_u64_e32 v[0:1], s[14:15], v[46:47]
	global_load_b64 v[54:55], v[0:1], off
.LBB108_13:                             ;   in Loop: Header=BB108_9 Depth=1
	s_wait_xcnt 0x0
	s_or_b32 exec_lo, exec_lo, s0
	v_add_nc_u64_e32 v[0:1], s[22:23], v[36:37]
	v_mov_b32_e32 v51, 0
	s_delay_alu instid0(VALU_DEP_2)
	v_cmp_lt_u64_e64 s11, v[0:1], v[26:27]
	s_and_saveexec_b32 s0, s11
	s_cbranch_execz .LBB108_15
; %bb.14:                               ;   in Loop: Header=BB108_9 Depth=1
	v_add_nc_u64_e32 v[0:1], s[14:15], v[38:39]
	global_load_b64 v[50:51], v[0:1], off
.LBB108_15:                             ;   in Loop: Header=BB108_9 Depth=1
	s_wait_xcnt 0x0
	s_or_b32 exec_lo, exec_lo, s0
	v_add_nc_u64_e32 v[0:1], s[22:23], v[34:35]
	v_dual_mov_b32 v52, 0 :: v_dual_mov_b32 v53, 0
	s_delay_alu instid0(VALU_DEP_2)
	v_cmp_lt_u64_e64 s10, v[0:1], v[26:27]
	s_and_saveexec_b32 s0, s10
	s_cbranch_execnz .LBB108_20
; %bb.16:                               ;   in Loop: Header=BB108_9 Depth=1
	s_or_b32 exec_lo, exec_lo, s0
	s_and_saveexec_b32 s13, vcc_lo
	s_cbranch_execnz .LBB108_21
.LBB108_17:                             ;   in Loop: Header=BB108_9 Depth=1
	s_or_b32 exec_lo, exec_lo, s13
	s_and_saveexec_b32 s13, s12
	s_cbranch_execnz .LBB108_22
.LBB108_18:                             ;   in Loop: Header=BB108_9 Depth=1
	s_or_b32 exec_lo, exec_lo, s13
	s_and_saveexec_b32 s12, s11
	s_cbranch_execnz .LBB108_23
.LBB108_19:                             ;   in Loop: Header=BB108_9 Depth=1
	s_or_b32 exec_lo, exec_lo, s12
	s_and_saveexec_b32 s11, s10
	s_cbranch_execz .LBB108_8
	s_branch .LBB108_24
.LBB108_20:                             ;   in Loop: Header=BB108_9 Depth=1
	v_add_nc_u64_e32 v[0:1], s[14:15], v[42:43]
	global_load_b64 v[52:53], v[0:1], off
	s_wait_xcnt 0x0
	s_or_b32 exec_lo, exec_lo, s0
	s_and_saveexec_b32 s13, vcc_lo
	s_cbranch_execz .LBB108_17
.LBB108_21:                             ;   in Loop: Header=BB108_9 Depth=1
	s_wait_loadcnt 0x0
	v_xor_b32_e32 v0, 0x80000000, v3
	v_mov_b32_e32 v1, v2
	s_swap_pc_i64 s[30:31], s[18:19]
	v_add_nc_u64_e32 v[4:5], s[14:15], v[30:31]
	s_delay_alu instid0(VALU_DEP_2)
	v_mov_b32_e32 v2, v1
	v_xor_b32_e32 v3, 0x80000000, v0
	global_store_b64 v[4:5], v[2:3], off
	s_wait_xcnt 0x0
	s_or_b32 exec_lo, exec_lo, s13
	s_and_saveexec_b32 s13, s12
	s_cbranch_execz .LBB108_18
.LBB108_22:                             ;   in Loop: Header=BB108_9 Depth=1
	s_wait_loadcnt 0x0
	v_xor_b32_e32 v0, 0x80000000, v55
	v_mov_b32_e32 v1, v54
	s_swap_pc_i64 s[30:31], s[18:19]
	v_add_nc_u64_e32 v[4:5], s[14:15], v[48:49]
	s_delay_alu instid0(VALU_DEP_2)
	v_mov_b32_e32 v2, v1
	v_xor_b32_e32 v3, 0x80000000, v0
	global_store_b64 v[4:5], v[2:3], off
	s_wait_xcnt 0x0
	s_or_b32 exec_lo, exec_lo, s13
	s_and_saveexec_b32 s12, s11
	s_cbranch_execz .LBB108_19
.LBB108_23:                             ;   in Loop: Header=BB108_9 Depth=1
	s_wait_loadcnt 0x0
	v_xor_b32_e32 v0, 0x80000000, v51
	v_mov_b32_e32 v1, v50
	s_swap_pc_i64 s[30:31], s[18:19]
	v_add_nc_u64_e32 v[4:5], s[14:15], v[40:41]
	s_delay_alu instid0(VALU_DEP_2)
	v_mov_b32_e32 v2, v1
	v_xor_b32_e32 v3, 0x80000000, v0
	global_store_b64 v[4:5], v[2:3], off
	s_wait_xcnt 0x0
	s_or_b32 exec_lo, exec_lo, s12
	s_and_saveexec_b32 s11, s10
	s_cbranch_execz .LBB108_8
.LBB108_24:                             ;   in Loop: Header=BB108_9 Depth=1
	s_wait_loadcnt 0x0
	v_xor_b32_e32 v0, 0x80000000, v53
	v_mov_b32_e32 v1, v52
	s_swap_pc_i64 s[30:31], s[18:19]
	v_add_nc_u64_e32 v[4:5], s[14:15], v[44:45]
	s_delay_alu instid0(VALU_DEP_2)
	v_mov_b32_e32 v2, v1
	v_xor_b32_e32 v3, 0x80000000, v0
	global_store_b64 v[4:5], v[2:3], off
	s_branch .LBB108_8
.LBB108_25:
	s_endpgm
	.section	.rodata,"a",@progbits
	.p2align	6, 0x0
	.amdhsa_kernel _ZN2at6native12_GLOBAL__N_125multi_tensor_apply_kernelINS1_18TensorListMetadataILi2EEENS1_14UnaryOpFunctorIN3c107complexIfEELi2ELi1ELi1EEEJNS0_3SinIS8_EEEEEvT_T0_DpT1_
		.amdhsa_group_segment_fixed_size 0
		.amdhsa_private_segment_fixed_size 0
		.amdhsa_kernarg_size 3408
		.amdhsa_user_sgpr_count 2
		.amdhsa_user_sgpr_dispatch_ptr 0
		.amdhsa_user_sgpr_queue_ptr 0
		.amdhsa_user_sgpr_kernarg_segment_ptr 1
		.amdhsa_user_sgpr_dispatch_id 0
		.amdhsa_user_sgpr_kernarg_preload_length 0
		.amdhsa_user_sgpr_kernarg_preload_offset 0
		.amdhsa_user_sgpr_private_segment_size 0
		.amdhsa_wavefront_size32 1
		.amdhsa_uses_dynamic_stack 0
		.amdhsa_enable_private_segment 0
		.amdhsa_system_sgpr_workgroup_id_x 1
		.amdhsa_system_sgpr_workgroup_id_y 0
		.amdhsa_system_sgpr_workgroup_id_z 0
		.amdhsa_system_sgpr_workgroup_info 0
		.amdhsa_system_vgpr_workitem_id 0
		.amdhsa_next_free_vgpr 56
		.amdhsa_next_free_sgpr 35
		.amdhsa_named_barrier_count 0
		.amdhsa_reserve_vcc 1
		.amdhsa_float_round_mode_32 0
		.amdhsa_float_round_mode_16_64 0
		.amdhsa_float_denorm_mode_32 3
		.amdhsa_float_denorm_mode_16_64 3
		.amdhsa_fp16_overflow 0
		.amdhsa_memory_ordered 1
		.amdhsa_forward_progress 1
		.amdhsa_inst_pref_size 11
		.amdhsa_round_robin_scheduling 0
		.amdhsa_exception_fp_ieee_invalid_op 0
		.amdhsa_exception_fp_denorm_src 0
		.amdhsa_exception_fp_ieee_div_zero 0
		.amdhsa_exception_fp_ieee_overflow 0
		.amdhsa_exception_fp_ieee_underflow 0
		.amdhsa_exception_fp_ieee_inexact 0
		.amdhsa_exception_int_div_zero 0
	.end_amdhsa_kernel
	.section	.text._ZN2at6native12_GLOBAL__N_125multi_tensor_apply_kernelINS1_18TensorListMetadataILi2EEENS1_14UnaryOpFunctorIN3c107complexIfEELi2ELi1ELi1EEEJNS0_3SinIS8_EEEEEvT_T0_DpT1_,"axG",@progbits,_ZN2at6native12_GLOBAL__N_125multi_tensor_apply_kernelINS1_18TensorListMetadataILi2EEENS1_14UnaryOpFunctorIN3c107complexIfEELi2ELi1ELi1EEEJNS0_3SinIS8_EEEEEvT_T0_DpT1_,comdat
.Lfunc_end108:
	.size	_ZN2at6native12_GLOBAL__N_125multi_tensor_apply_kernelINS1_18TensorListMetadataILi2EEENS1_14UnaryOpFunctorIN3c107complexIfEELi2ELi1ELi1EEEJNS0_3SinIS8_EEEEEvT_T0_DpT1_, .Lfunc_end108-_ZN2at6native12_GLOBAL__N_125multi_tensor_apply_kernelINS1_18TensorListMetadataILi2EEENS1_14UnaryOpFunctorIN3c107complexIfEELi2ELi1ELi1EEEJNS0_3SinIS8_EEEEEvT_T0_DpT1_
                                        ; -- End function
	.set _ZN2at6native12_GLOBAL__N_125multi_tensor_apply_kernelINS1_18TensorListMetadataILi2EEENS1_14UnaryOpFunctorIN3c107complexIfEELi2ELi1ELi1EEEJNS0_3SinIS8_EEEEEvT_T0_DpT1_.num_vgpr, max(56, .L_ZN6thrust23THRUST_200600_302600_NS6detail7complex6csinhfERKNS0_7complexIfEE.num_vgpr)
	.set _ZN2at6native12_GLOBAL__N_125multi_tensor_apply_kernelINS1_18TensorListMetadataILi2EEENS1_14UnaryOpFunctorIN3c107complexIfEELi2ELi1ELi1EEEJNS0_3SinIS8_EEEEEvT_T0_DpT1_.num_agpr, max(0, .L_ZN6thrust23THRUST_200600_302600_NS6detail7complex6csinhfERKNS0_7complexIfEE.num_agpr)
	.set _ZN2at6native12_GLOBAL__N_125multi_tensor_apply_kernelINS1_18TensorListMetadataILi2EEENS1_14UnaryOpFunctorIN3c107complexIfEELi2ELi1ELi1EEEJNS0_3SinIS8_EEEEEvT_T0_DpT1_.numbered_sgpr, max(35, .L_ZN6thrust23THRUST_200600_302600_NS6detail7complex6csinhfERKNS0_7complexIfEE.numbered_sgpr)
	.set _ZN2at6native12_GLOBAL__N_125multi_tensor_apply_kernelINS1_18TensorListMetadataILi2EEENS1_14UnaryOpFunctorIN3c107complexIfEELi2ELi1ELi1EEEJNS0_3SinIS8_EEEEEvT_T0_DpT1_.num_named_barrier, max(0, .L_ZN6thrust23THRUST_200600_302600_NS6detail7complex6csinhfERKNS0_7complexIfEE.num_named_barrier)
	.set _ZN2at6native12_GLOBAL__N_125multi_tensor_apply_kernelINS1_18TensorListMetadataILi2EEENS1_14UnaryOpFunctorIN3c107complexIfEELi2ELi1ELi1EEEJNS0_3SinIS8_EEEEEvT_T0_DpT1_.private_seg_size, 0+max(.L_ZN6thrust23THRUST_200600_302600_NS6detail7complex6csinhfERKNS0_7complexIfEE.private_seg_size)
	.set _ZN2at6native12_GLOBAL__N_125multi_tensor_apply_kernelINS1_18TensorListMetadataILi2EEENS1_14UnaryOpFunctorIN3c107complexIfEELi2ELi1ELi1EEEJNS0_3SinIS8_EEEEEvT_T0_DpT1_.uses_vcc, or(1, .L_ZN6thrust23THRUST_200600_302600_NS6detail7complex6csinhfERKNS0_7complexIfEE.uses_vcc)
	.set _ZN2at6native12_GLOBAL__N_125multi_tensor_apply_kernelINS1_18TensorListMetadataILi2EEENS1_14UnaryOpFunctorIN3c107complexIfEELi2ELi1ELi1EEEJNS0_3SinIS8_EEEEEvT_T0_DpT1_.uses_flat_scratch, or(0, .L_ZN6thrust23THRUST_200600_302600_NS6detail7complex6csinhfERKNS0_7complexIfEE.uses_flat_scratch)
	.set _ZN2at6native12_GLOBAL__N_125multi_tensor_apply_kernelINS1_18TensorListMetadataILi2EEENS1_14UnaryOpFunctorIN3c107complexIfEELi2ELi1ELi1EEEJNS0_3SinIS8_EEEEEvT_T0_DpT1_.has_dyn_sized_stack, or(0, .L_ZN6thrust23THRUST_200600_302600_NS6detail7complex6csinhfERKNS0_7complexIfEE.has_dyn_sized_stack)
	.set _ZN2at6native12_GLOBAL__N_125multi_tensor_apply_kernelINS1_18TensorListMetadataILi2EEENS1_14UnaryOpFunctorIN3c107complexIfEELi2ELi1ELi1EEEJNS0_3SinIS8_EEEEEvT_T0_DpT1_.has_recursion, or(0, .L_ZN6thrust23THRUST_200600_302600_NS6detail7complex6csinhfERKNS0_7complexIfEE.has_recursion)
	.set _ZN2at6native12_GLOBAL__N_125multi_tensor_apply_kernelINS1_18TensorListMetadataILi2EEENS1_14UnaryOpFunctorIN3c107complexIfEELi2ELi1ELi1EEEJNS0_3SinIS8_EEEEEvT_T0_DpT1_.has_indirect_call, or(0, .L_ZN6thrust23THRUST_200600_302600_NS6detail7complex6csinhfERKNS0_7complexIfEE.has_indirect_call)
	.section	.AMDGPU.csdata,"",@progbits
; Kernel info:
; codeLenInByte = 1384
; TotalNumSgprs: 37
; NumVgprs: 56
; ScratchSize: 0
; MemoryBound: 0
; FloatMode: 240
; IeeeMode: 1
; LDSByteSize: 0 bytes/workgroup (compile time only)
; SGPRBlocks: 0
; VGPRBlocks: 3
; NumSGPRsForWavesPerEU: 37
; NumVGPRsForWavesPerEU: 56
; NamedBarCnt: 0
; Occupancy: 16
; WaveLimiterHint : 0
; COMPUTE_PGM_RSRC2:SCRATCH_EN: 0
; COMPUTE_PGM_RSRC2:USER_SGPR: 2
; COMPUTE_PGM_RSRC2:TRAP_HANDLER: 0
; COMPUTE_PGM_RSRC2:TGID_X_EN: 1
; COMPUTE_PGM_RSRC2:TGID_Y_EN: 0
; COMPUTE_PGM_RSRC2:TGID_Z_EN: 0
; COMPUTE_PGM_RSRC2:TIDIG_COMP_CNT: 0
	.section	.text._ZN2at6native12_GLOBAL__N_125multi_tensor_apply_kernelINS1_18TensorListMetadataILi2EEENS1_14UnaryOpFunctorIN3c104HalfELi2ELi1ELi1EEEJNS0_3SinIfEEEEEvT_T0_DpT1_,"axG",@progbits,_ZN2at6native12_GLOBAL__N_125multi_tensor_apply_kernelINS1_18TensorListMetadataILi2EEENS1_14UnaryOpFunctorIN3c104HalfELi2ELi1ELi1EEEJNS0_3SinIfEEEEEvT_T0_DpT1_,comdat
	.globl	_ZN2at6native12_GLOBAL__N_125multi_tensor_apply_kernelINS1_18TensorListMetadataILi2EEENS1_14UnaryOpFunctorIN3c104HalfELi2ELi1ELi1EEEJNS0_3SinIfEEEEEvT_T0_DpT1_ ; -- Begin function _ZN2at6native12_GLOBAL__N_125multi_tensor_apply_kernelINS1_18TensorListMetadataILi2EEENS1_14UnaryOpFunctorIN3c104HalfELi2ELi1ELi1EEEJNS0_3SinIfEEEEEvT_T0_DpT1_
	.p2align	8
	.type	_ZN2at6native12_GLOBAL__N_125multi_tensor_apply_kernelINS1_18TensorListMetadataILi2EEENS1_14UnaryOpFunctorIN3c104HalfELi2ELi1ELi1EEEJNS0_3SinIfEEEEEvT_T0_DpT1_,@function
_ZN2at6native12_GLOBAL__N_125multi_tensor_apply_kernelINS1_18TensorListMetadataILi2EEENS1_14UnaryOpFunctorIN3c104HalfELi2ELi1ELi1EEEJNS0_3SinIfEEEEEvT_T0_DpT1_: ; @_ZN2at6native12_GLOBAL__N_125multi_tensor_apply_kernelINS1_18TensorListMetadataILi2EEENS1_14UnaryOpFunctorIN3c104HalfELi2ELi1ELi1EEEJNS0_3SinIfEEEEEvT_T0_DpT1_
; %bb.0:
	s_bfe_u32 s2, ttmp6, 0x4000c
	s_and_b32 s3, ttmp6, 15
	s_add_co_i32 s2, s2, 1
	s_getreg_b32 s4, hwreg(HW_REG_IB_STS2, 6, 4)
	s_mul_i32 s2, ttmp9, s2
	s_delay_alu instid0(SALU_CYCLE_1)
	s_add_co_i32 s3, s3, s2
	s_cmp_eq_u32 s4, 0
	s_cselect_b32 s2, ttmp9, s3
	s_mov_b32 s3, 0
	s_load_u8 s11, s[0:1], s2 offset:0x600
	s_add_nc_u64 s[4:5], s[0:1], s[2:3]
	s_mul_u64 s[6:7], s[2:3], 3
	s_mov_b32 s15, s3
	s_add_nc_u64 s[6:7], s[4:5], s[6:7]
	s_load_b32 s10, s[6:7], 0x740
	s_wait_kmcnt 0x0
	s_clause 0x2
	s_load_b64 s[4:5], s[0:1], s11 offset:0x0 scale_offset
	s_load_b64 s[8:9], s[0:1], s11 offset:0x200 scale_offset
	;; [unrolled: 1-line block ×3, first 2 shown]
	s_wait_xcnt 0x0
	s_ashr_i32 s11, s10, 31
	s_delay_alu instid0(SALU_CYCLE_1)
	s_lshl_b64 s[6:7], s[10:11], 17
	s_wait_kmcnt 0x0
	s_and_b64 s[18:19], s[8:9], 7
	s_add_nc_u64 s[16:17], s[4:5], s[6:7]
	s_and_b32 s14, s12, 3
	s_and_b32 s2, s16, 7
	s_or_b64 s[14:15], s[18:19], s[14:15]
	s_lshl_b64 s[10:11], s[10:11], 16
	s_or_b64 s[2:3], s[14:15], s[2:3]
	s_sub_nc_u64 s[10:11], s[12:13], s[10:11]
	s_cmp_eq_u64 s[2:3], 0
	s_mov_b32 s2, -1
	s_cbranch_scc0 .LBB109_21
; %bb.1:
	v_min_i64 v[2:3], 0x10000, s[10:11]
	v_dual_mov_b32 v5, 0 :: v_dual_lshlrev_b32 v4, 2, v0
	s_mov_b32 s18, exec_lo
	s_delay_alu instid0(VALU_DEP_1)
	v_cmpx_lt_i64_e64 v[4:5], v[2:3]
	s_cbranch_execz .LBB109_20
; %bb.2:
	s_load_b32 s2, s[0:1], 0xc5c
	v_dual_mov_b32 v1, v5 :: v_dual_lshlrev_b32 v4, 3, v0
	s_mov_b32 s13, 0
	s_mov_b32 s19, 0x7fffff
	s_mov_b64 s[14:15], 0xfe5163ab
	s_delay_alu instid0(VALU_DEP_1)
	v_mov_b64_e32 v[8:9], v[0:1]
	v_add_nc_u64_e32 v[6:7], s[6:7], v[4:5]
	s_mov_b32 s20, 0xb94c1982
	s_mov_b32 s21, 0x37d75334
	;; [unrolled: 1-line block ×4, first 2 shown]
	s_wait_kmcnt 0x0
	s_and_b32 s12, s2, 0xffff
	s_delay_alu instid0(SALU_CYCLE_1)
	s_lshl_b32 s16, s12, 3
	s_branch .LBB109_4
.LBB109_3:                              ;   in Loop: Header=BB109_4 Depth=1
	s_or_b32 exec_lo, exec_lo, s2
	v_dual_mul_f32 v24, v21, v21 :: v_dual_bitop2_b32 v25, 1, v22 bitop3:0x40
	v_dual_mul_f32 v30, v13, v13 :: v_dual_bitop2_b32 v29, 1, v18 bitop3:0x40
	v_dual_lshlrev_b32 v22, 30, v22 :: v_dual_bitop2_b32 v19, v19, v16 bitop3:0x14
	s_delay_alu instid0(VALU_DEP_3) | instskip(SKIP_3) | instid1(VALU_DEP_4)
	v_fmaak_f32 v26, s20, v24, 0x3c0881c4
	v_dual_fmaak_f32 v27, s21, v24, 0xbab64f3b :: v_dual_mul_f32 v28, v17, v17
	v_cmp_eq_u32_e32 vcc_lo, 0, v25
	v_lshlrev_b32_e32 v18, 30, v18
	v_fmaak_f32 v26, v24, v26, 0xbe2aaa9d
	s_delay_alu instid0(VALU_DEP_4)
	v_fmaak_f32 v27, v24, v27, 0x3d2aabf7
	v_fmaak_f32 v31, s20, v28, 0x3c0881c4
	;; [unrolled: 1-line block ×3, first 2 shown]
	v_and_b32_e32 v22, 0x80000000, v22
	v_mul_f32_e32 v26, v24, v26
	v_fmaak_f32 v32, s21, v28, 0xbab64f3b
	v_fmaak_f32 v31, v28, v31, 0xbe2aaa9d
	v_and_b32_e32 v18, 0x80000000, v18
	s_delay_alu instid0(VALU_DEP_4) | instskip(NEXT) | instid1(VALU_DEP_4)
	v_dual_fmac_f32 v21, v21, v26 :: v_dual_bitop2_b32 v20, v20, v11 bitop3:0x14
	v_fmaak_f32 v32, v28, v32, 0x3d2aabf7
	s_delay_alu instid0(VALU_DEP_4) | instskip(SKIP_2) | instid1(VALU_DEP_3)
	v_dual_mul_f32 v26, v28, v31 :: v_dual_fmaak_f32 v31, s20, v30, 0x3c0881c4
	v_mul_f32_e32 v33, v4, v4
	v_add_nc_u64_e32 v[8:9], s[12:13], v[8:9]
	v_dual_fmac_f32 v17, v17, v26 :: v_dual_bitop2_b32 v12, v12, v1 bitop3:0x14
	s_delay_alu instid0(VALU_DEP_4) | instskip(SKIP_1) | instid1(VALU_DEP_1)
	v_fmaak_f32 v26, v30, v31, 0xbe2aaa9d
	v_fmaak_f32 v27, v24, v27, 0xbf000004
	v_fma_f32 v24, v24, v27, 1.0
	s_delay_alu instid0(VALU_DEP_1) | instskip(SKIP_1) | instid1(VALU_DEP_2)
	v_cndmask_b32_e32 v21, v24, v21, vcc_lo
	v_cmp_eq_u32_e32 vcc_lo, 0, v29
	v_xor3_b32 v19, v19, v22, v21
	v_fmaak_f32 v21, v30, v25, 0x3d2aabf7
	v_fmaak_f32 v27, v28, v32, 0xbf000004
	s_delay_alu instid0(VALU_DEP_1) | instskip(NEXT) | instid1(VALU_DEP_1)
	v_fma_f32 v24, v28, v27, 1.0
	v_dual_cndmask_b32 v17, v24, v17 :: v_dual_mul_f32 v22, v30, v26
	s_delay_alu instid0(VALU_DEP_1) | instskip(NEXT) | instid1(VALU_DEP_1)
	v_dual_fmaak_f32 v24, s20, v33, 0x3c0881c4 :: v_dual_fmac_f32 v13, v13, v22
	v_fmaak_f32 v22, v33, v24, 0xbe2aaa9d
	s_delay_alu instid0(VALU_DEP_1) | instskip(NEXT) | instid1(VALU_DEP_1)
	v_dual_fmaak_f32 v25, s21, v33, 0xbab64f3b :: v_dual_mul_f32 v22, v33, v22
	v_fmaak_f32 v24, v33, v25, 0x3d2aabf7
	s_delay_alu instid0(VALU_DEP_2) | instskip(NEXT) | instid1(VALU_DEP_2)
	v_dual_fmaak_f32 v21, v30, v21, 0xbf000004 :: v_dual_fmac_f32 v4, v4, v22
	v_fmaak_f32 v24, v33, v24, 0xbf000004
	s_delay_alu instid0(VALU_DEP_2) | instskip(SKIP_1) | instid1(VALU_DEP_3)
	v_fma_f32 v21, v30, v21, 1.0
	v_dual_lshlrev_b32 v14, 30, v14 :: v_dual_bitop2_b32 v25, 1, v14 bitop3:0x40
	v_fma_f32 v22, v33, v24, 1.0
	s_delay_alu instid0(VALU_DEP_2) | instskip(NEXT) | instid1(VALU_DEP_4)
	v_cmp_eq_u32_e32 vcc_lo, 0, v25
	v_dual_cndmask_b32 v13, v21, v13, vcc_lo :: v_dual_bitop2_b32 v21, 1, v23 bitop3:0x40
	v_lshlrev_b32_e32 v23, 30, v23
	v_and_b32_e32 v14, 0x80000000, v14
	s_delay_alu instid0(VALU_DEP_3) | instskip(SKIP_1) | instid1(VALU_DEP_4)
	v_cmp_eq_u32_e32 vcc_lo, 0, v21
	v_xor_b32_e32 v15, v15, v10
	v_and_b32_e32 v21, 0x80000000, v23
	s_delay_alu instid0(VALU_DEP_4) | instskip(SKIP_4) | instid1(VALU_DEP_3)
	v_xor3_b32 v14, v12, v14, v13
	v_lshlrev_b64_e32 v[12:13], 2, v[8:9]
	v_cndmask_b32_e32 v4, v22, v4, vcc_lo
	v_cmp_class_f32_e64 vcc_lo, v16, 0x1f8
	v_xor3_b32 v15, v15, v18, v17
	v_xor3_b32 v4, v20, v21, v4
	v_cndmask_b32_e32 v16, 0x7fc00000, v19, vcc_lo
	v_cmp_class_f32_e64 vcc_lo, v10, 0x1f8
	s_delay_alu instid0(VALU_DEP_4)
	v_cndmask_b32_e32 v15, 0x7fc00000, v15, vcc_lo
	v_cmp_class_f32_e64 vcc_lo, v11, 0x1f8
	v_add_nc_u64_e32 v[10:11], s[8:9], v[6:7]
	v_add_nc_u64_e32 v[6:7], s[16:17], v[6:7]
	v_cndmask_b32_e32 v4, 0x7fc00000, v4, vcc_lo
	v_cmp_class_f32_e64 vcc_lo, v1, 0x1f8
	v_cndmask_b32_e32 v1, 0x7fc00000, v14, vcc_lo
	v_cmp_ge_i64_e32 vcc_lo, v[12:13], v[2:3]
	s_delay_alu instid0(VALU_DEP_4) | instskip(NEXT) | instid1(VALU_DEP_3)
	v_cvt_pk_f16_f32 v13, v16, v4
	v_cvt_pk_f16_f32 v12, v1, v15
	s_or_b32 s22, vcc_lo, s22
	global_store_b64 v[10:11], v[12:13], off
	s_wait_xcnt 0x0
	s_and_not1_b32 exec_lo, exec_lo, s22
	s_cbranch_execz .LBB109_20
.LBB109_4:                              ; =>This Inner Loop Header: Depth=1
	v_add_nc_u64_e32 v[10:11], s[4:5], v[6:7]
                                        ; implicit-def: $vgpr14
                                        ; implicit-def: $vgpr13
	s_mov_b32 s3, exec_lo
	global_load_b64 v[10:11], v[10:11], off
	s_wait_loadcnt 0x0
	v_cvt_f32_f16_e32 v1, v10
	s_delay_alu instid0(VALU_DEP_1)
	v_and_b32_e32 v12, 0x7fffffff, v1
	s_wait_xcnt 0x0
	v_cmpx_ngt_f32_e64 0x48000000, |v1|
	s_xor_b32 s23, exec_lo, s3
	s_cbranch_execz .LBB109_6
; %bb.5:                                ;   in Loop: Header=BB109_4 Depth=1
	v_and_or_b32 v4, v12, s19, 0x800000
	v_dual_lshrrev_b32 v13, 23, v12 :: v_dual_mov_b32 v25, v5
	v_mov_b32_e32 v27, v5
	s_delay_alu instid0(VALU_DEP_3) | instskip(SKIP_1) | instid1(VALU_DEP_4)
	v_mul_u64_e32 v[14:15], s[14:15], v[4:5]
	v_mov_b32_e32 v17, v5
	v_add_nc_u32_e32 v13, 0xffffff88, v13
	s_delay_alu instid0(VALU_DEP_1) | instskip(NEXT) | instid1(VALU_DEP_4)
	v_cmp_lt_u32_e32 vcc_lo, 63, v13
	v_mov_b32_e32 v16, v15
	v_cndmask_b32_e64 v15, 0, 0xffffffc0, vcc_lo
	s_delay_alu instid0(VALU_DEP_2) | instskip(NEXT) | instid1(VALU_DEP_2)
	v_mad_nc_u64_u32 v[16:17], 0x3c439041, v4, v[16:17]
	v_dual_mov_b32 v19, v5 :: v_dual_add_nc_u32 v13, v15, v13
	s_delay_alu instid0(VALU_DEP_1) | instskip(NEXT) | instid1(VALU_DEP_3)
	v_cmp_lt_u32_e64 s2, 31, v13
	v_mov_b32_e32 v18, v17
	s_delay_alu instid0(VALU_DEP_2) | instskip(NEXT) | instid1(VALU_DEP_2)
	v_cndmask_b32_e64 v15, 0, 0xffffffe0, s2
	v_mad_nc_u64_u32 v[18:19], 0xdb629599, v4, v[18:19]
	s_delay_alu instid0(VALU_DEP_1) | instskip(NEXT) | instid1(VALU_DEP_2)
	v_dual_mov_b32 v21, v5 :: v_dual_mov_b32 v20, v19
	v_cndmask_b32_e32 v14, v18, v14, vcc_lo
	s_delay_alu instid0(VALU_DEP_2) | instskip(NEXT) | instid1(VALU_DEP_1)
	v_mad_nc_u64_u32 v[20:21], 0xf534ddc0, v4, v[20:21]
	v_dual_mov_b32 v23, v5 :: v_dual_mov_b32 v22, v21
	s_delay_alu instid0(VALU_DEP_1) | instskip(NEXT) | instid1(VALU_DEP_1)
	v_mad_nc_u64_u32 v[22:23], 0xfc2757d1, v4, v[22:23]
	v_dual_mov_b32 v24, v23 :: v_dual_cndmask_b32 v21, v22, v18
	s_delay_alu instid0(VALU_DEP_1) | instskip(NEXT) | instid1(VALU_DEP_1)
	v_mad_nc_u64_u32 v[24:25], 0x4e441529, v4, v[24:25]
	v_mov_b32_e32 v26, v25
	s_delay_alu instid0(VALU_DEP_1) | instskip(NEXT) | instid1(VALU_DEP_3)
	v_mad_nc_u64_u32 v[26:27], 0xa2f9836e, v4, v[26:27]
	v_dual_cndmask_b32 v15, v24, v20 :: v_dual_add_nc_u32 v4, v15, v13
	s_delay_alu instid0(VALU_DEP_1) | instskip(NEXT) | instid1(VALU_DEP_1)
	v_cmp_lt_u32_e64 s3, 31, v4
	v_cndmask_b32_e64 v13, 0, 0xffffffe0, s3
	s_delay_alu instid0(VALU_DEP_4) | instskip(NEXT) | instid1(VALU_DEP_2)
	v_dual_cndmask_b32 v17, v26, v22, vcc_lo :: v_dual_cndmask_b32 v19, v27, v24, vcc_lo
	v_add_nc_u32_e32 v4, v13, v4
	s_delay_alu instid0(VALU_DEP_2) | instskip(NEXT) | instid1(VALU_DEP_3)
	v_dual_cndmask_b32 v13, v20, v16, vcc_lo :: v_dual_cndmask_b32 v16, v17, v15, s2
	v_cndmask_b32_e64 v17, v19, v17, s2
	s_delay_alu instid0(VALU_DEP_3) | instskip(NEXT) | instid1(VALU_DEP_3)
	v_dual_cndmask_b32 v15, v15, v21, s2 :: v_dual_sub_nc_u32 v19, 32, v4
	v_cndmask_b32_e64 v20, v21, v13, s2
	v_cmp_eq_u32_e32 vcc_lo, 0, v4
	s_delay_alu instid0(VALU_DEP_3) | instskip(NEXT) | instid1(VALU_DEP_1)
	v_dual_cndmask_b32 v17, v17, v16, s3 :: v_dual_cndmask_b32 v16, v16, v15, s3
	v_alignbit_b32 v21, v17, v16, v19
	s_delay_alu instid0(VALU_DEP_1) | instskip(NEXT) | instid1(VALU_DEP_1)
	v_dual_cndmask_b32 v15, v15, v20, s3 :: v_dual_cndmask_b32 v4, v21, v17, vcc_lo
	v_alignbit_b32 v18, v16, v15, v19
	s_delay_alu instid0(VALU_DEP_1) | instskip(NEXT) | instid1(VALU_DEP_3)
	v_dual_cndmask_b32 v13, v13, v14, s2 :: v_dual_cndmask_b32 v14, v18, v16, vcc_lo
	v_bfe_u32 v16, v4, 29, 1
	s_delay_alu instid0(VALU_DEP_2) | instskip(NEXT) | instid1(VALU_DEP_3)
	v_cndmask_b32_e64 v13, v20, v13, s3
	v_alignbit_b32 v17, v4, v14, 30
	s_delay_alu instid0(VALU_DEP_3) | instskip(NEXT) | instid1(VALU_DEP_3)
	v_sub_nc_u32_e32 v18, 0, v16
	v_alignbit_b32 v19, v15, v13, v19
	s_delay_alu instid0(VALU_DEP_1) | instskip(NEXT) | instid1(VALU_DEP_1)
	v_dual_cndmask_b32 v15, v19, v15, vcc_lo :: v_dual_bitop2_b32 v17, v17, v18 bitop3:0x14
	v_clz_i32_u32_e32 v19, v17
	s_delay_alu instid0(VALU_DEP_2) | instskip(SKIP_1) | instid1(VALU_DEP_3)
	v_alignbit_b32 v14, v14, v15, 30
	v_alignbit_b32 v13, v15, v13, 30
	v_min_u32_e32 v19, 32, v19
	s_delay_alu instid0(VALU_DEP_3) | instskip(NEXT) | instid1(VALU_DEP_3)
	v_xor_b32_e32 v14, v14, v18
	v_dual_lshrrev_b32 v18, 29, v4 :: v_dual_bitop2_b32 v13, v13, v18 bitop3:0x14
	s_delay_alu instid0(VALU_DEP_3) | instskip(SKIP_1) | instid1(VALU_DEP_2)
	v_dual_lshrrev_b32 v4, 30, v4 :: v_dual_sub_nc_u32 v15, 31, v19
	v_lshlrev_b32_e32 v20, 23, v19
	v_alignbit_b32 v17, v17, v14, v15
	s_delay_alu instid0(VALU_DEP_4) | instskip(SKIP_1) | instid1(VALU_DEP_2)
	v_alignbit_b32 v13, v14, v13, v15
	v_lshlrev_b32_e32 v14, 31, v18
	v_alignbit_b32 v15, v17, v13, 9
	s_delay_alu instid0(VALU_DEP_2) | instskip(SKIP_1) | instid1(VALU_DEP_3)
	v_dual_lshrrev_b32 v17, 9, v17 :: v_dual_bitop2_b32 v18, 0.5, v14 bitop3:0x54
	v_or_b32_e32 v14, 0x33000000, v14
	v_clz_i32_u32_e32 v21, v15
	s_delay_alu instid0(VALU_DEP_3) | instskip(NEXT) | instid1(VALU_DEP_2)
	v_sub_nc_u32_e32 v18, v18, v20
	v_min_u32_e32 v20, 32, v21
	s_delay_alu instid0(VALU_DEP_1) | instskip(NEXT) | instid1(VALU_DEP_3)
	v_add_lshl_u32 v19, v20, v19, 23
	v_or_b32_e32 v17, v17, v18
	v_not_b32_e32 v18, v20
	s_delay_alu instid0(VALU_DEP_2) | instskip(NEXT) | instid1(VALU_DEP_2)
	v_dual_mul_f32 v21, 0x3fc90fda, v17 :: v_dual_sub_nc_u32 v14, v14, v19
	v_alignbit_b32 v13, v15, v13, v18
	s_delay_alu instid0(VALU_DEP_2) | instskip(NEXT) | instid1(VALU_DEP_2)
	v_fma_f32 v15, 0x3fc90fda, v17, -v21
	v_lshrrev_b32_e32 v13, 9, v13
	s_delay_alu instid0(VALU_DEP_2) | instskip(NEXT) | instid1(VALU_DEP_2)
	v_fmac_f32_e32 v15, 0x33a22168, v17
	v_dual_add_nc_u32 v14, v16, v4 :: v_dual_bitop2_b32 v13, v14, v13 bitop3:0x54
	s_delay_alu instid0(VALU_DEP_1) | instskip(NEXT) | instid1(VALU_DEP_1)
	v_fmac_f32_e32 v15, 0x3fc90fda, v13
	v_add_f32_e32 v13, v21, v15
.LBB109_6:                              ;   in Loop: Header=BB109_4 Depth=1
	s_and_not1_saveexec_b32 s2, s23
; %bb.7:                                ;   in Loop: Header=BB109_4 Depth=1
	v_mul_f32_e64 v4, 0x3f22f983, |v1|
	s_delay_alu instid0(VALU_DEP_1) | instskip(NEXT) | instid1(VALU_DEP_1)
	v_rndne_f32_e32 v4, v4
	v_fma_f32 v13, 0xbfc90fda, v4, |v1|
	v_cvt_i32_f32_e32 v14, v4
	s_delay_alu instid0(VALU_DEP_2) | instskip(NEXT) | instid1(VALU_DEP_1)
	v_fmac_f32_e32 v13, 0xb3a22168, v4
	v_fmac_f32_e32 v13, 0xa7c234c4, v4
; %bb.8:                                ;   in Loop: Header=BB109_4 Depth=1
	s_or_b32 exec_lo, exec_lo, s2
	v_lshrrev_b32_e32 v4, 16, v10
                                        ; implicit-def: $vgpr18
                                        ; implicit-def: $vgpr17
	s_mov_b32 s3, exec_lo
	s_delay_alu instid0(VALU_DEP_1) | instskip(NEXT) | instid1(VALU_DEP_1)
	v_cvt_f32_f16_e32 v10, v4
	v_and_b32_e32 v15, 0x7fffffff, v10
	v_cmpx_ngt_f32_e64 0x48000000, |v10|
	s_xor_b32 s23, exec_lo, s3
	s_cbranch_execz .LBB109_10
; %bb.9:                                ;   in Loop: Header=BB109_4 Depth=1
	s_delay_alu instid0(VALU_DEP_2) | instskip(SKIP_1) | instid1(VALU_DEP_2)
	v_and_or_b32 v4, v15, s19, 0x800000
	v_dual_mov_b32 v27, v5 :: v_dual_mov_b32 v29, v5
	v_mul_u64_e32 v[16:17], s[14:15], v[4:5]
	s_delay_alu instid0(VALU_DEP_1) | instskip(SKIP_1) | instid1(VALU_DEP_2)
	v_dual_mov_b32 v19, v5 :: v_dual_mov_b32 v18, v17
	v_lshrrev_b32_e32 v17, 23, v15
	v_mad_nc_u64_u32 v[18:19], 0x3c439041, v4, v[18:19]
	v_mov_b32_e32 v21, v5
	s_delay_alu instid0(VALU_DEP_3) | instskip(NEXT) | instid1(VALU_DEP_1)
	v_add_nc_u32_e32 v17, 0xffffff88, v17
	v_cmp_lt_u32_e32 vcc_lo, 63, v17
	s_delay_alu instid0(VALU_DEP_4) | instskip(SKIP_1) | instid1(VALU_DEP_2)
	v_mov_b32_e32 v20, v19
	v_cndmask_b32_e64 v19, 0, 0xffffffc0, vcc_lo
	v_mad_nc_u64_u32 v[20:21], 0xdb629599, v4, v[20:21]
	s_delay_alu instid0(VALU_DEP_2) | instskip(NEXT) | instid1(VALU_DEP_1)
	v_dual_mov_b32 v23, v5 :: v_dual_add_nc_u32 v17, v19, v17
	v_cmp_lt_u32_e64 s2, 31, v17
	s_delay_alu instid0(VALU_DEP_3) | instskip(NEXT) | instid1(VALU_DEP_2)
	v_mov_b32_e32 v22, v21
	v_cndmask_b32_e64 v19, 0, 0xffffffe0, s2
	v_cndmask_b32_e32 v16, v20, v16, vcc_lo
	s_delay_alu instid0(VALU_DEP_3) | instskip(NEXT) | instid1(VALU_DEP_1)
	v_mad_nc_u64_u32 v[22:23], 0xf534ddc0, v4, v[22:23]
	v_dual_mov_b32 v25, v5 :: v_dual_mov_b32 v24, v23
	s_delay_alu instid0(VALU_DEP_1) | instskip(NEXT) | instid1(VALU_DEP_1)
	v_mad_nc_u64_u32 v[24:25], 0xfc2757d1, v4, v[24:25]
	v_mov_b32_e32 v26, v25
	s_delay_alu instid0(VALU_DEP_1) | instskip(NEXT) | instid1(VALU_DEP_1)
	v_mad_nc_u64_u32 v[26:27], 0x4e441529, v4, v[26:27]
	v_mov_b32_e32 v28, v27
	s_delay_alu instid0(VALU_DEP_1) | instskip(NEXT) | instid1(VALU_DEP_3)
	v_mad_nc_u64_u32 v[28:29], 0xa2f9836e, v4, v[28:29]
	v_dual_cndmask_b32 v19, v26, v22 :: v_dual_add_nc_u32 v4, v19, v17
	s_delay_alu instid0(VALU_DEP_2) | instskip(NEXT) | instid1(VALU_DEP_2)
	v_cndmask_b32_e32 v21, v28, v24, vcc_lo
	v_cmp_lt_u32_e64 s3, 31, v4
	s_delay_alu instid0(VALU_DEP_4) | instskip(NEXT) | instid1(VALU_DEP_2)
	v_dual_cndmask_b32 v23, v29, v26 :: v_dual_cndmask_b32 v24, v24, v20
	v_cndmask_b32_e64 v17, 0, 0xffffffe0, s3
	s_delay_alu instid0(VALU_DEP_1) | instskip(NEXT) | instid1(VALU_DEP_3)
	v_dual_cndmask_b32 v17, v22, v18 :: v_dual_add_nc_u32 v4, v17, v4
	v_dual_cndmask_b32 v18, v21, v19, s2 :: v_dual_cndmask_b32 v21, v23, v21, s2
	s_delay_alu instid0(VALU_DEP_4) | instskip(NEXT) | instid1(VALU_DEP_3)
	v_cndmask_b32_e64 v19, v19, v24, s2
	v_dual_sub_nc_u32 v22, 32, v4 :: v_dual_cndmask_b32 v23, v24, v17, s2
	v_cmp_eq_u32_e32 vcc_lo, 0, v4
	s_delay_alu instid0(VALU_DEP_3) | instskip(NEXT) | instid1(VALU_DEP_1)
	v_dual_cndmask_b32 v21, v21, v18, s3 :: v_dual_cndmask_b32 v18, v18, v19, s3
	v_alignbit_b32 v24, v21, v18, v22
	s_delay_alu instid0(VALU_DEP_1) | instskip(NEXT) | instid1(VALU_DEP_1)
	v_dual_cndmask_b32 v19, v19, v23, s3 :: v_dual_cndmask_b32 v4, v24, v21, vcc_lo
	v_alignbit_b32 v20, v18, v19, v22
	s_delay_alu instid0(VALU_DEP_1) | instskip(NEXT) | instid1(VALU_DEP_3)
	v_dual_cndmask_b32 v16, v17, v16, s2 :: v_dual_cndmask_b32 v17, v20, v18, vcc_lo
	v_bfe_u32 v18, v4, 29, 1
	s_delay_alu instid0(VALU_DEP_2) | instskip(NEXT) | instid1(VALU_DEP_3)
	v_cndmask_b32_e64 v16, v23, v16, s3
	v_alignbit_b32 v20, v4, v17, 30
	s_delay_alu instid0(VALU_DEP_3) | instskip(NEXT) | instid1(VALU_DEP_3)
	v_sub_nc_u32_e32 v21, 0, v18
	v_alignbit_b32 v22, v19, v16, v22
	s_delay_alu instid0(VALU_DEP_1) | instskip(NEXT) | instid1(VALU_DEP_1)
	v_dual_cndmask_b32 v19, v22, v19, vcc_lo :: v_dual_bitop2_b32 v20, v20, v21 bitop3:0x14
	v_clz_i32_u32_e32 v22, v20
	s_delay_alu instid0(VALU_DEP_2) | instskip(SKIP_1) | instid1(VALU_DEP_3)
	v_alignbit_b32 v17, v17, v19, 30
	v_alignbit_b32 v16, v19, v16, 30
	v_min_u32_e32 v22, 32, v22
	s_delay_alu instid0(VALU_DEP_3) | instskip(NEXT) | instid1(VALU_DEP_3)
	v_xor_b32_e32 v17, v17, v21
	v_dual_lshrrev_b32 v21, 29, v4 :: v_dual_bitop2_b32 v16, v16, v21 bitop3:0x14
	s_delay_alu instid0(VALU_DEP_3) | instskip(NEXT) | instid1(VALU_DEP_1)
	v_dual_lshrrev_b32 v4, 30, v4 :: v_dual_sub_nc_u32 v19, 31, v22
	v_dual_lshlrev_b32 v23, 23, v22 :: v_dual_add_nc_u32 v18, v18, v4
	s_delay_alu instid0(VALU_DEP_2) | instskip(NEXT) | instid1(VALU_DEP_4)
	v_alignbit_b32 v20, v20, v17, v19
	v_alignbit_b32 v16, v17, v16, v19
	v_lshlrev_b32_e32 v17, 31, v21
	s_delay_alu instid0(VALU_DEP_2) | instskip(NEXT) | instid1(VALU_DEP_2)
	v_alignbit_b32 v19, v20, v16, 9
	v_dual_lshrrev_b32 v20, 9, v20 :: v_dual_bitop2_b32 v21, 0.5, v17 bitop3:0x54
	v_or_b32_e32 v17, 0x33000000, v17
	s_delay_alu instid0(VALU_DEP_3) | instskip(NEXT) | instid1(VALU_DEP_3)
	v_clz_i32_u32_e32 v24, v19
	v_sub_nc_u32_e32 v21, v21, v23
	s_delay_alu instid0(VALU_DEP_2) | instskip(NEXT) | instid1(VALU_DEP_1)
	v_min_u32_e32 v23, 32, v24
	v_add_lshl_u32 v22, v23, v22, 23
	s_delay_alu instid0(VALU_DEP_3) | instskip(SKIP_1) | instid1(VALU_DEP_2)
	v_or_b32_e32 v20, v20, v21
	v_not_b32_e32 v21, v23
	v_dual_mul_f32 v24, 0x3fc90fda, v20 :: v_dual_sub_nc_u32 v17, v17, v22
	s_delay_alu instid0(VALU_DEP_2) | instskip(NEXT) | instid1(VALU_DEP_2)
	v_alignbit_b32 v16, v19, v16, v21
	v_fma_f32 v19, 0x3fc90fda, v20, -v24
	s_delay_alu instid0(VALU_DEP_2) | instskip(NEXT) | instid1(VALU_DEP_2)
	v_lshrrev_b32_e32 v16, 9, v16
	v_fmac_f32_e32 v19, 0x33a22168, v20
	s_delay_alu instid0(VALU_DEP_2) | instskip(NEXT) | instid1(VALU_DEP_1)
	v_or_b32_e32 v16, v17, v16
	v_fmac_f32_e32 v19, 0x3fc90fda, v16
	s_delay_alu instid0(VALU_DEP_1)
	v_add_f32_e32 v17, v24, v19
.LBB109_10:                             ;   in Loop: Header=BB109_4 Depth=1
	s_and_not1_saveexec_b32 s2, s23
; %bb.11:                               ;   in Loop: Header=BB109_4 Depth=1
	v_mul_f32_e64 v4, 0x3f22f983, |v10|
	s_delay_alu instid0(VALU_DEP_1) | instskip(NEXT) | instid1(VALU_DEP_1)
	v_rndne_f32_e32 v4, v4
	v_fma_f32 v17, 0xbfc90fda, v4, |v10|
	v_cvt_i32_f32_e32 v18, v4
	s_delay_alu instid0(VALU_DEP_2) | instskip(NEXT) | instid1(VALU_DEP_1)
	v_fmac_f32_e32 v17, 0xb3a22168, v4
	v_fmac_f32_e32 v17, 0xa7c234c4, v4
; %bb.12:                               ;   in Loop: Header=BB109_4 Depth=1
	s_or_b32 exec_lo, exec_lo, s2
	v_cvt_f32_f16_e32 v16, v11
                                        ; implicit-def: $vgpr22
                                        ; implicit-def: $vgpr21
	s_mov_b32 s3, exec_lo
	s_delay_alu instid0(VALU_DEP_1)
	v_and_b32_e32 v19, 0x7fffffff, v16
	v_cmpx_ngt_f32_e64 0x48000000, |v16|
	s_xor_b32 s23, exec_lo, s3
	s_cbranch_execz .LBB109_14
; %bb.13:                               ;   in Loop: Header=BB109_4 Depth=1
	s_delay_alu instid0(VALU_DEP_2) | instskip(SKIP_1) | instid1(VALU_DEP_2)
	v_and_or_b32 v4, v19, s19, 0x800000
	v_dual_mov_b32 v31, v5 :: v_dual_mov_b32 v33, v5
	v_mul_u64_e32 v[20:21], s[14:15], v[4:5]
	s_delay_alu instid0(VALU_DEP_1) | instskip(SKIP_1) | instid1(VALU_DEP_2)
	v_dual_mov_b32 v23, v5 :: v_dual_mov_b32 v22, v21
	v_lshrrev_b32_e32 v21, 23, v19
	v_mad_nc_u64_u32 v[22:23], 0x3c439041, v4, v[22:23]
	v_mov_b32_e32 v25, v5
	s_delay_alu instid0(VALU_DEP_3) | instskip(NEXT) | instid1(VALU_DEP_1)
	v_add_nc_u32_e32 v21, 0xffffff88, v21
	v_cmp_lt_u32_e32 vcc_lo, 63, v21
	s_delay_alu instid0(VALU_DEP_4) | instskip(SKIP_1) | instid1(VALU_DEP_2)
	v_mov_b32_e32 v24, v23
	v_cndmask_b32_e64 v23, 0, 0xffffffc0, vcc_lo
	v_mad_nc_u64_u32 v[24:25], 0xdb629599, v4, v[24:25]
	s_delay_alu instid0(VALU_DEP_2) | instskip(NEXT) | instid1(VALU_DEP_1)
	v_dual_mov_b32 v27, v5 :: v_dual_add_nc_u32 v21, v23, v21
	v_cmp_lt_u32_e64 s2, 31, v21
	s_delay_alu instid0(VALU_DEP_3) | instskip(NEXT) | instid1(VALU_DEP_2)
	v_mov_b32_e32 v26, v25
	v_cndmask_b32_e64 v23, 0, 0xffffffe0, s2
	v_cndmask_b32_e32 v20, v24, v20, vcc_lo
	s_delay_alu instid0(VALU_DEP_3) | instskip(NEXT) | instid1(VALU_DEP_1)
	v_mad_nc_u64_u32 v[26:27], 0xf534ddc0, v4, v[26:27]
	v_dual_mov_b32 v29, v5 :: v_dual_mov_b32 v28, v27
	s_delay_alu instid0(VALU_DEP_1) | instskip(NEXT) | instid1(VALU_DEP_1)
	v_mad_nc_u64_u32 v[28:29], 0xfc2757d1, v4, v[28:29]
	v_mov_b32_e32 v30, v29
	s_delay_alu instid0(VALU_DEP_1) | instskip(NEXT) | instid1(VALU_DEP_1)
	v_mad_nc_u64_u32 v[30:31], 0x4e441529, v4, v[30:31]
	v_mov_b32_e32 v32, v31
	s_delay_alu instid0(VALU_DEP_1) | instskip(NEXT) | instid1(VALU_DEP_3)
	v_mad_nc_u64_u32 v[32:33], 0xa2f9836e, v4, v[32:33]
	v_dual_cndmask_b32 v23, v30, v26 :: v_dual_add_nc_u32 v4, v23, v21
	s_delay_alu instid0(VALU_DEP_2) | instskip(NEXT) | instid1(VALU_DEP_2)
	v_cndmask_b32_e32 v25, v32, v28, vcc_lo
	v_cmp_lt_u32_e64 s3, 31, v4
	s_delay_alu instid0(VALU_DEP_4) | instskip(NEXT) | instid1(VALU_DEP_2)
	v_dual_cndmask_b32 v27, v33, v30 :: v_dual_cndmask_b32 v28, v28, v24
	v_cndmask_b32_e64 v21, 0, 0xffffffe0, s3
	s_delay_alu instid0(VALU_DEP_1) | instskip(NEXT) | instid1(VALU_DEP_3)
	v_dual_cndmask_b32 v21, v26, v22 :: v_dual_add_nc_u32 v4, v21, v4
	v_dual_cndmask_b32 v22, v25, v23, s2 :: v_dual_cndmask_b32 v25, v27, v25, s2
	s_delay_alu instid0(VALU_DEP_4) | instskip(NEXT) | instid1(VALU_DEP_3)
	v_cndmask_b32_e64 v23, v23, v28, s2
	v_dual_sub_nc_u32 v26, 32, v4 :: v_dual_cndmask_b32 v27, v28, v21, s2
	v_cmp_eq_u32_e32 vcc_lo, 0, v4
	s_delay_alu instid0(VALU_DEP_3) | instskip(NEXT) | instid1(VALU_DEP_1)
	v_dual_cndmask_b32 v25, v25, v22, s3 :: v_dual_cndmask_b32 v22, v22, v23, s3
	v_alignbit_b32 v28, v25, v22, v26
	s_delay_alu instid0(VALU_DEP_1) | instskip(NEXT) | instid1(VALU_DEP_1)
	v_dual_cndmask_b32 v23, v23, v27, s3 :: v_dual_cndmask_b32 v4, v28, v25, vcc_lo
	v_alignbit_b32 v24, v22, v23, v26
	s_delay_alu instid0(VALU_DEP_1) | instskip(NEXT) | instid1(VALU_DEP_3)
	v_dual_cndmask_b32 v20, v21, v20, s2 :: v_dual_cndmask_b32 v21, v24, v22, vcc_lo
	v_bfe_u32 v22, v4, 29, 1
	s_delay_alu instid0(VALU_DEP_2) | instskip(NEXT) | instid1(VALU_DEP_3)
	v_cndmask_b32_e64 v20, v27, v20, s3
	v_alignbit_b32 v24, v4, v21, 30
	s_delay_alu instid0(VALU_DEP_3) | instskip(NEXT) | instid1(VALU_DEP_3)
	v_sub_nc_u32_e32 v25, 0, v22
	v_alignbit_b32 v26, v23, v20, v26
	s_delay_alu instid0(VALU_DEP_1) | instskip(NEXT) | instid1(VALU_DEP_1)
	v_dual_cndmask_b32 v23, v26, v23, vcc_lo :: v_dual_bitop2_b32 v24, v24, v25 bitop3:0x14
	v_clz_i32_u32_e32 v26, v24
	s_delay_alu instid0(VALU_DEP_2) | instskip(SKIP_1) | instid1(VALU_DEP_3)
	v_alignbit_b32 v21, v21, v23, 30
	v_alignbit_b32 v20, v23, v20, 30
	v_min_u32_e32 v26, 32, v26
	s_delay_alu instid0(VALU_DEP_3) | instskip(NEXT) | instid1(VALU_DEP_3)
	v_xor_b32_e32 v21, v21, v25
	v_dual_lshrrev_b32 v25, 29, v4 :: v_dual_bitop2_b32 v20, v20, v25 bitop3:0x14
	s_delay_alu instid0(VALU_DEP_3) | instskip(NEXT) | instid1(VALU_DEP_1)
	v_dual_lshrrev_b32 v4, 30, v4 :: v_dual_sub_nc_u32 v23, 31, v26
	v_dual_lshlrev_b32 v27, 23, v26 :: v_dual_add_nc_u32 v22, v22, v4
	s_delay_alu instid0(VALU_DEP_2) | instskip(NEXT) | instid1(VALU_DEP_4)
	v_alignbit_b32 v24, v24, v21, v23
	v_alignbit_b32 v20, v21, v20, v23
	v_lshlrev_b32_e32 v21, 31, v25
	s_delay_alu instid0(VALU_DEP_2) | instskip(NEXT) | instid1(VALU_DEP_2)
	v_alignbit_b32 v23, v24, v20, 9
	v_dual_lshrrev_b32 v24, 9, v24 :: v_dual_bitop2_b32 v25, 0.5, v21 bitop3:0x54
	v_or_b32_e32 v21, 0x33000000, v21
	s_delay_alu instid0(VALU_DEP_3) | instskip(NEXT) | instid1(VALU_DEP_3)
	v_clz_i32_u32_e32 v28, v23
	v_sub_nc_u32_e32 v25, v25, v27
	s_delay_alu instid0(VALU_DEP_2) | instskip(NEXT) | instid1(VALU_DEP_1)
	v_min_u32_e32 v27, 32, v28
	v_add_lshl_u32 v26, v27, v26, 23
	s_delay_alu instid0(VALU_DEP_3) | instskip(SKIP_1) | instid1(VALU_DEP_2)
	v_or_b32_e32 v24, v24, v25
	v_not_b32_e32 v25, v27
	v_dual_mul_f32 v28, 0x3fc90fda, v24 :: v_dual_sub_nc_u32 v21, v21, v26
	s_delay_alu instid0(VALU_DEP_2) | instskip(NEXT) | instid1(VALU_DEP_2)
	v_alignbit_b32 v20, v23, v20, v25
	v_fma_f32 v23, 0x3fc90fda, v24, -v28
	s_delay_alu instid0(VALU_DEP_2) | instskip(NEXT) | instid1(VALU_DEP_2)
	v_lshrrev_b32_e32 v20, 9, v20
	v_fmac_f32_e32 v23, 0x33a22168, v24
	s_delay_alu instid0(VALU_DEP_2) | instskip(NEXT) | instid1(VALU_DEP_1)
	v_or_b32_e32 v20, v21, v20
	v_fmac_f32_e32 v23, 0x3fc90fda, v20
	s_delay_alu instid0(VALU_DEP_1)
	v_add_f32_e32 v21, v28, v23
.LBB109_14:                             ;   in Loop: Header=BB109_4 Depth=1
	s_and_not1_saveexec_b32 s2, s23
; %bb.15:                               ;   in Loop: Header=BB109_4 Depth=1
	v_mul_f32_e64 v4, 0x3f22f983, |v16|
	s_delay_alu instid0(VALU_DEP_1) | instskip(NEXT) | instid1(VALU_DEP_1)
	v_rndne_f32_e32 v4, v4
	v_fma_f32 v21, 0xbfc90fda, v4, |v16|
	v_cvt_i32_f32_e32 v22, v4
	s_delay_alu instid0(VALU_DEP_2) | instskip(NEXT) | instid1(VALU_DEP_1)
	v_fmac_f32_e32 v21, 0xb3a22168, v4
	v_fmac_f32_e32 v21, 0xa7c234c4, v4
; %bb.16:                               ;   in Loop: Header=BB109_4 Depth=1
	s_or_b32 exec_lo, exec_lo, s2
	v_lshrrev_b32_e32 v4, 16, v11
                                        ; implicit-def: $vgpr23
	s_mov_b32 s3, exec_lo
	s_delay_alu instid0(VALU_DEP_1) | instskip(NEXT) | instid1(VALU_DEP_1)
	v_cvt_f32_f16_e32 v11, v4
                                        ; implicit-def: $vgpr4
	v_and_b32_e32 v20, 0x7fffffff, v11
	v_cmpx_ngt_f32_e64 0x48000000, |v11|
	s_xor_b32 s23, exec_lo, s3
	s_cbranch_execz .LBB109_18
; %bb.17:                               ;   in Loop: Header=BB109_4 Depth=1
	s_delay_alu instid0(VALU_DEP_2) | instskip(SKIP_1) | instid1(VALU_DEP_2)
	v_and_or_b32 v4, v20, s19, 0x800000
	v_dual_lshrrev_b32 v23, 23, v20 :: v_dual_mov_b32 v35, v5
	v_mul_u64_e32 v[24:25], s[14:15], v[4:5]
	v_mov_b32_e32 v27, v5
	s_delay_alu instid0(VALU_DEP_3) | instskip(NEXT) | instid1(VALU_DEP_1)
	v_add_nc_u32_e32 v23, 0xffffff88, v23
	v_cmp_lt_u32_e32 vcc_lo, 63, v23
	s_delay_alu instid0(VALU_DEP_4) | instskip(SKIP_1) | instid1(VALU_DEP_2)
	v_mov_b32_e32 v26, v25
	v_cndmask_b32_e64 v25, 0, 0xffffffc0, vcc_lo
	v_mad_nc_u64_u32 v[26:27], 0x3c439041, v4, v[26:27]
	s_delay_alu instid0(VALU_DEP_1) | instskip(NEXT) | instid1(VALU_DEP_1)
	v_dual_mov_b32 v29, v5 :: v_dual_mov_b32 v28, v27
	v_mad_nc_u64_u32 v[28:29], 0xdb629599, v4, v[28:29]
	s_delay_alu instid0(VALU_DEP_1) | instskip(NEXT) | instid1(VALU_DEP_2)
	v_dual_mov_b32 v31, v5 :: v_dual_mov_b32 v30, v29
	v_cndmask_b32_e32 v24, v28, v24, vcc_lo
	s_delay_alu instid0(VALU_DEP_2) | instskip(NEXT) | instid1(VALU_DEP_1)
	v_mad_nc_u64_u32 v[30:31], 0xf534ddc0, v4, v[30:31]
	v_dual_mov_b32 v33, v5 :: v_dual_mov_b32 v32, v31
	s_delay_alu instid0(VALU_DEP_1) | instskip(NEXT) | instid1(VALU_DEP_1)
	v_mad_nc_u64_u32 v[32:33], 0xfc2757d1, v4, v[32:33]
	v_dual_mov_b32 v34, v33 :: v_dual_cndmask_b32 v31, v32, v28
	s_delay_alu instid0(VALU_DEP_1) | instskip(SKIP_1) | instid1(VALU_DEP_2)
	v_mad_nc_u64_u32 v[34:35], 0x4e441529, v4, v[34:35]
	v_add_nc_u32_e32 v23, v25, v23
	v_dual_mov_b32 v37, v5 :: v_dual_mov_b32 v36, v35
	s_delay_alu instid0(VALU_DEP_2) | instskip(NEXT) | instid1(VALU_DEP_2)
	v_cmp_lt_u32_e64 s2, 31, v23
	v_mad_nc_u64_u32 v[36:37], 0xa2f9836e, v4, v[36:37]
	s_delay_alu instid0(VALU_DEP_2) | instskip(NEXT) | instid1(VALU_DEP_1)
	v_cndmask_b32_e64 v25, 0, 0xffffffe0, s2
	v_dual_cndmask_b32 v25, v34, v30 :: v_dual_add_nc_u32 v4, v25, v23
	s_delay_alu instid0(VALU_DEP_3) | instskip(NEXT) | instid1(VALU_DEP_2)
	v_cndmask_b32_e32 v27, v36, v32, vcc_lo
	v_cmp_lt_u32_e64 s3, 31, v4
	v_cndmask_b32_e32 v29, v37, v34, vcc_lo
	s_delay_alu instid0(VALU_DEP_2) | instskip(NEXT) | instid1(VALU_DEP_1)
	v_cndmask_b32_e64 v23, 0, 0xffffffe0, s3
	v_dual_cndmask_b32 v23, v30, v26 :: v_dual_add_nc_u32 v4, v23, v4
	s_delay_alu instid0(VALU_DEP_3) | instskip(NEXT) | instid1(VALU_DEP_2)
	v_dual_cndmask_b32 v26, v27, v25, s2 :: v_dual_cndmask_b32 v27, v29, v27, s2
	v_dual_cndmask_b32 v25, v25, v31, s2 :: v_dual_sub_nc_u32 v29, 32, v4
	s_delay_alu instid0(VALU_DEP_3) | instskip(SKIP_1) | instid1(VALU_DEP_3)
	v_cndmask_b32_e64 v30, v31, v23, s2
	v_cmp_eq_u32_e32 vcc_lo, 0, v4
	v_dual_cndmask_b32 v27, v27, v26, s3 :: v_dual_cndmask_b32 v26, v26, v25, s3
	s_delay_alu instid0(VALU_DEP_1) | instskip(NEXT) | instid1(VALU_DEP_1)
	v_alignbit_b32 v31, v27, v26, v29
	v_dual_cndmask_b32 v25, v25, v30, s3 :: v_dual_cndmask_b32 v4, v31, v27, vcc_lo
	s_delay_alu instid0(VALU_DEP_1) | instskip(NEXT) | instid1(VALU_DEP_1)
	v_alignbit_b32 v28, v26, v25, v29
	v_dual_cndmask_b32 v23, v23, v24, s2 :: v_dual_cndmask_b32 v24, v28, v26, vcc_lo
	s_delay_alu instid0(VALU_DEP_3) | instskip(NEXT) | instid1(VALU_DEP_2)
	v_bfe_u32 v26, v4, 29, 1
	v_cndmask_b32_e64 v23, v30, v23, s3
	s_delay_alu instid0(VALU_DEP_3) | instskip(NEXT) | instid1(VALU_DEP_3)
	v_alignbit_b32 v27, v4, v24, 30
	v_sub_nc_u32_e32 v28, 0, v26
	s_delay_alu instid0(VALU_DEP_3) | instskip(NEXT) | instid1(VALU_DEP_1)
	v_alignbit_b32 v29, v25, v23, v29
	v_dual_cndmask_b32 v25, v29, v25, vcc_lo :: v_dual_bitop2_b32 v27, v27, v28 bitop3:0x14
	s_delay_alu instid0(VALU_DEP_1) | instskip(NEXT) | instid1(VALU_DEP_2)
	v_clz_i32_u32_e32 v29, v27
	v_alignbit_b32 v24, v24, v25, 30
	v_alignbit_b32 v23, v25, v23, 30
	s_delay_alu instid0(VALU_DEP_3) | instskip(NEXT) | instid1(VALU_DEP_3)
	v_min_u32_e32 v29, 32, v29
	v_xor_b32_e32 v24, v24, v28
	s_delay_alu instid0(VALU_DEP_3) | instskip(NEXT) | instid1(VALU_DEP_3)
	v_xor_b32_e32 v23, v23, v28
	v_dual_lshrrev_b32 v28, 29, v4 :: v_dual_lshlrev_b32 v30, 23, v29
	v_sub_nc_u32_e32 v25, 31, v29
	s_delay_alu instid0(VALU_DEP_1) | instskip(NEXT) | instid1(VALU_DEP_4)
	v_alignbit_b32 v27, v27, v24, v25
	v_alignbit_b32 v23, v24, v23, v25
	s_delay_alu instid0(VALU_DEP_4) | instskip(NEXT) | instid1(VALU_DEP_2)
	v_lshlrev_b32_e32 v24, 31, v28
	v_alignbit_b32 v25, v27, v23, 9
	s_delay_alu instid0(VALU_DEP_2) | instskip(SKIP_1) | instid1(VALU_DEP_3)
	v_dual_lshrrev_b32 v27, 9, v27 :: v_dual_bitop2_b32 v28, 0.5, v24 bitop3:0x54
	v_or_b32_e32 v24, 0x33000000, v24
	v_clz_i32_u32_e32 v31, v25
	s_delay_alu instid0(VALU_DEP_3) | instskip(NEXT) | instid1(VALU_DEP_2)
	v_sub_nc_u32_e32 v28, v28, v30
	v_min_u32_e32 v30, 32, v31
	s_delay_alu instid0(VALU_DEP_1) | instskip(NEXT) | instid1(VALU_DEP_3)
	v_add_lshl_u32 v29, v30, v29, 23
	v_or_b32_e32 v27, v27, v28
	v_not_b32_e32 v28, v30
	s_delay_alu instid0(VALU_DEP_2) | instskip(NEXT) | instid1(VALU_DEP_2)
	v_dual_mul_f32 v31, 0x3fc90fda, v27 :: v_dual_sub_nc_u32 v24, v24, v29
	v_alignbit_b32 v23, v25, v23, v28
	s_delay_alu instid0(VALU_DEP_2) | instskip(NEXT) | instid1(VALU_DEP_2)
	v_fma_f32 v25, 0x3fc90fda, v27, -v31
	v_lshrrev_b32_e32 v23, 9, v23
	s_delay_alu instid0(VALU_DEP_2) | instskip(NEXT) | instid1(VALU_DEP_2)
	v_fmac_f32_e32 v25, 0x33a22168, v27
	v_or_b32_e32 v23, v24, v23
	s_delay_alu instid0(VALU_DEP_1) | instskip(NEXT) | instid1(VALU_DEP_1)
	v_fmac_f32_e32 v25, 0x3fc90fda, v23
	v_dual_add_f32 v4, v31, v25 :: v_dual_lshrrev_b32 v23, 30, v4
	s_delay_alu instid0(VALU_DEP_1)
	v_add_nc_u32_e32 v23, v26, v23
.LBB109_18:                             ;   in Loop: Header=BB109_4 Depth=1
	s_and_not1_saveexec_b32 s2, s23
	s_cbranch_execz .LBB109_3
; %bb.19:                               ;   in Loop: Header=BB109_4 Depth=1
	v_mul_f32_e64 v4, 0x3f22f983, |v11|
	s_delay_alu instid0(VALU_DEP_1) | instskip(NEXT) | instid1(VALU_DEP_1)
	v_rndne_f32_e32 v23, v4
	v_fma_f32 v4, 0xbfc90fda, v23, |v11|
	s_delay_alu instid0(VALU_DEP_1) | instskip(NEXT) | instid1(VALU_DEP_1)
	v_fmac_f32_e32 v4, 0xb3a22168, v23
	v_fmac_f32_e32 v4, 0xa7c234c4, v23
	v_cvt_i32_f32_e32 v23, v23
	s_branch .LBB109_3
.LBB109_20:
	s_or_b32 exec_lo, exec_lo, s18
	s_mov_b32 s2, 0
.LBB109_21:
	s_delay_alu instid0(SALU_CYCLE_1)
	s_and_not1_b32 vcc_lo, exec_lo, s2
	s_cbranch_vccnz .LBB109_57
; %bb.22:
	v_cmp_lt_i64_e64 s2, s[10:11], 1
	s_and_b32 vcc_lo, exec_lo, s2
	s_cbranch_vccnz .LBB109_57
; %bb.23:
	s_load_b32 s0, s[0:1], 0xc5c
	v_min_i64 v[2:3], 0x10000, s[10:11]
	v_min_u64 v[6:7], 0x10000, s[10:11]
	v_dual_mov_b32 v5, 0 :: v_dual_lshlrev_b32 v4, 1, v0
	s_mov_b32 s13, 0
	s_mov_b64 s[14:15], 0
	s_mov_b32 s11, s13
	s_delay_alu instid0(VALU_DEP_1)
	v_mov_b32_e32 v1, v5
	v_add_nc_u64_e32 v[8:9], s[4:5], v[4:5]
	v_add_nc_u64_e32 v[10:11], s[8:9], v[4:5]
	s_wait_xcnt 0x0
	s_mov_b32 s1, s13
	s_mov_b32 s3, s13
	;; [unrolled: 1-line block ×5, first 2 shown]
	s_wait_kmcnt 0x0
	s_and_b32 s12, s0, 0xffff
	s_delay_alu instid0(SALU_CYCLE_1)
	v_add_nc_u64_e32 v[12:13], s[12:13], v[0:1]
	v_mad_nc_u64_u32 v[24:25], s12, 6, v[4:5]
	s_lshl_b32 s10, s12, 2
	s_lshl_b32 s0, s12, 1
	v_add_nc_u64_e32 v[20:21], s[10:11], v[4:5]
	s_mul_i32 s2, s12, 3
	s_lshl_b32 s12, s12, 3
	v_lshlrev_b32_e32 v4, 1, v12
	v_add_nc_u64_e32 v[14:15], s[2:3], v[0:1]
	v_add_nc_u64_e32 v[16:17], s[0:1], v[0:1]
	s_delay_alu instid0(VALU_DEP_4)
	v_add_nc_u64_e32 v[18:19], s[4:5], v[20:21]
	v_add_nc_u64_e32 v[20:21], s[8:9], v[20:21]
	;; [unrolled: 1-line block ×6, first 2 shown]
	s_mov_b64 s[8:9], 0xfe5163ab
	s_branch .LBB109_25
.LBB109_24:                             ;   in Loop: Header=BB109_25 Depth=1
	s_wait_xcnt 0x0
	s_or_b32 exec_lo, exec_lo, s0
	s_add_nc_u64 s[14:15], s[14:15], s[10:11]
	v_add_nc_u64_e32 v[8:9], s[12:13], v[8:9]
	v_cmp_ge_i64_e32 vcc_lo, s[14:15], v[2:3]
	v_add_nc_u64_e32 v[10:11], s[12:13], v[10:11]
	v_add_nc_u64_e32 v[22:23], s[12:13], v[22:23]
	;; [unrolled: 1-line block ×7, first 2 shown]
	s_cbranch_vccnz .LBB109_57
.LBB109_25:                             ; =>This Inner Loop Header: Depth=1
	v_add_nc_u64_e32 v[30:31], s[14:15], v[0:1]
	v_mov_b32_e32 v33, 0
	s_delay_alu instid0(VALU_DEP_2)
	v_cmp_lt_u64_e64 s2, v[30:31], v[6:7]
	s_and_saveexec_b32 s0, s2
	s_cbranch_execz .LBB109_27
; %bb.26:                               ;   in Loop: Header=BB109_25 Depth=1
	v_add_nc_u64_e32 v[30:31], s[6:7], v[8:9]
	global_load_u16 v4, v[30:31], off
	s_wait_loadcnt 0x0
	v_cvt_f32_f16_e32 v33, v4
.LBB109_27:                             ;   in Loop: Header=BB109_25 Depth=1
	s_wait_xcnt 0x0
	s_or_b32 exec_lo, exec_lo, s0
	v_add_nc_u64_e32 v[30:31], s[14:15], v[12:13]
	v_mov_b32_e32 v32, 0
	s_delay_alu instid0(VALU_DEP_2)
	v_cmp_lt_u64_e64 s1, v[30:31], v[6:7]
	v_mov_b32_e32 v31, 0
	s_and_saveexec_b32 s0, s1
	s_cbranch_execz .LBB109_29
; %bb.28:                               ;   in Loop: Header=BB109_25 Depth=1
	v_add_nc_u64_e32 v[34:35], s[6:7], v[26:27]
	global_load_u16 v4, v[34:35], off
	s_wait_loadcnt 0x0
	v_cvt_f32_f16_e32 v32, v4
.LBB109_29:                             ;   in Loop: Header=BB109_25 Depth=1
	s_wait_xcnt 0x0
	s_or_b32 exec_lo, exec_lo, s0
	v_add_nc_u64_e32 v[34:35], s[14:15], v[16:17]
	s_delay_alu instid0(VALU_DEP_1)
	v_cmp_lt_u64_e64 s0, v[34:35], v[6:7]
	s_and_saveexec_b32 s3, s0
	s_cbranch_execz .LBB109_31
; %bb.30:                               ;   in Loop: Header=BB109_25 Depth=1
	v_add_nc_u64_e32 v[30:31], s[6:7], v[18:19]
	global_load_u16 v4, v[30:31], off
	s_wait_loadcnt 0x0
	v_cvt_f32_f16_e32 v31, v4
.LBB109_31:                             ;   in Loop: Header=BB109_25 Depth=1
	s_or_b32 exec_lo, exec_lo, s3
	v_add_nc_u64_e32 v[34:35], s[14:15], v[14:15]
	v_mov_b32_e32 v30, 0
	s_delay_alu instid0(VALU_DEP_2)
	v_cmp_lt_u64_e32 vcc_lo, v[34:35], v[6:7]
	s_and_saveexec_b32 s3, vcc_lo
	s_cbranch_execz .LBB109_33
; %bb.32:                               ;   in Loop: Header=BB109_25 Depth=1
	v_add_nc_u64_e32 v[34:35], s[6:7], v[22:23]
	global_load_u16 v4, v[34:35], off
	s_wait_loadcnt 0x0
	v_cvt_f32_f16_e32 v30, v4
.LBB109_33:                             ;   in Loop: Header=BB109_25 Depth=1
	s_wait_xcnt 0x0
	s_or_b32 exec_lo, exec_lo, s3
	v_and_b32_e32 v34, 0x7fffffff, v33
                                        ; implicit-def: $vgpr37
                                        ; implicit-def: $vgpr35
	s_mov_b32 s4, exec_lo
	v_cmpx_ngt_f32_e64 0x48000000, |v33|
	s_xor_b32 s19, exec_lo, s4
	s_cbranch_execz .LBB109_35
; %bb.34:                               ;   in Loop: Header=BB109_25 Depth=1
	v_and_or_b32 v4, v34, s16, 0x800000
	v_dual_lshrrev_b32 v35, 23, v34 :: v_dual_mov_b32 v47, v5
	s_delay_alu instid0(VALU_DEP_2) | instskip(SKIP_1) | instid1(VALU_DEP_3)
	v_mul_u64_e32 v[36:37], s[8:9], v[4:5]
	v_mov_b32_e32 v39, v5
	v_add_nc_u32_e32 v35, 0xffffff88, v35
	s_delay_alu instid0(VALU_DEP_1) | instskip(NEXT) | instid1(VALU_DEP_4)
	v_cmp_lt_u32_e64 s3, 63, v35
	v_mov_b32_e32 v38, v37
	s_delay_alu instid0(VALU_DEP_2) | instskip(NEXT) | instid1(VALU_DEP_2)
	v_cndmask_b32_e64 v37, 0, 0xffffffc0, s3
	v_mad_nc_u64_u32 v[38:39], 0x3c439041, v4, v[38:39]
	s_delay_alu instid0(VALU_DEP_1) | instskip(NEXT) | instid1(VALU_DEP_1)
	v_dual_mov_b32 v41, v5 :: v_dual_mov_b32 v40, v39
	v_mad_nc_u64_u32 v[40:41], 0xdb629599, v4, v[40:41]
	s_delay_alu instid0(VALU_DEP_1) | instskip(NEXT) | instid1(VALU_DEP_2)
	v_dual_mov_b32 v43, v5 :: v_dual_mov_b32 v42, v41
	v_cndmask_b32_e64 v36, v40, v36, s3
	s_delay_alu instid0(VALU_DEP_2) | instskip(NEXT) | instid1(VALU_DEP_1)
	v_mad_nc_u64_u32 v[42:43], 0xf534ddc0, v4, v[42:43]
	v_dual_mov_b32 v45, v5 :: v_dual_mov_b32 v44, v43
	s_delay_alu instid0(VALU_DEP_1) | instskip(NEXT) | instid1(VALU_DEP_1)
	v_mad_nc_u64_u32 v[44:45], 0xfc2757d1, v4, v[44:45]
	v_dual_mov_b32 v46, v45 :: v_dual_cndmask_b32 v43, v44, v40, s3
	s_delay_alu instid0(VALU_DEP_1) | instskip(SKIP_1) | instid1(VALU_DEP_2)
	v_mad_nc_u64_u32 v[46:47], 0x4e441529, v4, v[46:47]
	v_add_nc_u32_e32 v35, v37, v35
	v_dual_mov_b32 v49, v5 :: v_dual_mov_b32 v48, v47
	s_delay_alu instid0(VALU_DEP_2) | instskip(NEXT) | instid1(VALU_DEP_2)
	v_cmp_lt_u32_e64 s4, 31, v35
	v_mad_nc_u64_u32 v[48:49], 0xa2f9836e, v4, v[48:49]
	s_delay_alu instid0(VALU_DEP_2) | instskip(NEXT) | instid1(VALU_DEP_1)
	v_cndmask_b32_e64 v37, 0, 0xffffffe0, s4
	v_dual_add_nc_u32 v4, v37, v35 :: v_dual_cndmask_b32 v37, v46, v42, s3
	s_delay_alu instid0(VALU_DEP_3) | instskip(NEXT) | instid1(VALU_DEP_2)
	v_cndmask_b32_e64 v39, v48, v44, s3
	v_cmp_lt_u32_e64 s5, 31, v4
	v_cndmask_b32_e64 v41, v49, v46, s3
	s_delay_alu instid0(VALU_DEP_2) | instskip(NEXT) | instid1(VALU_DEP_1)
	v_cndmask_b32_e64 v35, 0, 0xffffffe0, s5
	v_dual_add_nc_u32 v4, v35, v4 :: v_dual_cndmask_b32 v35, v42, v38, s3
	s_delay_alu instid0(VALU_DEP_3) | instskip(NEXT) | instid1(VALU_DEP_2)
	v_dual_cndmask_b32 v38, v39, v37, s4 :: v_dual_cndmask_b32 v39, v41, v39, s4
	v_dual_cndmask_b32 v37, v37, v43, s4 :: v_dual_sub_nc_u32 v41, 32, v4
	s_delay_alu instid0(VALU_DEP_3) | instskip(SKIP_1) | instid1(VALU_DEP_3)
	v_cndmask_b32_e64 v42, v43, v35, s4
	v_cmp_eq_u32_e64 s3, 0, v4
	v_dual_cndmask_b32 v39, v39, v38, s5 :: v_dual_cndmask_b32 v38, v38, v37, s5
	s_delay_alu instid0(VALU_DEP_1) | instskip(NEXT) | instid1(VALU_DEP_1)
	v_alignbit_b32 v43, v39, v38, v41
	v_dual_cndmask_b32 v37, v37, v42, s5 :: v_dual_cndmask_b32 v4, v43, v39, s3
	s_delay_alu instid0(VALU_DEP_1) | instskip(NEXT) | instid1(VALU_DEP_1)
	v_alignbit_b32 v40, v38, v37, v41
	v_dual_cndmask_b32 v35, v35, v36, s4 :: v_dual_cndmask_b32 v36, v40, v38, s3
	s_delay_alu instid0(VALU_DEP_3) | instskip(NEXT) | instid1(VALU_DEP_2)
	v_bfe_u32 v38, v4, 29, 1
	v_cndmask_b32_e64 v35, v42, v35, s5
	s_delay_alu instid0(VALU_DEP_3) | instskip(NEXT) | instid1(VALU_DEP_3)
	v_alignbit_b32 v39, v4, v36, 30
	v_sub_nc_u32_e32 v40, 0, v38
	s_delay_alu instid0(VALU_DEP_3) | instskip(NEXT) | instid1(VALU_DEP_1)
	v_alignbit_b32 v41, v37, v35, v41
	v_dual_cndmask_b32 v37, v41, v37, s3 :: v_dual_bitop2_b32 v39, v39, v40 bitop3:0x14
	s_delay_alu instid0(VALU_DEP_1) | instskip(NEXT) | instid1(VALU_DEP_2)
	v_clz_i32_u32_e32 v41, v39
	v_alignbit_b32 v36, v36, v37, 30
	v_alignbit_b32 v35, v37, v35, 30
	s_delay_alu instid0(VALU_DEP_3) | instskip(NEXT) | instid1(VALU_DEP_3)
	v_min_u32_e32 v41, 32, v41
	v_xor_b32_e32 v36, v36, v40
	s_delay_alu instid0(VALU_DEP_3) | instskip(SKIP_1) | instid1(VALU_DEP_4)
	v_xor_b32_e32 v35, v35, v40
	v_dual_lshrrev_b32 v40, 29, v4 :: v_dual_lshrrev_b32 v4, 30, v4
	v_dual_sub_nc_u32 v37, 31, v41 :: v_dual_lshlrev_b32 v42, 23, v41
	s_delay_alu instid0(VALU_DEP_1) | instskip(NEXT) | instid1(VALU_DEP_4)
	v_alignbit_b32 v39, v39, v36, v37
	v_alignbit_b32 v35, v36, v35, v37
	s_delay_alu instid0(VALU_DEP_4) | instskip(NEXT) | instid1(VALU_DEP_2)
	v_lshlrev_b32_e32 v36, 31, v40
	v_alignbit_b32 v37, v39, v35, 9
	s_delay_alu instid0(VALU_DEP_2) | instskip(SKIP_1) | instid1(VALU_DEP_3)
	v_dual_lshrrev_b32 v39, 9, v39 :: v_dual_bitop2_b32 v40, 0.5, v36 bitop3:0x54
	v_or_b32_e32 v36, 0x33000000, v36
	v_clz_i32_u32_e32 v43, v37
	s_delay_alu instid0(VALU_DEP_3) | instskip(NEXT) | instid1(VALU_DEP_2)
	v_sub_nc_u32_e32 v40, v40, v42
	v_min_u32_e32 v42, 32, v43
	s_delay_alu instid0(VALU_DEP_1) | instskip(NEXT) | instid1(VALU_DEP_3)
	v_add_lshl_u32 v41, v42, v41, 23
	v_or_b32_e32 v39, v39, v40
	v_not_b32_e32 v40, v42
	s_delay_alu instid0(VALU_DEP_2) | instskip(NEXT) | instid1(VALU_DEP_2)
	v_dual_mul_f32 v43, 0x3fc90fda, v39 :: v_dual_sub_nc_u32 v36, v36, v41
	v_alignbit_b32 v35, v37, v35, v40
	s_delay_alu instid0(VALU_DEP_2) | instskip(NEXT) | instid1(VALU_DEP_2)
	v_fma_f32 v37, 0x3fc90fda, v39, -v43
	v_lshrrev_b32_e32 v35, 9, v35
	s_delay_alu instid0(VALU_DEP_2) | instskip(NEXT) | instid1(VALU_DEP_2)
	v_fmac_f32_e32 v37, 0x33a22168, v39
	v_or_b32_e32 v35, v36, v35
	s_delay_alu instid0(VALU_DEP_1) | instskip(NEXT) | instid1(VALU_DEP_1)
	v_fmac_f32_e32 v37, 0x3fc90fda, v35
	v_dual_add_f32 v35, v43, v37 :: v_dual_add_nc_u32 v37, v38, v4
.LBB109_35:                             ;   in Loop: Header=BB109_25 Depth=1
	s_and_not1_saveexec_b32 s3, s19
; %bb.36:                               ;   in Loop: Header=BB109_25 Depth=1
	v_mul_f32_e64 v4, 0x3f22f983, |v33|
	s_delay_alu instid0(VALU_DEP_1) | instskip(NEXT) | instid1(VALU_DEP_1)
	v_rndne_f32_e32 v4, v4
	v_fma_f32 v35, 0xbfc90fda, v4, |v33|
	v_cvt_i32_f32_e32 v37, v4
	s_delay_alu instid0(VALU_DEP_2) | instskip(NEXT) | instid1(VALU_DEP_1)
	v_fmac_f32_e32 v35, 0xb3a22168, v4
	v_fmac_f32_e32 v35, 0xa7c234c4, v4
; %bb.37:                               ;   in Loop: Header=BB109_25 Depth=1
	s_or_b32 exec_lo, exec_lo, s3
	v_and_b32_e32 v36, 0x7fffffff, v32
                                        ; implicit-def: $vgpr40
                                        ; implicit-def: $vgpr38
	s_mov_b32 s4, exec_lo
	v_cmpx_ngt_f32_e64 0x48000000, |v32|
	s_xor_b32 s19, exec_lo, s4
	s_cbranch_execz .LBB109_39
; %bb.38:                               ;   in Loop: Header=BB109_25 Depth=1
	v_and_or_b32 v4, v36, s16, 0x800000
	v_mov_b32_e32 v49, v5
	s_delay_alu instid0(VALU_DEP_2) | instskip(NEXT) | instid1(VALU_DEP_1)
	v_mul_u64_e32 v[38:39], s[8:9], v[4:5]
	v_dual_mov_b32 v41, v5 :: v_dual_mov_b32 v40, v39
	v_lshrrev_b32_e32 v39, 23, v36
	s_delay_alu instid0(VALU_DEP_2) | instskip(SKIP_1) | instid1(VALU_DEP_3)
	v_mad_nc_u64_u32 v[40:41], 0x3c439041, v4, v[40:41]
	v_mov_b32_e32 v43, v5
	v_add_nc_u32_e32 v39, 0xffffff88, v39
	s_delay_alu instid0(VALU_DEP_1) | instskip(NEXT) | instid1(VALU_DEP_4)
	v_cmp_lt_u32_e64 s3, 63, v39
	v_mov_b32_e32 v42, v41
	s_delay_alu instid0(VALU_DEP_2) | instskip(NEXT) | instid1(VALU_DEP_2)
	v_cndmask_b32_e64 v41, 0, 0xffffffc0, s3
	v_mad_nc_u64_u32 v[42:43], 0xdb629599, v4, v[42:43]
	s_delay_alu instid0(VALU_DEP_1) | instskip(NEXT) | instid1(VALU_DEP_2)
	v_dual_mov_b32 v45, v5 :: v_dual_mov_b32 v44, v43
	v_cndmask_b32_e64 v38, v42, v38, s3
	s_delay_alu instid0(VALU_DEP_2) | instskip(NEXT) | instid1(VALU_DEP_1)
	v_mad_nc_u64_u32 v[44:45], 0xf534ddc0, v4, v[44:45]
	v_dual_mov_b32 v47, v5 :: v_dual_mov_b32 v46, v45
	s_delay_alu instid0(VALU_DEP_1) | instskip(NEXT) | instid1(VALU_DEP_1)
	v_mad_nc_u64_u32 v[46:47], 0xfc2757d1, v4, v[46:47]
	v_mov_b32_e32 v48, v47
	s_delay_alu instid0(VALU_DEP_1) | instskip(SKIP_2) | instid1(VALU_DEP_2)
	v_mad_nc_u64_u32 v[48:49], 0x4e441529, v4, v[48:49]
	v_add_nc_u32_e32 v39, v41, v39
	v_mov_b32_e32 v51, v5
	v_cmp_lt_u32_e64 s4, 31, v39
	s_delay_alu instid0(VALU_DEP_4) | instskip(NEXT) | instid1(VALU_DEP_2)
	v_mov_b32_e32 v50, v49
	v_cndmask_b32_e64 v41, 0, 0xffffffe0, s4
	s_delay_alu instid0(VALU_DEP_2) | instskip(NEXT) | instid1(VALU_DEP_2)
	v_mad_nc_u64_u32 v[50:51], 0xa2f9836e, v4, v[50:51]
	v_dual_add_nc_u32 v4, v41, v39 :: v_dual_cndmask_b32 v41, v48, v44, s3
	s_delay_alu instid0(VALU_DEP_2) | instskip(NEXT) | instid1(VALU_DEP_2)
	v_cndmask_b32_e64 v43, v50, v46, s3
	v_cmp_lt_u32_e64 s5, 31, v4
	s_delay_alu instid0(VALU_DEP_4) | instskip(NEXT) | instid1(VALU_DEP_2)
	v_dual_cndmask_b32 v45, v51, v48, s3 :: v_dual_cndmask_b32 v46, v46, v42, s3
	v_cndmask_b32_e64 v39, 0, 0xffffffe0, s5
	s_delay_alu instid0(VALU_DEP_1) | instskip(SKIP_1) | instid1(VALU_DEP_4)
	v_add_nc_u32_e32 v4, v39, v4
	v_dual_cndmask_b32 v39, v44, v40, s3 :: v_dual_cndmask_b32 v40, v43, v41, s4
	v_cndmask_b32_e64 v43, v45, v43, s4
	s_delay_alu instid0(VALU_DEP_3) | instskip(NEXT) | instid1(VALU_DEP_3)
	v_dual_cndmask_b32 v41, v41, v46, s4 :: v_dual_sub_nc_u32 v44, 32, v4
	v_cndmask_b32_e64 v45, v46, v39, s4
	v_cmp_eq_u32_e64 s3, 0, v4
	s_delay_alu instid0(VALU_DEP_3) | instskip(NEXT) | instid1(VALU_DEP_1)
	v_dual_cndmask_b32 v43, v43, v40, s5 :: v_dual_cndmask_b32 v40, v40, v41, s5
	v_alignbit_b32 v46, v43, v40, v44
	s_delay_alu instid0(VALU_DEP_1) | instskip(NEXT) | instid1(VALU_DEP_1)
	v_dual_cndmask_b32 v41, v41, v45, s5 :: v_dual_cndmask_b32 v4, v46, v43, s3
	v_alignbit_b32 v42, v40, v41, v44
	s_delay_alu instid0(VALU_DEP_1) | instskip(NEXT) | instid1(VALU_DEP_3)
	v_dual_cndmask_b32 v38, v39, v38, s4 :: v_dual_cndmask_b32 v39, v42, v40, s3
	v_bfe_u32 v40, v4, 29, 1
	s_delay_alu instid0(VALU_DEP_2) | instskip(NEXT) | instid1(VALU_DEP_3)
	v_cndmask_b32_e64 v38, v45, v38, s5
	v_alignbit_b32 v42, v4, v39, 30
	s_delay_alu instid0(VALU_DEP_3) | instskip(NEXT) | instid1(VALU_DEP_3)
	v_sub_nc_u32_e32 v43, 0, v40
	v_alignbit_b32 v44, v41, v38, v44
	s_delay_alu instid0(VALU_DEP_1) | instskip(NEXT) | instid1(VALU_DEP_1)
	v_dual_cndmask_b32 v41, v44, v41, s3 :: v_dual_bitop2_b32 v42, v42, v43 bitop3:0x14
	v_clz_i32_u32_e32 v44, v42
	s_delay_alu instid0(VALU_DEP_2) | instskip(SKIP_1) | instid1(VALU_DEP_3)
	v_alignbit_b32 v39, v39, v41, 30
	v_alignbit_b32 v38, v41, v38, 30
	v_min_u32_e32 v44, 32, v44
	s_delay_alu instid0(VALU_DEP_3) | instskip(NEXT) | instid1(VALU_DEP_3)
	v_xor_b32_e32 v39, v39, v43
	v_dual_lshrrev_b32 v43, 29, v4 :: v_dual_bitop2_b32 v38, v38, v43 bitop3:0x14
	v_lshrrev_b32_e32 v4, 30, v4
	s_delay_alu instid0(VALU_DEP_4) | instskip(NEXT) | instid1(VALU_DEP_2)
	v_dual_sub_nc_u32 v41, 31, v44 :: v_dual_lshlrev_b32 v45, 23, v44
	v_add_nc_u32_e32 v40, v40, v4
	s_delay_alu instid0(VALU_DEP_2) | instskip(SKIP_2) | instid1(VALU_DEP_2)
	v_alignbit_b32 v42, v42, v39, v41
	v_alignbit_b32 v38, v39, v38, v41
	v_lshlrev_b32_e32 v39, 31, v43
	v_alignbit_b32 v41, v42, v38, 9
	s_delay_alu instid0(VALU_DEP_2) | instskip(SKIP_1) | instid1(VALU_DEP_3)
	v_dual_lshrrev_b32 v42, 9, v42 :: v_dual_bitop2_b32 v43, 0.5, v39 bitop3:0x54
	v_or_b32_e32 v39, 0x33000000, v39
	v_clz_i32_u32_e32 v46, v41
	s_delay_alu instid0(VALU_DEP_3) | instskip(NEXT) | instid1(VALU_DEP_2)
	v_sub_nc_u32_e32 v43, v43, v45
	v_min_u32_e32 v45, 32, v46
	s_delay_alu instid0(VALU_DEP_1) | instskip(NEXT) | instid1(VALU_DEP_3)
	v_add_lshl_u32 v44, v45, v44, 23
	v_or_b32_e32 v42, v42, v43
	v_not_b32_e32 v43, v45
	s_delay_alu instid0(VALU_DEP_2) | instskip(NEXT) | instid1(VALU_DEP_2)
	v_dual_mul_f32 v46, 0x3fc90fda, v42 :: v_dual_sub_nc_u32 v39, v39, v44
	v_alignbit_b32 v38, v41, v38, v43
	s_delay_alu instid0(VALU_DEP_2) | instskip(NEXT) | instid1(VALU_DEP_2)
	v_fma_f32 v41, 0x3fc90fda, v42, -v46
	v_lshrrev_b32_e32 v38, 9, v38
	s_delay_alu instid0(VALU_DEP_2) | instskip(NEXT) | instid1(VALU_DEP_2)
	v_fmac_f32_e32 v41, 0x33a22168, v42
	v_or_b32_e32 v38, v39, v38
	s_delay_alu instid0(VALU_DEP_1) | instskip(NEXT) | instid1(VALU_DEP_1)
	v_fmac_f32_e32 v41, 0x3fc90fda, v38
	v_add_f32_e32 v38, v46, v41
.LBB109_39:                             ;   in Loop: Header=BB109_25 Depth=1
	s_and_not1_saveexec_b32 s3, s19
; %bb.40:                               ;   in Loop: Header=BB109_25 Depth=1
	v_mul_f32_e64 v4, 0x3f22f983, |v32|
	s_delay_alu instid0(VALU_DEP_1) | instskip(NEXT) | instid1(VALU_DEP_1)
	v_rndne_f32_e32 v4, v4
	v_fma_f32 v38, 0xbfc90fda, v4, |v32|
	v_cvt_i32_f32_e32 v40, v4
	s_delay_alu instid0(VALU_DEP_2) | instskip(NEXT) | instid1(VALU_DEP_1)
	v_fmac_f32_e32 v38, 0xb3a22168, v4
	v_fmac_f32_e32 v38, 0xa7c234c4, v4
; %bb.41:                               ;   in Loop: Header=BB109_25 Depth=1
	s_or_b32 exec_lo, exec_lo, s3
	v_and_b32_e32 v39, 0x7fffffff, v31
                                        ; implicit-def: $vgpr43
                                        ; implicit-def: $vgpr41
	s_mov_b32 s4, exec_lo
	v_cmpx_ngt_f32_e64 0x48000000, |v31|
	s_xor_b32 s19, exec_lo, s4
	s_cbranch_execz .LBB109_43
; %bb.42:                               ;   in Loop: Header=BB109_25 Depth=1
	v_and_or_b32 v4, v39, s16, 0x800000
	v_dual_lshrrev_b32 v41, 23, v39 :: v_dual_mov_b32 v53, v5
	v_mov_b32_e32 v55, v5
	s_delay_alu instid0(VALU_DEP_3) | instskip(SKIP_1) | instid1(VALU_DEP_4)
	v_mul_u64_e32 v[42:43], s[8:9], v[4:5]
	v_mov_b32_e32 v45, v5
	v_add_nc_u32_e32 v41, 0xffffff88, v41
	s_delay_alu instid0(VALU_DEP_1) | instskip(NEXT) | instid1(VALU_DEP_4)
	v_cmp_lt_u32_e64 s3, 63, v41
	v_mov_b32_e32 v44, v43
	s_delay_alu instid0(VALU_DEP_2) | instskip(NEXT) | instid1(VALU_DEP_2)
	v_cndmask_b32_e64 v43, 0, 0xffffffc0, s3
	v_mad_nc_u64_u32 v[44:45], 0x3c439041, v4, v[44:45]
	s_delay_alu instid0(VALU_DEP_2) | instskip(NEXT) | instid1(VALU_DEP_1)
	v_dual_mov_b32 v47, v5 :: v_dual_add_nc_u32 v41, v43, v41
	v_cmp_lt_u32_e64 s4, 31, v41
	s_delay_alu instid0(VALU_DEP_3) | instskip(NEXT) | instid1(VALU_DEP_2)
	v_mov_b32_e32 v46, v45
	v_cndmask_b32_e64 v43, 0, 0xffffffe0, s4
	s_delay_alu instid0(VALU_DEP_2) | instskip(NEXT) | instid1(VALU_DEP_1)
	v_mad_nc_u64_u32 v[46:47], 0xdb629599, v4, v[46:47]
	v_dual_mov_b32 v49, v5 :: v_dual_mov_b32 v48, v47
	s_delay_alu instid0(VALU_DEP_2) | instskip(NEXT) | instid1(VALU_DEP_2)
	v_cndmask_b32_e64 v42, v46, v42, s3
	v_mad_nc_u64_u32 v[48:49], 0xf534ddc0, v4, v[48:49]
	s_delay_alu instid0(VALU_DEP_1) | instskip(NEXT) | instid1(VALU_DEP_1)
	v_dual_mov_b32 v51, v5 :: v_dual_mov_b32 v50, v49
	v_mad_nc_u64_u32 v[50:51], 0xfc2757d1, v4, v[50:51]
	s_delay_alu instid0(VALU_DEP_1) | instskip(NEXT) | instid1(VALU_DEP_1)
	v_dual_mov_b32 v52, v51 :: v_dual_cndmask_b32 v49, v50, v46, s3
	v_mad_nc_u64_u32 v[52:53], 0x4e441529, v4, v[52:53]
	s_delay_alu instid0(VALU_DEP_1) | instskip(NEXT) | instid1(VALU_DEP_1)
	v_mov_b32_e32 v54, v53
	v_mad_nc_u64_u32 v[54:55], 0xa2f9836e, v4, v[54:55]
	s_delay_alu instid0(VALU_DEP_3) | instskip(NEXT) | instid1(VALU_DEP_1)
	v_dual_add_nc_u32 v4, v43, v41 :: v_dual_cndmask_b32 v43, v52, v48, s3
	v_cmp_lt_u32_e64 s5, 31, v4
	s_delay_alu instid0(VALU_DEP_1) | instskip(NEXT) | instid1(VALU_DEP_4)
	v_cndmask_b32_e64 v41, 0, 0xffffffe0, s5
	v_dual_cndmask_b32 v45, v54, v50, s3 :: v_dual_cndmask_b32 v47, v55, v52, s3
	s_delay_alu instid0(VALU_DEP_2) | instskip(NEXT) | instid1(VALU_DEP_2)
	v_add_nc_u32_e32 v4, v41, v4
	v_dual_cndmask_b32 v41, v48, v44, s3 :: v_dual_cndmask_b32 v44, v45, v43, s4
	s_delay_alu instid0(VALU_DEP_3) | instskip(NEXT) | instid1(VALU_DEP_3)
	v_cndmask_b32_e64 v45, v47, v45, s4
	v_dual_cndmask_b32 v43, v43, v49, s4 :: v_dual_sub_nc_u32 v47, 32, v4
	s_delay_alu instid0(VALU_DEP_3) | instskip(SKIP_1) | instid1(VALU_DEP_3)
	v_cndmask_b32_e64 v48, v49, v41, s4
	v_cmp_eq_u32_e64 s3, 0, v4
	v_dual_cndmask_b32 v45, v45, v44, s5 :: v_dual_cndmask_b32 v44, v44, v43, s5
	s_delay_alu instid0(VALU_DEP_1) | instskip(NEXT) | instid1(VALU_DEP_1)
	v_alignbit_b32 v49, v45, v44, v47
	v_dual_cndmask_b32 v43, v43, v48, s5 :: v_dual_cndmask_b32 v4, v49, v45, s3
	s_delay_alu instid0(VALU_DEP_1) | instskip(NEXT) | instid1(VALU_DEP_1)
	v_alignbit_b32 v46, v44, v43, v47
	v_dual_cndmask_b32 v41, v41, v42, s4 :: v_dual_cndmask_b32 v42, v46, v44, s3
	s_delay_alu instid0(VALU_DEP_3) | instskip(NEXT) | instid1(VALU_DEP_2)
	v_bfe_u32 v44, v4, 29, 1
	v_cndmask_b32_e64 v41, v48, v41, s5
	s_delay_alu instid0(VALU_DEP_3) | instskip(NEXT) | instid1(VALU_DEP_3)
	v_alignbit_b32 v45, v4, v42, 30
	v_sub_nc_u32_e32 v46, 0, v44
	s_delay_alu instid0(VALU_DEP_3) | instskip(NEXT) | instid1(VALU_DEP_1)
	v_alignbit_b32 v47, v43, v41, v47
	v_dual_cndmask_b32 v43, v47, v43, s3 :: v_dual_bitop2_b32 v45, v45, v46 bitop3:0x14
	s_delay_alu instid0(VALU_DEP_1) | instskip(NEXT) | instid1(VALU_DEP_2)
	v_clz_i32_u32_e32 v47, v45
	v_alignbit_b32 v42, v42, v43, 30
	v_alignbit_b32 v41, v43, v41, 30
	s_delay_alu instid0(VALU_DEP_3) | instskip(NEXT) | instid1(VALU_DEP_3)
	v_min_u32_e32 v47, 32, v47
	v_xor_b32_e32 v42, v42, v46
	s_delay_alu instid0(VALU_DEP_3) | instskip(NEXT) | instid1(VALU_DEP_3)
	v_dual_lshrrev_b32 v46, 29, v4 :: v_dual_bitop2_b32 v41, v41, v46 bitop3:0x14
	v_dual_lshrrev_b32 v4, 30, v4 :: v_dual_sub_nc_u32 v43, 31, v47
	v_lshlrev_b32_e32 v48, 23, v47
	s_delay_alu instid0(VALU_DEP_2) | instskip(NEXT) | instid1(VALU_DEP_4)
	v_alignbit_b32 v45, v45, v42, v43
	v_alignbit_b32 v41, v42, v41, v43
	v_lshlrev_b32_e32 v42, 31, v46
	s_delay_alu instid0(VALU_DEP_2) | instskip(NEXT) | instid1(VALU_DEP_2)
	v_alignbit_b32 v43, v45, v41, 9
	v_dual_lshrrev_b32 v45, 9, v45 :: v_dual_bitop2_b32 v46, 0.5, v42 bitop3:0x54
	v_or_b32_e32 v42, 0x33000000, v42
	s_delay_alu instid0(VALU_DEP_3) | instskip(NEXT) | instid1(VALU_DEP_3)
	v_clz_i32_u32_e32 v49, v43
	v_sub_nc_u32_e32 v46, v46, v48
	s_delay_alu instid0(VALU_DEP_2) | instskip(NEXT) | instid1(VALU_DEP_1)
	v_min_u32_e32 v48, 32, v49
	v_add_lshl_u32 v47, v48, v47, 23
	s_delay_alu instid0(VALU_DEP_3) | instskip(SKIP_1) | instid1(VALU_DEP_2)
	v_or_b32_e32 v45, v45, v46
	v_not_b32_e32 v46, v48
	v_dual_mul_f32 v49, 0x3fc90fda, v45 :: v_dual_sub_nc_u32 v42, v42, v47
	s_delay_alu instid0(VALU_DEP_2) | instskip(NEXT) | instid1(VALU_DEP_2)
	v_alignbit_b32 v41, v43, v41, v46
	v_fma_f32 v43, 0x3fc90fda, v45, -v49
	s_delay_alu instid0(VALU_DEP_2) | instskip(NEXT) | instid1(VALU_DEP_2)
	v_lshrrev_b32_e32 v41, 9, v41
	v_fmac_f32_e32 v43, 0x33a22168, v45
	s_delay_alu instid0(VALU_DEP_2) | instskip(NEXT) | instid1(VALU_DEP_1)
	v_or_b32_e32 v41, v42, v41
	v_fmac_f32_e32 v43, 0x3fc90fda, v41
	s_delay_alu instid0(VALU_DEP_1)
	v_dual_add_f32 v41, v49, v43 :: v_dual_add_nc_u32 v43, v44, v4
.LBB109_43:                             ;   in Loop: Header=BB109_25 Depth=1
	s_and_not1_saveexec_b32 s3, s19
; %bb.44:                               ;   in Loop: Header=BB109_25 Depth=1
	v_mul_f32_e64 v4, 0x3f22f983, |v31|
	s_delay_alu instid0(VALU_DEP_1) | instskip(NEXT) | instid1(VALU_DEP_1)
	v_rndne_f32_e32 v4, v4
	v_fma_f32 v41, 0xbfc90fda, v4, |v31|
	v_cvt_i32_f32_e32 v43, v4
	s_delay_alu instid0(VALU_DEP_2) | instskip(NEXT) | instid1(VALU_DEP_1)
	v_fmac_f32_e32 v41, 0xb3a22168, v4
	v_fmac_f32_e32 v41, 0xa7c234c4, v4
; %bb.45:                               ;   in Loop: Header=BB109_25 Depth=1
	s_or_b32 exec_lo, exec_lo, s3
	v_and_b32_e32 v42, 0x7fffffff, v30
                                        ; implicit-def: $vgpr44
                                        ; implicit-def: $vgpr4
	s_mov_b32 s4, exec_lo
	v_cmpx_ngt_f32_e64 0x48000000, |v30|
	s_xor_b32 s19, exec_lo, s4
	s_cbranch_execnz .LBB109_51
; %bb.46:                               ;   in Loop: Header=BB109_25 Depth=1
	s_and_not1_saveexec_b32 s3, s19
	s_cbranch_execnz .LBB109_52
.LBB109_47:                             ;   in Loop: Header=BB109_25 Depth=1
	s_or_b32 exec_lo, exec_lo, s3
	s_and_saveexec_b32 s3, s2
	s_delay_alu instid0(SALU_CYCLE_1)
	s_xor_b32 s3, exec_lo, s3
	s_cbranch_execnz .LBB109_53
.LBB109_48:                             ;   in Loop: Header=BB109_25 Depth=1
	s_or_b32 exec_lo, exec_lo, s3
	s_and_saveexec_b32 s2, s1
	s_cbranch_execnz .LBB109_54
.LBB109_49:                             ;   in Loop: Header=BB109_25 Depth=1
	s_or_b32 exec_lo, exec_lo, s2
	s_and_saveexec_b32 s1, s0
	s_cbranch_execnz .LBB109_55
.LBB109_50:                             ;   in Loop: Header=BB109_25 Depth=1
	s_or_b32 exec_lo, exec_lo, s1
	s_and_saveexec_b32 s0, vcc_lo
	s_cbranch_execz .LBB109_24
	s_branch .LBB109_56
.LBB109_51:                             ;   in Loop: Header=BB109_25 Depth=1
	v_and_or_b32 v4, v42, s16, 0x800000
	v_dual_mov_b32 v55, v5 :: v_dual_mov_b32 v57, v5
	s_delay_alu instid0(VALU_DEP_2) | instskip(NEXT) | instid1(VALU_DEP_1)
	v_mul_u64_e32 v[44:45], s[8:9], v[4:5]
	v_dual_mov_b32 v47, v5 :: v_dual_mov_b32 v46, v45
	v_lshrrev_b32_e32 v45, 23, v42
	s_delay_alu instid0(VALU_DEP_2) | instskip(SKIP_1) | instid1(VALU_DEP_3)
	v_mad_nc_u64_u32 v[46:47], 0x3c439041, v4, v[46:47]
	v_mov_b32_e32 v49, v5
	v_add_nc_u32_e32 v45, 0xffffff88, v45
	s_delay_alu instid0(VALU_DEP_1) | instskip(NEXT) | instid1(VALU_DEP_4)
	v_cmp_lt_u32_e64 s3, 63, v45
	v_mov_b32_e32 v48, v47
	s_delay_alu instid0(VALU_DEP_2) | instskip(NEXT) | instid1(VALU_DEP_2)
	v_cndmask_b32_e64 v47, 0, 0xffffffc0, s3
	v_mad_nc_u64_u32 v[48:49], 0xdb629599, v4, v[48:49]
	s_delay_alu instid0(VALU_DEP_2) | instskip(NEXT) | instid1(VALU_DEP_1)
	v_dual_mov_b32 v51, v5 :: v_dual_add_nc_u32 v45, v47, v45
	v_cmp_lt_u32_e64 s4, 31, v45
	s_delay_alu instid0(VALU_DEP_3) | instskip(NEXT) | instid1(VALU_DEP_2)
	v_mov_b32_e32 v50, v49
	v_cndmask_b32_e64 v47, 0, 0xffffffe0, s4
	v_cndmask_b32_e64 v44, v48, v44, s3
	s_delay_alu instid0(VALU_DEP_3) | instskip(NEXT) | instid1(VALU_DEP_1)
	v_mad_nc_u64_u32 v[50:51], 0xf534ddc0, v4, v[50:51]
	v_dual_mov_b32 v53, v5 :: v_dual_mov_b32 v52, v51
	s_delay_alu instid0(VALU_DEP_1) | instskip(NEXT) | instid1(VALU_DEP_1)
	v_mad_nc_u64_u32 v[52:53], 0xfc2757d1, v4, v[52:53]
	v_mov_b32_e32 v54, v53
	s_delay_alu instid0(VALU_DEP_1) | instskip(NEXT) | instid1(VALU_DEP_1)
	v_mad_nc_u64_u32 v[54:55], 0x4e441529, v4, v[54:55]
	v_mov_b32_e32 v56, v55
	s_delay_alu instid0(VALU_DEP_1) | instskip(NEXT) | instid1(VALU_DEP_3)
	v_mad_nc_u64_u32 v[56:57], 0xa2f9836e, v4, v[56:57]
	v_dual_add_nc_u32 v4, v47, v45 :: v_dual_cndmask_b32 v47, v54, v50, s3
	s_delay_alu instid0(VALU_DEP_2) | instskip(NEXT) | instid1(VALU_DEP_2)
	v_cndmask_b32_e64 v49, v56, v52, s3
	v_cmp_lt_u32_e64 s5, 31, v4
	s_delay_alu instid0(VALU_DEP_4) | instskip(NEXT) | instid1(VALU_DEP_2)
	v_dual_cndmask_b32 v51, v57, v54, s3 :: v_dual_cndmask_b32 v52, v52, v48, s3
	v_cndmask_b32_e64 v45, 0, 0xffffffe0, s5
	s_delay_alu instid0(VALU_DEP_1) | instskip(NEXT) | instid1(VALU_DEP_3)
	v_dual_add_nc_u32 v4, v45, v4 :: v_dual_cndmask_b32 v45, v50, v46, s3
	v_dual_cndmask_b32 v46, v49, v47, s4 :: v_dual_cndmask_b32 v49, v51, v49, s4
	s_delay_alu instid0(VALU_DEP_4) | instskip(NEXT) | instid1(VALU_DEP_3)
	v_cndmask_b32_e64 v47, v47, v52, s4
	v_dual_sub_nc_u32 v50, 32, v4 :: v_dual_cndmask_b32 v51, v52, v45, s4
	v_cmp_eq_u32_e64 s3, 0, v4
	s_delay_alu instid0(VALU_DEP_3) | instskip(NEXT) | instid1(VALU_DEP_1)
	v_dual_cndmask_b32 v49, v49, v46, s5 :: v_dual_cndmask_b32 v46, v46, v47, s5
	v_alignbit_b32 v52, v49, v46, v50
	s_delay_alu instid0(VALU_DEP_1) | instskip(NEXT) | instid1(VALU_DEP_1)
	v_dual_cndmask_b32 v47, v47, v51, s5 :: v_dual_cndmask_b32 v4, v52, v49, s3
	v_alignbit_b32 v48, v46, v47, v50
	s_delay_alu instid0(VALU_DEP_1) | instskip(NEXT) | instid1(VALU_DEP_3)
	v_dual_cndmask_b32 v44, v45, v44, s4 :: v_dual_cndmask_b32 v45, v48, v46, s3
	v_bfe_u32 v46, v4, 29, 1
	s_delay_alu instid0(VALU_DEP_2) | instskip(NEXT) | instid1(VALU_DEP_3)
	v_cndmask_b32_e64 v44, v51, v44, s5
	v_alignbit_b32 v48, v4, v45, 30
	s_delay_alu instid0(VALU_DEP_3) | instskip(NEXT) | instid1(VALU_DEP_3)
	v_sub_nc_u32_e32 v49, 0, v46
	v_alignbit_b32 v50, v47, v44, v50
	s_delay_alu instid0(VALU_DEP_1) | instskip(NEXT) | instid1(VALU_DEP_1)
	v_dual_cndmask_b32 v47, v50, v47, s3 :: v_dual_bitop2_b32 v48, v48, v49 bitop3:0x14
	v_clz_i32_u32_e32 v50, v48
	s_delay_alu instid0(VALU_DEP_2) | instskip(SKIP_1) | instid1(VALU_DEP_3)
	v_alignbit_b32 v45, v45, v47, 30
	v_alignbit_b32 v44, v47, v44, 30
	v_min_u32_e32 v50, 32, v50
	s_delay_alu instid0(VALU_DEP_3) | instskip(NEXT) | instid1(VALU_DEP_3)
	v_xor_b32_e32 v45, v45, v49
	v_dual_lshrrev_b32 v49, 29, v4 :: v_dual_bitop2_b32 v44, v44, v49 bitop3:0x14
	s_delay_alu instid0(VALU_DEP_3) | instskip(NEXT) | instid1(VALU_DEP_1)
	v_dual_sub_nc_u32 v47, 31, v50 :: v_dual_lshlrev_b32 v51, 23, v50
	v_alignbit_b32 v48, v48, v45, v47
	s_delay_alu instid0(VALU_DEP_3) | instskip(NEXT) | instid1(VALU_DEP_4)
	v_alignbit_b32 v44, v45, v44, v47
	v_lshlrev_b32_e32 v45, 31, v49
	s_delay_alu instid0(VALU_DEP_2) | instskip(NEXT) | instid1(VALU_DEP_2)
	v_alignbit_b32 v47, v48, v44, 9
	v_dual_lshrrev_b32 v48, 9, v48 :: v_dual_bitop2_b32 v49, 0.5, v45 bitop3:0x54
	v_or_b32_e32 v45, 0x33000000, v45
	s_delay_alu instid0(VALU_DEP_3) | instskip(NEXT) | instid1(VALU_DEP_3)
	v_clz_i32_u32_e32 v52, v47
	v_sub_nc_u32_e32 v49, v49, v51
	s_delay_alu instid0(VALU_DEP_2) | instskip(NEXT) | instid1(VALU_DEP_1)
	v_min_u32_e32 v51, 32, v52
	v_add_lshl_u32 v50, v51, v50, 23
	s_delay_alu instid0(VALU_DEP_3) | instskip(SKIP_1) | instid1(VALU_DEP_2)
	v_or_b32_e32 v48, v48, v49
	v_not_b32_e32 v49, v51
	v_dual_mul_f32 v52, 0x3fc90fda, v48 :: v_dual_sub_nc_u32 v45, v45, v50
	s_delay_alu instid0(VALU_DEP_2) | instskip(NEXT) | instid1(VALU_DEP_2)
	v_alignbit_b32 v44, v47, v44, v49
	v_fma_f32 v47, 0x3fc90fda, v48, -v52
	s_delay_alu instid0(VALU_DEP_2) | instskip(NEXT) | instid1(VALU_DEP_2)
	v_lshrrev_b32_e32 v44, 9, v44
	v_fmac_f32_e32 v47, 0x33a22168, v48
	s_delay_alu instid0(VALU_DEP_2) | instskip(NEXT) | instid1(VALU_DEP_1)
	v_or_b32_e32 v44, v45, v44
	v_fmac_f32_e32 v47, 0x3fc90fda, v44
	v_lshrrev_b32_e32 v44, 30, v4
	s_delay_alu instid0(VALU_DEP_1)
	v_dual_add_nc_u32 v44, v46, v44 :: v_dual_add_f32 v4, v52, v47
	s_and_not1_saveexec_b32 s3, s19
	s_cbranch_execz .LBB109_47
.LBB109_52:                             ;   in Loop: Header=BB109_25 Depth=1
	v_mul_f32_e64 v4, 0x3f22f983, |v30|
	s_delay_alu instid0(VALU_DEP_1) | instskip(NEXT) | instid1(VALU_DEP_1)
	v_rndne_f32_e32 v44, v4
	v_fma_f32 v4, 0xbfc90fda, v44, |v30|
	s_delay_alu instid0(VALU_DEP_1) | instskip(NEXT) | instid1(VALU_DEP_1)
	v_fmac_f32_e32 v4, 0xb3a22168, v44
	v_fmac_f32_e32 v4, 0xa7c234c4, v44
	v_cvt_i32_f32_e32 v44, v44
	s_or_b32 exec_lo, exec_lo, s3
	s_and_saveexec_b32 s3, s2
	s_delay_alu instid0(SALU_CYCLE_1)
	s_xor_b32 s3, exec_lo, s3
	s_cbranch_execz .LBB109_48
.LBB109_53:                             ;   in Loop: Header=BB109_25 Depth=1
	v_dual_mul_f32 v45, v35, v35 :: v_dual_bitop2_b32 v48, 1, v37 bitop3:0x40
	v_lshlrev_b32_e32 v37, 30, v37
	v_xor_b32_e32 v34, v34, v33
	s_delay_alu instid0(VALU_DEP_3) | instskip(NEXT) | instid1(VALU_DEP_4)
	v_fmaak_f32 v46, s17, v45, 0x3c0881c4
	v_cmp_eq_u32_e64 s2, 0, v48
	s_delay_alu instid0(VALU_DEP_4) | instskip(NEXT) | instid1(VALU_DEP_3)
	v_and_b32_e32 v37, 0x80000000, v37
	v_fmaak_f32 v46, v45, v46, 0xbe2aaa9d
	s_delay_alu instid0(VALU_DEP_1) | instskip(NEXT) | instid1(VALU_DEP_1)
	v_dual_fmaak_f32 v47, s18, v45, 0xbab64f3b :: v_dual_mul_f32 v46, v45, v46
	v_fmaak_f32 v47, v45, v47, 0x3d2aabf7
	s_delay_alu instid0(VALU_DEP_2) | instskip(NEXT) | instid1(VALU_DEP_2)
	v_fmac_f32_e32 v35, v35, v46
	v_fmaak_f32 v47, v45, v47, 0xbf000004
	s_delay_alu instid0(VALU_DEP_1) | instskip(NEXT) | instid1(VALU_DEP_1)
	v_fma_f32 v45, v45, v47, 1.0
	v_cndmask_b32_e64 v35, v45, v35, s2
	v_cmp_class_f32_e64 s2, v33, 0x1f8
	s_delay_alu instid0(VALU_DEP_2) | instskip(NEXT) | instid1(VALU_DEP_1)
	v_xor3_b32 v34, v34, v37, v35
	v_cndmask_b32_e64 v33, 0x7fc00000, v34, s2
	v_add_nc_u64_e32 v[34:35], s[6:7], v[10:11]
	s_delay_alu instid0(VALU_DEP_2)
	v_cvt_f16_f32_e32 v33, v33
	global_store_b16 v[34:35], v33, off
	s_wait_xcnt 0x0
	s_or_b32 exec_lo, exec_lo, s3
	s_and_saveexec_b32 s2, s1
	s_cbranch_execz .LBB109_49
.LBB109_54:                             ;   in Loop: Header=BB109_25 Depth=1
	v_dual_mul_f32 v33, v38, v38 :: v_dual_bitop2_b32 v37, 1, v40 bitop3:0x40
	v_lshlrev_b32_e32 v40, 30, v40
	s_delay_alu instid0(VALU_DEP_2) | instskip(NEXT) | instid1(VALU_DEP_3)
	v_fmaak_f32 v34, s17, v33, 0x3c0881c4
	v_cmp_eq_u32_e64 s1, 0, v37
	s_delay_alu instid0(VALU_DEP_2) | instskip(NEXT) | instid1(VALU_DEP_1)
	v_fmaak_f32 v34, v33, v34, 0xbe2aaa9d
	v_dual_fmaak_f32 v35, s18, v33, 0xbab64f3b :: v_dual_mul_f32 v34, v33, v34
	s_delay_alu instid0(VALU_DEP_1) | instskip(NEXT) | instid1(VALU_DEP_1)
	v_dual_fmaak_f32 v35, v33, v35, 0x3d2aabf7 :: v_dual_fmac_f32 v38, v38, v34
	v_fmaak_f32 v35, v33, v35, 0xbf000004
	v_and_b32_e32 v34, 0x80000000, v40
	s_delay_alu instid0(VALU_DEP_2) | instskip(NEXT) | instid1(VALU_DEP_1)
	v_fma_f32 v33, v33, v35, 1.0
	v_dual_cndmask_b32 v33, v33, v38, s1 :: v_dual_bitop2_b32 v35, v36, v32 bitop3:0x14
	v_cmp_class_f32_e64 s1, v32, 0x1f8
	s_delay_alu instid0(VALU_DEP_2) | instskip(NEXT) | instid1(VALU_DEP_1)
	v_xor3_b32 v33, v35, v34, v33
	v_cndmask_b32_e64 v34, 0x7fc00000, v33, s1
	v_add_nc_u64_e32 v[32:33], s[6:7], v[28:29]
	s_delay_alu instid0(VALU_DEP_2)
	v_cvt_f16_f32_e32 v34, v34
	global_store_b16 v[32:33], v34, off
	s_wait_xcnt 0x0
	s_or_b32 exec_lo, exec_lo, s2
	s_and_saveexec_b32 s1, s0
	s_cbranch_execz .LBB109_50
.LBB109_55:                             ;   in Loop: Header=BB109_25 Depth=1
	v_dual_mul_f32 v32, v41, v41 :: v_dual_bitop2_b32 v35, 1, v43 bitop3:0x40
	s_delay_alu instid0(VALU_DEP_1) | instskip(NEXT) | instid1(VALU_DEP_2)
	v_dual_fmaak_f32 v33, s17, v32, 0x3c0881c4 :: v_dual_lshlrev_b32 v36, 30, v43
	v_cmp_eq_u32_e64 s0, 0, v35
	s_delay_alu instid0(VALU_DEP_2) | instskip(NEXT) | instid1(VALU_DEP_1)
	v_fmaak_f32 v33, v32, v33, 0xbe2aaa9d
	v_dual_fmaak_f32 v34, s18, v32, 0xbab64f3b :: v_dual_mul_f32 v33, v32, v33
	s_delay_alu instid0(VALU_DEP_1) | instskip(NEXT) | instid1(VALU_DEP_1)
	v_dual_fmaak_f32 v34, v32, v34, 0x3d2aabf7 :: v_dual_fmac_f32 v41, v41, v33
	v_fmaak_f32 v34, v32, v34, 0xbf000004
	v_and_b32_e32 v33, 0x80000000, v36
	s_delay_alu instid0(VALU_DEP_2) | instskip(NEXT) | instid1(VALU_DEP_1)
	v_fma_f32 v32, v32, v34, 1.0
	v_dual_cndmask_b32 v32, v32, v41, s0 :: v_dual_bitop2_b32 v34, v39, v31 bitop3:0x14
	v_cmp_class_f32_e64 s0, v31, 0x1f8
	s_delay_alu instid0(VALU_DEP_2) | instskip(NEXT) | instid1(VALU_DEP_1)
	v_xor3_b32 v32, v34, v33, v32
	v_cndmask_b32_e64 v31, 0x7fc00000, v32, s0
	v_add_nc_u64_e32 v[32:33], s[6:7], v[20:21]
	s_delay_alu instid0(VALU_DEP_2)
	v_cvt_f16_f32_e32 v31, v31
	global_store_b16 v[32:33], v31, off
	s_wait_xcnt 0x0
	s_or_b32 exec_lo, exec_lo, s1
	s_and_saveexec_b32 s0, vcc_lo
	s_cbranch_execz .LBB109_24
.LBB109_56:                             ;   in Loop: Header=BB109_25 Depth=1
	v_mul_f32_e32 v31, v4, v4
	v_dual_lshlrev_b32 v35, 30, v44 :: v_dual_bitop2_b32 v34, 1, v44 bitop3:0x40
	s_delay_alu instid0(VALU_DEP_2) | instskip(NEXT) | instid1(VALU_DEP_2)
	v_fmaak_f32 v32, s17, v31, 0x3c0881c4
	v_cmp_eq_u32_e32 vcc_lo, 0, v34
	s_delay_alu instid0(VALU_DEP_2) | instskip(NEXT) | instid1(VALU_DEP_1)
	v_fmaak_f32 v32, v31, v32, 0xbe2aaa9d
	v_dual_fmaak_f32 v33, s18, v31, 0xbab64f3b :: v_dual_mul_f32 v32, v31, v32
	s_delay_alu instid0(VALU_DEP_1) | instskip(NEXT) | instid1(VALU_DEP_1)
	v_dual_fmaak_f32 v33, v31, v33, 0x3d2aabf7 :: v_dual_fmac_f32 v4, v4, v32
	v_fmaak_f32 v33, v31, v33, 0xbf000004
	v_and_b32_e32 v32, 0x80000000, v35
	s_delay_alu instid0(VALU_DEP_2) | instskip(NEXT) | instid1(VALU_DEP_1)
	v_fma_f32 v31, v31, v33, 1.0
	v_dual_cndmask_b32 v4, v31, v4, vcc_lo :: v_dual_bitop2_b32 v31, v42, v30 bitop3:0x14
	v_cmp_class_f32_e64 vcc_lo, v30, 0x1f8
	s_delay_alu instid0(VALU_DEP_2) | instskip(SKIP_1) | instid1(VALU_DEP_2)
	v_xor3_b32 v4, v31, v32, v4
	v_add_nc_u64_e32 v[30:31], s[6:7], v[24:25]
	v_cndmask_b32_e32 v4, 0x7fc00000, v4, vcc_lo
	s_delay_alu instid0(VALU_DEP_1)
	v_cvt_f16_f32_e32 v4, v4
	global_store_b16 v[30:31], v4, off
	s_branch .LBB109_24
.LBB109_57:
	s_endpgm
	.section	.rodata,"a",@progbits
	.p2align	6, 0x0
	.amdhsa_kernel _ZN2at6native12_GLOBAL__N_125multi_tensor_apply_kernelINS1_18TensorListMetadataILi2EEENS1_14UnaryOpFunctorIN3c104HalfELi2ELi1ELi1EEEJNS0_3SinIfEEEEEvT_T0_DpT1_
		.amdhsa_group_segment_fixed_size 0
		.amdhsa_private_segment_fixed_size 0
		.amdhsa_kernarg_size 3408
		.amdhsa_user_sgpr_count 2
		.amdhsa_user_sgpr_dispatch_ptr 0
		.amdhsa_user_sgpr_queue_ptr 0
		.amdhsa_user_sgpr_kernarg_segment_ptr 1
		.amdhsa_user_sgpr_dispatch_id 0
		.amdhsa_user_sgpr_kernarg_preload_length 0
		.amdhsa_user_sgpr_kernarg_preload_offset 0
		.amdhsa_user_sgpr_private_segment_size 0
		.amdhsa_wavefront_size32 1
		.amdhsa_uses_dynamic_stack 0
		.amdhsa_enable_private_segment 0
		.amdhsa_system_sgpr_workgroup_id_x 1
		.amdhsa_system_sgpr_workgroup_id_y 0
		.amdhsa_system_sgpr_workgroup_id_z 0
		.amdhsa_system_sgpr_workgroup_info 0
		.amdhsa_system_vgpr_workitem_id 0
		.amdhsa_next_free_vgpr 58
		.amdhsa_next_free_sgpr 24
		.amdhsa_named_barrier_count 0
		.amdhsa_reserve_vcc 1
		.amdhsa_float_round_mode_32 0
		.amdhsa_float_round_mode_16_64 0
		.amdhsa_float_denorm_mode_32 3
		.amdhsa_float_denorm_mode_16_64 3
		.amdhsa_fp16_overflow 0
		.amdhsa_memory_ordered 1
		.amdhsa_forward_progress 1
		.amdhsa_inst_pref_size 70
		.amdhsa_round_robin_scheduling 0
		.amdhsa_exception_fp_ieee_invalid_op 0
		.amdhsa_exception_fp_denorm_src 0
		.amdhsa_exception_fp_ieee_div_zero 0
		.amdhsa_exception_fp_ieee_overflow 0
		.amdhsa_exception_fp_ieee_underflow 0
		.amdhsa_exception_fp_ieee_inexact 0
		.amdhsa_exception_int_div_zero 0
	.end_amdhsa_kernel
	.section	.text._ZN2at6native12_GLOBAL__N_125multi_tensor_apply_kernelINS1_18TensorListMetadataILi2EEENS1_14UnaryOpFunctorIN3c104HalfELi2ELi1ELi1EEEJNS0_3SinIfEEEEEvT_T0_DpT1_,"axG",@progbits,_ZN2at6native12_GLOBAL__N_125multi_tensor_apply_kernelINS1_18TensorListMetadataILi2EEENS1_14UnaryOpFunctorIN3c104HalfELi2ELi1ELi1EEEJNS0_3SinIfEEEEEvT_T0_DpT1_,comdat
.Lfunc_end109:
	.size	_ZN2at6native12_GLOBAL__N_125multi_tensor_apply_kernelINS1_18TensorListMetadataILi2EEENS1_14UnaryOpFunctorIN3c104HalfELi2ELi1ELi1EEEJNS0_3SinIfEEEEEvT_T0_DpT1_, .Lfunc_end109-_ZN2at6native12_GLOBAL__N_125multi_tensor_apply_kernelINS1_18TensorListMetadataILi2EEENS1_14UnaryOpFunctorIN3c104HalfELi2ELi1ELi1EEEJNS0_3SinIfEEEEEvT_T0_DpT1_
                                        ; -- End function
	.set _ZN2at6native12_GLOBAL__N_125multi_tensor_apply_kernelINS1_18TensorListMetadataILi2EEENS1_14UnaryOpFunctorIN3c104HalfELi2ELi1ELi1EEEJNS0_3SinIfEEEEEvT_T0_DpT1_.num_vgpr, 58
	.set _ZN2at6native12_GLOBAL__N_125multi_tensor_apply_kernelINS1_18TensorListMetadataILi2EEENS1_14UnaryOpFunctorIN3c104HalfELi2ELi1ELi1EEEJNS0_3SinIfEEEEEvT_T0_DpT1_.num_agpr, 0
	.set _ZN2at6native12_GLOBAL__N_125multi_tensor_apply_kernelINS1_18TensorListMetadataILi2EEENS1_14UnaryOpFunctorIN3c104HalfELi2ELi1ELi1EEEJNS0_3SinIfEEEEEvT_T0_DpT1_.numbered_sgpr, 24
	.set _ZN2at6native12_GLOBAL__N_125multi_tensor_apply_kernelINS1_18TensorListMetadataILi2EEENS1_14UnaryOpFunctorIN3c104HalfELi2ELi1ELi1EEEJNS0_3SinIfEEEEEvT_T0_DpT1_.num_named_barrier, 0
	.set _ZN2at6native12_GLOBAL__N_125multi_tensor_apply_kernelINS1_18TensorListMetadataILi2EEENS1_14UnaryOpFunctorIN3c104HalfELi2ELi1ELi1EEEJNS0_3SinIfEEEEEvT_T0_DpT1_.private_seg_size, 0
	.set _ZN2at6native12_GLOBAL__N_125multi_tensor_apply_kernelINS1_18TensorListMetadataILi2EEENS1_14UnaryOpFunctorIN3c104HalfELi2ELi1ELi1EEEJNS0_3SinIfEEEEEvT_T0_DpT1_.uses_vcc, 1
	.set _ZN2at6native12_GLOBAL__N_125multi_tensor_apply_kernelINS1_18TensorListMetadataILi2EEENS1_14UnaryOpFunctorIN3c104HalfELi2ELi1ELi1EEEJNS0_3SinIfEEEEEvT_T0_DpT1_.uses_flat_scratch, 0
	.set _ZN2at6native12_GLOBAL__N_125multi_tensor_apply_kernelINS1_18TensorListMetadataILi2EEENS1_14UnaryOpFunctorIN3c104HalfELi2ELi1ELi1EEEJNS0_3SinIfEEEEEvT_T0_DpT1_.has_dyn_sized_stack, 0
	.set _ZN2at6native12_GLOBAL__N_125multi_tensor_apply_kernelINS1_18TensorListMetadataILi2EEENS1_14UnaryOpFunctorIN3c104HalfELi2ELi1ELi1EEEJNS0_3SinIfEEEEEvT_T0_DpT1_.has_recursion, 0
	.set _ZN2at6native12_GLOBAL__N_125multi_tensor_apply_kernelINS1_18TensorListMetadataILi2EEENS1_14UnaryOpFunctorIN3c104HalfELi2ELi1ELi1EEEJNS0_3SinIfEEEEEvT_T0_DpT1_.has_indirect_call, 0
	.section	.AMDGPU.csdata,"",@progbits
; Kernel info:
; codeLenInByte = 8916
; TotalNumSgprs: 26
; NumVgprs: 58
; ScratchSize: 0
; MemoryBound: 0
; FloatMode: 240
; IeeeMode: 1
; LDSByteSize: 0 bytes/workgroup (compile time only)
; SGPRBlocks: 0
; VGPRBlocks: 3
; NumSGPRsForWavesPerEU: 26
; NumVGPRsForWavesPerEU: 58
; NamedBarCnt: 0
; Occupancy: 16
; WaveLimiterHint : 0
; COMPUTE_PGM_RSRC2:SCRATCH_EN: 0
; COMPUTE_PGM_RSRC2:USER_SGPR: 2
; COMPUTE_PGM_RSRC2:TRAP_HANDLER: 0
; COMPUTE_PGM_RSRC2:TGID_X_EN: 1
; COMPUTE_PGM_RSRC2:TGID_Y_EN: 0
; COMPUTE_PGM_RSRC2:TGID_Z_EN: 0
; COMPUTE_PGM_RSRC2:TIDIG_COMP_CNT: 0
	.section	.text._ZN2at6native12_GLOBAL__N_125multi_tensor_apply_kernelINS1_18TensorListMetadataILi2EEENS1_14UnaryOpFunctorIN3c108BFloat16ELi2ELi1ELi1EEEJNS0_3SinIfEEEEEvT_T0_DpT1_,"axG",@progbits,_ZN2at6native12_GLOBAL__N_125multi_tensor_apply_kernelINS1_18TensorListMetadataILi2EEENS1_14UnaryOpFunctorIN3c108BFloat16ELi2ELi1ELi1EEEJNS0_3SinIfEEEEEvT_T0_DpT1_,comdat
	.globl	_ZN2at6native12_GLOBAL__N_125multi_tensor_apply_kernelINS1_18TensorListMetadataILi2EEENS1_14UnaryOpFunctorIN3c108BFloat16ELi2ELi1ELi1EEEJNS0_3SinIfEEEEEvT_T0_DpT1_ ; -- Begin function _ZN2at6native12_GLOBAL__N_125multi_tensor_apply_kernelINS1_18TensorListMetadataILi2EEENS1_14UnaryOpFunctorIN3c108BFloat16ELi2ELi1ELi1EEEJNS0_3SinIfEEEEEvT_T0_DpT1_
	.p2align	8
	.type	_ZN2at6native12_GLOBAL__N_125multi_tensor_apply_kernelINS1_18TensorListMetadataILi2EEENS1_14UnaryOpFunctorIN3c108BFloat16ELi2ELi1ELi1EEEJNS0_3SinIfEEEEEvT_T0_DpT1_,@function
_ZN2at6native12_GLOBAL__N_125multi_tensor_apply_kernelINS1_18TensorListMetadataILi2EEENS1_14UnaryOpFunctorIN3c108BFloat16ELi2ELi1ELi1EEEJNS0_3SinIfEEEEEvT_T0_DpT1_: ; @_ZN2at6native12_GLOBAL__N_125multi_tensor_apply_kernelINS1_18TensorListMetadataILi2EEENS1_14UnaryOpFunctorIN3c108BFloat16ELi2ELi1ELi1EEEJNS0_3SinIfEEEEEvT_T0_DpT1_
; %bb.0:
	s_bfe_u32 s2, ttmp6, 0x4000c
	s_and_b32 s3, ttmp6, 15
	s_add_co_i32 s2, s2, 1
	s_getreg_b32 s4, hwreg(HW_REG_IB_STS2, 6, 4)
	s_mul_i32 s2, ttmp9, s2
	s_delay_alu instid0(SALU_CYCLE_1)
	s_add_co_i32 s3, s3, s2
	s_cmp_eq_u32 s4, 0
	s_cselect_b32 s2, ttmp9, s3
	s_mov_b32 s3, 0
	s_load_u8 s11, s[0:1], s2 offset:0x600
	s_add_nc_u64 s[4:5], s[0:1], s[2:3]
	s_mul_u64 s[6:7], s[2:3], 3
	s_mov_b32 s15, s3
	s_add_nc_u64 s[6:7], s[4:5], s[6:7]
	s_load_b32 s10, s[6:7], 0x740
	s_wait_kmcnt 0x0
	s_clause 0x2
	s_load_b64 s[4:5], s[0:1], s11 offset:0x0 scale_offset
	s_load_b64 s[8:9], s[0:1], s11 offset:0x200 scale_offset
	;; [unrolled: 1-line block ×3, first 2 shown]
	s_wait_xcnt 0x0
	s_ashr_i32 s11, s10, 31
	s_delay_alu instid0(SALU_CYCLE_1)
	s_lshl_b64 s[6:7], s[10:11], 17
	s_wait_kmcnt 0x0
	s_and_b64 s[18:19], s[8:9], 7
	s_add_nc_u64 s[16:17], s[4:5], s[6:7]
	s_and_b32 s14, s12, 3
	s_and_b32 s2, s16, 7
	s_or_b64 s[14:15], s[18:19], s[14:15]
	s_lshl_b64 s[10:11], s[10:11], 16
	s_or_b64 s[2:3], s[14:15], s[2:3]
	s_sub_nc_u64 s[10:11], s[12:13], s[10:11]
	s_cmp_eq_u64 s[2:3], 0
	s_mov_b32 s2, -1
	s_cbranch_scc0 .LBB110_21
; %bb.1:
	v_min_i64 v[2:3], 0x10000, s[10:11]
	v_dual_mov_b32 v5, 0 :: v_dual_lshlrev_b32 v4, 2, v0
	s_mov_b32 s18, exec_lo
	s_delay_alu instid0(VALU_DEP_1)
	v_cmpx_lt_i64_e64 v[4:5], v[2:3]
	s_cbranch_execz .LBB110_20
; %bb.2:
	s_load_b32 s2, s[0:1], 0xc5c
	v_dual_mov_b32 v1, v5 :: v_dual_lshlrev_b32 v4, 3, v0
	s_mov_b32 s13, 0
	s_mov_b32 s19, 0x7fffff
	s_mov_b64 s[14:15], 0xfe5163ab
	s_delay_alu instid0(VALU_DEP_1)
	v_mov_b64_e32 v[8:9], v[0:1]
	v_add_nc_u64_e32 v[6:7], s[6:7], v[4:5]
	s_mov_b32 s20, 0xb94c1982
	s_mov_b32 s21, 0x37d75334
	;; [unrolled: 1-line block ×4, first 2 shown]
	s_wait_kmcnt 0x0
	s_and_b32 s12, s2, 0xffff
	s_delay_alu instid0(SALU_CYCLE_1)
	s_lshl_b32 s16, s12, 3
	s_branch .LBB110_4
.LBB110_3:                              ;   in Loop: Header=BB110_4 Depth=1
	s_or_b32 exec_lo, exec_lo, s2
	v_dual_mul_f32 v24, v20, v20 :: v_dual_bitop2_b32 v25, 1, v22 bitop3:0x40
	v_mul_f32_e32 v26, v18, v18
	v_dual_lshlrev_b32 v22, 30, v22 :: v_dual_bitop2_b32 v29, 1, v17 bitop3:0x40
	s_delay_alu instid0(VALU_DEP_3) | instskip(NEXT) | instid1(VALU_DEP_3)
	v_fmaak_f32 v27, s20, v24, 0x3c0881c4
	v_dual_fmaak_f32 v28, s21, v24, 0xbab64f3b :: v_dual_fmaak_f32 v31, s21, v26, 0xbab64f3b
	v_cmp_eq_u32_e32 vcc_lo, 0, v25
	s_delay_alu instid0(VALU_DEP_4) | instskip(NEXT) | instid1(VALU_DEP_4)
	v_bitop3_b32 v19, v19, v22, 0x80000000 bitop3:0x78
	v_dual_fmaak_f32 v27, v24, v27, 0xbe2aaa9d :: v_dual_mul_f32 v32, v13, v13
	v_fmaak_f32 v30, s20, v26, 0x3c0881c4
	v_dual_fmaak_f32 v28, v24, v28, 0x3d2aabf7 :: v_dual_fmaak_f32 v31, v26, v31, 0x3d2aabf7
	s_delay_alu instid0(VALU_DEP_3) | instskip(NEXT) | instid1(VALU_DEP_3)
	v_mul_f32_e32 v27, v24, v27
	v_dual_mul_f32 v33, v4, v4 :: v_dual_fmaak_f32 v30, v26, v30, 0xbe2aaa9d
	s_delay_alu instid0(VALU_DEP_3) | instskip(NEXT) | instid1(VALU_DEP_3)
	v_dual_fmaak_f32 v28, v24, v28, 0xbf000004 :: v_dual_fmaak_f32 v31, v26, v31, 0xbf000004
	v_dual_fmac_f32 v20, v20, v27 :: v_dual_fmaak_f32 v25, s21, v32, 0xbab64f3b
	s_delay_alu instid0(VALU_DEP_3) | instskip(NEXT) | instid1(VALU_DEP_3)
	v_mul_f32_e32 v30, v26, v30
	v_fma_f32 v24, v24, v28, 1.0
	s_delay_alu instid0(VALU_DEP_4) | instskip(SKIP_2) | instid1(VALU_DEP_4)
	v_fma_f32 v22, v26, v31, 1.0
	v_lshlrev_b32_e32 v17, 30, v17
	v_add_nc_u64_e32 v[8:9], s[12:13], v[8:9]
	v_dual_fmac_f32 v18, v18, v30 :: v_dual_cndmask_b32 v20, v24, v20, vcc_lo
	v_fmaak_f32 v24, s20, v32, 0x3c0881c4
	v_cmp_eq_u32_e32 vcc_lo, 0, v29
	v_bitop3_b32 v16, v16, v17, 0x80000000 bitop3:0x78
	s_delay_alu instid0(VALU_DEP_4) | instskip(NEXT) | instid1(VALU_DEP_4)
	v_xor3_b32 v19, v19, v20, v10
	v_fmaak_f32 v20, v32, v24, 0xbe2aaa9d
	v_fmaak_f32 v24, s21, v33, 0xbab64f3b
	v_dual_cndmask_b32 v18, v22, v18 :: v_dual_fmaak_f32 v25, v32, v25, 0x3d2aabf7
	v_fmaak_f32 v22, s20, v33, 0x3c0881c4
	s_delay_alu instid0(VALU_DEP_2) | instskip(NEXT) | instid1(VALU_DEP_3)
	v_xor3_b32 v16, v16, v18, v15
	v_fmaak_f32 v25, v32, v25, 0xbf000004
	s_delay_alu instid0(VALU_DEP_3) | instskip(NEXT) | instid1(VALU_DEP_1)
	v_fmaak_f32 v22, v33, v22, 0xbe2aaa9d
	v_dual_mul_f32 v17, v33, v22 :: v_dual_mul_f32 v20, v32, v20
	s_delay_alu instid0(VALU_DEP_3) | instskip(NEXT) | instid1(VALU_DEP_2)
	v_fma_f32 v22, v32, v25, 1.0
	v_dual_fmac_f32 v4, v4, v17 :: v_dual_fmac_f32 v13, v13, v20
	v_fmaak_f32 v24, v33, v24, 0x3d2aabf7
	s_delay_alu instid0(VALU_DEP_1) | instskip(SKIP_1) | instid1(VALU_DEP_2)
	v_fmaak_f32 v20, v33, v24, 0xbf000004
	v_dual_lshlrev_b32 v14, 30, v14 :: v_dual_bitop2_b32 v24, 1, v14 bitop3:0x40
	v_fma_f32 v17, v33, v20, 1.0
	v_and_b32_e32 v20, 1, v23
	s_delay_alu instid0(VALU_DEP_3) | instskip(SKIP_4) | instid1(VALU_DEP_4)
	v_cmp_eq_u32_e32 vcc_lo, 0, v24
	v_lshlrev_b32_e32 v23, 30, v23
	v_bitop3_b32 v12, v12, v14, 0x80000000 bitop3:0x78
	v_cndmask_b32_e32 v13, v22, v13, vcc_lo
	v_cmp_eq_u32_e32 vcc_lo, 0, v20
	v_bitop3_b32 v14, v21, v23, 0x80000000 bitop3:0x78
	v_cndmask_b32_e32 v4, v17, v4, vcc_lo
	v_cmp_class_f32_e64 vcc_lo, v10, 0x1f8
	v_xor3_b32 v10, v12, v13, v1
	s_delay_alu instid0(VALU_DEP_3)
	v_xor3_b32 v4, v14, v4, v11
	v_cndmask_b32_e32 v17, 0x7fc00000, v19, vcc_lo
	v_cmp_class_f32_e64 vcc_lo, v15, 0x1f8
	v_cndmask_b32_e32 v12, 0x7fc00000, v16, vcc_lo
	v_cmp_class_f32_e64 vcc_lo, v1, 0x1f8
	;; [unrolled: 2-line block ×3, first 2 shown]
	v_bfe_u32 v10, v17, 16, 1
	v_bfe_u32 v11, v12, 16, 1
	s_delay_alu instid0(VALU_DEP_4) | instskip(SKIP_1) | instid1(VALU_DEP_4)
	v_bfe_u32 v13, v1, 16, 1
	v_cndmask_b32_e32 v4, 0x7fc00000, v4, vcc_lo
	v_add3_u32 v10, v17, v10, 0x7fff
	s_delay_alu instid0(VALU_DEP_4)
	v_add3_u32 v11, v12, v11, 0x7fff
	v_cmp_o_f32_e32 vcc_lo, v12, v12
	v_add3_u32 v13, v1, v13, 0x7fff
	v_bfe_u32 v14, v4, 16, 1
	v_lshrrev_b32_e32 v15, 16, v10
	v_and_b32_e32 v10, 0xffff0000, v11
	s_delay_alu instid0(VALU_DEP_4) | instskip(NEXT) | instid1(VALU_DEP_4)
	v_lshrrev_b32_e32 v11, 16, v13
	v_add3_u32 v14, v4, v14, 0x7fff
	s_delay_alu instid0(VALU_DEP_3) | instskip(SKIP_1) | instid1(VALU_DEP_3)
	v_cndmask_b32_e32 v12, 0x7fc00000, v10, vcc_lo
	v_cmp_o_f32_e32 vcc_lo, v1, v1
	v_and_b32_e32 v13, 0xffff0000, v14
	v_cndmask_b32_e32 v1, 0x7fc0, v11, vcc_lo
	v_cmp_o_f32_e32 vcc_lo, v4, v4
	v_lshlrev_b64_e32 v[10:11], 2, v[8:9]
	s_delay_alu instid0(VALU_DEP_3) | instskip(SKIP_2) | instid1(VALU_DEP_3)
	v_or_b32_e32 v1, v12, v1
	v_cndmask_b32_e32 v4, 0x7fc00000, v13, vcc_lo
	v_cmp_o_f32_e32 vcc_lo, v17, v17
	v_or3_b32 v12, v1, 0, 0
	v_cndmask_b32_e32 v13, 0x7fc0, v15, vcc_lo
	v_cmp_ge_i64_e32 vcc_lo, v[10:11], v[2:3]
	v_add_nc_u64_e32 v[10:11], s[8:9], v[6:7]
	v_add_nc_u64_e32 v[6:7], s[16:17], v[6:7]
	s_delay_alu instid0(VALU_DEP_4)
	v_or3_b32 v13, 0, v13, v4
	s_or_b32 s22, vcc_lo, s22
	global_store_b64 v[10:11], v[12:13], off
	s_wait_xcnt 0x0
	s_and_not1_b32 exec_lo, exec_lo, s22
	s_cbranch_execz .LBB110_20
.LBB110_4:                              ; =>This Inner Loop Header: Depth=1
	v_add_nc_u64_e32 v[10:11], s[4:5], v[6:7]
                                        ; implicit-def: $vgpr14
                                        ; implicit-def: $vgpr13
	s_mov_b32 s3, exec_lo
	global_load_b64 v[10:11], v[10:11], off
	s_wait_loadcnt 0x0
	v_lshlrev_b32_e32 v1, 16, v10
	s_delay_alu instid0(VALU_DEP_1)
	v_and_b32_e32 v12, 0x7fffffff, v1
	s_wait_xcnt 0x0
	v_cmpx_ngt_f32_e64 0x48000000, |v1|
	s_xor_b32 s23, exec_lo, s3
	s_cbranch_execz .LBB110_6
; %bb.5:                                ;   in Loop: Header=BB110_4 Depth=1
	v_and_or_b32 v4, v12, s19, 0x800000
	v_dual_lshrrev_b32 v13, 23, v12 :: v_dual_mov_b32 v25, v5
	v_mov_b32_e32 v27, v5
	s_delay_alu instid0(VALU_DEP_3) | instskip(SKIP_1) | instid1(VALU_DEP_4)
	v_mul_u64_e32 v[14:15], s[14:15], v[4:5]
	v_mov_b32_e32 v17, v5
	v_add_nc_u32_e32 v13, 0xffffff88, v13
	s_delay_alu instid0(VALU_DEP_1) | instskip(NEXT) | instid1(VALU_DEP_4)
	v_cmp_lt_u32_e32 vcc_lo, 63, v13
	v_mov_b32_e32 v16, v15
	v_cndmask_b32_e64 v15, 0, 0xffffffc0, vcc_lo
	s_delay_alu instid0(VALU_DEP_2) | instskip(NEXT) | instid1(VALU_DEP_2)
	v_mad_nc_u64_u32 v[16:17], 0x3c439041, v4, v[16:17]
	v_dual_mov_b32 v19, v5 :: v_dual_add_nc_u32 v13, v15, v13
	s_delay_alu instid0(VALU_DEP_1) | instskip(NEXT) | instid1(VALU_DEP_3)
	v_cmp_lt_u32_e64 s2, 31, v13
	v_mov_b32_e32 v18, v17
	s_delay_alu instid0(VALU_DEP_2) | instskip(NEXT) | instid1(VALU_DEP_2)
	v_cndmask_b32_e64 v15, 0, 0xffffffe0, s2
	v_mad_nc_u64_u32 v[18:19], 0xdb629599, v4, v[18:19]
	s_delay_alu instid0(VALU_DEP_1) | instskip(NEXT) | instid1(VALU_DEP_2)
	v_dual_mov_b32 v21, v5 :: v_dual_mov_b32 v20, v19
	v_cndmask_b32_e32 v14, v18, v14, vcc_lo
	s_delay_alu instid0(VALU_DEP_2) | instskip(NEXT) | instid1(VALU_DEP_1)
	v_mad_nc_u64_u32 v[20:21], 0xf534ddc0, v4, v[20:21]
	v_dual_mov_b32 v23, v5 :: v_dual_mov_b32 v22, v21
	s_delay_alu instid0(VALU_DEP_1) | instskip(NEXT) | instid1(VALU_DEP_1)
	v_mad_nc_u64_u32 v[22:23], 0xfc2757d1, v4, v[22:23]
	v_dual_mov_b32 v24, v23 :: v_dual_cndmask_b32 v21, v22, v18
	s_delay_alu instid0(VALU_DEP_1) | instskip(NEXT) | instid1(VALU_DEP_1)
	v_mad_nc_u64_u32 v[24:25], 0x4e441529, v4, v[24:25]
	v_mov_b32_e32 v26, v25
	s_delay_alu instid0(VALU_DEP_1) | instskip(NEXT) | instid1(VALU_DEP_3)
	v_mad_nc_u64_u32 v[26:27], 0xa2f9836e, v4, v[26:27]
	v_dual_cndmask_b32 v15, v24, v20 :: v_dual_add_nc_u32 v4, v15, v13
	s_delay_alu instid0(VALU_DEP_1) | instskip(NEXT) | instid1(VALU_DEP_1)
	v_cmp_lt_u32_e64 s3, 31, v4
	v_cndmask_b32_e64 v13, 0, 0xffffffe0, s3
	s_delay_alu instid0(VALU_DEP_4) | instskip(NEXT) | instid1(VALU_DEP_2)
	v_dual_cndmask_b32 v17, v26, v22, vcc_lo :: v_dual_cndmask_b32 v19, v27, v24, vcc_lo
	v_add_nc_u32_e32 v4, v13, v4
	s_delay_alu instid0(VALU_DEP_2) | instskip(NEXT) | instid1(VALU_DEP_3)
	v_dual_cndmask_b32 v13, v20, v16, vcc_lo :: v_dual_cndmask_b32 v16, v17, v15, s2
	v_cndmask_b32_e64 v17, v19, v17, s2
	s_delay_alu instid0(VALU_DEP_3) | instskip(NEXT) | instid1(VALU_DEP_3)
	v_dual_cndmask_b32 v15, v15, v21, s2 :: v_dual_sub_nc_u32 v19, 32, v4
	v_cndmask_b32_e64 v20, v21, v13, s2
	v_cmp_eq_u32_e32 vcc_lo, 0, v4
	s_delay_alu instid0(VALU_DEP_3) | instskip(NEXT) | instid1(VALU_DEP_1)
	v_dual_cndmask_b32 v17, v17, v16, s3 :: v_dual_cndmask_b32 v16, v16, v15, s3
	v_alignbit_b32 v21, v17, v16, v19
	s_delay_alu instid0(VALU_DEP_1) | instskip(NEXT) | instid1(VALU_DEP_1)
	v_dual_cndmask_b32 v15, v15, v20, s3 :: v_dual_cndmask_b32 v4, v21, v17, vcc_lo
	v_alignbit_b32 v18, v16, v15, v19
	s_delay_alu instid0(VALU_DEP_1) | instskip(NEXT) | instid1(VALU_DEP_3)
	v_dual_cndmask_b32 v13, v13, v14, s2 :: v_dual_cndmask_b32 v14, v18, v16, vcc_lo
	v_bfe_u32 v16, v4, 29, 1
	s_delay_alu instid0(VALU_DEP_2) | instskip(NEXT) | instid1(VALU_DEP_3)
	v_cndmask_b32_e64 v13, v20, v13, s3
	v_alignbit_b32 v17, v4, v14, 30
	s_delay_alu instid0(VALU_DEP_3) | instskip(NEXT) | instid1(VALU_DEP_3)
	v_sub_nc_u32_e32 v18, 0, v16
	v_alignbit_b32 v19, v15, v13, v19
	s_delay_alu instid0(VALU_DEP_1) | instskip(NEXT) | instid1(VALU_DEP_1)
	v_dual_cndmask_b32 v15, v19, v15, vcc_lo :: v_dual_bitop2_b32 v17, v17, v18 bitop3:0x14
	v_clz_i32_u32_e32 v19, v17
	s_delay_alu instid0(VALU_DEP_2) | instskip(SKIP_1) | instid1(VALU_DEP_3)
	v_alignbit_b32 v14, v14, v15, 30
	v_alignbit_b32 v13, v15, v13, 30
	v_min_u32_e32 v19, 32, v19
	s_delay_alu instid0(VALU_DEP_3) | instskip(NEXT) | instid1(VALU_DEP_3)
	v_xor_b32_e32 v14, v14, v18
	v_dual_lshrrev_b32 v18, 29, v4 :: v_dual_bitop2_b32 v13, v13, v18 bitop3:0x14
	s_delay_alu instid0(VALU_DEP_3) | instskip(SKIP_1) | instid1(VALU_DEP_2)
	v_dual_lshrrev_b32 v4, 30, v4 :: v_dual_sub_nc_u32 v15, 31, v19
	v_lshlrev_b32_e32 v20, 23, v19
	v_alignbit_b32 v17, v17, v14, v15
	s_delay_alu instid0(VALU_DEP_4) | instskip(SKIP_1) | instid1(VALU_DEP_2)
	v_alignbit_b32 v13, v14, v13, v15
	v_lshlrev_b32_e32 v14, 31, v18
	v_alignbit_b32 v15, v17, v13, 9
	s_delay_alu instid0(VALU_DEP_2) | instskip(SKIP_1) | instid1(VALU_DEP_3)
	v_dual_lshrrev_b32 v17, 9, v17 :: v_dual_bitop2_b32 v18, 0.5, v14 bitop3:0x54
	v_or_b32_e32 v14, 0x33000000, v14
	v_clz_i32_u32_e32 v21, v15
	s_delay_alu instid0(VALU_DEP_3) | instskip(NEXT) | instid1(VALU_DEP_2)
	v_sub_nc_u32_e32 v18, v18, v20
	v_min_u32_e32 v20, 32, v21
	s_delay_alu instid0(VALU_DEP_1) | instskip(NEXT) | instid1(VALU_DEP_3)
	v_add_lshl_u32 v19, v20, v19, 23
	v_or_b32_e32 v17, v17, v18
	v_not_b32_e32 v18, v20
	s_delay_alu instid0(VALU_DEP_2) | instskip(NEXT) | instid1(VALU_DEP_2)
	v_dual_mul_f32 v21, 0x3fc90fda, v17 :: v_dual_sub_nc_u32 v14, v14, v19
	v_alignbit_b32 v13, v15, v13, v18
	s_delay_alu instid0(VALU_DEP_2) | instskip(NEXT) | instid1(VALU_DEP_2)
	v_fma_f32 v15, 0x3fc90fda, v17, -v21
	v_lshrrev_b32_e32 v13, 9, v13
	s_delay_alu instid0(VALU_DEP_2) | instskip(NEXT) | instid1(VALU_DEP_2)
	v_fmac_f32_e32 v15, 0x33a22168, v17
	v_dual_add_nc_u32 v14, v16, v4 :: v_dual_bitop2_b32 v13, v14, v13 bitop3:0x54
	s_delay_alu instid0(VALU_DEP_1) | instskip(NEXT) | instid1(VALU_DEP_1)
	v_fmac_f32_e32 v15, 0x3fc90fda, v13
	v_add_f32_e32 v13, v21, v15
.LBB110_6:                              ;   in Loop: Header=BB110_4 Depth=1
	s_and_not1_saveexec_b32 s2, s23
; %bb.7:                                ;   in Loop: Header=BB110_4 Depth=1
	v_mul_f32_e64 v4, 0x3f22f983, |v1|
	s_delay_alu instid0(VALU_DEP_1) | instskip(NEXT) | instid1(VALU_DEP_1)
	v_rndne_f32_e32 v4, v4
	v_fma_f32 v13, 0xbfc90fda, v4, |v1|
	v_cvt_i32_f32_e32 v14, v4
	s_delay_alu instid0(VALU_DEP_2) | instskip(NEXT) | instid1(VALU_DEP_1)
	v_fmac_f32_e32 v13, 0xb3a22168, v4
	v_fmac_f32_e32 v13, 0xa7c234c4, v4
; %bb.8:                                ;   in Loop: Header=BB110_4 Depth=1
	s_or_b32 exec_lo, exec_lo, s2
	v_and_b32_e32 v15, 0xffff0000, v10
                                        ; implicit-def: $vgpr17
                                        ; implicit-def: $vgpr18
	s_mov_b32 s3, exec_lo
	s_delay_alu instid0(VALU_DEP_1)
	v_and_b32_e32 v16, 0x7fffffff, v15
	v_cmpx_ngt_f32_e64 0x48000000, |v15|
	s_xor_b32 s23, exec_lo, s3
	s_cbranch_execz .LBB110_10
; %bb.9:                                ;   in Loop: Header=BB110_4 Depth=1
	s_delay_alu instid0(VALU_DEP_2) | instskip(SKIP_2) | instid1(VALU_DEP_3)
	v_and_or_b32 v4, v16, s19, 0x800000
	v_dual_lshrrev_b32 v17, 23, v16 :: v_dual_mov_b32 v29, v5
	v_mov_b32_e32 v31, v5
	v_mul_u64_e32 v[18:19], s[14:15], v[4:5]
	v_mov_b32_e32 v21, v5
	s_delay_alu instid0(VALU_DEP_4) | instskip(NEXT) | instid1(VALU_DEP_1)
	v_add_nc_u32_e32 v17, 0xffffff88, v17
	v_cmp_lt_u32_e32 vcc_lo, 63, v17
	s_delay_alu instid0(VALU_DEP_4) | instskip(SKIP_1) | instid1(VALU_DEP_2)
	v_mov_b32_e32 v20, v19
	v_cndmask_b32_e64 v19, 0, 0xffffffc0, vcc_lo
	v_mad_nc_u64_u32 v[20:21], 0x3c439041, v4, v[20:21]
	s_delay_alu instid0(VALU_DEP_2) | instskip(NEXT) | instid1(VALU_DEP_1)
	v_dual_mov_b32 v23, v5 :: v_dual_add_nc_u32 v17, v19, v17
	v_cmp_lt_u32_e64 s2, 31, v17
	s_delay_alu instid0(VALU_DEP_3) | instskip(NEXT) | instid1(VALU_DEP_2)
	v_mov_b32_e32 v22, v21
	v_cndmask_b32_e64 v19, 0, 0xffffffe0, s2
	s_delay_alu instid0(VALU_DEP_2) | instskip(NEXT) | instid1(VALU_DEP_1)
	v_mad_nc_u64_u32 v[22:23], 0xdb629599, v4, v[22:23]
	v_dual_mov_b32 v25, v5 :: v_dual_mov_b32 v24, v23
	s_delay_alu instid0(VALU_DEP_2) | instskip(NEXT) | instid1(VALU_DEP_2)
	v_cndmask_b32_e32 v18, v22, v18, vcc_lo
	v_mad_nc_u64_u32 v[24:25], 0xf534ddc0, v4, v[24:25]
	s_delay_alu instid0(VALU_DEP_1) | instskip(NEXT) | instid1(VALU_DEP_1)
	v_dual_mov_b32 v27, v5 :: v_dual_mov_b32 v26, v25
	v_mad_nc_u64_u32 v[26:27], 0xfc2757d1, v4, v[26:27]
	s_delay_alu instid0(VALU_DEP_1) | instskip(NEXT) | instid1(VALU_DEP_1)
	v_dual_mov_b32 v28, v27 :: v_dual_cndmask_b32 v25, v26, v22
	v_mad_nc_u64_u32 v[28:29], 0x4e441529, v4, v[28:29]
	s_delay_alu instid0(VALU_DEP_1) | instskip(NEXT) | instid1(VALU_DEP_1)
	v_mov_b32_e32 v30, v29
	v_mad_nc_u64_u32 v[30:31], 0xa2f9836e, v4, v[30:31]
	s_delay_alu instid0(VALU_DEP_3) | instskip(NEXT) | instid1(VALU_DEP_1)
	v_dual_cndmask_b32 v19, v28, v24 :: v_dual_add_nc_u32 v4, v19, v17
	v_cmp_lt_u32_e64 s3, 31, v4
	s_delay_alu instid0(VALU_DEP_1) | instskip(NEXT) | instid1(VALU_DEP_4)
	v_cndmask_b32_e64 v17, 0, 0xffffffe0, s3
	v_dual_cndmask_b32 v21, v30, v26, vcc_lo :: v_dual_cndmask_b32 v23, v31, v28, vcc_lo
	s_delay_alu instid0(VALU_DEP_2) | instskip(NEXT) | instid1(VALU_DEP_2)
	v_add_nc_u32_e32 v4, v17, v4
	v_dual_cndmask_b32 v17, v24, v20, vcc_lo :: v_dual_cndmask_b32 v20, v21, v19, s2
	s_delay_alu instid0(VALU_DEP_3) | instskip(NEXT) | instid1(VALU_DEP_3)
	v_cndmask_b32_e64 v21, v23, v21, s2
	v_dual_cndmask_b32 v19, v19, v25, s2 :: v_dual_sub_nc_u32 v23, 32, v4
	s_delay_alu instid0(VALU_DEP_3) | instskip(SKIP_1) | instid1(VALU_DEP_3)
	v_cndmask_b32_e64 v24, v25, v17, s2
	v_cmp_eq_u32_e32 vcc_lo, 0, v4
	v_dual_cndmask_b32 v21, v21, v20, s3 :: v_dual_cndmask_b32 v20, v20, v19, s3
	s_delay_alu instid0(VALU_DEP_1) | instskip(NEXT) | instid1(VALU_DEP_1)
	v_alignbit_b32 v25, v21, v20, v23
	v_dual_cndmask_b32 v19, v19, v24, s3 :: v_dual_cndmask_b32 v4, v25, v21, vcc_lo
	s_delay_alu instid0(VALU_DEP_1) | instskip(NEXT) | instid1(VALU_DEP_1)
	v_alignbit_b32 v22, v20, v19, v23
	v_dual_cndmask_b32 v17, v17, v18, s2 :: v_dual_cndmask_b32 v18, v22, v20, vcc_lo
	s_delay_alu instid0(VALU_DEP_3) | instskip(NEXT) | instid1(VALU_DEP_2)
	v_bfe_u32 v20, v4, 29, 1
	v_cndmask_b32_e64 v17, v24, v17, s3
	s_delay_alu instid0(VALU_DEP_3) | instskip(NEXT) | instid1(VALU_DEP_3)
	v_alignbit_b32 v21, v4, v18, 30
	v_sub_nc_u32_e32 v22, 0, v20
	s_delay_alu instid0(VALU_DEP_3) | instskip(NEXT) | instid1(VALU_DEP_1)
	v_alignbit_b32 v23, v19, v17, v23
	v_dual_cndmask_b32 v19, v23, v19, vcc_lo :: v_dual_bitop2_b32 v21, v21, v22 bitop3:0x14
	s_delay_alu instid0(VALU_DEP_1) | instskip(NEXT) | instid1(VALU_DEP_2)
	v_clz_i32_u32_e32 v23, v21
	v_alignbit_b32 v18, v18, v19, 30
	v_alignbit_b32 v17, v19, v17, 30
	s_delay_alu instid0(VALU_DEP_3) | instskip(NEXT) | instid1(VALU_DEP_3)
	v_min_u32_e32 v23, 32, v23
	v_xor_b32_e32 v18, v18, v22
	s_delay_alu instid0(VALU_DEP_3) | instskip(NEXT) | instid1(VALU_DEP_3)
	v_dual_lshrrev_b32 v22, 29, v4 :: v_dual_bitop2_b32 v17, v17, v22 bitop3:0x14
	v_dual_lshrrev_b32 v4, 30, v4 :: v_dual_sub_nc_u32 v19, 31, v23
	v_lshlrev_b32_e32 v24, 23, v23
	s_delay_alu instid0(VALU_DEP_2) | instskip(NEXT) | instid1(VALU_DEP_4)
	v_alignbit_b32 v21, v21, v18, v19
	v_alignbit_b32 v17, v18, v17, v19
	v_lshlrev_b32_e32 v18, 31, v22
	s_delay_alu instid0(VALU_DEP_2) | instskip(NEXT) | instid1(VALU_DEP_2)
	v_alignbit_b32 v19, v21, v17, 9
	v_dual_lshrrev_b32 v21, 9, v21 :: v_dual_bitop2_b32 v22, 0.5, v18 bitop3:0x54
	v_or_b32_e32 v18, 0x33000000, v18
	s_delay_alu instid0(VALU_DEP_3) | instskip(NEXT) | instid1(VALU_DEP_3)
	v_clz_i32_u32_e32 v25, v19
	v_sub_nc_u32_e32 v22, v22, v24
	s_delay_alu instid0(VALU_DEP_2) | instskip(NEXT) | instid1(VALU_DEP_1)
	v_min_u32_e32 v24, 32, v25
	v_add_lshl_u32 v23, v24, v23, 23
	s_delay_alu instid0(VALU_DEP_3) | instskip(SKIP_1) | instid1(VALU_DEP_2)
	v_or_b32_e32 v21, v21, v22
	v_not_b32_e32 v22, v24
	v_dual_mul_f32 v25, 0x3fc90fda, v21 :: v_dual_sub_nc_u32 v18, v18, v23
	s_delay_alu instid0(VALU_DEP_2) | instskip(NEXT) | instid1(VALU_DEP_2)
	v_alignbit_b32 v17, v19, v17, v22
	v_fma_f32 v19, 0x3fc90fda, v21, -v25
	s_delay_alu instid0(VALU_DEP_2) | instskip(NEXT) | instid1(VALU_DEP_2)
	v_lshrrev_b32_e32 v17, 9, v17
	v_fmac_f32_e32 v19, 0x33a22168, v21
	s_delay_alu instid0(VALU_DEP_2) | instskip(NEXT) | instid1(VALU_DEP_1)
	v_or_b32_e32 v17, v18, v17
	v_fmac_f32_e32 v19, 0x3fc90fda, v17
	s_delay_alu instid0(VALU_DEP_1)
	v_dual_add_f32 v18, v25, v19 :: v_dual_add_nc_u32 v17, v20, v4
.LBB110_10:                             ;   in Loop: Header=BB110_4 Depth=1
	s_and_not1_saveexec_b32 s2, s23
; %bb.11:                               ;   in Loop: Header=BB110_4 Depth=1
	v_mul_f32_e64 v4, 0x3f22f983, |v15|
	s_delay_alu instid0(VALU_DEP_1) | instskip(NEXT) | instid1(VALU_DEP_1)
	v_rndne_f32_e32 v4, v4
	v_fma_f32 v18, 0xbfc90fda, v4, |v15|
	v_cvt_i32_f32_e32 v17, v4
	s_delay_alu instid0(VALU_DEP_2) | instskip(NEXT) | instid1(VALU_DEP_1)
	v_fmac_f32_e32 v18, 0xb3a22168, v4
	v_fmac_f32_e32 v18, 0xa7c234c4, v4
; %bb.12:                               ;   in Loop: Header=BB110_4 Depth=1
	s_or_b32 exec_lo, exec_lo, s2
	v_alignbit_b32 v4, v11, v10, 16
                                        ; implicit-def: $vgpr22
                                        ; implicit-def: $vgpr20
	s_mov_b32 s3, exec_lo
	s_delay_alu instid0(VALU_DEP_1) | instskip(NEXT) | instid1(VALU_DEP_1)
	v_and_b32_e32 v10, 0xffff0000, v4
	v_and_b32_e32 v19, 0x7fffffff, v10
	v_cmpx_ngt_f32_e64 0x48000000, |v10|
	s_xor_b32 s23, exec_lo, s3
	s_cbranch_execz .LBB110_14
; %bb.13:                               ;   in Loop: Header=BB110_4 Depth=1
	s_delay_alu instid0(VALU_DEP_2) | instskip(SKIP_1) | instid1(VALU_DEP_2)
	v_and_or_b32 v4, v19, s19, 0x800000
	v_dual_mov_b32 v31, v5 :: v_dual_mov_b32 v33, v5
	v_mul_u64_e32 v[20:21], s[14:15], v[4:5]
	s_delay_alu instid0(VALU_DEP_1) | instskip(SKIP_1) | instid1(VALU_DEP_2)
	v_dual_mov_b32 v23, v5 :: v_dual_mov_b32 v22, v21
	v_lshrrev_b32_e32 v21, 23, v19
	v_mad_nc_u64_u32 v[22:23], 0x3c439041, v4, v[22:23]
	v_mov_b32_e32 v25, v5
	s_delay_alu instid0(VALU_DEP_3) | instskip(NEXT) | instid1(VALU_DEP_1)
	v_add_nc_u32_e32 v21, 0xffffff88, v21
	v_cmp_lt_u32_e32 vcc_lo, 63, v21
	s_delay_alu instid0(VALU_DEP_4) | instskip(SKIP_1) | instid1(VALU_DEP_2)
	v_mov_b32_e32 v24, v23
	v_cndmask_b32_e64 v23, 0, 0xffffffc0, vcc_lo
	v_mad_nc_u64_u32 v[24:25], 0xdb629599, v4, v[24:25]
	s_delay_alu instid0(VALU_DEP_2) | instskip(NEXT) | instid1(VALU_DEP_1)
	v_dual_mov_b32 v27, v5 :: v_dual_add_nc_u32 v21, v23, v21
	v_cmp_lt_u32_e64 s2, 31, v21
	s_delay_alu instid0(VALU_DEP_3) | instskip(NEXT) | instid1(VALU_DEP_2)
	v_mov_b32_e32 v26, v25
	v_cndmask_b32_e64 v23, 0, 0xffffffe0, s2
	v_cndmask_b32_e32 v20, v24, v20, vcc_lo
	s_delay_alu instid0(VALU_DEP_3) | instskip(NEXT) | instid1(VALU_DEP_1)
	v_mad_nc_u64_u32 v[26:27], 0xf534ddc0, v4, v[26:27]
	v_dual_mov_b32 v29, v5 :: v_dual_mov_b32 v28, v27
	s_delay_alu instid0(VALU_DEP_1) | instskip(NEXT) | instid1(VALU_DEP_1)
	v_mad_nc_u64_u32 v[28:29], 0xfc2757d1, v4, v[28:29]
	v_mov_b32_e32 v30, v29
	s_delay_alu instid0(VALU_DEP_1) | instskip(NEXT) | instid1(VALU_DEP_1)
	v_mad_nc_u64_u32 v[30:31], 0x4e441529, v4, v[30:31]
	v_mov_b32_e32 v32, v31
	s_delay_alu instid0(VALU_DEP_1) | instskip(NEXT) | instid1(VALU_DEP_3)
	v_mad_nc_u64_u32 v[32:33], 0xa2f9836e, v4, v[32:33]
	v_dual_cndmask_b32 v23, v30, v26 :: v_dual_add_nc_u32 v4, v23, v21
	s_delay_alu instid0(VALU_DEP_2) | instskip(NEXT) | instid1(VALU_DEP_2)
	v_cndmask_b32_e32 v25, v32, v28, vcc_lo
	v_cmp_lt_u32_e64 s3, 31, v4
	s_delay_alu instid0(VALU_DEP_4) | instskip(NEXT) | instid1(VALU_DEP_2)
	v_dual_cndmask_b32 v27, v33, v30 :: v_dual_cndmask_b32 v28, v28, v24
	v_cndmask_b32_e64 v21, 0, 0xffffffe0, s3
	s_delay_alu instid0(VALU_DEP_1) | instskip(NEXT) | instid1(VALU_DEP_3)
	v_dual_cndmask_b32 v21, v26, v22 :: v_dual_add_nc_u32 v4, v21, v4
	v_dual_cndmask_b32 v22, v25, v23, s2 :: v_dual_cndmask_b32 v25, v27, v25, s2
	s_delay_alu instid0(VALU_DEP_4) | instskip(NEXT) | instid1(VALU_DEP_3)
	v_cndmask_b32_e64 v23, v23, v28, s2
	v_dual_sub_nc_u32 v26, 32, v4 :: v_dual_cndmask_b32 v27, v28, v21, s2
	v_cmp_eq_u32_e32 vcc_lo, 0, v4
	s_delay_alu instid0(VALU_DEP_3) | instskip(NEXT) | instid1(VALU_DEP_1)
	v_dual_cndmask_b32 v25, v25, v22, s3 :: v_dual_cndmask_b32 v22, v22, v23, s3
	v_alignbit_b32 v28, v25, v22, v26
	s_delay_alu instid0(VALU_DEP_1) | instskip(NEXT) | instid1(VALU_DEP_1)
	v_dual_cndmask_b32 v23, v23, v27, s3 :: v_dual_cndmask_b32 v4, v28, v25, vcc_lo
	v_alignbit_b32 v24, v22, v23, v26
	s_delay_alu instid0(VALU_DEP_1) | instskip(NEXT) | instid1(VALU_DEP_3)
	v_dual_cndmask_b32 v20, v21, v20, s2 :: v_dual_cndmask_b32 v21, v24, v22, vcc_lo
	v_bfe_u32 v22, v4, 29, 1
	s_delay_alu instid0(VALU_DEP_2) | instskip(NEXT) | instid1(VALU_DEP_3)
	v_cndmask_b32_e64 v20, v27, v20, s3
	v_alignbit_b32 v24, v4, v21, 30
	s_delay_alu instid0(VALU_DEP_3) | instskip(NEXT) | instid1(VALU_DEP_3)
	v_sub_nc_u32_e32 v25, 0, v22
	v_alignbit_b32 v26, v23, v20, v26
	s_delay_alu instid0(VALU_DEP_1) | instskip(NEXT) | instid1(VALU_DEP_1)
	v_dual_cndmask_b32 v23, v26, v23, vcc_lo :: v_dual_bitop2_b32 v24, v24, v25 bitop3:0x14
	v_clz_i32_u32_e32 v26, v24
	s_delay_alu instid0(VALU_DEP_2) | instskip(SKIP_1) | instid1(VALU_DEP_3)
	v_alignbit_b32 v21, v21, v23, 30
	v_alignbit_b32 v20, v23, v20, 30
	v_min_u32_e32 v26, 32, v26
	s_delay_alu instid0(VALU_DEP_3) | instskip(NEXT) | instid1(VALU_DEP_3)
	v_xor_b32_e32 v21, v21, v25
	v_dual_lshrrev_b32 v25, 29, v4 :: v_dual_bitop2_b32 v20, v20, v25 bitop3:0x14
	s_delay_alu instid0(VALU_DEP_3) | instskip(NEXT) | instid1(VALU_DEP_1)
	v_dual_sub_nc_u32 v23, 31, v26 :: v_dual_lshlrev_b32 v27, 23, v26
	v_alignbit_b32 v24, v24, v21, v23
	s_delay_alu instid0(VALU_DEP_3) | instskip(NEXT) | instid1(VALU_DEP_4)
	v_alignbit_b32 v20, v21, v20, v23
	v_lshlrev_b32_e32 v21, 31, v25
	s_delay_alu instid0(VALU_DEP_2) | instskip(NEXT) | instid1(VALU_DEP_2)
	v_alignbit_b32 v23, v24, v20, 9
	v_dual_lshrrev_b32 v24, 9, v24 :: v_dual_bitop2_b32 v25, 0.5, v21 bitop3:0x54
	v_or_b32_e32 v21, 0x33000000, v21
	s_delay_alu instid0(VALU_DEP_3) | instskip(NEXT) | instid1(VALU_DEP_3)
	v_clz_i32_u32_e32 v28, v23
	v_sub_nc_u32_e32 v25, v25, v27
	s_delay_alu instid0(VALU_DEP_2) | instskip(NEXT) | instid1(VALU_DEP_1)
	v_min_u32_e32 v27, 32, v28
	v_add_lshl_u32 v26, v27, v26, 23
	s_delay_alu instid0(VALU_DEP_3) | instskip(SKIP_1) | instid1(VALU_DEP_2)
	v_or_b32_e32 v24, v24, v25
	v_not_b32_e32 v25, v27
	v_dual_mul_f32 v28, 0x3fc90fda, v24 :: v_dual_sub_nc_u32 v21, v21, v26
	s_delay_alu instid0(VALU_DEP_2) | instskip(NEXT) | instid1(VALU_DEP_2)
	v_alignbit_b32 v20, v23, v20, v25
	v_fma_f32 v23, 0x3fc90fda, v24, -v28
	s_delay_alu instid0(VALU_DEP_2) | instskip(NEXT) | instid1(VALU_DEP_2)
	v_lshrrev_b32_e32 v20, 9, v20
	v_fmac_f32_e32 v23, 0x33a22168, v24
	s_delay_alu instid0(VALU_DEP_2) | instskip(NEXT) | instid1(VALU_DEP_1)
	v_or_b32_e32 v20, v21, v20
	v_fmac_f32_e32 v23, 0x3fc90fda, v20
	s_delay_alu instid0(VALU_DEP_1) | instskip(NEXT) | instid1(VALU_DEP_1)
	v_dual_lshrrev_b32 v4, 30, v4 :: v_dual_add_f32 v20, v28, v23
	v_add_nc_u32_e32 v22, v22, v4
.LBB110_14:                             ;   in Loop: Header=BB110_4 Depth=1
	s_and_not1_saveexec_b32 s2, s23
; %bb.15:                               ;   in Loop: Header=BB110_4 Depth=1
	v_mul_f32_e64 v4, 0x3f22f983, |v10|
	s_delay_alu instid0(VALU_DEP_1) | instskip(NEXT) | instid1(VALU_DEP_1)
	v_rndne_f32_e32 v4, v4
	v_fma_f32 v20, 0xbfc90fda, v4, |v10|
	v_cvt_i32_f32_e32 v22, v4
	s_delay_alu instid0(VALU_DEP_2) | instskip(NEXT) | instid1(VALU_DEP_1)
	v_fmac_f32_e32 v20, 0xb3a22168, v4
	v_fmac_f32_e32 v20, 0xa7c234c4, v4
; %bb.16:                               ;   in Loop: Header=BB110_4 Depth=1
	s_or_b32 exec_lo, exec_lo, s2
	v_and_b32_e32 v11, 0xffff0000, v11
                                        ; implicit-def: $vgpr23
                                        ; implicit-def: $vgpr4
	s_mov_b32 s3, exec_lo
	s_delay_alu instid0(VALU_DEP_1)
	v_and_b32_e32 v21, 0x7fffffff, v11
	v_cmpx_ngt_f32_e64 0x48000000, |v11|
	s_xor_b32 s23, exec_lo, s3
	s_cbranch_execz .LBB110_18
; %bb.17:                               ;   in Loop: Header=BB110_4 Depth=1
	s_delay_alu instid0(VALU_DEP_2) | instskip(SKIP_1) | instid1(VALU_DEP_2)
	v_and_or_b32 v4, v21, s19, 0x800000
	v_dual_lshrrev_b32 v23, 23, v21 :: v_dual_mov_b32 v35, v5
	v_mul_u64_e32 v[24:25], s[14:15], v[4:5]
	v_mov_b32_e32 v27, v5
	s_delay_alu instid0(VALU_DEP_3) | instskip(NEXT) | instid1(VALU_DEP_1)
	v_add_nc_u32_e32 v23, 0xffffff88, v23
	v_cmp_lt_u32_e32 vcc_lo, 63, v23
	s_delay_alu instid0(VALU_DEP_4) | instskip(SKIP_1) | instid1(VALU_DEP_2)
	v_mov_b32_e32 v26, v25
	v_cndmask_b32_e64 v25, 0, 0xffffffc0, vcc_lo
	v_mad_nc_u64_u32 v[26:27], 0x3c439041, v4, v[26:27]
	s_delay_alu instid0(VALU_DEP_1) | instskip(NEXT) | instid1(VALU_DEP_1)
	v_dual_mov_b32 v29, v5 :: v_dual_mov_b32 v28, v27
	v_mad_nc_u64_u32 v[28:29], 0xdb629599, v4, v[28:29]
	s_delay_alu instid0(VALU_DEP_1) | instskip(NEXT) | instid1(VALU_DEP_2)
	v_dual_mov_b32 v31, v5 :: v_dual_mov_b32 v30, v29
	v_cndmask_b32_e32 v24, v28, v24, vcc_lo
	s_delay_alu instid0(VALU_DEP_2) | instskip(NEXT) | instid1(VALU_DEP_1)
	v_mad_nc_u64_u32 v[30:31], 0xf534ddc0, v4, v[30:31]
	v_dual_mov_b32 v33, v5 :: v_dual_mov_b32 v32, v31
	s_delay_alu instid0(VALU_DEP_1) | instskip(NEXT) | instid1(VALU_DEP_1)
	v_mad_nc_u64_u32 v[32:33], 0xfc2757d1, v4, v[32:33]
	v_dual_mov_b32 v34, v33 :: v_dual_cndmask_b32 v31, v32, v28
	s_delay_alu instid0(VALU_DEP_1) | instskip(SKIP_1) | instid1(VALU_DEP_2)
	v_mad_nc_u64_u32 v[34:35], 0x4e441529, v4, v[34:35]
	v_add_nc_u32_e32 v23, v25, v23
	v_dual_mov_b32 v37, v5 :: v_dual_mov_b32 v36, v35
	s_delay_alu instid0(VALU_DEP_2) | instskip(NEXT) | instid1(VALU_DEP_2)
	v_cmp_lt_u32_e64 s2, 31, v23
	v_mad_nc_u64_u32 v[36:37], 0xa2f9836e, v4, v[36:37]
	s_delay_alu instid0(VALU_DEP_2) | instskip(NEXT) | instid1(VALU_DEP_1)
	v_cndmask_b32_e64 v25, 0, 0xffffffe0, s2
	v_dual_cndmask_b32 v25, v34, v30 :: v_dual_add_nc_u32 v4, v25, v23
	s_delay_alu instid0(VALU_DEP_3) | instskip(NEXT) | instid1(VALU_DEP_2)
	v_cndmask_b32_e32 v27, v36, v32, vcc_lo
	v_cmp_lt_u32_e64 s3, 31, v4
	v_cndmask_b32_e32 v29, v37, v34, vcc_lo
	s_delay_alu instid0(VALU_DEP_2) | instskip(NEXT) | instid1(VALU_DEP_1)
	v_cndmask_b32_e64 v23, 0, 0xffffffe0, s3
	v_dual_cndmask_b32 v23, v30, v26 :: v_dual_add_nc_u32 v4, v23, v4
	s_delay_alu instid0(VALU_DEP_3) | instskip(NEXT) | instid1(VALU_DEP_2)
	v_dual_cndmask_b32 v26, v27, v25, s2 :: v_dual_cndmask_b32 v27, v29, v27, s2
	v_dual_cndmask_b32 v25, v25, v31, s2 :: v_dual_sub_nc_u32 v29, 32, v4
	s_delay_alu instid0(VALU_DEP_3) | instskip(SKIP_1) | instid1(VALU_DEP_3)
	v_cndmask_b32_e64 v30, v31, v23, s2
	v_cmp_eq_u32_e32 vcc_lo, 0, v4
	v_dual_cndmask_b32 v27, v27, v26, s3 :: v_dual_cndmask_b32 v26, v26, v25, s3
	s_delay_alu instid0(VALU_DEP_1) | instskip(NEXT) | instid1(VALU_DEP_1)
	v_alignbit_b32 v31, v27, v26, v29
	v_dual_cndmask_b32 v25, v25, v30, s3 :: v_dual_cndmask_b32 v4, v31, v27, vcc_lo
	s_delay_alu instid0(VALU_DEP_1) | instskip(NEXT) | instid1(VALU_DEP_1)
	v_alignbit_b32 v28, v26, v25, v29
	v_dual_cndmask_b32 v23, v23, v24, s2 :: v_dual_cndmask_b32 v24, v28, v26, vcc_lo
	s_delay_alu instid0(VALU_DEP_3) | instskip(NEXT) | instid1(VALU_DEP_2)
	v_bfe_u32 v26, v4, 29, 1
	v_cndmask_b32_e64 v23, v30, v23, s3
	s_delay_alu instid0(VALU_DEP_3) | instskip(NEXT) | instid1(VALU_DEP_3)
	v_alignbit_b32 v27, v4, v24, 30
	v_sub_nc_u32_e32 v28, 0, v26
	s_delay_alu instid0(VALU_DEP_3) | instskip(NEXT) | instid1(VALU_DEP_1)
	v_alignbit_b32 v29, v25, v23, v29
	v_dual_cndmask_b32 v25, v29, v25, vcc_lo :: v_dual_bitop2_b32 v27, v27, v28 bitop3:0x14
	s_delay_alu instid0(VALU_DEP_1) | instskip(NEXT) | instid1(VALU_DEP_2)
	v_clz_i32_u32_e32 v29, v27
	v_alignbit_b32 v24, v24, v25, 30
	v_alignbit_b32 v23, v25, v23, 30
	s_delay_alu instid0(VALU_DEP_3) | instskip(NEXT) | instid1(VALU_DEP_3)
	v_min_u32_e32 v29, 32, v29
	v_xor_b32_e32 v24, v24, v28
	s_delay_alu instid0(VALU_DEP_3) | instskip(NEXT) | instid1(VALU_DEP_3)
	v_xor_b32_e32 v23, v23, v28
	v_dual_lshrrev_b32 v28, 29, v4 :: v_dual_lshlrev_b32 v30, 23, v29
	v_sub_nc_u32_e32 v25, 31, v29
	s_delay_alu instid0(VALU_DEP_1) | instskip(NEXT) | instid1(VALU_DEP_4)
	v_alignbit_b32 v27, v27, v24, v25
	v_alignbit_b32 v23, v24, v23, v25
	s_delay_alu instid0(VALU_DEP_4) | instskip(NEXT) | instid1(VALU_DEP_2)
	v_lshlrev_b32_e32 v24, 31, v28
	v_alignbit_b32 v25, v27, v23, 9
	s_delay_alu instid0(VALU_DEP_2) | instskip(SKIP_1) | instid1(VALU_DEP_3)
	v_dual_lshrrev_b32 v27, 9, v27 :: v_dual_bitop2_b32 v28, 0.5, v24 bitop3:0x54
	v_or_b32_e32 v24, 0x33000000, v24
	v_clz_i32_u32_e32 v31, v25
	s_delay_alu instid0(VALU_DEP_3) | instskip(NEXT) | instid1(VALU_DEP_2)
	v_sub_nc_u32_e32 v28, v28, v30
	v_min_u32_e32 v30, 32, v31
	s_delay_alu instid0(VALU_DEP_1) | instskip(NEXT) | instid1(VALU_DEP_3)
	v_add_lshl_u32 v29, v30, v29, 23
	v_or_b32_e32 v27, v27, v28
	v_not_b32_e32 v28, v30
	s_delay_alu instid0(VALU_DEP_2) | instskip(NEXT) | instid1(VALU_DEP_2)
	v_dual_mul_f32 v31, 0x3fc90fda, v27 :: v_dual_sub_nc_u32 v24, v24, v29
	v_alignbit_b32 v23, v25, v23, v28
	s_delay_alu instid0(VALU_DEP_2) | instskip(NEXT) | instid1(VALU_DEP_2)
	v_fma_f32 v25, 0x3fc90fda, v27, -v31
	v_lshrrev_b32_e32 v23, 9, v23
	s_delay_alu instid0(VALU_DEP_2) | instskip(NEXT) | instid1(VALU_DEP_2)
	v_fmac_f32_e32 v25, 0x33a22168, v27
	v_or_b32_e32 v23, v24, v23
	s_delay_alu instid0(VALU_DEP_1) | instskip(NEXT) | instid1(VALU_DEP_1)
	v_fmac_f32_e32 v25, 0x3fc90fda, v23
	v_dual_add_f32 v4, v31, v25 :: v_dual_lshrrev_b32 v23, 30, v4
	s_delay_alu instid0(VALU_DEP_1)
	v_add_nc_u32_e32 v23, v26, v23
.LBB110_18:                             ;   in Loop: Header=BB110_4 Depth=1
	s_and_not1_saveexec_b32 s2, s23
	s_cbranch_execz .LBB110_3
; %bb.19:                               ;   in Loop: Header=BB110_4 Depth=1
	v_mul_f32_e64 v4, 0x3f22f983, |v11|
	s_delay_alu instid0(VALU_DEP_1) | instskip(NEXT) | instid1(VALU_DEP_1)
	v_rndne_f32_e32 v23, v4
	v_fma_f32 v4, 0xbfc90fda, v23, |v11|
	s_delay_alu instid0(VALU_DEP_1) | instskip(NEXT) | instid1(VALU_DEP_1)
	v_fmac_f32_e32 v4, 0xb3a22168, v23
	v_fmac_f32_e32 v4, 0xa7c234c4, v23
	v_cvt_i32_f32_e32 v23, v23
	s_branch .LBB110_3
.LBB110_20:
	s_or_b32 exec_lo, exec_lo, s18
	s_mov_b32 s2, 0
.LBB110_21:
	s_delay_alu instid0(SALU_CYCLE_1)
	s_and_not1_b32 vcc_lo, exec_lo, s2
	s_cbranch_vccnz .LBB110_57
; %bb.22:
	v_cmp_lt_i64_e64 s2, s[10:11], 1
	s_and_b32 vcc_lo, exec_lo, s2
	s_cbranch_vccnz .LBB110_57
; %bb.23:
	s_load_b32 s0, s[0:1], 0xc5c
	v_min_i64 v[2:3], 0x10000, s[10:11]
	v_min_u64 v[6:7], 0x10000, s[10:11]
	v_dual_mov_b32 v5, 0 :: v_dual_lshlrev_b32 v4, 1, v0
	s_mov_b32 s13, 0
	s_mov_b64 s[14:15], 0
	s_mov_b32 s11, s13
	s_delay_alu instid0(VALU_DEP_1)
	v_mov_b32_e32 v1, v5
	v_add_nc_u64_e32 v[8:9], s[4:5], v[4:5]
	v_add_nc_u64_e32 v[10:11], s[8:9], v[4:5]
	s_wait_xcnt 0x0
	s_mov_b32 s1, s13
	s_mov_b32 s3, s13
	;; [unrolled: 1-line block ×5, first 2 shown]
	s_wait_kmcnt 0x0
	s_and_b32 s12, s0, 0xffff
	s_delay_alu instid0(SALU_CYCLE_1)
	v_add_nc_u64_e32 v[12:13], s[12:13], v[0:1]
	v_mad_nc_u64_u32 v[24:25], s12, 6, v[4:5]
	s_lshl_b32 s10, s12, 2
	s_lshl_b32 s0, s12, 1
	v_add_nc_u64_e32 v[20:21], s[10:11], v[4:5]
	s_mul_i32 s2, s12, 3
	s_lshl_b32 s12, s12, 3
	v_lshlrev_b32_e32 v4, 1, v12
	v_add_nc_u64_e32 v[14:15], s[2:3], v[0:1]
	v_add_nc_u64_e32 v[16:17], s[0:1], v[0:1]
	s_delay_alu instid0(VALU_DEP_4)
	v_add_nc_u64_e32 v[18:19], s[4:5], v[20:21]
	v_add_nc_u64_e32 v[20:21], s[8:9], v[20:21]
	;; [unrolled: 1-line block ×6, first 2 shown]
	s_mov_b64 s[8:9], 0xfe5163ab
	s_branch .LBB110_25
.LBB110_24:                             ;   in Loop: Header=BB110_25 Depth=1
	s_wait_xcnt 0x0
	s_or_b32 exec_lo, exec_lo, s0
	s_add_nc_u64 s[14:15], s[14:15], s[10:11]
	v_add_nc_u64_e32 v[8:9], s[12:13], v[8:9]
	v_cmp_ge_i64_e32 vcc_lo, s[14:15], v[2:3]
	v_add_nc_u64_e32 v[10:11], s[12:13], v[10:11]
	v_add_nc_u64_e32 v[22:23], s[12:13], v[22:23]
	;; [unrolled: 1-line block ×7, first 2 shown]
	s_cbranch_vccnz .LBB110_57
.LBB110_25:                             ; =>This Inner Loop Header: Depth=1
	v_add_nc_u64_e32 v[30:31], s[14:15], v[0:1]
	v_mov_b32_e32 v33, 0
	s_delay_alu instid0(VALU_DEP_2)
	v_cmp_lt_u64_e64 s2, v[30:31], v[6:7]
	s_and_saveexec_b32 s0, s2
	s_cbranch_execz .LBB110_27
; %bb.26:                               ;   in Loop: Header=BB110_25 Depth=1
	v_add_nc_u64_e32 v[30:31], s[6:7], v[8:9]
	global_load_u16 v4, v[30:31], off
	s_wait_loadcnt 0x0
	v_lshlrev_b32_e32 v33, 16, v4
.LBB110_27:                             ;   in Loop: Header=BB110_25 Depth=1
	s_wait_xcnt 0x0
	s_or_b32 exec_lo, exec_lo, s0
	v_add_nc_u64_e32 v[30:31], s[14:15], v[12:13]
	v_mov_b32_e32 v32, 0
	s_delay_alu instid0(VALU_DEP_2)
	v_cmp_lt_u64_e64 s1, v[30:31], v[6:7]
	v_mov_b32_e32 v31, 0
	s_and_saveexec_b32 s0, s1
	s_cbranch_execz .LBB110_29
; %bb.28:                               ;   in Loop: Header=BB110_25 Depth=1
	v_add_nc_u64_e32 v[34:35], s[6:7], v[26:27]
	global_load_u16 v4, v[34:35], off
	s_wait_loadcnt 0x0
	v_lshlrev_b32_e32 v32, 16, v4
.LBB110_29:                             ;   in Loop: Header=BB110_25 Depth=1
	s_wait_xcnt 0x0
	s_or_b32 exec_lo, exec_lo, s0
	v_add_nc_u64_e32 v[34:35], s[14:15], v[16:17]
	s_delay_alu instid0(VALU_DEP_1)
	v_cmp_lt_u64_e64 s0, v[34:35], v[6:7]
	s_and_saveexec_b32 s3, s0
	s_cbranch_execz .LBB110_31
; %bb.30:                               ;   in Loop: Header=BB110_25 Depth=1
	v_add_nc_u64_e32 v[30:31], s[6:7], v[18:19]
	global_load_u16 v4, v[30:31], off
	s_wait_loadcnt 0x0
	v_lshlrev_b32_e32 v31, 16, v4
.LBB110_31:                             ;   in Loop: Header=BB110_25 Depth=1
	s_or_b32 exec_lo, exec_lo, s3
	v_add_nc_u64_e32 v[34:35], s[14:15], v[14:15]
	v_mov_b32_e32 v30, 0
	s_delay_alu instid0(VALU_DEP_2)
	v_cmp_lt_u64_e32 vcc_lo, v[34:35], v[6:7]
	s_and_saveexec_b32 s3, vcc_lo
	s_cbranch_execz .LBB110_33
; %bb.32:                               ;   in Loop: Header=BB110_25 Depth=1
	v_add_nc_u64_e32 v[34:35], s[6:7], v[22:23]
	global_load_u16 v4, v[34:35], off
	s_wait_loadcnt 0x0
	v_lshlrev_b32_e32 v30, 16, v4
.LBB110_33:                             ;   in Loop: Header=BB110_25 Depth=1
	s_wait_xcnt 0x0
	s_or_b32 exec_lo, exec_lo, s3
	v_and_b32_e32 v34, 0x7fffffff, v33
                                        ; implicit-def: $vgpr37
                                        ; implicit-def: $vgpr35
	s_mov_b32 s4, exec_lo
	v_cmpx_ngt_f32_e64 0x48000000, |v33|
	s_xor_b32 s19, exec_lo, s4
	s_cbranch_execz .LBB110_35
; %bb.34:                               ;   in Loop: Header=BB110_25 Depth=1
	v_and_or_b32 v4, v34, s16, 0x800000
	v_dual_lshrrev_b32 v35, 23, v34 :: v_dual_mov_b32 v47, v5
	s_delay_alu instid0(VALU_DEP_2) | instskip(SKIP_1) | instid1(VALU_DEP_3)
	v_mul_u64_e32 v[36:37], s[8:9], v[4:5]
	v_mov_b32_e32 v39, v5
	v_add_nc_u32_e32 v35, 0xffffff88, v35
	s_delay_alu instid0(VALU_DEP_1) | instskip(NEXT) | instid1(VALU_DEP_4)
	v_cmp_lt_u32_e64 s3, 63, v35
	v_mov_b32_e32 v38, v37
	s_delay_alu instid0(VALU_DEP_2) | instskip(NEXT) | instid1(VALU_DEP_2)
	v_cndmask_b32_e64 v37, 0, 0xffffffc0, s3
	v_mad_nc_u64_u32 v[38:39], 0x3c439041, v4, v[38:39]
	s_delay_alu instid0(VALU_DEP_1) | instskip(NEXT) | instid1(VALU_DEP_1)
	v_dual_mov_b32 v41, v5 :: v_dual_mov_b32 v40, v39
	v_mad_nc_u64_u32 v[40:41], 0xdb629599, v4, v[40:41]
	s_delay_alu instid0(VALU_DEP_1) | instskip(NEXT) | instid1(VALU_DEP_2)
	v_dual_mov_b32 v43, v5 :: v_dual_mov_b32 v42, v41
	v_cndmask_b32_e64 v36, v40, v36, s3
	s_delay_alu instid0(VALU_DEP_2) | instskip(NEXT) | instid1(VALU_DEP_1)
	v_mad_nc_u64_u32 v[42:43], 0xf534ddc0, v4, v[42:43]
	v_dual_mov_b32 v45, v5 :: v_dual_mov_b32 v44, v43
	s_delay_alu instid0(VALU_DEP_1) | instskip(NEXT) | instid1(VALU_DEP_1)
	v_mad_nc_u64_u32 v[44:45], 0xfc2757d1, v4, v[44:45]
	v_dual_mov_b32 v46, v45 :: v_dual_cndmask_b32 v43, v44, v40, s3
	s_delay_alu instid0(VALU_DEP_1) | instskip(SKIP_1) | instid1(VALU_DEP_2)
	v_mad_nc_u64_u32 v[46:47], 0x4e441529, v4, v[46:47]
	v_add_nc_u32_e32 v35, v37, v35
	v_dual_mov_b32 v49, v5 :: v_dual_mov_b32 v48, v47
	s_delay_alu instid0(VALU_DEP_2) | instskip(NEXT) | instid1(VALU_DEP_2)
	v_cmp_lt_u32_e64 s4, 31, v35
	v_mad_nc_u64_u32 v[48:49], 0xa2f9836e, v4, v[48:49]
	s_delay_alu instid0(VALU_DEP_2) | instskip(NEXT) | instid1(VALU_DEP_1)
	v_cndmask_b32_e64 v37, 0, 0xffffffe0, s4
	v_dual_add_nc_u32 v4, v37, v35 :: v_dual_cndmask_b32 v37, v46, v42, s3
	s_delay_alu instid0(VALU_DEP_3) | instskip(NEXT) | instid1(VALU_DEP_2)
	v_cndmask_b32_e64 v39, v48, v44, s3
	v_cmp_lt_u32_e64 s5, 31, v4
	v_cndmask_b32_e64 v41, v49, v46, s3
	s_delay_alu instid0(VALU_DEP_2) | instskip(NEXT) | instid1(VALU_DEP_1)
	v_cndmask_b32_e64 v35, 0, 0xffffffe0, s5
	v_dual_add_nc_u32 v4, v35, v4 :: v_dual_cndmask_b32 v35, v42, v38, s3
	s_delay_alu instid0(VALU_DEP_3) | instskip(NEXT) | instid1(VALU_DEP_2)
	v_dual_cndmask_b32 v38, v39, v37, s4 :: v_dual_cndmask_b32 v39, v41, v39, s4
	v_dual_cndmask_b32 v37, v37, v43, s4 :: v_dual_sub_nc_u32 v41, 32, v4
	s_delay_alu instid0(VALU_DEP_3) | instskip(SKIP_1) | instid1(VALU_DEP_3)
	v_cndmask_b32_e64 v42, v43, v35, s4
	v_cmp_eq_u32_e64 s3, 0, v4
	v_dual_cndmask_b32 v39, v39, v38, s5 :: v_dual_cndmask_b32 v38, v38, v37, s5
	s_delay_alu instid0(VALU_DEP_1) | instskip(NEXT) | instid1(VALU_DEP_1)
	v_alignbit_b32 v43, v39, v38, v41
	v_dual_cndmask_b32 v37, v37, v42, s5 :: v_dual_cndmask_b32 v4, v43, v39, s3
	s_delay_alu instid0(VALU_DEP_1) | instskip(NEXT) | instid1(VALU_DEP_1)
	v_alignbit_b32 v40, v38, v37, v41
	v_dual_cndmask_b32 v35, v35, v36, s4 :: v_dual_cndmask_b32 v36, v40, v38, s3
	s_delay_alu instid0(VALU_DEP_3) | instskip(NEXT) | instid1(VALU_DEP_2)
	v_bfe_u32 v38, v4, 29, 1
	v_cndmask_b32_e64 v35, v42, v35, s5
	s_delay_alu instid0(VALU_DEP_3) | instskip(NEXT) | instid1(VALU_DEP_3)
	v_alignbit_b32 v39, v4, v36, 30
	v_sub_nc_u32_e32 v40, 0, v38
	s_delay_alu instid0(VALU_DEP_3) | instskip(NEXT) | instid1(VALU_DEP_1)
	v_alignbit_b32 v41, v37, v35, v41
	v_dual_cndmask_b32 v37, v41, v37, s3 :: v_dual_bitop2_b32 v39, v39, v40 bitop3:0x14
	s_delay_alu instid0(VALU_DEP_1) | instskip(NEXT) | instid1(VALU_DEP_2)
	v_clz_i32_u32_e32 v41, v39
	v_alignbit_b32 v36, v36, v37, 30
	v_alignbit_b32 v35, v37, v35, 30
	s_delay_alu instid0(VALU_DEP_3) | instskip(NEXT) | instid1(VALU_DEP_3)
	v_min_u32_e32 v41, 32, v41
	v_xor_b32_e32 v36, v36, v40
	s_delay_alu instid0(VALU_DEP_3) | instskip(SKIP_1) | instid1(VALU_DEP_4)
	v_xor_b32_e32 v35, v35, v40
	v_dual_lshrrev_b32 v40, 29, v4 :: v_dual_lshrrev_b32 v4, 30, v4
	v_dual_sub_nc_u32 v37, 31, v41 :: v_dual_lshlrev_b32 v42, 23, v41
	s_delay_alu instid0(VALU_DEP_1) | instskip(NEXT) | instid1(VALU_DEP_4)
	v_alignbit_b32 v39, v39, v36, v37
	v_alignbit_b32 v35, v36, v35, v37
	s_delay_alu instid0(VALU_DEP_4) | instskip(NEXT) | instid1(VALU_DEP_2)
	v_lshlrev_b32_e32 v36, 31, v40
	v_alignbit_b32 v37, v39, v35, 9
	s_delay_alu instid0(VALU_DEP_2) | instskip(SKIP_1) | instid1(VALU_DEP_3)
	v_dual_lshrrev_b32 v39, 9, v39 :: v_dual_bitop2_b32 v40, 0.5, v36 bitop3:0x54
	v_or_b32_e32 v36, 0x33000000, v36
	v_clz_i32_u32_e32 v43, v37
	s_delay_alu instid0(VALU_DEP_3) | instskip(NEXT) | instid1(VALU_DEP_2)
	v_sub_nc_u32_e32 v40, v40, v42
	v_min_u32_e32 v42, 32, v43
	s_delay_alu instid0(VALU_DEP_1) | instskip(NEXT) | instid1(VALU_DEP_3)
	v_add_lshl_u32 v41, v42, v41, 23
	v_or_b32_e32 v39, v39, v40
	v_not_b32_e32 v40, v42
	s_delay_alu instid0(VALU_DEP_2) | instskip(NEXT) | instid1(VALU_DEP_2)
	v_dual_mul_f32 v43, 0x3fc90fda, v39 :: v_dual_sub_nc_u32 v36, v36, v41
	v_alignbit_b32 v35, v37, v35, v40
	s_delay_alu instid0(VALU_DEP_2) | instskip(NEXT) | instid1(VALU_DEP_2)
	v_fma_f32 v37, 0x3fc90fda, v39, -v43
	v_lshrrev_b32_e32 v35, 9, v35
	s_delay_alu instid0(VALU_DEP_2) | instskip(NEXT) | instid1(VALU_DEP_2)
	v_fmac_f32_e32 v37, 0x33a22168, v39
	v_or_b32_e32 v35, v36, v35
	s_delay_alu instid0(VALU_DEP_1) | instskip(NEXT) | instid1(VALU_DEP_1)
	v_fmac_f32_e32 v37, 0x3fc90fda, v35
	v_dual_add_f32 v35, v43, v37 :: v_dual_add_nc_u32 v37, v38, v4
.LBB110_35:                             ;   in Loop: Header=BB110_25 Depth=1
	s_and_not1_saveexec_b32 s3, s19
; %bb.36:                               ;   in Loop: Header=BB110_25 Depth=1
	v_mul_f32_e64 v4, 0x3f22f983, |v33|
	s_delay_alu instid0(VALU_DEP_1) | instskip(NEXT) | instid1(VALU_DEP_1)
	v_rndne_f32_e32 v4, v4
	v_fma_f32 v35, 0xbfc90fda, v4, |v33|
	v_cvt_i32_f32_e32 v37, v4
	s_delay_alu instid0(VALU_DEP_2) | instskip(NEXT) | instid1(VALU_DEP_1)
	v_fmac_f32_e32 v35, 0xb3a22168, v4
	v_fmac_f32_e32 v35, 0xa7c234c4, v4
; %bb.37:                               ;   in Loop: Header=BB110_25 Depth=1
	s_or_b32 exec_lo, exec_lo, s3
	v_and_b32_e32 v36, 0x7fffffff, v32
                                        ; implicit-def: $vgpr40
                                        ; implicit-def: $vgpr38
	s_mov_b32 s4, exec_lo
	v_cmpx_ngt_f32_e64 0x48000000, |v32|
	s_xor_b32 s19, exec_lo, s4
	s_cbranch_execz .LBB110_39
; %bb.38:                               ;   in Loop: Header=BB110_25 Depth=1
	v_and_or_b32 v4, v36, s16, 0x800000
	v_mov_b32_e32 v49, v5
	s_delay_alu instid0(VALU_DEP_2) | instskip(NEXT) | instid1(VALU_DEP_1)
	v_mul_u64_e32 v[38:39], s[8:9], v[4:5]
	v_dual_mov_b32 v41, v5 :: v_dual_mov_b32 v40, v39
	v_lshrrev_b32_e32 v39, 23, v36
	s_delay_alu instid0(VALU_DEP_2) | instskip(SKIP_1) | instid1(VALU_DEP_3)
	v_mad_nc_u64_u32 v[40:41], 0x3c439041, v4, v[40:41]
	v_mov_b32_e32 v43, v5
	v_add_nc_u32_e32 v39, 0xffffff88, v39
	s_delay_alu instid0(VALU_DEP_1) | instskip(NEXT) | instid1(VALU_DEP_4)
	v_cmp_lt_u32_e64 s3, 63, v39
	v_mov_b32_e32 v42, v41
	s_delay_alu instid0(VALU_DEP_2) | instskip(NEXT) | instid1(VALU_DEP_2)
	v_cndmask_b32_e64 v41, 0, 0xffffffc0, s3
	v_mad_nc_u64_u32 v[42:43], 0xdb629599, v4, v[42:43]
	s_delay_alu instid0(VALU_DEP_1) | instskip(NEXT) | instid1(VALU_DEP_2)
	v_dual_mov_b32 v45, v5 :: v_dual_mov_b32 v44, v43
	v_cndmask_b32_e64 v38, v42, v38, s3
	s_delay_alu instid0(VALU_DEP_2) | instskip(NEXT) | instid1(VALU_DEP_1)
	v_mad_nc_u64_u32 v[44:45], 0xf534ddc0, v4, v[44:45]
	v_dual_mov_b32 v47, v5 :: v_dual_mov_b32 v46, v45
	s_delay_alu instid0(VALU_DEP_1) | instskip(NEXT) | instid1(VALU_DEP_1)
	v_mad_nc_u64_u32 v[46:47], 0xfc2757d1, v4, v[46:47]
	v_mov_b32_e32 v48, v47
	s_delay_alu instid0(VALU_DEP_1) | instskip(SKIP_2) | instid1(VALU_DEP_2)
	v_mad_nc_u64_u32 v[48:49], 0x4e441529, v4, v[48:49]
	v_add_nc_u32_e32 v39, v41, v39
	v_mov_b32_e32 v51, v5
	v_cmp_lt_u32_e64 s4, 31, v39
	s_delay_alu instid0(VALU_DEP_4) | instskip(NEXT) | instid1(VALU_DEP_2)
	v_mov_b32_e32 v50, v49
	v_cndmask_b32_e64 v41, 0, 0xffffffe0, s4
	s_delay_alu instid0(VALU_DEP_2) | instskip(NEXT) | instid1(VALU_DEP_2)
	v_mad_nc_u64_u32 v[50:51], 0xa2f9836e, v4, v[50:51]
	v_dual_add_nc_u32 v4, v41, v39 :: v_dual_cndmask_b32 v41, v48, v44, s3
	s_delay_alu instid0(VALU_DEP_2) | instskip(NEXT) | instid1(VALU_DEP_2)
	v_cndmask_b32_e64 v43, v50, v46, s3
	v_cmp_lt_u32_e64 s5, 31, v4
	s_delay_alu instid0(VALU_DEP_4) | instskip(NEXT) | instid1(VALU_DEP_2)
	v_dual_cndmask_b32 v45, v51, v48, s3 :: v_dual_cndmask_b32 v46, v46, v42, s3
	v_cndmask_b32_e64 v39, 0, 0xffffffe0, s5
	s_delay_alu instid0(VALU_DEP_1) | instskip(SKIP_1) | instid1(VALU_DEP_4)
	v_add_nc_u32_e32 v4, v39, v4
	v_dual_cndmask_b32 v39, v44, v40, s3 :: v_dual_cndmask_b32 v40, v43, v41, s4
	v_cndmask_b32_e64 v43, v45, v43, s4
	s_delay_alu instid0(VALU_DEP_3) | instskip(NEXT) | instid1(VALU_DEP_3)
	v_dual_cndmask_b32 v41, v41, v46, s4 :: v_dual_sub_nc_u32 v44, 32, v4
	v_cndmask_b32_e64 v45, v46, v39, s4
	v_cmp_eq_u32_e64 s3, 0, v4
	s_delay_alu instid0(VALU_DEP_3) | instskip(NEXT) | instid1(VALU_DEP_1)
	v_dual_cndmask_b32 v43, v43, v40, s5 :: v_dual_cndmask_b32 v40, v40, v41, s5
	v_alignbit_b32 v46, v43, v40, v44
	s_delay_alu instid0(VALU_DEP_1) | instskip(NEXT) | instid1(VALU_DEP_1)
	v_dual_cndmask_b32 v41, v41, v45, s5 :: v_dual_cndmask_b32 v4, v46, v43, s3
	v_alignbit_b32 v42, v40, v41, v44
	s_delay_alu instid0(VALU_DEP_1) | instskip(NEXT) | instid1(VALU_DEP_3)
	v_dual_cndmask_b32 v38, v39, v38, s4 :: v_dual_cndmask_b32 v39, v42, v40, s3
	v_bfe_u32 v40, v4, 29, 1
	s_delay_alu instid0(VALU_DEP_2) | instskip(NEXT) | instid1(VALU_DEP_3)
	v_cndmask_b32_e64 v38, v45, v38, s5
	v_alignbit_b32 v42, v4, v39, 30
	s_delay_alu instid0(VALU_DEP_3) | instskip(NEXT) | instid1(VALU_DEP_3)
	v_sub_nc_u32_e32 v43, 0, v40
	v_alignbit_b32 v44, v41, v38, v44
	s_delay_alu instid0(VALU_DEP_1) | instskip(NEXT) | instid1(VALU_DEP_1)
	v_dual_cndmask_b32 v41, v44, v41, s3 :: v_dual_bitop2_b32 v42, v42, v43 bitop3:0x14
	v_clz_i32_u32_e32 v44, v42
	s_delay_alu instid0(VALU_DEP_2) | instskip(SKIP_1) | instid1(VALU_DEP_3)
	v_alignbit_b32 v39, v39, v41, 30
	v_alignbit_b32 v38, v41, v38, 30
	v_min_u32_e32 v44, 32, v44
	s_delay_alu instid0(VALU_DEP_3) | instskip(NEXT) | instid1(VALU_DEP_3)
	v_xor_b32_e32 v39, v39, v43
	v_dual_lshrrev_b32 v43, 29, v4 :: v_dual_bitop2_b32 v38, v38, v43 bitop3:0x14
	v_lshrrev_b32_e32 v4, 30, v4
	s_delay_alu instid0(VALU_DEP_4) | instskip(NEXT) | instid1(VALU_DEP_2)
	v_dual_sub_nc_u32 v41, 31, v44 :: v_dual_lshlrev_b32 v45, 23, v44
	v_add_nc_u32_e32 v40, v40, v4
	s_delay_alu instid0(VALU_DEP_2) | instskip(SKIP_2) | instid1(VALU_DEP_2)
	v_alignbit_b32 v42, v42, v39, v41
	v_alignbit_b32 v38, v39, v38, v41
	v_lshlrev_b32_e32 v39, 31, v43
	v_alignbit_b32 v41, v42, v38, 9
	s_delay_alu instid0(VALU_DEP_2) | instskip(SKIP_1) | instid1(VALU_DEP_3)
	v_dual_lshrrev_b32 v42, 9, v42 :: v_dual_bitop2_b32 v43, 0.5, v39 bitop3:0x54
	v_or_b32_e32 v39, 0x33000000, v39
	v_clz_i32_u32_e32 v46, v41
	s_delay_alu instid0(VALU_DEP_3) | instskip(NEXT) | instid1(VALU_DEP_2)
	v_sub_nc_u32_e32 v43, v43, v45
	v_min_u32_e32 v45, 32, v46
	s_delay_alu instid0(VALU_DEP_1) | instskip(NEXT) | instid1(VALU_DEP_3)
	v_add_lshl_u32 v44, v45, v44, 23
	v_or_b32_e32 v42, v42, v43
	v_not_b32_e32 v43, v45
	s_delay_alu instid0(VALU_DEP_2) | instskip(NEXT) | instid1(VALU_DEP_2)
	v_dual_mul_f32 v46, 0x3fc90fda, v42 :: v_dual_sub_nc_u32 v39, v39, v44
	v_alignbit_b32 v38, v41, v38, v43
	s_delay_alu instid0(VALU_DEP_2) | instskip(NEXT) | instid1(VALU_DEP_2)
	v_fma_f32 v41, 0x3fc90fda, v42, -v46
	v_lshrrev_b32_e32 v38, 9, v38
	s_delay_alu instid0(VALU_DEP_2) | instskip(NEXT) | instid1(VALU_DEP_2)
	v_fmac_f32_e32 v41, 0x33a22168, v42
	v_or_b32_e32 v38, v39, v38
	s_delay_alu instid0(VALU_DEP_1) | instskip(NEXT) | instid1(VALU_DEP_1)
	v_fmac_f32_e32 v41, 0x3fc90fda, v38
	v_add_f32_e32 v38, v46, v41
.LBB110_39:                             ;   in Loop: Header=BB110_25 Depth=1
	s_and_not1_saveexec_b32 s3, s19
; %bb.40:                               ;   in Loop: Header=BB110_25 Depth=1
	v_mul_f32_e64 v4, 0x3f22f983, |v32|
	s_delay_alu instid0(VALU_DEP_1) | instskip(NEXT) | instid1(VALU_DEP_1)
	v_rndne_f32_e32 v4, v4
	v_fma_f32 v38, 0xbfc90fda, v4, |v32|
	v_cvt_i32_f32_e32 v40, v4
	s_delay_alu instid0(VALU_DEP_2) | instskip(NEXT) | instid1(VALU_DEP_1)
	v_fmac_f32_e32 v38, 0xb3a22168, v4
	v_fmac_f32_e32 v38, 0xa7c234c4, v4
; %bb.41:                               ;   in Loop: Header=BB110_25 Depth=1
	s_or_b32 exec_lo, exec_lo, s3
	v_and_b32_e32 v39, 0x7fffffff, v31
                                        ; implicit-def: $vgpr43
                                        ; implicit-def: $vgpr41
	s_mov_b32 s4, exec_lo
	v_cmpx_ngt_f32_e64 0x48000000, |v31|
	s_xor_b32 s19, exec_lo, s4
	s_cbranch_execz .LBB110_43
; %bb.42:                               ;   in Loop: Header=BB110_25 Depth=1
	v_and_or_b32 v4, v39, s16, 0x800000
	v_dual_lshrrev_b32 v41, 23, v39 :: v_dual_mov_b32 v53, v5
	v_mov_b32_e32 v55, v5
	s_delay_alu instid0(VALU_DEP_3) | instskip(SKIP_1) | instid1(VALU_DEP_4)
	v_mul_u64_e32 v[42:43], s[8:9], v[4:5]
	v_mov_b32_e32 v45, v5
	v_add_nc_u32_e32 v41, 0xffffff88, v41
	s_delay_alu instid0(VALU_DEP_1) | instskip(NEXT) | instid1(VALU_DEP_4)
	v_cmp_lt_u32_e64 s3, 63, v41
	v_mov_b32_e32 v44, v43
	s_delay_alu instid0(VALU_DEP_2) | instskip(NEXT) | instid1(VALU_DEP_2)
	v_cndmask_b32_e64 v43, 0, 0xffffffc0, s3
	v_mad_nc_u64_u32 v[44:45], 0x3c439041, v4, v[44:45]
	s_delay_alu instid0(VALU_DEP_2) | instskip(NEXT) | instid1(VALU_DEP_1)
	v_dual_mov_b32 v47, v5 :: v_dual_add_nc_u32 v41, v43, v41
	v_cmp_lt_u32_e64 s4, 31, v41
	s_delay_alu instid0(VALU_DEP_3) | instskip(NEXT) | instid1(VALU_DEP_2)
	v_mov_b32_e32 v46, v45
	v_cndmask_b32_e64 v43, 0, 0xffffffe0, s4
	s_delay_alu instid0(VALU_DEP_2) | instskip(NEXT) | instid1(VALU_DEP_1)
	v_mad_nc_u64_u32 v[46:47], 0xdb629599, v4, v[46:47]
	v_dual_mov_b32 v49, v5 :: v_dual_mov_b32 v48, v47
	s_delay_alu instid0(VALU_DEP_2) | instskip(NEXT) | instid1(VALU_DEP_2)
	v_cndmask_b32_e64 v42, v46, v42, s3
	v_mad_nc_u64_u32 v[48:49], 0xf534ddc0, v4, v[48:49]
	s_delay_alu instid0(VALU_DEP_1) | instskip(NEXT) | instid1(VALU_DEP_1)
	v_dual_mov_b32 v51, v5 :: v_dual_mov_b32 v50, v49
	v_mad_nc_u64_u32 v[50:51], 0xfc2757d1, v4, v[50:51]
	s_delay_alu instid0(VALU_DEP_1) | instskip(NEXT) | instid1(VALU_DEP_1)
	v_dual_mov_b32 v52, v51 :: v_dual_cndmask_b32 v49, v50, v46, s3
	v_mad_nc_u64_u32 v[52:53], 0x4e441529, v4, v[52:53]
	s_delay_alu instid0(VALU_DEP_1) | instskip(NEXT) | instid1(VALU_DEP_1)
	v_mov_b32_e32 v54, v53
	v_mad_nc_u64_u32 v[54:55], 0xa2f9836e, v4, v[54:55]
	s_delay_alu instid0(VALU_DEP_3) | instskip(NEXT) | instid1(VALU_DEP_1)
	v_dual_add_nc_u32 v4, v43, v41 :: v_dual_cndmask_b32 v43, v52, v48, s3
	v_cmp_lt_u32_e64 s5, 31, v4
	s_delay_alu instid0(VALU_DEP_1) | instskip(NEXT) | instid1(VALU_DEP_4)
	v_cndmask_b32_e64 v41, 0, 0xffffffe0, s5
	v_dual_cndmask_b32 v45, v54, v50, s3 :: v_dual_cndmask_b32 v47, v55, v52, s3
	s_delay_alu instid0(VALU_DEP_2) | instskip(NEXT) | instid1(VALU_DEP_2)
	v_add_nc_u32_e32 v4, v41, v4
	v_dual_cndmask_b32 v41, v48, v44, s3 :: v_dual_cndmask_b32 v44, v45, v43, s4
	s_delay_alu instid0(VALU_DEP_3) | instskip(NEXT) | instid1(VALU_DEP_3)
	v_cndmask_b32_e64 v45, v47, v45, s4
	v_dual_cndmask_b32 v43, v43, v49, s4 :: v_dual_sub_nc_u32 v47, 32, v4
	s_delay_alu instid0(VALU_DEP_3) | instskip(SKIP_1) | instid1(VALU_DEP_3)
	v_cndmask_b32_e64 v48, v49, v41, s4
	v_cmp_eq_u32_e64 s3, 0, v4
	v_dual_cndmask_b32 v45, v45, v44, s5 :: v_dual_cndmask_b32 v44, v44, v43, s5
	s_delay_alu instid0(VALU_DEP_1) | instskip(NEXT) | instid1(VALU_DEP_1)
	v_alignbit_b32 v49, v45, v44, v47
	v_dual_cndmask_b32 v43, v43, v48, s5 :: v_dual_cndmask_b32 v4, v49, v45, s3
	s_delay_alu instid0(VALU_DEP_1) | instskip(NEXT) | instid1(VALU_DEP_1)
	v_alignbit_b32 v46, v44, v43, v47
	v_dual_cndmask_b32 v41, v41, v42, s4 :: v_dual_cndmask_b32 v42, v46, v44, s3
	s_delay_alu instid0(VALU_DEP_3) | instskip(NEXT) | instid1(VALU_DEP_2)
	v_bfe_u32 v44, v4, 29, 1
	v_cndmask_b32_e64 v41, v48, v41, s5
	s_delay_alu instid0(VALU_DEP_3) | instskip(NEXT) | instid1(VALU_DEP_3)
	v_alignbit_b32 v45, v4, v42, 30
	v_sub_nc_u32_e32 v46, 0, v44
	s_delay_alu instid0(VALU_DEP_3) | instskip(NEXT) | instid1(VALU_DEP_1)
	v_alignbit_b32 v47, v43, v41, v47
	v_dual_cndmask_b32 v43, v47, v43, s3 :: v_dual_bitop2_b32 v45, v45, v46 bitop3:0x14
	s_delay_alu instid0(VALU_DEP_1) | instskip(NEXT) | instid1(VALU_DEP_2)
	v_clz_i32_u32_e32 v47, v45
	v_alignbit_b32 v42, v42, v43, 30
	v_alignbit_b32 v41, v43, v41, 30
	s_delay_alu instid0(VALU_DEP_3) | instskip(NEXT) | instid1(VALU_DEP_3)
	v_min_u32_e32 v47, 32, v47
	v_xor_b32_e32 v42, v42, v46
	s_delay_alu instid0(VALU_DEP_3) | instskip(NEXT) | instid1(VALU_DEP_3)
	v_dual_lshrrev_b32 v46, 29, v4 :: v_dual_bitop2_b32 v41, v41, v46 bitop3:0x14
	v_dual_lshrrev_b32 v4, 30, v4 :: v_dual_sub_nc_u32 v43, 31, v47
	v_lshlrev_b32_e32 v48, 23, v47
	s_delay_alu instid0(VALU_DEP_2) | instskip(NEXT) | instid1(VALU_DEP_4)
	v_alignbit_b32 v45, v45, v42, v43
	v_alignbit_b32 v41, v42, v41, v43
	v_lshlrev_b32_e32 v42, 31, v46
	s_delay_alu instid0(VALU_DEP_2) | instskip(NEXT) | instid1(VALU_DEP_2)
	v_alignbit_b32 v43, v45, v41, 9
	v_dual_lshrrev_b32 v45, 9, v45 :: v_dual_bitop2_b32 v46, 0.5, v42 bitop3:0x54
	v_or_b32_e32 v42, 0x33000000, v42
	s_delay_alu instid0(VALU_DEP_3) | instskip(NEXT) | instid1(VALU_DEP_3)
	v_clz_i32_u32_e32 v49, v43
	v_sub_nc_u32_e32 v46, v46, v48
	s_delay_alu instid0(VALU_DEP_2) | instskip(NEXT) | instid1(VALU_DEP_1)
	v_min_u32_e32 v48, 32, v49
	v_add_lshl_u32 v47, v48, v47, 23
	s_delay_alu instid0(VALU_DEP_3) | instskip(SKIP_1) | instid1(VALU_DEP_2)
	v_or_b32_e32 v45, v45, v46
	v_not_b32_e32 v46, v48
	v_dual_mul_f32 v49, 0x3fc90fda, v45 :: v_dual_sub_nc_u32 v42, v42, v47
	s_delay_alu instid0(VALU_DEP_2) | instskip(NEXT) | instid1(VALU_DEP_2)
	v_alignbit_b32 v41, v43, v41, v46
	v_fma_f32 v43, 0x3fc90fda, v45, -v49
	s_delay_alu instid0(VALU_DEP_2) | instskip(NEXT) | instid1(VALU_DEP_2)
	v_lshrrev_b32_e32 v41, 9, v41
	v_fmac_f32_e32 v43, 0x33a22168, v45
	s_delay_alu instid0(VALU_DEP_2) | instskip(NEXT) | instid1(VALU_DEP_1)
	v_or_b32_e32 v41, v42, v41
	v_fmac_f32_e32 v43, 0x3fc90fda, v41
	s_delay_alu instid0(VALU_DEP_1)
	v_dual_add_f32 v41, v49, v43 :: v_dual_add_nc_u32 v43, v44, v4
.LBB110_43:                             ;   in Loop: Header=BB110_25 Depth=1
	s_and_not1_saveexec_b32 s3, s19
; %bb.44:                               ;   in Loop: Header=BB110_25 Depth=1
	v_mul_f32_e64 v4, 0x3f22f983, |v31|
	s_delay_alu instid0(VALU_DEP_1) | instskip(NEXT) | instid1(VALU_DEP_1)
	v_rndne_f32_e32 v4, v4
	v_fma_f32 v41, 0xbfc90fda, v4, |v31|
	v_cvt_i32_f32_e32 v43, v4
	s_delay_alu instid0(VALU_DEP_2) | instskip(NEXT) | instid1(VALU_DEP_1)
	v_fmac_f32_e32 v41, 0xb3a22168, v4
	v_fmac_f32_e32 v41, 0xa7c234c4, v4
; %bb.45:                               ;   in Loop: Header=BB110_25 Depth=1
	s_or_b32 exec_lo, exec_lo, s3
	v_and_b32_e32 v42, 0x7fffffff, v30
                                        ; implicit-def: $vgpr44
                                        ; implicit-def: $vgpr4
	s_mov_b32 s4, exec_lo
	v_cmpx_ngt_f32_e64 0x48000000, |v30|
	s_xor_b32 s19, exec_lo, s4
	s_cbranch_execnz .LBB110_51
; %bb.46:                               ;   in Loop: Header=BB110_25 Depth=1
	s_and_not1_saveexec_b32 s3, s19
	s_cbranch_execnz .LBB110_52
.LBB110_47:                             ;   in Loop: Header=BB110_25 Depth=1
	s_or_b32 exec_lo, exec_lo, s3
	s_and_saveexec_b32 s3, s2
	s_delay_alu instid0(SALU_CYCLE_1)
	s_xor_b32 s3, exec_lo, s3
	s_cbranch_execnz .LBB110_53
.LBB110_48:                             ;   in Loop: Header=BB110_25 Depth=1
	s_or_b32 exec_lo, exec_lo, s3
	s_and_saveexec_b32 s2, s1
	s_cbranch_execnz .LBB110_54
.LBB110_49:                             ;   in Loop: Header=BB110_25 Depth=1
	s_or_b32 exec_lo, exec_lo, s2
	s_and_saveexec_b32 s1, s0
	s_cbranch_execnz .LBB110_55
.LBB110_50:                             ;   in Loop: Header=BB110_25 Depth=1
	s_or_b32 exec_lo, exec_lo, s1
	s_and_saveexec_b32 s0, vcc_lo
	s_cbranch_execz .LBB110_24
	s_branch .LBB110_56
.LBB110_51:                             ;   in Loop: Header=BB110_25 Depth=1
	v_and_or_b32 v4, v42, s16, 0x800000
	v_dual_mov_b32 v55, v5 :: v_dual_mov_b32 v57, v5
	s_delay_alu instid0(VALU_DEP_2) | instskip(NEXT) | instid1(VALU_DEP_1)
	v_mul_u64_e32 v[44:45], s[8:9], v[4:5]
	v_dual_mov_b32 v47, v5 :: v_dual_mov_b32 v46, v45
	v_lshrrev_b32_e32 v45, 23, v42
	s_delay_alu instid0(VALU_DEP_2) | instskip(SKIP_1) | instid1(VALU_DEP_3)
	v_mad_nc_u64_u32 v[46:47], 0x3c439041, v4, v[46:47]
	v_mov_b32_e32 v49, v5
	v_add_nc_u32_e32 v45, 0xffffff88, v45
	s_delay_alu instid0(VALU_DEP_1) | instskip(NEXT) | instid1(VALU_DEP_4)
	v_cmp_lt_u32_e64 s3, 63, v45
	v_mov_b32_e32 v48, v47
	s_delay_alu instid0(VALU_DEP_2) | instskip(NEXT) | instid1(VALU_DEP_2)
	v_cndmask_b32_e64 v47, 0, 0xffffffc0, s3
	v_mad_nc_u64_u32 v[48:49], 0xdb629599, v4, v[48:49]
	s_delay_alu instid0(VALU_DEP_2) | instskip(NEXT) | instid1(VALU_DEP_1)
	v_dual_mov_b32 v51, v5 :: v_dual_add_nc_u32 v45, v47, v45
	v_cmp_lt_u32_e64 s4, 31, v45
	s_delay_alu instid0(VALU_DEP_3) | instskip(NEXT) | instid1(VALU_DEP_2)
	v_mov_b32_e32 v50, v49
	v_cndmask_b32_e64 v47, 0, 0xffffffe0, s4
	v_cndmask_b32_e64 v44, v48, v44, s3
	s_delay_alu instid0(VALU_DEP_3) | instskip(NEXT) | instid1(VALU_DEP_1)
	v_mad_nc_u64_u32 v[50:51], 0xf534ddc0, v4, v[50:51]
	v_dual_mov_b32 v53, v5 :: v_dual_mov_b32 v52, v51
	s_delay_alu instid0(VALU_DEP_1) | instskip(NEXT) | instid1(VALU_DEP_1)
	v_mad_nc_u64_u32 v[52:53], 0xfc2757d1, v4, v[52:53]
	v_mov_b32_e32 v54, v53
	s_delay_alu instid0(VALU_DEP_1) | instskip(NEXT) | instid1(VALU_DEP_1)
	v_mad_nc_u64_u32 v[54:55], 0x4e441529, v4, v[54:55]
	v_mov_b32_e32 v56, v55
	s_delay_alu instid0(VALU_DEP_1) | instskip(NEXT) | instid1(VALU_DEP_3)
	v_mad_nc_u64_u32 v[56:57], 0xa2f9836e, v4, v[56:57]
	v_dual_add_nc_u32 v4, v47, v45 :: v_dual_cndmask_b32 v47, v54, v50, s3
	s_delay_alu instid0(VALU_DEP_2) | instskip(NEXT) | instid1(VALU_DEP_2)
	v_cndmask_b32_e64 v49, v56, v52, s3
	v_cmp_lt_u32_e64 s5, 31, v4
	s_delay_alu instid0(VALU_DEP_4) | instskip(NEXT) | instid1(VALU_DEP_2)
	v_dual_cndmask_b32 v51, v57, v54, s3 :: v_dual_cndmask_b32 v52, v52, v48, s3
	v_cndmask_b32_e64 v45, 0, 0xffffffe0, s5
	s_delay_alu instid0(VALU_DEP_1) | instskip(NEXT) | instid1(VALU_DEP_3)
	v_dual_add_nc_u32 v4, v45, v4 :: v_dual_cndmask_b32 v45, v50, v46, s3
	v_dual_cndmask_b32 v46, v49, v47, s4 :: v_dual_cndmask_b32 v49, v51, v49, s4
	s_delay_alu instid0(VALU_DEP_4) | instskip(NEXT) | instid1(VALU_DEP_3)
	v_cndmask_b32_e64 v47, v47, v52, s4
	v_dual_sub_nc_u32 v50, 32, v4 :: v_dual_cndmask_b32 v51, v52, v45, s4
	v_cmp_eq_u32_e64 s3, 0, v4
	s_delay_alu instid0(VALU_DEP_3) | instskip(NEXT) | instid1(VALU_DEP_1)
	v_dual_cndmask_b32 v49, v49, v46, s5 :: v_dual_cndmask_b32 v46, v46, v47, s5
	v_alignbit_b32 v52, v49, v46, v50
	s_delay_alu instid0(VALU_DEP_1) | instskip(NEXT) | instid1(VALU_DEP_1)
	v_dual_cndmask_b32 v47, v47, v51, s5 :: v_dual_cndmask_b32 v4, v52, v49, s3
	v_alignbit_b32 v48, v46, v47, v50
	s_delay_alu instid0(VALU_DEP_1) | instskip(NEXT) | instid1(VALU_DEP_3)
	v_dual_cndmask_b32 v44, v45, v44, s4 :: v_dual_cndmask_b32 v45, v48, v46, s3
	v_bfe_u32 v46, v4, 29, 1
	s_delay_alu instid0(VALU_DEP_2) | instskip(NEXT) | instid1(VALU_DEP_3)
	v_cndmask_b32_e64 v44, v51, v44, s5
	v_alignbit_b32 v48, v4, v45, 30
	s_delay_alu instid0(VALU_DEP_3) | instskip(NEXT) | instid1(VALU_DEP_3)
	v_sub_nc_u32_e32 v49, 0, v46
	v_alignbit_b32 v50, v47, v44, v50
	s_delay_alu instid0(VALU_DEP_1) | instskip(NEXT) | instid1(VALU_DEP_1)
	v_dual_cndmask_b32 v47, v50, v47, s3 :: v_dual_bitop2_b32 v48, v48, v49 bitop3:0x14
	v_clz_i32_u32_e32 v50, v48
	s_delay_alu instid0(VALU_DEP_2) | instskip(SKIP_1) | instid1(VALU_DEP_3)
	v_alignbit_b32 v45, v45, v47, 30
	v_alignbit_b32 v44, v47, v44, 30
	v_min_u32_e32 v50, 32, v50
	s_delay_alu instid0(VALU_DEP_3) | instskip(NEXT) | instid1(VALU_DEP_3)
	v_xor_b32_e32 v45, v45, v49
	v_dual_lshrrev_b32 v49, 29, v4 :: v_dual_bitop2_b32 v44, v44, v49 bitop3:0x14
	s_delay_alu instid0(VALU_DEP_3) | instskip(NEXT) | instid1(VALU_DEP_1)
	v_dual_sub_nc_u32 v47, 31, v50 :: v_dual_lshlrev_b32 v51, 23, v50
	v_alignbit_b32 v48, v48, v45, v47
	s_delay_alu instid0(VALU_DEP_3) | instskip(NEXT) | instid1(VALU_DEP_4)
	v_alignbit_b32 v44, v45, v44, v47
	v_lshlrev_b32_e32 v45, 31, v49
	s_delay_alu instid0(VALU_DEP_2) | instskip(NEXT) | instid1(VALU_DEP_2)
	v_alignbit_b32 v47, v48, v44, 9
	v_dual_lshrrev_b32 v48, 9, v48 :: v_dual_bitop2_b32 v49, 0.5, v45 bitop3:0x54
	v_or_b32_e32 v45, 0x33000000, v45
	s_delay_alu instid0(VALU_DEP_3) | instskip(NEXT) | instid1(VALU_DEP_3)
	v_clz_i32_u32_e32 v52, v47
	v_sub_nc_u32_e32 v49, v49, v51
	s_delay_alu instid0(VALU_DEP_2) | instskip(NEXT) | instid1(VALU_DEP_1)
	v_min_u32_e32 v51, 32, v52
	v_add_lshl_u32 v50, v51, v50, 23
	s_delay_alu instid0(VALU_DEP_3) | instskip(SKIP_1) | instid1(VALU_DEP_2)
	v_or_b32_e32 v48, v48, v49
	v_not_b32_e32 v49, v51
	v_dual_mul_f32 v52, 0x3fc90fda, v48 :: v_dual_sub_nc_u32 v45, v45, v50
	s_delay_alu instid0(VALU_DEP_2) | instskip(NEXT) | instid1(VALU_DEP_2)
	v_alignbit_b32 v44, v47, v44, v49
	v_fma_f32 v47, 0x3fc90fda, v48, -v52
	s_delay_alu instid0(VALU_DEP_2) | instskip(NEXT) | instid1(VALU_DEP_2)
	v_lshrrev_b32_e32 v44, 9, v44
	v_fmac_f32_e32 v47, 0x33a22168, v48
	s_delay_alu instid0(VALU_DEP_2) | instskip(NEXT) | instid1(VALU_DEP_1)
	v_or_b32_e32 v44, v45, v44
	v_fmac_f32_e32 v47, 0x3fc90fda, v44
	v_lshrrev_b32_e32 v44, 30, v4
	s_delay_alu instid0(VALU_DEP_1)
	v_dual_add_nc_u32 v44, v46, v44 :: v_dual_add_f32 v4, v52, v47
	s_and_not1_saveexec_b32 s3, s19
	s_cbranch_execz .LBB110_47
.LBB110_52:                             ;   in Loop: Header=BB110_25 Depth=1
	v_mul_f32_e64 v4, 0x3f22f983, |v30|
	s_delay_alu instid0(VALU_DEP_1) | instskip(NEXT) | instid1(VALU_DEP_1)
	v_rndne_f32_e32 v44, v4
	v_fma_f32 v4, 0xbfc90fda, v44, |v30|
	s_delay_alu instid0(VALU_DEP_1) | instskip(NEXT) | instid1(VALU_DEP_1)
	v_fmac_f32_e32 v4, 0xb3a22168, v44
	v_fmac_f32_e32 v4, 0xa7c234c4, v44
	v_cvt_i32_f32_e32 v44, v44
	s_or_b32 exec_lo, exec_lo, s3
	s_and_saveexec_b32 s3, s2
	s_delay_alu instid0(SALU_CYCLE_1)
	s_xor_b32 s3, exec_lo, s3
	s_cbranch_execz .LBB110_48
.LBB110_53:                             ;   in Loop: Header=BB110_25 Depth=1
	v_dual_mul_f32 v45, v35, v35 :: v_dual_bitop2_b32 v48, 1, v37 bitop3:0x40
	v_lshlrev_b32_e32 v37, 30, v37
	s_delay_alu instid0(VALU_DEP_2) | instskip(NEXT) | instid1(VALU_DEP_3)
	v_fmaak_f32 v46, s17, v45, 0x3c0881c4
	v_cmp_eq_u32_e64 s2, 0, v48
	s_delay_alu instid0(VALU_DEP_3) | instskip(NEXT) | instid1(VALU_DEP_3)
	v_bitop3_b32 v34, v34, v37, 0x80000000 bitop3:0x78
	v_fmaak_f32 v46, v45, v46, 0xbe2aaa9d
	s_delay_alu instid0(VALU_DEP_1) | instskip(NEXT) | instid1(VALU_DEP_1)
	v_dual_fmaak_f32 v47, s18, v45, 0xbab64f3b :: v_dual_mul_f32 v46, v45, v46
	v_fmaak_f32 v47, v45, v47, 0x3d2aabf7
	s_delay_alu instid0(VALU_DEP_2) | instskip(NEXT) | instid1(VALU_DEP_2)
	v_fmac_f32_e32 v35, v35, v46
	v_fmaak_f32 v47, v45, v47, 0xbf000004
	s_delay_alu instid0(VALU_DEP_1) | instskip(NEXT) | instid1(VALU_DEP_1)
	v_fma_f32 v45, v45, v47, 1.0
	v_cndmask_b32_e64 v35, v45, v35, s2
	v_cmp_class_f32_e64 s2, v33, 0x1f8
	s_delay_alu instid0(VALU_DEP_2) | instskip(NEXT) | instid1(VALU_DEP_1)
	v_xor3_b32 v34, v34, v35, v33
	v_cndmask_b32_e64 v33, 0x7fc00000, v34, s2
	s_delay_alu instid0(VALU_DEP_1) | instskip(SKIP_1) | instid1(VALU_DEP_2)
	v_bfe_u32 v34, v33, 16, 1
	v_cmp_o_f32_e64 s2, v33, v33
	v_add3_u32 v34, v33, v34, 0x7fff
	s_delay_alu instid0(VALU_DEP_1) | instskip(SKIP_1) | instid1(VALU_DEP_2)
	v_lshrrev_b32_e32 v37, 16, v34
	v_add_nc_u64_e32 v[34:35], s[6:7], v[10:11]
	v_cndmask_b32_e64 v33, 0x7fc0, v37, s2
	global_store_b16 v[34:35], v33, off
	s_wait_xcnt 0x0
	s_or_b32 exec_lo, exec_lo, s3
	s_and_saveexec_b32 s2, s1
	s_cbranch_execz .LBB110_49
.LBB110_54:                             ;   in Loop: Header=BB110_25 Depth=1
	v_dual_mul_f32 v33, v38, v38 :: v_dual_bitop2_b32 v37, 1, v40 bitop3:0x40
	s_delay_alu instid0(VALU_DEP_1) | instskip(NEXT) | instid1(VALU_DEP_2)
	v_fmaak_f32 v34, s17, v33, 0x3c0881c4
	v_cmp_eq_u32_e64 s1, 0, v37
	s_delay_alu instid0(VALU_DEP_2) | instskip(NEXT) | instid1(VALU_DEP_1)
	v_fmaak_f32 v34, v33, v34, 0xbe2aaa9d
	v_dual_fmaak_f32 v35, s18, v33, 0xbab64f3b :: v_dual_mul_f32 v34, v33, v34
	s_delay_alu instid0(VALU_DEP_1) | instskip(NEXT) | instid1(VALU_DEP_1)
	v_dual_fmaak_f32 v35, v33, v35, 0x3d2aabf7 :: v_dual_fmac_f32 v38, v38, v34
	v_dual_fmaak_f32 v35, v33, v35, 0xbf000004 :: v_dual_lshlrev_b32 v34, 30, v40
	s_delay_alu instid0(VALU_DEP_1) | instskip(NEXT) | instid1(VALU_DEP_2)
	v_fma_f32 v33, v33, v35, 1.0
	v_bitop3_b32 v34, v36, v34, 0x80000000 bitop3:0x78
	s_delay_alu instid0(VALU_DEP_2) | instskip(SKIP_1) | instid1(VALU_DEP_2)
	v_cndmask_b32_e64 v33, v33, v38, s1
	v_cmp_class_f32_e64 s1, v32, 0x1f8
	v_xor3_b32 v33, v34, v33, v32
	s_delay_alu instid0(VALU_DEP_1) | instskip(NEXT) | instid1(VALU_DEP_1)
	v_cndmask_b32_e64 v34, 0x7fc00000, v33, s1
	v_bfe_u32 v32, v34, 16, 1
	v_cmp_o_f32_e64 s1, v34, v34
	s_delay_alu instid0(VALU_DEP_2) | instskip(NEXT) | instid1(VALU_DEP_1)
	v_add3_u32 v32, v34, v32, 0x7fff
	v_lshrrev_b32_e32 v35, 16, v32
	v_add_nc_u64_e32 v[32:33], s[6:7], v[28:29]
	s_delay_alu instid0(VALU_DEP_2)
	v_cndmask_b32_e64 v34, 0x7fc0, v35, s1
	global_store_b16 v[32:33], v34, off
	s_wait_xcnt 0x0
	s_or_b32 exec_lo, exec_lo, s2
	s_and_saveexec_b32 s1, s0
	s_cbranch_execz .LBB110_50
.LBB110_55:                             ;   in Loop: Header=BB110_25 Depth=1
	v_dual_mul_f32 v32, v41, v41 :: v_dual_bitop2_b32 v35, 1, v43 bitop3:0x40
	s_delay_alu instid0(VALU_DEP_1) | instskip(NEXT) | instid1(VALU_DEP_2)
	v_fmaak_f32 v33, s17, v32, 0x3c0881c4
	v_cmp_eq_u32_e64 s0, 0, v35
	s_delay_alu instid0(VALU_DEP_2) | instskip(NEXT) | instid1(VALU_DEP_1)
	v_fmaak_f32 v33, v32, v33, 0xbe2aaa9d
	v_dual_fmaak_f32 v34, s18, v32, 0xbab64f3b :: v_dual_mul_f32 v33, v32, v33
	s_delay_alu instid0(VALU_DEP_1) | instskip(NEXT) | instid1(VALU_DEP_1)
	v_dual_fmaak_f32 v34, v32, v34, 0x3d2aabf7 :: v_dual_fmac_f32 v41, v41, v33
	v_dual_fmaak_f32 v34, v32, v34, 0xbf000004 :: v_dual_lshlrev_b32 v33, 30, v43
	s_delay_alu instid0(VALU_DEP_1) | instskip(NEXT) | instid1(VALU_DEP_2)
	v_fma_f32 v32, v32, v34, 1.0
	v_bitop3_b32 v33, v39, v33, 0x80000000 bitop3:0x78
	s_delay_alu instid0(VALU_DEP_2) | instskip(SKIP_1) | instid1(VALU_DEP_2)
	v_cndmask_b32_e64 v32, v32, v41, s0
	v_cmp_class_f32_e64 s0, v31, 0x1f8
	v_xor3_b32 v32, v33, v32, v31
	s_delay_alu instid0(VALU_DEP_1) | instskip(NEXT) | instid1(VALU_DEP_1)
	v_cndmask_b32_e64 v31, 0x7fc00000, v32, s0
	v_bfe_u32 v32, v31, 16, 1
	v_cmp_o_f32_e64 s0, v31, v31
	s_delay_alu instid0(VALU_DEP_2) | instskip(NEXT) | instid1(VALU_DEP_1)
	v_add3_u32 v32, v31, v32, 0x7fff
	v_lshrrev_b32_e32 v34, 16, v32
	v_add_nc_u64_e32 v[32:33], s[6:7], v[20:21]
	s_delay_alu instid0(VALU_DEP_2)
	v_cndmask_b32_e64 v31, 0x7fc0, v34, s0
	global_store_b16 v[32:33], v31, off
	s_wait_xcnt 0x0
	s_or_b32 exec_lo, exec_lo, s1
	s_and_saveexec_b32 s0, vcc_lo
	s_cbranch_execz .LBB110_24
.LBB110_56:                             ;   in Loop: Header=BB110_25 Depth=1
	v_mul_f32_e32 v31, v4, v4
	v_and_b32_e32 v34, 1, v44
	s_delay_alu instid0(VALU_DEP_2) | instskip(NEXT) | instid1(VALU_DEP_2)
	v_fmaak_f32 v32, s17, v31, 0x3c0881c4
	v_cmp_eq_u32_e32 vcc_lo, 0, v34
	s_delay_alu instid0(VALU_DEP_2) | instskip(NEXT) | instid1(VALU_DEP_1)
	v_fmaak_f32 v32, v31, v32, 0xbe2aaa9d
	v_dual_fmaak_f32 v33, s18, v31, 0xbab64f3b :: v_dual_mul_f32 v32, v31, v32
	s_delay_alu instid0(VALU_DEP_1) | instskip(NEXT) | instid1(VALU_DEP_1)
	v_dual_fmaak_f32 v33, v31, v33, 0x3d2aabf7 :: v_dual_fmac_f32 v4, v4, v32
	v_dual_fmaak_f32 v33, v31, v33, 0xbf000004 :: v_dual_lshlrev_b32 v32, 30, v44
	s_delay_alu instid0(VALU_DEP_1) | instskip(NEXT) | instid1(VALU_DEP_1)
	v_fma_f32 v31, v31, v33, 1.0
	v_cndmask_b32_e32 v4, v31, v4, vcc_lo
	s_delay_alu instid0(VALU_DEP_3) | instskip(SKIP_1) | instid1(VALU_DEP_2)
	v_bitop3_b32 v31, v42, v32, 0x80000000 bitop3:0x78
	v_cmp_class_f32_e64 vcc_lo, v30, 0x1f8
	v_xor3_b32 v4, v31, v4, v30
	s_delay_alu instid0(VALU_DEP_1) | instskip(NEXT) | instid1(VALU_DEP_1)
	v_cndmask_b32_e32 v4, 0x7fc00000, v4, vcc_lo
	v_bfe_u32 v30, v4, 16, 1
	v_cmp_o_f32_e32 vcc_lo, v4, v4
	s_delay_alu instid0(VALU_DEP_2) | instskip(NEXT) | instid1(VALU_DEP_1)
	v_add3_u32 v30, v4, v30, 0x7fff
	v_lshrrev_b32_e32 v32, 16, v30
	v_add_nc_u64_e32 v[30:31], s[6:7], v[24:25]
	s_delay_alu instid0(VALU_DEP_2)
	v_cndmask_b32_e32 v4, 0x7fc0, v32, vcc_lo
	global_store_b16 v[30:31], v4, off
	s_branch .LBB110_24
.LBB110_57:
	s_endpgm
	.section	.rodata,"a",@progbits
	.p2align	6, 0x0
	.amdhsa_kernel _ZN2at6native12_GLOBAL__N_125multi_tensor_apply_kernelINS1_18TensorListMetadataILi2EEENS1_14UnaryOpFunctorIN3c108BFloat16ELi2ELi1ELi1EEEJNS0_3SinIfEEEEEvT_T0_DpT1_
		.amdhsa_group_segment_fixed_size 0
		.amdhsa_private_segment_fixed_size 0
		.amdhsa_kernarg_size 3408
		.amdhsa_user_sgpr_count 2
		.amdhsa_user_sgpr_dispatch_ptr 0
		.amdhsa_user_sgpr_queue_ptr 0
		.amdhsa_user_sgpr_kernarg_segment_ptr 1
		.amdhsa_user_sgpr_dispatch_id 0
		.amdhsa_user_sgpr_kernarg_preload_length 0
		.amdhsa_user_sgpr_kernarg_preload_offset 0
		.amdhsa_user_sgpr_private_segment_size 0
		.amdhsa_wavefront_size32 1
		.amdhsa_uses_dynamic_stack 0
		.amdhsa_enable_private_segment 0
		.amdhsa_system_sgpr_workgroup_id_x 1
		.amdhsa_system_sgpr_workgroup_id_y 0
		.amdhsa_system_sgpr_workgroup_id_z 0
		.amdhsa_system_sgpr_workgroup_info 0
		.amdhsa_system_vgpr_workitem_id 0
		.amdhsa_next_free_vgpr 58
		.amdhsa_next_free_sgpr 24
		.amdhsa_named_barrier_count 0
		.amdhsa_reserve_vcc 1
		.amdhsa_float_round_mode_32 0
		.amdhsa_float_round_mode_16_64 0
		.amdhsa_float_denorm_mode_32 3
		.amdhsa_float_denorm_mode_16_64 3
		.amdhsa_fp16_overflow 0
		.amdhsa_memory_ordered 1
		.amdhsa_forward_progress 1
		.amdhsa_inst_pref_size 73
		.amdhsa_round_robin_scheduling 0
		.amdhsa_exception_fp_ieee_invalid_op 0
		.amdhsa_exception_fp_denorm_src 0
		.amdhsa_exception_fp_ieee_div_zero 0
		.amdhsa_exception_fp_ieee_overflow 0
		.amdhsa_exception_fp_ieee_underflow 0
		.amdhsa_exception_fp_ieee_inexact 0
		.amdhsa_exception_int_div_zero 0
	.end_amdhsa_kernel
	.section	.text._ZN2at6native12_GLOBAL__N_125multi_tensor_apply_kernelINS1_18TensorListMetadataILi2EEENS1_14UnaryOpFunctorIN3c108BFloat16ELi2ELi1ELi1EEEJNS0_3SinIfEEEEEvT_T0_DpT1_,"axG",@progbits,_ZN2at6native12_GLOBAL__N_125multi_tensor_apply_kernelINS1_18TensorListMetadataILi2EEENS1_14UnaryOpFunctorIN3c108BFloat16ELi2ELi1ELi1EEEJNS0_3SinIfEEEEEvT_T0_DpT1_,comdat
.Lfunc_end110:
	.size	_ZN2at6native12_GLOBAL__N_125multi_tensor_apply_kernelINS1_18TensorListMetadataILi2EEENS1_14UnaryOpFunctorIN3c108BFloat16ELi2ELi1ELi1EEEJNS0_3SinIfEEEEEvT_T0_DpT1_, .Lfunc_end110-_ZN2at6native12_GLOBAL__N_125multi_tensor_apply_kernelINS1_18TensorListMetadataILi2EEENS1_14UnaryOpFunctorIN3c108BFloat16ELi2ELi1ELi1EEEJNS0_3SinIfEEEEEvT_T0_DpT1_
                                        ; -- End function
	.set _ZN2at6native12_GLOBAL__N_125multi_tensor_apply_kernelINS1_18TensorListMetadataILi2EEENS1_14UnaryOpFunctorIN3c108BFloat16ELi2ELi1ELi1EEEJNS0_3SinIfEEEEEvT_T0_DpT1_.num_vgpr, 58
	.set _ZN2at6native12_GLOBAL__N_125multi_tensor_apply_kernelINS1_18TensorListMetadataILi2EEENS1_14UnaryOpFunctorIN3c108BFloat16ELi2ELi1ELi1EEEJNS0_3SinIfEEEEEvT_T0_DpT1_.num_agpr, 0
	.set _ZN2at6native12_GLOBAL__N_125multi_tensor_apply_kernelINS1_18TensorListMetadataILi2EEENS1_14UnaryOpFunctorIN3c108BFloat16ELi2ELi1ELi1EEEJNS0_3SinIfEEEEEvT_T0_DpT1_.numbered_sgpr, 24
	.set _ZN2at6native12_GLOBAL__N_125multi_tensor_apply_kernelINS1_18TensorListMetadataILi2EEENS1_14UnaryOpFunctorIN3c108BFloat16ELi2ELi1ELi1EEEJNS0_3SinIfEEEEEvT_T0_DpT1_.num_named_barrier, 0
	.set _ZN2at6native12_GLOBAL__N_125multi_tensor_apply_kernelINS1_18TensorListMetadataILi2EEENS1_14UnaryOpFunctorIN3c108BFloat16ELi2ELi1ELi1EEEJNS0_3SinIfEEEEEvT_T0_DpT1_.private_seg_size, 0
	.set _ZN2at6native12_GLOBAL__N_125multi_tensor_apply_kernelINS1_18TensorListMetadataILi2EEENS1_14UnaryOpFunctorIN3c108BFloat16ELi2ELi1ELi1EEEJNS0_3SinIfEEEEEvT_T0_DpT1_.uses_vcc, 1
	.set _ZN2at6native12_GLOBAL__N_125multi_tensor_apply_kernelINS1_18TensorListMetadataILi2EEENS1_14UnaryOpFunctorIN3c108BFloat16ELi2ELi1ELi1EEEJNS0_3SinIfEEEEEvT_T0_DpT1_.uses_flat_scratch, 0
	.set _ZN2at6native12_GLOBAL__N_125multi_tensor_apply_kernelINS1_18TensorListMetadataILi2EEENS1_14UnaryOpFunctorIN3c108BFloat16ELi2ELi1ELi1EEEJNS0_3SinIfEEEEEvT_T0_DpT1_.has_dyn_sized_stack, 0
	.set _ZN2at6native12_GLOBAL__N_125multi_tensor_apply_kernelINS1_18TensorListMetadataILi2EEENS1_14UnaryOpFunctorIN3c108BFloat16ELi2ELi1ELi1EEEJNS0_3SinIfEEEEEvT_T0_DpT1_.has_recursion, 0
	.set _ZN2at6native12_GLOBAL__N_125multi_tensor_apply_kernelINS1_18TensorListMetadataILi2EEENS1_14UnaryOpFunctorIN3c108BFloat16ELi2ELi1ELi1EEEJNS0_3SinIfEEEEEvT_T0_DpT1_.has_indirect_call, 0
	.section	.AMDGPU.csdata,"",@progbits
; Kernel info:
; codeLenInByte = 9248
; TotalNumSgprs: 26
; NumVgprs: 58
; ScratchSize: 0
; MemoryBound: 0
; FloatMode: 240
; IeeeMode: 1
; LDSByteSize: 0 bytes/workgroup (compile time only)
; SGPRBlocks: 0
; VGPRBlocks: 3
; NumSGPRsForWavesPerEU: 26
; NumVGPRsForWavesPerEU: 58
; NamedBarCnt: 0
; Occupancy: 16
; WaveLimiterHint : 0
; COMPUTE_PGM_RSRC2:SCRATCH_EN: 0
; COMPUTE_PGM_RSRC2:USER_SGPR: 2
; COMPUTE_PGM_RSRC2:TRAP_HANDLER: 0
; COMPUTE_PGM_RSRC2:TGID_X_EN: 1
; COMPUTE_PGM_RSRC2:TGID_Y_EN: 0
; COMPUTE_PGM_RSRC2:TGID_Z_EN: 0
; COMPUTE_PGM_RSRC2:TIDIG_COMP_CNT: 0
	.section	.text._ZN2at6native12_GLOBAL__N_125multi_tensor_apply_kernelINS1_18TensorListMetadataILi1EEENS1_14UnaryOpFunctorIdLi1ELi1ELi0EEEJNS0_3SinIdEEEEEvT_T0_DpT1_,"axG",@progbits,_ZN2at6native12_GLOBAL__N_125multi_tensor_apply_kernelINS1_18TensorListMetadataILi1EEENS1_14UnaryOpFunctorIdLi1ELi1ELi0EEEJNS0_3SinIdEEEEEvT_T0_DpT1_,comdat
	.globl	_ZN2at6native12_GLOBAL__N_125multi_tensor_apply_kernelINS1_18TensorListMetadataILi1EEENS1_14UnaryOpFunctorIdLi1ELi1ELi0EEEJNS0_3SinIdEEEEEvT_T0_DpT1_ ; -- Begin function _ZN2at6native12_GLOBAL__N_125multi_tensor_apply_kernelINS1_18TensorListMetadataILi1EEENS1_14UnaryOpFunctorIdLi1ELi1ELi0EEEJNS0_3SinIdEEEEEvT_T0_DpT1_
	.p2align	8
	.type	_ZN2at6native12_GLOBAL__N_125multi_tensor_apply_kernelINS1_18TensorListMetadataILi1EEENS1_14UnaryOpFunctorIdLi1ELi1ELi0EEEJNS0_3SinIdEEEEEvT_T0_DpT1_,@function
_ZN2at6native12_GLOBAL__N_125multi_tensor_apply_kernelINS1_18TensorListMetadataILi1EEENS1_14UnaryOpFunctorIdLi1ELi1ELi0EEEJNS0_3SinIdEEEEEvT_T0_DpT1_: ; @_ZN2at6native12_GLOBAL__N_125multi_tensor_apply_kernelINS1_18TensorListMetadataILi1EEENS1_14UnaryOpFunctorIdLi1ELi1ELi0EEEJNS0_3SinIdEEEEEvT_T0_DpT1_
; %bb.0:
	s_bfe_u32 s2, ttmp6, 0x4000c
	s_and_b32 s3, ttmp6, 15
	s_add_co_i32 s2, s2, 1
	s_getreg_b32 s4, hwreg(HW_REG_IB_STS2, 6, 4)
	s_mul_i32 s2, ttmp9, s2
	s_delay_alu instid0(SALU_CYCLE_1)
	s_add_co_i32 s3, s3, s2
	s_cmp_eq_u32 s4, 0
	s_cselect_b32 s2, ttmp9, s3
	s_mov_b32 s3, 0
	s_load_u8 s8, s[0:1], s2 offset:0x6e0
	s_add_nc_u64 s[4:5], s[0:1], s[2:3]
	s_mul_u64 s[6:7], s[2:3], 3
	s_delay_alu instid0(SALU_CYCLE_1)
	s_add_nc_u64 s[4:5], s[4:5], s[6:7]
	s_load_b32 s10, s[4:5], 0x820
	s_wait_kmcnt 0x0
	s_clause 0x1
	s_load_b64 s[6:7], s[0:1], s8 offset:0x0 scale_offset
	s_load_b64 s[12:13], s[0:1], s8 offset:0x370 scale_offset
	s_ashr_i32 s11, s10, 31
	s_wait_kmcnt 0x0
	s_and_b64 s[4:5], s[6:7], 31
	s_and_b32 s2, s12, 3
	s_lshl_b64 s[8:9], s[10:11], 19
	s_or_b64 s[2:3], s[4:5], s[2:3]
	s_lshl_b64 s[4:5], s[10:11], 16
	s_cmp_eq_u64 s[2:3], 0
	s_sub_nc_u64 s[10:11], s[12:13], s[4:5]
	s_cbranch_scc1 .LBB111_37
; %bb.1:
	v_cmp_lt_i64_e64 s2, s[10:11], 1
	s_and_b32 vcc_lo, exec_lo, s2
	s_cbranch_vccnz .LBB111_36
; %bb.2:
	s_load_b32 s4, s[0:1], 0xd3c
	v_min_i64 v[2:3], 0x10000, s[10:11]
	v_min_u64 v[6:7], 0x10000, s[10:11]
	v_dual_mov_b32 v4, 0 :: v_dual_lshlrev_b32 v12, 3, v0
	s_mov_b32 s25, 0
	s_add_nc_u64 s[2:3], s[6:7], s[8:9]
	s_mov_b32 s5, s25
	s_delay_alu instid0(VALU_DEP_1)
	v_dual_mov_b32 v1, v4 :: v_dual_mov_b32 v13, v4
	s_mov_b32 s23, s25
	v_mov_b64_e32 v[8:9], 0x3e21eeb69037ab78
	v_mov_b64_e32 v[20:21], 0xbe5ae600b42fdfa7
	s_mov_b64 s[12:13], 0x3ff921fb54442d18
	v_add_nc_u64_e32 v[12:13], s[2:3], v[12:13]
	s_mov_b64 s[14:15], 0x3fe45f306dc9c883
	s_mov_b64 s[16:17], 0xbff921fb54442d18
	s_mov_b32 s19, s25
	s_mov_b32 s21, s25
	s_mov_b64 s[26:27], 0
	s_wait_kmcnt 0x0
	s_and_b32 s24, s4, 0xffff
                                        ; implicit-def: $vgpr22_vgpr23
                                        ; implicit-def: $vgpr22_vgpr23
	;; [unrolled: 1-line block ×7, first 2 shown]
	s_delay_alu instid0(SALU_CYCLE_1)
	v_add_nc_u64_e32 v[10:11], s[24:25], v[0:1]
	v_mov_b32_e32 v19, v4
	s_lshl_b32 s4, s24, 1
	s_mul_i32 s22, s24, 3
	v_add_nc_u64_e32 v[16:17], s[4:5], v[0:1]
	v_add_nc_u64_e32 v[14:15], s[22:23], v[0:1]
	s_lshl_b32 s18, s24, 2
	v_lshlrev_b32_e32 v18, 3, v10
	s_lshl_b32 s20, s24, 5
	s_mul_u64 s[22:23], s[24:25], 24
	s_lshl_b32 s24, s24, 4
	s_delay_alu instid0(VALU_DEP_1)
	v_add_nc_u64_e32 v[18:19], s[2:3], v[18:19]
	s_branch .LBB111_4
.LBB111_3:                              ;   in Loop: Header=BB111_4 Depth=1
	s_wait_xcnt 0x0
	s_or_b32 exec_lo, exec_lo, s3
	s_add_nc_u64 s[26:27], s[26:27], s[18:19]
	v_add_nc_u64_e32 v[12:13], s[20:21], v[12:13]
	v_cmp_ge_i64_e32 vcc_lo, s[26:27], v[2:3]
	v_add_nc_u64_e32 v[18:19], s[20:21], v[18:19]
	s_cbranch_vccnz .LBB111_36
.LBB111_4:                              ; =>This Inner Loop Header: Depth=1
	v_add_nc_u64_e32 v[22:23], s[26:27], v[0:1]
	v_dual_mov_b32 v32, 0 :: v_dual_mov_b32 v33, 0
	s_delay_alu instid0(VALU_DEP_2)
	v_cmp_lt_u64_e64 s4, v[22:23], v[6:7]
	s_and_saveexec_b32 s2, s4
	s_cbranch_execz .LBB111_6
; %bb.5:                                ;   in Loop: Header=BB111_4 Depth=1
	global_load_b64 v[32:33], v[12:13], off
.LBB111_6:                              ;   in Loop: Header=BB111_4 Depth=1
	s_wait_xcnt 0x0
	s_or_b32 exec_lo, exec_lo, s2
	v_add_nc_u64_e32 v[22:23], s[26:27], v[10:11]
	v_dual_mov_b32 v26, 0 :: v_dual_mov_b32 v30, 0
	v_mov_b32_e32 v31, 0
	s_delay_alu instid0(VALU_DEP_3)
	v_cmp_lt_u64_e64 s3, v[22:23], v[6:7]
	s_and_saveexec_b32 s2, s3
	s_cbranch_execz .LBB111_8
; %bb.7:                                ;   in Loop: Header=BB111_4 Depth=1
	global_load_b64 v[30:31], v[18:19], off
.LBB111_8:                              ;   in Loop: Header=BB111_4 Depth=1
	s_wait_xcnt 0x0
	s_or_b32 exec_lo, exec_lo, s2
	v_add_nc_u64_e32 v[22:23], s[26:27], v[16:17]
	v_add_nc_u64_e32 v[28:29], s[24:25], v[12:13]
	v_mov_b32_e32 v27, 0
	s_delay_alu instid0(VALU_DEP_3)
	v_cmp_lt_u64_e64 s2, v[22:23], v[6:7]
	s_and_saveexec_b32 s5, s2
	s_cbranch_execz .LBB111_10
; %bb.9:                                ;   in Loop: Header=BB111_4 Depth=1
	global_load_b64 v[26:27], v[28:29], off
.LBB111_10:                             ;   in Loop: Header=BB111_4 Depth=1
	s_wait_xcnt 0x0
	s_or_b32 exec_lo, exec_lo, s5
	v_add_nc_u64_e32 v[22:23], s[26:27], v[14:15]
	v_mov_b64_e32 v[24:25], 0
	s_delay_alu instid0(VALU_DEP_2)
	v_cmp_lt_u64_e32 vcc_lo, v[22:23], v[6:7]
	v_add_nc_u64_e32 v[22:23], s[22:23], v[12:13]
	s_and_saveexec_b32 s5, vcc_lo
	s_cbranch_execz .LBB111_12
; %bb.11:                               ;   in Loop: Header=BB111_4 Depth=1
	global_load_b64 v[24:25], v[22:23], off
.LBB111_12:                             ;   in Loop: Header=BB111_4 Depth=1
	s_wait_xcnt 0x0
	s_or_b32 exec_lo, exec_lo, s5
	s_delay_alu instid0(SALU_CYCLE_1)
	s_mov_b32 s28, exec_lo
                                        ; implicit-def: $vgpr50
                                        ; implicit-def: $vgpr34_vgpr35
                                        ; implicit-def: $vgpr36_vgpr37
	s_wait_loadcnt 0x0
	v_cmpx_ngt_f64_e64 0x41d00000, |v[32:33]|
	s_xor_b32 s28, exec_lo, s28
	s_cbranch_execz .LBB111_14
; %bb.13:                               ;   in Loop: Header=BB111_4 Depth=1
	v_ldexp_f64 v[34:35], |v[32:33]|, 0xffffff80
	v_cmp_le_f64_e64 s5, 0x7b000000, |v[32:33]|
	v_trig_preop_f64 v[36:37], |v[32:33]|, 0
	v_and_b32_e32 v5, 0x7fffffff, v33
	v_trig_preop_f64 v[38:39], |v[32:33]|, 1
	v_trig_preop_f64 v[48:49], |v[32:33]|, 2
	s_delay_alu instid0(VALU_DEP_3) | instskip(NEXT) | instid1(VALU_DEP_1)
	v_dual_cndmask_b32 v35, v5, v35, s5 :: v_dual_cndmask_b32 v34, v32, v34, s5
	v_mul_f64_e32 v[40:41], v[36:37], v[34:35]
	s_delay_alu instid0(VALU_DEP_4) | instskip(NEXT) | instid1(VALU_DEP_4)
	v_mul_f64_e32 v[42:43], v[38:39], v[34:35]
	v_mul_f64_e32 v[54:55], v[48:49], v[34:35]
	s_delay_alu instid0(VALU_DEP_3) | instskip(NEXT) | instid1(VALU_DEP_3)
	v_fma_f64 v[36:37], v[36:37], v[34:35], -v[40:41]
	v_fma_f64 v[38:39], v[38:39], v[34:35], -v[42:43]
	s_delay_alu instid0(VALU_DEP_3) | instskip(NEXT) | instid1(VALU_DEP_3)
	v_fma_f64 v[34:35], v[48:49], v[34:35], -v[54:55]
	v_add_f64_e32 v[44:45], v[42:43], v[36:37]
	s_delay_alu instid0(VALU_DEP_1) | instskip(SKIP_1) | instid1(VALU_DEP_2)
	v_add_f64_e64 v[46:47], v[44:45], -v[42:43]
	v_add_f64_e32 v[52:53], v[40:41], v[44:45]
	v_add_f64_e64 v[50:51], v[44:45], -v[46:47]
	v_add_f64_e64 v[36:37], v[36:37], -v[46:47]
	s_delay_alu instid0(VALU_DEP_3) | instskip(NEXT) | instid1(VALU_DEP_3)
	v_ldexp_f64 v[46:47], v[52:53], -2
	v_add_f64_e64 v[42:43], v[42:43], -v[50:51]
	v_add_f64_e32 v[50:51], v[54:55], v[38:39]
	s_delay_alu instid0(VALU_DEP_3) | instskip(NEXT) | instid1(VALU_DEP_3)
	v_cmp_neq_f64_e64 s5, 0x7ff00000, |v[46:47]|
	v_add_f64_e32 v[36:37], v[36:37], v[42:43]
	v_fract_f64_e32 v[42:43], v[46:47]
	s_delay_alu instid0(VALU_DEP_1) | instskip(NEXT) | instid1(VALU_DEP_1)
	v_ldexp_f64 v[42:43], v[42:43], 2
	v_dual_add_f64 v[40:41], v[52:53], -v[40:41] :: v_dual_cndmask_b32 v42, 0, v42, s5
	s_delay_alu instid0(VALU_DEP_1) | instskip(SKIP_1) | instid1(VALU_DEP_1)
	v_dual_add_f64 v[40:41], v[44:45], -v[40:41] :: v_dual_cndmask_b32 v43, 0, v43, s5
	v_add_f64_e32 v[44:45], v[50:51], v[36:37]
	v_add_f64_e32 v[46:47], v[40:41], v[44:45]
	v_add_f64_e64 v[56:57], v[44:45], -v[50:51]
	s_delay_alu instid0(VALU_DEP_2) | instskip(NEXT) | instid1(VALU_DEP_2)
	v_add_f64_e32 v[52:53], v[46:47], v[42:43]
	v_add_f64_e64 v[62:63], v[44:45], -v[56:57]
	v_add_f64_e64 v[36:37], v[36:37], -v[56:57]
	v_add_f64_e64 v[40:41], v[46:47], -v[40:41]
	s_delay_alu instid0(VALU_DEP_4) | instskip(SKIP_1) | instid1(VALU_DEP_3)
	v_cmp_gt_f64_e64 s5, 0, v[52:53]
	v_add_f64_e64 v[52:53], v[50:51], -v[54:55]
	v_add_f64_e64 v[40:41], v[44:45], -v[40:41]
	s_delay_alu instid0(VALU_DEP_3) | instskip(NEXT) | instid1(VALU_DEP_3)
	v_cndmask_b32_e64 v5, 0, 0x40100000, s5
	v_add_f64_e64 v[60:61], v[50:51], -v[52:53]
	v_add_f64_e64 v[38:39], v[38:39], -v[52:53]
	;; [unrolled: 1-line block ×3, first 2 shown]
	s_delay_alu instid0(VALU_DEP_4) | instskip(NEXT) | instid1(VALU_DEP_4)
	v_add_f64_e32 v[42:43], v[42:43], v[4:5]
	v_add_f64_e64 v[52:53], v[54:55], -v[60:61]
	s_delay_alu instid0(VALU_DEP_3) | instskip(NEXT) | instid1(VALU_DEP_3)
	v_add_f64_e32 v[36:37], v[36:37], v[50:51]
	v_add_f64_e32 v[58:59], v[46:47], v[42:43]
	s_delay_alu instid0(VALU_DEP_3) | instskip(NEXT) | instid1(VALU_DEP_2)
	v_add_f64_e32 v[38:39], v[38:39], v[52:53]
	v_cvt_i32_f64_e32 v5, v[58:59]
	s_delay_alu instid0(VALU_DEP_2) | instskip(NEXT) | instid1(VALU_DEP_2)
	v_add_f64_e32 v[36:37], v[38:39], v[36:37]
	v_cvt_f64_i32_e32 v[56:57], v5
	s_delay_alu instid0(VALU_DEP_2) | instskip(NEXT) | instid1(VALU_DEP_2)
	v_add_f64_e32 v[34:35], v[34:35], v[36:37]
	v_add_f64_e64 v[42:43], v[42:43], -v[56:57]
	s_delay_alu instid0(VALU_DEP_2) | instskip(NEXT) | instid1(VALU_DEP_2)
	v_add_f64_e32 v[34:35], v[40:41], v[34:35]
	v_add_f64_e32 v[38:39], v[46:47], v[42:43]
	s_delay_alu instid0(VALU_DEP_1) | instskip(SKIP_1) | instid1(VALU_DEP_2)
	v_add_f64_e64 v[36:37], v[38:39], -v[42:43]
	v_cmp_le_f64_e64 s5, 0.5, v[38:39]
	v_add_f64_e64 v[36:37], v[46:47], -v[36:37]
	s_delay_alu instid0(VALU_DEP_2) | instskip(SKIP_1) | instid1(VALU_DEP_3)
	v_add_co_ci_u32_e64 v50, null, 0, v5, s5
	v_cndmask_b32_e64 v5, 0, 0x3ff00000, s5
	v_add_f64_e32 v[34:35], v[34:35], v[36:37]
	s_delay_alu instid0(VALU_DEP_2) | instskip(NEXT) | instid1(VALU_DEP_1)
	v_add_f64_e64 v[36:37], v[38:39], -v[4:5]
	v_add_f64_e32 v[38:39], v[36:37], v[34:35]
	s_delay_alu instid0(VALU_DEP_1) | instskip(SKIP_1) | instid1(VALU_DEP_2)
	v_mul_f64_e32 v[40:41], 0x3ff921fb54442d18, v[38:39]
	v_add_f64_e64 v[36:37], v[38:39], -v[36:37]
	v_fma_f64 v[42:43], v[38:39], s[12:13], -v[40:41]
	s_delay_alu instid0(VALU_DEP_2) | instskip(NEXT) | instid1(VALU_DEP_2)
	v_add_f64_e64 v[34:35], v[34:35], -v[36:37]
	v_fmac_f64_e32 v[42:43], 0x3c91a62633145c07, v[38:39]
	s_delay_alu instid0(VALU_DEP_1) | instskip(NEXT) | instid1(VALU_DEP_1)
	v_fmac_f64_e32 v[42:43], 0x3ff921fb54442d18, v[34:35]
	v_add_f64_e32 v[34:35], v[40:41], v[42:43]
	s_delay_alu instid0(VALU_DEP_1) | instskip(NEXT) | instid1(VALU_DEP_1)
	v_add_f64_e64 v[36:37], v[34:35], -v[40:41]
	v_add_f64_e64 v[36:37], v[42:43], -v[36:37]
.LBB111_14:                             ;   in Loop: Header=BB111_4 Depth=1
	s_and_not1_saveexec_b32 s5, s28
	s_cbranch_execz .LBB111_16
; %bb.15:                               ;   in Loop: Header=BB111_4 Depth=1
	v_mul_f64_e64 v[34:35], |v[32:33]|, s[14:15]
	s_delay_alu instid0(VALU_DEP_1) | instskip(NEXT) | instid1(VALU_DEP_1)
	v_rndne_f64_e32 v[38:39], v[34:35]
	v_fma_f64 v[34:35], v[38:39], s[16:17], |v[32:33]|
	v_mul_f64_e32 v[36:37], 0xbc91a62633145c00, v[38:39]
	v_cvt_i32_f64_e32 v50, v[38:39]
	s_delay_alu instid0(VALU_DEP_3) | instskip(NEXT) | instid1(VALU_DEP_3)
	v_fmamk_f64 v[44:45], v[38:39], 0xbc91a62633145c00, v[34:35]
	v_add_f64_e32 v[40:41], v[34:35], v[36:37]
	s_delay_alu instid0(VALU_DEP_1) | instskip(NEXT) | instid1(VALU_DEP_3)
	v_add_f64_e64 v[42:43], v[34:35], -v[40:41]
	v_add_f64_e64 v[34:35], v[40:41], -v[44:45]
	s_delay_alu instid0(VALU_DEP_2) | instskip(SKIP_1) | instid1(VALU_DEP_2)
	v_add_f64_e32 v[40:41], v[42:43], v[36:37]
	v_fmamk_f64 v[36:37], v[38:39], 0x3c91a62633145c00, v[36:37]
	v_add_f64_e32 v[34:35], v[34:35], v[40:41]
	s_delay_alu instid0(VALU_DEP_1) | instskip(NEXT) | instid1(VALU_DEP_1)
	v_add_f64_e64 v[36:37], v[34:35], -v[36:37]
	v_fmac_f64_e32 v[36:37], 0xb97b839a252049c0, v[38:39]
	s_delay_alu instid0(VALU_DEP_1) | instskip(NEXT) | instid1(VALU_DEP_1)
	v_add_f64_e32 v[34:35], v[44:45], v[36:37]
	v_add_f64_e64 v[40:41], v[34:35], -v[44:45]
	s_delay_alu instid0(VALU_DEP_1)
	v_add_f64_e64 v[36:37], v[36:37], -v[40:41]
.LBB111_16:                             ;   in Loop: Header=BB111_4 Depth=1
	s_or_b32 exec_lo, exec_lo, s5
	s_delay_alu instid0(SALU_CYCLE_1)
	s_mov_b32 s28, exec_lo
                                        ; implicit-def: $vgpr51
                                        ; implicit-def: $vgpr38_vgpr39
                                        ; implicit-def: $vgpr40_vgpr41
	v_cmpx_ngt_f64_e64 0x41d00000, |v[30:31]|
	s_xor_b32 s28, exec_lo, s28
	s_cbranch_execz .LBB111_18
; %bb.17:                               ;   in Loop: Header=BB111_4 Depth=1
	v_ldexp_f64 v[38:39], |v[30:31]|, 0xffffff80
	v_cmp_le_f64_e64 s5, 0x7b000000, |v[30:31]|
	v_trig_preop_f64 v[40:41], |v[30:31]|, 0
	v_and_b32_e32 v5, 0x7fffffff, v31
	v_trig_preop_f64 v[42:43], |v[30:31]|, 1
	v_trig_preop_f64 v[54:55], |v[30:31]|, 2
	s_delay_alu instid0(VALU_DEP_3) | instskip(NEXT) | instid1(VALU_DEP_1)
	v_dual_cndmask_b32 v39, v5, v39, s5 :: v_dual_cndmask_b32 v38, v30, v38, s5
	v_mul_f64_e32 v[44:45], v[40:41], v[38:39]
	s_delay_alu instid0(VALU_DEP_4) | instskip(NEXT) | instid1(VALU_DEP_4)
	v_mul_f64_e32 v[46:47], v[42:43], v[38:39]
	v_mul_f64_e32 v[60:61], v[54:55], v[38:39]
	s_delay_alu instid0(VALU_DEP_3) | instskip(NEXT) | instid1(VALU_DEP_3)
	v_fma_f64 v[40:41], v[40:41], v[38:39], -v[44:45]
	v_fma_f64 v[42:43], v[42:43], v[38:39], -v[46:47]
	s_delay_alu instid0(VALU_DEP_3) | instskip(NEXT) | instid1(VALU_DEP_3)
	v_fma_f64 v[38:39], v[54:55], v[38:39], -v[60:61]
	v_add_f64_e32 v[48:49], v[46:47], v[40:41]
	s_delay_alu instid0(VALU_DEP_1) | instskip(SKIP_1) | instid1(VALU_DEP_2)
	v_add_f64_e64 v[52:53], v[48:49], -v[46:47]
	v_add_f64_e32 v[58:59], v[44:45], v[48:49]
	v_add_f64_e64 v[56:57], v[48:49], -v[52:53]
	v_add_f64_e64 v[40:41], v[40:41], -v[52:53]
	s_delay_alu instid0(VALU_DEP_3) | instskip(SKIP_1) | instid1(VALU_DEP_4)
	v_ldexp_f64 v[52:53], v[58:59], -2
	v_add_f64_e64 v[44:45], v[58:59], -v[44:45]
	v_add_f64_e64 v[46:47], v[46:47], -v[56:57]
	v_add_f64_e32 v[56:57], v[60:61], v[42:43]
	s_delay_alu instid0(VALU_DEP_4) | instskip(NEXT) | instid1(VALU_DEP_3)
	v_cmp_neq_f64_e64 s5, 0x7ff00000, |v[52:53]|
	v_add_f64_e32 v[40:41], v[40:41], v[46:47]
	v_fract_f64_e32 v[46:47], v[52:53]
	s_delay_alu instid0(VALU_DEP_1) | instskip(NEXT) | instid1(VALU_DEP_1)
	v_ldexp_f64 v[46:47], v[46:47], 2
	v_dual_add_f64 v[44:45], v[48:49], -v[44:45] :: v_dual_cndmask_b32 v47, 0, v47, s5
	s_delay_alu instid0(VALU_DEP_2) | instskip(NEXT) | instid1(VALU_DEP_1)
	v_dual_add_f64 v[48:49], v[56:57], v[40:41] :: v_dual_cndmask_b32 v46, 0, v46, s5
	v_add_f64_e32 v[52:53], v[44:45], v[48:49]
	v_add_f64_e64 v[62:63], v[48:49], -v[56:57]
	s_delay_alu instid0(VALU_DEP_2) | instskip(NEXT) | instid1(VALU_DEP_2)
	v_add_f64_e32 v[58:59], v[52:53], v[46:47]
	v_add_f64_e64 v[68:69], v[48:49], -v[62:63]
	v_add_f64_e64 v[40:41], v[40:41], -v[62:63]
	;; [unrolled: 1-line block ×3, first 2 shown]
	s_delay_alu instid0(VALU_DEP_4) | instskip(SKIP_1) | instid1(VALU_DEP_3)
	v_cmp_gt_f64_e64 s5, 0, v[58:59]
	v_add_f64_e64 v[58:59], v[56:57], -v[60:61]
	v_add_f64_e64 v[44:45], v[48:49], -v[44:45]
	s_delay_alu instid0(VALU_DEP_3) | instskip(NEXT) | instid1(VALU_DEP_3)
	v_cndmask_b32_e64 v5, 0, 0x40100000, s5
	v_add_f64_e64 v[66:67], v[56:57], -v[58:59]
	v_add_f64_e64 v[42:43], v[42:43], -v[58:59]
	;; [unrolled: 1-line block ×3, first 2 shown]
	s_delay_alu instid0(VALU_DEP_4) | instskip(NEXT) | instid1(VALU_DEP_4)
	v_add_f64_e32 v[46:47], v[46:47], v[4:5]
	v_add_f64_e64 v[58:59], v[60:61], -v[66:67]
	s_delay_alu instid0(VALU_DEP_3) | instskip(NEXT) | instid1(VALU_DEP_3)
	v_add_f64_e32 v[40:41], v[40:41], v[56:57]
	v_add_f64_e32 v[64:65], v[52:53], v[46:47]
	s_delay_alu instid0(VALU_DEP_3) | instskip(NEXT) | instid1(VALU_DEP_2)
	v_add_f64_e32 v[42:43], v[42:43], v[58:59]
	v_cvt_i32_f64_e32 v5, v[64:65]
	s_delay_alu instid0(VALU_DEP_2) | instskip(NEXT) | instid1(VALU_DEP_2)
	v_add_f64_e32 v[40:41], v[42:43], v[40:41]
	v_cvt_f64_i32_e32 v[62:63], v5
	s_delay_alu instid0(VALU_DEP_2) | instskip(NEXT) | instid1(VALU_DEP_2)
	v_add_f64_e32 v[38:39], v[38:39], v[40:41]
	v_add_f64_e64 v[46:47], v[46:47], -v[62:63]
	s_delay_alu instid0(VALU_DEP_2) | instskip(NEXT) | instid1(VALU_DEP_2)
	v_add_f64_e32 v[38:39], v[44:45], v[38:39]
	v_add_f64_e32 v[42:43], v[52:53], v[46:47]
	s_delay_alu instid0(VALU_DEP_1) | instskip(SKIP_1) | instid1(VALU_DEP_2)
	v_add_f64_e64 v[40:41], v[42:43], -v[46:47]
	v_cmp_le_f64_e64 s5, 0.5, v[42:43]
	v_add_f64_e64 v[40:41], v[52:53], -v[40:41]
	s_delay_alu instid0(VALU_DEP_2) | instskip(SKIP_1) | instid1(VALU_DEP_3)
	v_add_co_ci_u32_e64 v51, null, 0, v5, s5
	v_cndmask_b32_e64 v5, 0, 0x3ff00000, s5
	v_add_f64_e32 v[38:39], v[38:39], v[40:41]
	s_delay_alu instid0(VALU_DEP_2) | instskip(NEXT) | instid1(VALU_DEP_1)
	v_add_f64_e64 v[40:41], v[42:43], -v[4:5]
	v_add_f64_e32 v[42:43], v[40:41], v[38:39]
	s_delay_alu instid0(VALU_DEP_1) | instskip(SKIP_1) | instid1(VALU_DEP_2)
	v_mul_f64_e32 v[44:45], 0x3ff921fb54442d18, v[42:43]
	v_add_f64_e64 v[40:41], v[42:43], -v[40:41]
	v_fma_f64 v[46:47], v[42:43], s[12:13], -v[44:45]
	s_delay_alu instid0(VALU_DEP_2) | instskip(NEXT) | instid1(VALU_DEP_2)
	v_add_f64_e64 v[38:39], v[38:39], -v[40:41]
	v_fmac_f64_e32 v[46:47], 0x3c91a62633145c07, v[42:43]
	s_delay_alu instid0(VALU_DEP_1) | instskip(NEXT) | instid1(VALU_DEP_1)
	v_fmac_f64_e32 v[46:47], 0x3ff921fb54442d18, v[38:39]
	v_add_f64_e32 v[38:39], v[44:45], v[46:47]
	s_delay_alu instid0(VALU_DEP_1) | instskip(NEXT) | instid1(VALU_DEP_1)
	v_add_f64_e64 v[40:41], v[38:39], -v[44:45]
	v_add_f64_e64 v[40:41], v[46:47], -v[40:41]
.LBB111_18:                             ;   in Loop: Header=BB111_4 Depth=1
	s_and_not1_saveexec_b32 s5, s28
	s_cbranch_execz .LBB111_20
; %bb.19:                               ;   in Loop: Header=BB111_4 Depth=1
	v_mul_f64_e64 v[38:39], |v[30:31]|, s[14:15]
	s_delay_alu instid0(VALU_DEP_1) | instskip(NEXT) | instid1(VALU_DEP_1)
	v_rndne_f64_e32 v[42:43], v[38:39]
	v_fma_f64 v[38:39], v[42:43], s[16:17], |v[30:31]|
	v_mul_f64_e32 v[40:41], 0xbc91a62633145c00, v[42:43]
	v_cvt_i32_f64_e32 v51, v[42:43]
	s_delay_alu instid0(VALU_DEP_3) | instskip(NEXT) | instid1(VALU_DEP_3)
	v_fmamk_f64 v[48:49], v[42:43], 0xbc91a62633145c00, v[38:39]
	v_add_f64_e32 v[44:45], v[38:39], v[40:41]
	s_delay_alu instid0(VALU_DEP_1) | instskip(NEXT) | instid1(VALU_DEP_3)
	v_add_f64_e64 v[46:47], v[38:39], -v[44:45]
	v_add_f64_e64 v[38:39], v[44:45], -v[48:49]
	s_delay_alu instid0(VALU_DEP_2) | instskip(SKIP_1) | instid1(VALU_DEP_2)
	v_add_f64_e32 v[44:45], v[46:47], v[40:41]
	v_fmamk_f64 v[40:41], v[42:43], 0x3c91a62633145c00, v[40:41]
	v_add_f64_e32 v[38:39], v[38:39], v[44:45]
	s_delay_alu instid0(VALU_DEP_1) | instskip(NEXT) | instid1(VALU_DEP_1)
	v_add_f64_e64 v[40:41], v[38:39], -v[40:41]
	v_fmac_f64_e32 v[40:41], 0xb97b839a252049c0, v[42:43]
	s_delay_alu instid0(VALU_DEP_1) | instskip(NEXT) | instid1(VALU_DEP_1)
	v_add_f64_e32 v[38:39], v[48:49], v[40:41]
	v_add_f64_e64 v[44:45], v[38:39], -v[48:49]
	s_delay_alu instid0(VALU_DEP_1)
	v_add_f64_e64 v[40:41], v[40:41], -v[44:45]
.LBB111_20:                             ;   in Loop: Header=BB111_4 Depth=1
	s_or_b32 exec_lo, exec_lo, s5
	s_delay_alu instid0(SALU_CYCLE_1)
	s_mov_b32 s28, exec_lo
                                        ; implicit-def: $vgpr52
                                        ; implicit-def: $vgpr42_vgpr43
                                        ; implicit-def: $vgpr44_vgpr45
	v_cmpx_ngt_f64_e64 0x41d00000, |v[26:27]|
	s_xor_b32 s28, exec_lo, s28
	s_cbranch_execz .LBB111_22
; %bb.21:                               ;   in Loop: Header=BB111_4 Depth=1
	v_ldexp_f64 v[42:43], |v[26:27]|, 0xffffff80
	v_cmp_le_f64_e64 s5, 0x7b000000, |v[26:27]|
	v_trig_preop_f64 v[44:45], |v[26:27]|, 0
	v_and_b32_e32 v5, 0x7fffffff, v27
	v_trig_preop_f64 v[46:47], |v[26:27]|, 1
	v_trig_preop_f64 v[58:59], |v[26:27]|, 2
	s_delay_alu instid0(VALU_DEP_3) | instskip(NEXT) | instid1(VALU_DEP_1)
	v_dual_cndmask_b32 v43, v5, v43, s5 :: v_dual_cndmask_b32 v42, v26, v42, s5
	v_mul_f64_e32 v[48:49], v[44:45], v[42:43]
	s_delay_alu instid0(VALU_DEP_4) | instskip(NEXT) | instid1(VALU_DEP_4)
	v_mul_f64_e32 v[52:53], v[46:47], v[42:43]
	v_mul_f64_e32 v[64:65], v[58:59], v[42:43]
	s_delay_alu instid0(VALU_DEP_3) | instskip(NEXT) | instid1(VALU_DEP_3)
	v_fma_f64 v[44:45], v[44:45], v[42:43], -v[48:49]
	v_fma_f64 v[46:47], v[46:47], v[42:43], -v[52:53]
	s_delay_alu instid0(VALU_DEP_3) | instskip(NEXT) | instid1(VALU_DEP_3)
	v_fma_f64 v[42:43], v[58:59], v[42:43], -v[64:65]
	v_add_f64_e32 v[54:55], v[52:53], v[44:45]
	s_delay_alu instid0(VALU_DEP_1) | instskip(SKIP_1) | instid1(VALU_DEP_2)
	v_add_f64_e64 v[56:57], v[54:55], -v[52:53]
	v_add_f64_e32 v[62:63], v[48:49], v[54:55]
	v_add_f64_e64 v[60:61], v[54:55], -v[56:57]
	v_add_f64_e64 v[44:45], v[44:45], -v[56:57]
	s_delay_alu instid0(VALU_DEP_3) | instskip(NEXT) | instid1(VALU_DEP_3)
	v_ldexp_f64 v[56:57], v[62:63], -2
	v_add_f64_e64 v[52:53], v[52:53], -v[60:61]
	v_add_f64_e32 v[60:61], v[64:65], v[46:47]
	s_delay_alu instid0(VALU_DEP_3) | instskip(NEXT) | instid1(VALU_DEP_3)
	v_cmp_neq_f64_e64 s5, 0x7ff00000, |v[56:57]|
	v_add_f64_e32 v[44:45], v[44:45], v[52:53]
	v_fract_f64_e32 v[52:53], v[56:57]
	s_delay_alu instid0(VALU_DEP_1) | instskip(NEXT) | instid1(VALU_DEP_1)
	v_ldexp_f64 v[52:53], v[52:53], 2
	v_cndmask_b32_e64 v53, 0, v53, s5
	v_add_f64_e64 v[48:49], v[62:63], -v[48:49]
	s_delay_alu instid0(VALU_DEP_3) | instskip(NEXT) | instid1(VALU_DEP_2)
	v_cndmask_b32_e64 v52, 0, v52, s5
	v_add_f64_e64 v[48:49], v[54:55], -v[48:49]
	v_add_f64_e32 v[54:55], v[60:61], v[44:45]
	s_delay_alu instid0(VALU_DEP_1) | instskip(SKIP_1) | instid1(VALU_DEP_2)
	v_add_f64_e32 v[56:57], v[48:49], v[54:55]
	v_add_f64_e64 v[66:67], v[54:55], -v[60:61]
	v_add_f64_e32 v[62:63], v[56:57], v[52:53]
	s_delay_alu instid0(VALU_DEP_2) | instskip(SKIP_2) | instid1(VALU_DEP_4)
	v_add_f64_e64 v[72:73], v[54:55], -v[66:67]
	v_add_f64_e64 v[44:45], v[44:45], -v[66:67]
	;; [unrolled: 1-line block ×3, first 2 shown]
	v_cmp_gt_f64_e64 s5, 0, v[62:63]
	v_add_f64_e64 v[62:63], v[60:61], -v[64:65]
	s_delay_alu instid0(VALU_DEP_3) | instskip(NEXT) | instid1(VALU_DEP_3)
	v_add_f64_e64 v[48:49], v[54:55], -v[48:49]
	v_cndmask_b32_e64 v5, 0, 0x40100000, s5
	s_delay_alu instid0(VALU_DEP_3) | instskip(SKIP_2) | instid1(VALU_DEP_4)
	v_add_f64_e64 v[70:71], v[60:61], -v[62:63]
	v_add_f64_e64 v[46:47], v[46:47], -v[62:63]
	;; [unrolled: 1-line block ×3, first 2 shown]
	v_add_f64_e32 v[52:53], v[52:53], v[4:5]
	s_delay_alu instid0(VALU_DEP_4) | instskip(NEXT) | instid1(VALU_DEP_3)
	v_add_f64_e64 v[62:63], v[64:65], -v[70:71]
	v_add_f64_e32 v[44:45], v[44:45], v[60:61]
	s_delay_alu instid0(VALU_DEP_3) | instskip(NEXT) | instid1(VALU_DEP_3)
	v_add_f64_e32 v[68:69], v[56:57], v[52:53]
	v_add_f64_e32 v[46:47], v[46:47], v[62:63]
	s_delay_alu instid0(VALU_DEP_2) | instskip(NEXT) | instid1(VALU_DEP_2)
	v_cvt_i32_f64_e32 v5, v[68:69]
	v_add_f64_e32 v[44:45], v[46:47], v[44:45]
	s_delay_alu instid0(VALU_DEP_2) | instskip(NEXT) | instid1(VALU_DEP_2)
	v_cvt_f64_i32_e32 v[66:67], v5
	v_add_f64_e32 v[42:43], v[42:43], v[44:45]
	s_delay_alu instid0(VALU_DEP_2) | instskip(NEXT) | instid1(VALU_DEP_2)
	v_add_f64_e64 v[52:53], v[52:53], -v[66:67]
	v_add_f64_e32 v[42:43], v[48:49], v[42:43]
	s_delay_alu instid0(VALU_DEP_2) | instskip(NEXT) | instid1(VALU_DEP_1)
	v_add_f64_e32 v[46:47], v[56:57], v[52:53]
	v_add_f64_e64 v[44:45], v[46:47], -v[52:53]
	v_cmp_le_f64_e64 s5, 0.5, v[46:47]
	s_delay_alu instid0(VALU_DEP_2) | instskip(NEXT) | instid1(VALU_DEP_2)
	v_add_f64_e64 v[44:45], v[56:57], -v[44:45]
	v_add_co_ci_u32_e64 v52, null, 0, v5, s5
	v_cndmask_b32_e64 v5, 0, 0x3ff00000, s5
	s_delay_alu instid0(VALU_DEP_3) | instskip(NEXT) | instid1(VALU_DEP_2)
	v_add_f64_e32 v[42:43], v[42:43], v[44:45]
	v_add_f64_e64 v[44:45], v[46:47], -v[4:5]
	s_delay_alu instid0(VALU_DEP_1) | instskip(NEXT) | instid1(VALU_DEP_1)
	v_add_f64_e32 v[46:47], v[44:45], v[42:43]
	v_mul_f64_e32 v[48:49], 0x3ff921fb54442d18, v[46:47]
	v_add_f64_e64 v[44:45], v[46:47], -v[44:45]
	s_delay_alu instid0(VALU_DEP_2) | instskip(NEXT) | instid1(VALU_DEP_2)
	v_fma_f64 v[54:55], v[46:47], s[12:13], -v[48:49]
	v_add_f64_e64 v[42:43], v[42:43], -v[44:45]
	s_delay_alu instid0(VALU_DEP_2) | instskip(NEXT) | instid1(VALU_DEP_1)
	v_fmac_f64_e32 v[54:55], 0x3c91a62633145c07, v[46:47]
	v_fmac_f64_e32 v[54:55], 0x3ff921fb54442d18, v[42:43]
	s_delay_alu instid0(VALU_DEP_1) | instskip(NEXT) | instid1(VALU_DEP_1)
	v_add_f64_e32 v[42:43], v[48:49], v[54:55]
	v_add_f64_e64 v[44:45], v[42:43], -v[48:49]
	s_delay_alu instid0(VALU_DEP_1)
	v_add_f64_e64 v[44:45], v[54:55], -v[44:45]
.LBB111_22:                             ;   in Loop: Header=BB111_4 Depth=1
	s_and_not1_saveexec_b32 s5, s28
	s_cbranch_execz .LBB111_24
; %bb.23:                               ;   in Loop: Header=BB111_4 Depth=1
	v_mul_f64_e64 v[42:43], |v[26:27]|, s[14:15]
	s_delay_alu instid0(VALU_DEP_1) | instskip(NEXT) | instid1(VALU_DEP_1)
	v_rndne_f64_e32 v[46:47], v[42:43]
	v_fma_f64 v[42:43], v[46:47], s[16:17], |v[26:27]|
	v_mul_f64_e32 v[44:45], 0xbc91a62633145c00, v[46:47]
	s_delay_alu instid0(VALU_DEP_2) | instskip(NEXT) | instid1(VALU_DEP_2)
	v_fmamk_f64 v[54:55], v[46:47], 0xbc91a62633145c00, v[42:43]
	v_add_f64_e32 v[48:49], v[42:43], v[44:45]
	s_delay_alu instid0(VALU_DEP_1) | instskip(NEXT) | instid1(VALU_DEP_3)
	v_add_f64_e64 v[52:53], v[42:43], -v[48:49]
	v_add_f64_e64 v[42:43], v[48:49], -v[54:55]
	s_delay_alu instid0(VALU_DEP_2) | instskip(SKIP_2) | instid1(VALU_DEP_3)
	v_add_f64_e32 v[48:49], v[52:53], v[44:45]
	v_fmamk_f64 v[44:45], v[46:47], 0x3c91a62633145c00, v[44:45]
	v_cvt_i32_f64_e32 v52, v[46:47]
	v_add_f64_e32 v[42:43], v[42:43], v[48:49]
	s_delay_alu instid0(VALU_DEP_1) | instskip(NEXT) | instid1(VALU_DEP_1)
	v_add_f64_e64 v[44:45], v[42:43], -v[44:45]
	v_fmac_f64_e32 v[44:45], 0xb97b839a252049c0, v[46:47]
	s_delay_alu instid0(VALU_DEP_1) | instskip(NEXT) | instid1(VALU_DEP_1)
	v_add_f64_e32 v[42:43], v[54:55], v[44:45]
	v_add_f64_e64 v[48:49], v[42:43], -v[54:55]
	s_delay_alu instid0(VALU_DEP_1)
	v_add_f64_e64 v[44:45], v[44:45], -v[48:49]
.LBB111_24:                             ;   in Loop: Header=BB111_4 Depth=1
	s_or_b32 exec_lo, exec_lo, s5
	s_delay_alu instid0(SALU_CYCLE_1)
	s_mov_b32 s28, exec_lo
                                        ; implicit-def: $vgpr53
                                        ; implicit-def: $vgpr46_vgpr47
                                        ; implicit-def: $vgpr48_vgpr49
	v_cmpx_ngt_f64_e64 0x41d00000, |v[24:25]|
	s_xor_b32 s28, exec_lo, s28
	s_cbranch_execnz .LBB111_30
; %bb.25:                               ;   in Loop: Header=BB111_4 Depth=1
	s_and_not1_saveexec_b32 s5, s28
	s_cbranch_execnz .LBB111_31
.LBB111_26:                             ;   in Loop: Header=BB111_4 Depth=1
	s_or_b32 exec_lo, exec_lo, s5
	s_and_saveexec_b32 s5, s4
	s_delay_alu instid0(SALU_CYCLE_1)
	s_xor_b32 s28, exec_lo, s5
	s_cbranch_execnz .LBB111_32
.LBB111_27:                             ;   in Loop: Header=BB111_4 Depth=1
	s_or_b32 exec_lo, exec_lo, s28
	s_and_saveexec_b32 s5, s3
	s_cbranch_execnz .LBB111_33
.LBB111_28:                             ;   in Loop: Header=BB111_4 Depth=1
	s_or_b32 exec_lo, exec_lo, s5
	s_and_saveexec_b32 s4, s2
	s_cbranch_execnz .LBB111_34
.LBB111_29:                             ;   in Loop: Header=BB111_4 Depth=1
	s_or_b32 exec_lo, exec_lo, s4
	s_and_saveexec_b32 s3, vcc_lo
	s_cbranch_execz .LBB111_3
	s_branch .LBB111_35
.LBB111_30:                             ;   in Loop: Header=BB111_4 Depth=1
	v_ldexp_f64 v[46:47], |v[24:25]|, 0xffffff80
	v_cmp_le_f64_e64 s5, 0x7b000000, |v[24:25]|
	v_trig_preop_f64 v[48:49], |v[24:25]|, 0
	v_and_b32_e32 v5, 0x7fffffff, v25
	v_trig_preop_f64 v[54:55], |v[24:25]|, 1
	v_trig_preop_f64 v[64:65], |v[24:25]|, 2
	s_delay_alu instid0(VALU_DEP_3) | instskip(NEXT) | instid1(VALU_DEP_1)
	v_dual_cndmask_b32 v47, v5, v47, s5 :: v_dual_cndmask_b32 v46, v24, v46, s5
	v_mul_f64_e32 v[56:57], v[48:49], v[46:47]
	s_delay_alu instid0(VALU_DEP_4) | instskip(NEXT) | instid1(VALU_DEP_4)
	v_mul_f64_e32 v[58:59], v[54:55], v[46:47]
	v_mul_f64_e32 v[70:71], v[64:65], v[46:47]
	s_delay_alu instid0(VALU_DEP_3) | instskip(NEXT) | instid1(VALU_DEP_3)
	v_fma_f64 v[48:49], v[48:49], v[46:47], -v[56:57]
	v_fma_f64 v[54:55], v[54:55], v[46:47], -v[58:59]
	s_delay_alu instid0(VALU_DEP_3) | instskip(NEXT) | instid1(VALU_DEP_3)
	v_fma_f64 v[46:47], v[64:65], v[46:47], -v[70:71]
	v_add_f64_e32 v[60:61], v[58:59], v[48:49]
	s_delay_alu instid0(VALU_DEP_1) | instskip(SKIP_1) | instid1(VALU_DEP_2)
	v_add_f64_e64 v[62:63], v[60:61], -v[58:59]
	v_add_f64_e32 v[68:69], v[56:57], v[60:61]
	v_add_f64_e64 v[66:67], v[60:61], -v[62:63]
	v_add_f64_e64 v[48:49], v[48:49], -v[62:63]
	s_delay_alu instid0(VALU_DEP_3) | instskip(NEXT) | instid1(VALU_DEP_3)
	v_ldexp_f64 v[62:63], v[68:69], -2
	v_add_f64_e64 v[58:59], v[58:59], -v[66:67]
	v_add_f64_e32 v[66:67], v[70:71], v[54:55]
	s_delay_alu instid0(VALU_DEP_3) | instskip(NEXT) | instid1(VALU_DEP_3)
	v_cmp_neq_f64_e64 s5, 0x7ff00000, |v[62:63]|
	v_add_f64_e32 v[48:49], v[48:49], v[58:59]
	v_fract_f64_e32 v[58:59], v[62:63]
	s_delay_alu instid0(VALU_DEP_1) | instskip(NEXT) | instid1(VALU_DEP_1)
	v_ldexp_f64 v[58:59], v[58:59], 2
	v_dual_add_f64 v[56:57], v[68:69], -v[56:57] :: v_dual_cndmask_b32 v58, 0, v58, s5
	s_delay_alu instid0(VALU_DEP_1) | instskip(SKIP_1) | instid1(VALU_DEP_1)
	v_dual_add_f64 v[56:57], v[60:61], -v[56:57] :: v_dual_cndmask_b32 v59, 0, v59, s5
	v_add_f64_e32 v[60:61], v[66:67], v[48:49]
	v_add_f64_e32 v[62:63], v[56:57], v[60:61]
	v_add_f64_e64 v[72:73], v[60:61], -v[66:67]
	s_delay_alu instid0(VALU_DEP_2) | instskip(NEXT) | instid1(VALU_DEP_2)
	v_add_f64_e32 v[68:69], v[62:63], v[58:59]
	v_add_f64_e64 v[78:79], v[60:61], -v[72:73]
	v_add_f64_e64 v[48:49], v[48:49], -v[72:73]
	;; [unrolled: 1-line block ×3, first 2 shown]
	s_delay_alu instid0(VALU_DEP_4) | instskip(SKIP_1) | instid1(VALU_DEP_3)
	v_cmp_gt_f64_e64 s5, 0, v[68:69]
	v_add_f64_e64 v[68:69], v[66:67], -v[70:71]
	v_add_f64_e64 v[56:57], v[60:61], -v[56:57]
	s_delay_alu instid0(VALU_DEP_3) | instskip(NEXT) | instid1(VALU_DEP_3)
	v_cndmask_b32_e64 v5, 0, 0x40100000, s5
	v_add_f64_e64 v[76:77], v[66:67], -v[68:69]
	v_add_f64_e64 v[54:55], v[54:55], -v[68:69]
	;; [unrolled: 1-line block ×3, first 2 shown]
	s_delay_alu instid0(VALU_DEP_4) | instskip(NEXT) | instid1(VALU_DEP_4)
	v_add_f64_e32 v[58:59], v[58:59], v[4:5]
	v_add_f64_e64 v[68:69], v[70:71], -v[76:77]
	s_delay_alu instid0(VALU_DEP_3) | instskip(NEXT) | instid1(VALU_DEP_3)
	v_add_f64_e32 v[48:49], v[48:49], v[66:67]
	v_add_f64_e32 v[74:75], v[62:63], v[58:59]
	s_delay_alu instid0(VALU_DEP_3) | instskip(NEXT) | instid1(VALU_DEP_2)
	v_add_f64_e32 v[54:55], v[54:55], v[68:69]
	v_cvt_i32_f64_e32 v5, v[74:75]
	s_delay_alu instid0(VALU_DEP_2) | instskip(NEXT) | instid1(VALU_DEP_2)
	v_add_f64_e32 v[48:49], v[54:55], v[48:49]
	v_cvt_f64_i32_e32 v[72:73], v5
	s_delay_alu instid0(VALU_DEP_2) | instskip(NEXT) | instid1(VALU_DEP_2)
	v_add_f64_e32 v[46:47], v[46:47], v[48:49]
	v_add_f64_e64 v[58:59], v[58:59], -v[72:73]
	s_delay_alu instid0(VALU_DEP_2) | instskip(NEXT) | instid1(VALU_DEP_2)
	v_add_f64_e32 v[46:47], v[56:57], v[46:47]
	v_add_f64_e32 v[54:55], v[62:63], v[58:59]
	s_delay_alu instid0(VALU_DEP_1) | instskip(SKIP_1) | instid1(VALU_DEP_2)
	v_add_f64_e64 v[48:49], v[54:55], -v[58:59]
	v_cmp_le_f64_e64 s5, 0.5, v[54:55]
	v_add_f64_e64 v[48:49], v[62:63], -v[48:49]
	s_delay_alu instid0(VALU_DEP_2) | instskip(SKIP_1) | instid1(VALU_DEP_3)
	v_add_co_ci_u32_e64 v53, null, 0, v5, s5
	v_cndmask_b32_e64 v5, 0, 0x3ff00000, s5
	v_add_f64_e32 v[46:47], v[46:47], v[48:49]
	s_delay_alu instid0(VALU_DEP_2) | instskip(NEXT) | instid1(VALU_DEP_1)
	v_add_f64_e64 v[48:49], v[54:55], -v[4:5]
	v_add_f64_e32 v[54:55], v[48:49], v[46:47]
	s_delay_alu instid0(VALU_DEP_1) | instskip(SKIP_1) | instid1(VALU_DEP_2)
	v_mul_f64_e32 v[56:57], 0x3ff921fb54442d18, v[54:55]
	v_add_f64_e64 v[48:49], v[54:55], -v[48:49]
	v_fma_f64 v[58:59], v[54:55], s[12:13], -v[56:57]
	s_delay_alu instid0(VALU_DEP_2) | instskip(NEXT) | instid1(VALU_DEP_2)
	v_add_f64_e64 v[46:47], v[46:47], -v[48:49]
	v_fmac_f64_e32 v[58:59], 0x3c91a62633145c07, v[54:55]
	s_delay_alu instid0(VALU_DEP_1) | instskip(NEXT) | instid1(VALU_DEP_1)
	v_fmac_f64_e32 v[58:59], 0x3ff921fb54442d18, v[46:47]
	v_add_f64_e32 v[46:47], v[56:57], v[58:59]
	s_delay_alu instid0(VALU_DEP_1) | instskip(NEXT) | instid1(VALU_DEP_1)
	v_add_f64_e64 v[48:49], v[46:47], -v[56:57]
	v_add_f64_e64 v[48:49], v[58:59], -v[48:49]
	s_and_not1_saveexec_b32 s5, s28
	s_cbranch_execz .LBB111_26
.LBB111_31:                             ;   in Loop: Header=BB111_4 Depth=1
	v_mul_f64_e64 v[46:47], |v[24:25]|, s[14:15]
	s_delay_alu instid0(VALU_DEP_1) | instskip(NEXT) | instid1(VALU_DEP_1)
	v_rndne_f64_e32 v[54:55], v[46:47]
	v_fma_f64 v[46:47], v[54:55], s[16:17], |v[24:25]|
	v_mul_f64_e32 v[48:49], 0xbc91a62633145c00, v[54:55]
	v_cvt_i32_f64_e32 v53, v[54:55]
	s_delay_alu instid0(VALU_DEP_3) | instskip(NEXT) | instid1(VALU_DEP_3)
	v_fmamk_f64 v[60:61], v[54:55], 0xbc91a62633145c00, v[46:47]
	v_add_f64_e32 v[56:57], v[46:47], v[48:49]
	s_delay_alu instid0(VALU_DEP_1) | instskip(NEXT) | instid1(VALU_DEP_3)
	v_add_f64_e64 v[58:59], v[46:47], -v[56:57]
	v_add_f64_e64 v[46:47], v[56:57], -v[60:61]
	s_delay_alu instid0(VALU_DEP_2) | instskip(SKIP_1) | instid1(VALU_DEP_2)
	v_add_f64_e32 v[56:57], v[58:59], v[48:49]
	v_fmamk_f64 v[48:49], v[54:55], 0x3c91a62633145c00, v[48:49]
	v_add_f64_e32 v[46:47], v[46:47], v[56:57]
	s_delay_alu instid0(VALU_DEP_1) | instskip(NEXT) | instid1(VALU_DEP_1)
	v_add_f64_e64 v[48:49], v[46:47], -v[48:49]
	v_fmac_f64_e32 v[48:49], 0xb97b839a252049c0, v[54:55]
	s_delay_alu instid0(VALU_DEP_1) | instskip(NEXT) | instid1(VALU_DEP_1)
	v_add_f64_e32 v[46:47], v[60:61], v[48:49]
	v_add_f64_e64 v[56:57], v[46:47], -v[60:61]
	s_delay_alu instid0(VALU_DEP_1) | instskip(SKIP_2) | instid1(SALU_CYCLE_1)
	v_add_f64_e64 v[48:49], v[48:49], -v[56:57]
	s_or_b32 exec_lo, exec_lo, s5
	s_and_saveexec_b32 s5, s4
	s_xor_b32 s28, exec_lo, s5
	s_cbranch_execz .LBB111_27
.LBB111_32:                             ;   in Loop: Header=BB111_4 Depth=1
	s_delay_alu instid0(VALU_DEP_4) | instskip(SKIP_1) | instid1(VALU_DEP_2)
	v_dual_mul_f64 v[60:61], 0.5, v[36:37] :: v_dual_bitop2_b32 v5, 1, v50 bitop3:0x40
	v_cmp_class_f64_e64 s4, v[32:33], 0x1f8
	v_cmp_eq_u32_e64 s5, 0, v5
	v_lshlrev_b32_e32 v5, 30, v50
	s_delay_alu instid0(VALU_DEP_1) | instskip(NEXT) | instid1(VALU_DEP_1)
	v_dual_mul_f64 v[54:55], v[34:35], v[34:35] :: v_dual_bitop2_b32 v5, v5, v33 bitop3:0x14
	v_mul_f64_e32 v[56:57], 0.5, v[54:55]
	v_mul_f64_e64 v[62:63], v[34:35], -v[54:55]
	v_fmamk_f64 v[66:67], v[54:55], 0x3de5e0b2f9a43bb8, v[20:21]
	s_delay_alu instid0(VALU_DEP_1) | instskip(NEXT) | instid1(VALU_DEP_1)
	v_fmaak_f64 v[66:67], v[54:55], v[66:67], 0x3ec71de3796cde01
	v_fmaak_f64 v[66:67], v[54:55], v[66:67], 0xbf2a01a019e83e5c
	s_delay_alu instid0(VALU_DEP_1) | instskip(SKIP_1) | instid1(VALU_DEP_2)
	v_fmaak_f64 v[66:67], v[54:55], v[66:67], 0x3f81111111110bb3
	v_add_f64_e64 v[58:59], -v[56:57], 1.0
	v_fmac_f64_e32 v[60:61], v[62:63], v[66:67]
	v_mul_f64_e32 v[66:67], v[54:55], v[54:55]
	s_delay_alu instid0(VALU_DEP_3) | instskip(NEXT) | instid1(VALU_DEP_3)
	v_add_f64_e64 v[64:65], -v[58:59], 1.0
	v_fma_f64 v[60:61], v[54:55], v[60:61], -v[36:37]
	s_delay_alu instid0(VALU_DEP_2) | instskip(SKIP_1) | instid1(VALU_DEP_3)
	v_add_f64_e64 v[56:57], v[64:65], -v[56:57]
	v_fmamk_f64 v[64:65], v[54:55], 0xbda907db46cc5e42, v[8:9]
	v_fmac_f64_e32 v[60:61], 0xbfc5555555555555, v[62:63]
	s_delay_alu instid0(VALU_DEP_3) | instskip(NEXT) | instid1(VALU_DEP_3)
	v_fma_f64 v[36:37], v[34:35], -v[36:37], v[56:57]
	v_fmaak_f64 v[56:57], v[54:55], v[64:65], 0xbe927e4fa17f65f6
	s_delay_alu instid0(VALU_DEP_3) | instskip(NEXT) | instid1(VALU_DEP_2)
	v_add_f64_e64 v[34:35], v[34:35], -v[60:61]
	v_fmaak_f64 v[56:57], v[54:55], v[56:57], 0x3efa01a019f4ec90
	s_delay_alu instid0(VALU_DEP_1) | instskip(NEXT) | instid1(VALU_DEP_1)
	v_fmaak_f64 v[56:57], v[54:55], v[56:57], 0xbf56c16c16c16967
	v_fmaak_f64 v[54:55], v[54:55], v[56:57], 0x3fa5555555555555
	s_delay_alu instid0(VALU_DEP_1) | instskip(NEXT) | instid1(VALU_DEP_1)
	v_fmac_f64_e32 v[36:37], v[66:67], v[54:55]
	v_add_f64_e32 v[36:37], v[58:59], v[36:37]
	s_delay_alu instid0(VALU_DEP_1) | instskip(NEXT) | instid1(VALU_DEP_1)
	v_dual_cndmask_b32 v32, v37, v35, s5 :: v_dual_cndmask_b32 v33, v36, v34, s5
	v_bitop3_b32 v5, v32, v5, 0x80000000 bitop3:0x78
	s_delay_alu instid0(VALU_DEP_2) | instskip(NEXT) | instid1(VALU_DEP_2)
	v_cndmask_b32_e64 v32, 0, v33, s4
	v_cndmask_b32_e64 v33, 0x7ff80000, v5, s4
	global_store_b64 v[12:13], v[32:33], off
	s_wait_xcnt 0x0
	s_or_b32 exec_lo, exec_lo, s28
	s_and_saveexec_b32 s5, s3
	s_cbranch_execz .LBB111_28
.LBB111_33:                             ;   in Loop: Header=BB111_4 Depth=1
	v_cmp_class_f64_e64 s4, v[30:31], 0x1f8
	v_mul_f64_e32 v[32:33], v[38:39], v[38:39]
	v_dual_mul_f64 v[54:55], 0.5, v[40:41] :: v_dual_lshlrev_b32 v30, 30, v51
	v_and_b32_e32 v5, 1, v51
	s_delay_alu instid0(VALU_DEP_2) | instskip(NEXT) | instid1(VALU_DEP_2)
	v_xor_b32_e32 v30, v30, v31
	v_cmp_eq_u32_e64 s3, 0, v5
	v_mul_f64_e32 v[34:35], 0.5, v[32:33]
	v_mul_f64_e64 v[56:57], v[38:39], -v[32:33]
	v_fmamk_f64 v[60:61], v[32:33], 0x3de5e0b2f9a43bb8, v[20:21]
	s_delay_alu instid0(VALU_DEP_1) | instskip(NEXT) | instid1(VALU_DEP_1)
	v_fmaak_f64 v[60:61], v[32:33], v[60:61], 0x3ec71de3796cde01
	v_fmaak_f64 v[60:61], v[32:33], v[60:61], 0xbf2a01a019e83e5c
	s_delay_alu instid0(VALU_DEP_1) | instskip(SKIP_1) | instid1(VALU_DEP_2)
	v_fmaak_f64 v[60:61], v[32:33], v[60:61], 0x3f81111111110bb3
	v_add_f64_e64 v[36:37], -v[34:35], 1.0
	v_fmac_f64_e32 v[54:55], v[56:57], v[60:61]
	v_mul_f64_e32 v[60:61], v[32:33], v[32:33]
	s_delay_alu instid0(VALU_DEP_3) | instskip(NEXT) | instid1(VALU_DEP_3)
	v_add_f64_e64 v[58:59], -v[36:37], 1.0
	v_fma_f64 v[54:55], v[32:33], v[54:55], -v[40:41]
	s_delay_alu instid0(VALU_DEP_2) | instskip(SKIP_1) | instid1(VALU_DEP_3)
	v_add_f64_e64 v[34:35], v[58:59], -v[34:35]
	v_fmamk_f64 v[58:59], v[32:33], 0xbda907db46cc5e42, v[8:9]
	v_fmac_f64_e32 v[54:55], 0xbfc5555555555555, v[56:57]
	s_delay_alu instid0(VALU_DEP_3) | instskip(NEXT) | instid1(VALU_DEP_3)
	v_fma_f64 v[34:35], v[38:39], -v[40:41], v[34:35]
	v_fmaak_f64 v[40:41], v[32:33], v[58:59], 0xbe927e4fa17f65f6
	s_delay_alu instid0(VALU_DEP_1) | instskip(NEXT) | instid1(VALU_DEP_1)
	v_fmaak_f64 v[40:41], v[32:33], v[40:41], 0x3efa01a019f4ec90
	v_fmaak_f64 v[40:41], v[32:33], v[40:41], 0xbf56c16c16c16967
	s_delay_alu instid0(VALU_DEP_1) | instskip(NEXT) | instid1(VALU_DEP_1)
	v_fmaak_f64 v[32:33], v[32:33], v[40:41], 0x3fa5555555555555
	v_fmac_f64_e32 v[34:35], v[60:61], v[32:33]
	v_add_f64_e64 v[32:33], v[38:39], -v[54:55]
	s_delay_alu instid0(VALU_DEP_2) | instskip(NEXT) | instid1(VALU_DEP_1)
	v_add_f64_e32 v[34:35], v[36:37], v[34:35]
	v_dual_cndmask_b32 v5, v34, v32, s3 :: v_dual_cndmask_b32 v32, v35, v33, s3
	s_delay_alu instid0(VALU_DEP_1) | instskip(NEXT) | instid1(VALU_DEP_2)
	v_bitop3_b32 v31, v32, v30, 0x80000000 bitop3:0x78
	v_cndmask_b32_e64 v30, 0, v5, s4
	s_delay_alu instid0(VALU_DEP_2)
	v_cndmask_b32_e64 v31, 0x7ff80000, v31, s4
	global_store_b64 v[18:19], v[30:31], off
	s_wait_xcnt 0x0
	s_or_b32 exec_lo, exec_lo, s5
	s_and_saveexec_b32 s4, s2
	s_cbranch_execz .LBB111_29
.LBB111_34:                             ;   in Loop: Header=BB111_4 Depth=1
	v_dual_mul_f64 v[30:31], v[42:43], v[42:43] :: v_dual_bitop2_b32 v5, 1, v52 bitop3:0x40
	v_cmp_class_f64_e64 s3, v[26:27], 0x1f8
	v_lshlrev_b32_e32 v26, 30, v52
	s_delay_alu instid0(VALU_DEP_3) | instskip(NEXT) | instid1(VALU_DEP_2)
	v_cmp_eq_u32_e64 s2, 0, v5
	v_dual_mul_f64 v[36:37], 0.5, v[44:45] :: v_dual_bitop2_b32 v26, v26, v27 bitop3:0x14
	v_mul_f64_e32 v[32:33], 0.5, v[30:31]
	v_mul_f64_e64 v[38:39], v[42:43], -v[30:31]
	v_fmamk_f64 v[50:51], v[30:31], 0x3de5e0b2f9a43bb8, v[20:21]
	s_delay_alu instid0(VALU_DEP_1) | instskip(NEXT) | instid1(VALU_DEP_1)
	v_fmaak_f64 v[50:51], v[30:31], v[50:51], 0x3ec71de3796cde01
	v_fmaak_f64 v[50:51], v[30:31], v[50:51], 0xbf2a01a019e83e5c
	s_delay_alu instid0(VALU_DEP_1) | instskip(SKIP_1) | instid1(VALU_DEP_2)
	v_fmaak_f64 v[50:51], v[30:31], v[50:51], 0x3f81111111110bb3
	v_add_f64_e64 v[34:35], -v[32:33], 1.0
	v_fmac_f64_e32 v[36:37], v[38:39], v[50:51]
	v_mul_f64_e32 v[50:51], v[30:31], v[30:31]
	s_delay_alu instid0(VALU_DEP_3) | instskip(NEXT) | instid1(VALU_DEP_3)
	v_add_f64_e64 v[40:41], -v[34:35], 1.0
	v_fma_f64 v[36:37], v[30:31], v[36:37], -v[44:45]
	s_delay_alu instid0(VALU_DEP_2) | instskip(SKIP_1) | instid1(VALU_DEP_3)
	v_add_f64_e64 v[32:33], v[40:41], -v[32:33]
	v_fmamk_f64 v[40:41], v[30:31], 0xbda907db46cc5e42, v[8:9]
	v_fmac_f64_e32 v[36:37], 0xbfc5555555555555, v[38:39]
	s_delay_alu instid0(VALU_DEP_2) | instskip(NEXT) | instid1(VALU_DEP_1)
	v_fmaak_f64 v[40:41], v[30:31], v[40:41], 0xbe927e4fa17f65f6
	v_fmaak_f64 v[40:41], v[30:31], v[40:41], 0x3efa01a019f4ec90
	s_delay_alu instid0(VALU_DEP_1) | instskip(NEXT) | instid1(VALU_DEP_1)
	v_fmaak_f64 v[40:41], v[30:31], v[40:41], 0xbf56c16c16c16967
	v_fmaak_f64 v[30:31], v[30:31], v[40:41], 0x3fa5555555555555
	v_fma_f64 v[32:33], v[42:43], -v[44:45], v[32:33]
	s_delay_alu instid0(VALU_DEP_1) | instskip(SKIP_1) | instid1(VALU_DEP_2)
	v_fmac_f64_e32 v[32:33], v[50:51], v[30:31]
	v_add_f64_e64 v[30:31], v[42:43], -v[36:37]
	v_add_f64_e32 v[32:33], v[34:35], v[32:33]
	s_delay_alu instid0(VALU_DEP_1) | instskip(NEXT) | instid1(VALU_DEP_1)
	v_dual_cndmask_b32 v5, v32, v30, s2 :: v_dual_cndmask_b32 v30, v33, v31, s2
	v_bitop3_b32 v27, v30, v26, 0x80000000 bitop3:0x78
	s_delay_alu instid0(VALU_DEP_2) | instskip(NEXT) | instid1(VALU_DEP_2)
	v_cndmask_b32_e64 v26, 0, v5, s3
	v_cndmask_b32_e64 v27, 0x7ff80000, v27, s3
	global_store_b64 v[28:29], v[26:27], off
	s_wait_xcnt 0x0
	s_or_b32 exec_lo, exec_lo, s4
	s_and_saveexec_b32 s3, vcc_lo
	s_cbranch_execz .LBB111_3
.LBB111_35:                             ;   in Loop: Header=BB111_4 Depth=1
	v_dual_mul_f64 v[26:27], v[46:47], v[46:47] :: v_dual_bitop2_b32 v5, 1, v53 bitop3:0x40
	v_cmp_class_f64_e64 s2, v[24:25], 0x1f8
	v_lshlrev_b32_e32 v24, 30, v53
	s_delay_alu instid0(VALU_DEP_3) | instskip(SKIP_1) | instid1(VALU_DEP_3)
	v_cmp_eq_u32_e32 vcc_lo, 0, v5
	v_mul_f64_e32 v[32:33], 0.5, v[48:49]
	v_dual_mul_f64 v[34:35], v[46:47], -v[26:27] :: v_dual_bitop2_b32 v24, v24, v25 bitop3:0x14
	v_mul_f64_e32 v[28:29], 0.5, v[26:27]
	v_fmamk_f64 v[38:39], v[26:27], 0x3de5e0b2f9a43bb8, v[20:21]
	s_delay_alu instid0(VALU_DEP_1) | instskip(NEXT) | instid1(VALU_DEP_1)
	v_fmaak_f64 v[38:39], v[26:27], v[38:39], 0x3ec71de3796cde01
	v_fmaak_f64 v[38:39], v[26:27], v[38:39], 0xbf2a01a019e83e5c
	s_delay_alu instid0(VALU_DEP_1) | instskip(NEXT) | instid1(VALU_DEP_1)
	v_fmaak_f64 v[38:39], v[26:27], v[38:39], 0x3f81111111110bb3
	v_fmac_f64_e32 v[32:33], v[34:35], v[38:39]
	v_add_f64_e64 v[30:31], -v[28:29], 1.0
	v_mul_f64_e32 v[38:39], v[26:27], v[26:27]
	s_delay_alu instid0(VALU_DEP_3) | instskip(NEXT) | instid1(VALU_DEP_3)
	v_fma_f64 v[32:33], v[26:27], v[32:33], -v[48:49]
	v_add_f64_e64 v[36:37], -v[30:31], 1.0
	s_delay_alu instid0(VALU_DEP_2) | instskip(NEXT) | instid1(VALU_DEP_2)
	v_fmac_f64_e32 v[32:33], 0xbfc5555555555555, v[34:35]
	v_add_f64_e64 v[28:29], v[36:37], -v[28:29]
	v_fmamk_f64 v[36:37], v[26:27], 0xbda907db46cc5e42, v[8:9]
	s_delay_alu instid0(VALU_DEP_1) | instskip(NEXT) | instid1(VALU_DEP_1)
	v_fmaak_f64 v[36:37], v[26:27], v[36:37], 0xbe927e4fa17f65f6
	v_fmaak_f64 v[36:37], v[26:27], v[36:37], 0x3efa01a019f4ec90
	s_delay_alu instid0(VALU_DEP_1) | instskip(NEXT) | instid1(VALU_DEP_1)
	v_fmaak_f64 v[36:37], v[26:27], v[36:37], 0xbf56c16c16c16967
	v_fmaak_f64 v[26:27], v[26:27], v[36:37], 0x3fa5555555555555
	v_fma_f64 v[28:29], v[46:47], -v[48:49], v[28:29]
	s_delay_alu instid0(VALU_DEP_1) | instskip(SKIP_1) | instid1(VALU_DEP_2)
	v_fmac_f64_e32 v[28:29], v[38:39], v[26:27]
	v_add_f64_e64 v[26:27], v[46:47], -v[32:33]
	v_add_f64_e32 v[28:29], v[30:31], v[28:29]
	s_delay_alu instid0(VALU_DEP_1) | instskip(NEXT) | instid1(VALU_DEP_1)
	v_dual_cndmask_b32 v5, v28, v26 :: v_dual_cndmask_b32 v26, v29, v27
	v_bitop3_b32 v25, v26, v24, 0x80000000 bitop3:0x78
	s_delay_alu instid0(VALU_DEP_2) | instskip(NEXT) | instid1(VALU_DEP_2)
	v_cndmask_b32_e64 v24, 0, v5, s2
	v_cndmask_b32_e64 v25, 0x7ff80000, v25, s2
	global_store_b64 v[22:23], v[24:25], off
	s_branch .LBB111_3
.LBB111_36:
	s_cbranch_execz .LBB111_38
	s_branch .LBB111_57
.LBB111_37:
.LBB111_38:
	v_min_i64 v[10:11], 0x10000, s[10:11]
	v_dual_mov_b32 v12, 0 :: v_dual_lshlrev_b32 v2, 2, v0
	s_mov_b32 s2, exec_lo
	s_delay_alu instid0(VALU_DEP_1) | instskip(NEXT) | instid1(VALU_DEP_1)
	v_mov_b32_e32 v3, v12
	v_cmpx_lt_i64_e64 v[2:3], v[10:11]
	s_cbranch_execz .LBB111_57
; %bb.39:
	s_load_b32 s2, s[0:1], 0xd3c
	v_dual_mov_b32 v3, v12 :: v_dual_lshlrev_b32 v2, 5, v0
	s_wait_xcnt 0x0
	s_add_nc_u64 s[0:1], s[6:7], s[8:9]
	v_mov_b64_e32 v[14:15], 0x3e21eeb69037ab78
	v_mov_b64_e32 v[16:17], 0xbe5ae600b42fdfa7
	v_mov_b32_e32 v1, v12
	v_add_nc_u64_e32 v[2:3], s[0:1], v[2:3]
	s_mov_b32 s15, 0
	s_mov_b64 s[8:9], 0x3ff921fb54442d18
	s_mov_b64 s[10:11], 0x3fe45f306dc9c883
	;; [unrolled: 1-line block ×3, first 2 shown]
	s_mov_b32 s17, s15
	s_mov_b32 s7, s15
	v_add_nc_u64_e32 v[18:19], 16, v[2:3]
                                        ; implicit-def: $vgpr2_vgpr3
                                        ; implicit-def: $vgpr2_vgpr3
	;; [unrolled: 1-line block ×7, first 2 shown]
	s_wait_kmcnt 0x0
	s_and_b32 s14, s2, 0xffff
	s_delay_alu instid0(SALU_CYCLE_1)
	s_lshl_b32 s16, s14, 5
	s_branch .LBB111_41
.LBB111_40:                             ;   in Loop: Header=BB111_41 Depth=1
	s_or_b32 exec_lo, exec_lo, s0
	v_dual_mul_f64 v[40:41], v[28:29], v[28:29] :: v_dual_bitop2_b32 v13, 1, v46 bitop3:0x40
	v_mul_f64_e32 v[52:53], 0.5, v[30:31]
	v_cmp_class_f64_e64 s2, v[4:5], 0x1f8
	v_mul_f64_e32 v[42:43], v[24:25], v[24:25]
	v_cmp_class_f64_e64 s4, v[2:3], 0x1f8
	v_lshlrev_b32_e32 v2, 30, v46
	v_cmp_eq_u32_e32 vcc_lo, 0, v13
	v_cmp_class_f64_e64 s0, v[6:7], 0x1f8
	v_cmp_class_f64_e64 s6, v[8:9], 0x1f8
	v_add_nc_u64_e32 v[0:1], s[14:15], v[0:1]
	v_dual_lshlrev_b32 v8, 30, v45 :: v_dual_bitop2_b32 v2, v2, v7 bitop3:0x14
	s_delay_alu instid0(VALU_DEP_1)
	v_xor_b32_e32 v5, v8, v5
	v_mul_f64_e32 v[48:49], 0.5, v[40:41]
	v_mul_f64_e64 v[38:39], v[28:29], -v[40:41]
	v_fmamk_f64 v[54:55], v[40:41], 0x3de5e0b2f9a43bb8, v[16:17]
	v_fmamk_f64 v[64:65], v[40:41], 0xbda907db46cc5e42, v[14:15]
	v_mul_f64_e32 v[62:63], v[40:41], v[40:41]
	v_mul_f64_e32 v[56:57], 0.5, v[42:43]
	v_fmamk_f64 v[68:69], v[42:43], 0x3de5e0b2f9a43bb8, v[16:17]
	v_fmaak_f64 v[54:55], v[40:41], v[54:55], 0x3ec71de3796cde01
	v_fmaak_f64 v[64:65], v[40:41], v[64:65], 0xbe927e4fa17f65f6
	s_delay_alu instid0(VALU_DEP_3) | instskip(NEXT) | instid1(VALU_DEP_3)
	v_fmaak_f64 v[68:69], v[42:43], v[68:69], 0x3ec71de3796cde01
	v_fmaak_f64 v[54:55], v[40:41], v[54:55], 0xbf2a01a019e83e5c
	s_delay_alu instid0(VALU_DEP_3) | instskip(NEXT) | instid1(VALU_DEP_3)
	;; [unrolled: 3-line block ×3, first 2 shown]
	v_fmaak_f64 v[54:55], v[40:41], v[54:55], 0x3f81111111110bb3
	v_fmaak_f64 v[64:65], v[40:41], v[64:65], 0xbf56c16c16c16967
	s_delay_alu instid0(VALU_DEP_3) | instskip(NEXT) | instid1(VALU_DEP_2)
	v_fmaak_f64 v[68:69], v[42:43], v[68:69], 0x3f81111111110bb3
	v_fmaak_f64 v[64:65], v[40:41], v[64:65], 0x3fa5555555555555
	v_add_f64_e64 v[36:37], -v[48:49], 1.0
	v_fmac_f64_e32 v[52:53], v[38:39], v[54:55]
	v_mul_f64_e32 v[54:55], v[32:33], v[32:33]
	s_delay_alu instid0(VALU_DEP_3) | instskip(NEXT) | instid1(VALU_DEP_1)
	v_add_f64_e64 v[50:51], -v[36:37], 1.0
	v_add_f64_e64 v[48:49], v[50:51], -v[48:49]
	v_mul_f64_e32 v[50:51], v[20:21], v[20:21]
	s_delay_alu instid0(VALU_DEP_2) | instskip(SKIP_1) | instid1(VALU_DEP_3)
	v_fma_f64 v[48:49], v[28:29], -v[30:31], v[48:49]
	v_fma_f64 v[30:31], v[40:41], v[52:53], -v[30:31]
	v_mul_f64_e32 v[70:71], 0.5, v[50:51]
	v_mul_f64_e64 v[74:75], v[20:21], -v[50:51]
	v_fmamk_f64 v[76:77], v[50:51], 0x3de5e0b2f9a43bb8, v[16:17]
	v_mul_f64_e32 v[40:41], 0.5, v[34:35]
	s_delay_alu instid0(VALU_DEP_2) | instskip(NEXT) | instid1(VALU_DEP_1)
	v_fmaak_f64 v[76:77], v[50:51], v[76:77], 0x3ec71de3796cde01
	v_fmaak_f64 v[76:77], v[50:51], v[76:77], 0xbf2a01a019e83e5c
	s_delay_alu instid0(VALU_DEP_1) | instskip(SKIP_3) | instid1(VALU_DEP_2)
	v_fmaak_f64 v[52:53], v[50:51], v[76:77], 0x3f81111111110bb3
	v_fmac_f64_e32 v[48:49], v[62:63], v[64:65]
	v_fmac_f64_e32 v[30:31], 0xbfc5555555555555, v[38:39]
	v_add_f64_e64 v[62:63], -v[70:71], 1.0
	v_add_f64_e64 v[28:29], v[28:29], -v[30:31]
	s_delay_alu instid0(VALU_DEP_4) | instskip(SKIP_3) | instid1(VALU_DEP_3)
	v_add_f64_e32 v[30:31], v[36:37], v[48:49]
	v_dual_mul_f64 v[58:59], 0.5, v[26:27] :: v_dual_bitop2_b32 v37, 1, v44 bitop3:0x40
	v_add_f64_e64 v[72:73], -v[56:57], 1.0
	v_and_b32_e32 v36, 1, v45
	v_cmp_eq_u32_e64 s3, 0, v37
	v_mul_f64_e64 v[66:67], v[24:25], -v[42:43]
	s_delay_alu instid0(VALU_DEP_3)
	v_cmp_eq_u32_e64 s1, 0, v36
	v_dual_cndmask_b32 v13, v30, v28 :: v_dual_cndmask_b32 v8, v31, v29
	v_lshlrev_b64_e32 v[28:29], 2, v[0:1]
	v_add_f64_e64 v[64:65], -v[72:73], 1.0
	v_fmac_f64_e32 v[58:59], v[66:67], v[68:69]
	v_mul_f64_e64 v[68:69], v[32:33], -v[54:55]
	s_delay_alu instid0(VALU_DEP_4) | instskip(SKIP_1) | instid1(VALU_DEP_4)
	v_cmp_ge_i64_e32 vcc_lo, v[28:29], v[10:11]
	s_or_b32 s7, vcc_lo, s7
	v_add_f64_e64 v[56:57], v[64:65], -v[56:57]
	s_delay_alu instid0(VALU_DEP_4) | instskip(NEXT) | instid1(VALU_DEP_2)
	v_fma_f64 v[58:59], v[42:43], v[58:59], -v[26:27]
	v_fma_f64 v[26:27], v[24:25], -v[26:27], v[56:57]
	v_fmamk_f64 v[56:57], v[50:51], 0xbda907db46cc5e42, v[14:15]
	s_delay_alu instid0(VALU_DEP_3) | instskip(NEXT) | instid1(VALU_DEP_2)
	v_fmac_f64_e32 v[58:59], 0xbfc5555555555555, v[66:67]
	v_fmaak_f64 v[56:57], v[50:51], v[56:57], 0xbe927e4fa17f65f6
	s_delay_alu instid0(VALU_DEP_1) | instskip(NEXT) | instid1(VALU_DEP_1)
	v_fmaak_f64 v[56:57], v[50:51], v[56:57], 0x3efa01a019f4ec90
	v_fmaak_f64 v[56:57], v[50:51], v[56:57], 0xbf56c16c16c16967
	s_delay_alu instid0(VALU_DEP_1) | instskip(SKIP_2) | instid1(VALU_DEP_1)
	v_fmaak_f64 v[56:57], v[50:51], v[56:57], 0x3fa5555555555555
	v_add_f64_e64 v[24:25], v[24:25], -v[58:59]
	v_mul_f64_e32 v[60:61], 0.5, v[22:23]
	v_fmac_f64_e32 v[60:61], v[74:75], v[52:53]
	v_fmamk_f64 v[52:53], v[54:55], 0x3de5e0b2f9a43bb8, v[16:17]
	s_delay_alu instid0(VALU_DEP_1) | instskip(NEXT) | instid1(VALU_DEP_1)
	v_fmaak_f64 v[52:53], v[54:55], v[52:53], 0x3ec71de3796cde01
	v_fmaak_f64 v[52:53], v[54:55], v[52:53], 0xbf2a01a019e83e5c
	s_delay_alu instid0(VALU_DEP_1) | instskip(NEXT) | instid1(VALU_DEP_1)
	v_fmaak_f64 v[52:53], v[54:55], v[52:53], 0x3f81111111110bb3
	v_fmac_f64_e32 v[40:41], v[68:69], v[52:53]
	v_add_f64_e64 v[52:53], -v[62:63], 1.0
	v_fma_f64 v[60:61], v[50:51], v[60:61], -v[22:23]
	v_mul_f64_e32 v[50:51], v[50:51], v[50:51]
	s_delay_alu instid0(VALU_DEP_3) | instskip(NEXT) | instid1(VALU_DEP_3)
	v_add_f64_e64 v[52:53], v[52:53], -v[70:71]
	v_fmac_f64_e32 v[60:61], 0xbfc5555555555555, v[74:75]
	s_delay_alu instid0(VALU_DEP_2) | instskip(NEXT) | instid1(VALU_DEP_2)
	v_fma_f64 v[22:23], v[20:21], -v[22:23], v[52:53]
	v_add_f64_e64 v[20:21], v[20:21], -v[60:61]
	s_delay_alu instid0(VALU_DEP_2) | instskip(NEXT) | instid1(VALU_DEP_1)
	v_fmac_f64_e32 v[22:23], v[50:51], v[56:57]
	v_add_f64_e32 v[22:23], v[62:63], v[22:23]
	s_delay_alu instid0(VALU_DEP_1) | instskip(NEXT) | instid1(VALU_DEP_2)
	v_cndmask_b32_e64 v4, v22, v20, s3
	v_dual_lshlrev_b32 v22, 30, v44 :: v_dual_cndmask_b32 v21, v23, v21, s3
	v_bitop3_b32 v23, v8, v2, 0x80000000 bitop3:0x78
	s_delay_alu instid0(VALU_DEP_2) | instskip(SKIP_3) | instid1(VALU_DEP_4)
	v_dual_cndmask_b32 v2, 0, v13, s0 :: v_dual_bitop2_b32 v3, v22, v3 bitop3:0x14
	v_mul_f64_e32 v[76:77], 0.5, v[54:55]
	v_fmamk_f64 v[52:53], v[54:55], 0xbda907db46cc5e42, v[14:15]
	v_fma_f64 v[40:41], v[54:55], v[40:41], -v[34:35]
	v_bitop3_b32 v13, v21, v3, 0x80000000 bitop3:0x78
	v_cndmask_b32_e64 v3, 0x7ff80000, v23, s0
	s_delay_alu instid0(VALU_DEP_4) | instskip(NEXT) | instid1(VALU_DEP_1)
	v_fmaak_f64 v[52:53], v[54:55], v[52:53], 0xbe927e4fa17f65f6
	v_fmaak_f64 v[52:53], v[54:55], v[52:53], 0x3efa01a019f4ec90
	s_delay_alu instid0(VALU_DEP_1) | instskip(NEXT) | instid1(VALU_DEP_1)
	v_fmaak_f64 v[52:53], v[54:55], v[52:53], 0xbf56c16c16c16967
	v_fmaak_f64 v[38:39], v[54:55], v[52:53], 0x3fa5555555555555
	v_add_f64_e64 v[64:65], -v[76:77], 1.0
	v_fmac_f64_e32 v[40:41], 0xbfc5555555555555, v[68:69]
	s_delay_alu instid0(VALU_DEP_2) | instskip(NEXT) | instid1(VALU_DEP_1)
	v_add_f64_e64 v[70:71], -v[64:65], 1.0
	v_add_f64_e64 v[70:71], v[70:71], -v[76:77]
	v_fmamk_f64 v[76:77], v[42:43], 0xbda907db46cc5e42, v[14:15]
	s_delay_alu instid0(VALU_DEP_1) | instskip(NEXT) | instid1(VALU_DEP_1)
	v_fmaak_f64 v[76:77], v[42:43], v[76:77], 0xbe927e4fa17f65f6
	v_fmaak_f64 v[76:77], v[42:43], v[76:77], 0x3efa01a019f4ec90
	s_delay_alu instid0(VALU_DEP_1) | instskip(NEXT) | instid1(VALU_DEP_1)
	v_fmaak_f64 v[76:77], v[42:43], v[76:77], 0xbf56c16c16c16967
	v_fmaak_f64 v[76:77], v[42:43], v[76:77], 0x3fa5555555555555
	v_mul_f64_e32 v[42:43], v[42:43], v[42:43]
	v_fma_f64 v[34:35], v[32:33], -v[34:35], v[70:71]
	v_mul_f64_e32 v[70:71], v[54:55], v[54:55]
	v_add_f64_e64 v[32:33], v[32:33], -v[40:41]
	s_delay_alu instid0(VALU_DEP_4) | instskip(NEXT) | instid1(VALU_DEP_3)
	v_fmac_f64_e32 v[26:27], v[42:43], v[76:77]
	v_fmac_f64_e32 v[34:35], v[70:71], v[38:39]
	v_and_b32_e32 v38, 1, v47
	s_delay_alu instid0(VALU_DEP_1) | instskip(NEXT) | instid1(VALU_DEP_4)
	v_cmp_eq_u32_e64 s5, 0, v38
	v_add_f64_e32 v[26:27], v[72:73], v[26:27]
	s_delay_alu instid0(VALU_DEP_1) | instskip(NEXT) | instid1(VALU_DEP_1)
	v_dual_add_f64 v[34:35], v[64:65], v[34:35] :: v_dual_cndmask_b32 v6, v26, v24, s1
	v_dual_lshlrev_b32 v24, 30, v47 :: v_dual_cndmask_b32 v22, v35, v33, s5
	s_delay_alu instid0(VALU_DEP_2) | instskip(NEXT) | instid1(VALU_DEP_2)
	v_dual_cndmask_b32 v20, v34, v32, s5 :: v_dual_cndmask_b32 v8, 0, v6, s2
	v_xor_b32_e32 v7, v24, v9
	v_dual_cndmask_b32 v9, v27, v25, s1 :: v_dual_cndmask_b32 v6, 0, v4, s4
	s_delay_alu instid0(VALU_DEP_3) | instskip(NEXT) | instid1(VALU_DEP_3)
	v_cndmask_b32_e64 v4, 0, v20, s6
	v_bitop3_b32 v21, v22, v7, 0x80000000 bitop3:0x78
	s_delay_alu instid0(VALU_DEP_3) | instskip(SKIP_1) | instid1(VALU_DEP_2)
	v_bitop3_b32 v5, v9, v5, 0x80000000 bitop3:0x78
	v_cndmask_b32_e64 v7, 0x7ff80000, v13, s4
	v_cndmask_b32_e64 v9, 0x7ff80000, v5, s2
	s_delay_alu instid0(VALU_DEP_4)
	v_cndmask_b32_e64 v5, 0x7ff80000, v21, s6
	s_clause 0x1
	global_store_b128 v[18:19], v[6:9], off offset:-16
	global_store_b128 v[18:19], v[2:5], off
	s_wait_xcnt 0x0
	v_add_nc_u64_e32 v[18:19], s[16:17], v[18:19]
	s_and_not1_b32 exec_lo, exec_lo, s7
	s_cbranch_execz .LBB111_57
.LBB111_41:                             ; =>This Inner Loop Header: Depth=1
	s_clause 0x1
	global_load_b128 v[2:5], v[18:19], off offset:-16
	global_load_b128 v[6:9], v[18:19], off
                                        ; implicit-def: $vgpr44
                                        ; implicit-def: $vgpr20_vgpr21
                                        ; implicit-def: $vgpr22_vgpr23
	s_wait_loadcnt 0x1
	v_cmp_ngt_f64_e64 s0, 0x41d00000, |v[2:3]|
	s_wait_xcnt 0x0
	s_and_saveexec_b32 s1, s0
	s_delay_alu instid0(SALU_CYCLE_1)
	s_xor_b32 s0, exec_lo, s1
	s_cbranch_execz .LBB111_43
; %bb.42:                               ;   in Loop: Header=BB111_41 Depth=1
	v_ldexp_f64 v[20:21], |v[2:3]|, 0xffffff80
	v_cmp_le_f64_e64 vcc_lo, 0x7b000000, |v[2:3]|
	v_trig_preop_f64 v[22:23], |v[2:3]|, 0
	v_and_b32_e32 v13, 0x7fffffff, v3
	v_trig_preop_f64 v[24:25], |v[2:3]|, 1
	v_trig_preop_f64 v[34:35], |v[2:3]|, 2
	s_delay_alu instid0(VALU_DEP_3) | instskip(NEXT) | instid1(VALU_DEP_1)
	v_dual_cndmask_b32 v21, v13, v21 :: v_dual_cndmask_b32 v20, v2, v20
	v_mul_f64_e32 v[26:27], v[22:23], v[20:21]
	s_delay_alu instid0(VALU_DEP_4) | instskip(NEXT) | instid1(VALU_DEP_4)
	v_mul_f64_e32 v[28:29], v[24:25], v[20:21]
	v_mul_f64_e32 v[40:41], v[34:35], v[20:21]
	s_delay_alu instid0(VALU_DEP_3) | instskip(NEXT) | instid1(VALU_DEP_3)
	v_fma_f64 v[22:23], v[22:23], v[20:21], -v[26:27]
	v_fma_f64 v[24:25], v[24:25], v[20:21], -v[28:29]
	s_delay_alu instid0(VALU_DEP_3) | instskip(NEXT) | instid1(VALU_DEP_3)
	v_fma_f64 v[20:21], v[34:35], v[20:21], -v[40:41]
	v_add_f64_e32 v[30:31], v[28:29], v[22:23]
	s_delay_alu instid0(VALU_DEP_1) | instskip(SKIP_1) | instid1(VALU_DEP_2)
	v_add_f64_e64 v[32:33], v[30:31], -v[28:29]
	v_add_f64_e32 v[38:39], v[26:27], v[30:31]
	v_add_f64_e64 v[36:37], v[30:31], -v[32:33]
	v_add_f64_e64 v[22:23], v[22:23], -v[32:33]
	s_delay_alu instid0(VALU_DEP_3) | instskip(NEXT) | instid1(VALU_DEP_3)
	v_ldexp_f64 v[32:33], v[38:39], -2
	v_add_f64_e64 v[28:29], v[28:29], -v[36:37]
	v_add_f64_e32 v[36:37], v[40:41], v[24:25]
	s_delay_alu instid0(VALU_DEP_3) | instskip(NEXT) | instid1(VALU_DEP_3)
	v_cmp_neq_f64_e64 vcc_lo, 0x7ff00000, |v[32:33]|
	v_add_f64_e32 v[22:23], v[22:23], v[28:29]
	v_fract_f64_e32 v[28:29], v[32:33]
	s_delay_alu instid0(VALU_DEP_1) | instskip(NEXT) | instid1(VALU_DEP_1)
	v_ldexp_f64 v[28:29], v[28:29], 2
	v_dual_add_f64 v[26:27], v[38:39], -v[26:27] :: v_dual_cndmask_b32 v28, 0, v28, vcc_lo
	s_delay_alu instid0(VALU_DEP_1) | instskip(SKIP_1) | instid1(VALU_DEP_1)
	v_dual_add_f64 v[26:27], v[30:31], -v[26:27] :: v_dual_cndmask_b32 v29, 0, v29, vcc_lo
	v_add_f64_e32 v[30:31], v[36:37], v[22:23]
	v_add_f64_e32 v[32:33], v[26:27], v[30:31]
	v_add_f64_e64 v[42:43], v[30:31], -v[36:37]
	s_delay_alu instid0(VALU_DEP_2) | instskip(NEXT) | instid1(VALU_DEP_2)
	v_add_f64_e32 v[38:39], v[32:33], v[28:29]
	v_add_f64_e64 v[48:49], v[30:31], -v[42:43]
	v_add_f64_e64 v[22:23], v[22:23], -v[42:43]
	;; [unrolled: 1-line block ×3, first 2 shown]
	s_delay_alu instid0(VALU_DEP_4) | instskip(SKIP_1) | instid1(VALU_DEP_3)
	v_cmp_gt_f64_e32 vcc_lo, 0, v[38:39]
	v_add_f64_e64 v[38:39], v[36:37], -v[40:41]
	v_add_f64_e64 v[26:27], v[30:31], -v[26:27]
	v_cndmask_b32_e64 v13, 0, 0x40100000, vcc_lo
	s_delay_alu instid0(VALU_DEP_3) | instskip(SKIP_2) | instid1(VALU_DEP_4)
	v_add_f64_e64 v[46:47], v[36:37], -v[38:39]
	v_add_f64_e64 v[24:25], v[24:25], -v[38:39]
	;; [unrolled: 1-line block ×3, first 2 shown]
	v_add_f64_e32 v[28:29], v[28:29], v[12:13]
	s_delay_alu instid0(VALU_DEP_4) | instskip(NEXT) | instid1(VALU_DEP_3)
	v_add_f64_e64 v[38:39], v[40:41], -v[46:47]
	v_add_f64_e32 v[22:23], v[22:23], v[36:37]
	s_delay_alu instid0(VALU_DEP_3) | instskip(NEXT) | instid1(VALU_DEP_3)
	v_add_f64_e32 v[44:45], v[32:33], v[28:29]
	v_add_f64_e32 v[24:25], v[24:25], v[38:39]
	s_delay_alu instid0(VALU_DEP_2) | instskip(NEXT) | instid1(VALU_DEP_2)
	v_cvt_i32_f64_e32 v13, v[44:45]
	v_add_f64_e32 v[22:23], v[24:25], v[22:23]
	s_delay_alu instid0(VALU_DEP_2) | instskip(NEXT) | instid1(VALU_DEP_2)
	v_cvt_f64_i32_e32 v[42:43], v13
	v_add_f64_e32 v[20:21], v[20:21], v[22:23]
	s_delay_alu instid0(VALU_DEP_2) | instskip(NEXT) | instid1(VALU_DEP_2)
	v_add_f64_e64 v[28:29], v[28:29], -v[42:43]
	v_add_f64_e32 v[20:21], v[26:27], v[20:21]
	s_delay_alu instid0(VALU_DEP_2) | instskip(NEXT) | instid1(VALU_DEP_1)
	v_add_f64_e32 v[24:25], v[32:33], v[28:29]
	v_add_f64_e64 v[22:23], v[24:25], -v[28:29]
	v_cmp_le_f64_e32 vcc_lo, 0.5, v[24:25]
	s_delay_alu instid0(VALU_DEP_2) | instskip(SKIP_2) | instid1(VALU_DEP_3)
	v_add_f64_e64 v[22:23], v[32:33], -v[22:23]
	v_add_co_ci_u32_e64 v44, null, 0, v13, vcc_lo
	v_cndmask_b32_e64 v13, 0, 0x3ff00000, vcc_lo
	v_add_f64_e32 v[20:21], v[20:21], v[22:23]
	s_delay_alu instid0(VALU_DEP_2) | instskip(NEXT) | instid1(VALU_DEP_1)
	v_add_f64_e64 v[22:23], v[24:25], -v[12:13]
	v_add_f64_e32 v[24:25], v[22:23], v[20:21]
	s_delay_alu instid0(VALU_DEP_1) | instskip(SKIP_1) | instid1(VALU_DEP_2)
	v_mul_f64_e32 v[26:27], 0x3ff921fb54442d18, v[24:25]
	v_add_f64_e64 v[22:23], v[24:25], -v[22:23]
	v_fma_f64 v[28:29], v[24:25], s[8:9], -v[26:27]
	s_delay_alu instid0(VALU_DEP_2) | instskip(NEXT) | instid1(VALU_DEP_2)
	v_add_f64_e64 v[20:21], v[20:21], -v[22:23]
	v_fmac_f64_e32 v[28:29], 0x3c91a62633145c07, v[24:25]
	s_delay_alu instid0(VALU_DEP_1) | instskip(NEXT) | instid1(VALU_DEP_1)
	v_fmac_f64_e32 v[28:29], 0x3ff921fb54442d18, v[20:21]
	v_add_f64_e32 v[20:21], v[26:27], v[28:29]
	s_delay_alu instid0(VALU_DEP_1) | instskip(NEXT) | instid1(VALU_DEP_1)
	v_add_f64_e64 v[22:23], v[20:21], -v[26:27]
	v_add_f64_e64 v[22:23], v[28:29], -v[22:23]
.LBB111_43:                             ;   in Loop: Header=BB111_41 Depth=1
	s_and_not1_saveexec_b32 s0, s0
	s_cbranch_execz .LBB111_45
; %bb.44:                               ;   in Loop: Header=BB111_41 Depth=1
	v_mul_f64_e64 v[20:21], |v[2:3]|, s[10:11]
	s_delay_alu instid0(VALU_DEP_1) | instskip(NEXT) | instid1(VALU_DEP_1)
	v_rndne_f64_e32 v[24:25], v[20:21]
	v_fma_f64 v[20:21], v[24:25], s[12:13], |v[2:3]|
	v_mul_f64_e32 v[22:23], 0xbc91a62633145c00, v[24:25]
	v_cvt_i32_f64_e32 v44, v[24:25]
	s_delay_alu instid0(VALU_DEP_3) | instskip(NEXT) | instid1(VALU_DEP_3)
	v_fmamk_f64 v[30:31], v[24:25], 0xbc91a62633145c00, v[20:21]
	v_add_f64_e32 v[26:27], v[20:21], v[22:23]
	s_delay_alu instid0(VALU_DEP_1) | instskip(NEXT) | instid1(VALU_DEP_3)
	v_add_f64_e64 v[28:29], v[20:21], -v[26:27]
	v_add_f64_e64 v[20:21], v[26:27], -v[30:31]
	s_delay_alu instid0(VALU_DEP_2) | instskip(SKIP_1) | instid1(VALU_DEP_2)
	v_add_f64_e32 v[26:27], v[28:29], v[22:23]
	v_fmamk_f64 v[22:23], v[24:25], 0x3c91a62633145c00, v[22:23]
	v_add_f64_e32 v[20:21], v[20:21], v[26:27]
	s_delay_alu instid0(VALU_DEP_1) | instskip(NEXT) | instid1(VALU_DEP_1)
	v_add_f64_e64 v[22:23], v[20:21], -v[22:23]
	v_fmac_f64_e32 v[22:23], 0xb97b839a252049c0, v[24:25]
	s_delay_alu instid0(VALU_DEP_1) | instskip(NEXT) | instid1(VALU_DEP_1)
	v_add_f64_e32 v[20:21], v[30:31], v[22:23]
	v_add_f64_e64 v[26:27], v[20:21], -v[30:31]
	s_delay_alu instid0(VALU_DEP_1)
	v_add_f64_e64 v[22:23], v[22:23], -v[26:27]
.LBB111_45:                             ;   in Loop: Header=BB111_41 Depth=1
	s_or_b32 exec_lo, exec_lo, s0
	v_cmp_ngt_f64_e64 s0, 0x41d00000, |v[4:5]|
                                        ; implicit-def: $vgpr45
                                        ; implicit-def: $vgpr24_vgpr25
                                        ; implicit-def: $vgpr26_vgpr27
	s_and_saveexec_b32 s1, s0
	s_delay_alu instid0(SALU_CYCLE_1)
	s_xor_b32 s0, exec_lo, s1
	s_cbranch_execz .LBB111_47
; %bb.46:                               ;   in Loop: Header=BB111_41 Depth=1
	v_ldexp_f64 v[24:25], |v[4:5]|, 0xffffff80
	v_cmp_le_f64_e64 vcc_lo, 0x7b000000, |v[4:5]|
	v_trig_preop_f64 v[26:27], |v[4:5]|, 0
	v_and_b32_e32 v13, 0x7fffffff, v5
	v_trig_preop_f64 v[28:29], |v[4:5]|, 1
	v_trig_preop_f64 v[38:39], |v[4:5]|, 2
	s_delay_alu instid0(VALU_DEP_3) | instskip(NEXT) | instid1(VALU_DEP_1)
	v_dual_cndmask_b32 v25, v13, v25 :: v_dual_cndmask_b32 v24, v4, v24
	v_mul_f64_e32 v[30:31], v[26:27], v[24:25]
	s_delay_alu instid0(VALU_DEP_4) | instskip(NEXT) | instid1(VALU_DEP_4)
	v_mul_f64_e32 v[32:33], v[28:29], v[24:25]
	v_mul_f64_e32 v[46:47], v[38:39], v[24:25]
	s_delay_alu instid0(VALU_DEP_3) | instskip(NEXT) | instid1(VALU_DEP_3)
	v_fma_f64 v[26:27], v[26:27], v[24:25], -v[30:31]
	v_fma_f64 v[28:29], v[28:29], v[24:25], -v[32:33]
	s_delay_alu instid0(VALU_DEP_3) | instskip(NEXT) | instid1(VALU_DEP_3)
	v_fma_f64 v[24:25], v[38:39], v[24:25], -v[46:47]
	v_add_f64_e32 v[34:35], v[32:33], v[26:27]
	s_delay_alu instid0(VALU_DEP_1) | instskip(SKIP_1) | instid1(VALU_DEP_2)
	v_add_f64_e64 v[36:37], v[34:35], -v[32:33]
	v_add_f64_e32 v[42:43], v[30:31], v[34:35]
	v_add_f64_e64 v[40:41], v[34:35], -v[36:37]
	v_add_f64_e64 v[26:27], v[26:27], -v[36:37]
	s_delay_alu instid0(VALU_DEP_3) | instskip(NEXT) | instid1(VALU_DEP_3)
	v_ldexp_f64 v[36:37], v[42:43], -2
	v_add_f64_e64 v[32:33], v[32:33], -v[40:41]
	v_add_f64_e32 v[40:41], v[46:47], v[28:29]
	s_delay_alu instid0(VALU_DEP_3) | instskip(NEXT) | instid1(VALU_DEP_3)
	v_cmp_neq_f64_e64 vcc_lo, 0x7ff00000, |v[36:37]|
	v_add_f64_e32 v[26:27], v[26:27], v[32:33]
	v_fract_f64_e32 v[32:33], v[36:37]
	s_delay_alu instid0(VALU_DEP_1) | instskip(NEXT) | instid1(VALU_DEP_1)
	v_ldexp_f64 v[32:33], v[32:33], 2
	v_dual_add_f64 v[30:31], v[42:43], -v[30:31] :: v_dual_cndmask_b32 v32, 0, v32, vcc_lo
	s_delay_alu instid0(VALU_DEP_1) | instskip(SKIP_1) | instid1(VALU_DEP_1)
	v_dual_add_f64 v[30:31], v[34:35], -v[30:31] :: v_dual_cndmask_b32 v33, 0, v33, vcc_lo
	v_add_f64_e32 v[34:35], v[40:41], v[26:27]
	v_add_f64_e32 v[36:37], v[30:31], v[34:35]
	v_add_f64_e64 v[48:49], v[34:35], -v[40:41]
	s_delay_alu instid0(VALU_DEP_2) | instskip(NEXT) | instid1(VALU_DEP_2)
	v_add_f64_e32 v[42:43], v[36:37], v[32:33]
	v_add_f64_e64 v[54:55], v[34:35], -v[48:49]
	v_add_f64_e64 v[26:27], v[26:27], -v[48:49]
	;; [unrolled: 1-line block ×3, first 2 shown]
	s_delay_alu instid0(VALU_DEP_4) | instskip(SKIP_1) | instid1(VALU_DEP_3)
	v_cmp_gt_f64_e32 vcc_lo, 0, v[42:43]
	v_add_f64_e64 v[42:43], v[40:41], -v[46:47]
	v_add_f64_e64 v[30:31], v[34:35], -v[30:31]
	v_cndmask_b32_e64 v13, 0, 0x40100000, vcc_lo
	s_delay_alu instid0(VALU_DEP_3) | instskip(SKIP_2) | instid1(VALU_DEP_4)
	v_add_f64_e64 v[52:53], v[40:41], -v[42:43]
	v_add_f64_e64 v[28:29], v[28:29], -v[42:43]
	;; [unrolled: 1-line block ×3, first 2 shown]
	v_add_f64_e32 v[32:33], v[32:33], v[12:13]
	s_delay_alu instid0(VALU_DEP_4) | instskip(NEXT) | instid1(VALU_DEP_3)
	v_add_f64_e64 v[42:43], v[46:47], -v[52:53]
	v_add_f64_e32 v[26:27], v[26:27], v[40:41]
	s_delay_alu instid0(VALU_DEP_3) | instskip(NEXT) | instid1(VALU_DEP_3)
	v_add_f64_e32 v[50:51], v[36:37], v[32:33]
	v_add_f64_e32 v[28:29], v[28:29], v[42:43]
	s_delay_alu instid0(VALU_DEP_2) | instskip(NEXT) | instid1(VALU_DEP_2)
	v_cvt_i32_f64_e32 v13, v[50:51]
	v_add_f64_e32 v[26:27], v[28:29], v[26:27]
	s_delay_alu instid0(VALU_DEP_2) | instskip(NEXT) | instid1(VALU_DEP_2)
	v_cvt_f64_i32_e32 v[48:49], v13
	v_add_f64_e32 v[24:25], v[24:25], v[26:27]
	s_delay_alu instid0(VALU_DEP_2) | instskip(NEXT) | instid1(VALU_DEP_2)
	v_add_f64_e64 v[32:33], v[32:33], -v[48:49]
	v_add_f64_e32 v[24:25], v[30:31], v[24:25]
	s_delay_alu instid0(VALU_DEP_2) | instskip(NEXT) | instid1(VALU_DEP_1)
	v_add_f64_e32 v[28:29], v[36:37], v[32:33]
	v_add_f64_e64 v[26:27], v[28:29], -v[32:33]
	v_cmp_le_f64_e32 vcc_lo, 0.5, v[28:29]
	s_delay_alu instid0(VALU_DEP_2) | instskip(SKIP_2) | instid1(VALU_DEP_3)
	v_add_f64_e64 v[26:27], v[36:37], -v[26:27]
	v_add_co_ci_u32_e64 v45, null, 0, v13, vcc_lo
	v_cndmask_b32_e64 v13, 0, 0x3ff00000, vcc_lo
	v_add_f64_e32 v[24:25], v[24:25], v[26:27]
	s_delay_alu instid0(VALU_DEP_2) | instskip(NEXT) | instid1(VALU_DEP_1)
	v_add_f64_e64 v[26:27], v[28:29], -v[12:13]
	v_add_f64_e32 v[28:29], v[26:27], v[24:25]
	s_delay_alu instid0(VALU_DEP_1) | instskip(SKIP_1) | instid1(VALU_DEP_2)
	v_mul_f64_e32 v[30:31], 0x3ff921fb54442d18, v[28:29]
	v_add_f64_e64 v[26:27], v[28:29], -v[26:27]
	v_fma_f64 v[32:33], v[28:29], s[8:9], -v[30:31]
	s_delay_alu instid0(VALU_DEP_2) | instskip(NEXT) | instid1(VALU_DEP_2)
	v_add_f64_e64 v[24:25], v[24:25], -v[26:27]
	v_fmac_f64_e32 v[32:33], 0x3c91a62633145c07, v[28:29]
	s_delay_alu instid0(VALU_DEP_1) | instskip(NEXT) | instid1(VALU_DEP_1)
	v_fmac_f64_e32 v[32:33], 0x3ff921fb54442d18, v[24:25]
	v_add_f64_e32 v[24:25], v[30:31], v[32:33]
	s_delay_alu instid0(VALU_DEP_1) | instskip(NEXT) | instid1(VALU_DEP_1)
	v_add_f64_e64 v[26:27], v[24:25], -v[30:31]
	v_add_f64_e64 v[26:27], v[32:33], -v[26:27]
.LBB111_47:                             ;   in Loop: Header=BB111_41 Depth=1
	s_and_not1_saveexec_b32 s0, s0
	s_cbranch_execz .LBB111_49
; %bb.48:                               ;   in Loop: Header=BB111_41 Depth=1
	v_mul_f64_e64 v[24:25], |v[4:5]|, s[10:11]
	s_delay_alu instid0(VALU_DEP_1) | instskip(NEXT) | instid1(VALU_DEP_1)
	v_rndne_f64_e32 v[28:29], v[24:25]
	v_fma_f64 v[24:25], v[28:29], s[12:13], |v[4:5]|
	v_mul_f64_e32 v[26:27], 0xbc91a62633145c00, v[28:29]
	v_cvt_i32_f64_e32 v45, v[28:29]
	s_delay_alu instid0(VALU_DEP_3) | instskip(NEXT) | instid1(VALU_DEP_3)
	v_fmamk_f64 v[34:35], v[28:29], 0xbc91a62633145c00, v[24:25]
	v_add_f64_e32 v[30:31], v[24:25], v[26:27]
	s_delay_alu instid0(VALU_DEP_1) | instskip(NEXT) | instid1(VALU_DEP_3)
	v_add_f64_e64 v[32:33], v[24:25], -v[30:31]
	v_add_f64_e64 v[24:25], v[30:31], -v[34:35]
	s_delay_alu instid0(VALU_DEP_2) | instskip(SKIP_1) | instid1(VALU_DEP_2)
	v_add_f64_e32 v[30:31], v[32:33], v[26:27]
	v_fmamk_f64 v[26:27], v[28:29], 0x3c91a62633145c00, v[26:27]
	v_add_f64_e32 v[24:25], v[24:25], v[30:31]
	s_delay_alu instid0(VALU_DEP_1) | instskip(NEXT) | instid1(VALU_DEP_1)
	v_add_f64_e64 v[26:27], v[24:25], -v[26:27]
	v_fmac_f64_e32 v[26:27], 0xb97b839a252049c0, v[28:29]
	s_delay_alu instid0(VALU_DEP_1) | instskip(NEXT) | instid1(VALU_DEP_1)
	v_add_f64_e32 v[24:25], v[34:35], v[26:27]
	v_add_f64_e64 v[30:31], v[24:25], -v[34:35]
	s_delay_alu instid0(VALU_DEP_1)
	v_add_f64_e64 v[26:27], v[26:27], -v[30:31]
.LBB111_49:                             ;   in Loop: Header=BB111_41 Depth=1
	s_or_b32 exec_lo, exec_lo, s0
	s_wait_loadcnt 0x0
	v_cmp_ngt_f64_e64 s0, 0x41d00000, |v[6:7]|
                                        ; implicit-def: $vgpr46
                                        ; implicit-def: $vgpr28_vgpr29
                                        ; implicit-def: $vgpr30_vgpr31
	s_and_saveexec_b32 s1, s0
	s_delay_alu instid0(SALU_CYCLE_1)
	s_xor_b32 s0, exec_lo, s1
	s_cbranch_execz .LBB111_51
; %bb.50:                               ;   in Loop: Header=BB111_41 Depth=1
	v_ldexp_f64 v[28:29], |v[6:7]|, 0xffffff80
	v_cmp_le_f64_e64 vcc_lo, 0x7b000000, |v[6:7]|
	v_trig_preop_f64 v[30:31], |v[6:7]|, 0
	v_and_b32_e32 v13, 0x7fffffff, v7
	v_trig_preop_f64 v[32:33], |v[6:7]|, 1
	v_trig_preop_f64 v[42:43], |v[6:7]|, 2
	s_delay_alu instid0(VALU_DEP_3) | instskip(NEXT) | instid1(VALU_DEP_1)
	v_dual_cndmask_b32 v29, v13, v29 :: v_dual_cndmask_b32 v28, v6, v28
	v_mul_f64_e32 v[34:35], v[30:31], v[28:29]
	s_delay_alu instid0(VALU_DEP_4) | instskip(NEXT) | instid1(VALU_DEP_4)
	v_mul_f64_e32 v[36:37], v[32:33], v[28:29]
	v_mul_f64_e32 v[50:51], v[42:43], v[28:29]
	s_delay_alu instid0(VALU_DEP_3) | instskip(NEXT) | instid1(VALU_DEP_3)
	v_fma_f64 v[30:31], v[30:31], v[28:29], -v[34:35]
	v_fma_f64 v[32:33], v[32:33], v[28:29], -v[36:37]
	s_delay_alu instid0(VALU_DEP_3) | instskip(NEXT) | instid1(VALU_DEP_3)
	v_fma_f64 v[28:29], v[42:43], v[28:29], -v[50:51]
	v_add_f64_e32 v[38:39], v[36:37], v[30:31]
	s_delay_alu instid0(VALU_DEP_1) | instskip(SKIP_1) | instid1(VALU_DEP_2)
	v_add_f64_e64 v[40:41], v[38:39], -v[36:37]
	v_add_f64_e32 v[48:49], v[34:35], v[38:39]
	v_add_f64_e64 v[46:47], v[38:39], -v[40:41]
	v_add_f64_e64 v[30:31], v[30:31], -v[40:41]
	s_delay_alu instid0(VALU_DEP_3) | instskip(NEXT) | instid1(VALU_DEP_3)
	v_ldexp_f64 v[40:41], v[48:49], -2
	v_add_f64_e64 v[36:37], v[36:37], -v[46:47]
	v_add_f64_e32 v[46:47], v[50:51], v[32:33]
	s_delay_alu instid0(VALU_DEP_3) | instskip(NEXT) | instid1(VALU_DEP_3)
	v_cmp_neq_f64_e64 vcc_lo, 0x7ff00000, |v[40:41]|
	v_add_f64_e32 v[30:31], v[30:31], v[36:37]
	v_fract_f64_e32 v[36:37], v[40:41]
	s_delay_alu instid0(VALU_DEP_1) | instskip(NEXT) | instid1(VALU_DEP_1)
	v_ldexp_f64 v[36:37], v[36:37], 2
	v_dual_add_f64 v[34:35], v[48:49], -v[34:35] :: v_dual_cndmask_b32 v36, 0, v36, vcc_lo
	s_delay_alu instid0(VALU_DEP_1) | instskip(SKIP_1) | instid1(VALU_DEP_1)
	v_dual_add_f64 v[34:35], v[38:39], -v[34:35] :: v_dual_cndmask_b32 v37, 0, v37, vcc_lo
	v_add_f64_e32 v[38:39], v[46:47], v[30:31]
	v_add_f64_e32 v[40:41], v[34:35], v[38:39]
	v_add_f64_e64 v[52:53], v[38:39], -v[46:47]
	s_delay_alu instid0(VALU_DEP_2) | instskip(NEXT) | instid1(VALU_DEP_2)
	v_add_f64_e32 v[48:49], v[40:41], v[36:37]
	v_add_f64_e64 v[58:59], v[38:39], -v[52:53]
	v_add_f64_e64 v[30:31], v[30:31], -v[52:53]
	;; [unrolled: 1-line block ×3, first 2 shown]
	s_delay_alu instid0(VALU_DEP_4) | instskip(SKIP_1) | instid1(VALU_DEP_3)
	v_cmp_gt_f64_e32 vcc_lo, 0, v[48:49]
	v_add_f64_e64 v[48:49], v[46:47], -v[50:51]
	v_add_f64_e64 v[34:35], v[38:39], -v[34:35]
	v_cndmask_b32_e64 v13, 0, 0x40100000, vcc_lo
	s_delay_alu instid0(VALU_DEP_3) | instskip(SKIP_2) | instid1(VALU_DEP_4)
	v_add_f64_e64 v[56:57], v[46:47], -v[48:49]
	v_add_f64_e64 v[32:33], v[32:33], -v[48:49]
	;; [unrolled: 1-line block ×3, first 2 shown]
	v_add_f64_e32 v[36:37], v[36:37], v[12:13]
	s_delay_alu instid0(VALU_DEP_4) | instskip(NEXT) | instid1(VALU_DEP_3)
	v_add_f64_e64 v[48:49], v[50:51], -v[56:57]
	v_add_f64_e32 v[30:31], v[30:31], v[46:47]
	s_delay_alu instid0(VALU_DEP_3) | instskip(NEXT) | instid1(VALU_DEP_3)
	v_add_f64_e32 v[54:55], v[40:41], v[36:37]
	v_add_f64_e32 v[32:33], v[32:33], v[48:49]
	s_delay_alu instid0(VALU_DEP_2) | instskip(NEXT) | instid1(VALU_DEP_2)
	v_cvt_i32_f64_e32 v13, v[54:55]
	v_add_f64_e32 v[30:31], v[32:33], v[30:31]
	s_delay_alu instid0(VALU_DEP_2) | instskip(NEXT) | instid1(VALU_DEP_2)
	v_cvt_f64_i32_e32 v[52:53], v13
	v_add_f64_e32 v[28:29], v[28:29], v[30:31]
	s_delay_alu instid0(VALU_DEP_2) | instskip(NEXT) | instid1(VALU_DEP_2)
	v_add_f64_e64 v[36:37], v[36:37], -v[52:53]
	v_add_f64_e32 v[28:29], v[34:35], v[28:29]
	s_delay_alu instid0(VALU_DEP_2) | instskip(NEXT) | instid1(VALU_DEP_1)
	v_add_f64_e32 v[32:33], v[40:41], v[36:37]
	v_add_f64_e64 v[30:31], v[32:33], -v[36:37]
	v_cmp_le_f64_e32 vcc_lo, 0.5, v[32:33]
	s_delay_alu instid0(VALU_DEP_2) | instskip(SKIP_2) | instid1(VALU_DEP_3)
	v_add_f64_e64 v[30:31], v[40:41], -v[30:31]
	v_add_co_ci_u32_e64 v46, null, 0, v13, vcc_lo
	v_cndmask_b32_e64 v13, 0, 0x3ff00000, vcc_lo
	v_add_f64_e32 v[28:29], v[28:29], v[30:31]
	s_delay_alu instid0(VALU_DEP_2) | instskip(NEXT) | instid1(VALU_DEP_1)
	v_add_f64_e64 v[30:31], v[32:33], -v[12:13]
	v_add_f64_e32 v[32:33], v[30:31], v[28:29]
	s_delay_alu instid0(VALU_DEP_1) | instskip(SKIP_1) | instid1(VALU_DEP_2)
	v_mul_f64_e32 v[34:35], 0x3ff921fb54442d18, v[32:33]
	v_add_f64_e64 v[30:31], v[32:33], -v[30:31]
	v_fma_f64 v[36:37], v[32:33], s[8:9], -v[34:35]
	s_delay_alu instid0(VALU_DEP_2) | instskip(NEXT) | instid1(VALU_DEP_2)
	v_add_f64_e64 v[28:29], v[28:29], -v[30:31]
	v_fmac_f64_e32 v[36:37], 0x3c91a62633145c07, v[32:33]
	s_delay_alu instid0(VALU_DEP_1) | instskip(NEXT) | instid1(VALU_DEP_1)
	v_fmac_f64_e32 v[36:37], 0x3ff921fb54442d18, v[28:29]
	v_add_f64_e32 v[28:29], v[34:35], v[36:37]
	s_delay_alu instid0(VALU_DEP_1) | instskip(NEXT) | instid1(VALU_DEP_1)
	v_add_f64_e64 v[30:31], v[28:29], -v[34:35]
	v_add_f64_e64 v[30:31], v[36:37], -v[30:31]
.LBB111_51:                             ;   in Loop: Header=BB111_41 Depth=1
	s_and_not1_saveexec_b32 s0, s0
	s_cbranch_execz .LBB111_53
; %bb.52:                               ;   in Loop: Header=BB111_41 Depth=1
	v_mul_f64_e64 v[28:29], |v[6:7]|, s[10:11]
	s_delay_alu instid0(VALU_DEP_1) | instskip(NEXT) | instid1(VALU_DEP_1)
	v_rndne_f64_e32 v[32:33], v[28:29]
	v_fma_f64 v[28:29], v[32:33], s[12:13], |v[6:7]|
	v_mul_f64_e32 v[30:31], 0xbc91a62633145c00, v[32:33]
	v_cvt_i32_f64_e32 v46, v[32:33]
	s_delay_alu instid0(VALU_DEP_3) | instskip(NEXT) | instid1(VALU_DEP_3)
	v_fmamk_f64 v[38:39], v[32:33], 0xbc91a62633145c00, v[28:29]
	v_add_f64_e32 v[34:35], v[28:29], v[30:31]
	s_delay_alu instid0(VALU_DEP_1) | instskip(NEXT) | instid1(VALU_DEP_3)
	v_add_f64_e64 v[36:37], v[28:29], -v[34:35]
	v_add_f64_e64 v[28:29], v[34:35], -v[38:39]
	s_delay_alu instid0(VALU_DEP_2) | instskip(SKIP_1) | instid1(VALU_DEP_2)
	v_add_f64_e32 v[34:35], v[36:37], v[30:31]
	v_fmamk_f64 v[30:31], v[32:33], 0x3c91a62633145c00, v[30:31]
	v_add_f64_e32 v[28:29], v[28:29], v[34:35]
	s_delay_alu instid0(VALU_DEP_1) | instskip(NEXT) | instid1(VALU_DEP_1)
	v_add_f64_e64 v[30:31], v[28:29], -v[30:31]
	v_fmac_f64_e32 v[30:31], 0xb97b839a252049c0, v[32:33]
	s_delay_alu instid0(VALU_DEP_1) | instskip(NEXT) | instid1(VALU_DEP_1)
	v_add_f64_e32 v[28:29], v[38:39], v[30:31]
	v_add_f64_e64 v[34:35], v[28:29], -v[38:39]
	s_delay_alu instid0(VALU_DEP_1)
	v_add_f64_e64 v[30:31], v[30:31], -v[34:35]
.LBB111_53:                             ;   in Loop: Header=BB111_41 Depth=1
	s_or_b32 exec_lo, exec_lo, s0
	v_cmp_ngt_f64_e64 s0, 0x41d00000, |v[8:9]|
                                        ; implicit-def: $vgpr47
                                        ; implicit-def: $vgpr32_vgpr33
                                        ; implicit-def: $vgpr34_vgpr35
	s_and_saveexec_b32 s1, s0
	s_delay_alu instid0(SALU_CYCLE_1)
	s_xor_b32 s0, exec_lo, s1
	s_cbranch_execz .LBB111_55
; %bb.54:                               ;   in Loop: Header=BB111_41 Depth=1
	v_cmp_le_f64_e64 vcc_lo, 0x7b000000, |v[8:9]|
	v_ldexp_f64 v[36:37], |v[8:9]|, 0xffffff80
	v_trig_preop_f64 v[32:33], |v[8:9]|, 0
	v_and_b32_e32 v13, 0x7fffffff, v9
	v_trig_preop_f64 v[34:35], |v[8:9]|, 1
	s_delay_alu instid0(VALU_DEP_2) | instskip(NEXT) | instid1(VALU_DEP_1)
	v_dual_cndmask_b32 v37, v13, v37 :: v_dual_cndmask_b32 v36, v8, v36
	v_mul_f64_e32 v[40:41], v[32:33], v[36:37]
	s_delay_alu instid0(VALU_DEP_3) | instskip(NEXT) | instid1(VALU_DEP_2)
	v_mul_f64_e32 v[38:39], v[34:35], v[36:37]
	v_fma_f64 v[32:33], v[32:33], v[36:37], -v[40:41]
	s_delay_alu instid0(VALU_DEP_2) | instskip(NEXT) | instid1(VALU_DEP_2)
	v_fma_f64 v[34:35], v[34:35], v[36:37], -v[38:39]
	v_add_f64_e32 v[42:43], v[38:39], v[32:33]
	s_delay_alu instid0(VALU_DEP_1) | instskip(SKIP_1) | instid1(VALU_DEP_2)
	v_add_f64_e64 v[54:55], v[42:43], -v[38:39]
	v_add_f64_e32 v[48:49], v[40:41], v[42:43]
	v_add_f64_e64 v[32:33], v[32:33], -v[54:55]
	v_add_f64_e64 v[54:55], v[42:43], -v[54:55]
	s_delay_alu instid0(VALU_DEP_3) | instskip(SKIP_1) | instid1(VALU_DEP_3)
	v_ldexp_f64 v[50:51], v[48:49], -2
	v_add_f64_e64 v[40:41], v[48:49], -v[40:41]
	v_add_f64_e64 v[54:55], v[38:39], -v[54:55]
	v_trig_preop_f64 v[38:39], |v[8:9]|, 2
	s_delay_alu instid0(VALU_DEP_4) | instskip(NEXT) | instid1(VALU_DEP_4)
	v_fract_f64_e32 v[52:53], v[50:51]
	v_add_f64_e64 v[40:41], v[42:43], -v[40:41]
	v_cmp_neq_f64_e64 vcc_lo, 0x7ff00000, |v[50:51]|
	v_add_f64_e32 v[32:33], v[32:33], v[54:55]
	v_mul_f64_e32 v[54:55], v[38:39], v[36:37]
	s_delay_alu instid0(VALU_DEP_1) | instskip(NEXT) | instid1(VALU_DEP_1)
	v_add_f64_e32 v[56:57], v[54:55], v[34:35]
	v_add_f64_e32 v[58:59], v[56:57], v[32:33]
	s_delay_alu instid0(VALU_DEP_1) | instskip(SKIP_1) | instid1(VALU_DEP_2)
	v_add_f64_e64 v[48:49], v[58:59], -v[56:57]
	v_add_f64_e32 v[42:43], v[40:41], v[58:59]
	v_add_f64_e64 v[32:33], v[32:33], -v[48:49]
	v_add_f64_e64 v[48:49], v[58:59], -v[48:49]
	s_delay_alu instid0(VALU_DEP_3) | instskip(NEXT) | instid1(VALU_DEP_2)
	v_add_f64_e64 v[40:41], v[42:43], -v[40:41]
	v_add_f64_e64 v[48:49], v[56:57], -v[48:49]
	s_delay_alu instid0(VALU_DEP_2) | instskip(NEXT) | instid1(VALU_DEP_2)
	v_add_f64_e64 v[40:41], v[58:59], -v[40:41]
	v_add_f64_e32 v[32:33], v[32:33], v[48:49]
	v_add_f64_e64 v[48:49], v[56:57], -v[54:55]
	s_delay_alu instid0(VALU_DEP_1) | instskip(SKIP_1) | instid1(VALU_DEP_1)
	v_add_f64_e64 v[34:35], v[34:35], -v[48:49]
	v_add_f64_e64 v[48:49], v[56:57], -v[48:49]
	;; [unrolled: 1-line block ×3, first 2 shown]
	s_delay_alu instid0(VALU_DEP_1) | instskip(NEXT) | instid1(VALU_DEP_1)
	v_add_f64_e32 v[34:35], v[34:35], v[48:49]
	v_add_f64_e32 v[32:33], v[34:35], v[32:33]
	v_fma_f64 v[34:35], v[38:39], v[36:37], -v[54:55]
	s_delay_alu instid0(VALU_DEP_1) | instskip(SKIP_1) | instid1(VALU_DEP_1)
	v_add_f64_e32 v[32:33], v[34:35], v[32:33]
	v_ldexp_f64 v[34:35], v[52:53], 2
	v_dual_add_f64 v[32:33], v[40:41], v[32:33] :: v_dual_cndmask_b32 v35, 0, v35, vcc_lo
	s_delay_alu instid0(VALU_DEP_2) | instskip(NEXT) | instid1(VALU_DEP_1)
	v_cndmask_b32_e32 v34, 0, v34, vcc_lo
	v_add_f64_e32 v[36:37], v[42:43], v[34:35]
	s_delay_alu instid0(VALU_DEP_1) | instskip(SKIP_1) | instid1(VALU_DEP_1)
	v_cmp_gt_f64_e32 vcc_lo, 0, v[36:37]
	v_cndmask_b32_e64 v13, 0, 0x40100000, vcc_lo
	v_add_f64_e32 v[34:35], v[34:35], v[12:13]
	s_delay_alu instid0(VALU_DEP_1) | instskip(NEXT) | instid1(VALU_DEP_1)
	v_add_f64_e32 v[36:37], v[42:43], v[34:35]
	v_cvt_i32_f64_e32 v13, v[36:37]
	s_delay_alu instid0(VALU_DEP_1) | instskip(NEXT) | instid1(VALU_DEP_1)
	v_cvt_f64_i32_e32 v[36:37], v13
	v_add_f64_e64 v[34:35], v[34:35], -v[36:37]
	s_delay_alu instid0(VALU_DEP_1) | instskip(NEXT) | instid1(VALU_DEP_1)
	v_add_f64_e32 v[36:37], v[42:43], v[34:35]
	v_add_f64_e64 v[34:35], v[36:37], -v[34:35]
	v_cmp_le_f64_e32 vcc_lo, 0.5, v[36:37]
	s_delay_alu instid0(VALU_DEP_2) | instskip(SKIP_2) | instid1(VALU_DEP_3)
	v_add_f64_e64 v[34:35], v[42:43], -v[34:35]
	v_add_co_ci_u32_e64 v47, null, 0, v13, vcc_lo
	v_cndmask_b32_e64 v13, 0, 0x3ff00000, vcc_lo
	v_add_f64_e32 v[32:33], v[32:33], v[34:35]
	s_delay_alu instid0(VALU_DEP_2) | instskip(NEXT) | instid1(VALU_DEP_1)
	v_add_f64_e64 v[34:35], v[36:37], -v[12:13]
	v_add_f64_e32 v[36:37], v[34:35], v[32:33]
	s_delay_alu instid0(VALU_DEP_1) | instskip(NEXT) | instid1(VALU_DEP_1)
	v_add_f64_e64 v[34:35], v[36:37], -v[34:35]
	v_add_f64_e64 v[32:33], v[32:33], -v[34:35]
	v_mul_f64_e32 v[34:35], 0x3ff921fb54442d18, v[36:37]
	s_delay_alu instid0(VALU_DEP_1) | instskip(NEXT) | instid1(VALU_DEP_1)
	v_fma_f64 v[38:39], v[36:37], s[8:9], -v[34:35]
	v_fmac_f64_e32 v[38:39], 0x3c91a62633145c07, v[36:37]
	s_delay_alu instid0(VALU_DEP_1) | instskip(NEXT) | instid1(VALU_DEP_1)
	v_fmac_f64_e32 v[38:39], 0x3ff921fb54442d18, v[32:33]
	v_add_f64_e32 v[32:33], v[34:35], v[38:39]
	s_delay_alu instid0(VALU_DEP_1) | instskip(NEXT) | instid1(VALU_DEP_1)
	v_add_f64_e64 v[34:35], v[32:33], -v[34:35]
	v_add_f64_e64 v[34:35], v[38:39], -v[34:35]
.LBB111_55:                             ;   in Loop: Header=BB111_41 Depth=1
	s_and_not1_saveexec_b32 s0, s0
	s_cbranch_execz .LBB111_40
; %bb.56:                               ;   in Loop: Header=BB111_41 Depth=1
	v_mul_f64_e64 v[32:33], |v[8:9]|, s[10:11]
	s_delay_alu instid0(VALU_DEP_1) | instskip(NEXT) | instid1(VALU_DEP_1)
	v_rndne_f64_e32 v[36:37], v[32:33]
	v_fma_f64 v[32:33], v[36:37], s[12:13], |v[8:9]|
	v_mul_f64_e32 v[34:35], 0xbc91a62633145c00, v[36:37]
	v_cvt_i32_f64_e32 v47, v[36:37]
	s_delay_alu instid0(VALU_DEP_3) | instskip(NEXT) | instid1(VALU_DEP_3)
	v_fmamk_f64 v[42:43], v[36:37], 0xbc91a62633145c00, v[32:33]
	v_add_f64_e32 v[38:39], v[32:33], v[34:35]
	s_delay_alu instid0(VALU_DEP_1) | instskip(NEXT) | instid1(VALU_DEP_3)
	v_add_f64_e64 v[40:41], v[32:33], -v[38:39]
	v_add_f64_e64 v[32:33], v[38:39], -v[42:43]
	s_delay_alu instid0(VALU_DEP_2) | instskip(SKIP_1) | instid1(VALU_DEP_2)
	v_add_f64_e32 v[38:39], v[40:41], v[34:35]
	v_fmamk_f64 v[34:35], v[36:37], 0x3c91a62633145c00, v[34:35]
	v_add_f64_e32 v[32:33], v[32:33], v[38:39]
	s_delay_alu instid0(VALU_DEP_1) | instskip(NEXT) | instid1(VALU_DEP_1)
	v_add_f64_e64 v[34:35], v[32:33], -v[34:35]
	v_fmac_f64_e32 v[34:35], 0xb97b839a252049c0, v[36:37]
	s_delay_alu instid0(VALU_DEP_1) | instskip(NEXT) | instid1(VALU_DEP_1)
	v_add_f64_e32 v[32:33], v[42:43], v[34:35]
	v_add_f64_e64 v[38:39], v[32:33], -v[42:43]
	s_delay_alu instid0(VALU_DEP_1)
	v_add_f64_e64 v[34:35], v[34:35], -v[38:39]
	s_branch .LBB111_40
.LBB111_57:
	s_sendmsg sendmsg(MSG_DEALLOC_VGPRS)
	s_endpgm
	.section	.rodata,"a",@progbits
	.p2align	6, 0x0
	.amdhsa_kernel _ZN2at6native12_GLOBAL__N_125multi_tensor_apply_kernelINS1_18TensorListMetadataILi1EEENS1_14UnaryOpFunctorIdLi1ELi1ELi0EEEJNS0_3SinIdEEEEEvT_T0_DpT1_
		.amdhsa_group_segment_fixed_size 0
		.amdhsa_private_segment_fixed_size 0
		.amdhsa_kernarg_size 3632
		.amdhsa_user_sgpr_count 2
		.amdhsa_user_sgpr_dispatch_ptr 0
		.amdhsa_user_sgpr_queue_ptr 0
		.amdhsa_user_sgpr_kernarg_segment_ptr 1
		.amdhsa_user_sgpr_dispatch_id 0
		.amdhsa_user_sgpr_kernarg_preload_length 0
		.amdhsa_user_sgpr_kernarg_preload_offset 0
		.amdhsa_user_sgpr_private_segment_size 0
		.amdhsa_wavefront_size32 1
		.amdhsa_uses_dynamic_stack 0
		.amdhsa_enable_private_segment 0
		.amdhsa_system_sgpr_workgroup_id_x 1
		.amdhsa_system_sgpr_workgroup_id_y 0
		.amdhsa_system_sgpr_workgroup_id_z 0
		.amdhsa_system_sgpr_workgroup_info 0
		.amdhsa_system_vgpr_workitem_id 0
		.amdhsa_next_free_vgpr 80
		.amdhsa_next_free_sgpr 29
		.amdhsa_named_barrier_count 0
		.amdhsa_reserve_vcc 1
		.amdhsa_float_round_mode_32 0
		.amdhsa_float_round_mode_16_64 0
		.amdhsa_float_denorm_mode_32 3
		.amdhsa_float_denorm_mode_16_64 3
		.amdhsa_fp16_overflow 0
		.amdhsa_memory_ordered 1
		.amdhsa_forward_progress 1
		.amdhsa_inst_pref_size 79
		.amdhsa_round_robin_scheduling 0
		.amdhsa_exception_fp_ieee_invalid_op 0
		.amdhsa_exception_fp_denorm_src 0
		.amdhsa_exception_fp_ieee_div_zero 0
		.amdhsa_exception_fp_ieee_overflow 0
		.amdhsa_exception_fp_ieee_underflow 0
		.amdhsa_exception_fp_ieee_inexact 0
		.amdhsa_exception_int_div_zero 0
	.end_amdhsa_kernel
	.section	.text._ZN2at6native12_GLOBAL__N_125multi_tensor_apply_kernelINS1_18TensorListMetadataILi1EEENS1_14UnaryOpFunctorIdLi1ELi1ELi0EEEJNS0_3SinIdEEEEEvT_T0_DpT1_,"axG",@progbits,_ZN2at6native12_GLOBAL__N_125multi_tensor_apply_kernelINS1_18TensorListMetadataILi1EEENS1_14UnaryOpFunctorIdLi1ELi1ELi0EEEJNS0_3SinIdEEEEEvT_T0_DpT1_,comdat
.Lfunc_end111:
	.size	_ZN2at6native12_GLOBAL__N_125multi_tensor_apply_kernelINS1_18TensorListMetadataILi1EEENS1_14UnaryOpFunctorIdLi1ELi1ELi0EEEJNS0_3SinIdEEEEEvT_T0_DpT1_, .Lfunc_end111-_ZN2at6native12_GLOBAL__N_125multi_tensor_apply_kernelINS1_18TensorListMetadataILi1EEENS1_14UnaryOpFunctorIdLi1ELi1ELi0EEEJNS0_3SinIdEEEEEvT_T0_DpT1_
                                        ; -- End function
	.set _ZN2at6native12_GLOBAL__N_125multi_tensor_apply_kernelINS1_18TensorListMetadataILi1EEENS1_14UnaryOpFunctorIdLi1ELi1ELi0EEEJNS0_3SinIdEEEEEvT_T0_DpT1_.num_vgpr, 80
	.set _ZN2at6native12_GLOBAL__N_125multi_tensor_apply_kernelINS1_18TensorListMetadataILi1EEENS1_14UnaryOpFunctorIdLi1ELi1ELi0EEEJNS0_3SinIdEEEEEvT_T0_DpT1_.num_agpr, 0
	.set _ZN2at6native12_GLOBAL__N_125multi_tensor_apply_kernelINS1_18TensorListMetadataILi1EEENS1_14UnaryOpFunctorIdLi1ELi1ELi0EEEJNS0_3SinIdEEEEEvT_T0_DpT1_.numbered_sgpr, 29
	.set _ZN2at6native12_GLOBAL__N_125multi_tensor_apply_kernelINS1_18TensorListMetadataILi1EEENS1_14UnaryOpFunctorIdLi1ELi1ELi0EEEJNS0_3SinIdEEEEEvT_T0_DpT1_.num_named_barrier, 0
	.set _ZN2at6native12_GLOBAL__N_125multi_tensor_apply_kernelINS1_18TensorListMetadataILi1EEENS1_14UnaryOpFunctorIdLi1ELi1ELi0EEEJNS0_3SinIdEEEEEvT_T0_DpT1_.private_seg_size, 0
	.set _ZN2at6native12_GLOBAL__N_125multi_tensor_apply_kernelINS1_18TensorListMetadataILi1EEENS1_14UnaryOpFunctorIdLi1ELi1ELi0EEEJNS0_3SinIdEEEEEvT_T0_DpT1_.uses_vcc, 1
	.set _ZN2at6native12_GLOBAL__N_125multi_tensor_apply_kernelINS1_18TensorListMetadataILi1EEENS1_14UnaryOpFunctorIdLi1ELi1ELi0EEEJNS0_3SinIdEEEEEvT_T0_DpT1_.uses_flat_scratch, 0
	.set _ZN2at6native12_GLOBAL__N_125multi_tensor_apply_kernelINS1_18TensorListMetadataILi1EEENS1_14UnaryOpFunctorIdLi1ELi1ELi0EEEJNS0_3SinIdEEEEEvT_T0_DpT1_.has_dyn_sized_stack, 0
	.set _ZN2at6native12_GLOBAL__N_125multi_tensor_apply_kernelINS1_18TensorListMetadataILi1EEENS1_14UnaryOpFunctorIdLi1ELi1ELi0EEEJNS0_3SinIdEEEEEvT_T0_DpT1_.has_recursion, 0
	.set _ZN2at6native12_GLOBAL__N_125multi_tensor_apply_kernelINS1_18TensorListMetadataILi1EEENS1_14UnaryOpFunctorIdLi1ELi1ELi0EEEJNS0_3SinIdEEEEEvT_T0_DpT1_.has_indirect_call, 0
	.section	.AMDGPU.csdata,"",@progbits
; Kernel info:
; codeLenInByte = 10068
; TotalNumSgprs: 31
; NumVgprs: 80
; ScratchSize: 0
; MemoryBound: 0
; FloatMode: 240
; IeeeMode: 1
; LDSByteSize: 0 bytes/workgroup (compile time only)
; SGPRBlocks: 0
; VGPRBlocks: 4
; NumSGPRsForWavesPerEU: 31
; NumVGPRsForWavesPerEU: 80
; NamedBarCnt: 0
; Occupancy: 12
; WaveLimiterHint : 0
; COMPUTE_PGM_RSRC2:SCRATCH_EN: 0
; COMPUTE_PGM_RSRC2:USER_SGPR: 2
; COMPUTE_PGM_RSRC2:TRAP_HANDLER: 0
; COMPUTE_PGM_RSRC2:TGID_X_EN: 1
; COMPUTE_PGM_RSRC2:TGID_Y_EN: 0
; COMPUTE_PGM_RSRC2:TGID_Z_EN: 0
; COMPUTE_PGM_RSRC2:TIDIG_COMP_CNT: 0
	.section	.text._ZN2at6native12_GLOBAL__N_125multi_tensor_apply_kernelINS1_18TensorListMetadataILi1EEENS1_14UnaryOpFunctorIfLi1ELi1ELi0EEEJNS0_3SinIfEEEEEvT_T0_DpT1_,"axG",@progbits,_ZN2at6native12_GLOBAL__N_125multi_tensor_apply_kernelINS1_18TensorListMetadataILi1EEENS1_14UnaryOpFunctorIfLi1ELi1ELi0EEEJNS0_3SinIfEEEEEvT_T0_DpT1_,comdat
	.globl	_ZN2at6native12_GLOBAL__N_125multi_tensor_apply_kernelINS1_18TensorListMetadataILi1EEENS1_14UnaryOpFunctorIfLi1ELi1ELi0EEEJNS0_3SinIfEEEEEvT_T0_DpT1_ ; -- Begin function _ZN2at6native12_GLOBAL__N_125multi_tensor_apply_kernelINS1_18TensorListMetadataILi1EEENS1_14UnaryOpFunctorIfLi1ELi1ELi0EEEJNS0_3SinIfEEEEEvT_T0_DpT1_
	.p2align	8
	.type	_ZN2at6native12_GLOBAL__N_125multi_tensor_apply_kernelINS1_18TensorListMetadataILi1EEENS1_14UnaryOpFunctorIfLi1ELi1ELi0EEEJNS0_3SinIfEEEEEvT_T0_DpT1_,@function
_ZN2at6native12_GLOBAL__N_125multi_tensor_apply_kernelINS1_18TensorListMetadataILi1EEENS1_14UnaryOpFunctorIfLi1ELi1ELi0EEEJNS0_3SinIfEEEEEvT_T0_DpT1_: ; @_ZN2at6native12_GLOBAL__N_125multi_tensor_apply_kernelINS1_18TensorListMetadataILi1EEENS1_14UnaryOpFunctorIfLi1ELi1ELi0EEEJNS0_3SinIfEEEEEvT_T0_DpT1_
; %bb.0:
	s_bfe_u32 s2, ttmp6, 0x4000c
	s_and_b32 s3, ttmp6, 15
	s_add_co_i32 s2, s2, 1
	s_getreg_b32 s4, hwreg(HW_REG_IB_STS2, 6, 4)
	s_mul_i32 s2, ttmp9, s2
	s_delay_alu instid0(SALU_CYCLE_1)
	s_add_co_i32 s3, s3, s2
	s_cmp_eq_u32 s4, 0
	s_cselect_b32 s2, ttmp9, s3
	s_mov_b32 s3, 0
	s_load_u8 s10, s[0:1], s2 offset:0x6e0
	s_add_nc_u64 s[4:5], s[0:1], s[2:3]
	s_mul_u64 s[6:7], s[2:3], 3
	s_delay_alu instid0(SALU_CYCLE_1)
	s_add_nc_u64 s[4:5], s[4:5], s[6:7]
	s_load_b32 s6, s[4:5], 0x820
	s_wait_kmcnt 0x0
	s_clause 0x1
	s_load_b64 s[8:9], s[0:1], s10 offset:0x0 scale_offset
	s_load_b64 s[12:13], s[0:1], s10 offset:0x370 scale_offset
	s_ashr_i32 s7, s6, 31
	s_wait_kmcnt 0x0
	s_and_b64 s[4:5], s[8:9], 15
	s_and_b32 s2, s12, 3
	s_lshl_b64 s[10:11], s[6:7], 18
	s_or_b64 s[2:3], s[4:5], s[2:3]
	s_lshl_b64 s[4:5], s[6:7], 16
	s_cmp_eq_u64 s[2:3], 0
	s_sub_nc_u64 s[12:13], s[12:13], s[4:5]
	s_cbranch_scc1 .LBB112_37
; %bb.1:
	v_cmp_lt_i64_e64 s2, s[12:13], 1
	s_and_b32 vcc_lo, exec_lo, s2
	s_cbranch_vccnz .LBB112_36
; %bb.2:
	s_load_b32 s4, s[0:1], 0xd3c
	v_min_i64 v[2:3], 0x10000, s[12:13]
	v_min_u64 v[4:5], 0x10000, s[12:13]
	v_dual_mov_b32 v7, 0 :: v_dual_lshlrev_b32 v6, 2, v0
	s_mov_b32 s21, 0
	s_add_nc_u64 s[2:3], s[8:9], s[10:11]
	s_mov_b32 s5, s21
	s_delay_alu instid0(VALU_DEP_1)
	v_mov_b32_e32 v1, v7
	v_add_nc_u64_e32 v[10:11], s[2:3], v[6:7]
	s_mov_b32 s7, s21
	s_mov_b32 s15, s21
	;; [unrolled: 1-line block ×3, first 2 shown]
	s_mov_b64 s[22:23], 0xfe5163ab
	s_mov_b64 s[24:25], 0
	s_mov_b32 s26, 0x7fffff
	s_mov_b32 s27, 0xb94c1982
	;; [unrolled: 1-line block ×3, first 2 shown]
	s_wait_kmcnt 0x0
	s_and_b32 s20, s4, 0xffff
	s_delay_alu instid0(SALU_CYCLE_1)
	v_add_nc_u64_e32 v[8:9], s[20:21], v[0:1]
	s_lshl_b32 s4, s20, 1
	s_mul_i32 s6, s20, 3
	s_lshl_b32 s14, s20, 2
	s_lshl_b32 s16, s20, 4
	s_mul_u64 s[18:19], s[20:21], 12
	s_lshl_b32 s20, s20, 3
	v_lshlrev_b32_e32 v6, 2, v8
	v_add_nc_u64_e32 v[12:13], s[6:7], v[0:1]
	v_add_nc_u64_e32 v[14:15], s[4:5], v[0:1]
	s_delay_alu instid0(VALU_DEP_3)
	v_add_nc_u64_e32 v[16:17], s[2:3], v[6:7]
	s_branch .LBB112_4
.LBB112_3:                              ;   in Loop: Header=BB112_4 Depth=1
	s_wait_xcnt 0x0
	s_or_b32 exec_lo, exec_lo, s2
	s_add_nc_u64 s[24:25], s[24:25], s[14:15]
	v_add_nc_u64_e32 v[10:11], s[16:17], v[10:11]
	v_cmp_ge_i64_e32 vcc_lo, s[24:25], v[2:3]
	v_add_nc_u64_e32 v[16:17], s[16:17], v[16:17]
	s_cbranch_vccnz .LBB112_36
.LBB112_4:                              ; =>This Inner Loop Header: Depth=1
	v_add_nc_u64_e32 v[18:19], s[24:25], v[0:1]
	v_mov_b32_e32 v25, 0
	s_delay_alu instid0(VALU_DEP_2)
	v_cmp_lt_u64_e64 s4, v[18:19], v[4:5]
	s_and_saveexec_b32 s2, s4
	s_cbranch_execz .LBB112_6
; %bb.5:                                ;   in Loop: Header=BB112_4 Depth=1
	global_load_b32 v25, v[10:11], off
.LBB112_6:                              ;   in Loop: Header=BB112_4 Depth=1
	s_wait_xcnt 0x0
	s_or_b32 exec_lo, exec_lo, s2
	v_add_nc_u64_e32 v[18:19], s[24:25], v[8:9]
	v_dual_mov_b32 v23, 0 :: v_dual_mov_b32 v24, 0
	s_delay_alu instid0(VALU_DEP_2)
	v_cmp_lt_u64_e64 s3, v[18:19], v[4:5]
	s_and_saveexec_b32 s2, s3
	s_cbranch_execz .LBB112_8
; %bb.7:                                ;   in Loop: Header=BB112_4 Depth=1
	global_load_b32 v24, v[16:17], off
.LBB112_8:                              ;   in Loop: Header=BB112_4 Depth=1
	s_wait_xcnt 0x0
	s_or_b32 exec_lo, exec_lo, s2
	v_add_nc_u64_e32 v[18:19], s[24:25], v[14:15]
	v_add_nc_u64_e32 v[20:21], s[20:21], v[10:11]
	s_delay_alu instid0(VALU_DEP_2)
	v_cmp_lt_u64_e64 s2, v[18:19], v[4:5]
	s_and_saveexec_b32 s5, s2
	s_cbranch_execz .LBB112_10
; %bb.9:                                ;   in Loop: Header=BB112_4 Depth=1
	global_load_b32 v23, v[20:21], off
.LBB112_10:                             ;   in Loop: Header=BB112_4 Depth=1
	s_wait_xcnt 0x0
	s_or_b32 exec_lo, exec_lo, s5
	v_add_nc_u64_e32 v[18:19], s[24:25], v[12:13]
	v_mov_b32_e32 v22, 0
	s_delay_alu instid0(VALU_DEP_2)
	v_cmp_lt_u64_e32 vcc_lo, v[18:19], v[4:5]
	v_add_nc_u64_e32 v[18:19], s[18:19], v[10:11]
	s_and_saveexec_b32 s5, vcc_lo
	s_cbranch_execz .LBB112_12
; %bb.11:                               ;   in Loop: Header=BB112_4 Depth=1
	global_load_b32 v22, v[18:19], off
.LBB112_12:                             ;   in Loop: Header=BB112_4 Depth=1
	s_wait_xcnt 0x0
	s_or_b32 exec_lo, exec_lo, s5
	s_wait_loadcnt 0x0
	v_and_b32_e32 v26, 0x7fffffff, v25
                                        ; implicit-def: $vgpr29
                                        ; implicit-def: $vgpr27
	s_mov_b32 s6, exec_lo
	v_cmpx_ngt_f32_e64 0x48000000, |v25|
	s_xor_b32 s29, exec_lo, s6
	s_cbranch_execz .LBB112_14
; %bb.13:                               ;   in Loop: Header=BB112_4 Depth=1
	v_and_or_b32 v6, v26, s26, 0x800000
	v_dual_lshrrev_b32 v27, 23, v26 :: v_dual_mov_b32 v39, v7
	v_mov_b32_e32 v41, v7
	s_delay_alu instid0(VALU_DEP_3) | instskip(SKIP_1) | instid1(VALU_DEP_4)
	v_mul_u64_e32 v[28:29], s[22:23], v[6:7]
	v_mov_b32_e32 v31, v7
	v_add_nc_u32_e32 v27, 0xffffff88, v27
	s_delay_alu instid0(VALU_DEP_1) | instskip(NEXT) | instid1(VALU_DEP_4)
	v_cmp_lt_u32_e64 s5, 63, v27
	v_mov_b32_e32 v30, v29
	s_delay_alu instid0(VALU_DEP_2) | instskip(NEXT) | instid1(VALU_DEP_2)
	v_cndmask_b32_e64 v29, 0, 0xffffffc0, s5
	v_mad_nc_u64_u32 v[30:31], 0x3c439041, v6, v[30:31]
	s_delay_alu instid0(VALU_DEP_2) | instskip(NEXT) | instid1(VALU_DEP_1)
	v_dual_mov_b32 v33, v7 :: v_dual_add_nc_u32 v27, v29, v27
	v_cmp_lt_u32_e64 s6, 31, v27
	s_delay_alu instid0(VALU_DEP_3) | instskip(NEXT) | instid1(VALU_DEP_2)
	v_mov_b32_e32 v32, v31
	v_cndmask_b32_e64 v29, 0, 0xffffffe0, s6
	s_delay_alu instid0(VALU_DEP_2) | instskip(NEXT) | instid1(VALU_DEP_1)
	v_mad_nc_u64_u32 v[32:33], 0xdb629599, v6, v[32:33]
	v_dual_mov_b32 v35, v7 :: v_dual_mov_b32 v34, v33
	s_delay_alu instid0(VALU_DEP_2) | instskip(NEXT) | instid1(VALU_DEP_2)
	v_cndmask_b32_e64 v28, v32, v28, s5
	v_mad_nc_u64_u32 v[34:35], 0xf534ddc0, v6, v[34:35]
	s_delay_alu instid0(VALU_DEP_1) | instskip(NEXT) | instid1(VALU_DEP_1)
	v_dual_mov_b32 v37, v7 :: v_dual_mov_b32 v36, v35
	v_mad_nc_u64_u32 v[36:37], 0xfc2757d1, v6, v[36:37]
	s_delay_alu instid0(VALU_DEP_1) | instskip(NEXT) | instid1(VALU_DEP_1)
	v_dual_mov_b32 v38, v37 :: v_dual_cndmask_b32 v35, v36, v32, s5
	v_mad_nc_u64_u32 v[38:39], 0x4e441529, v6, v[38:39]
	s_delay_alu instid0(VALU_DEP_1) | instskip(NEXT) | instid1(VALU_DEP_1)
	v_mov_b32_e32 v40, v39
	v_mad_nc_u64_u32 v[40:41], 0xa2f9836e, v6, v[40:41]
	s_delay_alu instid0(VALU_DEP_3) | instskip(NEXT) | instid1(VALU_DEP_1)
	v_dual_add_nc_u32 v6, v29, v27 :: v_dual_cndmask_b32 v29, v38, v34, s5
	v_cmp_lt_u32_e64 s7, 31, v6
	s_delay_alu instid0(VALU_DEP_1) | instskip(NEXT) | instid1(VALU_DEP_4)
	v_cndmask_b32_e64 v27, 0, 0xffffffe0, s7
	v_dual_cndmask_b32 v31, v40, v36, s5 :: v_dual_cndmask_b32 v33, v41, v38, s5
	s_delay_alu instid0(VALU_DEP_2) | instskip(NEXT) | instid1(VALU_DEP_2)
	v_add_nc_u32_e32 v6, v27, v6
	v_dual_cndmask_b32 v27, v34, v30, s5 :: v_dual_cndmask_b32 v30, v31, v29, s6
	s_delay_alu instid0(VALU_DEP_3) | instskip(NEXT) | instid1(VALU_DEP_3)
	v_cndmask_b32_e64 v31, v33, v31, s6
	v_dual_cndmask_b32 v29, v29, v35, s6 :: v_dual_sub_nc_u32 v33, 32, v6
	s_delay_alu instid0(VALU_DEP_3) | instskip(SKIP_1) | instid1(VALU_DEP_3)
	v_cndmask_b32_e64 v34, v35, v27, s6
	v_cmp_eq_u32_e64 s5, 0, v6
	v_dual_cndmask_b32 v31, v31, v30, s7 :: v_dual_cndmask_b32 v30, v30, v29, s7
	s_delay_alu instid0(VALU_DEP_1) | instskip(NEXT) | instid1(VALU_DEP_1)
	v_alignbit_b32 v35, v31, v30, v33
	v_dual_cndmask_b32 v29, v29, v34, s7 :: v_dual_cndmask_b32 v6, v35, v31, s5
	s_delay_alu instid0(VALU_DEP_1) | instskip(NEXT) | instid1(VALU_DEP_1)
	v_alignbit_b32 v32, v30, v29, v33
	v_dual_cndmask_b32 v27, v27, v28, s6 :: v_dual_cndmask_b32 v28, v32, v30, s5
	s_delay_alu instid0(VALU_DEP_3) | instskip(NEXT) | instid1(VALU_DEP_2)
	v_bfe_u32 v30, v6, 29, 1
	v_cndmask_b32_e64 v27, v34, v27, s7
	s_delay_alu instid0(VALU_DEP_3) | instskip(NEXT) | instid1(VALU_DEP_3)
	v_alignbit_b32 v31, v6, v28, 30
	v_sub_nc_u32_e32 v32, 0, v30
	s_delay_alu instid0(VALU_DEP_3) | instskip(NEXT) | instid1(VALU_DEP_1)
	v_alignbit_b32 v33, v29, v27, v33
	v_dual_cndmask_b32 v29, v33, v29, s5 :: v_dual_bitop2_b32 v31, v31, v32 bitop3:0x14
	s_delay_alu instid0(VALU_DEP_1) | instskip(NEXT) | instid1(VALU_DEP_2)
	v_clz_i32_u32_e32 v33, v31
	v_alignbit_b32 v28, v28, v29, 30
	v_alignbit_b32 v27, v29, v27, 30
	s_delay_alu instid0(VALU_DEP_3) | instskip(NEXT) | instid1(VALU_DEP_3)
	v_min_u32_e32 v33, 32, v33
	v_xor_b32_e32 v28, v28, v32
	s_delay_alu instid0(VALU_DEP_3) | instskip(NEXT) | instid1(VALU_DEP_3)
	v_dual_lshrrev_b32 v32, 29, v6 :: v_dual_bitop2_b32 v27, v27, v32 bitop3:0x14
	v_dual_lshrrev_b32 v6, 30, v6 :: v_dual_sub_nc_u32 v29, 31, v33
	v_lshlrev_b32_e32 v34, 23, v33
	s_delay_alu instid0(VALU_DEP_2) | instskip(NEXT) | instid1(VALU_DEP_4)
	v_alignbit_b32 v31, v31, v28, v29
	v_alignbit_b32 v27, v28, v27, v29
	v_lshlrev_b32_e32 v28, 31, v32
	s_delay_alu instid0(VALU_DEP_2) | instskip(NEXT) | instid1(VALU_DEP_2)
	v_alignbit_b32 v29, v31, v27, 9
	v_dual_lshrrev_b32 v31, 9, v31 :: v_dual_bitop2_b32 v32, 0.5, v28 bitop3:0x54
	v_or_b32_e32 v28, 0x33000000, v28
	s_delay_alu instid0(VALU_DEP_3) | instskip(NEXT) | instid1(VALU_DEP_3)
	v_clz_i32_u32_e32 v35, v29
	v_sub_nc_u32_e32 v32, v32, v34
	s_delay_alu instid0(VALU_DEP_2) | instskip(NEXT) | instid1(VALU_DEP_1)
	v_min_u32_e32 v34, 32, v35
	v_add_lshl_u32 v33, v34, v33, 23
	s_delay_alu instid0(VALU_DEP_3) | instskip(SKIP_1) | instid1(VALU_DEP_2)
	v_or_b32_e32 v31, v31, v32
	v_not_b32_e32 v32, v34
	v_dual_mul_f32 v35, 0x3fc90fda, v31 :: v_dual_sub_nc_u32 v28, v28, v33
	s_delay_alu instid0(VALU_DEP_2) | instskip(NEXT) | instid1(VALU_DEP_2)
	v_alignbit_b32 v27, v29, v27, v32
	v_fma_f32 v29, 0x3fc90fda, v31, -v35
	s_delay_alu instid0(VALU_DEP_2) | instskip(NEXT) | instid1(VALU_DEP_2)
	v_lshrrev_b32_e32 v27, 9, v27
	v_fmac_f32_e32 v29, 0x33a22168, v31
	s_delay_alu instid0(VALU_DEP_2) | instskip(NEXT) | instid1(VALU_DEP_1)
	v_or_b32_e32 v27, v28, v27
	v_fmac_f32_e32 v29, 0x3fc90fda, v27
	s_delay_alu instid0(VALU_DEP_1)
	v_dual_add_f32 v27, v35, v29 :: v_dual_add_nc_u32 v29, v30, v6
.LBB112_14:                             ;   in Loop: Header=BB112_4 Depth=1
	s_and_not1_saveexec_b32 s5, s29
; %bb.15:                               ;   in Loop: Header=BB112_4 Depth=1
	v_mul_f32_e64 v6, 0x3f22f983, |v25|
	s_delay_alu instid0(VALU_DEP_1) | instskip(NEXT) | instid1(VALU_DEP_1)
	v_rndne_f32_e32 v6, v6
	v_fma_f32 v27, 0xbfc90fda, v6, |v25|
	v_cvt_i32_f32_e32 v29, v6
	s_delay_alu instid0(VALU_DEP_2) | instskip(NEXT) | instid1(VALU_DEP_1)
	v_fmac_f32_e32 v27, 0xb3a22168, v6
	v_fmac_f32_e32 v27, 0xa7c234c4, v6
; %bb.16:                               ;   in Loop: Header=BB112_4 Depth=1
	s_or_b32 exec_lo, exec_lo, s5
	v_and_b32_e32 v28, 0x7fffffff, v24
                                        ; implicit-def: $vgpr32
                                        ; implicit-def: $vgpr30
	s_mov_b32 s6, exec_lo
	v_cmpx_ngt_f32_e64 0x48000000, |v24|
	s_xor_b32 s29, exec_lo, s6
	s_cbranch_execz .LBB112_18
; %bb.17:                               ;   in Loop: Header=BB112_4 Depth=1
	v_and_or_b32 v6, v28, s26, 0x800000
	v_dual_mov_b32 v41, v7 :: v_dual_mov_b32 v43, v7
	s_delay_alu instid0(VALU_DEP_2) | instskip(NEXT) | instid1(VALU_DEP_1)
	v_mul_u64_e32 v[30:31], s[22:23], v[6:7]
	v_dual_mov_b32 v33, v7 :: v_dual_mov_b32 v32, v31
	v_lshrrev_b32_e32 v31, 23, v28
	s_delay_alu instid0(VALU_DEP_2) | instskip(SKIP_1) | instid1(VALU_DEP_3)
	v_mad_nc_u64_u32 v[32:33], 0x3c439041, v6, v[32:33]
	v_mov_b32_e32 v35, v7
	v_add_nc_u32_e32 v31, 0xffffff88, v31
	s_delay_alu instid0(VALU_DEP_1) | instskip(NEXT) | instid1(VALU_DEP_4)
	v_cmp_lt_u32_e64 s5, 63, v31
	v_mov_b32_e32 v34, v33
	s_delay_alu instid0(VALU_DEP_2) | instskip(NEXT) | instid1(VALU_DEP_2)
	v_cndmask_b32_e64 v33, 0, 0xffffffc0, s5
	v_mad_nc_u64_u32 v[34:35], 0xdb629599, v6, v[34:35]
	s_delay_alu instid0(VALU_DEP_2) | instskip(NEXT) | instid1(VALU_DEP_1)
	v_dual_mov_b32 v37, v7 :: v_dual_add_nc_u32 v31, v33, v31
	v_cmp_lt_u32_e64 s6, 31, v31
	s_delay_alu instid0(VALU_DEP_3) | instskip(NEXT) | instid1(VALU_DEP_2)
	v_mov_b32_e32 v36, v35
	v_cndmask_b32_e64 v33, 0, 0xffffffe0, s6
	v_cndmask_b32_e64 v30, v34, v30, s5
	s_delay_alu instid0(VALU_DEP_3) | instskip(NEXT) | instid1(VALU_DEP_1)
	v_mad_nc_u64_u32 v[36:37], 0xf534ddc0, v6, v[36:37]
	v_dual_mov_b32 v39, v7 :: v_dual_mov_b32 v38, v37
	s_delay_alu instid0(VALU_DEP_1) | instskip(NEXT) | instid1(VALU_DEP_1)
	v_mad_nc_u64_u32 v[38:39], 0xfc2757d1, v6, v[38:39]
	v_mov_b32_e32 v40, v39
	s_delay_alu instid0(VALU_DEP_1) | instskip(NEXT) | instid1(VALU_DEP_1)
	v_mad_nc_u64_u32 v[40:41], 0x4e441529, v6, v[40:41]
	v_mov_b32_e32 v42, v41
	s_delay_alu instid0(VALU_DEP_1) | instskip(NEXT) | instid1(VALU_DEP_3)
	v_mad_nc_u64_u32 v[42:43], 0xa2f9836e, v6, v[42:43]
	v_dual_add_nc_u32 v6, v33, v31 :: v_dual_cndmask_b32 v33, v40, v36, s5
	s_delay_alu instid0(VALU_DEP_2) | instskip(NEXT) | instid1(VALU_DEP_2)
	v_cndmask_b32_e64 v35, v42, v38, s5
	v_cmp_lt_u32_e64 s7, 31, v6
	s_delay_alu instid0(VALU_DEP_4) | instskip(NEXT) | instid1(VALU_DEP_2)
	v_dual_cndmask_b32 v37, v43, v40, s5 :: v_dual_cndmask_b32 v38, v38, v34, s5
	v_cndmask_b32_e64 v31, 0, 0xffffffe0, s7
	s_delay_alu instid0(VALU_DEP_1) | instskip(NEXT) | instid1(VALU_DEP_3)
	v_dual_add_nc_u32 v6, v31, v6 :: v_dual_cndmask_b32 v31, v36, v32, s5
	v_dual_cndmask_b32 v32, v35, v33, s6 :: v_dual_cndmask_b32 v35, v37, v35, s6
	s_delay_alu instid0(VALU_DEP_4) | instskip(NEXT) | instid1(VALU_DEP_3)
	v_cndmask_b32_e64 v33, v33, v38, s6
	v_dual_sub_nc_u32 v36, 32, v6 :: v_dual_cndmask_b32 v37, v38, v31, s6
	v_cmp_eq_u32_e64 s5, 0, v6
	s_delay_alu instid0(VALU_DEP_3) | instskip(NEXT) | instid1(VALU_DEP_1)
	v_dual_cndmask_b32 v35, v35, v32, s7 :: v_dual_cndmask_b32 v32, v32, v33, s7
	v_alignbit_b32 v38, v35, v32, v36
	s_delay_alu instid0(VALU_DEP_1) | instskip(NEXT) | instid1(VALU_DEP_1)
	v_dual_cndmask_b32 v33, v33, v37, s7 :: v_dual_cndmask_b32 v6, v38, v35, s5
	v_alignbit_b32 v34, v32, v33, v36
	s_delay_alu instid0(VALU_DEP_1) | instskip(NEXT) | instid1(VALU_DEP_3)
	v_dual_cndmask_b32 v30, v31, v30, s6 :: v_dual_cndmask_b32 v31, v34, v32, s5
	v_bfe_u32 v32, v6, 29, 1
	s_delay_alu instid0(VALU_DEP_2) | instskip(NEXT) | instid1(VALU_DEP_3)
	v_cndmask_b32_e64 v30, v37, v30, s7
	v_alignbit_b32 v34, v6, v31, 30
	s_delay_alu instid0(VALU_DEP_3) | instskip(NEXT) | instid1(VALU_DEP_3)
	v_sub_nc_u32_e32 v35, 0, v32
	v_alignbit_b32 v36, v33, v30, v36
	s_delay_alu instid0(VALU_DEP_1) | instskip(NEXT) | instid1(VALU_DEP_1)
	v_dual_cndmask_b32 v33, v36, v33, s5 :: v_dual_bitop2_b32 v34, v34, v35 bitop3:0x14
	v_clz_i32_u32_e32 v36, v34
	s_delay_alu instid0(VALU_DEP_2) | instskip(SKIP_1) | instid1(VALU_DEP_3)
	v_alignbit_b32 v31, v31, v33, 30
	v_alignbit_b32 v30, v33, v30, 30
	v_min_u32_e32 v36, 32, v36
	s_delay_alu instid0(VALU_DEP_3) | instskip(NEXT) | instid1(VALU_DEP_3)
	v_xor_b32_e32 v31, v31, v35
	v_dual_lshrrev_b32 v35, 29, v6 :: v_dual_bitop2_b32 v30, v30, v35 bitop3:0x14
	s_delay_alu instid0(VALU_DEP_3) | instskip(NEXT) | instid1(VALU_DEP_1)
	v_dual_sub_nc_u32 v33, 31, v36 :: v_dual_lshlrev_b32 v37, 23, v36
	v_alignbit_b32 v34, v34, v31, v33
	s_delay_alu instid0(VALU_DEP_3) | instskip(NEXT) | instid1(VALU_DEP_4)
	v_alignbit_b32 v30, v31, v30, v33
	v_lshlrev_b32_e32 v31, 31, v35
	s_delay_alu instid0(VALU_DEP_2) | instskip(NEXT) | instid1(VALU_DEP_2)
	v_alignbit_b32 v33, v34, v30, 9
	v_dual_lshrrev_b32 v34, 9, v34 :: v_dual_bitop2_b32 v35, 0.5, v31 bitop3:0x54
	v_or_b32_e32 v31, 0x33000000, v31
	s_delay_alu instid0(VALU_DEP_3) | instskip(NEXT) | instid1(VALU_DEP_3)
	v_clz_i32_u32_e32 v38, v33
	v_sub_nc_u32_e32 v35, v35, v37
	s_delay_alu instid0(VALU_DEP_2) | instskip(NEXT) | instid1(VALU_DEP_1)
	v_min_u32_e32 v37, 32, v38
	v_add_lshl_u32 v36, v37, v36, 23
	s_delay_alu instid0(VALU_DEP_3) | instskip(SKIP_1) | instid1(VALU_DEP_2)
	v_or_b32_e32 v34, v34, v35
	v_not_b32_e32 v35, v37
	v_dual_mul_f32 v38, 0x3fc90fda, v34 :: v_dual_sub_nc_u32 v31, v31, v36
	s_delay_alu instid0(VALU_DEP_2) | instskip(NEXT) | instid1(VALU_DEP_2)
	v_alignbit_b32 v30, v33, v30, v35
	v_fma_f32 v33, 0x3fc90fda, v34, -v38
	s_delay_alu instid0(VALU_DEP_2) | instskip(NEXT) | instid1(VALU_DEP_2)
	v_lshrrev_b32_e32 v30, 9, v30
	v_fmac_f32_e32 v33, 0x33a22168, v34
	s_delay_alu instid0(VALU_DEP_2) | instskip(NEXT) | instid1(VALU_DEP_1)
	v_or_b32_e32 v30, v31, v30
	v_fmac_f32_e32 v33, 0x3fc90fda, v30
	s_delay_alu instid0(VALU_DEP_1) | instskip(NEXT) | instid1(VALU_DEP_1)
	v_dual_lshrrev_b32 v6, 30, v6 :: v_dual_add_f32 v30, v38, v33
	v_add_nc_u32_e32 v32, v32, v6
.LBB112_18:                             ;   in Loop: Header=BB112_4 Depth=1
	s_and_not1_saveexec_b32 s5, s29
; %bb.19:                               ;   in Loop: Header=BB112_4 Depth=1
	v_mul_f32_e64 v6, 0x3f22f983, |v24|
	s_delay_alu instid0(VALU_DEP_1) | instskip(NEXT) | instid1(VALU_DEP_1)
	v_rndne_f32_e32 v6, v6
	v_fma_f32 v30, 0xbfc90fda, v6, |v24|
	v_cvt_i32_f32_e32 v32, v6
	s_delay_alu instid0(VALU_DEP_2) | instskip(NEXT) | instid1(VALU_DEP_1)
	v_fmac_f32_e32 v30, 0xb3a22168, v6
	v_fmac_f32_e32 v30, 0xa7c234c4, v6
; %bb.20:                               ;   in Loop: Header=BB112_4 Depth=1
	s_or_b32 exec_lo, exec_lo, s5
	v_and_b32_e32 v31, 0x7fffffff, v23
                                        ; implicit-def: $vgpr35
                                        ; implicit-def: $vgpr33
	s_mov_b32 s6, exec_lo
	v_cmpx_ngt_f32_e64 0x48000000, |v23|
	s_xor_b32 s29, exec_lo, s6
	s_cbranch_execz .LBB112_22
; %bb.21:                               ;   in Loop: Header=BB112_4 Depth=1
	v_and_or_b32 v6, v31, s26, 0x800000
	v_dual_lshrrev_b32 v33, 23, v31 :: v_dual_mov_b32 v45, v7
	s_delay_alu instid0(VALU_DEP_2) | instskip(SKIP_1) | instid1(VALU_DEP_3)
	v_mul_u64_e32 v[34:35], s[22:23], v[6:7]
	v_mov_b32_e32 v37, v7
	v_add_nc_u32_e32 v33, 0xffffff88, v33
	s_delay_alu instid0(VALU_DEP_1) | instskip(NEXT) | instid1(VALU_DEP_4)
	v_cmp_lt_u32_e64 s5, 63, v33
	v_mov_b32_e32 v36, v35
	s_delay_alu instid0(VALU_DEP_2) | instskip(NEXT) | instid1(VALU_DEP_2)
	v_cndmask_b32_e64 v35, 0, 0xffffffc0, s5
	v_mad_nc_u64_u32 v[36:37], 0x3c439041, v6, v[36:37]
	s_delay_alu instid0(VALU_DEP_1) | instskip(NEXT) | instid1(VALU_DEP_1)
	v_dual_mov_b32 v39, v7 :: v_dual_mov_b32 v38, v37
	v_mad_nc_u64_u32 v[38:39], 0xdb629599, v6, v[38:39]
	s_delay_alu instid0(VALU_DEP_1) | instskip(NEXT) | instid1(VALU_DEP_2)
	v_dual_mov_b32 v41, v7 :: v_dual_mov_b32 v40, v39
	v_cndmask_b32_e64 v34, v38, v34, s5
	s_delay_alu instid0(VALU_DEP_2) | instskip(NEXT) | instid1(VALU_DEP_1)
	v_mad_nc_u64_u32 v[40:41], 0xf534ddc0, v6, v[40:41]
	v_dual_mov_b32 v43, v7 :: v_dual_mov_b32 v42, v41
	s_delay_alu instid0(VALU_DEP_1) | instskip(NEXT) | instid1(VALU_DEP_1)
	v_mad_nc_u64_u32 v[42:43], 0xfc2757d1, v6, v[42:43]
	v_dual_mov_b32 v44, v43 :: v_dual_cndmask_b32 v41, v42, v38, s5
	s_delay_alu instid0(VALU_DEP_1) | instskip(SKIP_1) | instid1(VALU_DEP_2)
	v_mad_nc_u64_u32 v[44:45], 0x4e441529, v6, v[44:45]
	v_add_nc_u32_e32 v33, v35, v33
	v_dual_mov_b32 v47, v7 :: v_dual_mov_b32 v46, v45
	s_delay_alu instid0(VALU_DEP_2) | instskip(NEXT) | instid1(VALU_DEP_2)
	v_cmp_lt_u32_e64 s6, 31, v33
	v_mad_nc_u64_u32 v[46:47], 0xa2f9836e, v6, v[46:47]
	s_delay_alu instid0(VALU_DEP_2) | instskip(NEXT) | instid1(VALU_DEP_1)
	v_cndmask_b32_e64 v35, 0, 0xffffffe0, s6
	v_dual_add_nc_u32 v6, v35, v33 :: v_dual_cndmask_b32 v35, v44, v40, s5
	s_delay_alu instid0(VALU_DEP_3) | instskip(NEXT) | instid1(VALU_DEP_2)
	v_cndmask_b32_e64 v37, v46, v42, s5
	v_cmp_lt_u32_e64 s7, 31, v6
	v_cndmask_b32_e64 v39, v47, v44, s5
	s_delay_alu instid0(VALU_DEP_2) | instskip(NEXT) | instid1(VALU_DEP_1)
	v_cndmask_b32_e64 v33, 0, 0xffffffe0, s7
	v_dual_add_nc_u32 v6, v33, v6 :: v_dual_cndmask_b32 v33, v40, v36, s5
	s_delay_alu instid0(VALU_DEP_3) | instskip(NEXT) | instid1(VALU_DEP_2)
	v_dual_cndmask_b32 v36, v37, v35, s6 :: v_dual_cndmask_b32 v37, v39, v37, s6
	v_dual_cndmask_b32 v35, v35, v41, s6 :: v_dual_sub_nc_u32 v39, 32, v6
	s_delay_alu instid0(VALU_DEP_3) | instskip(SKIP_1) | instid1(VALU_DEP_3)
	v_cndmask_b32_e64 v40, v41, v33, s6
	v_cmp_eq_u32_e64 s5, 0, v6
	v_dual_cndmask_b32 v37, v37, v36, s7 :: v_dual_cndmask_b32 v36, v36, v35, s7
	s_delay_alu instid0(VALU_DEP_1) | instskip(NEXT) | instid1(VALU_DEP_1)
	v_alignbit_b32 v41, v37, v36, v39
	v_dual_cndmask_b32 v35, v35, v40, s7 :: v_dual_cndmask_b32 v6, v41, v37, s5
	s_delay_alu instid0(VALU_DEP_1) | instskip(NEXT) | instid1(VALU_DEP_1)
	v_alignbit_b32 v38, v36, v35, v39
	v_dual_cndmask_b32 v33, v33, v34, s6 :: v_dual_cndmask_b32 v34, v38, v36, s5
	s_delay_alu instid0(VALU_DEP_3) | instskip(NEXT) | instid1(VALU_DEP_2)
	v_bfe_u32 v36, v6, 29, 1
	v_cndmask_b32_e64 v33, v40, v33, s7
	s_delay_alu instid0(VALU_DEP_3) | instskip(NEXT) | instid1(VALU_DEP_3)
	v_alignbit_b32 v37, v6, v34, 30
	v_sub_nc_u32_e32 v38, 0, v36
	s_delay_alu instid0(VALU_DEP_3) | instskip(NEXT) | instid1(VALU_DEP_1)
	v_alignbit_b32 v39, v35, v33, v39
	v_dual_cndmask_b32 v35, v39, v35, s5 :: v_dual_bitop2_b32 v37, v37, v38 bitop3:0x14
	s_delay_alu instid0(VALU_DEP_1) | instskip(NEXT) | instid1(VALU_DEP_2)
	v_clz_i32_u32_e32 v39, v37
	v_alignbit_b32 v34, v34, v35, 30
	v_alignbit_b32 v33, v35, v33, 30
	s_delay_alu instid0(VALU_DEP_3) | instskip(NEXT) | instid1(VALU_DEP_3)
	v_min_u32_e32 v39, 32, v39
	v_xor_b32_e32 v34, v34, v38
	s_delay_alu instid0(VALU_DEP_3) | instskip(SKIP_1) | instid1(VALU_DEP_4)
	v_xor_b32_e32 v33, v33, v38
	v_dual_lshrrev_b32 v38, 29, v6 :: v_dual_lshrrev_b32 v6, 30, v6
	v_dual_sub_nc_u32 v35, 31, v39 :: v_dual_lshlrev_b32 v40, 23, v39
	s_delay_alu instid0(VALU_DEP_1) | instskip(NEXT) | instid1(VALU_DEP_4)
	v_alignbit_b32 v37, v37, v34, v35
	v_alignbit_b32 v33, v34, v33, v35
	s_delay_alu instid0(VALU_DEP_4) | instskip(NEXT) | instid1(VALU_DEP_2)
	v_lshlrev_b32_e32 v34, 31, v38
	v_alignbit_b32 v35, v37, v33, 9
	s_delay_alu instid0(VALU_DEP_2) | instskip(SKIP_1) | instid1(VALU_DEP_3)
	v_dual_lshrrev_b32 v37, 9, v37 :: v_dual_bitop2_b32 v38, 0.5, v34 bitop3:0x54
	v_or_b32_e32 v34, 0x33000000, v34
	v_clz_i32_u32_e32 v41, v35
	s_delay_alu instid0(VALU_DEP_3) | instskip(NEXT) | instid1(VALU_DEP_2)
	v_sub_nc_u32_e32 v38, v38, v40
	v_min_u32_e32 v40, 32, v41
	s_delay_alu instid0(VALU_DEP_1) | instskip(NEXT) | instid1(VALU_DEP_3)
	v_add_lshl_u32 v39, v40, v39, 23
	v_or_b32_e32 v37, v37, v38
	v_not_b32_e32 v38, v40
	s_delay_alu instid0(VALU_DEP_2) | instskip(NEXT) | instid1(VALU_DEP_2)
	v_dual_mul_f32 v41, 0x3fc90fda, v37 :: v_dual_sub_nc_u32 v34, v34, v39
	v_alignbit_b32 v33, v35, v33, v38
	s_delay_alu instid0(VALU_DEP_2) | instskip(NEXT) | instid1(VALU_DEP_2)
	v_fma_f32 v35, 0x3fc90fda, v37, -v41
	v_lshrrev_b32_e32 v33, 9, v33
	s_delay_alu instid0(VALU_DEP_2) | instskip(NEXT) | instid1(VALU_DEP_2)
	v_fmac_f32_e32 v35, 0x33a22168, v37
	v_or_b32_e32 v33, v34, v33
	s_delay_alu instid0(VALU_DEP_1) | instskip(NEXT) | instid1(VALU_DEP_1)
	v_fmac_f32_e32 v35, 0x3fc90fda, v33
	v_dual_add_f32 v33, v41, v35 :: v_dual_add_nc_u32 v35, v36, v6
.LBB112_22:                             ;   in Loop: Header=BB112_4 Depth=1
	s_and_not1_saveexec_b32 s5, s29
; %bb.23:                               ;   in Loop: Header=BB112_4 Depth=1
	v_mul_f32_e64 v6, 0x3f22f983, |v23|
	s_delay_alu instid0(VALU_DEP_1) | instskip(NEXT) | instid1(VALU_DEP_1)
	v_rndne_f32_e32 v6, v6
	v_fma_f32 v33, 0xbfc90fda, v6, |v23|
	v_cvt_i32_f32_e32 v35, v6
	s_delay_alu instid0(VALU_DEP_2) | instskip(NEXT) | instid1(VALU_DEP_1)
	v_fmac_f32_e32 v33, 0xb3a22168, v6
	v_fmac_f32_e32 v33, 0xa7c234c4, v6
; %bb.24:                               ;   in Loop: Header=BB112_4 Depth=1
	s_or_b32 exec_lo, exec_lo, s5
	v_and_b32_e32 v34, 0x7fffffff, v22
                                        ; implicit-def: $vgpr36
                                        ; implicit-def: $vgpr6
	s_mov_b32 s6, exec_lo
	v_cmpx_ngt_f32_e64 0x48000000, |v22|
	s_xor_b32 s29, exec_lo, s6
	s_cbranch_execnz .LBB112_30
; %bb.25:                               ;   in Loop: Header=BB112_4 Depth=1
	s_and_not1_saveexec_b32 s5, s29
	s_cbranch_execnz .LBB112_31
.LBB112_26:                             ;   in Loop: Header=BB112_4 Depth=1
	s_or_b32 exec_lo, exec_lo, s5
	s_and_saveexec_b32 s5, s4
	s_delay_alu instid0(SALU_CYCLE_1)
	s_xor_b32 s5, exec_lo, s5
	s_cbranch_execnz .LBB112_32
.LBB112_27:                             ;   in Loop: Header=BB112_4 Depth=1
	s_or_b32 exec_lo, exec_lo, s5
	s_and_saveexec_b32 s4, s3
	s_cbranch_execnz .LBB112_33
.LBB112_28:                             ;   in Loop: Header=BB112_4 Depth=1
	s_or_b32 exec_lo, exec_lo, s4
	s_and_saveexec_b32 s3, s2
	s_cbranch_execnz .LBB112_34
.LBB112_29:                             ;   in Loop: Header=BB112_4 Depth=1
	s_or_b32 exec_lo, exec_lo, s3
	s_and_saveexec_b32 s2, vcc_lo
	s_cbranch_execz .LBB112_3
	s_branch .LBB112_35
.LBB112_30:                             ;   in Loop: Header=BB112_4 Depth=1
	v_and_or_b32 v6, v34, s26, 0x800000
	v_mov_b32_e32 v47, v7
	s_delay_alu instid0(VALU_DEP_2) | instskip(NEXT) | instid1(VALU_DEP_1)
	v_mul_u64_e32 v[36:37], s[22:23], v[6:7]
	v_dual_mov_b32 v39, v7 :: v_dual_mov_b32 v38, v37
	v_lshrrev_b32_e32 v37, 23, v34
	s_delay_alu instid0(VALU_DEP_2) | instskip(SKIP_1) | instid1(VALU_DEP_3)
	v_mad_nc_u64_u32 v[38:39], 0x3c439041, v6, v[38:39]
	v_mov_b32_e32 v41, v7
	v_add_nc_u32_e32 v37, 0xffffff88, v37
	s_delay_alu instid0(VALU_DEP_1) | instskip(NEXT) | instid1(VALU_DEP_4)
	v_cmp_lt_u32_e64 s5, 63, v37
	v_mov_b32_e32 v40, v39
	s_delay_alu instid0(VALU_DEP_2) | instskip(NEXT) | instid1(VALU_DEP_2)
	v_cndmask_b32_e64 v39, 0, 0xffffffc0, s5
	v_mad_nc_u64_u32 v[40:41], 0xdb629599, v6, v[40:41]
	s_delay_alu instid0(VALU_DEP_1) | instskip(NEXT) | instid1(VALU_DEP_2)
	v_dual_mov_b32 v43, v7 :: v_dual_mov_b32 v42, v41
	v_cndmask_b32_e64 v36, v40, v36, s5
	s_delay_alu instid0(VALU_DEP_2) | instskip(NEXT) | instid1(VALU_DEP_1)
	v_mad_nc_u64_u32 v[42:43], 0xf534ddc0, v6, v[42:43]
	v_dual_mov_b32 v45, v7 :: v_dual_mov_b32 v44, v43
	s_delay_alu instid0(VALU_DEP_1) | instskip(NEXT) | instid1(VALU_DEP_1)
	v_mad_nc_u64_u32 v[44:45], 0xfc2757d1, v6, v[44:45]
	v_mov_b32_e32 v46, v45
	s_delay_alu instid0(VALU_DEP_1) | instskip(SKIP_2) | instid1(VALU_DEP_2)
	v_mad_nc_u64_u32 v[46:47], 0x4e441529, v6, v[46:47]
	v_add_nc_u32_e32 v37, v39, v37
	v_mov_b32_e32 v49, v7
	v_cmp_lt_u32_e64 s6, 31, v37
	s_delay_alu instid0(VALU_DEP_4) | instskip(NEXT) | instid1(VALU_DEP_2)
	v_mov_b32_e32 v48, v47
	v_cndmask_b32_e64 v39, 0, 0xffffffe0, s6
	s_delay_alu instid0(VALU_DEP_2) | instskip(NEXT) | instid1(VALU_DEP_2)
	v_mad_nc_u64_u32 v[48:49], 0xa2f9836e, v6, v[48:49]
	v_dual_add_nc_u32 v6, v39, v37 :: v_dual_cndmask_b32 v39, v46, v42, s5
	s_delay_alu instid0(VALU_DEP_2) | instskip(NEXT) | instid1(VALU_DEP_2)
	v_cndmask_b32_e64 v41, v48, v44, s5
	v_cmp_lt_u32_e64 s7, 31, v6
	s_delay_alu instid0(VALU_DEP_4) | instskip(NEXT) | instid1(VALU_DEP_2)
	v_dual_cndmask_b32 v43, v49, v46, s5 :: v_dual_cndmask_b32 v44, v44, v40, s5
	v_cndmask_b32_e64 v37, 0, 0xffffffe0, s7
	s_delay_alu instid0(VALU_DEP_1) | instskip(SKIP_1) | instid1(VALU_DEP_4)
	v_add_nc_u32_e32 v6, v37, v6
	v_dual_cndmask_b32 v37, v42, v38, s5 :: v_dual_cndmask_b32 v38, v41, v39, s6
	v_cndmask_b32_e64 v41, v43, v41, s6
	s_delay_alu instid0(VALU_DEP_3) | instskip(NEXT) | instid1(VALU_DEP_3)
	v_dual_cndmask_b32 v39, v39, v44, s6 :: v_dual_sub_nc_u32 v42, 32, v6
	v_cndmask_b32_e64 v43, v44, v37, s6
	v_cmp_eq_u32_e64 s5, 0, v6
	s_delay_alu instid0(VALU_DEP_3) | instskip(NEXT) | instid1(VALU_DEP_1)
	v_dual_cndmask_b32 v41, v41, v38, s7 :: v_dual_cndmask_b32 v38, v38, v39, s7
	v_alignbit_b32 v44, v41, v38, v42
	s_delay_alu instid0(VALU_DEP_1) | instskip(NEXT) | instid1(VALU_DEP_1)
	v_dual_cndmask_b32 v39, v39, v43, s7 :: v_dual_cndmask_b32 v6, v44, v41, s5
	v_alignbit_b32 v40, v38, v39, v42
	s_delay_alu instid0(VALU_DEP_1) | instskip(NEXT) | instid1(VALU_DEP_3)
	v_dual_cndmask_b32 v36, v37, v36, s6 :: v_dual_cndmask_b32 v37, v40, v38, s5
	v_bfe_u32 v38, v6, 29, 1
	s_delay_alu instid0(VALU_DEP_2) | instskip(NEXT) | instid1(VALU_DEP_3)
	v_cndmask_b32_e64 v36, v43, v36, s7
	v_alignbit_b32 v40, v6, v37, 30
	s_delay_alu instid0(VALU_DEP_3) | instskip(NEXT) | instid1(VALU_DEP_3)
	v_sub_nc_u32_e32 v41, 0, v38
	v_alignbit_b32 v42, v39, v36, v42
	s_delay_alu instid0(VALU_DEP_1) | instskip(NEXT) | instid1(VALU_DEP_1)
	v_dual_cndmask_b32 v39, v42, v39, s5 :: v_dual_bitop2_b32 v40, v40, v41 bitop3:0x14
	v_clz_i32_u32_e32 v42, v40
	s_delay_alu instid0(VALU_DEP_2) | instskip(SKIP_1) | instid1(VALU_DEP_3)
	v_alignbit_b32 v37, v37, v39, 30
	v_alignbit_b32 v36, v39, v36, 30
	v_min_u32_e32 v42, 32, v42
	s_delay_alu instid0(VALU_DEP_3) | instskip(NEXT) | instid1(VALU_DEP_3)
	v_xor_b32_e32 v37, v37, v41
	v_dual_lshrrev_b32 v41, 29, v6 :: v_dual_bitop2_b32 v36, v36, v41 bitop3:0x14
	s_delay_alu instid0(VALU_DEP_3) | instskip(NEXT) | instid1(VALU_DEP_1)
	v_dual_sub_nc_u32 v39, 31, v42 :: v_dual_lshlrev_b32 v43, 23, v42
	v_alignbit_b32 v40, v40, v37, v39
	s_delay_alu instid0(VALU_DEP_3) | instskip(NEXT) | instid1(VALU_DEP_4)
	v_alignbit_b32 v36, v37, v36, v39
	v_lshlrev_b32_e32 v37, 31, v41
	s_delay_alu instid0(VALU_DEP_2) | instskip(NEXT) | instid1(VALU_DEP_2)
	v_alignbit_b32 v39, v40, v36, 9
	v_dual_lshrrev_b32 v40, 9, v40 :: v_dual_bitop2_b32 v41, 0.5, v37 bitop3:0x54
	v_or_b32_e32 v37, 0x33000000, v37
	s_delay_alu instid0(VALU_DEP_3) | instskip(NEXT) | instid1(VALU_DEP_3)
	v_clz_i32_u32_e32 v44, v39
	v_sub_nc_u32_e32 v41, v41, v43
	s_delay_alu instid0(VALU_DEP_2) | instskip(NEXT) | instid1(VALU_DEP_1)
	v_min_u32_e32 v43, 32, v44
	v_add_lshl_u32 v42, v43, v42, 23
	s_delay_alu instid0(VALU_DEP_3) | instskip(SKIP_1) | instid1(VALU_DEP_2)
	v_or_b32_e32 v40, v40, v41
	v_not_b32_e32 v41, v43
	v_dual_mul_f32 v44, 0x3fc90fda, v40 :: v_dual_sub_nc_u32 v37, v37, v42
	s_delay_alu instid0(VALU_DEP_2) | instskip(NEXT) | instid1(VALU_DEP_2)
	v_alignbit_b32 v36, v39, v36, v41
	v_fma_f32 v39, 0x3fc90fda, v40, -v44
	s_delay_alu instid0(VALU_DEP_2) | instskip(NEXT) | instid1(VALU_DEP_2)
	v_lshrrev_b32_e32 v36, 9, v36
	v_fmac_f32_e32 v39, 0x33a22168, v40
	s_delay_alu instid0(VALU_DEP_2) | instskip(NEXT) | instid1(VALU_DEP_1)
	v_or_b32_e32 v36, v37, v36
	v_dual_fmac_f32 v39, 0x3fc90fda, v36 :: v_dual_lshrrev_b32 v36, 30, v6
	s_delay_alu instid0(VALU_DEP_1)
	v_dual_add_nc_u32 v36, v38, v36 :: v_dual_add_f32 v6, v44, v39
	s_and_not1_saveexec_b32 s5, s29
	s_cbranch_execz .LBB112_26
.LBB112_31:                             ;   in Loop: Header=BB112_4 Depth=1
	v_mul_f32_e64 v6, 0x3f22f983, |v22|
	s_delay_alu instid0(VALU_DEP_1) | instskip(NEXT) | instid1(VALU_DEP_1)
	v_rndne_f32_e32 v36, v6
	v_fma_f32 v6, 0xbfc90fda, v36, |v22|
	s_delay_alu instid0(VALU_DEP_1) | instskip(NEXT) | instid1(VALU_DEP_1)
	v_fmac_f32_e32 v6, 0xb3a22168, v36
	v_fmac_f32_e32 v6, 0xa7c234c4, v36
	v_cvt_i32_f32_e32 v36, v36
	s_or_b32 exec_lo, exec_lo, s5
	s_and_saveexec_b32 s5, s4
	s_delay_alu instid0(SALU_CYCLE_1)
	s_xor_b32 s5, exec_lo, s5
	s_cbranch_execz .LBB112_27
.LBB112_32:                             ;   in Loop: Header=BB112_4 Depth=1
	v_dual_mul_f32 v37, v27, v27 :: v_dual_bitop2_b32 v40, 1, v29 bitop3:0x40
	v_lshlrev_b32_e32 v29, 30, v29
	v_xor_b32_e32 v26, v26, v25
	s_delay_alu instid0(VALU_DEP_3) | instskip(NEXT) | instid1(VALU_DEP_4)
	v_fmaak_f32 v38, s27, v37, 0x3c0881c4
	v_cmp_eq_u32_e64 s4, 0, v40
	s_delay_alu instid0(VALU_DEP_4) | instskip(NEXT) | instid1(VALU_DEP_3)
	v_and_b32_e32 v29, 0x80000000, v29
	v_fmaak_f32 v38, v37, v38, 0xbe2aaa9d
	s_delay_alu instid0(VALU_DEP_1) | instskip(NEXT) | instid1(VALU_DEP_1)
	v_dual_fmaak_f32 v39, s28, v37, 0xbab64f3b :: v_dual_mul_f32 v38, v37, v38
	v_fmaak_f32 v39, v37, v39, 0x3d2aabf7
	s_delay_alu instid0(VALU_DEP_2) | instskip(NEXT) | instid1(VALU_DEP_2)
	v_fmac_f32_e32 v27, v27, v38
	v_fmaak_f32 v39, v37, v39, 0xbf000004
	s_delay_alu instid0(VALU_DEP_1) | instskip(NEXT) | instid1(VALU_DEP_1)
	v_fma_f32 v37, v37, v39, 1.0
	v_cndmask_b32_e64 v27, v37, v27, s4
	v_cmp_class_f32_e64 s4, v25, 0x1f8
	s_delay_alu instid0(VALU_DEP_2) | instskip(NEXT) | instid1(VALU_DEP_1)
	v_xor3_b32 v26, v26, v29, v27
	v_cndmask_b32_e64 v25, 0x7fc00000, v26, s4
	global_store_b32 v[10:11], v25, off
	s_wait_xcnt 0x0
	s_or_b32 exec_lo, exec_lo, s5
	s_and_saveexec_b32 s4, s3
	s_cbranch_execz .LBB112_28
.LBB112_33:                             ;   in Loop: Header=BB112_4 Depth=1
	v_dual_mul_f32 v25, v30, v30 :: v_dual_bitop2_b32 v29, 1, v32 bitop3:0x40
	v_lshlrev_b32_e32 v32, 30, v32
	s_delay_alu instid0(VALU_DEP_2) | instskip(NEXT) | instid1(VALU_DEP_3)
	v_fmaak_f32 v26, s27, v25, 0x3c0881c4
	v_cmp_eq_u32_e64 s3, 0, v29
	s_delay_alu instid0(VALU_DEP_2) | instskip(NEXT) | instid1(VALU_DEP_1)
	v_fmaak_f32 v26, v25, v26, 0xbe2aaa9d
	v_dual_fmaak_f32 v27, s28, v25, 0xbab64f3b :: v_dual_mul_f32 v26, v25, v26
	s_delay_alu instid0(VALU_DEP_1) | instskip(NEXT) | instid1(VALU_DEP_1)
	v_dual_fmaak_f32 v27, v25, v27, 0x3d2aabf7 :: v_dual_fmac_f32 v30, v30, v26
	v_fmaak_f32 v27, v25, v27, 0xbf000004
	v_and_b32_e32 v26, 0x80000000, v32
	s_delay_alu instid0(VALU_DEP_2) | instskip(NEXT) | instid1(VALU_DEP_1)
	v_fma_f32 v25, v25, v27, 1.0
	v_dual_cndmask_b32 v25, v25, v30, s3 :: v_dual_bitop2_b32 v27, v28, v24 bitop3:0x14
	v_cmp_class_f32_e64 s3, v24, 0x1f8
	s_delay_alu instid0(VALU_DEP_2) | instskip(NEXT) | instid1(VALU_DEP_1)
	v_xor3_b32 v25, v27, v26, v25
	v_cndmask_b32_e64 v24, 0x7fc00000, v25, s3
	global_store_b32 v[16:17], v24, off
	s_wait_xcnt 0x0
	s_or_b32 exec_lo, exec_lo, s4
	s_and_saveexec_b32 s3, s2
	s_cbranch_execz .LBB112_29
.LBB112_34:                             ;   in Loop: Header=BB112_4 Depth=1
	v_dual_mul_f32 v24, v33, v33 :: v_dual_bitop2_b32 v27, 1, v35 bitop3:0x40
	s_delay_alu instid0(VALU_DEP_1) | instskip(NEXT) | instid1(VALU_DEP_2)
	v_dual_fmaak_f32 v25, s27, v24, 0x3c0881c4 :: v_dual_lshlrev_b32 v28, 30, v35
	v_cmp_eq_u32_e64 s2, 0, v27
	s_delay_alu instid0(VALU_DEP_2) | instskip(NEXT) | instid1(VALU_DEP_1)
	v_fmaak_f32 v25, v24, v25, 0xbe2aaa9d
	v_dual_fmaak_f32 v26, s28, v24, 0xbab64f3b :: v_dual_mul_f32 v25, v24, v25
	s_delay_alu instid0(VALU_DEP_1) | instskip(NEXT) | instid1(VALU_DEP_1)
	v_dual_fmaak_f32 v26, v24, v26, 0x3d2aabf7 :: v_dual_fmac_f32 v33, v33, v25
	v_fmaak_f32 v26, v24, v26, 0xbf000004
	v_and_b32_e32 v25, 0x80000000, v28
	s_delay_alu instid0(VALU_DEP_2) | instskip(NEXT) | instid1(VALU_DEP_1)
	v_fma_f32 v24, v24, v26, 1.0
	v_dual_cndmask_b32 v24, v24, v33, s2 :: v_dual_bitop2_b32 v26, v31, v23 bitop3:0x14
	v_cmp_class_f32_e64 s2, v23, 0x1f8
	s_delay_alu instid0(VALU_DEP_2) | instskip(NEXT) | instid1(VALU_DEP_1)
	v_xor3_b32 v24, v26, v25, v24
	v_cndmask_b32_e64 v23, 0x7fc00000, v24, s2
	global_store_b32 v[20:21], v23, off
	s_wait_xcnt 0x0
	s_or_b32 exec_lo, exec_lo, s3
	s_and_saveexec_b32 s2, vcc_lo
	s_cbranch_execz .LBB112_3
.LBB112_35:                             ;   in Loop: Header=BB112_4 Depth=1
	v_dual_mul_f32 v20, v6, v6 :: v_dual_bitop2_b32 v24, 1, v36 bitop3:0x40
	v_lshlrev_b32_e32 v25, 30, v36
	s_delay_alu instid0(VALU_DEP_2) | instskip(NEXT) | instid1(VALU_DEP_3)
	v_fmaak_f32 v21, s27, v20, 0x3c0881c4
	v_cmp_eq_u32_e32 vcc_lo, 0, v24
	s_delay_alu instid0(VALU_DEP_2) | instskip(NEXT) | instid1(VALU_DEP_1)
	v_fmaak_f32 v21, v20, v21, 0xbe2aaa9d
	v_mul_f32_e32 v21, v20, v21
	s_delay_alu instid0(VALU_DEP_1) | instskip(NEXT) | instid1(VALU_DEP_1)
	v_dual_fmaak_f32 v23, s28, v20, 0xbab64f3b :: v_dual_fmac_f32 v6, v6, v21
	v_fmaak_f32 v23, v20, v23, 0x3d2aabf7
	v_and_b32_e32 v21, 0x80000000, v25
	s_delay_alu instid0(VALU_DEP_2) | instskip(NEXT) | instid1(VALU_DEP_1)
	v_fmaak_f32 v23, v20, v23, 0xbf000004
	v_fma_f32 v20, v20, v23, 1.0
	s_delay_alu instid0(VALU_DEP_1) | instskip(SKIP_2) | instid1(VALU_DEP_2)
	v_cndmask_b32_e32 v6, v20, v6, vcc_lo
	v_xor_b32_e32 v20, v34, v22
	v_cmp_class_f32_e64 vcc_lo, v22, 0x1f8
	v_xor3_b32 v6, v20, v21, v6
	s_delay_alu instid0(VALU_DEP_1)
	v_cndmask_b32_e32 v6, 0x7fc00000, v6, vcc_lo
	global_store_b32 v[18:19], v6, off
	s_branch .LBB112_3
.LBB112_36:
	s_cbranch_execz .LBB112_38
	s_branch .LBB112_57
.LBB112_37:
.LBB112_38:
	v_min_i64 v[6:7], 0x10000, s[12:13]
	v_dual_mov_b32 v9, 0 :: v_dual_lshlrev_b32 v8, 2, v0
	s_mov_b32 s2, exec_lo
	s_delay_alu instid0(VALU_DEP_1)
	v_cmpx_lt_i64_e64 v[8:9], v[6:7]
	s_cbranch_execz .LBB112_57
; %bb.39:
	s_load_b32 s2, s[0:1], 0xd3c
	v_dual_mov_b32 v1, v9 :: v_dual_lshlrev_b32 v8, 4, v0
	s_wait_xcnt 0x0
	s_add_nc_u64 s[0:1], s[8:9], s[10:11]
	s_mov_b32 s3, 0
	s_mov_b32 s8, 0x7fffff
	v_add_nc_u64_e32 v[2:3], s[0:1], v[8:9]
	s_mov_b64 s[4:5], 0xfe5163ab
	s_mov_b32 s9, 0xb94c1982
	s_mov_b32 s10, 0x37d75334
	;; [unrolled: 1-line block ×4, first 2 shown]
	s_delay_alu instid0(VALU_DEP_1) | instskip(SKIP_2) | instid1(SALU_CYCLE_1)
	v_add_nc_u64_e32 v[10:11], 8, v[2:3]
	s_wait_kmcnt 0x0
	s_and_b32 s2, s2, 0xffff
	s_lshl_b32 s6, s2, 4
	s_branch .LBB112_41
.LBB112_40:                             ;   in Loop: Header=BB112_41 Depth=1
	s_or_b32 exec_lo, exec_lo, s0
	v_dual_mul_f32 v23, v20, v20 :: v_dual_bitop2_b32 v24, 1, v21 bitop3:0x40
	v_dual_lshlrev_b32 v21, 30, v21 :: v_dual_bitop2_b32 v18, v18, v4 bitop3:0x14
	v_dual_lshlrev_b32 v17, 30, v17 :: v_dual_bitop2_b32 v28, 1, v17 bitop3:0x40
	s_delay_alu instid0(VALU_DEP_3) | instskip(NEXT) | instid1(VALU_DEP_4)
	v_dual_fmaak_f32 v26, s10, v23, 0xbab64f3b :: v_dual_mul_f32 v27, v16, v16
	v_cmp_eq_u32_e32 vcc_lo, 0, v24
	s_delay_alu instid0(VALU_DEP_4) | instskip(NEXT) | instid1(VALU_DEP_3)
	v_and_b32_e32 v21, 0x80000000, v21
	v_dual_mul_f32 v29, v13, v13 :: v_dual_fmaak_f32 v26, v23, v26, 0x3d2aabf7
	s_delay_alu instid0(VALU_DEP_4) | instskip(SKIP_3) | instid1(VALU_DEP_4)
	v_fmaak_f32 v30, s9, v27, 0x3c0881c4
	v_and_b32_e32 v17, 0x80000000, v17
	v_add_nc_u64_e32 v[0:1], s[2:3], v[0:1]
	v_xor_b32_e32 v15, v15, v3
	v_fmaak_f32 v30, v27, v30, 0xbe2aaa9d
	v_fmaak_f32 v25, s9, v23, 0x3c0881c4
	s_delay_alu instid0(VALU_DEP_1) | instskip(NEXT) | instid1(VALU_DEP_1)
	v_fmaak_f32 v25, v23, v25, 0xbe2aaa9d
	v_mul_f32_e32 v25, v23, v25
	s_delay_alu instid0(VALU_DEP_1) | instskip(SKIP_1) | instid1(VALU_DEP_1)
	v_dual_fmaak_f32 v31, s10, v27, 0xbab64f3b :: v_dual_fmac_f32 v20, v20, v25
	v_fmaak_f32 v25, s9, v29, 0x3c0881c4
	v_fmaak_f32 v25, v29, v25, 0xbe2aaa9d
	;; [unrolled: 1-line block ×3, first 2 shown]
	s_delay_alu instid0(VALU_DEP_1) | instskip(SKIP_1) | instid1(VALU_DEP_2)
	v_fma_f32 v23, v23, v26, 1.0
	v_dual_mul_f32 v26, v27, v30 :: v_dual_fmaak_f32 v31, v27, v31, 0x3d2aabf7
	v_cndmask_b32_e32 v20, v23, v20, vcc_lo
	s_delay_alu instid0(VALU_DEP_2) | instskip(SKIP_1) | instid1(VALU_DEP_3)
	v_dual_fmaak_f32 v23, s10, v29, 0xbab64f3b :: v_dual_fmac_f32 v16, v16, v26
	v_cmp_eq_u32_e32 vcc_lo, 0, v28
	v_xor3_b32 v18, v18, v21, v20
	s_delay_alu instid0(VALU_DEP_3) | instskip(SKIP_1) | instid1(VALU_DEP_2)
	v_dual_mul_f32 v20, v8, v8 :: v_dual_fmaak_f32 v21, v29, v23, 0x3d2aabf7
	v_dual_fmaak_f32 v30, v27, v31, 0xbf000004 :: v_dual_mul_f32 v23, v29, v25
	v_fmaak_f32 v21, v29, v21, 0xbf000004
	s_delay_alu instid0(VALU_DEP_2) | instskip(NEXT) | instid1(VALU_DEP_3)
	v_fma_f32 v24, v27, v30, 1.0
	v_fmac_f32_e32 v13, v13, v23
	s_delay_alu instid0(VALU_DEP_3) | instskip(NEXT) | instid1(VALU_DEP_3)
	v_fma_f32 v21, v29, v21, 1.0
	v_cndmask_b32_e32 v16, v24, v16, vcc_lo
	v_fmaak_f32 v24, s9, v20, 0x3c0881c4
	s_delay_alu instid0(VALU_DEP_2) | instskip(NEXT) | instid1(VALU_DEP_2)
	v_xor3_b32 v15, v15, v17, v16
	v_fmaak_f32 v23, v20, v24, 0xbe2aaa9d
	s_delay_alu instid0(VALU_DEP_1) | instskip(NEXT) | instid1(VALU_DEP_1)
	v_dual_fmaak_f32 v25, s10, v20, 0xbab64f3b :: v_dual_mul_f32 v16, v20, v23
	v_fmaak_f32 v24, v20, v25, 0x3d2aabf7
	v_dual_lshlrev_b32 v14, 30, v14 :: v_dual_bitop2_b32 v25, 1, v14 bitop3:0x40
	s_delay_alu instid0(VALU_DEP_3) | instskip(NEXT) | instid1(VALU_DEP_3)
	v_dual_fmac_f32 v8, v8, v16 :: v_dual_bitop2_b32 v16, 1, v22 bitop3:0x40
	v_fmaak_f32 v17, v20, v24, 0xbf000004
	s_delay_alu instid0(VALU_DEP_3) | instskip(NEXT) | instid1(VALU_DEP_4)
	v_cmp_eq_u32_e32 vcc_lo, 0, v25
	v_and_b32_e32 v14, 0x80000000, v14
	s_delay_alu instid0(VALU_DEP_3) | instskip(SKIP_3) | instid1(VALU_DEP_4)
	v_fma_f32 v17, v20, v17, 1.0
	v_cndmask_b32_e32 v13, v21, v13, vcc_lo
	v_cmp_eq_u32_e32 vcc_lo, 0, v16
	v_xor_b32_e32 v12, v12, v2
	v_dual_lshlrev_b32 v20, 30, v22 :: v_dual_cndmask_b32 v8, v17, v8, vcc_lo
	v_cmp_class_f32_e64 vcc_lo, v4, 0x1f8
	s_delay_alu instid0(VALU_DEP_2)
	v_and_b32_e32 v16, 0x80000000, v20
	v_xor_b32_e32 v17, v19, v5
	v_xor3_b32 v14, v12, v14, v13
	v_lshlrev_b64_e32 v[12:13], 2, v[0:1]
	v_cndmask_b32_e32 v4, 0x7fc00000, v18, vcc_lo
	v_cmp_class_f32_e64 vcc_lo, v3, 0x1f8
	v_xor3_b32 v8, v17, v16, v8
	v_cndmask_b32_e32 v3, 0x7fc00000, v15, vcc_lo
	v_cmp_class_f32_e64 vcc_lo, v2, 0x1f8
	v_cndmask_b32_e32 v2, 0x7fc00000, v14, vcc_lo
	v_cmp_class_f32_e64 vcc_lo, v5, 0x1f8
	v_cndmask_b32_e32 v5, 0x7fc00000, v8, vcc_lo
	v_cmp_ge_i64_e32 vcc_lo, v[12:13], v[6:7]
	global_store_b128 v[10:11], v[2:5], off offset:-8
	s_wait_xcnt 0x0
	v_add_nc_u64_e32 v[10:11], s[6:7], v[10:11]
	s_or_b32 s11, vcc_lo, s11
	s_delay_alu instid0(SALU_CYCLE_1)
	s_and_not1_b32 exec_lo, exec_lo, s11
	s_cbranch_execz .LBB112_57
.LBB112_41:                             ; =>This Inner Loop Header: Depth=1
	global_load_b128 v[2:5], v[10:11], off offset:-8
                                        ; implicit-def: $vgpr14
                                        ; implicit-def: $vgpr13
	s_mov_b32 s1, exec_lo
	s_wait_loadcnt 0x0
	v_and_b32_e32 v12, 0x7fffffff, v2
	s_wait_xcnt 0x0
	v_cmpx_ngt_f32_e64 0x48000000, |v2|
	s_xor_b32 s12, exec_lo, s1
	s_cbranch_execz .LBB112_43
; %bb.42:                               ;   in Loop: Header=BB112_41 Depth=1
	v_and_or_b32 v8, v12, s8, 0x800000
	v_dual_lshrrev_b32 v13, 23, v12 :: v_dual_mov_b32 v25, v9
	v_mov_b32_e32 v27, v9
	s_delay_alu instid0(VALU_DEP_3) | instskip(SKIP_1) | instid1(VALU_DEP_4)
	v_mul_u64_e32 v[14:15], s[4:5], v[8:9]
	v_mov_b32_e32 v17, v9
	v_add_nc_u32_e32 v13, 0xffffff88, v13
	s_delay_alu instid0(VALU_DEP_1) | instskip(NEXT) | instid1(VALU_DEP_4)
	v_cmp_lt_u32_e32 vcc_lo, 63, v13
	v_mov_b32_e32 v16, v15
	v_cndmask_b32_e64 v15, 0, 0xffffffc0, vcc_lo
	s_delay_alu instid0(VALU_DEP_2) | instskip(NEXT) | instid1(VALU_DEP_2)
	v_mad_nc_u64_u32 v[16:17], 0x3c439041, v8, v[16:17]
	v_dual_mov_b32 v19, v9 :: v_dual_add_nc_u32 v13, v15, v13
	s_delay_alu instid0(VALU_DEP_1) | instskip(NEXT) | instid1(VALU_DEP_3)
	v_cmp_lt_u32_e64 s0, 31, v13
	v_mov_b32_e32 v18, v17
	s_delay_alu instid0(VALU_DEP_2) | instskip(NEXT) | instid1(VALU_DEP_2)
	v_cndmask_b32_e64 v15, 0, 0xffffffe0, s0
	v_mad_nc_u64_u32 v[18:19], 0xdb629599, v8, v[18:19]
	s_delay_alu instid0(VALU_DEP_1) | instskip(NEXT) | instid1(VALU_DEP_2)
	v_dual_mov_b32 v21, v9 :: v_dual_mov_b32 v20, v19
	v_cndmask_b32_e32 v14, v18, v14, vcc_lo
	s_delay_alu instid0(VALU_DEP_2) | instskip(NEXT) | instid1(VALU_DEP_1)
	v_mad_nc_u64_u32 v[20:21], 0xf534ddc0, v8, v[20:21]
	v_dual_mov_b32 v23, v9 :: v_dual_mov_b32 v22, v21
	s_delay_alu instid0(VALU_DEP_1) | instskip(NEXT) | instid1(VALU_DEP_1)
	v_mad_nc_u64_u32 v[22:23], 0xfc2757d1, v8, v[22:23]
	v_dual_mov_b32 v24, v23 :: v_dual_cndmask_b32 v21, v22, v18
	s_delay_alu instid0(VALU_DEP_1) | instskip(NEXT) | instid1(VALU_DEP_1)
	v_mad_nc_u64_u32 v[24:25], 0x4e441529, v8, v[24:25]
	v_mov_b32_e32 v26, v25
	s_delay_alu instid0(VALU_DEP_1) | instskip(NEXT) | instid1(VALU_DEP_3)
	v_mad_nc_u64_u32 v[26:27], 0xa2f9836e, v8, v[26:27]
	v_dual_cndmask_b32 v15, v24, v20 :: v_dual_add_nc_u32 v8, v15, v13
	s_delay_alu instid0(VALU_DEP_1) | instskip(NEXT) | instid1(VALU_DEP_1)
	v_cmp_lt_u32_e64 s1, 31, v8
	v_cndmask_b32_e64 v13, 0, 0xffffffe0, s1
	s_delay_alu instid0(VALU_DEP_4) | instskip(NEXT) | instid1(VALU_DEP_2)
	v_dual_cndmask_b32 v17, v26, v22, vcc_lo :: v_dual_cndmask_b32 v19, v27, v24, vcc_lo
	v_add_nc_u32_e32 v8, v13, v8
	s_delay_alu instid0(VALU_DEP_2) | instskip(NEXT) | instid1(VALU_DEP_3)
	v_dual_cndmask_b32 v13, v20, v16, vcc_lo :: v_dual_cndmask_b32 v16, v17, v15, s0
	v_cndmask_b32_e64 v17, v19, v17, s0
	s_delay_alu instid0(VALU_DEP_3) | instskip(NEXT) | instid1(VALU_DEP_3)
	v_dual_cndmask_b32 v15, v15, v21, s0 :: v_dual_sub_nc_u32 v19, 32, v8
	v_cndmask_b32_e64 v20, v21, v13, s0
	v_cmp_eq_u32_e32 vcc_lo, 0, v8
	s_delay_alu instid0(VALU_DEP_3) | instskip(NEXT) | instid1(VALU_DEP_1)
	v_dual_cndmask_b32 v17, v17, v16, s1 :: v_dual_cndmask_b32 v16, v16, v15, s1
	v_alignbit_b32 v21, v17, v16, v19
	s_delay_alu instid0(VALU_DEP_1) | instskip(NEXT) | instid1(VALU_DEP_1)
	v_dual_cndmask_b32 v15, v15, v20, s1 :: v_dual_cndmask_b32 v8, v21, v17, vcc_lo
	v_alignbit_b32 v18, v16, v15, v19
	s_delay_alu instid0(VALU_DEP_1) | instskip(NEXT) | instid1(VALU_DEP_3)
	v_dual_cndmask_b32 v13, v13, v14, s0 :: v_dual_cndmask_b32 v14, v18, v16, vcc_lo
	v_bfe_u32 v16, v8, 29, 1
	s_delay_alu instid0(VALU_DEP_2) | instskip(NEXT) | instid1(VALU_DEP_3)
	v_cndmask_b32_e64 v13, v20, v13, s1
	v_alignbit_b32 v17, v8, v14, 30
	s_delay_alu instid0(VALU_DEP_3) | instskip(NEXT) | instid1(VALU_DEP_3)
	v_sub_nc_u32_e32 v18, 0, v16
	v_alignbit_b32 v19, v15, v13, v19
	s_delay_alu instid0(VALU_DEP_1) | instskip(NEXT) | instid1(VALU_DEP_1)
	v_dual_cndmask_b32 v15, v19, v15, vcc_lo :: v_dual_bitop2_b32 v17, v17, v18 bitop3:0x14
	v_clz_i32_u32_e32 v19, v17
	s_delay_alu instid0(VALU_DEP_2) | instskip(SKIP_1) | instid1(VALU_DEP_3)
	v_alignbit_b32 v14, v14, v15, 30
	v_alignbit_b32 v13, v15, v13, 30
	v_min_u32_e32 v19, 32, v19
	s_delay_alu instid0(VALU_DEP_3) | instskip(NEXT) | instid1(VALU_DEP_3)
	v_xor_b32_e32 v14, v14, v18
	v_dual_lshrrev_b32 v18, 29, v8 :: v_dual_bitop2_b32 v13, v13, v18 bitop3:0x14
	s_delay_alu instid0(VALU_DEP_3) | instskip(SKIP_1) | instid1(VALU_DEP_2)
	v_dual_lshrrev_b32 v8, 30, v8 :: v_dual_sub_nc_u32 v15, 31, v19
	v_lshlrev_b32_e32 v20, 23, v19
	v_alignbit_b32 v17, v17, v14, v15
	s_delay_alu instid0(VALU_DEP_4) | instskip(SKIP_1) | instid1(VALU_DEP_2)
	v_alignbit_b32 v13, v14, v13, v15
	v_lshlrev_b32_e32 v14, 31, v18
	v_alignbit_b32 v15, v17, v13, 9
	s_delay_alu instid0(VALU_DEP_2) | instskip(SKIP_1) | instid1(VALU_DEP_3)
	v_dual_lshrrev_b32 v17, 9, v17 :: v_dual_bitop2_b32 v18, 0.5, v14 bitop3:0x54
	v_or_b32_e32 v14, 0x33000000, v14
	v_clz_i32_u32_e32 v21, v15
	s_delay_alu instid0(VALU_DEP_3) | instskip(NEXT) | instid1(VALU_DEP_2)
	v_sub_nc_u32_e32 v18, v18, v20
	v_min_u32_e32 v20, 32, v21
	s_delay_alu instid0(VALU_DEP_1) | instskip(NEXT) | instid1(VALU_DEP_3)
	v_add_lshl_u32 v19, v20, v19, 23
	v_or_b32_e32 v17, v17, v18
	v_not_b32_e32 v18, v20
	s_delay_alu instid0(VALU_DEP_2) | instskip(NEXT) | instid1(VALU_DEP_2)
	v_dual_mul_f32 v21, 0x3fc90fda, v17 :: v_dual_sub_nc_u32 v14, v14, v19
	v_alignbit_b32 v13, v15, v13, v18
	s_delay_alu instid0(VALU_DEP_2) | instskip(NEXT) | instid1(VALU_DEP_2)
	v_fma_f32 v15, 0x3fc90fda, v17, -v21
	v_lshrrev_b32_e32 v13, 9, v13
	s_delay_alu instid0(VALU_DEP_2) | instskip(NEXT) | instid1(VALU_DEP_2)
	v_fmac_f32_e32 v15, 0x33a22168, v17
	v_dual_add_nc_u32 v14, v16, v8 :: v_dual_bitop2_b32 v13, v14, v13 bitop3:0x54
	s_delay_alu instid0(VALU_DEP_1) | instskip(NEXT) | instid1(VALU_DEP_1)
	v_fmac_f32_e32 v15, 0x3fc90fda, v13
	v_add_f32_e32 v13, v21, v15
.LBB112_43:                             ;   in Loop: Header=BB112_41 Depth=1
	s_and_not1_saveexec_b32 s0, s12
; %bb.44:                               ;   in Loop: Header=BB112_41 Depth=1
	v_mul_f32_e64 v8, 0x3f22f983, |v2|
	s_delay_alu instid0(VALU_DEP_1) | instskip(NEXT) | instid1(VALU_DEP_1)
	v_rndne_f32_e32 v8, v8
	v_fma_f32 v13, 0xbfc90fda, v8, |v2|
	v_cvt_i32_f32_e32 v14, v8
	s_delay_alu instid0(VALU_DEP_2) | instskip(NEXT) | instid1(VALU_DEP_1)
	v_fmac_f32_e32 v13, 0xb3a22168, v8
	v_fmac_f32_e32 v13, 0xa7c234c4, v8
; %bb.45:                               ;   in Loop: Header=BB112_41 Depth=1
	s_or_b32 exec_lo, exec_lo, s0
	v_and_b32_e32 v15, 0x7fffffff, v3
                                        ; implicit-def: $vgpr17
                                        ; implicit-def: $vgpr16
	s_mov_b32 s1, exec_lo
	v_cmpx_ngt_f32_e64 0x48000000, |v3|
	s_xor_b32 s12, exec_lo, s1
	s_cbranch_execz .LBB112_47
; %bb.46:                               ;   in Loop: Header=BB112_41 Depth=1
	v_and_or_b32 v8, v15, s8, 0x800000
	v_dual_mov_b32 v27, v9 :: v_dual_mov_b32 v29, v9
	s_delay_alu instid0(VALU_DEP_2) | instskip(NEXT) | instid1(VALU_DEP_1)
	v_mul_u64_e32 v[16:17], s[4:5], v[8:9]
	v_dual_mov_b32 v19, v9 :: v_dual_mov_b32 v18, v17
	v_lshrrev_b32_e32 v17, 23, v15
	s_delay_alu instid0(VALU_DEP_2) | instskip(SKIP_1) | instid1(VALU_DEP_3)
	v_mad_nc_u64_u32 v[18:19], 0x3c439041, v8, v[18:19]
	v_mov_b32_e32 v21, v9
	v_add_nc_u32_e32 v17, 0xffffff88, v17
	s_delay_alu instid0(VALU_DEP_1) | instskip(NEXT) | instid1(VALU_DEP_4)
	v_cmp_lt_u32_e32 vcc_lo, 63, v17
	v_mov_b32_e32 v20, v19
	v_cndmask_b32_e64 v19, 0, 0xffffffc0, vcc_lo
	s_delay_alu instid0(VALU_DEP_2) | instskip(NEXT) | instid1(VALU_DEP_2)
	v_mad_nc_u64_u32 v[20:21], 0xdb629599, v8, v[20:21]
	v_dual_mov_b32 v23, v9 :: v_dual_add_nc_u32 v17, v19, v17
	s_delay_alu instid0(VALU_DEP_1) | instskip(NEXT) | instid1(VALU_DEP_3)
	v_cmp_lt_u32_e64 s0, 31, v17
	v_mov_b32_e32 v22, v21
	s_delay_alu instid0(VALU_DEP_2) | instskip(SKIP_1) | instid1(VALU_DEP_3)
	v_cndmask_b32_e64 v19, 0, 0xffffffe0, s0
	v_cndmask_b32_e32 v16, v20, v16, vcc_lo
	v_mad_nc_u64_u32 v[22:23], 0xf534ddc0, v8, v[22:23]
	s_delay_alu instid0(VALU_DEP_1) | instskip(NEXT) | instid1(VALU_DEP_1)
	v_dual_mov_b32 v25, v9 :: v_dual_mov_b32 v24, v23
	v_mad_nc_u64_u32 v[24:25], 0xfc2757d1, v8, v[24:25]
	s_delay_alu instid0(VALU_DEP_1) | instskip(NEXT) | instid1(VALU_DEP_1)
	v_mov_b32_e32 v26, v25
	v_mad_nc_u64_u32 v[26:27], 0x4e441529, v8, v[26:27]
	s_delay_alu instid0(VALU_DEP_1) | instskip(NEXT) | instid1(VALU_DEP_1)
	v_mov_b32_e32 v28, v27
	v_mad_nc_u64_u32 v[28:29], 0xa2f9836e, v8, v[28:29]
	s_delay_alu instid0(VALU_DEP_3) | instskip(NEXT) | instid1(VALU_DEP_2)
	v_dual_cndmask_b32 v19, v26, v22 :: v_dual_add_nc_u32 v8, v19, v17
	v_cndmask_b32_e32 v21, v28, v24, vcc_lo
	s_delay_alu instid0(VALU_DEP_2) | instskip(NEXT) | instid1(VALU_DEP_4)
	v_cmp_lt_u32_e64 s1, 31, v8
	v_dual_cndmask_b32 v23, v29, v26 :: v_dual_cndmask_b32 v24, v24, v20
	s_delay_alu instid0(VALU_DEP_2) | instskip(NEXT) | instid1(VALU_DEP_1)
	v_cndmask_b32_e64 v17, 0, 0xffffffe0, s1
	v_dual_cndmask_b32 v17, v22, v18 :: v_dual_add_nc_u32 v8, v17, v8
	s_delay_alu instid0(VALU_DEP_3) | instskip(NEXT) | instid1(VALU_DEP_4)
	v_dual_cndmask_b32 v18, v21, v19, s0 :: v_dual_cndmask_b32 v21, v23, v21, s0
	v_cndmask_b32_e64 v19, v19, v24, s0
	s_delay_alu instid0(VALU_DEP_3) | instskip(SKIP_1) | instid1(VALU_DEP_3)
	v_dual_sub_nc_u32 v22, 32, v8 :: v_dual_cndmask_b32 v23, v24, v17, s0
	v_cmp_eq_u32_e32 vcc_lo, 0, v8
	v_dual_cndmask_b32 v21, v21, v18, s1 :: v_dual_cndmask_b32 v18, v18, v19, s1
	s_delay_alu instid0(VALU_DEP_1) | instskip(NEXT) | instid1(VALU_DEP_1)
	v_alignbit_b32 v24, v21, v18, v22
	v_dual_cndmask_b32 v19, v19, v23, s1 :: v_dual_cndmask_b32 v8, v24, v21, vcc_lo
	s_delay_alu instid0(VALU_DEP_1) | instskip(NEXT) | instid1(VALU_DEP_1)
	v_alignbit_b32 v20, v18, v19, v22
	v_dual_cndmask_b32 v16, v17, v16, s0 :: v_dual_cndmask_b32 v17, v20, v18, vcc_lo
	s_delay_alu instid0(VALU_DEP_3) | instskip(NEXT) | instid1(VALU_DEP_2)
	v_bfe_u32 v18, v8, 29, 1
	v_cndmask_b32_e64 v16, v23, v16, s1
	s_delay_alu instid0(VALU_DEP_3) | instskip(NEXT) | instid1(VALU_DEP_3)
	v_alignbit_b32 v20, v8, v17, 30
	v_sub_nc_u32_e32 v21, 0, v18
	s_delay_alu instid0(VALU_DEP_3) | instskip(NEXT) | instid1(VALU_DEP_1)
	v_alignbit_b32 v22, v19, v16, v22
	v_dual_cndmask_b32 v19, v22, v19, vcc_lo :: v_dual_bitop2_b32 v20, v20, v21 bitop3:0x14
	s_delay_alu instid0(VALU_DEP_1) | instskip(NEXT) | instid1(VALU_DEP_2)
	v_clz_i32_u32_e32 v22, v20
	v_alignbit_b32 v17, v17, v19, 30
	v_alignbit_b32 v16, v19, v16, 30
	s_delay_alu instid0(VALU_DEP_3) | instskip(NEXT) | instid1(VALU_DEP_3)
	v_min_u32_e32 v22, 32, v22
	v_xor_b32_e32 v17, v17, v21
	s_delay_alu instid0(VALU_DEP_3) | instskip(NEXT) | instid1(VALU_DEP_3)
	v_dual_lshrrev_b32 v21, 29, v8 :: v_dual_bitop2_b32 v16, v16, v21 bitop3:0x14
	v_dual_sub_nc_u32 v19, 31, v22 :: v_dual_lshlrev_b32 v23, 23, v22
	s_delay_alu instid0(VALU_DEP_1) | instskip(NEXT) | instid1(VALU_DEP_3)
	v_alignbit_b32 v20, v20, v17, v19
	v_alignbit_b32 v16, v17, v16, v19
	s_delay_alu instid0(VALU_DEP_4) | instskip(NEXT) | instid1(VALU_DEP_2)
	v_lshlrev_b32_e32 v17, 31, v21
	v_alignbit_b32 v19, v20, v16, 9
	s_delay_alu instid0(VALU_DEP_2) | instskip(SKIP_1) | instid1(VALU_DEP_3)
	v_dual_lshrrev_b32 v20, 9, v20 :: v_dual_bitop2_b32 v21, 0.5, v17 bitop3:0x54
	v_or_b32_e32 v17, 0x33000000, v17
	v_clz_i32_u32_e32 v24, v19
	s_delay_alu instid0(VALU_DEP_3) | instskip(NEXT) | instid1(VALU_DEP_2)
	v_sub_nc_u32_e32 v21, v21, v23
	v_min_u32_e32 v23, 32, v24
	s_delay_alu instid0(VALU_DEP_1) | instskip(NEXT) | instid1(VALU_DEP_3)
	v_add_lshl_u32 v22, v23, v22, 23
	v_or_b32_e32 v20, v20, v21
	v_not_b32_e32 v21, v23
	s_delay_alu instid0(VALU_DEP_2) | instskip(NEXT) | instid1(VALU_DEP_2)
	v_dual_mul_f32 v24, 0x3fc90fda, v20 :: v_dual_sub_nc_u32 v17, v17, v22
	v_alignbit_b32 v16, v19, v16, v21
	s_delay_alu instid0(VALU_DEP_2) | instskip(NEXT) | instid1(VALU_DEP_2)
	v_fma_f32 v19, 0x3fc90fda, v20, -v24
	v_lshrrev_b32_e32 v16, 9, v16
	s_delay_alu instid0(VALU_DEP_2) | instskip(NEXT) | instid1(VALU_DEP_2)
	v_fmac_f32_e32 v19, 0x33a22168, v20
	v_or_b32_e32 v16, v17, v16
	s_delay_alu instid0(VALU_DEP_1) | instskip(NEXT) | instid1(VALU_DEP_1)
	v_fmac_f32_e32 v19, 0x3fc90fda, v16
	v_dual_lshrrev_b32 v8, 30, v8 :: v_dual_add_f32 v16, v24, v19
	s_delay_alu instid0(VALU_DEP_1)
	v_add_nc_u32_e32 v17, v18, v8
.LBB112_47:                             ;   in Loop: Header=BB112_41 Depth=1
	s_and_not1_saveexec_b32 s0, s12
; %bb.48:                               ;   in Loop: Header=BB112_41 Depth=1
	v_mul_f32_e64 v8, 0x3f22f983, |v3|
	s_delay_alu instid0(VALU_DEP_1) | instskip(NEXT) | instid1(VALU_DEP_1)
	v_rndne_f32_e32 v8, v8
	v_fma_f32 v16, 0xbfc90fda, v8, |v3|
	v_cvt_i32_f32_e32 v17, v8
	s_delay_alu instid0(VALU_DEP_2) | instskip(NEXT) | instid1(VALU_DEP_1)
	v_fmac_f32_e32 v16, 0xb3a22168, v8
	v_fmac_f32_e32 v16, 0xa7c234c4, v8
; %bb.49:                               ;   in Loop: Header=BB112_41 Depth=1
	s_or_b32 exec_lo, exec_lo, s0
	v_and_b32_e32 v18, 0x7fffffff, v4
                                        ; implicit-def: $vgpr21
                                        ; implicit-def: $vgpr20
	s_mov_b32 s1, exec_lo
	v_cmpx_ngt_f32_e64 0x48000000, |v4|
	s_xor_b32 s12, exec_lo, s1
	s_cbranch_execz .LBB112_51
; %bb.50:                               ;   in Loop: Header=BB112_41 Depth=1
	v_and_or_b32 v8, v18, s8, 0x800000
	v_dual_lshrrev_b32 v19, 23, v18 :: v_dual_mov_b32 v31, v9
	s_delay_alu instid0(VALU_DEP_2) | instskip(SKIP_1) | instid1(VALU_DEP_3)
	v_mul_u64_e32 v[20:21], s[4:5], v[8:9]
	v_mov_b32_e32 v23, v9
	v_add_nc_u32_e32 v19, 0xffffff88, v19
	s_delay_alu instid0(VALU_DEP_1) | instskip(NEXT) | instid1(VALU_DEP_4)
	v_cmp_lt_u32_e32 vcc_lo, 63, v19
	v_mov_b32_e32 v22, v21
	v_cndmask_b32_e64 v21, 0, 0xffffffc0, vcc_lo
	s_delay_alu instid0(VALU_DEP_2) | instskip(NEXT) | instid1(VALU_DEP_1)
	v_mad_nc_u64_u32 v[22:23], 0x3c439041, v8, v[22:23]
	v_dual_mov_b32 v25, v9 :: v_dual_mov_b32 v24, v23
	s_delay_alu instid0(VALU_DEP_1) | instskip(NEXT) | instid1(VALU_DEP_1)
	v_mad_nc_u64_u32 v[24:25], 0xdb629599, v8, v[24:25]
	v_dual_mov_b32 v27, v9 :: v_dual_mov_b32 v26, v25
	s_delay_alu instid0(VALU_DEP_2) | instskip(NEXT) | instid1(VALU_DEP_2)
	v_cndmask_b32_e32 v20, v24, v20, vcc_lo
	v_mad_nc_u64_u32 v[26:27], 0xf534ddc0, v8, v[26:27]
	s_delay_alu instid0(VALU_DEP_1) | instskip(NEXT) | instid1(VALU_DEP_1)
	v_dual_mov_b32 v29, v9 :: v_dual_mov_b32 v28, v27
	v_mad_nc_u64_u32 v[28:29], 0xfc2757d1, v8, v[28:29]
	s_delay_alu instid0(VALU_DEP_1) | instskip(NEXT) | instid1(VALU_DEP_1)
	v_dual_mov_b32 v30, v29 :: v_dual_cndmask_b32 v27, v28, v24
	v_mad_nc_u64_u32 v[30:31], 0x4e441529, v8, v[30:31]
	v_add_nc_u32_e32 v19, v21, v19
	s_delay_alu instid0(VALU_DEP_2) | instskip(NEXT) | instid1(VALU_DEP_2)
	v_dual_mov_b32 v33, v9 :: v_dual_mov_b32 v32, v31
	v_cmp_lt_u32_e64 s0, 31, v19
	s_delay_alu instid0(VALU_DEP_2) | instskip(NEXT) | instid1(VALU_DEP_2)
	v_mad_nc_u64_u32 v[32:33], 0xa2f9836e, v8, v[32:33]
	v_cndmask_b32_e64 v21, 0, 0xffffffe0, s0
	s_delay_alu instid0(VALU_DEP_1) | instskip(NEXT) | instid1(VALU_DEP_3)
	v_dual_cndmask_b32 v21, v30, v26 :: v_dual_add_nc_u32 v8, v21, v19
	v_cndmask_b32_e32 v23, v32, v28, vcc_lo
	s_delay_alu instid0(VALU_DEP_2) | instskip(SKIP_1) | instid1(VALU_DEP_2)
	v_cmp_lt_u32_e64 s1, 31, v8
	v_cndmask_b32_e32 v25, v33, v30, vcc_lo
	v_cndmask_b32_e64 v19, 0, 0xffffffe0, s1
	s_delay_alu instid0(VALU_DEP_1) | instskip(NEXT) | instid1(VALU_DEP_3)
	v_dual_cndmask_b32 v19, v26, v22 :: v_dual_add_nc_u32 v8, v19, v8
	v_dual_cndmask_b32 v22, v23, v21, s0 :: v_dual_cndmask_b32 v23, v25, v23, s0
	s_delay_alu instid0(VALU_DEP_2) | instskip(NEXT) | instid1(VALU_DEP_3)
	v_dual_cndmask_b32 v21, v21, v27, s0 :: v_dual_sub_nc_u32 v25, 32, v8
	v_cndmask_b32_e64 v26, v27, v19, s0
	v_cmp_eq_u32_e32 vcc_lo, 0, v8
	s_delay_alu instid0(VALU_DEP_3) | instskip(NEXT) | instid1(VALU_DEP_1)
	v_dual_cndmask_b32 v23, v23, v22, s1 :: v_dual_cndmask_b32 v22, v22, v21, s1
	v_alignbit_b32 v27, v23, v22, v25
	s_delay_alu instid0(VALU_DEP_1) | instskip(NEXT) | instid1(VALU_DEP_1)
	v_dual_cndmask_b32 v21, v21, v26, s1 :: v_dual_cndmask_b32 v8, v27, v23, vcc_lo
	v_alignbit_b32 v24, v22, v21, v25
	s_delay_alu instid0(VALU_DEP_1) | instskip(NEXT) | instid1(VALU_DEP_3)
	v_dual_cndmask_b32 v19, v19, v20, s0 :: v_dual_cndmask_b32 v20, v24, v22, vcc_lo
	v_bfe_u32 v22, v8, 29, 1
	s_delay_alu instid0(VALU_DEP_2) | instskip(NEXT) | instid1(VALU_DEP_3)
	v_cndmask_b32_e64 v19, v26, v19, s1
	v_alignbit_b32 v23, v8, v20, 30
	s_delay_alu instid0(VALU_DEP_3) | instskip(NEXT) | instid1(VALU_DEP_3)
	v_sub_nc_u32_e32 v24, 0, v22
	v_alignbit_b32 v25, v21, v19, v25
	s_delay_alu instid0(VALU_DEP_1) | instskip(NEXT) | instid1(VALU_DEP_1)
	v_dual_cndmask_b32 v21, v25, v21, vcc_lo :: v_dual_bitop2_b32 v23, v23, v24 bitop3:0x14
	v_clz_i32_u32_e32 v25, v23
	s_delay_alu instid0(VALU_DEP_2) | instskip(SKIP_1) | instid1(VALU_DEP_3)
	v_alignbit_b32 v20, v20, v21, 30
	v_alignbit_b32 v19, v21, v19, 30
	v_min_u32_e32 v25, 32, v25
	s_delay_alu instid0(VALU_DEP_3) | instskip(NEXT) | instid1(VALU_DEP_3)
	v_xor_b32_e32 v20, v20, v24
	v_xor_b32_e32 v19, v19, v24
	v_dual_lshrrev_b32 v24, 29, v8 :: v_dual_lshrrev_b32 v8, 30, v8
	s_delay_alu instid0(VALU_DEP_4) | instskip(NEXT) | instid1(VALU_DEP_1)
	v_dual_sub_nc_u32 v21, 31, v25 :: v_dual_lshlrev_b32 v26, 23, v25
	v_alignbit_b32 v23, v23, v20, v21
	s_delay_alu instid0(VALU_DEP_4) | instskip(NEXT) | instid1(VALU_DEP_4)
	v_alignbit_b32 v19, v20, v19, v21
	v_lshlrev_b32_e32 v20, 31, v24
	s_delay_alu instid0(VALU_DEP_2) | instskip(NEXT) | instid1(VALU_DEP_2)
	v_alignbit_b32 v21, v23, v19, 9
	v_dual_lshrrev_b32 v23, 9, v23 :: v_dual_bitop2_b32 v24, 0.5, v20 bitop3:0x54
	v_or_b32_e32 v20, 0x33000000, v20
	s_delay_alu instid0(VALU_DEP_3) | instskip(NEXT) | instid1(VALU_DEP_3)
	v_clz_i32_u32_e32 v27, v21
	v_sub_nc_u32_e32 v24, v24, v26
	s_delay_alu instid0(VALU_DEP_2) | instskip(NEXT) | instid1(VALU_DEP_1)
	v_min_u32_e32 v26, 32, v27
	v_add_lshl_u32 v25, v26, v25, 23
	s_delay_alu instid0(VALU_DEP_3) | instskip(SKIP_1) | instid1(VALU_DEP_2)
	v_or_b32_e32 v23, v23, v24
	v_not_b32_e32 v24, v26
	v_dual_mul_f32 v27, 0x3fc90fda, v23 :: v_dual_sub_nc_u32 v20, v20, v25
	s_delay_alu instid0(VALU_DEP_2) | instskip(NEXT) | instid1(VALU_DEP_2)
	v_alignbit_b32 v19, v21, v19, v24
	v_fma_f32 v21, 0x3fc90fda, v23, -v27
	s_delay_alu instid0(VALU_DEP_2) | instskip(NEXT) | instid1(VALU_DEP_2)
	v_lshrrev_b32_e32 v19, 9, v19
	v_fmac_f32_e32 v21, 0x33a22168, v23
	s_delay_alu instid0(VALU_DEP_2) | instskip(NEXT) | instid1(VALU_DEP_1)
	v_or_b32_e32 v19, v20, v19
	v_fmac_f32_e32 v21, 0x3fc90fda, v19
	s_delay_alu instid0(VALU_DEP_1)
	v_dual_add_f32 v20, v27, v21 :: v_dual_add_nc_u32 v21, v22, v8
.LBB112_51:                             ;   in Loop: Header=BB112_41 Depth=1
	s_and_not1_saveexec_b32 s0, s12
; %bb.52:                               ;   in Loop: Header=BB112_41 Depth=1
	v_mul_f32_e64 v8, 0x3f22f983, |v4|
	s_delay_alu instid0(VALU_DEP_1) | instskip(NEXT) | instid1(VALU_DEP_1)
	v_rndne_f32_e32 v8, v8
	v_fma_f32 v20, 0xbfc90fda, v8, |v4|
	v_cvt_i32_f32_e32 v21, v8
	s_delay_alu instid0(VALU_DEP_2) | instskip(NEXT) | instid1(VALU_DEP_1)
	v_fmac_f32_e32 v20, 0xb3a22168, v8
	v_fmac_f32_e32 v20, 0xa7c234c4, v8
; %bb.53:                               ;   in Loop: Header=BB112_41 Depth=1
	s_or_b32 exec_lo, exec_lo, s0
	v_and_b32_e32 v19, 0x7fffffff, v5
                                        ; implicit-def: $vgpr22
                                        ; implicit-def: $vgpr8
	s_mov_b32 s1, exec_lo
	v_cmpx_ngt_f32_e64 0x48000000, |v5|
	s_xor_b32 s12, exec_lo, s1
	s_cbranch_execz .LBB112_55
; %bb.54:                               ;   in Loop: Header=BB112_41 Depth=1
	v_and_or_b32 v8, v19, s8, 0x800000
	v_mov_b32_e32 v33, v9
	s_delay_alu instid0(VALU_DEP_2) | instskip(NEXT) | instid1(VALU_DEP_1)
	v_mul_u64_e32 v[22:23], s[4:5], v[8:9]
	v_dual_mov_b32 v25, v9 :: v_dual_mov_b32 v24, v23
	v_lshrrev_b32_e32 v23, 23, v19
	s_delay_alu instid0(VALU_DEP_2) | instskip(SKIP_1) | instid1(VALU_DEP_3)
	v_mad_nc_u64_u32 v[24:25], 0x3c439041, v8, v[24:25]
	v_mov_b32_e32 v27, v9
	v_add_nc_u32_e32 v23, 0xffffff88, v23
	s_delay_alu instid0(VALU_DEP_1) | instskip(NEXT) | instid1(VALU_DEP_4)
	v_cmp_lt_u32_e32 vcc_lo, 63, v23
	v_mov_b32_e32 v26, v25
	v_cndmask_b32_e64 v25, 0, 0xffffffc0, vcc_lo
	s_delay_alu instid0(VALU_DEP_2) | instskip(NEXT) | instid1(VALU_DEP_1)
	v_mad_nc_u64_u32 v[26:27], 0xdb629599, v8, v[26:27]
	v_dual_mov_b32 v29, v9 :: v_dual_mov_b32 v28, v27
	s_delay_alu instid0(VALU_DEP_2) | instskip(NEXT) | instid1(VALU_DEP_2)
	v_cndmask_b32_e32 v22, v26, v22, vcc_lo
	v_mad_nc_u64_u32 v[28:29], 0xf534ddc0, v8, v[28:29]
	s_delay_alu instid0(VALU_DEP_1) | instskip(NEXT) | instid1(VALU_DEP_1)
	v_dual_mov_b32 v31, v9 :: v_dual_mov_b32 v30, v29
	v_mad_nc_u64_u32 v[30:31], 0xfc2757d1, v8, v[30:31]
	s_delay_alu instid0(VALU_DEP_1) | instskip(NEXT) | instid1(VALU_DEP_1)
	v_mov_b32_e32 v32, v31
	v_mad_nc_u64_u32 v[32:33], 0x4e441529, v8, v[32:33]
	v_add_nc_u32_e32 v23, v25, v23
	v_mov_b32_e32 v35, v9
	s_delay_alu instid0(VALU_DEP_2) | instskip(NEXT) | instid1(VALU_DEP_4)
	v_cmp_lt_u32_e64 s0, 31, v23
	v_mov_b32_e32 v34, v33
	s_delay_alu instid0(VALU_DEP_2) | instskip(NEXT) | instid1(VALU_DEP_2)
	v_cndmask_b32_e64 v25, 0, 0xffffffe0, s0
	v_mad_nc_u64_u32 v[34:35], 0xa2f9836e, v8, v[34:35]
	s_delay_alu instid0(VALU_DEP_2) | instskip(NEXT) | instid1(VALU_DEP_2)
	v_dual_cndmask_b32 v25, v32, v28 :: v_dual_add_nc_u32 v8, v25, v23
	v_cndmask_b32_e32 v27, v34, v30, vcc_lo
	s_delay_alu instid0(VALU_DEP_2) | instskip(NEXT) | instid1(VALU_DEP_4)
	v_cmp_lt_u32_e64 s1, 31, v8
	v_dual_cndmask_b32 v29, v35, v32 :: v_dual_cndmask_b32 v30, v30, v26
	s_delay_alu instid0(VALU_DEP_2) | instskip(NEXT) | instid1(VALU_DEP_1)
	v_cndmask_b32_e64 v23, 0, 0xffffffe0, s1
	v_add_nc_u32_e32 v8, v23, v8
	v_dual_cndmask_b32 v23, v28, v24, vcc_lo :: v_dual_cndmask_b32 v24, v27, v25, s0
	s_delay_alu instid0(VALU_DEP_4) | instskip(NEXT) | instid1(VALU_DEP_3)
	v_cndmask_b32_e64 v27, v29, v27, s0
	v_dual_cndmask_b32 v25, v25, v30, s0 :: v_dual_sub_nc_u32 v28, 32, v8
	s_delay_alu instid0(VALU_DEP_3) | instskip(SKIP_1) | instid1(VALU_DEP_3)
	v_cndmask_b32_e64 v29, v30, v23, s0
	v_cmp_eq_u32_e32 vcc_lo, 0, v8
	v_dual_cndmask_b32 v27, v27, v24, s1 :: v_dual_cndmask_b32 v24, v24, v25, s1
	s_delay_alu instid0(VALU_DEP_1) | instskip(NEXT) | instid1(VALU_DEP_1)
	v_alignbit_b32 v30, v27, v24, v28
	v_dual_cndmask_b32 v25, v25, v29, s1 :: v_dual_cndmask_b32 v8, v30, v27, vcc_lo
	s_delay_alu instid0(VALU_DEP_1) | instskip(NEXT) | instid1(VALU_DEP_1)
	v_alignbit_b32 v26, v24, v25, v28
	v_dual_cndmask_b32 v22, v23, v22, s0 :: v_dual_cndmask_b32 v23, v26, v24, vcc_lo
	s_delay_alu instid0(VALU_DEP_3) | instskip(NEXT) | instid1(VALU_DEP_2)
	v_bfe_u32 v24, v8, 29, 1
	v_cndmask_b32_e64 v22, v29, v22, s1
	s_delay_alu instid0(VALU_DEP_3) | instskip(NEXT) | instid1(VALU_DEP_3)
	v_alignbit_b32 v26, v8, v23, 30
	v_sub_nc_u32_e32 v27, 0, v24
	s_delay_alu instid0(VALU_DEP_3) | instskip(NEXT) | instid1(VALU_DEP_1)
	v_alignbit_b32 v28, v25, v22, v28
	v_dual_cndmask_b32 v25, v28, v25, vcc_lo :: v_dual_bitop2_b32 v26, v26, v27 bitop3:0x14
	s_delay_alu instid0(VALU_DEP_1) | instskip(NEXT) | instid1(VALU_DEP_2)
	v_clz_i32_u32_e32 v28, v26
	v_alignbit_b32 v23, v23, v25, 30
	v_alignbit_b32 v22, v25, v22, 30
	s_delay_alu instid0(VALU_DEP_3) | instskip(NEXT) | instid1(VALU_DEP_3)
	v_min_u32_e32 v28, 32, v28
	v_xor_b32_e32 v23, v23, v27
	s_delay_alu instid0(VALU_DEP_3) | instskip(NEXT) | instid1(VALU_DEP_3)
	v_dual_lshrrev_b32 v27, 29, v8 :: v_dual_bitop2_b32 v22, v22, v27 bitop3:0x14
	v_dual_sub_nc_u32 v25, 31, v28 :: v_dual_lshlrev_b32 v29, 23, v28
	s_delay_alu instid0(VALU_DEP_1) | instskip(NEXT) | instid1(VALU_DEP_3)
	v_alignbit_b32 v26, v26, v23, v25
	v_alignbit_b32 v22, v23, v22, v25
	s_delay_alu instid0(VALU_DEP_4) | instskip(NEXT) | instid1(VALU_DEP_2)
	v_lshlrev_b32_e32 v23, 31, v27
	v_alignbit_b32 v25, v26, v22, 9
	s_delay_alu instid0(VALU_DEP_2) | instskip(SKIP_1) | instid1(VALU_DEP_3)
	v_dual_lshrrev_b32 v26, 9, v26 :: v_dual_bitop2_b32 v27, 0.5, v23 bitop3:0x54
	v_or_b32_e32 v23, 0x33000000, v23
	v_clz_i32_u32_e32 v30, v25
	s_delay_alu instid0(VALU_DEP_3) | instskip(NEXT) | instid1(VALU_DEP_2)
	v_sub_nc_u32_e32 v27, v27, v29
	v_min_u32_e32 v29, 32, v30
	s_delay_alu instid0(VALU_DEP_1) | instskip(NEXT) | instid1(VALU_DEP_3)
	v_add_lshl_u32 v28, v29, v28, 23
	v_or_b32_e32 v26, v26, v27
	v_not_b32_e32 v27, v29
	s_delay_alu instid0(VALU_DEP_2) | instskip(NEXT) | instid1(VALU_DEP_2)
	v_dual_mul_f32 v30, 0x3fc90fda, v26 :: v_dual_sub_nc_u32 v23, v23, v28
	v_alignbit_b32 v22, v25, v22, v27
	s_delay_alu instid0(VALU_DEP_2) | instskip(NEXT) | instid1(VALU_DEP_2)
	v_fma_f32 v25, 0x3fc90fda, v26, -v30
	v_lshrrev_b32_e32 v22, 9, v22
	s_delay_alu instid0(VALU_DEP_2) | instskip(NEXT) | instid1(VALU_DEP_2)
	v_fmac_f32_e32 v25, 0x33a22168, v26
	v_or_b32_e32 v22, v23, v22
	s_delay_alu instid0(VALU_DEP_1) | instskip(NEXT) | instid1(VALU_DEP_1)
	v_dual_fmac_f32 v25, 0x3fc90fda, v22 :: v_dual_lshrrev_b32 v22, 30, v8
	v_dual_add_nc_u32 v22, v24, v22 :: v_dual_add_f32 v8, v30, v25
.LBB112_55:                             ;   in Loop: Header=BB112_41 Depth=1
	s_and_not1_saveexec_b32 s0, s12
	s_cbranch_execz .LBB112_40
; %bb.56:                               ;   in Loop: Header=BB112_41 Depth=1
	v_mul_f32_e64 v8, 0x3f22f983, |v5|
	s_delay_alu instid0(VALU_DEP_1) | instskip(NEXT) | instid1(VALU_DEP_1)
	v_rndne_f32_e32 v22, v8
	v_fma_f32 v8, 0xbfc90fda, v22, |v5|
	s_delay_alu instid0(VALU_DEP_1) | instskip(NEXT) | instid1(VALU_DEP_1)
	v_fmac_f32_e32 v8, 0xb3a22168, v22
	v_fmac_f32_e32 v8, 0xa7c234c4, v22
	v_cvt_i32_f32_e32 v22, v22
	s_branch .LBB112_40
.LBB112_57:
	s_endpgm
	.section	.rodata,"a",@progbits
	.p2align	6, 0x0
	.amdhsa_kernel _ZN2at6native12_GLOBAL__N_125multi_tensor_apply_kernelINS1_18TensorListMetadataILi1EEENS1_14UnaryOpFunctorIfLi1ELi1ELi0EEEJNS0_3SinIfEEEEEvT_T0_DpT1_
		.amdhsa_group_segment_fixed_size 0
		.amdhsa_private_segment_fixed_size 0
		.amdhsa_kernarg_size 3632
		.amdhsa_user_sgpr_count 2
		.amdhsa_user_sgpr_dispatch_ptr 0
		.amdhsa_user_sgpr_queue_ptr 0
		.amdhsa_user_sgpr_kernarg_segment_ptr 1
		.amdhsa_user_sgpr_dispatch_id 0
		.amdhsa_user_sgpr_kernarg_preload_length 0
		.amdhsa_user_sgpr_kernarg_preload_offset 0
		.amdhsa_user_sgpr_private_segment_size 0
		.amdhsa_wavefront_size32 1
		.amdhsa_uses_dynamic_stack 0
		.amdhsa_enable_private_segment 0
		.amdhsa_system_sgpr_workgroup_id_x 1
		.amdhsa_system_sgpr_workgroup_id_y 0
		.amdhsa_system_sgpr_workgroup_id_z 0
		.amdhsa_system_sgpr_workgroup_info 0
		.amdhsa_system_vgpr_workitem_id 0
		.amdhsa_next_free_vgpr 50
		.amdhsa_next_free_sgpr 30
		.amdhsa_named_barrier_count 0
		.amdhsa_reserve_vcc 1
		.amdhsa_float_round_mode_32 0
		.amdhsa_float_round_mode_16_64 0
		.amdhsa_float_denorm_mode_32 3
		.amdhsa_float_denorm_mode_16_64 3
		.amdhsa_fp16_overflow 0
		.amdhsa_memory_ordered 1
		.amdhsa_forward_progress 1
		.amdhsa_inst_pref_size 68
		.amdhsa_round_robin_scheduling 0
		.amdhsa_exception_fp_ieee_invalid_op 0
		.amdhsa_exception_fp_denorm_src 0
		.amdhsa_exception_fp_ieee_div_zero 0
		.amdhsa_exception_fp_ieee_overflow 0
		.amdhsa_exception_fp_ieee_underflow 0
		.amdhsa_exception_fp_ieee_inexact 0
		.amdhsa_exception_int_div_zero 0
	.end_amdhsa_kernel
	.section	.text._ZN2at6native12_GLOBAL__N_125multi_tensor_apply_kernelINS1_18TensorListMetadataILi1EEENS1_14UnaryOpFunctorIfLi1ELi1ELi0EEEJNS0_3SinIfEEEEEvT_T0_DpT1_,"axG",@progbits,_ZN2at6native12_GLOBAL__N_125multi_tensor_apply_kernelINS1_18TensorListMetadataILi1EEENS1_14UnaryOpFunctorIfLi1ELi1ELi0EEEJNS0_3SinIfEEEEEvT_T0_DpT1_,comdat
.Lfunc_end112:
	.size	_ZN2at6native12_GLOBAL__N_125multi_tensor_apply_kernelINS1_18TensorListMetadataILi1EEENS1_14UnaryOpFunctorIfLi1ELi1ELi0EEEJNS0_3SinIfEEEEEvT_T0_DpT1_, .Lfunc_end112-_ZN2at6native12_GLOBAL__N_125multi_tensor_apply_kernelINS1_18TensorListMetadataILi1EEENS1_14UnaryOpFunctorIfLi1ELi1ELi0EEEJNS0_3SinIfEEEEEvT_T0_DpT1_
                                        ; -- End function
	.set _ZN2at6native12_GLOBAL__N_125multi_tensor_apply_kernelINS1_18TensorListMetadataILi1EEENS1_14UnaryOpFunctorIfLi1ELi1ELi0EEEJNS0_3SinIfEEEEEvT_T0_DpT1_.num_vgpr, 50
	.set _ZN2at6native12_GLOBAL__N_125multi_tensor_apply_kernelINS1_18TensorListMetadataILi1EEENS1_14UnaryOpFunctorIfLi1ELi1ELi0EEEJNS0_3SinIfEEEEEvT_T0_DpT1_.num_agpr, 0
	.set _ZN2at6native12_GLOBAL__N_125multi_tensor_apply_kernelINS1_18TensorListMetadataILi1EEENS1_14UnaryOpFunctorIfLi1ELi1ELi0EEEJNS0_3SinIfEEEEEvT_T0_DpT1_.numbered_sgpr, 30
	.set _ZN2at6native12_GLOBAL__N_125multi_tensor_apply_kernelINS1_18TensorListMetadataILi1EEENS1_14UnaryOpFunctorIfLi1ELi1ELi0EEEJNS0_3SinIfEEEEEvT_T0_DpT1_.num_named_barrier, 0
	.set _ZN2at6native12_GLOBAL__N_125multi_tensor_apply_kernelINS1_18TensorListMetadataILi1EEENS1_14UnaryOpFunctorIfLi1ELi1ELi0EEEJNS0_3SinIfEEEEEvT_T0_DpT1_.private_seg_size, 0
	.set _ZN2at6native12_GLOBAL__N_125multi_tensor_apply_kernelINS1_18TensorListMetadataILi1EEENS1_14UnaryOpFunctorIfLi1ELi1ELi0EEEJNS0_3SinIfEEEEEvT_T0_DpT1_.uses_vcc, 1
	.set _ZN2at6native12_GLOBAL__N_125multi_tensor_apply_kernelINS1_18TensorListMetadataILi1EEENS1_14UnaryOpFunctorIfLi1ELi1ELi0EEEJNS0_3SinIfEEEEEvT_T0_DpT1_.uses_flat_scratch, 0
	.set _ZN2at6native12_GLOBAL__N_125multi_tensor_apply_kernelINS1_18TensorListMetadataILi1EEENS1_14UnaryOpFunctorIfLi1ELi1ELi0EEEJNS0_3SinIfEEEEEvT_T0_DpT1_.has_dyn_sized_stack, 0
	.set _ZN2at6native12_GLOBAL__N_125multi_tensor_apply_kernelINS1_18TensorListMetadataILi1EEENS1_14UnaryOpFunctorIfLi1ELi1ELi0EEEJNS0_3SinIfEEEEEvT_T0_DpT1_.has_recursion, 0
	.set _ZN2at6native12_GLOBAL__N_125multi_tensor_apply_kernelINS1_18TensorListMetadataILi1EEENS1_14UnaryOpFunctorIfLi1ELi1ELi0EEEJNS0_3SinIfEEEEEvT_T0_DpT1_.has_indirect_call, 0
	.section	.AMDGPU.csdata,"",@progbits
; Kernel info:
; codeLenInByte = 8684
; TotalNumSgprs: 32
; NumVgprs: 50
; ScratchSize: 0
; MemoryBound: 0
; FloatMode: 240
; IeeeMode: 1
; LDSByteSize: 0 bytes/workgroup (compile time only)
; SGPRBlocks: 0
; VGPRBlocks: 3
; NumSGPRsForWavesPerEU: 32
; NumVGPRsForWavesPerEU: 50
; NamedBarCnt: 0
; Occupancy: 16
; WaveLimiterHint : 0
; COMPUTE_PGM_RSRC2:SCRATCH_EN: 0
; COMPUTE_PGM_RSRC2:USER_SGPR: 2
; COMPUTE_PGM_RSRC2:TRAP_HANDLER: 0
; COMPUTE_PGM_RSRC2:TGID_X_EN: 1
; COMPUTE_PGM_RSRC2:TGID_Y_EN: 0
; COMPUTE_PGM_RSRC2:TGID_Z_EN: 0
; COMPUTE_PGM_RSRC2:TIDIG_COMP_CNT: 0
	.section	.text._ZN2at6native12_GLOBAL__N_125multi_tensor_apply_kernelINS1_18TensorListMetadataILi1EEENS1_14UnaryOpFunctorIN3c107complexIdEELi1ELi1ELi0EEEJNS0_3SinIS8_EEEEEvT_T0_DpT1_,"axG",@progbits,_ZN2at6native12_GLOBAL__N_125multi_tensor_apply_kernelINS1_18TensorListMetadataILi1EEENS1_14UnaryOpFunctorIN3c107complexIdEELi1ELi1ELi0EEEJNS0_3SinIS8_EEEEEvT_T0_DpT1_,comdat
	.globl	_ZN2at6native12_GLOBAL__N_125multi_tensor_apply_kernelINS1_18TensorListMetadataILi1EEENS1_14UnaryOpFunctorIN3c107complexIdEELi1ELi1ELi0EEEJNS0_3SinIS8_EEEEEvT_T0_DpT1_ ; -- Begin function _ZN2at6native12_GLOBAL__N_125multi_tensor_apply_kernelINS1_18TensorListMetadataILi1EEENS1_14UnaryOpFunctorIN3c107complexIdEELi1ELi1ELi0EEEJNS0_3SinIS8_EEEEEvT_T0_DpT1_
	.p2align	8
	.type	_ZN2at6native12_GLOBAL__N_125multi_tensor_apply_kernelINS1_18TensorListMetadataILi1EEENS1_14UnaryOpFunctorIN3c107complexIdEELi1ELi1ELi0EEEJNS0_3SinIS8_EEEEEvT_T0_DpT1_,@function
_ZN2at6native12_GLOBAL__N_125multi_tensor_apply_kernelINS1_18TensorListMetadataILi1EEENS1_14UnaryOpFunctorIN3c107complexIdEELi1ELi1ELi0EEEJNS0_3SinIS8_EEEEEvT_T0_DpT1_: ; @_ZN2at6native12_GLOBAL__N_125multi_tensor_apply_kernelINS1_18TensorListMetadataILi1EEENS1_14UnaryOpFunctorIN3c107complexIdEELi1ELi1ELi0EEEJNS0_3SinIS8_EEEEEvT_T0_DpT1_
; %bb.0:
	s_mov_b64 s[10:11], s[0:1]
	s_bfe_u32 s0, ttmp6, 0x4000c
	s_and_b32 s1, ttmp6, 15
	s_add_co_i32 s0, s0, 1
	s_getreg_b32 s2, hwreg(HW_REG_IB_STS2, 6, 4)
	s_mul_i32 s0, ttmp9, s0
	v_mov_b32_e32 v60, v0
	s_add_co_i32 s1, s1, s0
	s_cmp_eq_u32 s2, 0
	s_mov_b32 s32, 0
	s_cselect_b32 s0, ttmp9, s1
	s_mov_b32 s1, 0
	s_load_u8 s8, s[10:11], s0 offset:0x6e0
	s_add_nc_u64 s[2:3], s[10:11], s[0:1]
	s_mul_u64 s[4:5], s[0:1], 3
	s_delay_alu instid0(SALU_CYCLE_1)
	s_add_nc_u64 s[2:3], s[2:3], s[4:5]
	s_load_b32 s4, s[2:3], 0x820
	s_wait_kmcnt 0x0
	s_clause 0x1
	s_load_b64 s[16:17], s[10:11], s8 offset:0x0 scale_offset
	s_load_b64 s[6:7], s[10:11], s8 offset:0x370 scale_offset
	s_ashr_i32 s5, s4, 31
	s_delay_alu instid0(SALU_CYCLE_1) | instskip(SKIP_3) | instid1(SALU_CYCLE_1)
	s_lshl_b64 s[18:19], s[4:5], 20
	s_wait_kmcnt 0x0
	s_and_b32 s0, s6, 3
	s_add_nc_u64 s[22:23], s[16:17], s[18:19]
	s_and_b64 s[2:3], s[22:23], 63
	s_delay_alu instid0(SALU_CYCLE_1)
	s_or_b64 s[0:1], s[2:3], s[0:1]
	s_lshl_b64 s[2:3], s[4:5], 16
	s_cmp_eq_u64 s[0:1], 0
	s_sub_nc_u64 s[20:21], s[6:7], s[2:3]
	s_cbranch_scc1 .LBB113_21
; %bb.1:
	v_cmp_lt_i64_e64 s0, s[20:21], 1
	s_and_b32 vcc_lo, exec_lo, s0
	s_cbranch_vccnz .LBB113_20
; %bb.2:
	s_load_b32 s0, s[10:11], 0xd3c
	v_min_i64 v[62:63], 0x10000, s[20:21]
	v_min_u64 v[72:73], 0x10000, s[20:21]
	v_dual_mov_b32 v61, 0 :: v_dual_lshlrev_b32 v74, 4, v60
	s_mov_b32 s1, 0
	s_mov_b64 s[34:35], 0
	s_mov_b32 s3, s1
	s_delay_alu instid0(VALU_DEP_1)
	v_dual_mov_b32 v75, v61 :: v_dual_mov_b32 v87, v61
	s_mov_b32 s5, s1
	s_mov_b32 s25, s1
	s_mov_b32 s27, s1
	s_get_pc_i64 s[28:29]
	s_add_nc_u64 s[28:29], s[28:29], _ZN6thrust23THRUST_200600_302600_NS6detail7complex5csinhERKNS0_7complexIdEE@rel64+4
	s_wait_kmcnt 0x0
	s_and_b32 s0, s0, 0xffff
	s_delay_alu instid0(SALU_CYCLE_1)
	v_mad_nc_u64_u32 v[78:79], s0, 48, v[74:75]
	s_lshl_b32 s2, s0, 1
	s_mul_i32 s4, s0, 3
	s_lshl_b32 s24, s0, 2
	s_lshl_b32 s26, s0, 6
	v_add_nc_u64_e32 v[76:77], s[0:1], v[60:61]
	s_lshl_b32 s0, s0, 5
	v_add_nc_u64_e32 v[88:89], s[4:5], v[60:61]
	v_add_nc_u64_e32 v[84:85], s[0:1], v[74:75]
	;; [unrolled: 1-line block ×3, first 2 shown]
	s_delay_alu instid0(VALU_DEP_4) | instskip(NEXT) | instid1(VALU_DEP_3)
	v_dual_lshlrev_b32 v86, 4, v76 :: v_dual_bitop2_b32 v78, 8, v78 bitop3:0x54
	v_or_b32_e32 v84, 8, v84
	s_branch .LBB113_4
.LBB113_3:                              ;   in Loop: Header=BB113_4 Depth=1
	s_wait_xcnt 0x0
	s_or_b32 exec_lo, exec_lo, s13
	s_add_nc_u64 s[34:35], s[34:35], s[24:25]
	s_add_nc_u64 s[22:23], s[22:23], s[26:27]
	v_cmp_lt_i64_e32 vcc_lo, s[34:35], v[62:63]
	s_cbranch_vccz .LBB113_20
.LBB113_4:                              ; =>This Inner Loop Header: Depth=1
	v_add_nc_u64_e32 v[0:1], s[34:35], v[60:61]
	s_wait_loadcnt 0x0
	v_mov_b64_e32 v[46:47], 0
	v_add_nc_u64_e32 v[98:99], s[22:23], v[74:75]
	v_mov_b64_e32 v[4:5], 0
	v_mov_b64_e32 v[2:3], 0
	v_cmp_lt_u64_e32 vcc_lo, v[0:1], v[72:73]
	s_and_saveexec_b32 s0, vcc_lo
	s_cbranch_execz .LBB113_6
; %bb.5:                                ;   in Loop: Header=BB113_4 Depth=1
	global_load_b128 v[2:5], v[98:99], off
.LBB113_6:                              ;   in Loop: Header=BB113_4 Depth=1
	s_wait_xcnt 0x0
	s_or_b32 exec_lo, exec_lo, s0
	v_add_nc_u64_e32 v[0:1], s[34:35], v[76:77]
	v_add_nc_u64_e32 v[96:97], s[22:23], v[86:87]
	v_mov_b64_e32 v[44:45], 0
	s_delay_alu instid0(VALU_DEP_3)
	v_cmp_lt_u64_e64 s14, v[0:1], v[72:73]
	s_and_saveexec_b32 s0, s14
	s_cbranch_execz .LBB113_8
; %bb.7:                                ;   in Loop: Header=BB113_4 Depth=1
	global_load_b128 v[44:47], v[96:97], off
.LBB113_8:                              ;   in Loop: Header=BB113_4 Depth=1
	s_wait_xcnt 0x0
	s_or_b32 exec_lo, exec_lo, s0
	v_add_nc_u64_e32 v[0:1], s[34:35], v[90:91]
	v_mov_b64_e32 v[42:43], 0
	v_add_nc_u64_e32 v[94:95], s[22:23], v[84:85]
	v_mov_b64_e32 v[58:59], 0
	v_mov_b64_e32 v[56:57], 0
	v_cmp_lt_u64_e64 s13, v[0:1], v[72:73]
	s_and_saveexec_b32 s0, s13
	s_cbranch_execz .LBB113_10
; %bb.9:                                ;   in Loop: Header=BB113_4 Depth=1
	global_load_b128 v[56:59], v[94:95], off offset:-8
.LBB113_10:                             ;   in Loop: Header=BB113_4 Depth=1
	s_wait_xcnt 0x0
	s_or_b32 exec_lo, exec_lo, s0
	v_add_nc_u64_e32 v[0:1], s[34:35], v[88:89]
	v_add_nc_u64_e32 v[92:93], s[22:23], v[78:79]
	v_mov_b64_e32 v[40:41], 0
	s_delay_alu instid0(VALU_DEP_3)
	v_cmp_lt_u64_e64 s12, v[0:1], v[72:73]
	s_and_saveexec_b32 s0, s12
	s_cbranch_execnz .LBB113_15
; %bb.11:                               ;   in Loop: Header=BB113_4 Depth=1
	s_or_b32 exec_lo, exec_lo, s0
	s_and_saveexec_b32 s15, vcc_lo
	s_cbranch_execnz .LBB113_16
.LBB113_12:                             ;   in Loop: Header=BB113_4 Depth=1
	s_or_b32 exec_lo, exec_lo, s15
	s_and_saveexec_b32 s15, s14
	s_cbranch_execnz .LBB113_17
.LBB113_13:                             ;   in Loop: Header=BB113_4 Depth=1
	s_or_b32 exec_lo, exec_lo, s15
	s_and_saveexec_b32 s14, s13
	s_cbranch_execnz .LBB113_18
.LBB113_14:                             ;   in Loop: Header=BB113_4 Depth=1
	s_or_b32 exec_lo, exec_lo, s14
	s_and_saveexec_b32 s13, s12
	s_cbranch_execz .LBB113_3
	s_branch .LBB113_19
.LBB113_15:                             ;   in Loop: Header=BB113_4 Depth=1
	global_load_b128 v[40:43], v[92:93], off offset:-8
	s_wait_xcnt 0x0
	s_or_b32 exec_lo, exec_lo, s0
	s_and_saveexec_b32 s15, vcc_lo
	s_cbranch_execz .LBB113_12
.LBB113_16:                             ;   in Loop: Header=BB113_4 Depth=1
	s_wait_loadcnt 0x0
	v_xor_b32_e32 v1, 0x80000000, v5
	v_mov_b32_e32 v0, v4
	s_swap_pc_i64 s[30:31], s[28:29]
	s_delay_alu instid0(VALU_DEP_1) | instskip(NEXT) | instid1(VALU_DEP_3)
	v_mov_b32_e32 v4, v0
	v_xor_b32_e32 v5, 0x80000000, v1
	global_store_b128 v[98:99], v[2:5], off
	s_wait_xcnt 0x0
	s_or_b32 exec_lo, exec_lo, s15
	s_and_saveexec_b32 s15, s14
	s_cbranch_execz .LBB113_13
.LBB113_17:                             ;   in Loop: Header=BB113_4 Depth=1
	s_wait_loadcnt 0x0
	v_xor_b32_e32 v1, 0x80000000, v47
	v_dual_mov_b32 v0, v46 :: v_dual_mov_b32 v2, v44
	v_mov_b32_e32 v3, v45
	s_swap_pc_i64 s[30:31], s[28:29]
	s_delay_alu instid0(VALU_DEP_2)
	v_mov_b32_e32 v4, v0
	v_xor_b32_e32 v5, 0x80000000, v1
	global_store_b128 v[96:97], v[2:5], off
	s_wait_xcnt 0x0
	s_or_b32 exec_lo, exec_lo, s15
	s_and_saveexec_b32 s14, s13
	s_cbranch_execz .LBB113_14
.LBB113_18:                             ;   in Loop: Header=BB113_4 Depth=1
	s_wait_loadcnt 0x0
	v_xor_b32_e32 v1, 0x80000000, v59
	v_dual_mov_b32 v0, v58 :: v_dual_mov_b32 v2, v56
	v_mov_b32_e32 v3, v57
	s_swap_pc_i64 s[30:31], s[28:29]
	s_delay_alu instid0(VALU_DEP_2)
	v_mov_b32_e32 v4, v0
	v_xor_b32_e32 v5, 0x80000000, v1
	global_store_b128 v[94:95], v[2:5], off offset:-8
	s_wait_xcnt 0x0
	s_or_b32 exec_lo, exec_lo, s14
	s_and_saveexec_b32 s13, s12
	s_cbranch_execz .LBB113_3
.LBB113_19:                             ;   in Loop: Header=BB113_4 Depth=1
	s_wait_loadcnt 0x0
	v_xor_b32_e32 v1, 0x80000000, v43
	v_dual_mov_b32 v0, v42 :: v_dual_mov_b32 v2, v40
	v_mov_b32_e32 v3, v41
	s_swap_pc_i64 s[30:31], s[28:29]
	s_delay_alu instid0(VALU_DEP_2)
	v_mov_b32_e32 v4, v0
	v_xor_b32_e32 v5, 0x80000000, v1
	global_store_b128 v[92:93], v[2:5], off offset:-8
	s_branch .LBB113_3
.LBB113_20:
	s_cbranch_execz .LBB113_22
	s_branch .LBB113_25
.LBB113_21:
.LBB113_22:
	v_min_i64 v[62:63], 0x10000, s[20:21]
	v_dual_mov_b32 v1, 0 :: v_dual_lshlrev_b32 v0, 2, v60
	s_mov_b32 s0, exec_lo
	s_delay_alu instid0(VALU_DEP_1)
	v_cmpx_lt_i64_e64 v[0:1], v[62:63]
	s_cbranch_execz .LBB113_25
; %bb.23:
	s_load_b32 s2, s[10:11], 0xd3c
	v_dual_mov_b32 v61, v1 :: v_dual_lshlrev_b32 v0, 6, v60
	s_add_nc_u64 s[0:1], s[16:17], s[18:19]
	s_wait_xcnt 0x0
	s_mov_b32 s11, 0
	s_get_pc_i64 s[12:13]
	s_add_nc_u64 s[12:13], s[12:13], _ZN6thrust23THRUST_200600_302600_NS6detail7complex5csinhERKNS0_7complexIdEE@rel64+4
	v_add_nc_u64_e32 v[76:77], s[0:1], v[0:1]
	s_mov_b32 s15, s11
	s_mov_b32 s16, s11
	s_wait_kmcnt 0x0
	s_and_b32 s10, s2, 0xffff
	s_delay_alu instid0(SALU_CYCLE_1)
	s_lshl_b32 s14, s10, 6
.LBB113_24:                             ; =>This Inner Loop Header: Depth=1
	s_wait_loadcnt 0x0
	s_clause 0x3
	global_load_b128 v[2:5], v[76:77], off
	global_load_b128 v[40:43], v[76:77], off offset:16
	global_load_b128 v[44:47], v[76:77], off offset:48
	global_load_b128 v[56:59], v[76:77], off offset:32
	s_wait_loadcnt 0x3
	v_xor_b32_e32 v1, 0x80000000, v5
	v_mov_b32_e32 v0, v4
	s_swap_pc_i64 s[30:31], s[12:13]
	s_delay_alu instid0(VALU_DEP_1) | instskip(SKIP_3) | instid1(VALU_DEP_3)
	v_dual_mov_b32 v74, v0 :: v_dual_mov_b32 v72, v2
	v_xor_b32_e32 v2, 0x80000000, v43
	v_dual_mov_b32 v73, v3 :: v_dual_mov_b32 v0, v42
	v_xor_b32_e32 v75, 0x80000000, v1
	v_dual_mov_b32 v3, v41 :: v_dual_mov_b32 v1, v2
	v_mov_b32_e32 v2, v40
	s_swap_pc_i64 s[30:31], s[12:13]
	s_delay_alu instid0(VALU_DEP_1) | instskip(SKIP_3) | instid1(VALU_DEP_3)
	v_dual_mov_b32 v42, v0 :: v_dual_mov_b32 v40, v2
	v_xor_b32_e32 v2, 0x80000000, v59
	v_dual_mov_b32 v41, v3 :: v_dual_mov_b32 v0, v58
	v_xor_b32_e32 v43, 0x80000000, v1
	v_dual_mov_b32 v3, v57 :: v_dual_mov_b32 v1, v2
	;; [unrolled: 8-line block ×3, first 2 shown]
	v_mov_b32_e32 v2, v44
	s_swap_pc_i64 s[30:31], s[12:13]
	v_add_nc_u64_e32 v[60:61], s[10:11], v[60:61]
	v_mov_b32_e32 v4, v0
	v_xor_b32_e32 v5, 0x80000000, v1
	s_clause 0x3
	global_store_b128 v[76:77], v[72:75], off
	global_store_b128 v[76:77], v[40:43], off offset:16
	global_store_b128 v[76:77], v[56:59], off offset:32
	;; [unrolled: 1-line block ×3, first 2 shown]
	v_lshlrev_b64_e32 v[6:7], 2, v[60:61]
	s_wait_xcnt 0x0
	v_add_nc_u64_e32 v[76:77], s[14:15], v[76:77]
	s_delay_alu instid0(VALU_DEP_2) | instskip(SKIP_1) | instid1(SALU_CYCLE_1)
	v_cmp_ge_i64_e32 vcc_lo, v[6:7], v[62:63]
	s_or_b32 s16, vcc_lo, s16
	s_and_not1_b32 exec_lo, exec_lo, s16
	s_cbranch_execnz .LBB113_24
.LBB113_25:
	s_endpgm
	.section	.rodata,"a",@progbits
	.p2align	6, 0x0
	.amdhsa_kernel _ZN2at6native12_GLOBAL__N_125multi_tensor_apply_kernelINS1_18TensorListMetadataILi1EEENS1_14UnaryOpFunctorIN3c107complexIdEELi1ELi1ELi0EEEJNS0_3SinIS8_EEEEEvT_T0_DpT1_
		.amdhsa_group_segment_fixed_size 0
		.amdhsa_private_segment_fixed_size 0
		.amdhsa_kernarg_size 3632
		.amdhsa_user_sgpr_count 2
		.amdhsa_user_sgpr_dispatch_ptr 0
		.amdhsa_user_sgpr_queue_ptr 0
		.amdhsa_user_sgpr_kernarg_segment_ptr 1
		.amdhsa_user_sgpr_dispatch_id 0
		.amdhsa_user_sgpr_kernarg_preload_length 0
		.amdhsa_user_sgpr_kernarg_preload_offset 0
		.amdhsa_user_sgpr_private_segment_size 0
		.amdhsa_wavefront_size32 1
		.amdhsa_uses_dynamic_stack 0
		.amdhsa_enable_private_segment 0
		.amdhsa_system_sgpr_workgroup_id_x 1
		.amdhsa_system_sgpr_workgroup_id_y 0
		.amdhsa_system_sgpr_workgroup_id_z 0
		.amdhsa_system_sgpr_workgroup_info 0
		.amdhsa_system_vgpr_workitem_id 0
		.amdhsa_next_free_vgpr 100
		.amdhsa_next_free_sgpr 36
		.amdhsa_named_barrier_count 0
		.amdhsa_reserve_vcc 1
		.amdhsa_float_round_mode_32 0
		.amdhsa_float_round_mode_16_64 0
		.amdhsa_float_denorm_mode_32 3
		.amdhsa_float_denorm_mode_16_64 3
		.amdhsa_fp16_overflow 0
		.amdhsa_memory_ordered 1
		.amdhsa_forward_progress 1
		.amdhsa_inst_pref_size 12
		.amdhsa_round_robin_scheduling 0
		.amdhsa_exception_fp_ieee_invalid_op 0
		.amdhsa_exception_fp_denorm_src 0
		.amdhsa_exception_fp_ieee_div_zero 0
		.amdhsa_exception_fp_ieee_overflow 0
		.amdhsa_exception_fp_ieee_underflow 0
		.amdhsa_exception_fp_ieee_inexact 0
		.amdhsa_exception_int_div_zero 0
	.end_amdhsa_kernel
	.section	.text._ZN2at6native12_GLOBAL__N_125multi_tensor_apply_kernelINS1_18TensorListMetadataILi1EEENS1_14UnaryOpFunctorIN3c107complexIdEELi1ELi1ELi0EEEJNS0_3SinIS8_EEEEEvT_T0_DpT1_,"axG",@progbits,_ZN2at6native12_GLOBAL__N_125multi_tensor_apply_kernelINS1_18TensorListMetadataILi1EEENS1_14UnaryOpFunctorIN3c107complexIdEELi1ELi1ELi0EEEJNS0_3SinIS8_EEEEEvT_T0_DpT1_,comdat
.Lfunc_end113:
	.size	_ZN2at6native12_GLOBAL__N_125multi_tensor_apply_kernelINS1_18TensorListMetadataILi1EEENS1_14UnaryOpFunctorIN3c107complexIdEELi1ELi1ELi0EEEJNS0_3SinIS8_EEEEEvT_T0_DpT1_, .Lfunc_end113-_ZN2at6native12_GLOBAL__N_125multi_tensor_apply_kernelINS1_18TensorListMetadataILi1EEENS1_14UnaryOpFunctorIN3c107complexIdEELi1ELi1ELi0EEEJNS0_3SinIS8_EEEEEvT_T0_DpT1_
                                        ; -- End function
	.set _ZN2at6native12_GLOBAL__N_125multi_tensor_apply_kernelINS1_18TensorListMetadataILi1EEENS1_14UnaryOpFunctorIN3c107complexIdEELi1ELi1ELi0EEEJNS0_3SinIS8_EEEEEvT_T0_DpT1_.num_vgpr, max(100, .L_ZN6thrust23THRUST_200600_302600_NS6detail7complex5csinhERKNS0_7complexIdEE.num_vgpr)
	.set _ZN2at6native12_GLOBAL__N_125multi_tensor_apply_kernelINS1_18TensorListMetadataILi1EEENS1_14UnaryOpFunctorIN3c107complexIdEELi1ELi1ELi0EEEJNS0_3SinIS8_EEEEEvT_T0_DpT1_.num_agpr, max(0, .L_ZN6thrust23THRUST_200600_302600_NS6detail7complex5csinhERKNS0_7complexIdEE.num_agpr)
	.set _ZN2at6native12_GLOBAL__N_125multi_tensor_apply_kernelINS1_18TensorListMetadataILi1EEENS1_14UnaryOpFunctorIN3c107complexIdEELi1ELi1ELi0EEEJNS0_3SinIS8_EEEEEvT_T0_DpT1_.numbered_sgpr, max(36, .L_ZN6thrust23THRUST_200600_302600_NS6detail7complex5csinhERKNS0_7complexIdEE.numbered_sgpr)
	.set _ZN2at6native12_GLOBAL__N_125multi_tensor_apply_kernelINS1_18TensorListMetadataILi1EEENS1_14UnaryOpFunctorIN3c107complexIdEELi1ELi1ELi0EEEJNS0_3SinIS8_EEEEEvT_T0_DpT1_.num_named_barrier, max(0, .L_ZN6thrust23THRUST_200600_302600_NS6detail7complex5csinhERKNS0_7complexIdEE.num_named_barrier)
	.set _ZN2at6native12_GLOBAL__N_125multi_tensor_apply_kernelINS1_18TensorListMetadataILi1EEENS1_14UnaryOpFunctorIN3c107complexIdEELi1ELi1ELi0EEEJNS0_3SinIS8_EEEEEvT_T0_DpT1_.private_seg_size, 0+max(.L_ZN6thrust23THRUST_200600_302600_NS6detail7complex5csinhERKNS0_7complexIdEE.private_seg_size)
	.set _ZN2at6native12_GLOBAL__N_125multi_tensor_apply_kernelINS1_18TensorListMetadataILi1EEENS1_14UnaryOpFunctorIN3c107complexIdEELi1ELi1ELi0EEEJNS0_3SinIS8_EEEEEvT_T0_DpT1_.uses_vcc, or(1, .L_ZN6thrust23THRUST_200600_302600_NS6detail7complex5csinhERKNS0_7complexIdEE.uses_vcc)
	.set _ZN2at6native12_GLOBAL__N_125multi_tensor_apply_kernelINS1_18TensorListMetadataILi1EEENS1_14UnaryOpFunctorIN3c107complexIdEELi1ELi1ELi0EEEJNS0_3SinIS8_EEEEEvT_T0_DpT1_.uses_flat_scratch, or(0, .L_ZN6thrust23THRUST_200600_302600_NS6detail7complex5csinhERKNS0_7complexIdEE.uses_flat_scratch)
	.set _ZN2at6native12_GLOBAL__N_125multi_tensor_apply_kernelINS1_18TensorListMetadataILi1EEENS1_14UnaryOpFunctorIN3c107complexIdEELi1ELi1ELi0EEEJNS0_3SinIS8_EEEEEvT_T0_DpT1_.has_dyn_sized_stack, or(0, .L_ZN6thrust23THRUST_200600_302600_NS6detail7complex5csinhERKNS0_7complexIdEE.has_dyn_sized_stack)
	.set _ZN2at6native12_GLOBAL__N_125multi_tensor_apply_kernelINS1_18TensorListMetadataILi1EEENS1_14UnaryOpFunctorIN3c107complexIdEELi1ELi1ELi0EEEJNS0_3SinIS8_EEEEEvT_T0_DpT1_.has_recursion, or(0, .L_ZN6thrust23THRUST_200600_302600_NS6detail7complex5csinhERKNS0_7complexIdEE.has_recursion)
	.set _ZN2at6native12_GLOBAL__N_125multi_tensor_apply_kernelINS1_18TensorListMetadataILi1EEENS1_14UnaryOpFunctorIN3c107complexIdEELi1ELi1ELi0EEEJNS0_3SinIS8_EEEEEvT_T0_DpT1_.has_indirect_call, or(0, .L_ZN6thrust23THRUST_200600_302600_NS6detail7complex5csinhERKNS0_7complexIdEE.has_indirect_call)
	.section	.AMDGPU.csdata,"",@progbits
; Kernel info:
; codeLenInByte = 1420
; TotalNumSgprs: 38
; NumVgprs: 100
; ScratchSize: 0
; MemoryBound: 1
; FloatMode: 240
; IeeeMode: 1
; LDSByteSize: 0 bytes/workgroup (compile time only)
; SGPRBlocks: 0
; VGPRBlocks: 6
; NumSGPRsForWavesPerEU: 38
; NumVGPRsForWavesPerEU: 100
; NamedBarCnt: 0
; Occupancy: 9
; WaveLimiterHint : 0
; COMPUTE_PGM_RSRC2:SCRATCH_EN: 0
; COMPUTE_PGM_RSRC2:USER_SGPR: 2
; COMPUTE_PGM_RSRC2:TRAP_HANDLER: 0
; COMPUTE_PGM_RSRC2:TGID_X_EN: 1
; COMPUTE_PGM_RSRC2:TGID_Y_EN: 0
; COMPUTE_PGM_RSRC2:TGID_Z_EN: 0
; COMPUTE_PGM_RSRC2:TIDIG_COMP_CNT: 0
	.section	.text._ZN2at6native12_GLOBAL__N_125multi_tensor_apply_kernelINS1_18TensorListMetadataILi1EEENS1_14UnaryOpFunctorIN3c107complexIfEELi1ELi1ELi0EEEJNS0_3SinIS8_EEEEEvT_T0_DpT1_,"axG",@progbits,_ZN2at6native12_GLOBAL__N_125multi_tensor_apply_kernelINS1_18TensorListMetadataILi1EEENS1_14UnaryOpFunctorIN3c107complexIfEELi1ELi1ELi0EEEJNS0_3SinIS8_EEEEEvT_T0_DpT1_,comdat
	.globl	_ZN2at6native12_GLOBAL__N_125multi_tensor_apply_kernelINS1_18TensorListMetadataILi1EEENS1_14UnaryOpFunctorIN3c107complexIfEELi1ELi1ELi0EEEJNS0_3SinIS8_EEEEEvT_T0_DpT1_ ; -- Begin function _ZN2at6native12_GLOBAL__N_125multi_tensor_apply_kernelINS1_18TensorListMetadataILi1EEENS1_14UnaryOpFunctorIN3c107complexIfEELi1ELi1ELi0EEEJNS0_3SinIS8_EEEEEvT_T0_DpT1_
	.p2align	8
	.type	_ZN2at6native12_GLOBAL__N_125multi_tensor_apply_kernelINS1_18TensorListMetadataILi1EEENS1_14UnaryOpFunctorIN3c107complexIfEELi1ELi1ELi0EEEJNS0_3SinIS8_EEEEEvT_T0_DpT1_,@function
_ZN2at6native12_GLOBAL__N_125multi_tensor_apply_kernelINS1_18TensorListMetadataILi1EEENS1_14UnaryOpFunctorIN3c107complexIfEELi1ELi1ELi0EEEJNS0_3SinIS8_EEEEEvT_T0_DpT1_: ; @_ZN2at6native12_GLOBAL__N_125multi_tensor_apply_kernelINS1_18TensorListMetadataILi1EEENS1_14UnaryOpFunctorIN3c107complexIfEELi1ELi1ELi0EEEJNS0_3SinIS8_EEEEEvT_T0_DpT1_
; %bb.0:
	s_mov_b64 s[10:11], s[0:1]
	s_bfe_u32 s0, ttmp6, 0x4000c
	s_and_b32 s1, ttmp6, 15
	s_add_co_i32 s0, s0, 1
	s_getreg_b32 s2, hwreg(HW_REG_IB_STS2, 6, 4)
	s_mul_i32 s0, ttmp9, s0
	v_mov_b32_e32 v22, v0
	s_add_co_i32 s1, s1, s0
	s_cmp_eq_u32 s2, 0
	s_mov_b32 s32, 0
	s_cselect_b32 s0, ttmp9, s1
	s_mov_b32 s1, 0
	s_load_u8 s8, s[10:11], s0 offset:0x6e0
	s_add_nc_u64 s[2:3], s[10:11], s[0:1]
	s_mul_u64 s[4:5], s[0:1], 3
	s_delay_alu instid0(SALU_CYCLE_1)
	s_add_nc_u64 s[2:3], s[2:3], s[4:5]
	s_load_b32 s4, s[2:3], 0x820
	s_wait_kmcnt 0x0
	s_clause 0x1
	s_load_b64 s[16:17], s[10:11], s8 offset:0x0 scale_offset
	s_load_b64 s[6:7], s[10:11], s8 offset:0x370 scale_offset
	s_ashr_i32 s5, s4, 31
	s_delay_alu instid0(SALU_CYCLE_1) | instskip(SKIP_3) | instid1(SALU_CYCLE_1)
	s_lshl_b64 s[18:19], s[4:5], 19
	s_wait_kmcnt 0x0
	s_and_b32 s0, s6, 3
	s_add_nc_u64 s[22:23], s[16:17], s[18:19]
	s_and_b64 s[2:3], s[22:23], 31
	s_delay_alu instid0(SALU_CYCLE_1)
	s_or_b64 s[0:1], s[2:3], s[0:1]
	s_lshl_b64 s[2:3], s[4:5], 16
	s_cmp_eq_u64 s[0:1], 0
	s_sub_nc_u64 s[20:21], s[6:7], s[2:3]
	s_cbranch_scc1 .LBB114_21
; %bb.1:
	v_cmp_lt_i64_e64 s0, s[20:21], 1
	s_and_b32 vcc_lo, exec_lo, s0
	s_cbranch_vccnz .LBB114_20
; %bb.2:
	s_load_b32 s0, s[10:11], 0xd3c
	v_min_i64 v[24:25], 0x10000, s[20:21]
	v_min_u64 v[26:27], 0x10000, s[20:21]
	v_dual_mov_b32 v23, 0 :: v_dual_lshlrev_b32 v28, 3, v22
	s_mov_b32 s29, 0
	s_mov_b64 s[34:35], 0
	s_mov_b32 s1, s29
	s_delay_alu instid0(VALU_DEP_1)
	v_dual_mov_b32 v29, v23 :: v_dual_mov_b32 v31, v23
	s_mov_b32 s3, s29
	s_mov_b32 s5, s29
	;; [unrolled: 1-line block ×3, first 2 shown]
	s_get_pc_i64 s[26:27]
	s_add_nc_u64 s[26:27], s[26:27], _ZN6thrust23THRUST_200600_302600_NS6detail7complex6csinhfERKNS0_7complexIfEE@rel64+4
	s_wait_kmcnt 0x0
	s_and_b32 s28, s0, 0xffff
	s_delay_alu instid0(SALU_CYCLE_1)
	v_add_nc_u64_e32 v[32:33], s[28:29], v[22:23]
	v_mad_nc_u64_u32 v[34:35], s28, 24, v[28:29]
	s_lshl_b32 s0, s28, 1
	s_mul_i32 s2, s28, 3
	s_lshl_b32 s4, s28, 4
	v_add_nc_u64_e32 v[36:37], s[2:3], v[22:23]
	v_add_nc_u64_e32 v[38:39], s[4:5], v[28:29]
	;; [unrolled: 1-line block ×3, first 2 shown]
	v_lshlrev_b32_e32 v30, 3, v32
	s_lshl_b32 s24, s28, 2
	s_lshl_b32 s28, s28, 5
	s_branch .LBB114_4
.LBB114_3:                              ;   in Loop: Header=BB114_4 Depth=1
	s_wait_xcnt 0x0
	s_or_b32 exec_lo, exec_lo, s13
	s_add_nc_u64 s[34:35], s[34:35], s[24:25]
	s_add_nc_u64 s[22:23], s[22:23], s[28:29]
	v_cmp_lt_i64_e32 vcc_lo, s[34:35], v[24:25]
	s_cbranch_vccz .LBB114_20
.LBB114_4:                              ; =>This Inner Loop Header: Depth=1
	v_add_nc_u64_e32 v[0:1], s[34:35], v[22:23]
	v_add_nc_u64_e32 v[50:51], s[22:23], v[28:29]
	s_wait_loadcnt 0x0
	v_dual_mov_b32 v2, 0 :: v_dual_mov_b32 v3, 0
	s_delay_alu instid0(VALU_DEP_3)
	v_cmp_lt_u64_e32 vcc_lo, v[0:1], v[26:27]
	s_and_saveexec_b32 s0, vcc_lo
	s_cbranch_execz .LBB114_6
; %bb.5:                                ;   in Loop: Header=BB114_4 Depth=1
	global_load_b64 v[2:3], v[50:51], off
.LBB114_6:                              ;   in Loop: Header=BB114_4 Depth=1
	s_wait_xcnt 0x0
	s_or_b32 exec_lo, exec_lo, s0
	v_add_nc_u64_e32 v[0:1], s[34:35], v[32:33]
	v_add_nc_u64_e32 v[48:49], s[22:23], v[30:31]
	v_dual_mov_b32 v42, 0 :: v_dual_mov_b32 v54, 0
	v_mov_b32_e32 v55, 0
	s_delay_alu instid0(VALU_DEP_4)
	v_cmp_lt_u64_e64 s14, v[0:1], v[26:27]
	s_and_saveexec_b32 s0, s14
	s_cbranch_execz .LBB114_8
; %bb.7:                                ;   in Loop: Header=BB114_4 Depth=1
	global_load_b64 v[54:55], v[48:49], off
.LBB114_8:                              ;   in Loop: Header=BB114_4 Depth=1
	s_wait_xcnt 0x0
	s_or_b32 exec_lo, exec_lo, s0
	v_add_nc_u64_e32 v[0:1], s[34:35], v[40:41]
	v_add_nc_u64_e32 v[46:47], s[22:23], v[38:39]
	v_mov_b32_e32 v43, 0
	s_delay_alu instid0(VALU_DEP_3)
	v_cmp_lt_u64_e64 s13, v[0:1], v[26:27]
	s_and_saveexec_b32 s0, s13
	s_cbranch_execz .LBB114_10
; %bb.9:                                ;   in Loop: Header=BB114_4 Depth=1
	global_load_b64 v[42:43], v[46:47], off
.LBB114_10:                             ;   in Loop: Header=BB114_4 Depth=1
	s_wait_xcnt 0x0
	s_or_b32 exec_lo, exec_lo, s0
	v_add_nc_u64_e32 v[0:1], s[34:35], v[36:37]
	v_add_nc_u64_e32 v[44:45], s[22:23], v[34:35]
	v_dual_mov_b32 v52, 0 :: v_dual_mov_b32 v53, 0
	s_delay_alu instid0(VALU_DEP_3)
	v_cmp_lt_u64_e64 s12, v[0:1], v[26:27]
	s_and_saveexec_b32 s0, s12
	s_cbranch_execnz .LBB114_15
; %bb.11:                               ;   in Loop: Header=BB114_4 Depth=1
	s_or_b32 exec_lo, exec_lo, s0
	s_and_saveexec_b32 s15, vcc_lo
	s_cbranch_execnz .LBB114_16
.LBB114_12:                             ;   in Loop: Header=BB114_4 Depth=1
	s_or_b32 exec_lo, exec_lo, s15
	s_and_saveexec_b32 s15, s14
	s_cbranch_execnz .LBB114_17
.LBB114_13:                             ;   in Loop: Header=BB114_4 Depth=1
	s_or_b32 exec_lo, exec_lo, s15
	s_and_saveexec_b32 s14, s13
	s_cbranch_execnz .LBB114_18
.LBB114_14:                             ;   in Loop: Header=BB114_4 Depth=1
	s_or_b32 exec_lo, exec_lo, s14
	s_and_saveexec_b32 s13, s12
	s_cbranch_execz .LBB114_3
	s_branch .LBB114_19
.LBB114_15:                             ;   in Loop: Header=BB114_4 Depth=1
	global_load_b64 v[52:53], v[44:45], off
	s_wait_xcnt 0x0
	s_or_b32 exec_lo, exec_lo, s0
	s_and_saveexec_b32 s15, vcc_lo
	s_cbranch_execz .LBB114_12
.LBB114_16:                             ;   in Loop: Header=BB114_4 Depth=1
	s_wait_loadcnt 0x0
	v_xor_b32_e32 v0, 0x80000000, v3
	v_mov_b32_e32 v1, v2
	s_swap_pc_i64 s[30:31], s[26:27]
	s_delay_alu instid0(VALU_DEP_1) | instskip(NEXT) | instid1(VALU_DEP_3)
	v_mov_b32_e32 v2, v1
	v_xor_b32_e32 v3, 0x80000000, v0
	global_store_b64 v[50:51], v[2:3], off
	s_wait_xcnt 0x0
	s_or_b32 exec_lo, exec_lo, s15
	s_and_saveexec_b32 s15, s14
	s_cbranch_execz .LBB114_13
.LBB114_17:                             ;   in Loop: Header=BB114_4 Depth=1
	s_wait_loadcnt 0x0
	v_xor_b32_e32 v0, 0x80000000, v55
	v_mov_b32_e32 v1, v54
	s_swap_pc_i64 s[30:31], s[26:27]
	s_delay_alu instid0(VALU_DEP_1) | instskip(NEXT) | instid1(VALU_DEP_3)
	v_mov_b32_e32 v2, v1
	v_xor_b32_e32 v3, 0x80000000, v0
	global_store_b64 v[48:49], v[2:3], off
	s_wait_xcnt 0x0
	s_or_b32 exec_lo, exec_lo, s15
	s_and_saveexec_b32 s14, s13
	s_cbranch_execz .LBB114_14
.LBB114_18:                             ;   in Loop: Header=BB114_4 Depth=1
	s_wait_loadcnt 0x0
	v_xor_b32_e32 v0, 0x80000000, v43
	v_mov_b32_e32 v1, v42
	s_swap_pc_i64 s[30:31], s[26:27]
	s_delay_alu instid0(VALU_DEP_1) | instskip(NEXT) | instid1(VALU_DEP_3)
	v_mov_b32_e32 v2, v1
	v_xor_b32_e32 v3, 0x80000000, v0
	global_store_b64 v[46:47], v[2:3], off
	s_wait_xcnt 0x0
	s_or_b32 exec_lo, exec_lo, s14
	s_and_saveexec_b32 s13, s12
	s_cbranch_execz .LBB114_3
.LBB114_19:                             ;   in Loop: Header=BB114_4 Depth=1
	s_wait_loadcnt 0x0
	v_xor_b32_e32 v0, 0x80000000, v53
	v_mov_b32_e32 v1, v52
	s_swap_pc_i64 s[30:31], s[26:27]
	s_delay_alu instid0(VALU_DEP_1) | instskip(NEXT) | instid1(VALU_DEP_3)
	v_mov_b32_e32 v2, v1
	v_xor_b32_e32 v3, 0x80000000, v0
	global_store_b64 v[44:45], v[2:3], off
	s_branch .LBB114_3
.LBB114_20:
	s_cbranch_execz .LBB114_22
	s_branch .LBB114_25
.LBB114_21:
.LBB114_22:
	v_min_i64 v[24:25], 0x10000, s[20:21]
	v_dual_mov_b32 v1, 0 :: v_dual_lshlrev_b32 v0, 2, v22
	s_mov_b32 s0, exec_lo
	s_delay_alu instid0(VALU_DEP_1)
	v_cmpx_lt_i64_e64 v[0:1], v[24:25]
	s_cbranch_execz .LBB114_25
; %bb.23:
	s_load_b32 s2, s[10:11], 0xd3c
	v_dual_mov_b32 v23, v1 :: v_dual_lshlrev_b32 v0, 5, v22
	s_add_nc_u64 s[0:1], s[16:17], s[18:19]
	s_wait_xcnt 0x0
	s_mov_b32 s11, 0
	s_get_pc_i64 s[12:13]
	s_add_nc_u64 s[12:13], s[12:13], _ZN6thrust23THRUST_200600_302600_NS6detail7complex6csinhfERKNS0_7complexIfEE@rel64+4
	v_add_nc_u64_e32 v[26:27], s[0:1], v[0:1]
	s_mov_b32 s15, s11
	s_mov_b32 s16, s11
	s_wait_kmcnt 0x0
	s_and_b32 s10, s2, 0xffff
	s_delay_alu instid0(SALU_CYCLE_1)
	s_lshl_b32 s14, s10, 5
.LBB114_24:                             ; =>This Inner Loop Header: Depth=1
	s_clause 0x1
	global_load_b128 v[28:31], v[26:27], off
	global_load_b128 v[32:35], v[26:27], off offset:16
	s_wait_loadcnt 0x1
	v_xor_b32_e32 v0, 0x80000000, v29
	v_mov_b32_e32 v1, v28
	s_swap_pc_i64 s[30:31], s[12:13]
	s_delay_alu instid0(VALU_DEP_1) | instskip(SKIP_2) | instid1(VALU_DEP_2)
	v_mov_b32_e32 v28, v1
	v_xor_b32_e32 v1, 0x80000000, v31
	v_xor_b32_e32 v29, 0x80000000, v0
	v_dual_mov_b32 v0, v1 :: v_dual_mov_b32 v1, v30
	s_swap_pc_i64 s[30:31], s[12:13]
	s_delay_alu instid0(VALU_DEP_1) | instskip(SKIP_1) | instid1(VALU_DEP_3)
	v_mov_b32_e32 v30, v1
	v_xor_b32_e32 v1, 0x80000000, v33
	v_xor_b32_e32 v31, 0x80000000, v0
	s_delay_alu instid0(VALU_DEP_2) | instskip(SKIP_1) | instid1(VALU_DEP_1)
	v_dual_mov_b32 v0, v1 :: v_dual_mov_b32 v1, v32
	s_swap_pc_i64 s[30:31], s[12:13]
	v_mov_b32_e32 v32, v1
	v_xor_b32_e32 v1, 0x80000000, v35
	s_delay_alu instid0(VALU_DEP_3) | instskip(NEXT) | instid1(VALU_DEP_2)
	v_xor_b32_e32 v33, 0x80000000, v0
	v_dual_mov_b32 v0, v1 :: v_dual_mov_b32 v1, v34
	s_swap_pc_i64 s[30:31], s[12:13]
	v_add_nc_u64_e32 v[22:23], s[10:11], v[22:23]
	s_delay_alu instid0(VALU_DEP_2) | instskip(NEXT) | instid1(VALU_DEP_3)
	v_mov_b32_e32 v34, v1
	v_xor_b32_e32 v35, 0x80000000, v0
	s_clause 0x1
	global_store_b128 v[26:27], v[28:31], off
	global_store_b128 v[26:27], v[32:35], off offset:16
	v_lshlrev_b64_e32 v[2:3], 2, v[22:23]
	s_wait_xcnt 0x0
	v_add_nc_u64_e32 v[26:27], s[14:15], v[26:27]
	s_delay_alu instid0(VALU_DEP_2) | instskip(SKIP_1) | instid1(SALU_CYCLE_1)
	v_cmp_ge_i64_e32 vcc_lo, v[2:3], v[24:25]
	s_or_b32 s16, vcc_lo, s16
	s_and_not1_b32 exec_lo, exec_lo, s16
	s_cbranch_execnz .LBB114_24
.LBB114_25:
	s_endpgm
	.section	.rodata,"a",@progbits
	.p2align	6, 0x0
	.amdhsa_kernel _ZN2at6native12_GLOBAL__N_125multi_tensor_apply_kernelINS1_18TensorListMetadataILi1EEENS1_14UnaryOpFunctorIN3c107complexIfEELi1ELi1ELi0EEEJNS0_3SinIS8_EEEEEvT_T0_DpT1_
		.amdhsa_group_segment_fixed_size 0
		.amdhsa_private_segment_fixed_size 0
		.amdhsa_kernarg_size 3632
		.amdhsa_user_sgpr_count 2
		.amdhsa_user_sgpr_dispatch_ptr 0
		.amdhsa_user_sgpr_queue_ptr 0
		.amdhsa_user_sgpr_kernarg_segment_ptr 1
		.amdhsa_user_sgpr_dispatch_id 0
		.amdhsa_user_sgpr_kernarg_preload_length 0
		.amdhsa_user_sgpr_kernarg_preload_offset 0
		.amdhsa_user_sgpr_private_segment_size 0
		.amdhsa_wavefront_size32 1
		.amdhsa_uses_dynamic_stack 0
		.amdhsa_enable_private_segment 0
		.amdhsa_system_sgpr_workgroup_id_x 1
		.amdhsa_system_sgpr_workgroup_id_y 0
		.amdhsa_system_sgpr_workgroup_id_z 0
		.amdhsa_system_sgpr_workgroup_info 0
		.amdhsa_system_vgpr_workitem_id 0
		.amdhsa_next_free_vgpr 56
		.amdhsa_next_free_sgpr 36
		.amdhsa_named_barrier_count 0
		.amdhsa_reserve_vcc 1
		.amdhsa_float_round_mode_32 0
		.amdhsa_float_round_mode_16_64 0
		.amdhsa_float_denorm_mode_32 3
		.amdhsa_float_denorm_mode_16_64 3
		.amdhsa_fp16_overflow 0
		.amdhsa_memory_ordered 1
		.amdhsa_forward_progress 1
		.amdhsa_inst_pref_size 10
		.amdhsa_round_robin_scheduling 0
		.amdhsa_exception_fp_ieee_invalid_op 0
		.amdhsa_exception_fp_denorm_src 0
		.amdhsa_exception_fp_ieee_div_zero 0
		.amdhsa_exception_fp_ieee_overflow 0
		.amdhsa_exception_fp_ieee_underflow 0
		.amdhsa_exception_fp_ieee_inexact 0
		.amdhsa_exception_int_div_zero 0
	.end_amdhsa_kernel
	.section	.text._ZN2at6native12_GLOBAL__N_125multi_tensor_apply_kernelINS1_18TensorListMetadataILi1EEENS1_14UnaryOpFunctorIN3c107complexIfEELi1ELi1ELi0EEEJNS0_3SinIS8_EEEEEvT_T0_DpT1_,"axG",@progbits,_ZN2at6native12_GLOBAL__N_125multi_tensor_apply_kernelINS1_18TensorListMetadataILi1EEENS1_14UnaryOpFunctorIN3c107complexIfEELi1ELi1ELi0EEEJNS0_3SinIS8_EEEEEvT_T0_DpT1_,comdat
.Lfunc_end114:
	.size	_ZN2at6native12_GLOBAL__N_125multi_tensor_apply_kernelINS1_18TensorListMetadataILi1EEENS1_14UnaryOpFunctorIN3c107complexIfEELi1ELi1ELi0EEEJNS0_3SinIS8_EEEEEvT_T0_DpT1_, .Lfunc_end114-_ZN2at6native12_GLOBAL__N_125multi_tensor_apply_kernelINS1_18TensorListMetadataILi1EEENS1_14UnaryOpFunctorIN3c107complexIfEELi1ELi1ELi0EEEJNS0_3SinIS8_EEEEEvT_T0_DpT1_
                                        ; -- End function
	.set _ZN2at6native12_GLOBAL__N_125multi_tensor_apply_kernelINS1_18TensorListMetadataILi1EEENS1_14UnaryOpFunctorIN3c107complexIfEELi1ELi1ELi0EEEJNS0_3SinIS8_EEEEEvT_T0_DpT1_.num_vgpr, max(56, .L_ZN6thrust23THRUST_200600_302600_NS6detail7complex6csinhfERKNS0_7complexIfEE.num_vgpr)
	.set _ZN2at6native12_GLOBAL__N_125multi_tensor_apply_kernelINS1_18TensorListMetadataILi1EEENS1_14UnaryOpFunctorIN3c107complexIfEELi1ELi1ELi0EEEJNS0_3SinIS8_EEEEEvT_T0_DpT1_.num_agpr, max(0, .L_ZN6thrust23THRUST_200600_302600_NS6detail7complex6csinhfERKNS0_7complexIfEE.num_agpr)
	.set _ZN2at6native12_GLOBAL__N_125multi_tensor_apply_kernelINS1_18TensorListMetadataILi1EEENS1_14UnaryOpFunctorIN3c107complexIfEELi1ELi1ELi0EEEJNS0_3SinIS8_EEEEEvT_T0_DpT1_.numbered_sgpr, max(36, .L_ZN6thrust23THRUST_200600_302600_NS6detail7complex6csinhfERKNS0_7complexIfEE.numbered_sgpr)
	.set _ZN2at6native12_GLOBAL__N_125multi_tensor_apply_kernelINS1_18TensorListMetadataILi1EEENS1_14UnaryOpFunctorIN3c107complexIfEELi1ELi1ELi0EEEJNS0_3SinIS8_EEEEEvT_T0_DpT1_.num_named_barrier, max(0, .L_ZN6thrust23THRUST_200600_302600_NS6detail7complex6csinhfERKNS0_7complexIfEE.num_named_barrier)
	.set _ZN2at6native12_GLOBAL__N_125multi_tensor_apply_kernelINS1_18TensorListMetadataILi1EEENS1_14UnaryOpFunctorIN3c107complexIfEELi1ELi1ELi0EEEJNS0_3SinIS8_EEEEEvT_T0_DpT1_.private_seg_size, 0+max(.L_ZN6thrust23THRUST_200600_302600_NS6detail7complex6csinhfERKNS0_7complexIfEE.private_seg_size)
	.set _ZN2at6native12_GLOBAL__N_125multi_tensor_apply_kernelINS1_18TensorListMetadataILi1EEENS1_14UnaryOpFunctorIN3c107complexIfEELi1ELi1ELi0EEEJNS0_3SinIS8_EEEEEvT_T0_DpT1_.uses_vcc, or(1, .L_ZN6thrust23THRUST_200600_302600_NS6detail7complex6csinhfERKNS0_7complexIfEE.uses_vcc)
	.set _ZN2at6native12_GLOBAL__N_125multi_tensor_apply_kernelINS1_18TensorListMetadataILi1EEENS1_14UnaryOpFunctorIN3c107complexIfEELi1ELi1ELi0EEEJNS0_3SinIS8_EEEEEvT_T0_DpT1_.uses_flat_scratch, or(0, .L_ZN6thrust23THRUST_200600_302600_NS6detail7complex6csinhfERKNS0_7complexIfEE.uses_flat_scratch)
	.set _ZN2at6native12_GLOBAL__N_125multi_tensor_apply_kernelINS1_18TensorListMetadataILi1EEENS1_14UnaryOpFunctorIN3c107complexIfEELi1ELi1ELi0EEEJNS0_3SinIS8_EEEEEvT_T0_DpT1_.has_dyn_sized_stack, or(0, .L_ZN6thrust23THRUST_200600_302600_NS6detail7complex6csinhfERKNS0_7complexIfEE.has_dyn_sized_stack)
	.set _ZN2at6native12_GLOBAL__N_125multi_tensor_apply_kernelINS1_18TensorListMetadataILi1EEENS1_14UnaryOpFunctorIN3c107complexIfEELi1ELi1ELi0EEEJNS0_3SinIS8_EEEEEvT_T0_DpT1_.has_recursion, or(0, .L_ZN6thrust23THRUST_200600_302600_NS6detail7complex6csinhfERKNS0_7complexIfEE.has_recursion)
	.set _ZN2at6native12_GLOBAL__N_125multi_tensor_apply_kernelINS1_18TensorListMetadataILi1EEENS1_14UnaryOpFunctorIN3c107complexIfEELi1ELi1ELi0EEEJNS0_3SinIS8_EEEEEvT_T0_DpT1_.has_indirect_call, or(0, .L_ZN6thrust23THRUST_200600_302600_NS6detail7complex6csinhfERKNS0_7complexIfEE.has_indirect_call)
	.section	.AMDGPU.csdata,"",@progbits
; Kernel info:
; codeLenInByte = 1264
; TotalNumSgprs: 38
; NumVgprs: 56
; ScratchSize: 0
; MemoryBound: 0
; FloatMode: 240
; IeeeMode: 1
; LDSByteSize: 0 bytes/workgroup (compile time only)
; SGPRBlocks: 0
; VGPRBlocks: 3
; NumSGPRsForWavesPerEU: 38
; NumVGPRsForWavesPerEU: 56
; NamedBarCnt: 0
; Occupancy: 16
; WaveLimiterHint : 0
; COMPUTE_PGM_RSRC2:SCRATCH_EN: 0
; COMPUTE_PGM_RSRC2:USER_SGPR: 2
; COMPUTE_PGM_RSRC2:TRAP_HANDLER: 0
; COMPUTE_PGM_RSRC2:TGID_X_EN: 1
; COMPUTE_PGM_RSRC2:TGID_Y_EN: 0
; COMPUTE_PGM_RSRC2:TGID_Z_EN: 0
; COMPUTE_PGM_RSRC2:TIDIG_COMP_CNT: 0
	.section	.text._ZN2at6native12_GLOBAL__N_125multi_tensor_apply_kernelINS1_18TensorListMetadataILi1EEENS1_14UnaryOpFunctorIN3c104HalfELi1ELi1ELi0EEEJNS0_3SinIfEEEEEvT_T0_DpT1_,"axG",@progbits,_ZN2at6native12_GLOBAL__N_125multi_tensor_apply_kernelINS1_18TensorListMetadataILi1EEENS1_14UnaryOpFunctorIN3c104HalfELi1ELi1ELi0EEEJNS0_3SinIfEEEEEvT_T0_DpT1_,comdat
	.globl	_ZN2at6native12_GLOBAL__N_125multi_tensor_apply_kernelINS1_18TensorListMetadataILi1EEENS1_14UnaryOpFunctorIN3c104HalfELi1ELi1ELi0EEEJNS0_3SinIfEEEEEvT_T0_DpT1_ ; -- Begin function _ZN2at6native12_GLOBAL__N_125multi_tensor_apply_kernelINS1_18TensorListMetadataILi1EEENS1_14UnaryOpFunctorIN3c104HalfELi1ELi1ELi0EEEJNS0_3SinIfEEEEEvT_T0_DpT1_
	.p2align	8
	.type	_ZN2at6native12_GLOBAL__N_125multi_tensor_apply_kernelINS1_18TensorListMetadataILi1EEENS1_14UnaryOpFunctorIN3c104HalfELi1ELi1ELi0EEEJNS0_3SinIfEEEEEvT_T0_DpT1_,@function
_ZN2at6native12_GLOBAL__N_125multi_tensor_apply_kernelINS1_18TensorListMetadataILi1EEENS1_14UnaryOpFunctorIN3c104HalfELi1ELi1ELi0EEEJNS0_3SinIfEEEEEvT_T0_DpT1_: ; @_ZN2at6native12_GLOBAL__N_125multi_tensor_apply_kernelINS1_18TensorListMetadataILi1EEENS1_14UnaryOpFunctorIN3c104HalfELi1ELi1ELi0EEEJNS0_3SinIfEEEEEvT_T0_DpT1_
; %bb.0:
	s_bfe_u32 s2, ttmp6, 0x4000c
	s_and_b32 s3, ttmp6, 15
	s_add_co_i32 s2, s2, 1
	s_getreg_b32 s4, hwreg(HW_REG_IB_STS2, 6, 4)
	s_mul_i32 s2, ttmp9, s2
	s_delay_alu instid0(SALU_CYCLE_1)
	s_add_co_i32 s3, s3, s2
	s_cmp_eq_u32 s4, 0
	s_cselect_b32 s2, ttmp9, s3
	s_mov_b32 s3, 0
	s_load_u8 s10, s[0:1], s2 offset:0x6e0
	s_add_nc_u64 s[4:5], s[0:1], s[2:3]
	s_mul_u64 s[6:7], s[2:3], 3
	s_delay_alu instid0(SALU_CYCLE_1)
	s_add_nc_u64 s[4:5], s[4:5], s[6:7]
	s_load_b32 s6, s[4:5], 0x820
	s_wait_kmcnt 0x0
	s_clause 0x1
	s_load_b64 s[8:9], s[0:1], s10 offset:0x0 scale_offset
	s_load_b64 s[12:13], s[0:1], s10 offset:0x370 scale_offset
	s_ashr_i32 s7, s6, 31
	s_wait_kmcnt 0x0
	s_and_b64 s[4:5], s[8:9], 7
	s_and_b32 s2, s12, 3
	s_lshl_b64 s[10:11], s[6:7], 17
	s_or_b64 s[2:3], s[4:5], s[2:3]
	s_lshl_b64 s[4:5], s[6:7], 16
	s_cmp_eq_u64 s[2:3], 0
	s_sub_nc_u64 s[12:13], s[12:13], s[4:5]
	s_cbranch_scc1 .LBB115_37
; %bb.1:
	v_cmp_lt_i64_e64 s2, s[12:13], 1
	s_and_b32 vcc_lo, exec_lo, s2
	s_cbranch_vccnz .LBB115_36
; %bb.2:
	s_load_b32 s2, s[0:1], 0xd3c
	v_min_i64 v[2:3], 0x10000, s[12:13]
	v_min_u64 v[4:5], 0x10000, s[12:13]
	v_dual_mov_b32 v7, 0 :: v_dual_lshlrev_b32 v6, 1, v0
	s_mov_b32 s3, 0
	s_add_nc_u64 s[4:5], s[8:9], s[10:11]
	s_mov_b32 s7, s3
	s_delay_alu instid0(VALU_DEP_1)
	v_mov_b32_e32 v1, v7
	v_add_nc_u64_e32 v[10:11], s[4:5], v[6:7]
	s_mov_b32 s19, s3
	s_mov_b32 s15, s3
	;; [unrolled: 1-line block ×3, first 2 shown]
	s_mov_b64 s[22:23], 0
	s_mov_b32 s24, 0x7fffff
	s_mov_b32 s25, 0xb94c1982
	s_mov_b32 s26, 0x37d75334
	s_wait_kmcnt 0x0
	s_and_b32 s2, s2, 0xffff
	s_delay_alu instid0(SALU_CYCLE_1)
	v_add_nc_u64_e32 v[8:9], s[2:3], v[0:1]
	s_lshl_b32 s6, s2, 1
	s_mul_i32 s18, s2, 3
	s_lshl_b32 s14, s2, 2
	s_lshl_b32 s16, s2, 3
	s_mul_u64 s[20:21], s[2:3], 6
	s_delay_alu instid0(VALU_DEP_1) | instskip(SKIP_3) | instid1(VALU_DEP_3)
	v_lshlrev_b32_e32 v6, 1, v8
	v_add_nc_u64_e32 v[12:13], s[18:19], v[0:1]
	v_add_nc_u64_e32 v[14:15], s[6:7], v[0:1]
	s_mov_b64 s[18:19], 0xfe5163ab
	v_add_nc_u64_e32 v[16:17], s[4:5], v[6:7]
	s_branch .LBB115_4
.LBB115_3:                              ;   in Loop: Header=BB115_4 Depth=1
	s_wait_xcnt 0x0
	s_or_b32 exec_lo, exec_lo, s2
	s_add_nc_u64 s[22:23], s[22:23], s[14:15]
	v_add_nc_u64_e32 v[10:11], s[16:17], v[10:11]
	v_cmp_ge_i64_e32 vcc_lo, s[22:23], v[2:3]
	v_add_nc_u64_e32 v[16:17], s[16:17], v[16:17]
	s_cbranch_vccnz .LBB115_36
.LBB115_4:                              ; =>This Inner Loop Header: Depth=1
	v_add_nc_u64_e32 v[18:19], s[22:23], v[0:1]
	v_mov_b32_e32 v25, 0
	s_delay_alu instid0(VALU_DEP_2)
	v_cmp_lt_u64_e64 s4, v[18:19], v[4:5]
	s_and_saveexec_b32 s2, s4
	s_cbranch_execz .LBB115_6
; %bb.5:                                ;   in Loop: Header=BB115_4 Depth=1
	global_load_u16 v6, v[10:11], off
	s_wait_loadcnt 0x0
	v_cvt_f32_f16_e32 v25, v6
.LBB115_6:                              ;   in Loop: Header=BB115_4 Depth=1
	s_wait_xcnt 0x0
	s_or_b32 exec_lo, exec_lo, s2
	v_add_nc_u64_e32 v[18:19], s[22:23], v[8:9]
	v_dual_mov_b32 v23, 0 :: v_dual_mov_b32 v24, 0
	s_delay_alu instid0(VALU_DEP_2)
	v_cmp_lt_u64_e64 s3, v[18:19], v[4:5]
	s_and_saveexec_b32 s2, s3
	s_cbranch_execz .LBB115_8
; %bb.7:                                ;   in Loop: Header=BB115_4 Depth=1
	global_load_u16 v6, v[16:17], off
	s_wait_loadcnt 0x0
	v_cvt_f32_f16_e32 v24, v6
.LBB115_8:                              ;   in Loop: Header=BB115_4 Depth=1
	s_wait_xcnt 0x0
	s_or_b32 exec_lo, exec_lo, s2
	v_add_nc_u64_e32 v[18:19], s[22:23], v[14:15]
	v_add_nc_u64_e32 v[20:21], s[14:15], v[10:11]
	s_delay_alu instid0(VALU_DEP_2)
	v_cmp_lt_u64_e64 s2, v[18:19], v[4:5]
	s_and_saveexec_b32 s5, s2
	s_cbranch_execz .LBB115_10
; %bb.9:                                ;   in Loop: Header=BB115_4 Depth=1
	global_load_u16 v6, v[20:21], off
	s_wait_loadcnt 0x0
	v_cvt_f32_f16_e32 v23, v6
.LBB115_10:                             ;   in Loop: Header=BB115_4 Depth=1
	s_wait_xcnt 0x0
	s_or_b32 exec_lo, exec_lo, s5
	v_add_nc_u64_e32 v[18:19], s[22:23], v[12:13]
	v_mov_b32_e32 v22, 0
	s_delay_alu instid0(VALU_DEP_2)
	v_cmp_lt_u64_e32 vcc_lo, v[18:19], v[4:5]
	v_add_nc_u64_e32 v[18:19], s[20:21], v[10:11]
	s_and_saveexec_b32 s5, vcc_lo
	s_cbranch_execz .LBB115_12
; %bb.11:                               ;   in Loop: Header=BB115_4 Depth=1
	global_load_u16 v6, v[18:19], off
	s_wait_loadcnt 0x0
	v_cvt_f32_f16_e32 v22, v6
.LBB115_12:                             ;   in Loop: Header=BB115_4 Depth=1
	s_wait_xcnt 0x0
	s_or_b32 exec_lo, exec_lo, s5
	v_and_b32_e32 v26, 0x7fffffff, v25
                                        ; implicit-def: $vgpr29
                                        ; implicit-def: $vgpr27
	s_mov_b32 s6, exec_lo
	v_cmpx_ngt_f32_e64 0x48000000, |v25|
	s_xor_b32 s27, exec_lo, s6
	s_cbranch_execz .LBB115_14
; %bb.13:                               ;   in Loop: Header=BB115_4 Depth=1
	v_and_or_b32 v6, v26, s24, 0x800000
	v_dual_lshrrev_b32 v27, 23, v26 :: v_dual_mov_b32 v39, v7
	v_mov_b32_e32 v41, v7
	s_delay_alu instid0(VALU_DEP_3) | instskip(SKIP_1) | instid1(VALU_DEP_4)
	v_mul_u64_e32 v[28:29], s[18:19], v[6:7]
	v_mov_b32_e32 v31, v7
	v_add_nc_u32_e32 v27, 0xffffff88, v27
	s_delay_alu instid0(VALU_DEP_1) | instskip(NEXT) | instid1(VALU_DEP_4)
	v_cmp_lt_u32_e64 s5, 63, v27
	v_mov_b32_e32 v30, v29
	s_delay_alu instid0(VALU_DEP_2) | instskip(NEXT) | instid1(VALU_DEP_2)
	v_cndmask_b32_e64 v29, 0, 0xffffffc0, s5
	v_mad_nc_u64_u32 v[30:31], 0x3c439041, v6, v[30:31]
	s_delay_alu instid0(VALU_DEP_2) | instskip(NEXT) | instid1(VALU_DEP_1)
	v_dual_mov_b32 v33, v7 :: v_dual_add_nc_u32 v27, v29, v27
	v_cmp_lt_u32_e64 s6, 31, v27
	s_delay_alu instid0(VALU_DEP_3) | instskip(NEXT) | instid1(VALU_DEP_2)
	v_mov_b32_e32 v32, v31
	v_cndmask_b32_e64 v29, 0, 0xffffffe0, s6
	s_delay_alu instid0(VALU_DEP_2) | instskip(NEXT) | instid1(VALU_DEP_1)
	v_mad_nc_u64_u32 v[32:33], 0xdb629599, v6, v[32:33]
	v_dual_mov_b32 v35, v7 :: v_dual_mov_b32 v34, v33
	s_delay_alu instid0(VALU_DEP_2) | instskip(NEXT) | instid1(VALU_DEP_2)
	v_cndmask_b32_e64 v28, v32, v28, s5
	v_mad_nc_u64_u32 v[34:35], 0xf534ddc0, v6, v[34:35]
	s_delay_alu instid0(VALU_DEP_1) | instskip(NEXT) | instid1(VALU_DEP_1)
	v_dual_mov_b32 v37, v7 :: v_dual_mov_b32 v36, v35
	v_mad_nc_u64_u32 v[36:37], 0xfc2757d1, v6, v[36:37]
	s_delay_alu instid0(VALU_DEP_1) | instskip(NEXT) | instid1(VALU_DEP_1)
	v_dual_mov_b32 v38, v37 :: v_dual_cndmask_b32 v35, v36, v32, s5
	v_mad_nc_u64_u32 v[38:39], 0x4e441529, v6, v[38:39]
	s_delay_alu instid0(VALU_DEP_1) | instskip(NEXT) | instid1(VALU_DEP_1)
	v_mov_b32_e32 v40, v39
	v_mad_nc_u64_u32 v[40:41], 0xa2f9836e, v6, v[40:41]
	s_delay_alu instid0(VALU_DEP_3) | instskip(NEXT) | instid1(VALU_DEP_1)
	v_dual_add_nc_u32 v6, v29, v27 :: v_dual_cndmask_b32 v29, v38, v34, s5
	v_cmp_lt_u32_e64 s7, 31, v6
	s_delay_alu instid0(VALU_DEP_1) | instskip(NEXT) | instid1(VALU_DEP_4)
	v_cndmask_b32_e64 v27, 0, 0xffffffe0, s7
	v_dual_cndmask_b32 v31, v40, v36, s5 :: v_dual_cndmask_b32 v33, v41, v38, s5
	s_delay_alu instid0(VALU_DEP_2) | instskip(NEXT) | instid1(VALU_DEP_2)
	v_add_nc_u32_e32 v6, v27, v6
	v_dual_cndmask_b32 v27, v34, v30, s5 :: v_dual_cndmask_b32 v30, v31, v29, s6
	s_delay_alu instid0(VALU_DEP_3) | instskip(NEXT) | instid1(VALU_DEP_3)
	v_cndmask_b32_e64 v31, v33, v31, s6
	v_dual_cndmask_b32 v29, v29, v35, s6 :: v_dual_sub_nc_u32 v33, 32, v6
	s_delay_alu instid0(VALU_DEP_3) | instskip(SKIP_1) | instid1(VALU_DEP_3)
	v_cndmask_b32_e64 v34, v35, v27, s6
	v_cmp_eq_u32_e64 s5, 0, v6
	v_dual_cndmask_b32 v31, v31, v30, s7 :: v_dual_cndmask_b32 v30, v30, v29, s7
	s_delay_alu instid0(VALU_DEP_1) | instskip(NEXT) | instid1(VALU_DEP_1)
	v_alignbit_b32 v35, v31, v30, v33
	v_dual_cndmask_b32 v29, v29, v34, s7 :: v_dual_cndmask_b32 v6, v35, v31, s5
	s_delay_alu instid0(VALU_DEP_1) | instskip(NEXT) | instid1(VALU_DEP_1)
	v_alignbit_b32 v32, v30, v29, v33
	v_dual_cndmask_b32 v27, v27, v28, s6 :: v_dual_cndmask_b32 v28, v32, v30, s5
	s_delay_alu instid0(VALU_DEP_3) | instskip(NEXT) | instid1(VALU_DEP_2)
	v_bfe_u32 v30, v6, 29, 1
	v_cndmask_b32_e64 v27, v34, v27, s7
	s_delay_alu instid0(VALU_DEP_3) | instskip(NEXT) | instid1(VALU_DEP_3)
	v_alignbit_b32 v31, v6, v28, 30
	v_sub_nc_u32_e32 v32, 0, v30
	s_delay_alu instid0(VALU_DEP_3) | instskip(NEXT) | instid1(VALU_DEP_1)
	v_alignbit_b32 v33, v29, v27, v33
	v_dual_cndmask_b32 v29, v33, v29, s5 :: v_dual_bitop2_b32 v31, v31, v32 bitop3:0x14
	s_delay_alu instid0(VALU_DEP_1) | instskip(NEXT) | instid1(VALU_DEP_2)
	v_clz_i32_u32_e32 v33, v31
	v_alignbit_b32 v28, v28, v29, 30
	v_alignbit_b32 v27, v29, v27, 30
	s_delay_alu instid0(VALU_DEP_3) | instskip(NEXT) | instid1(VALU_DEP_3)
	v_min_u32_e32 v33, 32, v33
	v_xor_b32_e32 v28, v28, v32
	s_delay_alu instid0(VALU_DEP_3) | instskip(NEXT) | instid1(VALU_DEP_3)
	v_dual_lshrrev_b32 v32, 29, v6 :: v_dual_bitop2_b32 v27, v27, v32 bitop3:0x14
	v_dual_lshrrev_b32 v6, 30, v6 :: v_dual_sub_nc_u32 v29, 31, v33
	v_lshlrev_b32_e32 v34, 23, v33
	s_delay_alu instid0(VALU_DEP_2) | instskip(NEXT) | instid1(VALU_DEP_4)
	v_alignbit_b32 v31, v31, v28, v29
	v_alignbit_b32 v27, v28, v27, v29
	v_lshlrev_b32_e32 v28, 31, v32
	s_delay_alu instid0(VALU_DEP_2) | instskip(NEXT) | instid1(VALU_DEP_2)
	v_alignbit_b32 v29, v31, v27, 9
	v_dual_lshrrev_b32 v31, 9, v31 :: v_dual_bitop2_b32 v32, 0.5, v28 bitop3:0x54
	v_or_b32_e32 v28, 0x33000000, v28
	s_delay_alu instid0(VALU_DEP_3) | instskip(NEXT) | instid1(VALU_DEP_3)
	v_clz_i32_u32_e32 v35, v29
	v_sub_nc_u32_e32 v32, v32, v34
	s_delay_alu instid0(VALU_DEP_2) | instskip(NEXT) | instid1(VALU_DEP_1)
	v_min_u32_e32 v34, 32, v35
	v_add_lshl_u32 v33, v34, v33, 23
	s_delay_alu instid0(VALU_DEP_3) | instskip(SKIP_1) | instid1(VALU_DEP_2)
	v_or_b32_e32 v31, v31, v32
	v_not_b32_e32 v32, v34
	v_dual_mul_f32 v35, 0x3fc90fda, v31 :: v_dual_sub_nc_u32 v28, v28, v33
	s_delay_alu instid0(VALU_DEP_2) | instskip(NEXT) | instid1(VALU_DEP_2)
	v_alignbit_b32 v27, v29, v27, v32
	v_fma_f32 v29, 0x3fc90fda, v31, -v35
	s_delay_alu instid0(VALU_DEP_2) | instskip(NEXT) | instid1(VALU_DEP_2)
	v_lshrrev_b32_e32 v27, 9, v27
	v_fmac_f32_e32 v29, 0x33a22168, v31
	s_delay_alu instid0(VALU_DEP_2) | instskip(NEXT) | instid1(VALU_DEP_1)
	v_or_b32_e32 v27, v28, v27
	v_fmac_f32_e32 v29, 0x3fc90fda, v27
	s_delay_alu instid0(VALU_DEP_1)
	v_dual_add_f32 v27, v35, v29 :: v_dual_add_nc_u32 v29, v30, v6
.LBB115_14:                             ;   in Loop: Header=BB115_4 Depth=1
	s_and_not1_saveexec_b32 s5, s27
; %bb.15:                               ;   in Loop: Header=BB115_4 Depth=1
	v_mul_f32_e64 v6, 0x3f22f983, |v25|
	s_delay_alu instid0(VALU_DEP_1) | instskip(NEXT) | instid1(VALU_DEP_1)
	v_rndne_f32_e32 v6, v6
	v_fma_f32 v27, 0xbfc90fda, v6, |v25|
	v_cvt_i32_f32_e32 v29, v6
	s_delay_alu instid0(VALU_DEP_2) | instskip(NEXT) | instid1(VALU_DEP_1)
	v_fmac_f32_e32 v27, 0xb3a22168, v6
	v_fmac_f32_e32 v27, 0xa7c234c4, v6
; %bb.16:                               ;   in Loop: Header=BB115_4 Depth=1
	s_or_b32 exec_lo, exec_lo, s5
	v_and_b32_e32 v28, 0x7fffffff, v24
                                        ; implicit-def: $vgpr32
                                        ; implicit-def: $vgpr30
	s_mov_b32 s6, exec_lo
	v_cmpx_ngt_f32_e64 0x48000000, |v24|
	s_xor_b32 s27, exec_lo, s6
	s_cbranch_execz .LBB115_18
; %bb.17:                               ;   in Loop: Header=BB115_4 Depth=1
	v_and_or_b32 v6, v28, s24, 0x800000
	v_dual_mov_b32 v41, v7 :: v_dual_mov_b32 v43, v7
	s_delay_alu instid0(VALU_DEP_2) | instskip(NEXT) | instid1(VALU_DEP_1)
	v_mul_u64_e32 v[30:31], s[18:19], v[6:7]
	v_dual_mov_b32 v33, v7 :: v_dual_mov_b32 v32, v31
	v_lshrrev_b32_e32 v31, 23, v28
	s_delay_alu instid0(VALU_DEP_2) | instskip(SKIP_1) | instid1(VALU_DEP_3)
	v_mad_nc_u64_u32 v[32:33], 0x3c439041, v6, v[32:33]
	v_mov_b32_e32 v35, v7
	v_add_nc_u32_e32 v31, 0xffffff88, v31
	s_delay_alu instid0(VALU_DEP_1) | instskip(NEXT) | instid1(VALU_DEP_4)
	v_cmp_lt_u32_e64 s5, 63, v31
	v_mov_b32_e32 v34, v33
	s_delay_alu instid0(VALU_DEP_2) | instskip(NEXT) | instid1(VALU_DEP_2)
	v_cndmask_b32_e64 v33, 0, 0xffffffc0, s5
	v_mad_nc_u64_u32 v[34:35], 0xdb629599, v6, v[34:35]
	s_delay_alu instid0(VALU_DEP_2) | instskip(NEXT) | instid1(VALU_DEP_1)
	v_dual_mov_b32 v37, v7 :: v_dual_add_nc_u32 v31, v33, v31
	v_cmp_lt_u32_e64 s6, 31, v31
	s_delay_alu instid0(VALU_DEP_3) | instskip(NEXT) | instid1(VALU_DEP_2)
	v_mov_b32_e32 v36, v35
	v_cndmask_b32_e64 v33, 0, 0xffffffe0, s6
	v_cndmask_b32_e64 v30, v34, v30, s5
	s_delay_alu instid0(VALU_DEP_3) | instskip(NEXT) | instid1(VALU_DEP_1)
	v_mad_nc_u64_u32 v[36:37], 0xf534ddc0, v6, v[36:37]
	v_dual_mov_b32 v39, v7 :: v_dual_mov_b32 v38, v37
	s_delay_alu instid0(VALU_DEP_1) | instskip(NEXT) | instid1(VALU_DEP_1)
	v_mad_nc_u64_u32 v[38:39], 0xfc2757d1, v6, v[38:39]
	v_mov_b32_e32 v40, v39
	s_delay_alu instid0(VALU_DEP_1) | instskip(NEXT) | instid1(VALU_DEP_1)
	v_mad_nc_u64_u32 v[40:41], 0x4e441529, v6, v[40:41]
	v_mov_b32_e32 v42, v41
	s_delay_alu instid0(VALU_DEP_1) | instskip(NEXT) | instid1(VALU_DEP_3)
	v_mad_nc_u64_u32 v[42:43], 0xa2f9836e, v6, v[42:43]
	v_dual_add_nc_u32 v6, v33, v31 :: v_dual_cndmask_b32 v33, v40, v36, s5
	s_delay_alu instid0(VALU_DEP_2) | instskip(NEXT) | instid1(VALU_DEP_2)
	v_cndmask_b32_e64 v35, v42, v38, s5
	v_cmp_lt_u32_e64 s7, 31, v6
	s_delay_alu instid0(VALU_DEP_4) | instskip(NEXT) | instid1(VALU_DEP_2)
	v_dual_cndmask_b32 v37, v43, v40, s5 :: v_dual_cndmask_b32 v38, v38, v34, s5
	v_cndmask_b32_e64 v31, 0, 0xffffffe0, s7
	s_delay_alu instid0(VALU_DEP_1) | instskip(NEXT) | instid1(VALU_DEP_3)
	v_dual_add_nc_u32 v6, v31, v6 :: v_dual_cndmask_b32 v31, v36, v32, s5
	v_dual_cndmask_b32 v32, v35, v33, s6 :: v_dual_cndmask_b32 v35, v37, v35, s6
	s_delay_alu instid0(VALU_DEP_4) | instskip(NEXT) | instid1(VALU_DEP_3)
	v_cndmask_b32_e64 v33, v33, v38, s6
	v_dual_sub_nc_u32 v36, 32, v6 :: v_dual_cndmask_b32 v37, v38, v31, s6
	v_cmp_eq_u32_e64 s5, 0, v6
	s_delay_alu instid0(VALU_DEP_3) | instskip(NEXT) | instid1(VALU_DEP_1)
	v_dual_cndmask_b32 v35, v35, v32, s7 :: v_dual_cndmask_b32 v32, v32, v33, s7
	v_alignbit_b32 v38, v35, v32, v36
	s_delay_alu instid0(VALU_DEP_1) | instskip(NEXT) | instid1(VALU_DEP_1)
	v_dual_cndmask_b32 v33, v33, v37, s7 :: v_dual_cndmask_b32 v6, v38, v35, s5
	v_alignbit_b32 v34, v32, v33, v36
	s_delay_alu instid0(VALU_DEP_1) | instskip(NEXT) | instid1(VALU_DEP_3)
	v_dual_cndmask_b32 v30, v31, v30, s6 :: v_dual_cndmask_b32 v31, v34, v32, s5
	v_bfe_u32 v32, v6, 29, 1
	s_delay_alu instid0(VALU_DEP_2) | instskip(NEXT) | instid1(VALU_DEP_3)
	v_cndmask_b32_e64 v30, v37, v30, s7
	v_alignbit_b32 v34, v6, v31, 30
	s_delay_alu instid0(VALU_DEP_3) | instskip(NEXT) | instid1(VALU_DEP_3)
	v_sub_nc_u32_e32 v35, 0, v32
	v_alignbit_b32 v36, v33, v30, v36
	s_delay_alu instid0(VALU_DEP_1) | instskip(NEXT) | instid1(VALU_DEP_1)
	v_dual_cndmask_b32 v33, v36, v33, s5 :: v_dual_bitop2_b32 v34, v34, v35 bitop3:0x14
	v_clz_i32_u32_e32 v36, v34
	s_delay_alu instid0(VALU_DEP_2) | instskip(SKIP_1) | instid1(VALU_DEP_3)
	v_alignbit_b32 v31, v31, v33, 30
	v_alignbit_b32 v30, v33, v30, 30
	v_min_u32_e32 v36, 32, v36
	s_delay_alu instid0(VALU_DEP_3) | instskip(NEXT) | instid1(VALU_DEP_3)
	v_xor_b32_e32 v31, v31, v35
	v_dual_lshrrev_b32 v35, 29, v6 :: v_dual_bitop2_b32 v30, v30, v35 bitop3:0x14
	s_delay_alu instid0(VALU_DEP_3) | instskip(NEXT) | instid1(VALU_DEP_1)
	v_dual_sub_nc_u32 v33, 31, v36 :: v_dual_lshlrev_b32 v37, 23, v36
	v_alignbit_b32 v34, v34, v31, v33
	s_delay_alu instid0(VALU_DEP_3) | instskip(NEXT) | instid1(VALU_DEP_4)
	v_alignbit_b32 v30, v31, v30, v33
	v_lshlrev_b32_e32 v31, 31, v35
	s_delay_alu instid0(VALU_DEP_2) | instskip(NEXT) | instid1(VALU_DEP_2)
	v_alignbit_b32 v33, v34, v30, 9
	v_dual_lshrrev_b32 v34, 9, v34 :: v_dual_bitop2_b32 v35, 0.5, v31 bitop3:0x54
	v_or_b32_e32 v31, 0x33000000, v31
	s_delay_alu instid0(VALU_DEP_3) | instskip(NEXT) | instid1(VALU_DEP_3)
	v_clz_i32_u32_e32 v38, v33
	v_sub_nc_u32_e32 v35, v35, v37
	s_delay_alu instid0(VALU_DEP_2) | instskip(NEXT) | instid1(VALU_DEP_1)
	v_min_u32_e32 v37, 32, v38
	v_add_lshl_u32 v36, v37, v36, 23
	s_delay_alu instid0(VALU_DEP_3) | instskip(SKIP_1) | instid1(VALU_DEP_2)
	v_or_b32_e32 v34, v34, v35
	v_not_b32_e32 v35, v37
	v_dual_mul_f32 v38, 0x3fc90fda, v34 :: v_dual_sub_nc_u32 v31, v31, v36
	s_delay_alu instid0(VALU_DEP_2) | instskip(NEXT) | instid1(VALU_DEP_2)
	v_alignbit_b32 v30, v33, v30, v35
	v_fma_f32 v33, 0x3fc90fda, v34, -v38
	s_delay_alu instid0(VALU_DEP_2) | instskip(NEXT) | instid1(VALU_DEP_2)
	v_lshrrev_b32_e32 v30, 9, v30
	v_fmac_f32_e32 v33, 0x33a22168, v34
	s_delay_alu instid0(VALU_DEP_2) | instskip(NEXT) | instid1(VALU_DEP_1)
	v_or_b32_e32 v30, v31, v30
	v_fmac_f32_e32 v33, 0x3fc90fda, v30
	s_delay_alu instid0(VALU_DEP_1) | instskip(NEXT) | instid1(VALU_DEP_1)
	v_dual_lshrrev_b32 v6, 30, v6 :: v_dual_add_f32 v30, v38, v33
	v_add_nc_u32_e32 v32, v32, v6
.LBB115_18:                             ;   in Loop: Header=BB115_4 Depth=1
	s_and_not1_saveexec_b32 s5, s27
; %bb.19:                               ;   in Loop: Header=BB115_4 Depth=1
	v_mul_f32_e64 v6, 0x3f22f983, |v24|
	s_delay_alu instid0(VALU_DEP_1) | instskip(NEXT) | instid1(VALU_DEP_1)
	v_rndne_f32_e32 v6, v6
	v_fma_f32 v30, 0xbfc90fda, v6, |v24|
	v_cvt_i32_f32_e32 v32, v6
	s_delay_alu instid0(VALU_DEP_2) | instskip(NEXT) | instid1(VALU_DEP_1)
	v_fmac_f32_e32 v30, 0xb3a22168, v6
	v_fmac_f32_e32 v30, 0xa7c234c4, v6
; %bb.20:                               ;   in Loop: Header=BB115_4 Depth=1
	s_or_b32 exec_lo, exec_lo, s5
	v_and_b32_e32 v31, 0x7fffffff, v23
                                        ; implicit-def: $vgpr35
                                        ; implicit-def: $vgpr33
	s_mov_b32 s6, exec_lo
	v_cmpx_ngt_f32_e64 0x48000000, |v23|
	s_xor_b32 s27, exec_lo, s6
	s_cbranch_execz .LBB115_22
; %bb.21:                               ;   in Loop: Header=BB115_4 Depth=1
	v_and_or_b32 v6, v31, s24, 0x800000
	v_dual_lshrrev_b32 v33, 23, v31 :: v_dual_mov_b32 v45, v7
	s_delay_alu instid0(VALU_DEP_2) | instskip(SKIP_1) | instid1(VALU_DEP_3)
	v_mul_u64_e32 v[34:35], s[18:19], v[6:7]
	v_mov_b32_e32 v37, v7
	v_add_nc_u32_e32 v33, 0xffffff88, v33
	s_delay_alu instid0(VALU_DEP_1) | instskip(NEXT) | instid1(VALU_DEP_4)
	v_cmp_lt_u32_e64 s5, 63, v33
	v_mov_b32_e32 v36, v35
	s_delay_alu instid0(VALU_DEP_2) | instskip(NEXT) | instid1(VALU_DEP_2)
	v_cndmask_b32_e64 v35, 0, 0xffffffc0, s5
	v_mad_nc_u64_u32 v[36:37], 0x3c439041, v6, v[36:37]
	s_delay_alu instid0(VALU_DEP_1) | instskip(NEXT) | instid1(VALU_DEP_1)
	v_dual_mov_b32 v39, v7 :: v_dual_mov_b32 v38, v37
	v_mad_nc_u64_u32 v[38:39], 0xdb629599, v6, v[38:39]
	s_delay_alu instid0(VALU_DEP_1) | instskip(NEXT) | instid1(VALU_DEP_2)
	v_dual_mov_b32 v41, v7 :: v_dual_mov_b32 v40, v39
	v_cndmask_b32_e64 v34, v38, v34, s5
	s_delay_alu instid0(VALU_DEP_2) | instskip(NEXT) | instid1(VALU_DEP_1)
	v_mad_nc_u64_u32 v[40:41], 0xf534ddc0, v6, v[40:41]
	v_dual_mov_b32 v43, v7 :: v_dual_mov_b32 v42, v41
	s_delay_alu instid0(VALU_DEP_1) | instskip(NEXT) | instid1(VALU_DEP_1)
	v_mad_nc_u64_u32 v[42:43], 0xfc2757d1, v6, v[42:43]
	v_dual_mov_b32 v44, v43 :: v_dual_cndmask_b32 v41, v42, v38, s5
	s_delay_alu instid0(VALU_DEP_1) | instskip(SKIP_1) | instid1(VALU_DEP_2)
	v_mad_nc_u64_u32 v[44:45], 0x4e441529, v6, v[44:45]
	v_add_nc_u32_e32 v33, v35, v33
	v_dual_mov_b32 v47, v7 :: v_dual_mov_b32 v46, v45
	s_delay_alu instid0(VALU_DEP_2) | instskip(NEXT) | instid1(VALU_DEP_2)
	v_cmp_lt_u32_e64 s6, 31, v33
	v_mad_nc_u64_u32 v[46:47], 0xa2f9836e, v6, v[46:47]
	s_delay_alu instid0(VALU_DEP_2) | instskip(NEXT) | instid1(VALU_DEP_1)
	v_cndmask_b32_e64 v35, 0, 0xffffffe0, s6
	v_dual_add_nc_u32 v6, v35, v33 :: v_dual_cndmask_b32 v35, v44, v40, s5
	s_delay_alu instid0(VALU_DEP_3) | instskip(NEXT) | instid1(VALU_DEP_2)
	v_cndmask_b32_e64 v37, v46, v42, s5
	v_cmp_lt_u32_e64 s7, 31, v6
	v_cndmask_b32_e64 v39, v47, v44, s5
	s_delay_alu instid0(VALU_DEP_2) | instskip(NEXT) | instid1(VALU_DEP_1)
	v_cndmask_b32_e64 v33, 0, 0xffffffe0, s7
	v_dual_add_nc_u32 v6, v33, v6 :: v_dual_cndmask_b32 v33, v40, v36, s5
	s_delay_alu instid0(VALU_DEP_3) | instskip(NEXT) | instid1(VALU_DEP_2)
	v_dual_cndmask_b32 v36, v37, v35, s6 :: v_dual_cndmask_b32 v37, v39, v37, s6
	v_dual_cndmask_b32 v35, v35, v41, s6 :: v_dual_sub_nc_u32 v39, 32, v6
	s_delay_alu instid0(VALU_DEP_3) | instskip(SKIP_1) | instid1(VALU_DEP_3)
	v_cndmask_b32_e64 v40, v41, v33, s6
	v_cmp_eq_u32_e64 s5, 0, v6
	v_dual_cndmask_b32 v37, v37, v36, s7 :: v_dual_cndmask_b32 v36, v36, v35, s7
	s_delay_alu instid0(VALU_DEP_1) | instskip(NEXT) | instid1(VALU_DEP_1)
	v_alignbit_b32 v41, v37, v36, v39
	v_dual_cndmask_b32 v35, v35, v40, s7 :: v_dual_cndmask_b32 v6, v41, v37, s5
	s_delay_alu instid0(VALU_DEP_1) | instskip(NEXT) | instid1(VALU_DEP_1)
	v_alignbit_b32 v38, v36, v35, v39
	v_dual_cndmask_b32 v33, v33, v34, s6 :: v_dual_cndmask_b32 v34, v38, v36, s5
	s_delay_alu instid0(VALU_DEP_3) | instskip(NEXT) | instid1(VALU_DEP_2)
	v_bfe_u32 v36, v6, 29, 1
	v_cndmask_b32_e64 v33, v40, v33, s7
	s_delay_alu instid0(VALU_DEP_3) | instskip(NEXT) | instid1(VALU_DEP_3)
	v_alignbit_b32 v37, v6, v34, 30
	v_sub_nc_u32_e32 v38, 0, v36
	s_delay_alu instid0(VALU_DEP_3) | instskip(NEXT) | instid1(VALU_DEP_1)
	v_alignbit_b32 v39, v35, v33, v39
	v_dual_cndmask_b32 v35, v39, v35, s5 :: v_dual_bitop2_b32 v37, v37, v38 bitop3:0x14
	s_delay_alu instid0(VALU_DEP_1) | instskip(NEXT) | instid1(VALU_DEP_2)
	v_clz_i32_u32_e32 v39, v37
	v_alignbit_b32 v34, v34, v35, 30
	v_alignbit_b32 v33, v35, v33, 30
	s_delay_alu instid0(VALU_DEP_3) | instskip(NEXT) | instid1(VALU_DEP_3)
	v_min_u32_e32 v39, 32, v39
	v_xor_b32_e32 v34, v34, v38
	s_delay_alu instid0(VALU_DEP_3) | instskip(SKIP_1) | instid1(VALU_DEP_4)
	v_xor_b32_e32 v33, v33, v38
	v_dual_lshrrev_b32 v38, 29, v6 :: v_dual_lshrrev_b32 v6, 30, v6
	v_dual_sub_nc_u32 v35, 31, v39 :: v_dual_lshlrev_b32 v40, 23, v39
	s_delay_alu instid0(VALU_DEP_1) | instskip(NEXT) | instid1(VALU_DEP_4)
	v_alignbit_b32 v37, v37, v34, v35
	v_alignbit_b32 v33, v34, v33, v35
	s_delay_alu instid0(VALU_DEP_4) | instskip(NEXT) | instid1(VALU_DEP_2)
	v_lshlrev_b32_e32 v34, 31, v38
	v_alignbit_b32 v35, v37, v33, 9
	s_delay_alu instid0(VALU_DEP_2) | instskip(SKIP_1) | instid1(VALU_DEP_3)
	v_dual_lshrrev_b32 v37, 9, v37 :: v_dual_bitop2_b32 v38, 0.5, v34 bitop3:0x54
	v_or_b32_e32 v34, 0x33000000, v34
	v_clz_i32_u32_e32 v41, v35
	s_delay_alu instid0(VALU_DEP_3) | instskip(NEXT) | instid1(VALU_DEP_2)
	v_sub_nc_u32_e32 v38, v38, v40
	v_min_u32_e32 v40, 32, v41
	s_delay_alu instid0(VALU_DEP_1) | instskip(NEXT) | instid1(VALU_DEP_3)
	v_add_lshl_u32 v39, v40, v39, 23
	v_or_b32_e32 v37, v37, v38
	v_not_b32_e32 v38, v40
	s_delay_alu instid0(VALU_DEP_2) | instskip(NEXT) | instid1(VALU_DEP_2)
	v_dual_mul_f32 v41, 0x3fc90fda, v37 :: v_dual_sub_nc_u32 v34, v34, v39
	v_alignbit_b32 v33, v35, v33, v38
	s_delay_alu instid0(VALU_DEP_2) | instskip(NEXT) | instid1(VALU_DEP_2)
	v_fma_f32 v35, 0x3fc90fda, v37, -v41
	v_lshrrev_b32_e32 v33, 9, v33
	s_delay_alu instid0(VALU_DEP_2) | instskip(NEXT) | instid1(VALU_DEP_2)
	v_fmac_f32_e32 v35, 0x33a22168, v37
	v_or_b32_e32 v33, v34, v33
	s_delay_alu instid0(VALU_DEP_1) | instskip(NEXT) | instid1(VALU_DEP_1)
	v_fmac_f32_e32 v35, 0x3fc90fda, v33
	v_dual_add_f32 v33, v41, v35 :: v_dual_add_nc_u32 v35, v36, v6
.LBB115_22:                             ;   in Loop: Header=BB115_4 Depth=1
	s_and_not1_saveexec_b32 s5, s27
; %bb.23:                               ;   in Loop: Header=BB115_4 Depth=1
	v_mul_f32_e64 v6, 0x3f22f983, |v23|
	s_delay_alu instid0(VALU_DEP_1) | instskip(NEXT) | instid1(VALU_DEP_1)
	v_rndne_f32_e32 v6, v6
	v_fma_f32 v33, 0xbfc90fda, v6, |v23|
	v_cvt_i32_f32_e32 v35, v6
	s_delay_alu instid0(VALU_DEP_2) | instskip(NEXT) | instid1(VALU_DEP_1)
	v_fmac_f32_e32 v33, 0xb3a22168, v6
	v_fmac_f32_e32 v33, 0xa7c234c4, v6
; %bb.24:                               ;   in Loop: Header=BB115_4 Depth=1
	s_or_b32 exec_lo, exec_lo, s5
	v_and_b32_e32 v34, 0x7fffffff, v22
                                        ; implicit-def: $vgpr36
                                        ; implicit-def: $vgpr6
	s_mov_b32 s6, exec_lo
	v_cmpx_ngt_f32_e64 0x48000000, |v22|
	s_xor_b32 s27, exec_lo, s6
	s_cbranch_execnz .LBB115_30
; %bb.25:                               ;   in Loop: Header=BB115_4 Depth=1
	s_and_not1_saveexec_b32 s5, s27
	s_cbranch_execnz .LBB115_31
.LBB115_26:                             ;   in Loop: Header=BB115_4 Depth=1
	s_or_b32 exec_lo, exec_lo, s5
	s_and_saveexec_b32 s5, s4
	s_delay_alu instid0(SALU_CYCLE_1)
	s_xor_b32 s5, exec_lo, s5
	s_cbranch_execnz .LBB115_32
.LBB115_27:                             ;   in Loop: Header=BB115_4 Depth=1
	s_or_b32 exec_lo, exec_lo, s5
	s_and_saveexec_b32 s4, s3
	s_cbranch_execnz .LBB115_33
.LBB115_28:                             ;   in Loop: Header=BB115_4 Depth=1
	s_or_b32 exec_lo, exec_lo, s4
	s_and_saveexec_b32 s3, s2
	s_cbranch_execnz .LBB115_34
.LBB115_29:                             ;   in Loop: Header=BB115_4 Depth=1
	s_or_b32 exec_lo, exec_lo, s3
	s_and_saveexec_b32 s2, vcc_lo
	s_cbranch_execz .LBB115_3
	s_branch .LBB115_35
.LBB115_30:                             ;   in Loop: Header=BB115_4 Depth=1
	v_and_or_b32 v6, v34, s24, 0x800000
	v_mov_b32_e32 v47, v7
	s_delay_alu instid0(VALU_DEP_2) | instskip(NEXT) | instid1(VALU_DEP_1)
	v_mul_u64_e32 v[36:37], s[18:19], v[6:7]
	v_dual_mov_b32 v39, v7 :: v_dual_mov_b32 v38, v37
	v_lshrrev_b32_e32 v37, 23, v34
	s_delay_alu instid0(VALU_DEP_2) | instskip(SKIP_1) | instid1(VALU_DEP_3)
	v_mad_nc_u64_u32 v[38:39], 0x3c439041, v6, v[38:39]
	v_mov_b32_e32 v41, v7
	v_add_nc_u32_e32 v37, 0xffffff88, v37
	s_delay_alu instid0(VALU_DEP_1) | instskip(NEXT) | instid1(VALU_DEP_4)
	v_cmp_lt_u32_e64 s5, 63, v37
	v_mov_b32_e32 v40, v39
	s_delay_alu instid0(VALU_DEP_2) | instskip(NEXT) | instid1(VALU_DEP_2)
	v_cndmask_b32_e64 v39, 0, 0xffffffc0, s5
	v_mad_nc_u64_u32 v[40:41], 0xdb629599, v6, v[40:41]
	s_delay_alu instid0(VALU_DEP_1) | instskip(NEXT) | instid1(VALU_DEP_2)
	v_dual_mov_b32 v43, v7 :: v_dual_mov_b32 v42, v41
	v_cndmask_b32_e64 v36, v40, v36, s5
	s_delay_alu instid0(VALU_DEP_2) | instskip(NEXT) | instid1(VALU_DEP_1)
	v_mad_nc_u64_u32 v[42:43], 0xf534ddc0, v6, v[42:43]
	v_dual_mov_b32 v45, v7 :: v_dual_mov_b32 v44, v43
	s_delay_alu instid0(VALU_DEP_1) | instskip(NEXT) | instid1(VALU_DEP_1)
	v_mad_nc_u64_u32 v[44:45], 0xfc2757d1, v6, v[44:45]
	v_mov_b32_e32 v46, v45
	s_delay_alu instid0(VALU_DEP_1) | instskip(SKIP_2) | instid1(VALU_DEP_2)
	v_mad_nc_u64_u32 v[46:47], 0x4e441529, v6, v[46:47]
	v_add_nc_u32_e32 v37, v39, v37
	v_mov_b32_e32 v49, v7
	v_cmp_lt_u32_e64 s6, 31, v37
	s_delay_alu instid0(VALU_DEP_4) | instskip(NEXT) | instid1(VALU_DEP_2)
	v_mov_b32_e32 v48, v47
	v_cndmask_b32_e64 v39, 0, 0xffffffe0, s6
	s_delay_alu instid0(VALU_DEP_2) | instskip(NEXT) | instid1(VALU_DEP_2)
	v_mad_nc_u64_u32 v[48:49], 0xa2f9836e, v6, v[48:49]
	v_dual_add_nc_u32 v6, v39, v37 :: v_dual_cndmask_b32 v39, v46, v42, s5
	s_delay_alu instid0(VALU_DEP_2) | instskip(NEXT) | instid1(VALU_DEP_2)
	v_cndmask_b32_e64 v41, v48, v44, s5
	v_cmp_lt_u32_e64 s7, 31, v6
	s_delay_alu instid0(VALU_DEP_4) | instskip(NEXT) | instid1(VALU_DEP_2)
	v_dual_cndmask_b32 v43, v49, v46, s5 :: v_dual_cndmask_b32 v44, v44, v40, s5
	v_cndmask_b32_e64 v37, 0, 0xffffffe0, s7
	s_delay_alu instid0(VALU_DEP_1) | instskip(SKIP_1) | instid1(VALU_DEP_4)
	v_add_nc_u32_e32 v6, v37, v6
	v_dual_cndmask_b32 v37, v42, v38, s5 :: v_dual_cndmask_b32 v38, v41, v39, s6
	v_cndmask_b32_e64 v41, v43, v41, s6
	s_delay_alu instid0(VALU_DEP_3) | instskip(NEXT) | instid1(VALU_DEP_3)
	v_dual_cndmask_b32 v39, v39, v44, s6 :: v_dual_sub_nc_u32 v42, 32, v6
	v_cndmask_b32_e64 v43, v44, v37, s6
	v_cmp_eq_u32_e64 s5, 0, v6
	s_delay_alu instid0(VALU_DEP_3) | instskip(NEXT) | instid1(VALU_DEP_1)
	v_dual_cndmask_b32 v41, v41, v38, s7 :: v_dual_cndmask_b32 v38, v38, v39, s7
	v_alignbit_b32 v44, v41, v38, v42
	s_delay_alu instid0(VALU_DEP_1) | instskip(NEXT) | instid1(VALU_DEP_1)
	v_dual_cndmask_b32 v39, v39, v43, s7 :: v_dual_cndmask_b32 v6, v44, v41, s5
	v_alignbit_b32 v40, v38, v39, v42
	s_delay_alu instid0(VALU_DEP_1) | instskip(NEXT) | instid1(VALU_DEP_3)
	v_dual_cndmask_b32 v36, v37, v36, s6 :: v_dual_cndmask_b32 v37, v40, v38, s5
	v_bfe_u32 v38, v6, 29, 1
	s_delay_alu instid0(VALU_DEP_2) | instskip(NEXT) | instid1(VALU_DEP_3)
	v_cndmask_b32_e64 v36, v43, v36, s7
	v_alignbit_b32 v40, v6, v37, 30
	s_delay_alu instid0(VALU_DEP_3) | instskip(NEXT) | instid1(VALU_DEP_3)
	v_sub_nc_u32_e32 v41, 0, v38
	v_alignbit_b32 v42, v39, v36, v42
	s_delay_alu instid0(VALU_DEP_1) | instskip(NEXT) | instid1(VALU_DEP_1)
	v_dual_cndmask_b32 v39, v42, v39, s5 :: v_dual_bitop2_b32 v40, v40, v41 bitop3:0x14
	v_clz_i32_u32_e32 v42, v40
	s_delay_alu instid0(VALU_DEP_2) | instskip(SKIP_1) | instid1(VALU_DEP_3)
	v_alignbit_b32 v37, v37, v39, 30
	v_alignbit_b32 v36, v39, v36, 30
	v_min_u32_e32 v42, 32, v42
	s_delay_alu instid0(VALU_DEP_3) | instskip(NEXT) | instid1(VALU_DEP_3)
	v_xor_b32_e32 v37, v37, v41
	v_dual_lshrrev_b32 v41, 29, v6 :: v_dual_bitop2_b32 v36, v36, v41 bitop3:0x14
	s_delay_alu instid0(VALU_DEP_3) | instskip(NEXT) | instid1(VALU_DEP_1)
	v_dual_sub_nc_u32 v39, 31, v42 :: v_dual_lshlrev_b32 v43, 23, v42
	v_alignbit_b32 v40, v40, v37, v39
	s_delay_alu instid0(VALU_DEP_3) | instskip(NEXT) | instid1(VALU_DEP_4)
	v_alignbit_b32 v36, v37, v36, v39
	v_lshlrev_b32_e32 v37, 31, v41
	s_delay_alu instid0(VALU_DEP_2) | instskip(NEXT) | instid1(VALU_DEP_2)
	v_alignbit_b32 v39, v40, v36, 9
	v_dual_lshrrev_b32 v40, 9, v40 :: v_dual_bitop2_b32 v41, 0.5, v37 bitop3:0x54
	v_or_b32_e32 v37, 0x33000000, v37
	s_delay_alu instid0(VALU_DEP_3) | instskip(NEXT) | instid1(VALU_DEP_3)
	v_clz_i32_u32_e32 v44, v39
	v_sub_nc_u32_e32 v41, v41, v43
	s_delay_alu instid0(VALU_DEP_2) | instskip(NEXT) | instid1(VALU_DEP_1)
	v_min_u32_e32 v43, 32, v44
	v_add_lshl_u32 v42, v43, v42, 23
	s_delay_alu instid0(VALU_DEP_3) | instskip(SKIP_1) | instid1(VALU_DEP_2)
	v_or_b32_e32 v40, v40, v41
	v_not_b32_e32 v41, v43
	v_dual_mul_f32 v44, 0x3fc90fda, v40 :: v_dual_sub_nc_u32 v37, v37, v42
	s_delay_alu instid0(VALU_DEP_2) | instskip(NEXT) | instid1(VALU_DEP_2)
	v_alignbit_b32 v36, v39, v36, v41
	v_fma_f32 v39, 0x3fc90fda, v40, -v44
	s_delay_alu instid0(VALU_DEP_2) | instskip(NEXT) | instid1(VALU_DEP_2)
	v_lshrrev_b32_e32 v36, 9, v36
	v_fmac_f32_e32 v39, 0x33a22168, v40
	s_delay_alu instid0(VALU_DEP_2) | instskip(NEXT) | instid1(VALU_DEP_1)
	v_or_b32_e32 v36, v37, v36
	v_dual_fmac_f32 v39, 0x3fc90fda, v36 :: v_dual_lshrrev_b32 v36, 30, v6
	s_delay_alu instid0(VALU_DEP_1)
	v_dual_add_nc_u32 v36, v38, v36 :: v_dual_add_f32 v6, v44, v39
	s_and_not1_saveexec_b32 s5, s27
	s_cbranch_execz .LBB115_26
.LBB115_31:                             ;   in Loop: Header=BB115_4 Depth=1
	v_mul_f32_e64 v6, 0x3f22f983, |v22|
	s_delay_alu instid0(VALU_DEP_1) | instskip(NEXT) | instid1(VALU_DEP_1)
	v_rndne_f32_e32 v36, v6
	v_fma_f32 v6, 0xbfc90fda, v36, |v22|
	s_delay_alu instid0(VALU_DEP_1) | instskip(NEXT) | instid1(VALU_DEP_1)
	v_fmac_f32_e32 v6, 0xb3a22168, v36
	v_fmac_f32_e32 v6, 0xa7c234c4, v36
	v_cvt_i32_f32_e32 v36, v36
	s_or_b32 exec_lo, exec_lo, s5
	s_and_saveexec_b32 s5, s4
	s_delay_alu instid0(SALU_CYCLE_1)
	s_xor_b32 s5, exec_lo, s5
	s_cbranch_execz .LBB115_27
.LBB115_32:                             ;   in Loop: Header=BB115_4 Depth=1
	v_dual_mul_f32 v37, v27, v27 :: v_dual_bitop2_b32 v40, 1, v29 bitop3:0x40
	v_lshlrev_b32_e32 v29, 30, v29
	v_xor_b32_e32 v26, v26, v25
	s_delay_alu instid0(VALU_DEP_3) | instskip(NEXT) | instid1(VALU_DEP_4)
	v_fmaak_f32 v38, s25, v37, 0x3c0881c4
	v_cmp_eq_u32_e64 s4, 0, v40
	s_delay_alu instid0(VALU_DEP_4) | instskip(NEXT) | instid1(VALU_DEP_3)
	v_and_b32_e32 v29, 0x80000000, v29
	v_fmaak_f32 v38, v37, v38, 0xbe2aaa9d
	s_delay_alu instid0(VALU_DEP_1) | instskip(NEXT) | instid1(VALU_DEP_1)
	v_dual_fmaak_f32 v39, s26, v37, 0xbab64f3b :: v_dual_mul_f32 v38, v37, v38
	v_fmaak_f32 v39, v37, v39, 0x3d2aabf7
	s_delay_alu instid0(VALU_DEP_2) | instskip(NEXT) | instid1(VALU_DEP_2)
	v_fmac_f32_e32 v27, v27, v38
	v_fmaak_f32 v39, v37, v39, 0xbf000004
	s_delay_alu instid0(VALU_DEP_1) | instskip(NEXT) | instid1(VALU_DEP_1)
	v_fma_f32 v37, v37, v39, 1.0
	v_cndmask_b32_e64 v27, v37, v27, s4
	v_cmp_class_f32_e64 s4, v25, 0x1f8
	s_delay_alu instid0(VALU_DEP_2) | instskip(NEXT) | instid1(VALU_DEP_1)
	v_xor3_b32 v26, v26, v29, v27
	v_cndmask_b32_e64 v25, 0x7fc00000, v26, s4
	s_delay_alu instid0(VALU_DEP_1)
	v_cvt_f16_f32_e32 v25, v25
	global_store_b16 v[10:11], v25, off
	s_wait_xcnt 0x0
	s_or_b32 exec_lo, exec_lo, s5
	s_and_saveexec_b32 s4, s3
	s_cbranch_execz .LBB115_28
.LBB115_33:                             ;   in Loop: Header=BB115_4 Depth=1
	v_dual_mul_f32 v25, v30, v30 :: v_dual_bitop2_b32 v29, 1, v32 bitop3:0x40
	v_lshlrev_b32_e32 v32, 30, v32
	s_delay_alu instid0(VALU_DEP_2) | instskip(NEXT) | instid1(VALU_DEP_3)
	v_fmaak_f32 v26, s25, v25, 0x3c0881c4
	v_cmp_eq_u32_e64 s3, 0, v29
	s_delay_alu instid0(VALU_DEP_2) | instskip(NEXT) | instid1(VALU_DEP_1)
	v_fmaak_f32 v26, v25, v26, 0xbe2aaa9d
	v_dual_fmaak_f32 v27, s26, v25, 0xbab64f3b :: v_dual_mul_f32 v26, v25, v26
	s_delay_alu instid0(VALU_DEP_1) | instskip(NEXT) | instid1(VALU_DEP_1)
	v_dual_fmaak_f32 v27, v25, v27, 0x3d2aabf7 :: v_dual_fmac_f32 v30, v30, v26
	v_fmaak_f32 v27, v25, v27, 0xbf000004
	v_and_b32_e32 v26, 0x80000000, v32
	s_delay_alu instid0(VALU_DEP_2) | instskip(NEXT) | instid1(VALU_DEP_1)
	v_fma_f32 v25, v25, v27, 1.0
	v_dual_cndmask_b32 v25, v25, v30, s3 :: v_dual_bitop2_b32 v27, v28, v24 bitop3:0x14
	v_cmp_class_f32_e64 s3, v24, 0x1f8
	s_delay_alu instid0(VALU_DEP_2) | instskip(NEXT) | instid1(VALU_DEP_1)
	v_xor3_b32 v25, v27, v26, v25
	v_cndmask_b32_e64 v24, 0x7fc00000, v25, s3
	s_delay_alu instid0(VALU_DEP_1)
	v_cvt_f16_f32_e32 v24, v24
	global_store_b16 v[16:17], v24, off
	s_wait_xcnt 0x0
	s_or_b32 exec_lo, exec_lo, s4
	s_and_saveexec_b32 s3, s2
	s_cbranch_execz .LBB115_29
.LBB115_34:                             ;   in Loop: Header=BB115_4 Depth=1
	v_dual_mul_f32 v24, v33, v33 :: v_dual_bitop2_b32 v27, 1, v35 bitop3:0x40
	s_delay_alu instid0(VALU_DEP_1) | instskip(NEXT) | instid1(VALU_DEP_2)
	v_dual_fmaak_f32 v25, s25, v24, 0x3c0881c4 :: v_dual_lshlrev_b32 v28, 30, v35
	v_cmp_eq_u32_e64 s2, 0, v27
	s_delay_alu instid0(VALU_DEP_2) | instskip(NEXT) | instid1(VALU_DEP_1)
	v_fmaak_f32 v25, v24, v25, 0xbe2aaa9d
	v_dual_fmaak_f32 v26, s26, v24, 0xbab64f3b :: v_dual_mul_f32 v25, v24, v25
	s_delay_alu instid0(VALU_DEP_1) | instskip(NEXT) | instid1(VALU_DEP_1)
	v_dual_fmaak_f32 v26, v24, v26, 0x3d2aabf7 :: v_dual_fmac_f32 v33, v33, v25
	v_fmaak_f32 v26, v24, v26, 0xbf000004
	v_and_b32_e32 v25, 0x80000000, v28
	s_delay_alu instid0(VALU_DEP_2) | instskip(NEXT) | instid1(VALU_DEP_1)
	v_fma_f32 v24, v24, v26, 1.0
	v_dual_cndmask_b32 v24, v24, v33, s2 :: v_dual_bitop2_b32 v26, v31, v23 bitop3:0x14
	v_cmp_class_f32_e64 s2, v23, 0x1f8
	s_delay_alu instid0(VALU_DEP_2) | instskip(NEXT) | instid1(VALU_DEP_1)
	v_xor3_b32 v24, v26, v25, v24
	v_cndmask_b32_e64 v23, 0x7fc00000, v24, s2
	s_delay_alu instid0(VALU_DEP_1)
	v_cvt_f16_f32_e32 v23, v23
	global_store_b16 v[20:21], v23, off
	s_wait_xcnt 0x0
	s_or_b32 exec_lo, exec_lo, s3
	s_and_saveexec_b32 s2, vcc_lo
	s_cbranch_execz .LBB115_3
.LBB115_35:                             ;   in Loop: Header=BB115_4 Depth=1
	v_dual_mul_f32 v20, v6, v6 :: v_dual_bitop2_b32 v24, 1, v36 bitop3:0x40
	v_lshlrev_b32_e32 v25, 30, v36
	s_delay_alu instid0(VALU_DEP_2) | instskip(NEXT) | instid1(VALU_DEP_3)
	v_fmaak_f32 v21, s25, v20, 0x3c0881c4
	v_cmp_eq_u32_e32 vcc_lo, 0, v24
	s_delay_alu instid0(VALU_DEP_2) | instskip(NEXT) | instid1(VALU_DEP_1)
	v_fmaak_f32 v21, v20, v21, 0xbe2aaa9d
	v_mul_f32_e32 v21, v20, v21
	s_delay_alu instid0(VALU_DEP_1) | instskip(NEXT) | instid1(VALU_DEP_1)
	v_dual_fmaak_f32 v23, s26, v20, 0xbab64f3b :: v_dual_fmac_f32 v6, v6, v21
	v_fmaak_f32 v23, v20, v23, 0x3d2aabf7
	v_and_b32_e32 v21, 0x80000000, v25
	s_delay_alu instid0(VALU_DEP_2) | instskip(NEXT) | instid1(VALU_DEP_1)
	v_fmaak_f32 v23, v20, v23, 0xbf000004
	v_fma_f32 v20, v20, v23, 1.0
	s_delay_alu instid0(VALU_DEP_1) | instskip(SKIP_2) | instid1(VALU_DEP_2)
	v_cndmask_b32_e32 v6, v20, v6, vcc_lo
	v_xor_b32_e32 v20, v34, v22
	v_cmp_class_f32_e64 vcc_lo, v22, 0x1f8
	v_xor3_b32 v6, v20, v21, v6
	s_delay_alu instid0(VALU_DEP_1) | instskip(NEXT) | instid1(VALU_DEP_1)
	v_cndmask_b32_e32 v6, 0x7fc00000, v6, vcc_lo
	v_cvt_f16_f32_e32 v6, v6
	global_store_b16 v[18:19], v6, off
	s_branch .LBB115_3
.LBB115_36:
	s_cbranch_execz .LBB115_38
	s_branch .LBB115_57
.LBB115_37:
.LBB115_38:
	v_min_i64 v[2:3], 0x10000, s[12:13]
	v_dual_mov_b32 v5, 0 :: v_dual_lshlrev_b32 v4, 2, v0
	s_mov_b32 s2, exec_lo
	s_delay_alu instid0(VALU_DEP_1)
	v_cmpx_lt_i64_e64 v[4:5], v[2:3]
	s_cbranch_execz .LBB115_57
; %bb.39:
	s_load_b32 s2, s[0:1], 0xd3c
	v_dual_mov_b32 v1, v5 :: v_dual_lshlrev_b32 v4, 3, v0
	s_wait_xcnt 0x0
	s_add_nc_u64 s[0:1], s[8:9], s[10:11]
	s_mov_b32 s3, 0
	s_mov_b32 s8, 0x7fffff
	v_add_nc_u64_e32 v[6:7], s[0:1], v[4:5]
	s_mov_b64 s[4:5], 0xfe5163ab
	s_mov_b32 s9, 0xb94c1982
	s_mov_b32 s10, 0x37d75334
	;; [unrolled: 1-line block ×4, first 2 shown]
	s_delay_alu instid0(VALU_DEP_1) | instskip(SKIP_2) | instid1(SALU_CYCLE_1)
	v_add_nc_u64_e32 v[6:7], 4, v[6:7]
	s_wait_kmcnt 0x0
	s_and_b32 s2, s2, 0xffff
	s_lshl_b32 s6, s2, 3
	s_branch .LBB115_41
.LBB115_40:                             ;   in Loop: Header=BB115_41 Depth=1
	s_or_b32 exec_lo, exec_lo, s0
	v_dual_mul_f32 v23, v19, v19 :: v_dual_bitop2_b32 v24, 1, v21 bitop3:0x40
	v_lshlrev_b32_e32 v21, 30, v21
	v_dual_mul_f32 v27, v15, v15 :: v_dual_bitop2_b32 v18, v18, v17 bitop3:0x14
	s_delay_alu instid0(VALU_DEP_3) | instskip(SKIP_2) | instid1(VALU_DEP_3)
	v_dual_fmaak_f32 v25, s9, v23, 0x3c0881c4 :: v_dual_mul_f32 v32, v4, v4
	v_dual_fmaak_f32 v26, s10, v23, 0xbab64f3b :: v_dual_mul_f32 v29, v12, v12
	v_cmp_eq_u32_e32 vcc_lo, 0, v24
	v_fmaak_f32 v25, v23, v25, 0xbe2aaa9d
	v_and_b32_e32 v28, 1, v16
	s_delay_alu instid0(VALU_DEP_4) | instskip(SKIP_4) | instid1(VALU_DEP_4)
	v_fmaak_f32 v26, v23, v26, 0x3d2aabf7
	v_dual_fmaak_f32 v31, s10, v27, 0xbab64f3b :: v_dual_lshlrev_b32 v16, 30, v16
	v_fmaak_f32 v24, s10, v29, 0xbab64f3b
	v_dual_mul_f32 v25, v23, v25 :: v_dual_fmaak_f32 v30, s9, v27, 0x3c0881c4
	v_and_b32_e32 v21, 0x80000000, v21
	v_and_b32_e32 v16, 0x80000000, v16
	v_xor_b32_e32 v11, v11, v10
	s_delay_alu instid0(VALU_DEP_4) | instskip(SKIP_4) | instid1(VALU_DEP_4)
	v_fmac_f32_e32 v19, v19, v25
	v_fmaak_f32 v26, v23, v26, 0xbf000004
	v_fmaak_f32 v30, v27, v30, 0xbe2aaa9d
	v_xor_b32_e32 v20, v20, v9
	v_add_nc_u64_e32 v[0:1], s[2:3], v[0:1]
	v_fma_f32 v23, v23, v26, 1.0
	s_delay_alu instid0(VALU_DEP_4) | instskip(NEXT) | instid1(VALU_DEP_2)
	v_dual_mul_f32 v25, v27, v30 :: v_dual_fmaak_f32 v30, s9, v29, 0x3c0881c4
	v_cndmask_b32_e32 v19, v23, v19, vcc_lo
	s_delay_alu instid0(VALU_DEP_2) | instskip(SKIP_1) | instid1(VALU_DEP_3)
	v_fmac_f32_e32 v15, v15, v25
	v_cmp_eq_u32_e32 vcc_lo, 0, v28
	v_xor3_b32 v18, v18, v21, v19
	v_fmaak_f32 v19, v29, v24, 0x3d2aabf7
	v_fmaak_f32 v24, s10, v32, 0xbab64f3b
	s_delay_alu instid0(VALU_DEP_2) | instskip(NEXT) | instid1(VALU_DEP_1)
	v_fmaak_f32 v19, v29, v19, 0xbf000004
	v_fma_f32 v19, v29, v19, 1.0
	v_fmaak_f32 v25, v29, v30, 0xbe2aaa9d
	s_delay_alu instid0(VALU_DEP_1) | instskip(NEXT) | instid1(VALU_DEP_1)
	v_mul_f32_e32 v21, v29, v25
	v_dual_fmaak_f32 v31, v27, v31, 0x3d2aabf7 :: v_dual_fmac_f32 v12, v12, v21
	s_delay_alu instid0(VALU_DEP_1) | instskip(NEXT) | instid1(VALU_DEP_1)
	v_fmaak_f32 v26, v27, v31, 0xbf000004
	v_fma_f32 v23, v27, v26, 1.0
	s_delay_alu instid0(VALU_DEP_1) | instskip(SKIP_1) | instid1(VALU_DEP_1)
	v_cndmask_b32_e32 v15, v23, v15, vcc_lo
	v_fmaak_f32 v23, s9, v32, 0x3c0881c4
	v_fmaak_f32 v21, v32, v23, 0xbe2aaa9d
	;; [unrolled: 1-line block ×3, first 2 shown]
	v_and_b32_e32 v24, 1, v13
	v_dual_lshlrev_b32 v13, 30, v13 :: v_dual_bitop2_b32 v14, v14, v8 bitop3:0x14
	s_delay_alu instid0(VALU_DEP_4) | instskip(NEXT) | instid1(VALU_DEP_3)
	v_mul_f32_e32 v21, v32, v21
	v_cmp_eq_u32_e32 vcc_lo, 0, v24
	s_delay_alu instid0(VALU_DEP_3) | instskip(NEXT) | instid1(VALU_DEP_3)
	v_xor3_b32 v14, v14, v16, v15
	v_dual_fmac_f32 v4, v4, v21 :: v_dual_cndmask_b32 v12, v19, v12, vcc_lo
	v_dual_lshlrev_b32 v22, 30, v22 :: v_dual_bitop2_b32 v19, 1, v22 bitop3:0x40
	v_and_b32_e32 v13, 0x80000000, v13
	s_delay_alu instid0(VALU_DEP_2) | instskip(SKIP_1) | instid1(VALU_DEP_4)
	v_cmp_eq_u32_e32 vcc_lo, 0, v19
	v_fmaak_f32 v23, v32, v23, 0xbf000004
	v_and_b32_e32 v19, 0x80000000, v22
	s_delay_alu instid0(VALU_DEP_4) | instskip(NEXT) | instid1(VALU_DEP_3)
	v_xor3_b32 v11, v11, v13, v12
	v_fma_f32 v21, v32, v23, 1.0
	s_delay_alu instid0(VALU_DEP_1) | instskip(SKIP_1) | instid1(VALU_DEP_2)
	v_cndmask_b32_e32 v4, v21, v4, vcc_lo
	v_cmp_class_f32_e64 vcc_lo, v17, 0x1f8
	v_xor3_b32 v4, v20, v19, v4
	v_cndmask_b32_e32 v17, 0x7fc00000, v18, vcc_lo
	v_cmp_class_f32_e64 vcc_lo, v8, 0x1f8
	v_cndmask_b32_e32 v12, 0x7fc00000, v14, vcc_lo
	v_cmp_class_f32_e64 vcc_lo, v9, 0x1f8
	v_lshlrev_b64_e32 v[8:9], 2, v[0:1]
	v_cndmask_b32_e32 v4, 0x7fc00000, v4, vcc_lo
	v_cmp_class_f32_e64 vcc_lo, v10, 0x1f8
	v_cndmask_b32_e32 v10, 0x7fc00000, v11, vcc_lo
	s_delay_alu instid0(VALU_DEP_3) | instskip(SKIP_1) | instid1(VALU_DEP_3)
	v_cvt_pk_f16_f32 v11, v17, v4
	v_cmp_ge_i64_e32 vcc_lo, v[8:9], v[2:3]
	v_cvt_pk_f16_f32 v10, v10, v12
	s_or_b32 s11, vcc_lo, s11
	global_store_b64 v[6:7], v[10:11], off offset:-4
	s_wait_xcnt 0x0
	v_add_nc_u64_e32 v[6:7], s[6:7], v[6:7]
	s_and_not1_b32 exec_lo, exec_lo, s11
	s_cbranch_execz .LBB115_57
.LBB115_41:                             ; =>This Inner Loop Header: Depth=1
	global_load_b64 v[8:9], v[6:7], off offset:-4
                                        ; implicit-def: $vgpr13
                                        ; implicit-def: $vgpr12
	s_mov_b32 s1, exec_lo
	s_wait_loadcnt 0x0
	v_cvt_f32_f16_e32 v10, v8
	s_delay_alu instid0(VALU_DEP_1)
	v_and_b32_e32 v11, 0x7fffffff, v10
	s_wait_xcnt 0x0
	v_cmpx_ngt_f32_e64 0x48000000, |v10|
	s_xor_b32 s12, exec_lo, s1
	s_cbranch_execz .LBB115_43
; %bb.42:                               ;   in Loop: Header=BB115_41 Depth=1
	v_and_or_b32 v4, v11, s8, 0x800000
	v_dual_mov_b32 v23, v5 :: v_dual_mov_b32 v25, v5
	s_delay_alu instid0(VALU_DEP_2) | instskip(NEXT) | instid1(VALU_DEP_1)
	v_mul_u64_e32 v[12:13], s[4:5], v[4:5]
	v_dual_mov_b32 v15, v5 :: v_dual_mov_b32 v14, v13
	v_lshrrev_b32_e32 v13, 23, v11
	s_delay_alu instid0(VALU_DEP_2) | instskip(SKIP_1) | instid1(VALU_DEP_3)
	v_mad_nc_u64_u32 v[14:15], 0x3c439041, v4, v[14:15]
	v_mov_b32_e32 v17, v5
	v_add_nc_u32_e32 v13, 0xffffff88, v13
	s_delay_alu instid0(VALU_DEP_1) | instskip(NEXT) | instid1(VALU_DEP_4)
	v_cmp_lt_u32_e32 vcc_lo, 63, v13
	v_mov_b32_e32 v16, v15
	v_cndmask_b32_e64 v15, 0, 0xffffffc0, vcc_lo
	s_delay_alu instid0(VALU_DEP_2) | instskip(NEXT) | instid1(VALU_DEP_2)
	v_mad_nc_u64_u32 v[16:17], 0xdb629599, v4, v[16:17]
	v_dual_mov_b32 v19, v5 :: v_dual_add_nc_u32 v13, v15, v13
	s_delay_alu instid0(VALU_DEP_1) | instskip(NEXT) | instid1(VALU_DEP_3)
	v_cmp_lt_u32_e64 s0, 31, v13
	v_mov_b32_e32 v18, v17
	s_delay_alu instid0(VALU_DEP_2) | instskip(SKIP_1) | instid1(VALU_DEP_3)
	v_cndmask_b32_e64 v15, 0, 0xffffffe0, s0
	v_cndmask_b32_e32 v12, v16, v12, vcc_lo
	v_mad_nc_u64_u32 v[18:19], 0xf534ddc0, v4, v[18:19]
	s_delay_alu instid0(VALU_DEP_1) | instskip(NEXT) | instid1(VALU_DEP_1)
	v_dual_mov_b32 v21, v5 :: v_dual_mov_b32 v20, v19
	v_mad_nc_u64_u32 v[20:21], 0xfc2757d1, v4, v[20:21]
	s_delay_alu instid0(VALU_DEP_1) | instskip(NEXT) | instid1(VALU_DEP_1)
	v_mov_b32_e32 v22, v21
	v_mad_nc_u64_u32 v[22:23], 0x4e441529, v4, v[22:23]
	s_delay_alu instid0(VALU_DEP_1) | instskip(NEXT) | instid1(VALU_DEP_1)
	v_mov_b32_e32 v24, v23
	v_mad_nc_u64_u32 v[24:25], 0xa2f9836e, v4, v[24:25]
	s_delay_alu instid0(VALU_DEP_3) | instskip(NEXT) | instid1(VALU_DEP_2)
	v_dual_cndmask_b32 v15, v22, v18 :: v_dual_add_nc_u32 v4, v15, v13
	v_cndmask_b32_e32 v17, v24, v20, vcc_lo
	s_delay_alu instid0(VALU_DEP_2) | instskip(NEXT) | instid1(VALU_DEP_4)
	v_cmp_lt_u32_e64 s1, 31, v4
	v_dual_cndmask_b32 v19, v25, v22 :: v_dual_cndmask_b32 v20, v20, v16
	s_delay_alu instid0(VALU_DEP_2) | instskip(NEXT) | instid1(VALU_DEP_1)
	v_cndmask_b32_e64 v13, 0, 0xffffffe0, s1
	v_dual_cndmask_b32 v13, v18, v14 :: v_dual_add_nc_u32 v4, v13, v4
	s_delay_alu instid0(VALU_DEP_3) | instskip(NEXT) | instid1(VALU_DEP_4)
	v_dual_cndmask_b32 v14, v17, v15, s0 :: v_dual_cndmask_b32 v17, v19, v17, s0
	v_cndmask_b32_e64 v15, v15, v20, s0
	s_delay_alu instid0(VALU_DEP_3) | instskip(SKIP_1) | instid1(VALU_DEP_3)
	v_dual_sub_nc_u32 v18, 32, v4 :: v_dual_cndmask_b32 v19, v20, v13, s0
	v_cmp_eq_u32_e32 vcc_lo, 0, v4
	v_dual_cndmask_b32 v17, v17, v14, s1 :: v_dual_cndmask_b32 v14, v14, v15, s1
	s_delay_alu instid0(VALU_DEP_1) | instskip(NEXT) | instid1(VALU_DEP_1)
	v_alignbit_b32 v20, v17, v14, v18
	v_dual_cndmask_b32 v15, v15, v19, s1 :: v_dual_cndmask_b32 v4, v20, v17, vcc_lo
	s_delay_alu instid0(VALU_DEP_1) | instskip(NEXT) | instid1(VALU_DEP_1)
	v_alignbit_b32 v16, v14, v15, v18
	v_dual_cndmask_b32 v12, v13, v12, s0 :: v_dual_cndmask_b32 v13, v16, v14, vcc_lo
	s_delay_alu instid0(VALU_DEP_3) | instskip(NEXT) | instid1(VALU_DEP_2)
	v_bfe_u32 v14, v4, 29, 1
	v_cndmask_b32_e64 v12, v19, v12, s1
	s_delay_alu instid0(VALU_DEP_3) | instskip(NEXT) | instid1(VALU_DEP_3)
	v_alignbit_b32 v16, v4, v13, 30
	v_sub_nc_u32_e32 v17, 0, v14
	s_delay_alu instid0(VALU_DEP_3) | instskip(NEXT) | instid1(VALU_DEP_1)
	v_alignbit_b32 v18, v15, v12, v18
	v_dual_cndmask_b32 v15, v18, v15, vcc_lo :: v_dual_bitop2_b32 v16, v16, v17 bitop3:0x14
	s_delay_alu instid0(VALU_DEP_1) | instskip(NEXT) | instid1(VALU_DEP_2)
	v_clz_i32_u32_e32 v18, v16
	v_alignbit_b32 v13, v13, v15, 30
	v_alignbit_b32 v12, v15, v12, 30
	s_delay_alu instid0(VALU_DEP_3) | instskip(NEXT) | instid1(VALU_DEP_3)
	v_min_u32_e32 v18, 32, v18
	v_xor_b32_e32 v13, v13, v17
	s_delay_alu instid0(VALU_DEP_3) | instskip(NEXT) | instid1(VALU_DEP_3)
	v_dual_lshrrev_b32 v17, 29, v4 :: v_dual_bitop2_b32 v12, v12, v17 bitop3:0x14
	v_dual_sub_nc_u32 v15, 31, v18 :: v_dual_lshlrev_b32 v19, 23, v18
	s_delay_alu instid0(VALU_DEP_1) | instskip(NEXT) | instid1(VALU_DEP_3)
	v_alignbit_b32 v16, v16, v13, v15
	v_alignbit_b32 v12, v13, v12, v15
	s_delay_alu instid0(VALU_DEP_4) | instskip(NEXT) | instid1(VALU_DEP_2)
	v_lshlrev_b32_e32 v13, 31, v17
	v_alignbit_b32 v15, v16, v12, 9
	s_delay_alu instid0(VALU_DEP_2) | instskip(SKIP_1) | instid1(VALU_DEP_3)
	v_dual_lshrrev_b32 v16, 9, v16 :: v_dual_bitop2_b32 v17, 0.5, v13 bitop3:0x54
	v_or_b32_e32 v13, 0x33000000, v13
	v_clz_i32_u32_e32 v20, v15
	s_delay_alu instid0(VALU_DEP_3) | instskip(NEXT) | instid1(VALU_DEP_2)
	v_sub_nc_u32_e32 v17, v17, v19
	v_min_u32_e32 v19, 32, v20
	s_delay_alu instid0(VALU_DEP_1) | instskip(NEXT) | instid1(VALU_DEP_3)
	v_add_lshl_u32 v18, v19, v18, 23
	v_or_b32_e32 v16, v16, v17
	v_not_b32_e32 v17, v19
	s_delay_alu instid0(VALU_DEP_2) | instskip(NEXT) | instid1(VALU_DEP_2)
	v_dual_mul_f32 v20, 0x3fc90fda, v16 :: v_dual_sub_nc_u32 v13, v13, v18
	v_alignbit_b32 v12, v15, v12, v17
	s_delay_alu instid0(VALU_DEP_2) | instskip(NEXT) | instid1(VALU_DEP_2)
	v_fma_f32 v15, 0x3fc90fda, v16, -v20
	v_lshrrev_b32_e32 v12, 9, v12
	s_delay_alu instid0(VALU_DEP_2) | instskip(NEXT) | instid1(VALU_DEP_2)
	v_fmac_f32_e32 v15, 0x33a22168, v16
	v_or_b32_e32 v12, v13, v12
	s_delay_alu instid0(VALU_DEP_1) | instskip(NEXT) | instid1(VALU_DEP_1)
	v_fmac_f32_e32 v15, 0x3fc90fda, v12
	v_dual_lshrrev_b32 v4, 30, v4 :: v_dual_add_f32 v12, v20, v15
	s_delay_alu instid0(VALU_DEP_1)
	v_add_nc_u32_e32 v13, v14, v4
.LBB115_43:                             ;   in Loop: Header=BB115_41 Depth=1
	s_and_not1_saveexec_b32 s0, s12
; %bb.44:                               ;   in Loop: Header=BB115_41 Depth=1
	v_mul_f32_e64 v4, 0x3f22f983, |v10|
	s_delay_alu instid0(VALU_DEP_1) | instskip(NEXT) | instid1(VALU_DEP_1)
	v_rndne_f32_e32 v4, v4
	v_fma_f32 v12, 0xbfc90fda, v4, |v10|
	v_cvt_i32_f32_e32 v13, v4
	s_delay_alu instid0(VALU_DEP_2) | instskip(NEXT) | instid1(VALU_DEP_1)
	v_fmac_f32_e32 v12, 0xb3a22168, v4
	v_fmac_f32_e32 v12, 0xa7c234c4, v4
; %bb.45:                               ;   in Loop: Header=BB115_41 Depth=1
	s_or_b32 exec_lo, exec_lo, s0
	v_lshrrev_b32_e32 v4, 16, v8
                                        ; implicit-def: $vgpr16
                                        ; implicit-def: $vgpr15
	s_mov_b32 s1, exec_lo
	s_delay_alu instid0(VALU_DEP_1) | instskip(NEXT) | instid1(VALU_DEP_1)
	v_cvt_f32_f16_e32 v8, v4
	v_and_b32_e32 v14, 0x7fffffff, v8
	v_cmpx_ngt_f32_e64 0x48000000, |v8|
	s_xor_b32 s12, exec_lo, s1
	s_cbranch_execz .LBB115_47
; %bb.46:                               ;   in Loop: Header=BB115_41 Depth=1
	s_delay_alu instid0(VALU_DEP_2) | instskip(SKIP_1) | instid1(VALU_DEP_2)
	v_and_or_b32 v4, v14, s8, 0x800000
	v_dual_lshrrev_b32 v15, 23, v14 :: v_dual_mov_b32 v27, v5
	v_mul_u64_e32 v[16:17], s[4:5], v[4:5]
	v_mov_b32_e32 v19, v5
	s_delay_alu instid0(VALU_DEP_3) | instskip(NEXT) | instid1(VALU_DEP_1)
	v_add_nc_u32_e32 v15, 0xffffff88, v15
	v_cmp_lt_u32_e32 vcc_lo, 63, v15
	s_delay_alu instid0(VALU_DEP_4) | instskip(SKIP_1) | instid1(VALU_DEP_2)
	v_mov_b32_e32 v18, v17
	v_cndmask_b32_e64 v17, 0, 0xffffffc0, vcc_lo
	v_mad_nc_u64_u32 v[18:19], 0x3c439041, v4, v[18:19]
	s_delay_alu instid0(VALU_DEP_1) | instskip(NEXT) | instid1(VALU_DEP_1)
	v_dual_mov_b32 v21, v5 :: v_dual_mov_b32 v20, v19
	v_mad_nc_u64_u32 v[20:21], 0xdb629599, v4, v[20:21]
	s_delay_alu instid0(VALU_DEP_1) | instskip(NEXT) | instid1(VALU_DEP_2)
	v_dual_mov_b32 v23, v5 :: v_dual_mov_b32 v22, v21
	v_cndmask_b32_e32 v16, v20, v16, vcc_lo
	s_delay_alu instid0(VALU_DEP_2) | instskip(NEXT) | instid1(VALU_DEP_1)
	v_mad_nc_u64_u32 v[22:23], 0xf534ddc0, v4, v[22:23]
	v_dual_mov_b32 v25, v5 :: v_dual_mov_b32 v24, v23
	s_delay_alu instid0(VALU_DEP_1) | instskip(NEXT) | instid1(VALU_DEP_1)
	v_mad_nc_u64_u32 v[24:25], 0xfc2757d1, v4, v[24:25]
	v_dual_mov_b32 v26, v25 :: v_dual_cndmask_b32 v23, v24, v20
	s_delay_alu instid0(VALU_DEP_1) | instskip(SKIP_1) | instid1(VALU_DEP_2)
	v_mad_nc_u64_u32 v[26:27], 0x4e441529, v4, v[26:27]
	v_add_nc_u32_e32 v15, v17, v15
	v_dual_mov_b32 v29, v5 :: v_dual_mov_b32 v28, v27
	s_delay_alu instid0(VALU_DEP_2) | instskip(NEXT) | instid1(VALU_DEP_2)
	v_cmp_lt_u32_e64 s0, 31, v15
	v_mad_nc_u64_u32 v[28:29], 0xa2f9836e, v4, v[28:29]
	s_delay_alu instid0(VALU_DEP_2) | instskip(NEXT) | instid1(VALU_DEP_1)
	v_cndmask_b32_e64 v17, 0, 0xffffffe0, s0
	v_dual_cndmask_b32 v17, v26, v22 :: v_dual_add_nc_u32 v4, v17, v15
	s_delay_alu instid0(VALU_DEP_3) | instskip(NEXT) | instid1(VALU_DEP_2)
	v_cndmask_b32_e32 v19, v28, v24, vcc_lo
	v_cmp_lt_u32_e64 s1, 31, v4
	v_cndmask_b32_e32 v21, v29, v26, vcc_lo
	s_delay_alu instid0(VALU_DEP_2) | instskip(NEXT) | instid1(VALU_DEP_1)
	v_cndmask_b32_e64 v15, 0, 0xffffffe0, s1
	v_dual_cndmask_b32 v15, v22, v18 :: v_dual_add_nc_u32 v4, v15, v4
	s_delay_alu instid0(VALU_DEP_3) | instskip(NEXT) | instid1(VALU_DEP_2)
	v_dual_cndmask_b32 v18, v19, v17, s0 :: v_dual_cndmask_b32 v19, v21, v19, s0
	v_dual_cndmask_b32 v17, v17, v23, s0 :: v_dual_sub_nc_u32 v21, 32, v4
	s_delay_alu instid0(VALU_DEP_3) | instskip(SKIP_1) | instid1(VALU_DEP_3)
	v_cndmask_b32_e64 v22, v23, v15, s0
	v_cmp_eq_u32_e32 vcc_lo, 0, v4
	v_dual_cndmask_b32 v19, v19, v18, s1 :: v_dual_cndmask_b32 v18, v18, v17, s1
	s_delay_alu instid0(VALU_DEP_1) | instskip(NEXT) | instid1(VALU_DEP_1)
	v_alignbit_b32 v23, v19, v18, v21
	v_dual_cndmask_b32 v17, v17, v22, s1 :: v_dual_cndmask_b32 v4, v23, v19, vcc_lo
	s_delay_alu instid0(VALU_DEP_1) | instskip(NEXT) | instid1(VALU_DEP_1)
	v_alignbit_b32 v20, v18, v17, v21
	v_dual_cndmask_b32 v15, v15, v16, s0 :: v_dual_cndmask_b32 v16, v20, v18, vcc_lo
	s_delay_alu instid0(VALU_DEP_3) | instskip(NEXT) | instid1(VALU_DEP_2)
	v_bfe_u32 v18, v4, 29, 1
	v_cndmask_b32_e64 v15, v22, v15, s1
	s_delay_alu instid0(VALU_DEP_3) | instskip(NEXT) | instid1(VALU_DEP_3)
	v_alignbit_b32 v19, v4, v16, 30
	v_sub_nc_u32_e32 v20, 0, v18
	s_delay_alu instid0(VALU_DEP_3) | instskip(NEXT) | instid1(VALU_DEP_1)
	v_alignbit_b32 v21, v17, v15, v21
	v_dual_cndmask_b32 v17, v21, v17, vcc_lo :: v_dual_bitop2_b32 v19, v19, v20 bitop3:0x14
	s_delay_alu instid0(VALU_DEP_1) | instskip(NEXT) | instid1(VALU_DEP_2)
	v_clz_i32_u32_e32 v21, v19
	v_alignbit_b32 v16, v16, v17, 30
	v_alignbit_b32 v15, v17, v15, 30
	s_delay_alu instid0(VALU_DEP_3) | instskip(NEXT) | instid1(VALU_DEP_3)
	v_min_u32_e32 v21, 32, v21
	v_xor_b32_e32 v16, v16, v20
	s_delay_alu instid0(VALU_DEP_3) | instskip(SKIP_1) | instid1(VALU_DEP_4)
	v_xor_b32_e32 v15, v15, v20
	v_dual_lshrrev_b32 v20, 29, v4 :: v_dual_lshrrev_b32 v4, 30, v4
	v_dual_sub_nc_u32 v17, 31, v21 :: v_dual_lshlrev_b32 v22, 23, v21
	s_delay_alu instid0(VALU_DEP_1) | instskip(NEXT) | instid1(VALU_DEP_4)
	v_alignbit_b32 v19, v19, v16, v17
	v_alignbit_b32 v15, v16, v15, v17
	s_delay_alu instid0(VALU_DEP_4) | instskip(NEXT) | instid1(VALU_DEP_2)
	v_lshlrev_b32_e32 v16, 31, v20
	v_alignbit_b32 v17, v19, v15, 9
	s_delay_alu instid0(VALU_DEP_2) | instskip(SKIP_1) | instid1(VALU_DEP_3)
	v_dual_lshrrev_b32 v19, 9, v19 :: v_dual_bitop2_b32 v20, 0.5, v16 bitop3:0x54
	v_or_b32_e32 v16, 0x33000000, v16
	v_clz_i32_u32_e32 v23, v17
	s_delay_alu instid0(VALU_DEP_3) | instskip(NEXT) | instid1(VALU_DEP_2)
	v_sub_nc_u32_e32 v20, v20, v22
	v_min_u32_e32 v22, 32, v23
	s_delay_alu instid0(VALU_DEP_1) | instskip(NEXT) | instid1(VALU_DEP_3)
	v_add_lshl_u32 v21, v22, v21, 23
	v_or_b32_e32 v19, v19, v20
	v_not_b32_e32 v20, v22
	s_delay_alu instid0(VALU_DEP_2) | instskip(NEXT) | instid1(VALU_DEP_2)
	v_dual_mul_f32 v23, 0x3fc90fda, v19 :: v_dual_sub_nc_u32 v16, v16, v21
	v_alignbit_b32 v15, v17, v15, v20
	s_delay_alu instid0(VALU_DEP_2) | instskip(NEXT) | instid1(VALU_DEP_2)
	v_fma_f32 v17, 0x3fc90fda, v19, -v23
	v_lshrrev_b32_e32 v15, 9, v15
	s_delay_alu instid0(VALU_DEP_2) | instskip(NEXT) | instid1(VALU_DEP_2)
	v_fmac_f32_e32 v17, 0x33a22168, v19
	v_dual_add_nc_u32 v16, v18, v4 :: v_dual_bitop2_b32 v15, v16, v15 bitop3:0x54
	s_delay_alu instid0(VALU_DEP_1) | instskip(NEXT) | instid1(VALU_DEP_1)
	v_fmac_f32_e32 v17, 0x3fc90fda, v15
	v_add_f32_e32 v15, v23, v17
.LBB115_47:                             ;   in Loop: Header=BB115_41 Depth=1
	s_and_not1_saveexec_b32 s0, s12
; %bb.48:                               ;   in Loop: Header=BB115_41 Depth=1
	v_mul_f32_e64 v4, 0x3f22f983, |v8|
	s_delay_alu instid0(VALU_DEP_1) | instskip(NEXT) | instid1(VALU_DEP_1)
	v_rndne_f32_e32 v4, v4
	v_fma_f32 v15, 0xbfc90fda, v4, |v8|
	v_cvt_i32_f32_e32 v16, v4
	s_delay_alu instid0(VALU_DEP_2) | instskip(NEXT) | instid1(VALU_DEP_1)
	v_fmac_f32_e32 v15, 0xb3a22168, v4
	v_fmac_f32_e32 v15, 0xa7c234c4, v4
; %bb.49:                               ;   in Loop: Header=BB115_41 Depth=1
	s_or_b32 exec_lo, exec_lo, s0
	v_cvt_f32_f16_e32 v17, v9
                                        ; implicit-def: $vgpr21
                                        ; implicit-def: $vgpr19
	s_mov_b32 s1, exec_lo
	s_delay_alu instid0(VALU_DEP_1)
	v_and_b32_e32 v18, 0x7fffffff, v17
	v_cmpx_ngt_f32_e64 0x48000000, |v17|
	s_xor_b32 s12, exec_lo, s1
	s_cbranch_execz .LBB115_51
; %bb.50:                               ;   in Loop: Header=BB115_41 Depth=1
	s_delay_alu instid0(VALU_DEP_2) | instskip(SKIP_1) | instid1(VALU_DEP_2)
	v_and_or_b32 v4, v18, s8, 0x800000
	v_dual_lshrrev_b32 v19, 23, v18 :: v_dual_mov_b32 v31, v5
	v_mul_u64_e32 v[20:21], s[4:5], v[4:5]
	v_mov_b32_e32 v23, v5
	s_delay_alu instid0(VALU_DEP_3) | instskip(NEXT) | instid1(VALU_DEP_1)
	v_add_nc_u32_e32 v19, 0xffffff88, v19
	v_cmp_lt_u32_e32 vcc_lo, 63, v19
	s_delay_alu instid0(VALU_DEP_4) | instskip(SKIP_1) | instid1(VALU_DEP_2)
	v_mov_b32_e32 v22, v21
	v_cndmask_b32_e64 v21, 0, 0xffffffc0, vcc_lo
	v_mad_nc_u64_u32 v[22:23], 0x3c439041, v4, v[22:23]
	s_delay_alu instid0(VALU_DEP_1) | instskip(NEXT) | instid1(VALU_DEP_1)
	v_dual_mov_b32 v25, v5 :: v_dual_mov_b32 v24, v23
	v_mad_nc_u64_u32 v[24:25], 0xdb629599, v4, v[24:25]
	s_delay_alu instid0(VALU_DEP_1) | instskip(NEXT) | instid1(VALU_DEP_2)
	v_dual_mov_b32 v27, v5 :: v_dual_mov_b32 v26, v25
	v_cndmask_b32_e32 v20, v24, v20, vcc_lo
	s_delay_alu instid0(VALU_DEP_2) | instskip(NEXT) | instid1(VALU_DEP_1)
	v_mad_nc_u64_u32 v[26:27], 0xf534ddc0, v4, v[26:27]
	v_dual_mov_b32 v29, v5 :: v_dual_mov_b32 v28, v27
	s_delay_alu instid0(VALU_DEP_1) | instskip(NEXT) | instid1(VALU_DEP_1)
	v_mad_nc_u64_u32 v[28:29], 0xfc2757d1, v4, v[28:29]
	v_dual_mov_b32 v30, v29 :: v_dual_cndmask_b32 v27, v28, v24
	s_delay_alu instid0(VALU_DEP_1) | instskip(SKIP_1) | instid1(VALU_DEP_2)
	v_mad_nc_u64_u32 v[30:31], 0x4e441529, v4, v[30:31]
	v_add_nc_u32_e32 v19, v21, v19
	v_dual_mov_b32 v33, v5 :: v_dual_mov_b32 v32, v31
	s_delay_alu instid0(VALU_DEP_2) | instskip(NEXT) | instid1(VALU_DEP_2)
	v_cmp_lt_u32_e64 s0, 31, v19
	v_mad_nc_u64_u32 v[32:33], 0xa2f9836e, v4, v[32:33]
	s_delay_alu instid0(VALU_DEP_2) | instskip(NEXT) | instid1(VALU_DEP_1)
	v_cndmask_b32_e64 v21, 0, 0xffffffe0, s0
	v_dual_cndmask_b32 v21, v30, v26 :: v_dual_add_nc_u32 v4, v21, v19
	s_delay_alu instid0(VALU_DEP_3) | instskip(NEXT) | instid1(VALU_DEP_2)
	v_cndmask_b32_e32 v23, v32, v28, vcc_lo
	v_cmp_lt_u32_e64 s1, 31, v4
	v_cndmask_b32_e32 v25, v33, v30, vcc_lo
	s_delay_alu instid0(VALU_DEP_2) | instskip(NEXT) | instid1(VALU_DEP_1)
	v_cndmask_b32_e64 v19, 0, 0xffffffe0, s1
	v_dual_cndmask_b32 v19, v26, v22 :: v_dual_add_nc_u32 v4, v19, v4
	s_delay_alu instid0(VALU_DEP_3) | instskip(NEXT) | instid1(VALU_DEP_2)
	v_dual_cndmask_b32 v22, v23, v21, s0 :: v_dual_cndmask_b32 v23, v25, v23, s0
	v_dual_cndmask_b32 v21, v21, v27, s0 :: v_dual_sub_nc_u32 v25, 32, v4
	s_delay_alu instid0(VALU_DEP_3) | instskip(SKIP_1) | instid1(VALU_DEP_3)
	v_cndmask_b32_e64 v26, v27, v19, s0
	v_cmp_eq_u32_e32 vcc_lo, 0, v4
	v_dual_cndmask_b32 v23, v23, v22, s1 :: v_dual_cndmask_b32 v22, v22, v21, s1
	s_delay_alu instid0(VALU_DEP_1) | instskip(NEXT) | instid1(VALU_DEP_1)
	v_alignbit_b32 v27, v23, v22, v25
	v_dual_cndmask_b32 v21, v21, v26, s1 :: v_dual_cndmask_b32 v4, v27, v23, vcc_lo
	s_delay_alu instid0(VALU_DEP_1) | instskip(NEXT) | instid1(VALU_DEP_1)
	v_alignbit_b32 v24, v22, v21, v25
	v_dual_cndmask_b32 v19, v19, v20, s0 :: v_dual_cndmask_b32 v20, v24, v22, vcc_lo
	s_delay_alu instid0(VALU_DEP_3) | instskip(NEXT) | instid1(VALU_DEP_2)
	v_bfe_u32 v22, v4, 29, 1
	v_cndmask_b32_e64 v19, v26, v19, s1
	s_delay_alu instid0(VALU_DEP_3) | instskip(NEXT) | instid1(VALU_DEP_3)
	v_alignbit_b32 v23, v4, v20, 30
	v_sub_nc_u32_e32 v24, 0, v22
	s_delay_alu instid0(VALU_DEP_3) | instskip(NEXT) | instid1(VALU_DEP_1)
	v_alignbit_b32 v25, v21, v19, v25
	v_dual_cndmask_b32 v21, v25, v21, vcc_lo :: v_dual_bitop2_b32 v23, v23, v24 bitop3:0x14
	s_delay_alu instid0(VALU_DEP_1) | instskip(NEXT) | instid1(VALU_DEP_2)
	v_clz_i32_u32_e32 v25, v23
	v_alignbit_b32 v20, v20, v21, 30
	v_alignbit_b32 v19, v21, v19, 30
	s_delay_alu instid0(VALU_DEP_3) | instskip(NEXT) | instid1(VALU_DEP_3)
	v_min_u32_e32 v25, 32, v25
	v_xor_b32_e32 v20, v20, v24
	s_delay_alu instid0(VALU_DEP_3) | instskip(SKIP_1) | instid1(VALU_DEP_4)
	v_xor_b32_e32 v19, v19, v24
	v_dual_lshrrev_b32 v24, 29, v4 :: v_dual_lshrrev_b32 v4, 30, v4
	v_dual_sub_nc_u32 v21, 31, v25 :: v_dual_lshlrev_b32 v26, 23, v25
	s_delay_alu instid0(VALU_DEP_1) | instskip(NEXT) | instid1(VALU_DEP_4)
	v_alignbit_b32 v23, v23, v20, v21
	v_alignbit_b32 v19, v20, v19, v21
	s_delay_alu instid0(VALU_DEP_4) | instskip(NEXT) | instid1(VALU_DEP_2)
	v_lshlrev_b32_e32 v20, 31, v24
	v_alignbit_b32 v21, v23, v19, 9
	s_delay_alu instid0(VALU_DEP_2) | instskip(SKIP_1) | instid1(VALU_DEP_3)
	v_dual_lshrrev_b32 v23, 9, v23 :: v_dual_bitop2_b32 v24, 0.5, v20 bitop3:0x54
	v_or_b32_e32 v20, 0x33000000, v20
	v_clz_i32_u32_e32 v27, v21
	s_delay_alu instid0(VALU_DEP_3) | instskip(NEXT) | instid1(VALU_DEP_2)
	v_sub_nc_u32_e32 v24, v24, v26
	v_min_u32_e32 v26, 32, v27
	s_delay_alu instid0(VALU_DEP_1) | instskip(NEXT) | instid1(VALU_DEP_3)
	v_add_lshl_u32 v25, v26, v25, 23
	v_or_b32_e32 v23, v23, v24
	v_not_b32_e32 v24, v26
	s_delay_alu instid0(VALU_DEP_2) | instskip(NEXT) | instid1(VALU_DEP_2)
	v_dual_mul_f32 v27, 0x3fc90fda, v23 :: v_dual_sub_nc_u32 v20, v20, v25
	v_alignbit_b32 v19, v21, v19, v24
	s_delay_alu instid0(VALU_DEP_2) | instskip(NEXT) | instid1(VALU_DEP_2)
	v_fma_f32 v21, 0x3fc90fda, v23, -v27
	v_lshrrev_b32_e32 v19, 9, v19
	s_delay_alu instid0(VALU_DEP_2) | instskip(NEXT) | instid1(VALU_DEP_2)
	v_fmac_f32_e32 v21, 0x33a22168, v23
	v_or_b32_e32 v19, v20, v19
	s_delay_alu instid0(VALU_DEP_1) | instskip(NEXT) | instid1(VALU_DEP_1)
	v_fmac_f32_e32 v21, 0x3fc90fda, v19
	v_dual_add_f32 v19, v27, v21 :: v_dual_add_nc_u32 v21, v22, v4
.LBB115_51:                             ;   in Loop: Header=BB115_41 Depth=1
	s_and_not1_saveexec_b32 s0, s12
; %bb.52:                               ;   in Loop: Header=BB115_41 Depth=1
	v_mul_f32_e64 v4, 0x3f22f983, |v17|
	s_delay_alu instid0(VALU_DEP_1) | instskip(NEXT) | instid1(VALU_DEP_1)
	v_rndne_f32_e32 v4, v4
	v_fma_f32 v19, 0xbfc90fda, v4, |v17|
	v_cvt_i32_f32_e32 v21, v4
	s_delay_alu instid0(VALU_DEP_2) | instskip(NEXT) | instid1(VALU_DEP_1)
	v_fmac_f32_e32 v19, 0xb3a22168, v4
	v_fmac_f32_e32 v19, 0xa7c234c4, v4
; %bb.53:                               ;   in Loop: Header=BB115_41 Depth=1
	s_or_b32 exec_lo, exec_lo, s0
	v_lshrrev_b32_e32 v4, 16, v9
                                        ; implicit-def: $vgpr22
	s_mov_b32 s1, exec_lo
	s_delay_alu instid0(VALU_DEP_1) | instskip(NEXT) | instid1(VALU_DEP_1)
	v_cvt_f32_f16_e32 v9, v4
                                        ; implicit-def: $vgpr4
	v_and_b32_e32 v20, 0x7fffffff, v9
	v_cmpx_ngt_f32_e64 0x48000000, |v9|
	s_xor_b32 s12, exec_lo, s1
	s_cbranch_execz .LBB115_55
; %bb.54:                               ;   in Loop: Header=BB115_41 Depth=1
	s_delay_alu instid0(VALU_DEP_2) | instskip(SKIP_1) | instid1(VALU_DEP_2)
	v_and_or_b32 v4, v20, s8, 0x800000
	v_mov_b32_e32 v33, v5
	v_mul_u64_e32 v[22:23], s[4:5], v[4:5]
	s_delay_alu instid0(VALU_DEP_1) | instskip(SKIP_1) | instid1(VALU_DEP_2)
	v_dual_mov_b32 v25, v5 :: v_dual_mov_b32 v24, v23
	v_lshrrev_b32_e32 v23, 23, v20
	v_mad_nc_u64_u32 v[24:25], 0x3c439041, v4, v[24:25]
	v_mov_b32_e32 v27, v5
	s_delay_alu instid0(VALU_DEP_3) | instskip(NEXT) | instid1(VALU_DEP_1)
	v_add_nc_u32_e32 v23, 0xffffff88, v23
	v_cmp_lt_u32_e32 vcc_lo, 63, v23
	s_delay_alu instid0(VALU_DEP_4) | instskip(SKIP_1) | instid1(VALU_DEP_2)
	v_mov_b32_e32 v26, v25
	v_cndmask_b32_e64 v25, 0, 0xffffffc0, vcc_lo
	v_mad_nc_u64_u32 v[26:27], 0xdb629599, v4, v[26:27]
	s_delay_alu instid0(VALU_DEP_1) | instskip(NEXT) | instid1(VALU_DEP_2)
	v_dual_mov_b32 v29, v5 :: v_dual_mov_b32 v28, v27
	v_cndmask_b32_e32 v22, v26, v22, vcc_lo
	s_delay_alu instid0(VALU_DEP_2) | instskip(NEXT) | instid1(VALU_DEP_1)
	v_mad_nc_u64_u32 v[28:29], 0xf534ddc0, v4, v[28:29]
	v_dual_mov_b32 v31, v5 :: v_dual_mov_b32 v30, v29
	s_delay_alu instid0(VALU_DEP_1) | instskip(NEXT) | instid1(VALU_DEP_1)
	v_mad_nc_u64_u32 v[30:31], 0xfc2757d1, v4, v[30:31]
	v_mov_b32_e32 v32, v31
	s_delay_alu instid0(VALU_DEP_1) | instskip(SKIP_2) | instid1(VALU_DEP_2)
	v_mad_nc_u64_u32 v[32:33], 0x4e441529, v4, v[32:33]
	v_add_nc_u32_e32 v23, v25, v23
	v_mov_b32_e32 v35, v5
	v_cmp_lt_u32_e64 s0, 31, v23
	s_delay_alu instid0(VALU_DEP_4) | instskip(NEXT) | instid1(VALU_DEP_2)
	v_mov_b32_e32 v34, v33
	v_cndmask_b32_e64 v25, 0, 0xffffffe0, s0
	s_delay_alu instid0(VALU_DEP_2) | instskip(NEXT) | instid1(VALU_DEP_2)
	v_mad_nc_u64_u32 v[34:35], 0xa2f9836e, v4, v[34:35]
	v_dual_cndmask_b32 v25, v32, v28 :: v_dual_add_nc_u32 v4, v25, v23
	s_delay_alu instid0(VALU_DEP_2) | instskip(NEXT) | instid1(VALU_DEP_2)
	v_cndmask_b32_e32 v27, v34, v30, vcc_lo
	v_cmp_lt_u32_e64 s1, 31, v4
	s_delay_alu instid0(VALU_DEP_4) | instskip(NEXT) | instid1(VALU_DEP_2)
	v_dual_cndmask_b32 v29, v35, v32 :: v_dual_cndmask_b32 v30, v30, v26
	v_cndmask_b32_e64 v23, 0, 0xffffffe0, s1
	s_delay_alu instid0(VALU_DEP_1) | instskip(SKIP_1) | instid1(VALU_DEP_4)
	v_add_nc_u32_e32 v4, v23, v4
	v_dual_cndmask_b32 v23, v28, v24, vcc_lo :: v_dual_cndmask_b32 v24, v27, v25, s0
	v_cndmask_b32_e64 v27, v29, v27, s0
	s_delay_alu instid0(VALU_DEP_3) | instskip(NEXT) | instid1(VALU_DEP_3)
	v_dual_cndmask_b32 v25, v25, v30, s0 :: v_dual_sub_nc_u32 v28, 32, v4
	v_cndmask_b32_e64 v29, v30, v23, s0
	v_cmp_eq_u32_e32 vcc_lo, 0, v4
	s_delay_alu instid0(VALU_DEP_3) | instskip(NEXT) | instid1(VALU_DEP_1)
	v_dual_cndmask_b32 v27, v27, v24, s1 :: v_dual_cndmask_b32 v24, v24, v25, s1
	v_alignbit_b32 v30, v27, v24, v28
	s_delay_alu instid0(VALU_DEP_1) | instskip(NEXT) | instid1(VALU_DEP_1)
	v_dual_cndmask_b32 v25, v25, v29, s1 :: v_dual_cndmask_b32 v4, v30, v27, vcc_lo
	v_alignbit_b32 v26, v24, v25, v28
	s_delay_alu instid0(VALU_DEP_1) | instskip(NEXT) | instid1(VALU_DEP_3)
	v_dual_cndmask_b32 v22, v23, v22, s0 :: v_dual_cndmask_b32 v23, v26, v24, vcc_lo
	v_bfe_u32 v24, v4, 29, 1
	s_delay_alu instid0(VALU_DEP_2) | instskip(NEXT) | instid1(VALU_DEP_3)
	v_cndmask_b32_e64 v22, v29, v22, s1
	v_alignbit_b32 v26, v4, v23, 30
	s_delay_alu instid0(VALU_DEP_3) | instskip(NEXT) | instid1(VALU_DEP_3)
	v_sub_nc_u32_e32 v27, 0, v24
	v_alignbit_b32 v28, v25, v22, v28
	s_delay_alu instid0(VALU_DEP_1) | instskip(NEXT) | instid1(VALU_DEP_1)
	v_dual_cndmask_b32 v25, v28, v25, vcc_lo :: v_dual_bitop2_b32 v26, v26, v27 bitop3:0x14
	v_clz_i32_u32_e32 v28, v26
	s_delay_alu instid0(VALU_DEP_2) | instskip(SKIP_1) | instid1(VALU_DEP_3)
	v_alignbit_b32 v23, v23, v25, 30
	v_alignbit_b32 v22, v25, v22, 30
	v_min_u32_e32 v28, 32, v28
	s_delay_alu instid0(VALU_DEP_3) | instskip(NEXT) | instid1(VALU_DEP_3)
	v_xor_b32_e32 v23, v23, v27
	v_dual_lshrrev_b32 v27, 29, v4 :: v_dual_bitop2_b32 v22, v22, v27 bitop3:0x14
	s_delay_alu instid0(VALU_DEP_3) | instskip(NEXT) | instid1(VALU_DEP_1)
	v_dual_sub_nc_u32 v25, 31, v28 :: v_dual_lshlrev_b32 v29, 23, v28
	v_alignbit_b32 v26, v26, v23, v25
	s_delay_alu instid0(VALU_DEP_3) | instskip(NEXT) | instid1(VALU_DEP_4)
	v_alignbit_b32 v22, v23, v22, v25
	v_lshlrev_b32_e32 v23, 31, v27
	s_delay_alu instid0(VALU_DEP_2) | instskip(NEXT) | instid1(VALU_DEP_2)
	v_alignbit_b32 v25, v26, v22, 9
	v_dual_lshrrev_b32 v26, 9, v26 :: v_dual_bitop2_b32 v27, 0.5, v23 bitop3:0x54
	v_or_b32_e32 v23, 0x33000000, v23
	s_delay_alu instid0(VALU_DEP_3) | instskip(NEXT) | instid1(VALU_DEP_3)
	v_clz_i32_u32_e32 v30, v25
	v_sub_nc_u32_e32 v27, v27, v29
	s_delay_alu instid0(VALU_DEP_2) | instskip(NEXT) | instid1(VALU_DEP_1)
	v_min_u32_e32 v29, 32, v30
	v_add_lshl_u32 v28, v29, v28, 23
	s_delay_alu instid0(VALU_DEP_3) | instskip(SKIP_1) | instid1(VALU_DEP_2)
	v_or_b32_e32 v26, v26, v27
	v_not_b32_e32 v27, v29
	v_dual_mul_f32 v30, 0x3fc90fda, v26 :: v_dual_sub_nc_u32 v23, v23, v28
	s_delay_alu instid0(VALU_DEP_2) | instskip(NEXT) | instid1(VALU_DEP_2)
	v_alignbit_b32 v22, v25, v22, v27
	v_fma_f32 v25, 0x3fc90fda, v26, -v30
	s_delay_alu instid0(VALU_DEP_2) | instskip(NEXT) | instid1(VALU_DEP_2)
	v_lshrrev_b32_e32 v22, 9, v22
	v_fmac_f32_e32 v25, 0x33a22168, v26
	s_delay_alu instid0(VALU_DEP_2) | instskip(NEXT) | instid1(VALU_DEP_1)
	v_or_b32_e32 v22, v23, v22
	v_dual_fmac_f32 v25, 0x3fc90fda, v22 :: v_dual_lshrrev_b32 v22, 30, v4
	s_delay_alu instid0(VALU_DEP_1)
	v_dual_add_nc_u32 v22, v24, v22 :: v_dual_add_f32 v4, v30, v25
.LBB115_55:                             ;   in Loop: Header=BB115_41 Depth=1
	s_and_not1_saveexec_b32 s0, s12
	s_cbranch_execz .LBB115_40
; %bb.56:                               ;   in Loop: Header=BB115_41 Depth=1
	v_mul_f32_e64 v4, 0x3f22f983, |v9|
	s_delay_alu instid0(VALU_DEP_1) | instskip(NEXT) | instid1(VALU_DEP_1)
	v_rndne_f32_e32 v22, v4
	v_fma_f32 v4, 0xbfc90fda, v22, |v9|
	s_delay_alu instid0(VALU_DEP_1) | instskip(NEXT) | instid1(VALU_DEP_1)
	v_fmac_f32_e32 v4, 0xb3a22168, v22
	v_fmac_f32_e32 v4, 0xa7c234c4, v22
	v_cvt_i32_f32_e32 v22, v22
	s_branch .LBB115_40
.LBB115_57:
	s_endpgm
	.section	.rodata,"a",@progbits
	.p2align	6, 0x0
	.amdhsa_kernel _ZN2at6native12_GLOBAL__N_125multi_tensor_apply_kernelINS1_18TensorListMetadataILi1EEENS1_14UnaryOpFunctorIN3c104HalfELi1ELi1ELi0EEEJNS0_3SinIfEEEEEvT_T0_DpT1_
		.amdhsa_group_segment_fixed_size 0
		.amdhsa_private_segment_fixed_size 0
		.amdhsa_kernarg_size 3632
		.amdhsa_user_sgpr_count 2
		.amdhsa_user_sgpr_dispatch_ptr 0
		.amdhsa_user_sgpr_queue_ptr 0
		.amdhsa_user_sgpr_kernarg_segment_ptr 1
		.amdhsa_user_sgpr_dispatch_id 0
		.amdhsa_user_sgpr_kernarg_preload_length 0
		.amdhsa_user_sgpr_kernarg_preload_offset 0
		.amdhsa_user_sgpr_private_segment_size 0
		.amdhsa_wavefront_size32 1
		.amdhsa_uses_dynamic_stack 0
		.amdhsa_enable_private_segment 0
		.amdhsa_system_sgpr_workgroup_id_x 1
		.amdhsa_system_sgpr_workgroup_id_y 0
		.amdhsa_system_sgpr_workgroup_id_z 0
		.amdhsa_system_sgpr_workgroup_info 0
		.amdhsa_system_vgpr_workitem_id 0
		.amdhsa_next_free_vgpr 50
		.amdhsa_next_free_sgpr 28
		.amdhsa_named_barrier_count 0
		.amdhsa_reserve_vcc 1
		.amdhsa_float_round_mode_32 0
		.amdhsa_float_round_mode_16_64 0
		.amdhsa_float_denorm_mode_32 3
		.amdhsa_float_denorm_mode_16_64 3
		.amdhsa_fp16_overflow 0
		.amdhsa_memory_ordered 1
		.amdhsa_forward_progress 1
		.amdhsa_inst_pref_size 69
		.amdhsa_round_robin_scheduling 0
		.amdhsa_exception_fp_ieee_invalid_op 0
		.amdhsa_exception_fp_denorm_src 0
		.amdhsa_exception_fp_ieee_div_zero 0
		.amdhsa_exception_fp_ieee_overflow 0
		.amdhsa_exception_fp_ieee_underflow 0
		.amdhsa_exception_fp_ieee_inexact 0
		.amdhsa_exception_int_div_zero 0
	.end_amdhsa_kernel
	.section	.text._ZN2at6native12_GLOBAL__N_125multi_tensor_apply_kernelINS1_18TensorListMetadataILi1EEENS1_14UnaryOpFunctorIN3c104HalfELi1ELi1ELi0EEEJNS0_3SinIfEEEEEvT_T0_DpT1_,"axG",@progbits,_ZN2at6native12_GLOBAL__N_125multi_tensor_apply_kernelINS1_18TensorListMetadataILi1EEENS1_14UnaryOpFunctorIN3c104HalfELi1ELi1ELi0EEEJNS0_3SinIfEEEEEvT_T0_DpT1_,comdat
.Lfunc_end115:
	.size	_ZN2at6native12_GLOBAL__N_125multi_tensor_apply_kernelINS1_18TensorListMetadataILi1EEENS1_14UnaryOpFunctorIN3c104HalfELi1ELi1ELi0EEEJNS0_3SinIfEEEEEvT_T0_DpT1_, .Lfunc_end115-_ZN2at6native12_GLOBAL__N_125multi_tensor_apply_kernelINS1_18TensorListMetadataILi1EEENS1_14UnaryOpFunctorIN3c104HalfELi1ELi1ELi0EEEJNS0_3SinIfEEEEEvT_T0_DpT1_
                                        ; -- End function
	.set _ZN2at6native12_GLOBAL__N_125multi_tensor_apply_kernelINS1_18TensorListMetadataILi1EEENS1_14UnaryOpFunctorIN3c104HalfELi1ELi1ELi0EEEJNS0_3SinIfEEEEEvT_T0_DpT1_.num_vgpr, 50
	.set _ZN2at6native12_GLOBAL__N_125multi_tensor_apply_kernelINS1_18TensorListMetadataILi1EEENS1_14UnaryOpFunctorIN3c104HalfELi1ELi1ELi0EEEJNS0_3SinIfEEEEEvT_T0_DpT1_.num_agpr, 0
	.set _ZN2at6native12_GLOBAL__N_125multi_tensor_apply_kernelINS1_18TensorListMetadataILi1EEENS1_14UnaryOpFunctorIN3c104HalfELi1ELi1ELi0EEEJNS0_3SinIfEEEEEvT_T0_DpT1_.numbered_sgpr, 28
	.set _ZN2at6native12_GLOBAL__N_125multi_tensor_apply_kernelINS1_18TensorListMetadataILi1EEENS1_14UnaryOpFunctorIN3c104HalfELi1ELi1ELi0EEEJNS0_3SinIfEEEEEvT_T0_DpT1_.num_named_barrier, 0
	.set _ZN2at6native12_GLOBAL__N_125multi_tensor_apply_kernelINS1_18TensorListMetadataILi1EEENS1_14UnaryOpFunctorIN3c104HalfELi1ELi1ELi0EEEJNS0_3SinIfEEEEEvT_T0_DpT1_.private_seg_size, 0
	.set _ZN2at6native12_GLOBAL__N_125multi_tensor_apply_kernelINS1_18TensorListMetadataILi1EEENS1_14UnaryOpFunctorIN3c104HalfELi1ELi1ELi0EEEJNS0_3SinIfEEEEEvT_T0_DpT1_.uses_vcc, 1
	.set _ZN2at6native12_GLOBAL__N_125multi_tensor_apply_kernelINS1_18TensorListMetadataILi1EEENS1_14UnaryOpFunctorIN3c104HalfELi1ELi1ELi0EEEJNS0_3SinIfEEEEEvT_T0_DpT1_.uses_flat_scratch, 0
	.set _ZN2at6native12_GLOBAL__N_125multi_tensor_apply_kernelINS1_18TensorListMetadataILi1EEENS1_14UnaryOpFunctorIN3c104HalfELi1ELi1ELi0EEEJNS0_3SinIfEEEEEvT_T0_DpT1_.has_dyn_sized_stack, 0
	.set _ZN2at6native12_GLOBAL__N_125multi_tensor_apply_kernelINS1_18TensorListMetadataILi1EEENS1_14UnaryOpFunctorIN3c104HalfELi1ELi1ELi0EEEJNS0_3SinIfEEEEEvT_T0_DpT1_.has_recursion, 0
	.set _ZN2at6native12_GLOBAL__N_125multi_tensor_apply_kernelINS1_18TensorListMetadataILi1EEENS1_14UnaryOpFunctorIN3c104HalfELi1ELi1ELi0EEEJNS0_3SinIfEEEEEvT_T0_DpT1_.has_indirect_call, 0
	.section	.AMDGPU.csdata,"",@progbits
; Kernel info:
; codeLenInByte = 8776
; TotalNumSgprs: 30
; NumVgprs: 50
; ScratchSize: 0
; MemoryBound: 0
; FloatMode: 240
; IeeeMode: 1
; LDSByteSize: 0 bytes/workgroup (compile time only)
; SGPRBlocks: 0
; VGPRBlocks: 3
; NumSGPRsForWavesPerEU: 30
; NumVGPRsForWavesPerEU: 50
; NamedBarCnt: 0
; Occupancy: 16
; WaveLimiterHint : 0
; COMPUTE_PGM_RSRC2:SCRATCH_EN: 0
; COMPUTE_PGM_RSRC2:USER_SGPR: 2
; COMPUTE_PGM_RSRC2:TRAP_HANDLER: 0
; COMPUTE_PGM_RSRC2:TGID_X_EN: 1
; COMPUTE_PGM_RSRC2:TGID_Y_EN: 0
; COMPUTE_PGM_RSRC2:TGID_Z_EN: 0
; COMPUTE_PGM_RSRC2:TIDIG_COMP_CNT: 0
	.section	.text._ZN2at6native12_GLOBAL__N_125multi_tensor_apply_kernelINS1_18TensorListMetadataILi1EEENS1_14UnaryOpFunctorIN3c108BFloat16ELi1ELi1ELi0EEEJNS0_3SinIfEEEEEvT_T0_DpT1_,"axG",@progbits,_ZN2at6native12_GLOBAL__N_125multi_tensor_apply_kernelINS1_18TensorListMetadataILi1EEENS1_14UnaryOpFunctorIN3c108BFloat16ELi1ELi1ELi0EEEJNS0_3SinIfEEEEEvT_T0_DpT1_,comdat
	.globl	_ZN2at6native12_GLOBAL__N_125multi_tensor_apply_kernelINS1_18TensorListMetadataILi1EEENS1_14UnaryOpFunctorIN3c108BFloat16ELi1ELi1ELi0EEEJNS0_3SinIfEEEEEvT_T0_DpT1_ ; -- Begin function _ZN2at6native12_GLOBAL__N_125multi_tensor_apply_kernelINS1_18TensorListMetadataILi1EEENS1_14UnaryOpFunctorIN3c108BFloat16ELi1ELi1ELi0EEEJNS0_3SinIfEEEEEvT_T0_DpT1_
	.p2align	8
	.type	_ZN2at6native12_GLOBAL__N_125multi_tensor_apply_kernelINS1_18TensorListMetadataILi1EEENS1_14UnaryOpFunctorIN3c108BFloat16ELi1ELi1ELi0EEEJNS0_3SinIfEEEEEvT_T0_DpT1_,@function
_ZN2at6native12_GLOBAL__N_125multi_tensor_apply_kernelINS1_18TensorListMetadataILi1EEENS1_14UnaryOpFunctorIN3c108BFloat16ELi1ELi1ELi0EEEJNS0_3SinIfEEEEEvT_T0_DpT1_: ; @_ZN2at6native12_GLOBAL__N_125multi_tensor_apply_kernelINS1_18TensorListMetadataILi1EEENS1_14UnaryOpFunctorIN3c108BFloat16ELi1ELi1ELi0EEEJNS0_3SinIfEEEEEvT_T0_DpT1_
; %bb.0:
	s_bfe_u32 s2, ttmp6, 0x4000c
	s_and_b32 s3, ttmp6, 15
	s_add_co_i32 s2, s2, 1
	s_getreg_b32 s4, hwreg(HW_REG_IB_STS2, 6, 4)
	s_mul_i32 s2, ttmp9, s2
	s_delay_alu instid0(SALU_CYCLE_1)
	s_add_co_i32 s3, s3, s2
	s_cmp_eq_u32 s4, 0
	s_cselect_b32 s2, ttmp9, s3
	s_mov_b32 s3, 0
	s_load_u8 s10, s[0:1], s2 offset:0x6e0
	s_add_nc_u64 s[4:5], s[0:1], s[2:3]
	s_mul_u64 s[6:7], s[2:3], 3
	s_delay_alu instid0(SALU_CYCLE_1)
	s_add_nc_u64 s[4:5], s[4:5], s[6:7]
	s_load_b32 s6, s[4:5], 0x820
	s_wait_kmcnt 0x0
	s_clause 0x1
	s_load_b64 s[8:9], s[0:1], s10 offset:0x0 scale_offset
	s_load_b64 s[12:13], s[0:1], s10 offset:0x370 scale_offset
	s_ashr_i32 s7, s6, 31
	s_wait_kmcnt 0x0
	s_and_b64 s[4:5], s[8:9], 7
	s_and_b32 s2, s12, 3
	s_lshl_b64 s[10:11], s[6:7], 17
	s_or_b64 s[2:3], s[4:5], s[2:3]
	s_lshl_b64 s[4:5], s[6:7], 16
	s_cmp_eq_u64 s[2:3], 0
	s_sub_nc_u64 s[12:13], s[12:13], s[4:5]
	s_cbranch_scc1 .LBB116_37
; %bb.1:
	v_cmp_lt_i64_e64 s2, s[12:13], 1
	s_and_b32 vcc_lo, exec_lo, s2
	s_cbranch_vccnz .LBB116_36
; %bb.2:
	s_load_b32 s2, s[0:1], 0xd3c
	v_min_i64 v[2:3], 0x10000, s[12:13]
	v_min_u64 v[4:5], 0x10000, s[12:13]
	v_dual_mov_b32 v7, 0 :: v_dual_lshlrev_b32 v6, 1, v0
	s_mov_b32 s3, 0
	s_add_nc_u64 s[4:5], s[8:9], s[10:11]
	s_mov_b32 s7, s3
	s_delay_alu instid0(VALU_DEP_1)
	v_mov_b32_e32 v1, v7
	v_add_nc_u64_e32 v[10:11], s[4:5], v[6:7]
	s_mov_b32 s19, s3
	s_mov_b32 s15, s3
	;; [unrolled: 1-line block ×3, first 2 shown]
	s_mov_b64 s[22:23], 0
	s_mov_b32 s24, 0x7fffff
	s_mov_b32 s25, 0xb94c1982
	;; [unrolled: 1-line block ×3, first 2 shown]
	s_wait_kmcnt 0x0
	s_and_b32 s2, s2, 0xffff
	s_delay_alu instid0(SALU_CYCLE_1)
	v_add_nc_u64_e32 v[8:9], s[2:3], v[0:1]
	s_lshl_b32 s6, s2, 1
	s_mul_i32 s18, s2, 3
	s_lshl_b32 s14, s2, 2
	s_lshl_b32 s16, s2, 3
	s_mul_u64 s[20:21], s[2:3], 6
	s_delay_alu instid0(VALU_DEP_1) | instskip(SKIP_3) | instid1(VALU_DEP_3)
	v_lshlrev_b32_e32 v6, 1, v8
	v_add_nc_u64_e32 v[12:13], s[18:19], v[0:1]
	v_add_nc_u64_e32 v[14:15], s[6:7], v[0:1]
	s_mov_b64 s[18:19], 0xfe5163ab
	v_add_nc_u64_e32 v[16:17], s[4:5], v[6:7]
	s_branch .LBB116_4
.LBB116_3:                              ;   in Loop: Header=BB116_4 Depth=1
	s_wait_xcnt 0x0
	s_or_b32 exec_lo, exec_lo, s2
	s_add_nc_u64 s[22:23], s[22:23], s[14:15]
	v_add_nc_u64_e32 v[10:11], s[16:17], v[10:11]
	v_cmp_ge_i64_e32 vcc_lo, s[22:23], v[2:3]
	v_add_nc_u64_e32 v[16:17], s[16:17], v[16:17]
	s_cbranch_vccnz .LBB116_36
.LBB116_4:                              ; =>This Inner Loop Header: Depth=1
	v_add_nc_u64_e32 v[18:19], s[22:23], v[0:1]
	v_mov_b32_e32 v25, 0
	s_delay_alu instid0(VALU_DEP_2)
	v_cmp_lt_u64_e64 s4, v[18:19], v[4:5]
	s_and_saveexec_b32 s2, s4
	s_cbranch_execz .LBB116_6
; %bb.5:                                ;   in Loop: Header=BB116_4 Depth=1
	global_load_u16 v6, v[10:11], off
	s_wait_loadcnt 0x0
	v_lshlrev_b32_e32 v25, 16, v6
.LBB116_6:                              ;   in Loop: Header=BB116_4 Depth=1
	s_wait_xcnt 0x0
	s_or_b32 exec_lo, exec_lo, s2
	v_add_nc_u64_e32 v[18:19], s[22:23], v[8:9]
	v_dual_mov_b32 v23, 0 :: v_dual_mov_b32 v24, 0
	s_delay_alu instid0(VALU_DEP_2)
	v_cmp_lt_u64_e64 s3, v[18:19], v[4:5]
	s_and_saveexec_b32 s2, s3
	s_cbranch_execz .LBB116_8
; %bb.7:                                ;   in Loop: Header=BB116_4 Depth=1
	global_load_u16 v6, v[16:17], off
	s_wait_loadcnt 0x0
	v_lshlrev_b32_e32 v24, 16, v6
.LBB116_8:                              ;   in Loop: Header=BB116_4 Depth=1
	s_wait_xcnt 0x0
	s_or_b32 exec_lo, exec_lo, s2
	v_add_nc_u64_e32 v[18:19], s[22:23], v[14:15]
	v_add_nc_u64_e32 v[20:21], s[14:15], v[10:11]
	s_delay_alu instid0(VALU_DEP_2)
	v_cmp_lt_u64_e64 s2, v[18:19], v[4:5]
	s_and_saveexec_b32 s5, s2
	s_cbranch_execz .LBB116_10
; %bb.9:                                ;   in Loop: Header=BB116_4 Depth=1
	global_load_u16 v6, v[20:21], off
	s_wait_loadcnt 0x0
	v_lshlrev_b32_e32 v23, 16, v6
.LBB116_10:                             ;   in Loop: Header=BB116_4 Depth=1
	s_wait_xcnt 0x0
	s_or_b32 exec_lo, exec_lo, s5
	v_add_nc_u64_e32 v[18:19], s[22:23], v[12:13]
	v_mov_b32_e32 v22, 0
	s_delay_alu instid0(VALU_DEP_2)
	v_cmp_lt_u64_e32 vcc_lo, v[18:19], v[4:5]
	v_add_nc_u64_e32 v[18:19], s[20:21], v[10:11]
	s_and_saveexec_b32 s5, vcc_lo
	s_cbranch_execz .LBB116_12
; %bb.11:                               ;   in Loop: Header=BB116_4 Depth=1
	global_load_u16 v6, v[18:19], off
	s_wait_loadcnt 0x0
	v_lshlrev_b32_e32 v22, 16, v6
.LBB116_12:                             ;   in Loop: Header=BB116_4 Depth=1
	s_wait_xcnt 0x0
	s_or_b32 exec_lo, exec_lo, s5
	v_and_b32_e32 v26, 0x7fffffff, v25
                                        ; implicit-def: $vgpr29
                                        ; implicit-def: $vgpr27
	s_mov_b32 s6, exec_lo
	v_cmpx_ngt_f32_e64 0x48000000, |v25|
	s_xor_b32 s27, exec_lo, s6
	s_cbranch_execz .LBB116_14
; %bb.13:                               ;   in Loop: Header=BB116_4 Depth=1
	v_and_or_b32 v6, v26, s24, 0x800000
	v_dual_lshrrev_b32 v27, 23, v26 :: v_dual_mov_b32 v39, v7
	v_mov_b32_e32 v41, v7
	s_delay_alu instid0(VALU_DEP_3) | instskip(SKIP_1) | instid1(VALU_DEP_4)
	v_mul_u64_e32 v[28:29], s[18:19], v[6:7]
	v_mov_b32_e32 v31, v7
	v_add_nc_u32_e32 v27, 0xffffff88, v27
	s_delay_alu instid0(VALU_DEP_1) | instskip(NEXT) | instid1(VALU_DEP_4)
	v_cmp_lt_u32_e64 s5, 63, v27
	v_mov_b32_e32 v30, v29
	s_delay_alu instid0(VALU_DEP_2) | instskip(NEXT) | instid1(VALU_DEP_2)
	v_cndmask_b32_e64 v29, 0, 0xffffffc0, s5
	v_mad_nc_u64_u32 v[30:31], 0x3c439041, v6, v[30:31]
	s_delay_alu instid0(VALU_DEP_2) | instskip(NEXT) | instid1(VALU_DEP_1)
	v_dual_mov_b32 v33, v7 :: v_dual_add_nc_u32 v27, v29, v27
	v_cmp_lt_u32_e64 s6, 31, v27
	s_delay_alu instid0(VALU_DEP_3) | instskip(NEXT) | instid1(VALU_DEP_2)
	v_mov_b32_e32 v32, v31
	v_cndmask_b32_e64 v29, 0, 0xffffffe0, s6
	s_delay_alu instid0(VALU_DEP_2) | instskip(NEXT) | instid1(VALU_DEP_1)
	v_mad_nc_u64_u32 v[32:33], 0xdb629599, v6, v[32:33]
	v_dual_mov_b32 v35, v7 :: v_dual_mov_b32 v34, v33
	s_delay_alu instid0(VALU_DEP_2) | instskip(NEXT) | instid1(VALU_DEP_2)
	v_cndmask_b32_e64 v28, v32, v28, s5
	v_mad_nc_u64_u32 v[34:35], 0xf534ddc0, v6, v[34:35]
	s_delay_alu instid0(VALU_DEP_1) | instskip(NEXT) | instid1(VALU_DEP_1)
	v_dual_mov_b32 v37, v7 :: v_dual_mov_b32 v36, v35
	v_mad_nc_u64_u32 v[36:37], 0xfc2757d1, v6, v[36:37]
	s_delay_alu instid0(VALU_DEP_1) | instskip(NEXT) | instid1(VALU_DEP_1)
	v_dual_mov_b32 v38, v37 :: v_dual_cndmask_b32 v35, v36, v32, s5
	v_mad_nc_u64_u32 v[38:39], 0x4e441529, v6, v[38:39]
	s_delay_alu instid0(VALU_DEP_1) | instskip(NEXT) | instid1(VALU_DEP_1)
	v_mov_b32_e32 v40, v39
	v_mad_nc_u64_u32 v[40:41], 0xa2f9836e, v6, v[40:41]
	s_delay_alu instid0(VALU_DEP_3) | instskip(NEXT) | instid1(VALU_DEP_1)
	v_dual_add_nc_u32 v6, v29, v27 :: v_dual_cndmask_b32 v29, v38, v34, s5
	v_cmp_lt_u32_e64 s7, 31, v6
	s_delay_alu instid0(VALU_DEP_1) | instskip(NEXT) | instid1(VALU_DEP_4)
	v_cndmask_b32_e64 v27, 0, 0xffffffe0, s7
	v_dual_cndmask_b32 v31, v40, v36, s5 :: v_dual_cndmask_b32 v33, v41, v38, s5
	s_delay_alu instid0(VALU_DEP_2) | instskip(NEXT) | instid1(VALU_DEP_2)
	v_add_nc_u32_e32 v6, v27, v6
	v_dual_cndmask_b32 v27, v34, v30, s5 :: v_dual_cndmask_b32 v30, v31, v29, s6
	s_delay_alu instid0(VALU_DEP_3) | instskip(NEXT) | instid1(VALU_DEP_3)
	v_cndmask_b32_e64 v31, v33, v31, s6
	v_dual_cndmask_b32 v29, v29, v35, s6 :: v_dual_sub_nc_u32 v33, 32, v6
	s_delay_alu instid0(VALU_DEP_3) | instskip(SKIP_1) | instid1(VALU_DEP_3)
	v_cndmask_b32_e64 v34, v35, v27, s6
	v_cmp_eq_u32_e64 s5, 0, v6
	v_dual_cndmask_b32 v31, v31, v30, s7 :: v_dual_cndmask_b32 v30, v30, v29, s7
	s_delay_alu instid0(VALU_DEP_1) | instskip(NEXT) | instid1(VALU_DEP_1)
	v_alignbit_b32 v35, v31, v30, v33
	v_dual_cndmask_b32 v29, v29, v34, s7 :: v_dual_cndmask_b32 v6, v35, v31, s5
	s_delay_alu instid0(VALU_DEP_1) | instskip(NEXT) | instid1(VALU_DEP_1)
	v_alignbit_b32 v32, v30, v29, v33
	v_dual_cndmask_b32 v27, v27, v28, s6 :: v_dual_cndmask_b32 v28, v32, v30, s5
	s_delay_alu instid0(VALU_DEP_3) | instskip(NEXT) | instid1(VALU_DEP_2)
	v_bfe_u32 v30, v6, 29, 1
	v_cndmask_b32_e64 v27, v34, v27, s7
	s_delay_alu instid0(VALU_DEP_3) | instskip(NEXT) | instid1(VALU_DEP_3)
	v_alignbit_b32 v31, v6, v28, 30
	v_sub_nc_u32_e32 v32, 0, v30
	s_delay_alu instid0(VALU_DEP_3) | instskip(NEXT) | instid1(VALU_DEP_1)
	v_alignbit_b32 v33, v29, v27, v33
	v_dual_cndmask_b32 v29, v33, v29, s5 :: v_dual_bitop2_b32 v31, v31, v32 bitop3:0x14
	s_delay_alu instid0(VALU_DEP_1) | instskip(NEXT) | instid1(VALU_DEP_2)
	v_clz_i32_u32_e32 v33, v31
	v_alignbit_b32 v28, v28, v29, 30
	v_alignbit_b32 v27, v29, v27, 30
	s_delay_alu instid0(VALU_DEP_3) | instskip(NEXT) | instid1(VALU_DEP_3)
	v_min_u32_e32 v33, 32, v33
	v_xor_b32_e32 v28, v28, v32
	s_delay_alu instid0(VALU_DEP_3) | instskip(NEXT) | instid1(VALU_DEP_3)
	v_dual_lshrrev_b32 v32, 29, v6 :: v_dual_bitop2_b32 v27, v27, v32 bitop3:0x14
	v_dual_lshrrev_b32 v6, 30, v6 :: v_dual_sub_nc_u32 v29, 31, v33
	v_lshlrev_b32_e32 v34, 23, v33
	s_delay_alu instid0(VALU_DEP_2) | instskip(NEXT) | instid1(VALU_DEP_4)
	v_alignbit_b32 v31, v31, v28, v29
	v_alignbit_b32 v27, v28, v27, v29
	v_lshlrev_b32_e32 v28, 31, v32
	s_delay_alu instid0(VALU_DEP_2) | instskip(NEXT) | instid1(VALU_DEP_2)
	v_alignbit_b32 v29, v31, v27, 9
	v_dual_lshrrev_b32 v31, 9, v31 :: v_dual_bitop2_b32 v32, 0.5, v28 bitop3:0x54
	v_or_b32_e32 v28, 0x33000000, v28
	s_delay_alu instid0(VALU_DEP_3) | instskip(NEXT) | instid1(VALU_DEP_3)
	v_clz_i32_u32_e32 v35, v29
	v_sub_nc_u32_e32 v32, v32, v34
	s_delay_alu instid0(VALU_DEP_2) | instskip(NEXT) | instid1(VALU_DEP_1)
	v_min_u32_e32 v34, 32, v35
	v_add_lshl_u32 v33, v34, v33, 23
	s_delay_alu instid0(VALU_DEP_3) | instskip(SKIP_1) | instid1(VALU_DEP_2)
	v_or_b32_e32 v31, v31, v32
	v_not_b32_e32 v32, v34
	v_dual_mul_f32 v35, 0x3fc90fda, v31 :: v_dual_sub_nc_u32 v28, v28, v33
	s_delay_alu instid0(VALU_DEP_2) | instskip(NEXT) | instid1(VALU_DEP_2)
	v_alignbit_b32 v27, v29, v27, v32
	v_fma_f32 v29, 0x3fc90fda, v31, -v35
	s_delay_alu instid0(VALU_DEP_2) | instskip(NEXT) | instid1(VALU_DEP_2)
	v_lshrrev_b32_e32 v27, 9, v27
	v_fmac_f32_e32 v29, 0x33a22168, v31
	s_delay_alu instid0(VALU_DEP_2) | instskip(NEXT) | instid1(VALU_DEP_1)
	v_or_b32_e32 v27, v28, v27
	v_fmac_f32_e32 v29, 0x3fc90fda, v27
	s_delay_alu instid0(VALU_DEP_1)
	v_dual_add_f32 v27, v35, v29 :: v_dual_add_nc_u32 v29, v30, v6
.LBB116_14:                             ;   in Loop: Header=BB116_4 Depth=1
	s_and_not1_saveexec_b32 s5, s27
; %bb.15:                               ;   in Loop: Header=BB116_4 Depth=1
	v_mul_f32_e64 v6, 0x3f22f983, |v25|
	s_delay_alu instid0(VALU_DEP_1) | instskip(NEXT) | instid1(VALU_DEP_1)
	v_rndne_f32_e32 v6, v6
	v_fma_f32 v27, 0xbfc90fda, v6, |v25|
	v_cvt_i32_f32_e32 v29, v6
	s_delay_alu instid0(VALU_DEP_2) | instskip(NEXT) | instid1(VALU_DEP_1)
	v_fmac_f32_e32 v27, 0xb3a22168, v6
	v_fmac_f32_e32 v27, 0xa7c234c4, v6
; %bb.16:                               ;   in Loop: Header=BB116_4 Depth=1
	s_or_b32 exec_lo, exec_lo, s5
	v_and_b32_e32 v28, 0x7fffffff, v24
                                        ; implicit-def: $vgpr32
                                        ; implicit-def: $vgpr30
	s_mov_b32 s6, exec_lo
	v_cmpx_ngt_f32_e64 0x48000000, |v24|
	s_xor_b32 s27, exec_lo, s6
	s_cbranch_execz .LBB116_18
; %bb.17:                               ;   in Loop: Header=BB116_4 Depth=1
	v_and_or_b32 v6, v28, s24, 0x800000
	v_dual_mov_b32 v41, v7 :: v_dual_mov_b32 v43, v7
	s_delay_alu instid0(VALU_DEP_2) | instskip(NEXT) | instid1(VALU_DEP_1)
	v_mul_u64_e32 v[30:31], s[18:19], v[6:7]
	v_dual_mov_b32 v33, v7 :: v_dual_mov_b32 v32, v31
	v_lshrrev_b32_e32 v31, 23, v28
	s_delay_alu instid0(VALU_DEP_2) | instskip(SKIP_1) | instid1(VALU_DEP_3)
	v_mad_nc_u64_u32 v[32:33], 0x3c439041, v6, v[32:33]
	v_mov_b32_e32 v35, v7
	v_add_nc_u32_e32 v31, 0xffffff88, v31
	s_delay_alu instid0(VALU_DEP_1) | instskip(NEXT) | instid1(VALU_DEP_4)
	v_cmp_lt_u32_e64 s5, 63, v31
	v_mov_b32_e32 v34, v33
	s_delay_alu instid0(VALU_DEP_2) | instskip(NEXT) | instid1(VALU_DEP_2)
	v_cndmask_b32_e64 v33, 0, 0xffffffc0, s5
	v_mad_nc_u64_u32 v[34:35], 0xdb629599, v6, v[34:35]
	s_delay_alu instid0(VALU_DEP_2) | instskip(NEXT) | instid1(VALU_DEP_1)
	v_dual_mov_b32 v37, v7 :: v_dual_add_nc_u32 v31, v33, v31
	v_cmp_lt_u32_e64 s6, 31, v31
	s_delay_alu instid0(VALU_DEP_3) | instskip(NEXT) | instid1(VALU_DEP_2)
	v_mov_b32_e32 v36, v35
	v_cndmask_b32_e64 v33, 0, 0xffffffe0, s6
	v_cndmask_b32_e64 v30, v34, v30, s5
	s_delay_alu instid0(VALU_DEP_3) | instskip(NEXT) | instid1(VALU_DEP_1)
	v_mad_nc_u64_u32 v[36:37], 0xf534ddc0, v6, v[36:37]
	v_dual_mov_b32 v39, v7 :: v_dual_mov_b32 v38, v37
	s_delay_alu instid0(VALU_DEP_1) | instskip(NEXT) | instid1(VALU_DEP_1)
	v_mad_nc_u64_u32 v[38:39], 0xfc2757d1, v6, v[38:39]
	v_mov_b32_e32 v40, v39
	s_delay_alu instid0(VALU_DEP_1) | instskip(NEXT) | instid1(VALU_DEP_1)
	v_mad_nc_u64_u32 v[40:41], 0x4e441529, v6, v[40:41]
	v_mov_b32_e32 v42, v41
	s_delay_alu instid0(VALU_DEP_1) | instskip(NEXT) | instid1(VALU_DEP_3)
	v_mad_nc_u64_u32 v[42:43], 0xa2f9836e, v6, v[42:43]
	v_dual_add_nc_u32 v6, v33, v31 :: v_dual_cndmask_b32 v33, v40, v36, s5
	s_delay_alu instid0(VALU_DEP_2) | instskip(NEXT) | instid1(VALU_DEP_2)
	v_cndmask_b32_e64 v35, v42, v38, s5
	v_cmp_lt_u32_e64 s7, 31, v6
	s_delay_alu instid0(VALU_DEP_4) | instskip(NEXT) | instid1(VALU_DEP_2)
	v_dual_cndmask_b32 v37, v43, v40, s5 :: v_dual_cndmask_b32 v38, v38, v34, s5
	v_cndmask_b32_e64 v31, 0, 0xffffffe0, s7
	s_delay_alu instid0(VALU_DEP_1) | instskip(NEXT) | instid1(VALU_DEP_3)
	v_dual_add_nc_u32 v6, v31, v6 :: v_dual_cndmask_b32 v31, v36, v32, s5
	v_dual_cndmask_b32 v32, v35, v33, s6 :: v_dual_cndmask_b32 v35, v37, v35, s6
	s_delay_alu instid0(VALU_DEP_4) | instskip(NEXT) | instid1(VALU_DEP_3)
	v_cndmask_b32_e64 v33, v33, v38, s6
	v_dual_sub_nc_u32 v36, 32, v6 :: v_dual_cndmask_b32 v37, v38, v31, s6
	v_cmp_eq_u32_e64 s5, 0, v6
	s_delay_alu instid0(VALU_DEP_3) | instskip(NEXT) | instid1(VALU_DEP_1)
	v_dual_cndmask_b32 v35, v35, v32, s7 :: v_dual_cndmask_b32 v32, v32, v33, s7
	v_alignbit_b32 v38, v35, v32, v36
	s_delay_alu instid0(VALU_DEP_1) | instskip(NEXT) | instid1(VALU_DEP_1)
	v_dual_cndmask_b32 v33, v33, v37, s7 :: v_dual_cndmask_b32 v6, v38, v35, s5
	v_alignbit_b32 v34, v32, v33, v36
	s_delay_alu instid0(VALU_DEP_1) | instskip(NEXT) | instid1(VALU_DEP_3)
	v_dual_cndmask_b32 v30, v31, v30, s6 :: v_dual_cndmask_b32 v31, v34, v32, s5
	v_bfe_u32 v32, v6, 29, 1
	s_delay_alu instid0(VALU_DEP_2) | instskip(NEXT) | instid1(VALU_DEP_3)
	v_cndmask_b32_e64 v30, v37, v30, s7
	v_alignbit_b32 v34, v6, v31, 30
	s_delay_alu instid0(VALU_DEP_3) | instskip(NEXT) | instid1(VALU_DEP_3)
	v_sub_nc_u32_e32 v35, 0, v32
	v_alignbit_b32 v36, v33, v30, v36
	s_delay_alu instid0(VALU_DEP_1) | instskip(NEXT) | instid1(VALU_DEP_1)
	v_dual_cndmask_b32 v33, v36, v33, s5 :: v_dual_bitop2_b32 v34, v34, v35 bitop3:0x14
	v_clz_i32_u32_e32 v36, v34
	s_delay_alu instid0(VALU_DEP_2) | instskip(SKIP_1) | instid1(VALU_DEP_3)
	v_alignbit_b32 v31, v31, v33, 30
	v_alignbit_b32 v30, v33, v30, 30
	v_min_u32_e32 v36, 32, v36
	s_delay_alu instid0(VALU_DEP_3) | instskip(NEXT) | instid1(VALU_DEP_3)
	v_xor_b32_e32 v31, v31, v35
	v_dual_lshrrev_b32 v35, 29, v6 :: v_dual_bitop2_b32 v30, v30, v35 bitop3:0x14
	s_delay_alu instid0(VALU_DEP_3) | instskip(NEXT) | instid1(VALU_DEP_1)
	v_dual_sub_nc_u32 v33, 31, v36 :: v_dual_lshlrev_b32 v37, 23, v36
	v_alignbit_b32 v34, v34, v31, v33
	s_delay_alu instid0(VALU_DEP_3) | instskip(NEXT) | instid1(VALU_DEP_4)
	v_alignbit_b32 v30, v31, v30, v33
	v_lshlrev_b32_e32 v31, 31, v35
	s_delay_alu instid0(VALU_DEP_2) | instskip(NEXT) | instid1(VALU_DEP_2)
	v_alignbit_b32 v33, v34, v30, 9
	v_dual_lshrrev_b32 v34, 9, v34 :: v_dual_bitop2_b32 v35, 0.5, v31 bitop3:0x54
	v_or_b32_e32 v31, 0x33000000, v31
	s_delay_alu instid0(VALU_DEP_3) | instskip(NEXT) | instid1(VALU_DEP_3)
	v_clz_i32_u32_e32 v38, v33
	v_sub_nc_u32_e32 v35, v35, v37
	s_delay_alu instid0(VALU_DEP_2) | instskip(NEXT) | instid1(VALU_DEP_1)
	v_min_u32_e32 v37, 32, v38
	v_add_lshl_u32 v36, v37, v36, 23
	s_delay_alu instid0(VALU_DEP_3) | instskip(SKIP_1) | instid1(VALU_DEP_2)
	v_or_b32_e32 v34, v34, v35
	v_not_b32_e32 v35, v37
	v_dual_mul_f32 v38, 0x3fc90fda, v34 :: v_dual_sub_nc_u32 v31, v31, v36
	s_delay_alu instid0(VALU_DEP_2) | instskip(NEXT) | instid1(VALU_DEP_2)
	v_alignbit_b32 v30, v33, v30, v35
	v_fma_f32 v33, 0x3fc90fda, v34, -v38
	s_delay_alu instid0(VALU_DEP_2) | instskip(NEXT) | instid1(VALU_DEP_2)
	v_lshrrev_b32_e32 v30, 9, v30
	v_fmac_f32_e32 v33, 0x33a22168, v34
	s_delay_alu instid0(VALU_DEP_2) | instskip(NEXT) | instid1(VALU_DEP_1)
	v_or_b32_e32 v30, v31, v30
	v_fmac_f32_e32 v33, 0x3fc90fda, v30
	s_delay_alu instid0(VALU_DEP_1) | instskip(NEXT) | instid1(VALU_DEP_1)
	v_dual_lshrrev_b32 v6, 30, v6 :: v_dual_add_f32 v30, v38, v33
	v_add_nc_u32_e32 v32, v32, v6
.LBB116_18:                             ;   in Loop: Header=BB116_4 Depth=1
	s_and_not1_saveexec_b32 s5, s27
; %bb.19:                               ;   in Loop: Header=BB116_4 Depth=1
	v_mul_f32_e64 v6, 0x3f22f983, |v24|
	s_delay_alu instid0(VALU_DEP_1) | instskip(NEXT) | instid1(VALU_DEP_1)
	v_rndne_f32_e32 v6, v6
	v_fma_f32 v30, 0xbfc90fda, v6, |v24|
	v_cvt_i32_f32_e32 v32, v6
	s_delay_alu instid0(VALU_DEP_2) | instskip(NEXT) | instid1(VALU_DEP_1)
	v_fmac_f32_e32 v30, 0xb3a22168, v6
	v_fmac_f32_e32 v30, 0xa7c234c4, v6
; %bb.20:                               ;   in Loop: Header=BB116_4 Depth=1
	s_or_b32 exec_lo, exec_lo, s5
	v_and_b32_e32 v31, 0x7fffffff, v23
                                        ; implicit-def: $vgpr35
                                        ; implicit-def: $vgpr33
	s_mov_b32 s6, exec_lo
	v_cmpx_ngt_f32_e64 0x48000000, |v23|
	s_xor_b32 s27, exec_lo, s6
	s_cbranch_execz .LBB116_22
; %bb.21:                               ;   in Loop: Header=BB116_4 Depth=1
	v_and_or_b32 v6, v31, s24, 0x800000
	v_dual_lshrrev_b32 v33, 23, v31 :: v_dual_mov_b32 v45, v7
	s_delay_alu instid0(VALU_DEP_2) | instskip(SKIP_1) | instid1(VALU_DEP_3)
	v_mul_u64_e32 v[34:35], s[18:19], v[6:7]
	v_mov_b32_e32 v37, v7
	v_add_nc_u32_e32 v33, 0xffffff88, v33
	s_delay_alu instid0(VALU_DEP_1) | instskip(NEXT) | instid1(VALU_DEP_4)
	v_cmp_lt_u32_e64 s5, 63, v33
	v_mov_b32_e32 v36, v35
	s_delay_alu instid0(VALU_DEP_2) | instskip(NEXT) | instid1(VALU_DEP_2)
	v_cndmask_b32_e64 v35, 0, 0xffffffc0, s5
	v_mad_nc_u64_u32 v[36:37], 0x3c439041, v6, v[36:37]
	s_delay_alu instid0(VALU_DEP_1) | instskip(NEXT) | instid1(VALU_DEP_1)
	v_dual_mov_b32 v39, v7 :: v_dual_mov_b32 v38, v37
	v_mad_nc_u64_u32 v[38:39], 0xdb629599, v6, v[38:39]
	s_delay_alu instid0(VALU_DEP_1) | instskip(NEXT) | instid1(VALU_DEP_2)
	v_dual_mov_b32 v41, v7 :: v_dual_mov_b32 v40, v39
	v_cndmask_b32_e64 v34, v38, v34, s5
	s_delay_alu instid0(VALU_DEP_2) | instskip(NEXT) | instid1(VALU_DEP_1)
	v_mad_nc_u64_u32 v[40:41], 0xf534ddc0, v6, v[40:41]
	v_dual_mov_b32 v43, v7 :: v_dual_mov_b32 v42, v41
	s_delay_alu instid0(VALU_DEP_1) | instskip(NEXT) | instid1(VALU_DEP_1)
	v_mad_nc_u64_u32 v[42:43], 0xfc2757d1, v6, v[42:43]
	v_dual_mov_b32 v44, v43 :: v_dual_cndmask_b32 v41, v42, v38, s5
	s_delay_alu instid0(VALU_DEP_1) | instskip(SKIP_1) | instid1(VALU_DEP_2)
	v_mad_nc_u64_u32 v[44:45], 0x4e441529, v6, v[44:45]
	v_add_nc_u32_e32 v33, v35, v33
	v_dual_mov_b32 v47, v7 :: v_dual_mov_b32 v46, v45
	s_delay_alu instid0(VALU_DEP_2) | instskip(NEXT) | instid1(VALU_DEP_2)
	v_cmp_lt_u32_e64 s6, 31, v33
	v_mad_nc_u64_u32 v[46:47], 0xa2f9836e, v6, v[46:47]
	s_delay_alu instid0(VALU_DEP_2) | instskip(NEXT) | instid1(VALU_DEP_1)
	v_cndmask_b32_e64 v35, 0, 0xffffffe0, s6
	v_dual_add_nc_u32 v6, v35, v33 :: v_dual_cndmask_b32 v35, v44, v40, s5
	s_delay_alu instid0(VALU_DEP_3) | instskip(NEXT) | instid1(VALU_DEP_2)
	v_cndmask_b32_e64 v37, v46, v42, s5
	v_cmp_lt_u32_e64 s7, 31, v6
	v_cndmask_b32_e64 v39, v47, v44, s5
	s_delay_alu instid0(VALU_DEP_2) | instskip(NEXT) | instid1(VALU_DEP_1)
	v_cndmask_b32_e64 v33, 0, 0xffffffe0, s7
	v_dual_add_nc_u32 v6, v33, v6 :: v_dual_cndmask_b32 v33, v40, v36, s5
	s_delay_alu instid0(VALU_DEP_3) | instskip(NEXT) | instid1(VALU_DEP_2)
	v_dual_cndmask_b32 v36, v37, v35, s6 :: v_dual_cndmask_b32 v37, v39, v37, s6
	v_dual_cndmask_b32 v35, v35, v41, s6 :: v_dual_sub_nc_u32 v39, 32, v6
	s_delay_alu instid0(VALU_DEP_3) | instskip(SKIP_1) | instid1(VALU_DEP_3)
	v_cndmask_b32_e64 v40, v41, v33, s6
	v_cmp_eq_u32_e64 s5, 0, v6
	v_dual_cndmask_b32 v37, v37, v36, s7 :: v_dual_cndmask_b32 v36, v36, v35, s7
	s_delay_alu instid0(VALU_DEP_1) | instskip(NEXT) | instid1(VALU_DEP_1)
	v_alignbit_b32 v41, v37, v36, v39
	v_dual_cndmask_b32 v35, v35, v40, s7 :: v_dual_cndmask_b32 v6, v41, v37, s5
	s_delay_alu instid0(VALU_DEP_1) | instskip(NEXT) | instid1(VALU_DEP_1)
	v_alignbit_b32 v38, v36, v35, v39
	v_dual_cndmask_b32 v33, v33, v34, s6 :: v_dual_cndmask_b32 v34, v38, v36, s5
	s_delay_alu instid0(VALU_DEP_3) | instskip(NEXT) | instid1(VALU_DEP_2)
	v_bfe_u32 v36, v6, 29, 1
	v_cndmask_b32_e64 v33, v40, v33, s7
	s_delay_alu instid0(VALU_DEP_3) | instskip(NEXT) | instid1(VALU_DEP_3)
	v_alignbit_b32 v37, v6, v34, 30
	v_sub_nc_u32_e32 v38, 0, v36
	s_delay_alu instid0(VALU_DEP_3) | instskip(NEXT) | instid1(VALU_DEP_1)
	v_alignbit_b32 v39, v35, v33, v39
	v_dual_cndmask_b32 v35, v39, v35, s5 :: v_dual_bitop2_b32 v37, v37, v38 bitop3:0x14
	s_delay_alu instid0(VALU_DEP_1) | instskip(NEXT) | instid1(VALU_DEP_2)
	v_clz_i32_u32_e32 v39, v37
	v_alignbit_b32 v34, v34, v35, 30
	v_alignbit_b32 v33, v35, v33, 30
	s_delay_alu instid0(VALU_DEP_3) | instskip(NEXT) | instid1(VALU_DEP_3)
	v_min_u32_e32 v39, 32, v39
	v_xor_b32_e32 v34, v34, v38
	s_delay_alu instid0(VALU_DEP_3) | instskip(SKIP_1) | instid1(VALU_DEP_4)
	v_xor_b32_e32 v33, v33, v38
	v_dual_lshrrev_b32 v38, 29, v6 :: v_dual_lshrrev_b32 v6, 30, v6
	v_dual_sub_nc_u32 v35, 31, v39 :: v_dual_lshlrev_b32 v40, 23, v39
	s_delay_alu instid0(VALU_DEP_1) | instskip(NEXT) | instid1(VALU_DEP_4)
	v_alignbit_b32 v37, v37, v34, v35
	v_alignbit_b32 v33, v34, v33, v35
	s_delay_alu instid0(VALU_DEP_4) | instskip(NEXT) | instid1(VALU_DEP_2)
	v_lshlrev_b32_e32 v34, 31, v38
	v_alignbit_b32 v35, v37, v33, 9
	s_delay_alu instid0(VALU_DEP_2) | instskip(SKIP_1) | instid1(VALU_DEP_3)
	v_dual_lshrrev_b32 v37, 9, v37 :: v_dual_bitop2_b32 v38, 0.5, v34 bitop3:0x54
	v_or_b32_e32 v34, 0x33000000, v34
	v_clz_i32_u32_e32 v41, v35
	s_delay_alu instid0(VALU_DEP_3) | instskip(NEXT) | instid1(VALU_DEP_2)
	v_sub_nc_u32_e32 v38, v38, v40
	v_min_u32_e32 v40, 32, v41
	s_delay_alu instid0(VALU_DEP_1) | instskip(NEXT) | instid1(VALU_DEP_3)
	v_add_lshl_u32 v39, v40, v39, 23
	v_or_b32_e32 v37, v37, v38
	v_not_b32_e32 v38, v40
	s_delay_alu instid0(VALU_DEP_2) | instskip(NEXT) | instid1(VALU_DEP_2)
	v_dual_mul_f32 v41, 0x3fc90fda, v37 :: v_dual_sub_nc_u32 v34, v34, v39
	v_alignbit_b32 v33, v35, v33, v38
	s_delay_alu instid0(VALU_DEP_2) | instskip(NEXT) | instid1(VALU_DEP_2)
	v_fma_f32 v35, 0x3fc90fda, v37, -v41
	v_lshrrev_b32_e32 v33, 9, v33
	s_delay_alu instid0(VALU_DEP_2) | instskip(NEXT) | instid1(VALU_DEP_2)
	v_fmac_f32_e32 v35, 0x33a22168, v37
	v_or_b32_e32 v33, v34, v33
	s_delay_alu instid0(VALU_DEP_1) | instskip(NEXT) | instid1(VALU_DEP_1)
	v_fmac_f32_e32 v35, 0x3fc90fda, v33
	v_dual_add_f32 v33, v41, v35 :: v_dual_add_nc_u32 v35, v36, v6
.LBB116_22:                             ;   in Loop: Header=BB116_4 Depth=1
	s_and_not1_saveexec_b32 s5, s27
; %bb.23:                               ;   in Loop: Header=BB116_4 Depth=1
	v_mul_f32_e64 v6, 0x3f22f983, |v23|
	s_delay_alu instid0(VALU_DEP_1) | instskip(NEXT) | instid1(VALU_DEP_1)
	v_rndne_f32_e32 v6, v6
	v_fma_f32 v33, 0xbfc90fda, v6, |v23|
	v_cvt_i32_f32_e32 v35, v6
	s_delay_alu instid0(VALU_DEP_2) | instskip(NEXT) | instid1(VALU_DEP_1)
	v_fmac_f32_e32 v33, 0xb3a22168, v6
	v_fmac_f32_e32 v33, 0xa7c234c4, v6
; %bb.24:                               ;   in Loop: Header=BB116_4 Depth=1
	s_or_b32 exec_lo, exec_lo, s5
	v_and_b32_e32 v34, 0x7fffffff, v22
                                        ; implicit-def: $vgpr36
                                        ; implicit-def: $vgpr6
	s_mov_b32 s6, exec_lo
	v_cmpx_ngt_f32_e64 0x48000000, |v22|
	s_xor_b32 s27, exec_lo, s6
	s_cbranch_execnz .LBB116_30
; %bb.25:                               ;   in Loop: Header=BB116_4 Depth=1
	s_and_not1_saveexec_b32 s5, s27
	s_cbranch_execnz .LBB116_31
.LBB116_26:                             ;   in Loop: Header=BB116_4 Depth=1
	s_or_b32 exec_lo, exec_lo, s5
	s_and_saveexec_b32 s5, s4
	s_delay_alu instid0(SALU_CYCLE_1)
	s_xor_b32 s5, exec_lo, s5
	s_cbranch_execnz .LBB116_32
.LBB116_27:                             ;   in Loop: Header=BB116_4 Depth=1
	s_or_b32 exec_lo, exec_lo, s5
	s_and_saveexec_b32 s4, s3
	s_cbranch_execnz .LBB116_33
.LBB116_28:                             ;   in Loop: Header=BB116_4 Depth=1
	s_or_b32 exec_lo, exec_lo, s4
	s_and_saveexec_b32 s3, s2
	s_cbranch_execnz .LBB116_34
.LBB116_29:                             ;   in Loop: Header=BB116_4 Depth=1
	s_or_b32 exec_lo, exec_lo, s3
	s_and_saveexec_b32 s2, vcc_lo
	s_cbranch_execz .LBB116_3
	s_branch .LBB116_35
.LBB116_30:                             ;   in Loop: Header=BB116_4 Depth=1
	v_and_or_b32 v6, v34, s24, 0x800000
	v_mov_b32_e32 v47, v7
	s_delay_alu instid0(VALU_DEP_2) | instskip(NEXT) | instid1(VALU_DEP_1)
	v_mul_u64_e32 v[36:37], s[18:19], v[6:7]
	v_dual_mov_b32 v39, v7 :: v_dual_mov_b32 v38, v37
	v_lshrrev_b32_e32 v37, 23, v34
	s_delay_alu instid0(VALU_DEP_2) | instskip(SKIP_1) | instid1(VALU_DEP_3)
	v_mad_nc_u64_u32 v[38:39], 0x3c439041, v6, v[38:39]
	v_mov_b32_e32 v41, v7
	v_add_nc_u32_e32 v37, 0xffffff88, v37
	s_delay_alu instid0(VALU_DEP_1) | instskip(NEXT) | instid1(VALU_DEP_4)
	v_cmp_lt_u32_e64 s5, 63, v37
	v_mov_b32_e32 v40, v39
	s_delay_alu instid0(VALU_DEP_2) | instskip(NEXT) | instid1(VALU_DEP_2)
	v_cndmask_b32_e64 v39, 0, 0xffffffc0, s5
	v_mad_nc_u64_u32 v[40:41], 0xdb629599, v6, v[40:41]
	s_delay_alu instid0(VALU_DEP_1) | instskip(NEXT) | instid1(VALU_DEP_2)
	v_dual_mov_b32 v43, v7 :: v_dual_mov_b32 v42, v41
	v_cndmask_b32_e64 v36, v40, v36, s5
	s_delay_alu instid0(VALU_DEP_2) | instskip(NEXT) | instid1(VALU_DEP_1)
	v_mad_nc_u64_u32 v[42:43], 0xf534ddc0, v6, v[42:43]
	v_dual_mov_b32 v45, v7 :: v_dual_mov_b32 v44, v43
	s_delay_alu instid0(VALU_DEP_1) | instskip(NEXT) | instid1(VALU_DEP_1)
	v_mad_nc_u64_u32 v[44:45], 0xfc2757d1, v6, v[44:45]
	v_mov_b32_e32 v46, v45
	s_delay_alu instid0(VALU_DEP_1) | instskip(SKIP_2) | instid1(VALU_DEP_2)
	v_mad_nc_u64_u32 v[46:47], 0x4e441529, v6, v[46:47]
	v_add_nc_u32_e32 v37, v39, v37
	v_mov_b32_e32 v49, v7
	v_cmp_lt_u32_e64 s6, 31, v37
	s_delay_alu instid0(VALU_DEP_4) | instskip(NEXT) | instid1(VALU_DEP_2)
	v_mov_b32_e32 v48, v47
	v_cndmask_b32_e64 v39, 0, 0xffffffe0, s6
	s_delay_alu instid0(VALU_DEP_2) | instskip(NEXT) | instid1(VALU_DEP_2)
	v_mad_nc_u64_u32 v[48:49], 0xa2f9836e, v6, v[48:49]
	v_dual_add_nc_u32 v6, v39, v37 :: v_dual_cndmask_b32 v39, v46, v42, s5
	s_delay_alu instid0(VALU_DEP_2) | instskip(NEXT) | instid1(VALU_DEP_2)
	v_cndmask_b32_e64 v41, v48, v44, s5
	v_cmp_lt_u32_e64 s7, 31, v6
	s_delay_alu instid0(VALU_DEP_4) | instskip(NEXT) | instid1(VALU_DEP_2)
	v_dual_cndmask_b32 v43, v49, v46, s5 :: v_dual_cndmask_b32 v44, v44, v40, s5
	v_cndmask_b32_e64 v37, 0, 0xffffffe0, s7
	s_delay_alu instid0(VALU_DEP_1) | instskip(SKIP_1) | instid1(VALU_DEP_4)
	v_add_nc_u32_e32 v6, v37, v6
	v_dual_cndmask_b32 v37, v42, v38, s5 :: v_dual_cndmask_b32 v38, v41, v39, s6
	v_cndmask_b32_e64 v41, v43, v41, s6
	s_delay_alu instid0(VALU_DEP_3) | instskip(NEXT) | instid1(VALU_DEP_3)
	v_dual_cndmask_b32 v39, v39, v44, s6 :: v_dual_sub_nc_u32 v42, 32, v6
	v_cndmask_b32_e64 v43, v44, v37, s6
	v_cmp_eq_u32_e64 s5, 0, v6
	s_delay_alu instid0(VALU_DEP_3) | instskip(NEXT) | instid1(VALU_DEP_1)
	v_dual_cndmask_b32 v41, v41, v38, s7 :: v_dual_cndmask_b32 v38, v38, v39, s7
	v_alignbit_b32 v44, v41, v38, v42
	s_delay_alu instid0(VALU_DEP_1) | instskip(NEXT) | instid1(VALU_DEP_1)
	v_dual_cndmask_b32 v39, v39, v43, s7 :: v_dual_cndmask_b32 v6, v44, v41, s5
	v_alignbit_b32 v40, v38, v39, v42
	s_delay_alu instid0(VALU_DEP_1) | instskip(NEXT) | instid1(VALU_DEP_3)
	v_dual_cndmask_b32 v36, v37, v36, s6 :: v_dual_cndmask_b32 v37, v40, v38, s5
	v_bfe_u32 v38, v6, 29, 1
	s_delay_alu instid0(VALU_DEP_2) | instskip(NEXT) | instid1(VALU_DEP_3)
	v_cndmask_b32_e64 v36, v43, v36, s7
	v_alignbit_b32 v40, v6, v37, 30
	s_delay_alu instid0(VALU_DEP_3) | instskip(NEXT) | instid1(VALU_DEP_3)
	v_sub_nc_u32_e32 v41, 0, v38
	v_alignbit_b32 v42, v39, v36, v42
	s_delay_alu instid0(VALU_DEP_1) | instskip(NEXT) | instid1(VALU_DEP_1)
	v_dual_cndmask_b32 v39, v42, v39, s5 :: v_dual_bitop2_b32 v40, v40, v41 bitop3:0x14
	v_clz_i32_u32_e32 v42, v40
	s_delay_alu instid0(VALU_DEP_2) | instskip(SKIP_1) | instid1(VALU_DEP_3)
	v_alignbit_b32 v37, v37, v39, 30
	v_alignbit_b32 v36, v39, v36, 30
	v_min_u32_e32 v42, 32, v42
	s_delay_alu instid0(VALU_DEP_3) | instskip(NEXT) | instid1(VALU_DEP_3)
	v_xor_b32_e32 v37, v37, v41
	v_dual_lshrrev_b32 v41, 29, v6 :: v_dual_bitop2_b32 v36, v36, v41 bitop3:0x14
	s_delay_alu instid0(VALU_DEP_3) | instskip(NEXT) | instid1(VALU_DEP_1)
	v_dual_sub_nc_u32 v39, 31, v42 :: v_dual_lshlrev_b32 v43, 23, v42
	v_alignbit_b32 v40, v40, v37, v39
	s_delay_alu instid0(VALU_DEP_3) | instskip(NEXT) | instid1(VALU_DEP_4)
	v_alignbit_b32 v36, v37, v36, v39
	v_lshlrev_b32_e32 v37, 31, v41
	s_delay_alu instid0(VALU_DEP_2) | instskip(NEXT) | instid1(VALU_DEP_2)
	v_alignbit_b32 v39, v40, v36, 9
	v_dual_lshrrev_b32 v40, 9, v40 :: v_dual_bitop2_b32 v41, 0.5, v37 bitop3:0x54
	v_or_b32_e32 v37, 0x33000000, v37
	s_delay_alu instid0(VALU_DEP_3) | instskip(NEXT) | instid1(VALU_DEP_3)
	v_clz_i32_u32_e32 v44, v39
	v_sub_nc_u32_e32 v41, v41, v43
	s_delay_alu instid0(VALU_DEP_2) | instskip(NEXT) | instid1(VALU_DEP_1)
	v_min_u32_e32 v43, 32, v44
	v_add_lshl_u32 v42, v43, v42, 23
	s_delay_alu instid0(VALU_DEP_3) | instskip(SKIP_1) | instid1(VALU_DEP_2)
	v_or_b32_e32 v40, v40, v41
	v_not_b32_e32 v41, v43
	v_dual_mul_f32 v44, 0x3fc90fda, v40 :: v_dual_sub_nc_u32 v37, v37, v42
	s_delay_alu instid0(VALU_DEP_2) | instskip(NEXT) | instid1(VALU_DEP_2)
	v_alignbit_b32 v36, v39, v36, v41
	v_fma_f32 v39, 0x3fc90fda, v40, -v44
	s_delay_alu instid0(VALU_DEP_2) | instskip(NEXT) | instid1(VALU_DEP_2)
	v_lshrrev_b32_e32 v36, 9, v36
	v_fmac_f32_e32 v39, 0x33a22168, v40
	s_delay_alu instid0(VALU_DEP_2) | instskip(NEXT) | instid1(VALU_DEP_1)
	v_or_b32_e32 v36, v37, v36
	v_dual_fmac_f32 v39, 0x3fc90fda, v36 :: v_dual_lshrrev_b32 v36, 30, v6
	s_delay_alu instid0(VALU_DEP_1)
	v_dual_add_nc_u32 v36, v38, v36 :: v_dual_add_f32 v6, v44, v39
	s_and_not1_saveexec_b32 s5, s27
	s_cbranch_execz .LBB116_26
.LBB116_31:                             ;   in Loop: Header=BB116_4 Depth=1
	v_mul_f32_e64 v6, 0x3f22f983, |v22|
	s_delay_alu instid0(VALU_DEP_1) | instskip(NEXT) | instid1(VALU_DEP_1)
	v_rndne_f32_e32 v36, v6
	v_fma_f32 v6, 0xbfc90fda, v36, |v22|
	s_delay_alu instid0(VALU_DEP_1) | instskip(NEXT) | instid1(VALU_DEP_1)
	v_fmac_f32_e32 v6, 0xb3a22168, v36
	v_fmac_f32_e32 v6, 0xa7c234c4, v36
	v_cvt_i32_f32_e32 v36, v36
	s_or_b32 exec_lo, exec_lo, s5
	s_and_saveexec_b32 s5, s4
	s_delay_alu instid0(SALU_CYCLE_1)
	s_xor_b32 s5, exec_lo, s5
	s_cbranch_execz .LBB116_27
.LBB116_32:                             ;   in Loop: Header=BB116_4 Depth=1
	v_dual_mul_f32 v37, v27, v27 :: v_dual_bitop2_b32 v40, 1, v29 bitop3:0x40
	v_lshlrev_b32_e32 v29, 30, v29
	s_delay_alu instid0(VALU_DEP_2) | instskip(NEXT) | instid1(VALU_DEP_3)
	v_fmaak_f32 v38, s25, v37, 0x3c0881c4
	v_cmp_eq_u32_e64 s4, 0, v40
	s_delay_alu instid0(VALU_DEP_3) | instskip(NEXT) | instid1(VALU_DEP_3)
	v_bitop3_b32 v26, v26, v29, 0x80000000 bitop3:0x78
	v_fmaak_f32 v38, v37, v38, 0xbe2aaa9d
	s_delay_alu instid0(VALU_DEP_1) | instskip(NEXT) | instid1(VALU_DEP_1)
	v_dual_fmaak_f32 v39, s26, v37, 0xbab64f3b :: v_dual_mul_f32 v38, v37, v38
	v_fmaak_f32 v39, v37, v39, 0x3d2aabf7
	s_delay_alu instid0(VALU_DEP_2) | instskip(NEXT) | instid1(VALU_DEP_2)
	v_fmac_f32_e32 v27, v27, v38
	v_fmaak_f32 v39, v37, v39, 0xbf000004
	s_delay_alu instid0(VALU_DEP_1) | instskip(NEXT) | instid1(VALU_DEP_1)
	v_fma_f32 v37, v37, v39, 1.0
	v_cndmask_b32_e64 v27, v37, v27, s4
	v_cmp_class_f32_e64 s4, v25, 0x1f8
	s_delay_alu instid0(VALU_DEP_2) | instskip(NEXT) | instid1(VALU_DEP_1)
	v_xor3_b32 v26, v26, v27, v25
	v_cndmask_b32_e64 v25, 0x7fc00000, v26, s4
	s_delay_alu instid0(VALU_DEP_1) | instskip(SKIP_1) | instid1(VALU_DEP_2)
	v_bfe_u32 v26, v25, 16, 1
	v_cmp_o_f32_e64 s4, v25, v25
	v_add3_u32 v26, v25, v26, 0x7fff
	s_delay_alu instid0(VALU_DEP_1) | instskip(NEXT) | instid1(VALU_DEP_1)
	v_lshrrev_b32_e32 v26, 16, v26
	v_cndmask_b32_e64 v25, 0x7fc0, v26, s4
	global_store_b16 v[10:11], v25, off
	s_wait_xcnt 0x0
	s_or_b32 exec_lo, exec_lo, s5
	s_and_saveexec_b32 s4, s3
	s_cbranch_execz .LBB116_28
.LBB116_33:                             ;   in Loop: Header=BB116_4 Depth=1
	v_dual_mul_f32 v25, v30, v30 :: v_dual_bitop2_b32 v29, 1, v32 bitop3:0x40
	s_delay_alu instid0(VALU_DEP_1) | instskip(NEXT) | instid1(VALU_DEP_2)
	v_fmaak_f32 v26, s25, v25, 0x3c0881c4
	v_cmp_eq_u32_e64 s3, 0, v29
	s_delay_alu instid0(VALU_DEP_2) | instskip(NEXT) | instid1(VALU_DEP_1)
	v_fmaak_f32 v26, v25, v26, 0xbe2aaa9d
	v_dual_fmaak_f32 v27, s26, v25, 0xbab64f3b :: v_dual_mul_f32 v26, v25, v26
	s_delay_alu instid0(VALU_DEP_1) | instskip(NEXT) | instid1(VALU_DEP_1)
	v_dual_fmaak_f32 v27, v25, v27, 0x3d2aabf7 :: v_dual_fmac_f32 v30, v30, v26
	v_dual_fmaak_f32 v27, v25, v27, 0xbf000004 :: v_dual_lshlrev_b32 v26, 30, v32
	s_delay_alu instid0(VALU_DEP_1) | instskip(NEXT) | instid1(VALU_DEP_2)
	v_fma_f32 v25, v25, v27, 1.0
	v_bitop3_b32 v26, v28, v26, 0x80000000 bitop3:0x78
	s_delay_alu instid0(VALU_DEP_2) | instskip(SKIP_1) | instid1(VALU_DEP_2)
	v_cndmask_b32_e64 v25, v25, v30, s3
	v_cmp_class_f32_e64 s3, v24, 0x1f8
	v_xor3_b32 v25, v26, v25, v24
	s_delay_alu instid0(VALU_DEP_1) | instskip(NEXT) | instid1(VALU_DEP_1)
	v_cndmask_b32_e64 v24, 0x7fc00000, v25, s3
	v_bfe_u32 v25, v24, 16, 1
	v_cmp_o_f32_e64 s3, v24, v24
	s_delay_alu instid0(VALU_DEP_2) | instskip(NEXT) | instid1(VALU_DEP_1)
	v_add3_u32 v25, v24, v25, 0x7fff
	v_lshrrev_b32_e32 v25, 16, v25
	s_delay_alu instid0(VALU_DEP_1)
	v_cndmask_b32_e64 v24, 0x7fc0, v25, s3
	global_store_b16 v[16:17], v24, off
	s_wait_xcnt 0x0
	s_or_b32 exec_lo, exec_lo, s4
	s_and_saveexec_b32 s3, s2
	s_cbranch_execz .LBB116_29
.LBB116_34:                             ;   in Loop: Header=BB116_4 Depth=1
	v_dual_mul_f32 v24, v33, v33 :: v_dual_bitop2_b32 v27, 1, v35 bitop3:0x40
	s_delay_alu instid0(VALU_DEP_1) | instskip(NEXT) | instid1(VALU_DEP_2)
	v_fmaak_f32 v25, s25, v24, 0x3c0881c4
	v_cmp_eq_u32_e64 s2, 0, v27
	s_delay_alu instid0(VALU_DEP_2) | instskip(NEXT) | instid1(VALU_DEP_1)
	v_fmaak_f32 v25, v24, v25, 0xbe2aaa9d
	v_dual_fmaak_f32 v26, s26, v24, 0xbab64f3b :: v_dual_mul_f32 v25, v24, v25
	s_delay_alu instid0(VALU_DEP_1) | instskip(NEXT) | instid1(VALU_DEP_1)
	v_dual_fmaak_f32 v26, v24, v26, 0x3d2aabf7 :: v_dual_fmac_f32 v33, v33, v25
	v_dual_fmaak_f32 v26, v24, v26, 0xbf000004 :: v_dual_lshlrev_b32 v25, 30, v35
	s_delay_alu instid0(VALU_DEP_1) | instskip(NEXT) | instid1(VALU_DEP_2)
	v_fma_f32 v24, v24, v26, 1.0
	v_bitop3_b32 v25, v31, v25, 0x80000000 bitop3:0x78
	s_delay_alu instid0(VALU_DEP_2) | instskip(SKIP_1) | instid1(VALU_DEP_2)
	v_cndmask_b32_e64 v24, v24, v33, s2
	v_cmp_class_f32_e64 s2, v23, 0x1f8
	v_xor3_b32 v24, v25, v24, v23
	s_delay_alu instid0(VALU_DEP_1) | instskip(NEXT) | instid1(VALU_DEP_1)
	v_cndmask_b32_e64 v23, 0x7fc00000, v24, s2
	v_bfe_u32 v24, v23, 16, 1
	v_cmp_o_f32_e64 s2, v23, v23
	s_delay_alu instid0(VALU_DEP_2) | instskip(NEXT) | instid1(VALU_DEP_1)
	v_add3_u32 v24, v23, v24, 0x7fff
	v_lshrrev_b32_e32 v24, 16, v24
	s_delay_alu instid0(VALU_DEP_1)
	v_cndmask_b32_e64 v23, 0x7fc0, v24, s2
	global_store_b16 v[20:21], v23, off
	s_wait_xcnt 0x0
	s_or_b32 exec_lo, exec_lo, s3
	s_and_saveexec_b32 s2, vcc_lo
	s_cbranch_execz .LBB116_3
.LBB116_35:                             ;   in Loop: Header=BB116_4 Depth=1
	v_dual_mul_f32 v20, v6, v6 :: v_dual_bitop2_b32 v24, 1, v36 bitop3:0x40
	s_delay_alu instid0(VALU_DEP_1) | instskip(NEXT) | instid1(VALU_DEP_2)
	v_fmaak_f32 v21, s25, v20, 0x3c0881c4
	v_cmp_eq_u32_e32 vcc_lo, 0, v24
	s_delay_alu instid0(VALU_DEP_2) | instskip(NEXT) | instid1(VALU_DEP_1)
	v_fmaak_f32 v21, v20, v21, 0xbe2aaa9d
	v_mul_f32_e32 v21, v20, v21
	s_delay_alu instid0(VALU_DEP_1) | instskip(NEXT) | instid1(VALU_DEP_1)
	v_dual_fmaak_f32 v23, s26, v20, 0xbab64f3b :: v_dual_fmac_f32 v6, v6, v21
	v_fmaak_f32 v23, v20, v23, 0x3d2aabf7
	v_lshlrev_b32_e32 v21, 30, v36
	s_delay_alu instid0(VALU_DEP_2) | instskip(NEXT) | instid1(VALU_DEP_1)
	v_fmaak_f32 v23, v20, v23, 0xbf000004
	v_fma_f32 v20, v20, v23, 1.0
	s_delay_alu instid0(VALU_DEP_1) | instskip(NEXT) | instid1(VALU_DEP_4)
	v_cndmask_b32_e32 v6, v20, v6, vcc_lo
	v_bitop3_b32 v20, v34, v21, 0x80000000 bitop3:0x78
	v_cmp_class_f32_e64 vcc_lo, v22, 0x1f8
	s_delay_alu instid0(VALU_DEP_2) | instskip(NEXT) | instid1(VALU_DEP_1)
	v_xor3_b32 v6, v20, v6, v22
	v_cndmask_b32_e32 v6, 0x7fc00000, v6, vcc_lo
	s_delay_alu instid0(VALU_DEP_1) | instskip(SKIP_1) | instid1(VALU_DEP_2)
	v_bfe_u32 v20, v6, 16, 1
	v_cmp_o_f32_e32 vcc_lo, v6, v6
	v_add3_u32 v20, v6, v20, 0x7fff
	s_delay_alu instid0(VALU_DEP_1) | instskip(NEXT) | instid1(VALU_DEP_1)
	v_lshrrev_b32_e32 v20, 16, v20
	v_cndmask_b32_e32 v6, 0x7fc0, v20, vcc_lo
	global_store_b16 v[18:19], v6, off
	s_branch .LBB116_3
.LBB116_36:
	s_cbranch_execz .LBB116_38
	s_branch .LBB116_57
.LBB116_37:
.LBB116_38:
	v_min_i64 v[2:3], 0x10000, s[12:13]
	v_dual_mov_b32 v5, 0 :: v_dual_lshlrev_b32 v4, 2, v0
	s_mov_b32 s2, exec_lo
	s_delay_alu instid0(VALU_DEP_1)
	v_cmpx_lt_i64_e64 v[4:5], v[2:3]
	s_cbranch_execz .LBB116_57
; %bb.39:
	s_load_b32 s2, s[0:1], 0xd3c
	v_dual_mov_b32 v1, v5 :: v_dual_lshlrev_b32 v4, 3, v0
	s_wait_xcnt 0x0
	s_add_nc_u64 s[0:1], s[8:9], s[10:11]
	s_mov_b32 s3, 0
	s_mov_b32 s8, 0x7fffff
	s_mov_b64 s[4:5], 0xfe5163ab
	v_add_nc_u64_e32 v[6:7], s[0:1], v[4:5]
	s_mov_b32 s9, 0xb94c1982
	s_mov_b32 s10, 0x37d75334
	;; [unrolled: 1-line block ×4, first 2 shown]
	s_wait_kmcnt 0x0
	s_and_b32 s2, s2, 0xffff
	s_delay_alu instid0(SALU_CYCLE_1)
	s_lshl_b32 s6, s2, 3
	s_branch .LBB116_41
.LBB116_40:                             ;   in Loop: Header=BB116_41 Depth=1
	s_or_b32 exec_lo, exec_lo, s0
	v_dual_mul_f32 v23, v19, v19 :: v_dual_bitop2_b32 v24, 1, v21 bitop3:0x40
	v_mul_f32_e32 v25, v17, v17
	v_dual_lshlrev_b32 v21, 30, v21 :: v_dual_bitop2_b32 v28, 1, v16 bitop3:0x40
	s_delay_alu instid0(VALU_DEP_3) | instskip(NEXT) | instid1(VALU_DEP_3)
	v_fmaak_f32 v26, s9, v23, 0x3c0881c4
	v_dual_fmaak_f32 v27, s10, v23, 0xbab64f3b :: v_dual_fmaak_f32 v30, s10, v25, 0xbab64f3b
	v_cmp_eq_u32_e32 vcc_lo, 0, v24
	s_delay_alu instid0(VALU_DEP_4) | instskip(NEXT) | instid1(VALU_DEP_4)
	v_bitop3_b32 v18, v18, v21, 0x80000000 bitop3:0x78
	v_dual_fmaak_f32 v26, v23, v26, 0xbe2aaa9d :: v_dual_mul_f32 v31, v12, v12
	v_fmaak_f32 v29, s9, v25, 0x3c0881c4
	v_dual_fmaak_f32 v27, v23, v27, 0x3d2aabf7 :: v_dual_fmaak_f32 v30, v25, v30, 0x3d2aabf7
	s_delay_alu instid0(VALU_DEP_3) | instskip(NEXT) | instid1(VALU_DEP_3)
	v_dual_mul_f32 v26, v23, v26 :: v_dual_mul_f32 v32, v4, v4
	v_fmaak_f32 v29, v25, v29, 0xbe2aaa9d
	s_delay_alu instid0(VALU_DEP_3) | instskip(NEXT) | instid1(VALU_DEP_3)
	v_dual_fmaak_f32 v27, v23, v27, 0xbf000004 :: v_dual_fmaak_f32 v30, v25, v30, 0xbf000004
	v_dual_fmac_f32 v19, v19, v26 :: v_dual_fmaak_f32 v24, s10, v31, 0xbab64f3b
	s_delay_alu instid0(VALU_DEP_3) | instskip(NEXT) | instid1(VALU_DEP_3)
	v_mul_f32_e32 v29, v25, v29
	v_fma_f32 v23, v23, v27, 1.0
	s_delay_alu instid0(VALU_DEP_4) | instskip(SKIP_2) | instid1(VALU_DEP_4)
	v_fma_f32 v21, v25, v30, 1.0
	v_lshlrev_b32_e32 v16, 30, v16
	v_add_nc_u64_e32 v[0:1], s[2:3], v[0:1]
	v_dual_fmac_f32 v17, v17, v29 :: v_dual_cndmask_b32 v19, v23, v19, vcc_lo
	v_fmaak_f32 v23, s9, v31, 0x3c0881c4
	v_cmp_eq_u32_e32 vcc_lo, 0, v28
	v_bitop3_b32 v15, v15, v16, 0x80000000 bitop3:0x78
	s_delay_alu instid0(VALU_DEP_4) | instskip(NEXT) | instid1(VALU_DEP_4)
	v_xor3_b32 v18, v18, v19, v8
	v_fmaak_f32 v19, v31, v23, 0xbe2aaa9d
	v_fmaak_f32 v23, s10, v32, 0xbab64f3b
	v_dual_cndmask_b32 v17, v21, v17 :: v_dual_fmaak_f32 v24, v31, v24, 0x3d2aabf7
	v_fmaak_f32 v21, s9, v32, 0x3c0881c4
	s_delay_alu instid0(VALU_DEP_2) | instskip(NEXT) | instid1(VALU_DEP_3)
	v_xor3_b32 v15, v15, v17, v14
	v_fmaak_f32 v24, v31, v24, 0xbf000004
	s_delay_alu instid0(VALU_DEP_3) | instskip(NEXT) | instid1(VALU_DEP_1)
	v_fmaak_f32 v21, v32, v21, 0xbe2aaa9d
	v_dual_mul_f32 v16, v32, v21 :: v_dual_mul_f32 v19, v31, v19
	s_delay_alu instid0(VALU_DEP_3) | instskip(NEXT) | instid1(VALU_DEP_2)
	v_fma_f32 v21, v31, v24, 1.0
	v_fmac_f32_e32 v4, v4, v16
	s_delay_alu instid0(VALU_DEP_3) | instskip(SKIP_1) | instid1(VALU_DEP_1)
	v_fmac_f32_e32 v12, v12, v19
	v_fmaak_f32 v23, v32, v23, 0x3d2aabf7
	v_fmaak_f32 v19, v32, v23, 0xbf000004
	v_dual_lshlrev_b32 v13, 30, v13 :: v_dual_bitop2_b32 v23, 1, v13 bitop3:0x40
	s_delay_alu instid0(VALU_DEP_2) | instskip(SKIP_1) | instid1(VALU_DEP_3)
	v_fma_f32 v16, v32, v19, 1.0
	v_and_b32_e32 v19, 1, v22
	v_cmp_eq_u32_e32 vcc_lo, 0, v23
	s_delay_alu instid0(VALU_DEP_4) | instskip(SKIP_1) | instid1(VALU_DEP_4)
	v_bitop3_b32 v11, v11, v13, 0x80000000 bitop3:0x78
	v_dual_lshlrev_b32 v22, 30, v22 :: v_dual_cndmask_b32 v12, v21, v12, vcc_lo
	v_cmp_eq_u32_e32 vcc_lo, 0, v19
	s_delay_alu instid0(VALU_DEP_2) | instskip(NEXT) | instid1(VALU_DEP_3)
	v_bitop3_b32 v13, v20, v22, 0x80000000 bitop3:0x78
	v_xor3_b32 v11, v11, v12, v10
	v_cndmask_b32_e32 v4, v16, v4, vcc_lo
	v_cmp_class_f32_e64 vcc_lo, v8, 0x1f8
	v_cndmask_b32_e32 v8, 0x7fc00000, v18, vcc_lo
	v_cmp_class_f32_e64 vcc_lo, v14, 0x1f8
	;; [unrolled: 2-line block ×3, first 2 shown]
	v_cndmask_b32_e32 v10, 0x7fc00000, v11, vcc_lo
	v_bfe_u32 v11, v8, 16, 1
	v_cmp_class_f32_e64 vcc_lo, v9, 0x1f8
	s_delay_alu instid0(VALU_DEP_2) | instskip(NEXT) | instid1(VALU_DEP_1)
	v_add3_u32 v11, v8, v11, 0x7fff
	v_lshrrev_b32_e32 v11, 16, v11
	v_xor3_b32 v4, v13, v4, v9
	v_bfe_u32 v9, v12, 16, 1
	v_bfe_u32 v13, v10, 16, 1
	s_delay_alu instid0(VALU_DEP_3) | instskip(NEXT) | instid1(VALU_DEP_3)
	v_cndmask_b32_e32 v4, 0x7fc00000, v4, vcc_lo
	v_add3_u32 v9, v12, v9, 0x7fff
	s_delay_alu instid0(VALU_DEP_3) | instskip(SKIP_1) | instid1(VALU_DEP_4)
	v_add3_u32 v13, v10, v13, 0x7fff
	v_cmp_o_f32_e32 vcc_lo, v12, v12
	v_bfe_u32 v14, v4, 16, 1
	s_delay_alu instid0(VALU_DEP_4) | instskip(NEXT) | instid1(VALU_DEP_4)
	v_and_b32_e32 v9, 0xffff0000, v9
	v_lshrrev_b32_e32 v13, 16, v13
	s_delay_alu instid0(VALU_DEP_3) | instskip(NEXT) | instid1(VALU_DEP_3)
	v_add3_u32 v14, v4, v14, 0x7fff
	v_cndmask_b32_e32 v9, 0x7fc00000, v9, vcc_lo
	v_cmp_o_f32_e32 vcc_lo, v10, v10
	s_delay_alu instid0(VALU_DEP_3) | instskip(SKIP_2) | instid1(VALU_DEP_2)
	v_and_b32_e32 v14, 0xffff0000, v14
	v_cndmask_b32_e32 v10, 0x7fc0, v13, vcc_lo
	v_cmp_o_f32_e32 vcc_lo, v4, v4
	v_or_b32_e32 v10, v9, v10
	s_delay_alu instid0(VALU_DEP_4) | instskip(SKIP_2) | instid1(VALU_DEP_4)
	v_cndmask_b32_e32 v4, 0x7fc00000, v14, vcc_lo
	v_cmp_o_f32_e32 vcc_lo, v8, v8
	v_lshlrev_b64_e32 v[8:9], 2, v[0:1]
	v_or3_b32 v10, v10, 0, 0
	v_cndmask_b32_e32 v11, 0x7fc0, v11, vcc_lo
	s_delay_alu instid0(VALU_DEP_3) | instskip(NEXT) | instid1(VALU_DEP_2)
	v_cmp_ge_i64_e32 vcc_lo, v[8:9], v[2:3]
	v_or3_b32 v11, 0, v11, v4
	global_store_b64 v[6:7], v[10:11], off
	s_wait_xcnt 0x0
	v_add_nc_u64_e32 v[6:7], s[6:7], v[6:7]
	s_or_b32 s11, vcc_lo, s11
	s_delay_alu instid0(SALU_CYCLE_1)
	s_and_not1_b32 exec_lo, exec_lo, s11
	s_cbranch_execz .LBB116_57
.LBB116_41:                             ; =>This Inner Loop Header: Depth=1
	global_load_b64 v[8:9], v[6:7], off
                                        ; implicit-def: $vgpr13
                                        ; implicit-def: $vgpr12
	s_mov_b32 s1, exec_lo
	s_wait_loadcnt 0x0
	v_lshlrev_b32_e32 v10, 16, v8
	s_delay_alu instid0(VALU_DEP_1)
	v_and_b32_e32 v11, 0x7fffffff, v10
	s_wait_xcnt 0x0
	v_cmpx_ngt_f32_e64 0x48000000, |v10|
	s_xor_b32 s12, exec_lo, s1
	s_cbranch_execz .LBB116_43
; %bb.42:                               ;   in Loop: Header=BB116_41 Depth=1
	v_and_or_b32 v4, v11, s8, 0x800000
	v_dual_mov_b32 v23, v5 :: v_dual_mov_b32 v25, v5
	s_delay_alu instid0(VALU_DEP_2) | instskip(NEXT) | instid1(VALU_DEP_1)
	v_mul_u64_e32 v[12:13], s[4:5], v[4:5]
	v_dual_mov_b32 v15, v5 :: v_dual_mov_b32 v14, v13
	v_lshrrev_b32_e32 v13, 23, v11
	s_delay_alu instid0(VALU_DEP_2) | instskip(SKIP_1) | instid1(VALU_DEP_3)
	v_mad_nc_u64_u32 v[14:15], 0x3c439041, v4, v[14:15]
	v_mov_b32_e32 v17, v5
	v_add_nc_u32_e32 v13, 0xffffff88, v13
	s_delay_alu instid0(VALU_DEP_1) | instskip(NEXT) | instid1(VALU_DEP_4)
	v_cmp_lt_u32_e32 vcc_lo, 63, v13
	v_mov_b32_e32 v16, v15
	v_cndmask_b32_e64 v15, 0, 0xffffffc0, vcc_lo
	s_delay_alu instid0(VALU_DEP_2) | instskip(NEXT) | instid1(VALU_DEP_2)
	v_mad_nc_u64_u32 v[16:17], 0xdb629599, v4, v[16:17]
	v_dual_mov_b32 v19, v5 :: v_dual_add_nc_u32 v13, v15, v13
	s_delay_alu instid0(VALU_DEP_1) | instskip(NEXT) | instid1(VALU_DEP_3)
	v_cmp_lt_u32_e64 s0, 31, v13
	v_mov_b32_e32 v18, v17
	s_delay_alu instid0(VALU_DEP_2) | instskip(SKIP_1) | instid1(VALU_DEP_3)
	v_cndmask_b32_e64 v15, 0, 0xffffffe0, s0
	v_cndmask_b32_e32 v12, v16, v12, vcc_lo
	v_mad_nc_u64_u32 v[18:19], 0xf534ddc0, v4, v[18:19]
	s_delay_alu instid0(VALU_DEP_1) | instskip(NEXT) | instid1(VALU_DEP_1)
	v_dual_mov_b32 v21, v5 :: v_dual_mov_b32 v20, v19
	v_mad_nc_u64_u32 v[20:21], 0xfc2757d1, v4, v[20:21]
	s_delay_alu instid0(VALU_DEP_1) | instskip(NEXT) | instid1(VALU_DEP_1)
	v_mov_b32_e32 v22, v21
	v_mad_nc_u64_u32 v[22:23], 0x4e441529, v4, v[22:23]
	s_delay_alu instid0(VALU_DEP_1) | instskip(NEXT) | instid1(VALU_DEP_1)
	v_mov_b32_e32 v24, v23
	v_mad_nc_u64_u32 v[24:25], 0xa2f9836e, v4, v[24:25]
	s_delay_alu instid0(VALU_DEP_3) | instskip(NEXT) | instid1(VALU_DEP_2)
	v_dual_cndmask_b32 v15, v22, v18 :: v_dual_add_nc_u32 v4, v15, v13
	v_cndmask_b32_e32 v17, v24, v20, vcc_lo
	s_delay_alu instid0(VALU_DEP_2) | instskip(NEXT) | instid1(VALU_DEP_4)
	v_cmp_lt_u32_e64 s1, 31, v4
	v_dual_cndmask_b32 v19, v25, v22 :: v_dual_cndmask_b32 v20, v20, v16
	s_delay_alu instid0(VALU_DEP_2) | instskip(NEXT) | instid1(VALU_DEP_1)
	v_cndmask_b32_e64 v13, 0, 0xffffffe0, s1
	v_dual_cndmask_b32 v13, v18, v14 :: v_dual_add_nc_u32 v4, v13, v4
	s_delay_alu instid0(VALU_DEP_3) | instskip(NEXT) | instid1(VALU_DEP_4)
	v_dual_cndmask_b32 v14, v17, v15, s0 :: v_dual_cndmask_b32 v17, v19, v17, s0
	v_cndmask_b32_e64 v15, v15, v20, s0
	s_delay_alu instid0(VALU_DEP_3) | instskip(SKIP_1) | instid1(VALU_DEP_3)
	v_dual_sub_nc_u32 v18, 32, v4 :: v_dual_cndmask_b32 v19, v20, v13, s0
	v_cmp_eq_u32_e32 vcc_lo, 0, v4
	v_dual_cndmask_b32 v17, v17, v14, s1 :: v_dual_cndmask_b32 v14, v14, v15, s1
	s_delay_alu instid0(VALU_DEP_1) | instskip(NEXT) | instid1(VALU_DEP_1)
	v_alignbit_b32 v20, v17, v14, v18
	v_dual_cndmask_b32 v15, v15, v19, s1 :: v_dual_cndmask_b32 v4, v20, v17, vcc_lo
	s_delay_alu instid0(VALU_DEP_1) | instskip(NEXT) | instid1(VALU_DEP_1)
	v_alignbit_b32 v16, v14, v15, v18
	v_dual_cndmask_b32 v12, v13, v12, s0 :: v_dual_cndmask_b32 v13, v16, v14, vcc_lo
	s_delay_alu instid0(VALU_DEP_3) | instskip(NEXT) | instid1(VALU_DEP_2)
	v_bfe_u32 v14, v4, 29, 1
	v_cndmask_b32_e64 v12, v19, v12, s1
	s_delay_alu instid0(VALU_DEP_3) | instskip(NEXT) | instid1(VALU_DEP_3)
	v_alignbit_b32 v16, v4, v13, 30
	v_sub_nc_u32_e32 v17, 0, v14
	s_delay_alu instid0(VALU_DEP_3) | instskip(NEXT) | instid1(VALU_DEP_1)
	v_alignbit_b32 v18, v15, v12, v18
	v_dual_cndmask_b32 v15, v18, v15, vcc_lo :: v_dual_bitop2_b32 v16, v16, v17 bitop3:0x14
	s_delay_alu instid0(VALU_DEP_1) | instskip(NEXT) | instid1(VALU_DEP_2)
	v_clz_i32_u32_e32 v18, v16
	v_alignbit_b32 v13, v13, v15, 30
	v_alignbit_b32 v12, v15, v12, 30
	s_delay_alu instid0(VALU_DEP_3) | instskip(NEXT) | instid1(VALU_DEP_3)
	v_min_u32_e32 v18, 32, v18
	v_xor_b32_e32 v13, v13, v17
	s_delay_alu instid0(VALU_DEP_3) | instskip(NEXT) | instid1(VALU_DEP_3)
	v_dual_lshrrev_b32 v17, 29, v4 :: v_dual_bitop2_b32 v12, v12, v17 bitop3:0x14
	v_dual_sub_nc_u32 v15, 31, v18 :: v_dual_lshlrev_b32 v19, 23, v18
	s_delay_alu instid0(VALU_DEP_1) | instskip(NEXT) | instid1(VALU_DEP_3)
	v_alignbit_b32 v16, v16, v13, v15
	v_alignbit_b32 v12, v13, v12, v15
	s_delay_alu instid0(VALU_DEP_4) | instskip(NEXT) | instid1(VALU_DEP_2)
	v_lshlrev_b32_e32 v13, 31, v17
	v_alignbit_b32 v15, v16, v12, 9
	s_delay_alu instid0(VALU_DEP_2) | instskip(SKIP_1) | instid1(VALU_DEP_3)
	v_dual_lshrrev_b32 v16, 9, v16 :: v_dual_bitop2_b32 v17, 0.5, v13 bitop3:0x54
	v_or_b32_e32 v13, 0x33000000, v13
	v_clz_i32_u32_e32 v20, v15
	s_delay_alu instid0(VALU_DEP_3) | instskip(NEXT) | instid1(VALU_DEP_2)
	v_sub_nc_u32_e32 v17, v17, v19
	v_min_u32_e32 v19, 32, v20
	s_delay_alu instid0(VALU_DEP_1) | instskip(NEXT) | instid1(VALU_DEP_3)
	v_add_lshl_u32 v18, v19, v18, 23
	v_or_b32_e32 v16, v16, v17
	v_not_b32_e32 v17, v19
	s_delay_alu instid0(VALU_DEP_2) | instskip(NEXT) | instid1(VALU_DEP_2)
	v_dual_mul_f32 v20, 0x3fc90fda, v16 :: v_dual_sub_nc_u32 v13, v13, v18
	v_alignbit_b32 v12, v15, v12, v17
	s_delay_alu instid0(VALU_DEP_2) | instskip(NEXT) | instid1(VALU_DEP_2)
	v_fma_f32 v15, 0x3fc90fda, v16, -v20
	v_lshrrev_b32_e32 v12, 9, v12
	s_delay_alu instid0(VALU_DEP_2) | instskip(NEXT) | instid1(VALU_DEP_2)
	v_fmac_f32_e32 v15, 0x33a22168, v16
	v_or_b32_e32 v12, v13, v12
	s_delay_alu instid0(VALU_DEP_1) | instskip(NEXT) | instid1(VALU_DEP_1)
	v_fmac_f32_e32 v15, 0x3fc90fda, v12
	v_dual_lshrrev_b32 v4, 30, v4 :: v_dual_add_f32 v12, v20, v15
	s_delay_alu instid0(VALU_DEP_1)
	v_add_nc_u32_e32 v13, v14, v4
.LBB116_43:                             ;   in Loop: Header=BB116_41 Depth=1
	s_and_not1_saveexec_b32 s0, s12
; %bb.44:                               ;   in Loop: Header=BB116_41 Depth=1
	v_mul_f32_e64 v4, 0x3f22f983, |v10|
	s_delay_alu instid0(VALU_DEP_1) | instskip(NEXT) | instid1(VALU_DEP_1)
	v_rndne_f32_e32 v4, v4
	v_fma_f32 v12, 0xbfc90fda, v4, |v10|
	v_cvt_i32_f32_e32 v13, v4
	s_delay_alu instid0(VALU_DEP_2) | instskip(NEXT) | instid1(VALU_DEP_1)
	v_fmac_f32_e32 v12, 0xb3a22168, v4
	v_fmac_f32_e32 v12, 0xa7c234c4, v4
; %bb.45:                               ;   in Loop: Header=BB116_41 Depth=1
	s_or_b32 exec_lo, exec_lo, s0
	v_and_b32_e32 v14, 0xffff0000, v8
                                        ; implicit-def: $vgpr16
                                        ; implicit-def: $vgpr17
	s_mov_b32 s1, exec_lo
	s_delay_alu instid0(VALU_DEP_1)
	v_and_b32_e32 v15, 0x7fffffff, v14
	v_cmpx_ngt_f32_e64 0x48000000, |v14|
	s_xor_b32 s12, exec_lo, s1
	s_cbranch_execz .LBB116_47
; %bb.46:                               ;   in Loop: Header=BB116_41 Depth=1
	s_delay_alu instid0(VALU_DEP_2) | instskip(SKIP_1) | instid1(VALU_DEP_2)
	v_and_or_b32 v4, v15, s8, 0x800000
	v_dual_mov_b32 v27, v5 :: v_dual_mov_b32 v29, v5
	v_mul_u64_e32 v[16:17], s[4:5], v[4:5]
	s_delay_alu instid0(VALU_DEP_1) | instskip(SKIP_1) | instid1(VALU_DEP_2)
	v_dual_mov_b32 v19, v5 :: v_dual_mov_b32 v18, v17
	v_lshrrev_b32_e32 v17, 23, v15
	v_mad_nc_u64_u32 v[18:19], 0x3c439041, v4, v[18:19]
	v_mov_b32_e32 v21, v5
	s_delay_alu instid0(VALU_DEP_3) | instskip(NEXT) | instid1(VALU_DEP_1)
	v_add_nc_u32_e32 v17, 0xffffff88, v17
	v_cmp_lt_u32_e32 vcc_lo, 63, v17
	s_delay_alu instid0(VALU_DEP_4) | instskip(SKIP_1) | instid1(VALU_DEP_2)
	v_mov_b32_e32 v20, v19
	v_cndmask_b32_e64 v19, 0, 0xffffffc0, vcc_lo
	v_mad_nc_u64_u32 v[20:21], 0xdb629599, v4, v[20:21]
	s_delay_alu instid0(VALU_DEP_2) | instskip(NEXT) | instid1(VALU_DEP_1)
	v_dual_mov_b32 v23, v5 :: v_dual_add_nc_u32 v17, v19, v17
	v_cmp_lt_u32_e64 s0, 31, v17
	s_delay_alu instid0(VALU_DEP_3) | instskip(NEXT) | instid1(VALU_DEP_2)
	v_mov_b32_e32 v22, v21
	v_cndmask_b32_e64 v19, 0, 0xffffffe0, s0
	v_cndmask_b32_e32 v16, v20, v16, vcc_lo
	s_delay_alu instid0(VALU_DEP_3) | instskip(NEXT) | instid1(VALU_DEP_1)
	v_mad_nc_u64_u32 v[22:23], 0xf534ddc0, v4, v[22:23]
	v_dual_mov_b32 v25, v5 :: v_dual_mov_b32 v24, v23
	s_delay_alu instid0(VALU_DEP_1) | instskip(NEXT) | instid1(VALU_DEP_1)
	v_mad_nc_u64_u32 v[24:25], 0xfc2757d1, v4, v[24:25]
	v_mov_b32_e32 v26, v25
	s_delay_alu instid0(VALU_DEP_1) | instskip(NEXT) | instid1(VALU_DEP_1)
	v_mad_nc_u64_u32 v[26:27], 0x4e441529, v4, v[26:27]
	v_mov_b32_e32 v28, v27
	s_delay_alu instid0(VALU_DEP_1) | instskip(NEXT) | instid1(VALU_DEP_3)
	v_mad_nc_u64_u32 v[28:29], 0xa2f9836e, v4, v[28:29]
	v_dual_cndmask_b32 v19, v26, v22 :: v_dual_add_nc_u32 v4, v19, v17
	s_delay_alu instid0(VALU_DEP_2) | instskip(NEXT) | instid1(VALU_DEP_2)
	v_cndmask_b32_e32 v21, v28, v24, vcc_lo
	v_cmp_lt_u32_e64 s1, 31, v4
	s_delay_alu instid0(VALU_DEP_4) | instskip(NEXT) | instid1(VALU_DEP_2)
	v_dual_cndmask_b32 v23, v29, v26 :: v_dual_cndmask_b32 v24, v24, v20
	v_cndmask_b32_e64 v17, 0, 0xffffffe0, s1
	s_delay_alu instid0(VALU_DEP_1) | instskip(NEXT) | instid1(VALU_DEP_3)
	v_dual_cndmask_b32 v17, v22, v18 :: v_dual_add_nc_u32 v4, v17, v4
	v_dual_cndmask_b32 v18, v21, v19, s0 :: v_dual_cndmask_b32 v21, v23, v21, s0
	s_delay_alu instid0(VALU_DEP_4) | instskip(NEXT) | instid1(VALU_DEP_3)
	v_cndmask_b32_e64 v19, v19, v24, s0
	v_dual_sub_nc_u32 v22, 32, v4 :: v_dual_cndmask_b32 v23, v24, v17, s0
	v_cmp_eq_u32_e32 vcc_lo, 0, v4
	s_delay_alu instid0(VALU_DEP_3) | instskip(NEXT) | instid1(VALU_DEP_1)
	v_dual_cndmask_b32 v21, v21, v18, s1 :: v_dual_cndmask_b32 v18, v18, v19, s1
	v_alignbit_b32 v24, v21, v18, v22
	s_delay_alu instid0(VALU_DEP_1) | instskip(NEXT) | instid1(VALU_DEP_1)
	v_dual_cndmask_b32 v19, v19, v23, s1 :: v_dual_cndmask_b32 v4, v24, v21, vcc_lo
	v_alignbit_b32 v20, v18, v19, v22
	s_delay_alu instid0(VALU_DEP_1) | instskip(NEXT) | instid1(VALU_DEP_3)
	v_dual_cndmask_b32 v16, v17, v16, s0 :: v_dual_cndmask_b32 v17, v20, v18, vcc_lo
	v_bfe_u32 v18, v4, 29, 1
	s_delay_alu instid0(VALU_DEP_2) | instskip(NEXT) | instid1(VALU_DEP_3)
	v_cndmask_b32_e64 v16, v23, v16, s1
	v_alignbit_b32 v20, v4, v17, 30
	s_delay_alu instid0(VALU_DEP_3) | instskip(NEXT) | instid1(VALU_DEP_3)
	v_sub_nc_u32_e32 v21, 0, v18
	v_alignbit_b32 v22, v19, v16, v22
	s_delay_alu instid0(VALU_DEP_1) | instskip(NEXT) | instid1(VALU_DEP_1)
	v_dual_cndmask_b32 v19, v22, v19, vcc_lo :: v_dual_bitop2_b32 v20, v20, v21 bitop3:0x14
	v_clz_i32_u32_e32 v22, v20
	s_delay_alu instid0(VALU_DEP_2) | instskip(SKIP_1) | instid1(VALU_DEP_3)
	v_alignbit_b32 v17, v17, v19, 30
	v_alignbit_b32 v16, v19, v16, 30
	v_min_u32_e32 v22, 32, v22
	s_delay_alu instid0(VALU_DEP_3) | instskip(NEXT) | instid1(VALU_DEP_3)
	v_xor_b32_e32 v17, v17, v21
	v_dual_lshrrev_b32 v21, 29, v4 :: v_dual_bitop2_b32 v16, v16, v21 bitop3:0x14
	s_delay_alu instid0(VALU_DEP_3) | instskip(SKIP_1) | instid1(VALU_DEP_2)
	v_dual_lshrrev_b32 v4, 30, v4 :: v_dual_sub_nc_u32 v19, 31, v22
	v_lshlrev_b32_e32 v23, 23, v22
	v_alignbit_b32 v20, v20, v17, v19
	s_delay_alu instid0(VALU_DEP_4) | instskip(SKIP_1) | instid1(VALU_DEP_2)
	v_alignbit_b32 v16, v17, v16, v19
	v_lshlrev_b32_e32 v17, 31, v21
	v_alignbit_b32 v19, v20, v16, 9
	s_delay_alu instid0(VALU_DEP_2) | instskip(SKIP_1) | instid1(VALU_DEP_3)
	v_dual_lshrrev_b32 v20, 9, v20 :: v_dual_bitop2_b32 v21, 0.5, v17 bitop3:0x54
	v_or_b32_e32 v17, 0x33000000, v17
	v_clz_i32_u32_e32 v24, v19
	s_delay_alu instid0(VALU_DEP_3) | instskip(NEXT) | instid1(VALU_DEP_2)
	v_sub_nc_u32_e32 v21, v21, v23
	v_min_u32_e32 v23, 32, v24
	s_delay_alu instid0(VALU_DEP_1) | instskip(NEXT) | instid1(VALU_DEP_3)
	v_add_lshl_u32 v22, v23, v22, 23
	v_or_b32_e32 v20, v20, v21
	v_not_b32_e32 v21, v23
	s_delay_alu instid0(VALU_DEP_2) | instskip(NEXT) | instid1(VALU_DEP_2)
	v_dual_mul_f32 v24, 0x3fc90fda, v20 :: v_dual_sub_nc_u32 v17, v17, v22
	v_alignbit_b32 v16, v19, v16, v21
	s_delay_alu instid0(VALU_DEP_2) | instskip(NEXT) | instid1(VALU_DEP_2)
	v_fma_f32 v19, 0x3fc90fda, v20, -v24
	v_lshrrev_b32_e32 v16, 9, v16
	s_delay_alu instid0(VALU_DEP_2) | instskip(NEXT) | instid1(VALU_DEP_2)
	v_fmac_f32_e32 v19, 0x33a22168, v20
	v_or_b32_e32 v16, v17, v16
	s_delay_alu instid0(VALU_DEP_1) | instskip(NEXT) | instid1(VALU_DEP_1)
	v_fmac_f32_e32 v19, 0x3fc90fda, v16
	v_dual_add_f32 v17, v24, v19 :: v_dual_add_nc_u32 v16, v18, v4
.LBB116_47:                             ;   in Loop: Header=BB116_41 Depth=1
	s_and_not1_saveexec_b32 s0, s12
; %bb.48:                               ;   in Loop: Header=BB116_41 Depth=1
	v_mul_f32_e64 v4, 0x3f22f983, |v14|
	s_delay_alu instid0(VALU_DEP_1) | instskip(NEXT) | instid1(VALU_DEP_1)
	v_rndne_f32_e32 v4, v4
	v_fma_f32 v17, 0xbfc90fda, v4, |v14|
	v_cvt_i32_f32_e32 v16, v4
	s_delay_alu instid0(VALU_DEP_2) | instskip(NEXT) | instid1(VALU_DEP_1)
	v_fmac_f32_e32 v17, 0xb3a22168, v4
	v_fmac_f32_e32 v17, 0xa7c234c4, v4
; %bb.49:                               ;   in Loop: Header=BB116_41 Depth=1
	s_or_b32 exec_lo, exec_lo, s0
	v_alignbit_b32 v4, v9, v8, 16
                                        ; implicit-def: $vgpr21
                                        ; implicit-def: $vgpr19
	s_mov_b32 s1, exec_lo
	s_delay_alu instid0(VALU_DEP_1) | instskip(NEXT) | instid1(VALU_DEP_1)
	v_and_b32_e32 v8, 0xffff0000, v4
	v_and_b32_e32 v18, 0x7fffffff, v8
	v_cmpx_ngt_f32_e64 0x48000000, |v8|
	s_xor_b32 s12, exec_lo, s1
	s_cbranch_execz .LBB116_51
; %bb.50:                               ;   in Loop: Header=BB116_41 Depth=1
	s_delay_alu instid0(VALU_DEP_2) | instskip(SKIP_1) | instid1(VALU_DEP_2)
	v_and_or_b32 v4, v18, s8, 0x800000
	v_dual_lshrrev_b32 v19, 23, v18 :: v_dual_mov_b32 v31, v5
	v_mul_u64_e32 v[20:21], s[4:5], v[4:5]
	v_mov_b32_e32 v23, v5
	s_delay_alu instid0(VALU_DEP_3) | instskip(NEXT) | instid1(VALU_DEP_1)
	v_add_nc_u32_e32 v19, 0xffffff88, v19
	v_cmp_lt_u32_e32 vcc_lo, 63, v19
	s_delay_alu instid0(VALU_DEP_4) | instskip(SKIP_1) | instid1(VALU_DEP_2)
	v_mov_b32_e32 v22, v21
	v_cndmask_b32_e64 v21, 0, 0xffffffc0, vcc_lo
	v_mad_nc_u64_u32 v[22:23], 0x3c439041, v4, v[22:23]
	s_delay_alu instid0(VALU_DEP_1) | instskip(NEXT) | instid1(VALU_DEP_1)
	v_dual_mov_b32 v25, v5 :: v_dual_mov_b32 v24, v23
	v_mad_nc_u64_u32 v[24:25], 0xdb629599, v4, v[24:25]
	s_delay_alu instid0(VALU_DEP_1) | instskip(NEXT) | instid1(VALU_DEP_2)
	v_dual_mov_b32 v27, v5 :: v_dual_mov_b32 v26, v25
	v_cndmask_b32_e32 v20, v24, v20, vcc_lo
	s_delay_alu instid0(VALU_DEP_2) | instskip(NEXT) | instid1(VALU_DEP_1)
	v_mad_nc_u64_u32 v[26:27], 0xf534ddc0, v4, v[26:27]
	v_dual_mov_b32 v29, v5 :: v_dual_mov_b32 v28, v27
	s_delay_alu instid0(VALU_DEP_1) | instskip(NEXT) | instid1(VALU_DEP_1)
	v_mad_nc_u64_u32 v[28:29], 0xfc2757d1, v4, v[28:29]
	v_dual_mov_b32 v30, v29 :: v_dual_cndmask_b32 v27, v28, v24
	s_delay_alu instid0(VALU_DEP_1) | instskip(SKIP_1) | instid1(VALU_DEP_2)
	v_mad_nc_u64_u32 v[30:31], 0x4e441529, v4, v[30:31]
	v_add_nc_u32_e32 v19, v21, v19
	v_dual_mov_b32 v33, v5 :: v_dual_mov_b32 v32, v31
	s_delay_alu instid0(VALU_DEP_2) | instskip(NEXT) | instid1(VALU_DEP_2)
	v_cmp_lt_u32_e64 s0, 31, v19
	v_mad_nc_u64_u32 v[32:33], 0xa2f9836e, v4, v[32:33]
	s_delay_alu instid0(VALU_DEP_2) | instskip(NEXT) | instid1(VALU_DEP_1)
	v_cndmask_b32_e64 v21, 0, 0xffffffe0, s0
	v_dual_cndmask_b32 v21, v30, v26 :: v_dual_add_nc_u32 v4, v21, v19
	s_delay_alu instid0(VALU_DEP_3) | instskip(NEXT) | instid1(VALU_DEP_2)
	v_cndmask_b32_e32 v23, v32, v28, vcc_lo
	v_cmp_lt_u32_e64 s1, 31, v4
	v_cndmask_b32_e32 v25, v33, v30, vcc_lo
	s_delay_alu instid0(VALU_DEP_2) | instskip(NEXT) | instid1(VALU_DEP_1)
	v_cndmask_b32_e64 v19, 0, 0xffffffe0, s1
	v_dual_cndmask_b32 v19, v26, v22 :: v_dual_add_nc_u32 v4, v19, v4
	s_delay_alu instid0(VALU_DEP_3) | instskip(NEXT) | instid1(VALU_DEP_2)
	v_dual_cndmask_b32 v22, v23, v21, s0 :: v_dual_cndmask_b32 v23, v25, v23, s0
	v_dual_cndmask_b32 v21, v21, v27, s0 :: v_dual_sub_nc_u32 v25, 32, v4
	s_delay_alu instid0(VALU_DEP_3) | instskip(SKIP_1) | instid1(VALU_DEP_3)
	v_cndmask_b32_e64 v26, v27, v19, s0
	v_cmp_eq_u32_e32 vcc_lo, 0, v4
	v_dual_cndmask_b32 v23, v23, v22, s1 :: v_dual_cndmask_b32 v22, v22, v21, s1
	s_delay_alu instid0(VALU_DEP_1) | instskip(NEXT) | instid1(VALU_DEP_1)
	v_alignbit_b32 v27, v23, v22, v25
	v_dual_cndmask_b32 v21, v21, v26, s1 :: v_dual_cndmask_b32 v4, v27, v23, vcc_lo
	s_delay_alu instid0(VALU_DEP_1) | instskip(NEXT) | instid1(VALU_DEP_1)
	v_alignbit_b32 v24, v22, v21, v25
	v_dual_cndmask_b32 v19, v19, v20, s0 :: v_dual_cndmask_b32 v20, v24, v22, vcc_lo
	s_delay_alu instid0(VALU_DEP_3) | instskip(NEXT) | instid1(VALU_DEP_2)
	v_bfe_u32 v22, v4, 29, 1
	v_cndmask_b32_e64 v19, v26, v19, s1
	s_delay_alu instid0(VALU_DEP_3) | instskip(NEXT) | instid1(VALU_DEP_3)
	v_alignbit_b32 v23, v4, v20, 30
	v_sub_nc_u32_e32 v24, 0, v22
	s_delay_alu instid0(VALU_DEP_3) | instskip(NEXT) | instid1(VALU_DEP_1)
	v_alignbit_b32 v25, v21, v19, v25
	v_dual_cndmask_b32 v21, v25, v21, vcc_lo :: v_dual_bitop2_b32 v23, v23, v24 bitop3:0x14
	s_delay_alu instid0(VALU_DEP_1) | instskip(NEXT) | instid1(VALU_DEP_2)
	v_clz_i32_u32_e32 v25, v23
	v_alignbit_b32 v20, v20, v21, 30
	v_alignbit_b32 v19, v21, v19, 30
	s_delay_alu instid0(VALU_DEP_3) | instskip(NEXT) | instid1(VALU_DEP_3)
	v_min_u32_e32 v25, 32, v25
	v_xor_b32_e32 v20, v20, v24
	s_delay_alu instid0(VALU_DEP_3) | instskip(SKIP_1) | instid1(VALU_DEP_4)
	v_xor_b32_e32 v19, v19, v24
	v_dual_lshrrev_b32 v24, 29, v4 :: v_dual_lshrrev_b32 v4, 30, v4
	v_dual_sub_nc_u32 v21, 31, v25 :: v_dual_lshlrev_b32 v26, 23, v25
	s_delay_alu instid0(VALU_DEP_1) | instskip(NEXT) | instid1(VALU_DEP_4)
	v_alignbit_b32 v23, v23, v20, v21
	v_alignbit_b32 v19, v20, v19, v21
	s_delay_alu instid0(VALU_DEP_4) | instskip(NEXT) | instid1(VALU_DEP_2)
	v_lshlrev_b32_e32 v20, 31, v24
	v_alignbit_b32 v21, v23, v19, 9
	s_delay_alu instid0(VALU_DEP_2) | instskip(SKIP_1) | instid1(VALU_DEP_3)
	v_dual_lshrrev_b32 v23, 9, v23 :: v_dual_bitop2_b32 v24, 0.5, v20 bitop3:0x54
	v_or_b32_e32 v20, 0x33000000, v20
	v_clz_i32_u32_e32 v27, v21
	s_delay_alu instid0(VALU_DEP_3) | instskip(NEXT) | instid1(VALU_DEP_2)
	v_sub_nc_u32_e32 v24, v24, v26
	v_min_u32_e32 v26, 32, v27
	s_delay_alu instid0(VALU_DEP_1) | instskip(NEXT) | instid1(VALU_DEP_3)
	v_add_lshl_u32 v25, v26, v25, 23
	v_or_b32_e32 v23, v23, v24
	v_not_b32_e32 v24, v26
	s_delay_alu instid0(VALU_DEP_2) | instskip(NEXT) | instid1(VALU_DEP_2)
	v_dual_mul_f32 v27, 0x3fc90fda, v23 :: v_dual_sub_nc_u32 v20, v20, v25
	v_alignbit_b32 v19, v21, v19, v24
	s_delay_alu instid0(VALU_DEP_2) | instskip(NEXT) | instid1(VALU_DEP_2)
	v_fma_f32 v21, 0x3fc90fda, v23, -v27
	v_lshrrev_b32_e32 v19, 9, v19
	s_delay_alu instid0(VALU_DEP_2) | instskip(NEXT) | instid1(VALU_DEP_2)
	v_fmac_f32_e32 v21, 0x33a22168, v23
	v_or_b32_e32 v19, v20, v19
	s_delay_alu instid0(VALU_DEP_1) | instskip(NEXT) | instid1(VALU_DEP_1)
	v_fmac_f32_e32 v21, 0x3fc90fda, v19
	v_dual_add_f32 v19, v27, v21 :: v_dual_add_nc_u32 v21, v22, v4
.LBB116_51:                             ;   in Loop: Header=BB116_41 Depth=1
	s_and_not1_saveexec_b32 s0, s12
; %bb.52:                               ;   in Loop: Header=BB116_41 Depth=1
	v_mul_f32_e64 v4, 0x3f22f983, |v8|
	s_delay_alu instid0(VALU_DEP_1) | instskip(NEXT) | instid1(VALU_DEP_1)
	v_rndne_f32_e32 v4, v4
	v_fma_f32 v19, 0xbfc90fda, v4, |v8|
	v_cvt_i32_f32_e32 v21, v4
	s_delay_alu instid0(VALU_DEP_2) | instskip(NEXT) | instid1(VALU_DEP_1)
	v_fmac_f32_e32 v19, 0xb3a22168, v4
	v_fmac_f32_e32 v19, 0xa7c234c4, v4
; %bb.53:                               ;   in Loop: Header=BB116_41 Depth=1
	s_or_b32 exec_lo, exec_lo, s0
	v_and_b32_e32 v9, 0xffff0000, v9
                                        ; implicit-def: $vgpr22
                                        ; implicit-def: $vgpr4
	s_mov_b32 s1, exec_lo
	s_delay_alu instid0(VALU_DEP_1)
	v_and_b32_e32 v20, 0x7fffffff, v9
	v_cmpx_ngt_f32_e64 0x48000000, |v9|
	s_xor_b32 s12, exec_lo, s1
	s_cbranch_execz .LBB116_55
; %bb.54:                               ;   in Loop: Header=BB116_41 Depth=1
	s_delay_alu instid0(VALU_DEP_2) | instskip(SKIP_1) | instid1(VALU_DEP_2)
	v_and_or_b32 v4, v20, s8, 0x800000
	v_mov_b32_e32 v33, v5
	v_mul_u64_e32 v[22:23], s[4:5], v[4:5]
	s_delay_alu instid0(VALU_DEP_1) | instskip(SKIP_1) | instid1(VALU_DEP_2)
	v_dual_mov_b32 v25, v5 :: v_dual_mov_b32 v24, v23
	v_lshrrev_b32_e32 v23, 23, v20
	v_mad_nc_u64_u32 v[24:25], 0x3c439041, v4, v[24:25]
	v_mov_b32_e32 v27, v5
	s_delay_alu instid0(VALU_DEP_3) | instskip(NEXT) | instid1(VALU_DEP_1)
	v_add_nc_u32_e32 v23, 0xffffff88, v23
	v_cmp_lt_u32_e32 vcc_lo, 63, v23
	s_delay_alu instid0(VALU_DEP_4) | instskip(SKIP_1) | instid1(VALU_DEP_2)
	v_mov_b32_e32 v26, v25
	v_cndmask_b32_e64 v25, 0, 0xffffffc0, vcc_lo
	v_mad_nc_u64_u32 v[26:27], 0xdb629599, v4, v[26:27]
	s_delay_alu instid0(VALU_DEP_1) | instskip(NEXT) | instid1(VALU_DEP_2)
	v_dual_mov_b32 v29, v5 :: v_dual_mov_b32 v28, v27
	v_cndmask_b32_e32 v22, v26, v22, vcc_lo
	s_delay_alu instid0(VALU_DEP_2) | instskip(NEXT) | instid1(VALU_DEP_1)
	v_mad_nc_u64_u32 v[28:29], 0xf534ddc0, v4, v[28:29]
	v_dual_mov_b32 v31, v5 :: v_dual_mov_b32 v30, v29
	s_delay_alu instid0(VALU_DEP_1) | instskip(NEXT) | instid1(VALU_DEP_1)
	v_mad_nc_u64_u32 v[30:31], 0xfc2757d1, v4, v[30:31]
	v_mov_b32_e32 v32, v31
	s_delay_alu instid0(VALU_DEP_1) | instskip(SKIP_2) | instid1(VALU_DEP_2)
	v_mad_nc_u64_u32 v[32:33], 0x4e441529, v4, v[32:33]
	v_add_nc_u32_e32 v23, v25, v23
	v_mov_b32_e32 v35, v5
	v_cmp_lt_u32_e64 s0, 31, v23
	s_delay_alu instid0(VALU_DEP_4) | instskip(NEXT) | instid1(VALU_DEP_2)
	v_mov_b32_e32 v34, v33
	v_cndmask_b32_e64 v25, 0, 0xffffffe0, s0
	s_delay_alu instid0(VALU_DEP_2) | instskip(NEXT) | instid1(VALU_DEP_2)
	v_mad_nc_u64_u32 v[34:35], 0xa2f9836e, v4, v[34:35]
	v_dual_cndmask_b32 v25, v32, v28 :: v_dual_add_nc_u32 v4, v25, v23
	s_delay_alu instid0(VALU_DEP_2) | instskip(NEXT) | instid1(VALU_DEP_2)
	v_cndmask_b32_e32 v27, v34, v30, vcc_lo
	v_cmp_lt_u32_e64 s1, 31, v4
	s_delay_alu instid0(VALU_DEP_4) | instskip(NEXT) | instid1(VALU_DEP_2)
	v_dual_cndmask_b32 v29, v35, v32 :: v_dual_cndmask_b32 v30, v30, v26
	v_cndmask_b32_e64 v23, 0, 0xffffffe0, s1
	s_delay_alu instid0(VALU_DEP_1) | instskip(SKIP_1) | instid1(VALU_DEP_4)
	v_add_nc_u32_e32 v4, v23, v4
	v_dual_cndmask_b32 v23, v28, v24, vcc_lo :: v_dual_cndmask_b32 v24, v27, v25, s0
	v_cndmask_b32_e64 v27, v29, v27, s0
	s_delay_alu instid0(VALU_DEP_3) | instskip(NEXT) | instid1(VALU_DEP_3)
	v_dual_cndmask_b32 v25, v25, v30, s0 :: v_dual_sub_nc_u32 v28, 32, v4
	v_cndmask_b32_e64 v29, v30, v23, s0
	v_cmp_eq_u32_e32 vcc_lo, 0, v4
	s_delay_alu instid0(VALU_DEP_3) | instskip(NEXT) | instid1(VALU_DEP_1)
	v_dual_cndmask_b32 v27, v27, v24, s1 :: v_dual_cndmask_b32 v24, v24, v25, s1
	v_alignbit_b32 v30, v27, v24, v28
	s_delay_alu instid0(VALU_DEP_1) | instskip(NEXT) | instid1(VALU_DEP_1)
	v_dual_cndmask_b32 v25, v25, v29, s1 :: v_dual_cndmask_b32 v4, v30, v27, vcc_lo
	v_alignbit_b32 v26, v24, v25, v28
	s_delay_alu instid0(VALU_DEP_1) | instskip(NEXT) | instid1(VALU_DEP_3)
	v_dual_cndmask_b32 v22, v23, v22, s0 :: v_dual_cndmask_b32 v23, v26, v24, vcc_lo
	v_bfe_u32 v24, v4, 29, 1
	s_delay_alu instid0(VALU_DEP_2) | instskip(NEXT) | instid1(VALU_DEP_3)
	v_cndmask_b32_e64 v22, v29, v22, s1
	v_alignbit_b32 v26, v4, v23, 30
	s_delay_alu instid0(VALU_DEP_3) | instskip(NEXT) | instid1(VALU_DEP_3)
	v_sub_nc_u32_e32 v27, 0, v24
	v_alignbit_b32 v28, v25, v22, v28
	s_delay_alu instid0(VALU_DEP_1) | instskip(NEXT) | instid1(VALU_DEP_1)
	v_dual_cndmask_b32 v25, v28, v25, vcc_lo :: v_dual_bitop2_b32 v26, v26, v27 bitop3:0x14
	v_clz_i32_u32_e32 v28, v26
	s_delay_alu instid0(VALU_DEP_2) | instskip(SKIP_1) | instid1(VALU_DEP_3)
	v_alignbit_b32 v23, v23, v25, 30
	v_alignbit_b32 v22, v25, v22, 30
	v_min_u32_e32 v28, 32, v28
	s_delay_alu instid0(VALU_DEP_3) | instskip(NEXT) | instid1(VALU_DEP_3)
	v_xor_b32_e32 v23, v23, v27
	v_dual_lshrrev_b32 v27, 29, v4 :: v_dual_bitop2_b32 v22, v22, v27 bitop3:0x14
	s_delay_alu instid0(VALU_DEP_3) | instskip(NEXT) | instid1(VALU_DEP_1)
	v_dual_sub_nc_u32 v25, 31, v28 :: v_dual_lshlrev_b32 v29, 23, v28
	v_alignbit_b32 v26, v26, v23, v25
	s_delay_alu instid0(VALU_DEP_3) | instskip(NEXT) | instid1(VALU_DEP_4)
	v_alignbit_b32 v22, v23, v22, v25
	v_lshlrev_b32_e32 v23, 31, v27
	s_delay_alu instid0(VALU_DEP_2) | instskip(NEXT) | instid1(VALU_DEP_2)
	v_alignbit_b32 v25, v26, v22, 9
	v_dual_lshrrev_b32 v26, 9, v26 :: v_dual_bitop2_b32 v27, 0.5, v23 bitop3:0x54
	v_or_b32_e32 v23, 0x33000000, v23
	s_delay_alu instid0(VALU_DEP_3) | instskip(NEXT) | instid1(VALU_DEP_3)
	v_clz_i32_u32_e32 v30, v25
	v_sub_nc_u32_e32 v27, v27, v29
	s_delay_alu instid0(VALU_DEP_2) | instskip(NEXT) | instid1(VALU_DEP_1)
	v_min_u32_e32 v29, 32, v30
	v_add_lshl_u32 v28, v29, v28, 23
	s_delay_alu instid0(VALU_DEP_3) | instskip(SKIP_1) | instid1(VALU_DEP_2)
	v_or_b32_e32 v26, v26, v27
	v_not_b32_e32 v27, v29
	v_dual_mul_f32 v30, 0x3fc90fda, v26 :: v_dual_sub_nc_u32 v23, v23, v28
	s_delay_alu instid0(VALU_DEP_2) | instskip(NEXT) | instid1(VALU_DEP_2)
	v_alignbit_b32 v22, v25, v22, v27
	v_fma_f32 v25, 0x3fc90fda, v26, -v30
	s_delay_alu instid0(VALU_DEP_2) | instskip(NEXT) | instid1(VALU_DEP_2)
	v_lshrrev_b32_e32 v22, 9, v22
	v_fmac_f32_e32 v25, 0x33a22168, v26
	s_delay_alu instid0(VALU_DEP_2) | instskip(NEXT) | instid1(VALU_DEP_1)
	v_or_b32_e32 v22, v23, v22
	v_dual_fmac_f32 v25, 0x3fc90fda, v22 :: v_dual_lshrrev_b32 v22, 30, v4
	s_delay_alu instid0(VALU_DEP_1)
	v_dual_add_nc_u32 v22, v24, v22 :: v_dual_add_f32 v4, v30, v25
.LBB116_55:                             ;   in Loop: Header=BB116_41 Depth=1
	s_and_not1_saveexec_b32 s0, s12
	s_cbranch_execz .LBB116_40
; %bb.56:                               ;   in Loop: Header=BB116_41 Depth=1
	v_mul_f32_e64 v4, 0x3f22f983, |v9|
	s_delay_alu instid0(VALU_DEP_1) | instskip(NEXT) | instid1(VALU_DEP_1)
	v_rndne_f32_e32 v22, v4
	v_fma_f32 v4, 0xbfc90fda, v22, |v9|
	s_delay_alu instid0(VALU_DEP_1) | instskip(NEXT) | instid1(VALU_DEP_1)
	v_fmac_f32_e32 v4, 0xb3a22168, v22
	v_fmac_f32_e32 v4, 0xa7c234c4, v22
	v_cvt_i32_f32_e32 v22, v22
	s_branch .LBB116_40
.LBB116_57:
	s_endpgm
	.section	.rodata,"a",@progbits
	.p2align	6, 0x0
	.amdhsa_kernel _ZN2at6native12_GLOBAL__N_125multi_tensor_apply_kernelINS1_18TensorListMetadataILi1EEENS1_14UnaryOpFunctorIN3c108BFloat16ELi1ELi1ELi0EEEJNS0_3SinIfEEEEEvT_T0_DpT1_
		.amdhsa_group_segment_fixed_size 0
		.amdhsa_private_segment_fixed_size 0
		.amdhsa_kernarg_size 3632
		.amdhsa_user_sgpr_count 2
		.amdhsa_user_sgpr_dispatch_ptr 0
		.amdhsa_user_sgpr_queue_ptr 0
		.amdhsa_user_sgpr_kernarg_segment_ptr 1
		.amdhsa_user_sgpr_dispatch_id 0
		.amdhsa_user_sgpr_kernarg_preload_length 0
		.amdhsa_user_sgpr_kernarg_preload_offset 0
		.amdhsa_user_sgpr_private_segment_size 0
		.amdhsa_wavefront_size32 1
		.amdhsa_uses_dynamic_stack 0
		.amdhsa_enable_private_segment 0
		.amdhsa_system_sgpr_workgroup_id_x 1
		.amdhsa_system_sgpr_workgroup_id_y 0
		.amdhsa_system_sgpr_workgroup_id_z 0
		.amdhsa_system_sgpr_workgroup_info 0
		.amdhsa_system_vgpr_workitem_id 0
		.amdhsa_next_free_vgpr 50
		.amdhsa_next_free_sgpr 28
		.amdhsa_named_barrier_count 0
		.amdhsa_reserve_vcc 1
		.amdhsa_float_round_mode_32 0
		.amdhsa_float_round_mode_16_64 0
		.amdhsa_float_denorm_mode_32 3
		.amdhsa_float_denorm_mode_16_64 3
		.amdhsa_fp16_overflow 0
		.amdhsa_memory_ordered 1
		.amdhsa_forward_progress 1
		.amdhsa_inst_pref_size 72
		.amdhsa_round_robin_scheduling 0
		.amdhsa_exception_fp_ieee_invalid_op 0
		.amdhsa_exception_fp_denorm_src 0
		.amdhsa_exception_fp_ieee_div_zero 0
		.amdhsa_exception_fp_ieee_overflow 0
		.amdhsa_exception_fp_ieee_underflow 0
		.amdhsa_exception_fp_ieee_inexact 0
		.amdhsa_exception_int_div_zero 0
	.end_amdhsa_kernel
	.section	.text._ZN2at6native12_GLOBAL__N_125multi_tensor_apply_kernelINS1_18TensorListMetadataILi1EEENS1_14UnaryOpFunctorIN3c108BFloat16ELi1ELi1ELi0EEEJNS0_3SinIfEEEEEvT_T0_DpT1_,"axG",@progbits,_ZN2at6native12_GLOBAL__N_125multi_tensor_apply_kernelINS1_18TensorListMetadataILi1EEENS1_14UnaryOpFunctorIN3c108BFloat16ELi1ELi1ELi0EEEJNS0_3SinIfEEEEEvT_T0_DpT1_,comdat
.Lfunc_end116:
	.size	_ZN2at6native12_GLOBAL__N_125multi_tensor_apply_kernelINS1_18TensorListMetadataILi1EEENS1_14UnaryOpFunctorIN3c108BFloat16ELi1ELi1ELi0EEEJNS0_3SinIfEEEEEvT_T0_DpT1_, .Lfunc_end116-_ZN2at6native12_GLOBAL__N_125multi_tensor_apply_kernelINS1_18TensorListMetadataILi1EEENS1_14UnaryOpFunctorIN3c108BFloat16ELi1ELi1ELi0EEEJNS0_3SinIfEEEEEvT_T0_DpT1_
                                        ; -- End function
	.set _ZN2at6native12_GLOBAL__N_125multi_tensor_apply_kernelINS1_18TensorListMetadataILi1EEENS1_14UnaryOpFunctorIN3c108BFloat16ELi1ELi1ELi0EEEJNS0_3SinIfEEEEEvT_T0_DpT1_.num_vgpr, 50
	.set _ZN2at6native12_GLOBAL__N_125multi_tensor_apply_kernelINS1_18TensorListMetadataILi1EEENS1_14UnaryOpFunctorIN3c108BFloat16ELi1ELi1ELi0EEEJNS0_3SinIfEEEEEvT_T0_DpT1_.num_agpr, 0
	.set _ZN2at6native12_GLOBAL__N_125multi_tensor_apply_kernelINS1_18TensorListMetadataILi1EEENS1_14UnaryOpFunctorIN3c108BFloat16ELi1ELi1ELi0EEEJNS0_3SinIfEEEEEvT_T0_DpT1_.numbered_sgpr, 28
	.set _ZN2at6native12_GLOBAL__N_125multi_tensor_apply_kernelINS1_18TensorListMetadataILi1EEENS1_14UnaryOpFunctorIN3c108BFloat16ELi1ELi1ELi0EEEJNS0_3SinIfEEEEEvT_T0_DpT1_.num_named_barrier, 0
	.set _ZN2at6native12_GLOBAL__N_125multi_tensor_apply_kernelINS1_18TensorListMetadataILi1EEENS1_14UnaryOpFunctorIN3c108BFloat16ELi1ELi1ELi0EEEJNS0_3SinIfEEEEEvT_T0_DpT1_.private_seg_size, 0
	.set _ZN2at6native12_GLOBAL__N_125multi_tensor_apply_kernelINS1_18TensorListMetadataILi1EEENS1_14UnaryOpFunctorIN3c108BFloat16ELi1ELi1ELi0EEEJNS0_3SinIfEEEEEvT_T0_DpT1_.uses_vcc, 1
	.set _ZN2at6native12_GLOBAL__N_125multi_tensor_apply_kernelINS1_18TensorListMetadataILi1EEENS1_14UnaryOpFunctorIN3c108BFloat16ELi1ELi1ELi0EEEJNS0_3SinIfEEEEEvT_T0_DpT1_.uses_flat_scratch, 0
	.set _ZN2at6native12_GLOBAL__N_125multi_tensor_apply_kernelINS1_18TensorListMetadataILi1EEENS1_14UnaryOpFunctorIN3c108BFloat16ELi1ELi1ELi0EEEJNS0_3SinIfEEEEEvT_T0_DpT1_.has_dyn_sized_stack, 0
	.set _ZN2at6native12_GLOBAL__N_125multi_tensor_apply_kernelINS1_18TensorListMetadataILi1EEENS1_14UnaryOpFunctorIN3c108BFloat16ELi1ELi1ELi0EEEJNS0_3SinIfEEEEEvT_T0_DpT1_.has_recursion, 0
	.set _ZN2at6native12_GLOBAL__N_125multi_tensor_apply_kernelINS1_18TensorListMetadataILi1EEENS1_14UnaryOpFunctorIN3c108BFloat16ELi1ELi1ELi0EEEJNS0_3SinIfEEEEEvT_T0_DpT1_.has_indirect_call, 0
	.section	.AMDGPU.csdata,"",@progbits
; Kernel info:
; codeLenInByte = 9144
; TotalNumSgprs: 30
; NumVgprs: 50
; ScratchSize: 0
; MemoryBound: 0
; FloatMode: 240
; IeeeMode: 1
; LDSByteSize: 0 bytes/workgroup (compile time only)
; SGPRBlocks: 0
; VGPRBlocks: 3
; NumSGPRsForWavesPerEU: 30
; NumVGPRsForWavesPerEU: 50
; NamedBarCnt: 0
; Occupancy: 16
; WaveLimiterHint : 0
; COMPUTE_PGM_RSRC2:SCRATCH_EN: 0
; COMPUTE_PGM_RSRC2:USER_SGPR: 2
; COMPUTE_PGM_RSRC2:TRAP_HANDLER: 0
; COMPUTE_PGM_RSRC2:TGID_X_EN: 1
; COMPUTE_PGM_RSRC2:TGID_Y_EN: 0
; COMPUTE_PGM_RSRC2:TGID_Z_EN: 0
; COMPUTE_PGM_RSRC2:TIDIG_COMP_CNT: 0
	.section	.text._ZN2at6native12_GLOBAL__N_125multi_tensor_apply_kernelINS1_18TensorListMetadataILi2EEENS1_14UnaryOpFunctorIdLi2ELi1ELi1EEEJNS0_4SinhIdEEEEEvT_T0_DpT1_,"axG",@progbits,_ZN2at6native12_GLOBAL__N_125multi_tensor_apply_kernelINS1_18TensorListMetadataILi2EEENS1_14UnaryOpFunctorIdLi2ELi1ELi1EEEJNS0_4SinhIdEEEEEvT_T0_DpT1_,comdat
	.globl	_ZN2at6native12_GLOBAL__N_125multi_tensor_apply_kernelINS1_18TensorListMetadataILi2EEENS1_14UnaryOpFunctorIdLi2ELi1ELi1EEEJNS0_4SinhIdEEEEEvT_T0_DpT1_ ; -- Begin function _ZN2at6native12_GLOBAL__N_125multi_tensor_apply_kernelINS1_18TensorListMetadataILi2EEENS1_14UnaryOpFunctorIdLi2ELi1ELi1EEEJNS0_4SinhIdEEEEEvT_T0_DpT1_
	.p2align	8
	.type	_ZN2at6native12_GLOBAL__N_125multi_tensor_apply_kernelINS1_18TensorListMetadataILi2EEENS1_14UnaryOpFunctorIdLi2ELi1ELi1EEEJNS0_4SinhIdEEEEEvT_T0_DpT1_,@function
_ZN2at6native12_GLOBAL__N_125multi_tensor_apply_kernelINS1_18TensorListMetadataILi2EEENS1_14UnaryOpFunctorIdLi2ELi1ELi1EEEJNS0_4SinhIdEEEEEvT_T0_DpT1_: ; @_ZN2at6native12_GLOBAL__N_125multi_tensor_apply_kernelINS1_18TensorListMetadataILi2EEENS1_14UnaryOpFunctorIdLi2ELi1ELi1EEEJNS0_4SinhIdEEEEEvT_T0_DpT1_
; %bb.0:
	s_bfe_u32 s2, ttmp6, 0x4000c
	s_and_b32 s3, ttmp6, 15
	s_add_co_i32 s2, s2, 1
	s_getreg_b32 s4, hwreg(HW_REG_IB_STS2, 6, 4)
	s_mul_i32 s2, ttmp9, s2
	s_mov_b32 s9, 0
	s_add_co_i32 s3, s3, s2
	s_cmp_eq_u32 s4, 0
	s_mov_b32 s15, s9
	s_cselect_b32 s8, ttmp9, s3
	s_load_u8 s11, s[0:1], s8 offset:0x600
	s_add_nc_u64 s[2:3], s[0:1], s[8:9]
	s_mul_u64 s[4:5], s[8:9], 3
	s_delay_alu instid0(SALU_CYCLE_1)
	s_add_nc_u64 s[4:5], s[2:3], s[4:5]
	s_load_b32 s10, s[4:5], 0x740
	s_wait_kmcnt 0x0
	s_clause 0x2
	s_load_b64 s[2:3], s[0:1], s11 offset:0x0 scale_offset
	s_load_b64 s[6:7], s[0:1], s11 offset:0x200 scale_offset
	s_load_b64 s[12:13], s[0:1], s11 offset:0x400 scale_offset
	s_wait_xcnt 0x0
	s_ashr_i32 s11, s10, 31
	s_delay_alu instid0(SALU_CYCLE_1)
	s_lshl_b64 s[4:5], s[10:11], 19
	s_wait_kmcnt 0x0
	s_and_b64 s[18:19], s[6:7], 31
	s_add_nc_u64 s[16:17], s[2:3], s[4:5]
	s_and_b32 s14, s12, 3
	s_and_b32 s8, s16, 31
	s_or_b64 s[14:15], s[18:19], s[14:15]
	s_lshl_b64 s[10:11], s[10:11], 16
	s_or_b64 s[14:15], s[14:15], s[8:9]
	s_sub_nc_u64 s[8:9], s[12:13], s[10:11]
	s_cmp_eq_u64 s[14:15], 0
	s_mov_b32 s10, -1
	s_cbranch_scc0 .LBB117_5
; %bb.1:
	v_min_i64 v[10:11], 0x10000, s[8:9]
	v_dual_mov_b32 v3, 0 :: v_dual_lshlrev_b32 v2, 2, v0
	s_mov_b32 s18, exec_lo
	s_delay_alu instid0(VALU_DEP_1)
	v_cmpx_lt_i64_e64 v[2:3], v[10:11]
	s_cbranch_execz .LBB117_4
; %bb.2:
	s_load_b32 s10, s[0:1], 0xc5c
	v_dual_mov_b32 v1, v3 :: v_dual_lshlrev_b32 v2, 5, v0
	v_mov_b64_e32 v[12:13], 0x3e928af3fca7ab0c
	s_mov_b32 s11, 0
	s_mov_b64 s[12:13], 0xbfe62e42fefa39ef
	s_delay_alu instid0(VALU_DEP_2)
	v_mov_b64_e32 v[16:17], v[0:1]
	v_add_nc_u64_e32 v[14:15], s[4:5], v[2:3]
	s_mov_b64 s[14:15], 0x408633ce8fb9f87e
	s_mov_b32 s17, s11
	s_mov_b32 s19, s11
                                        ; implicit-def: $vgpr2_vgpr3
                                        ; implicit-def: $vgpr2_vgpr3
	;; [unrolled: 1-line block ×8, first 2 shown]
	s_wait_kmcnt 0x0
	s_and_b32 s10, s10, 0xffff
	s_delay_alu instid0(SALU_CYCLE_1)
	s_lshl_b32 s16, s10, 5
.LBB117_3:                              ; =>This Inner Loop Header: Depth=1
	v_add_nc_u64_e32 v[18:19], s[2:3], v[14:15]
	v_add_nc_u64_e32 v[16:17], s[10:11], v[16:17]
	s_clause 0x1
	global_load_b128 v[2:5], v[18:19], off offset:16
	global_load_b128 v[6:9], v[18:19], off
	s_wait_loadcnt 0x0
	s_wait_xcnt 0x0
	v_add_f64_e64 v[18:19], |v[6:7]|, s[12:13]
	v_and_b32_e32 v1, 0x7fffffff, v7
	v_cmp_nge_f64_e64 vcc_lo, |v[6:7]|, s[14:15]
	s_delay_alu instid0(VALU_DEP_3) | instskip(NEXT) | instid1(VALU_DEP_1)
	v_add_f64_e64 v[20:21], v[18:19], -|v[6:7]|
	v_add_f64_e64 v[22:23], v[20:21], -v[18:19]
	v_add_f64_e32 v[20:21], 0x3fe62e42fefa39ef, v[20:21]
	s_delay_alu instid0(VALU_DEP_2) | instskip(NEXT) | instid1(VALU_DEP_1)
	v_add_f64_e64 v[22:23], |v[6:7]|, v[22:23]
	v_add_f64_e64 v[20:21], v[22:23], -v[20:21]
	s_delay_alu instid0(VALU_DEP_1) | instskip(NEXT) | instid1(VALU_DEP_1)
	v_add_f64_e32 v[20:21], 0xbc7abc9e3b39803f, v[20:21]
	v_add_f64_e32 v[22:23], v[18:19], v[20:21]
	s_delay_alu instid0(VALU_DEP_1) | instskip(NEXT) | instid1(VALU_DEP_1)
	v_add_f64_e64 v[18:19], v[18:19], -v[22:23]
	v_add_f64_e32 v[18:19], v[20:21], v[18:19]
	v_mul_f64_e32 v[20:21], 0x3ff71547652b82fe, v[22:23]
	s_delay_alu instid0(VALU_DEP_1) | instskip(NEXT) | instid1(VALU_DEP_1)
	v_rndne_f64_e32 v[20:21], v[20:21]
	v_fmac_f64_e32 v[22:23], 0xbfe62e42fefa3000, v[20:21]
	s_delay_alu instid0(VALU_DEP_1) | instskip(NEXT) | instid1(VALU_DEP_1)
	v_add_f64_e32 v[24:25], v[18:19], v[22:23]
	v_add_f64_e64 v[22:23], v[22:23], -v[24:25]
	s_delay_alu instid0(VALU_DEP_1) | instskip(SKIP_1) | instid1(VALU_DEP_1)
	v_add_f64_e32 v[18:19], v[18:19], v[22:23]
	v_mul_f64_e32 v[22:23], 0x3d53de6af278e000, v[20:21]
	v_add_f64_e64 v[26:27], v[24:25], -v[22:23]
	s_delay_alu instid0(VALU_DEP_1) | instskip(NEXT) | instid1(VALU_DEP_1)
	v_add_f64_e64 v[24:25], v[24:25], -v[26:27]
	v_add_f64_e64 v[22:23], v[24:25], -v[22:23]
	s_delay_alu instid0(VALU_DEP_1) | instskip(NEXT) | instid1(VALU_DEP_1)
	v_add_f64_e32 v[18:19], v[18:19], v[22:23]
	v_add_f64_e32 v[22:23], v[26:27], v[18:19]
	s_delay_alu instid0(VALU_DEP_1) | instskip(NEXT) | instid1(VALU_DEP_1)
	v_add_f64_e64 v[24:25], v[26:27], -v[22:23]
	v_add_f64_e32 v[18:19], v[18:19], v[24:25]
	v_mul_f64_e32 v[24:25], 0x3ac9cc01f97b57a0, v[20:21]
	s_delay_alu instid0(VALU_DEP_1) | instskip(NEXT) | instid1(VALU_DEP_1)
	v_add_f64_e64 v[26:27], v[22:23], -v[24:25]
	v_add_f64_e64 v[22:23], v[22:23], -v[26:27]
	s_delay_alu instid0(VALU_DEP_1) | instskip(NEXT) | instid1(VALU_DEP_1)
	v_add_f64_e64 v[22:23], v[22:23], -v[24:25]
	v_add_f64_e32 v[18:19], v[18:19], v[22:23]
	s_delay_alu instid0(VALU_DEP_1) | instskip(NEXT) | instid1(VALU_DEP_1)
	v_add_f64_e32 v[22:23], v[26:27], v[18:19]
	v_add_f64_e64 v[24:25], v[26:27], -v[22:23]
	v_mul_f64_e32 v[26:27], v[22:23], v[22:23]
	s_delay_alu instid0(VALU_DEP_2) | instskip(NEXT) | instid1(VALU_DEP_2)
	v_add_f64_e32 v[18:19], v[18:19], v[24:25]
	v_fma_f64 v[28:29], v[22:23], v[22:23], -v[26:27]
	v_fmamk_f64 v[24:25], v[22:23], 0x3e5ade156a5dcb37, v[12:13]
	s_delay_alu instid0(VALU_DEP_1) | instskip(NEXT) | instid1(VALU_DEP_1)
	v_fmaak_f64 v[24:25], v[22:23], v[24:25], 0x3ec71dee623fde64
	v_fmaak_f64 v[24:25], v[22:23], v[24:25], 0x3efa01997c89e6b0
	s_delay_alu instid0(VALU_DEP_1) | instskip(NEXT) | instid1(VALU_DEP_1)
	v_fmaak_f64 v[24:25], v[22:23], v[24:25], 0x3f2a01a014761f6e
	v_fmaak_f64 v[24:25], v[22:23], v[24:25], 0x3f56c16c1852b7b0
	v_add_f64_e32 v[30:31], v[18:19], v[18:19]
	s_delay_alu instid0(VALU_DEP_2) | instskip(NEXT) | instid1(VALU_DEP_1)
	v_fmaak_f64 v[24:25], v[22:23], v[24:25], 0x3f81111111122322
	v_fmaak_f64 v[24:25], v[22:23], v[24:25], 0x3fa55555555502a1
	s_delay_alu instid0(VALU_DEP_1) | instskip(NEXT) | instid1(VALU_DEP_1)
	v_fmaak_f64 v[24:25], v[22:23], v[24:25], 0x3fc5555555555511
	v_fmaak_f64 v[24:25], v[22:23], v[24:25], 0x3fe000000000000b
	v_fmac_f64_e32 v[28:29], v[22:23], v[30:31]
	s_delay_alu instid0(VALU_DEP_1) | instskip(NEXT) | instid1(VALU_DEP_1)
	v_add_f64_e32 v[30:31], v[26:27], v[28:29]
	v_add_f64_e64 v[26:27], v[30:31], -v[26:27]
	s_delay_alu instid0(VALU_DEP_1) | instskip(SKIP_1) | instid1(VALU_DEP_1)
	v_add_f64_e64 v[26:27], v[28:29], -v[26:27]
	v_mul_f64_e32 v[28:29], v[30:31], v[24:25]
	v_fma_f64 v[30:31], v[30:31], v[24:25], -v[28:29]
	s_delay_alu instid0(VALU_DEP_1) | instskip(NEXT) | instid1(VALU_DEP_1)
	v_fmac_f64_e32 v[30:31], v[26:27], v[24:25]
	v_add_f64_e32 v[24:25], v[28:29], v[30:31]
	s_delay_alu instid0(VALU_DEP_1) | instskip(SKIP_1) | instid1(VALU_DEP_2)
	v_add_f64_e64 v[26:27], v[24:25], -v[28:29]
	v_add_f64_e32 v[28:29], v[22:23], v[24:25]
	v_add_f64_e64 v[26:27], v[30:31], -v[26:27]
	s_delay_alu instid0(VALU_DEP_2) | instskip(NEXT) | instid1(VALU_DEP_2)
	v_add_f64_e64 v[22:23], v[28:29], -v[22:23]
	v_add_f64_e32 v[18:19], v[18:19], v[26:27]
	s_delay_alu instid0(VALU_DEP_2) | instskip(NEXT) | instid1(VALU_DEP_1)
	v_add_f64_e64 v[22:23], v[24:25], -v[22:23]
	v_add_f64_e32 v[18:19], v[18:19], v[22:23]
	s_delay_alu instid0(VALU_DEP_1) | instskip(NEXT) | instid1(VALU_DEP_1)
	v_add_f64_e32 v[22:23], v[28:29], v[18:19]
	v_add_f64_e64 v[24:25], v[22:23], -v[28:29]
	s_delay_alu instid0(VALU_DEP_1) | instskip(SKIP_1) | instid1(VALU_DEP_1)
	v_add_f64_e64 v[18:19], v[18:19], -v[24:25]
	v_add_f64_e32 v[24:25], 1.0, v[22:23]
	v_add_f64_e32 v[26:27], -1.0, v[24:25]
	s_delay_alu instid0(VALU_DEP_1) | instskip(NEXT) | instid1(VALU_DEP_1)
	v_add_f64_e64 v[22:23], v[22:23], -v[26:27]
	v_add_f64_e32 v[18:19], v[18:19], v[22:23]
	s_delay_alu instid0(VALU_DEP_1) | instskip(NEXT) | instid1(VALU_DEP_1)
	v_add_f64_e32 v[22:23], v[24:25], v[18:19]
	v_add_f64_e64 v[24:25], v[22:23], -v[24:25]
	s_delay_alu instid0(VALU_DEP_1) | instskip(SKIP_1) | instid1(VALU_DEP_1)
	v_add_f64_e64 v[18:19], v[18:19], -v[24:25]
	v_cvt_i32_f64_e32 v24, v[20:21]
	v_ldexp_f64 v[20:21], v[22:23], v24
	s_delay_alu instid0(VALU_DEP_3) | instskip(NEXT) | instid1(VALU_DEP_2)
	v_ldexp_f64 v[18:19], v[18:19], v24
	v_rcp_f64_e32 v[22:23], v[20:21]
	v_nop
	s_delay_alu instid0(TRANS32_DEP_1) | instskip(NEXT) | instid1(VALU_DEP_1)
	v_fma_f64 v[24:25], -v[20:21], v[22:23], 1.0
	v_fmac_f64_e32 v[22:23], v[24:25], v[22:23]
	s_delay_alu instid0(VALU_DEP_1) | instskip(NEXT) | instid1(VALU_DEP_1)
	v_fma_f64 v[24:25], -v[20:21], v[22:23], 1.0
	v_fmac_f64_e32 v[22:23], v[24:25], v[22:23]
	s_delay_alu instid0(VALU_DEP_1) | instskip(NEXT) | instid1(VALU_DEP_1)
	v_mul_f64_e32 v[24:25], v[20:21], v[22:23]
	v_fma_f64 v[26:27], v[22:23], v[20:21], -v[24:25]
	s_delay_alu instid0(VALU_DEP_1) | instskip(NEXT) | instid1(VALU_DEP_1)
	v_fmac_f64_e32 v[26:27], v[22:23], v[18:19]
	v_add_f64_e32 v[28:29], v[24:25], v[26:27]
	s_delay_alu instid0(VALU_DEP_1) | instskip(SKIP_1) | instid1(VALU_DEP_2)
	v_add_f64_e64 v[30:31], -v[28:29], 1.0
	v_add_f64_e64 v[24:25], v[28:29], -v[24:25]
	v_add_f64_e64 v[32:33], -v[30:31], 1.0
	s_delay_alu instid0(VALU_DEP_2) | instskip(NEXT) | instid1(VALU_DEP_2)
	v_add_f64_e64 v[24:25], v[24:25], -v[26:27]
	v_add_f64_e64 v[28:29], v[32:33], -v[28:29]
	s_delay_alu instid0(VALU_DEP_1) | instskip(NEXT) | instid1(VALU_DEP_1)
	v_add_f64_e32 v[24:25], v[24:25], v[28:29]
	v_add_f64_e32 v[26:27], v[30:31], v[24:25]
	s_delay_alu instid0(VALU_DEP_1) | instskip(NEXT) | instid1(VALU_DEP_1)
	v_add_f64_e64 v[28:29], v[30:31], -v[26:27]
	v_add_f64_e32 v[24:25], v[24:25], v[28:29]
	v_mul_f64_e32 v[28:29], v[22:23], v[26:27]
	s_delay_alu instid0(VALU_DEP_1) | instskip(NEXT) | instid1(VALU_DEP_1)
	v_mul_f64_e32 v[30:31], v[20:21], v[28:29]
	v_fma_f64 v[32:33], v[28:29], v[20:21], -v[30:31]
	s_delay_alu instid0(VALU_DEP_1) | instskip(NEXT) | instid1(VALU_DEP_1)
	v_fmac_f64_e32 v[32:33], v[28:29], v[18:19]
	v_add_f64_e32 v[34:35], v[30:31], v[32:33]
	s_delay_alu instid0(VALU_DEP_1) | instskip(SKIP_1) | instid1(VALU_DEP_2)
	v_add_f64_e64 v[36:37], v[26:27], -v[34:35]
	v_add_f64_e64 v[30:31], v[34:35], -v[30:31]
	v_add_f64_e64 v[26:27], v[26:27], -v[36:37]
	s_delay_alu instid0(VALU_DEP_1) | instskip(NEXT) | instid1(VALU_DEP_1)
	v_add_f64_e64 v[26:27], v[26:27], -v[34:35]
	v_add_f64_e32 v[24:25], v[24:25], v[26:27]
	s_delay_alu instid0(VALU_DEP_4) | instskip(NEXT) | instid1(VALU_DEP_1)
	v_add_f64_e64 v[26:27], v[30:31], -v[32:33]
	v_add_f64_e32 v[24:25], v[26:27], v[24:25]
	v_add_f64_e32 v[26:27], v[22:23], v[28:29]
	s_delay_alu instid0(VALU_DEP_2) | instskip(NEXT) | instid1(VALU_DEP_1)
	v_add_f64_e32 v[24:25], v[36:37], v[24:25]
	v_mul_f64_e32 v[24:25], v[22:23], v[24:25]
	s_delay_alu instid0(VALU_DEP_3) | instskip(NEXT) | instid1(VALU_DEP_1)
	v_add_f64_e64 v[22:23], v[26:27], -v[22:23]
	v_add_f64_e64 v[22:23], v[28:29], -v[22:23]
	s_delay_alu instid0(VALU_DEP_1) | instskip(NEXT) | instid1(VALU_DEP_1)
	v_add_f64_e32 v[22:23], v[22:23], v[24:25]
	v_add_f64_e32 v[24:25], v[26:27], v[22:23]
	s_delay_alu instid0(VALU_DEP_1) | instskip(SKIP_1) | instid1(VALU_DEP_2)
	v_add_f64_e64 v[26:27], v[24:25], -v[26:27]
	v_ldexp_f64 v[24:25], v[24:25], -2
	v_add_f64_e64 v[22:23], v[22:23], -v[26:27]
	s_delay_alu instid0(VALU_DEP_2) | instskip(NEXT) | instid1(VALU_DEP_2)
	v_add_f64_e64 v[26:27], v[20:21], -v[24:25]
	v_ldexp_f64 v[22:23], v[22:23], -2
	s_delay_alu instid0(VALU_DEP_2) | instskip(NEXT) | instid1(VALU_DEP_1)
	v_add_f64_e64 v[20:21], v[20:21], -v[26:27]
	v_add_f64_e64 v[20:21], v[20:21], -v[24:25]
	s_delay_alu instid0(VALU_DEP_1) | instskip(NEXT) | instid1(VALU_DEP_1)
	v_add_f64_e32 v[18:19], v[18:19], v[20:21]
	v_add_f64_e64 v[18:19], v[18:19], -v[22:23]
	s_delay_alu instid0(VALU_DEP_1) | instskip(NEXT) | instid1(VALU_DEP_1)
	v_add_f64_e32 v[18:19], v[26:27], v[18:19]
	v_cndmask_b32_e32 v19, 0x7ff00000, v19, vcc_lo
	s_delay_alu instid0(VALU_DEP_2) | instskip(SKIP_1) | instid1(VALU_DEP_2)
	v_cndmask_b32_e32 v18, 0, v18, vcc_lo
	v_cmp_gt_f64_e64 vcc_lo, 0x3e400000, |v[6:7]|
	v_dual_cndmask_b32 v6, v18, v6 :: v_dual_cndmask_b32 v1, v19, v1
	v_add_f64_e64 v[18:19], |v[8:9]|, s[12:13]
	v_cmp_nge_f64_e64 vcc_lo, |v[8:9]|, s[14:15]
	s_delay_alu instid0(VALU_DEP_3) | instskip(SKIP_1) | instid1(VALU_DEP_4)
	v_bfi_b32 v7, 0x7fffffff, v1, v7
	v_and_b32_e32 v1, 0x7fffffff, v9
	v_add_f64_e64 v[20:21], v[18:19], -|v[8:9]|
	s_delay_alu instid0(VALU_DEP_1) | instskip(SKIP_1) | instid1(VALU_DEP_2)
	v_add_f64_e64 v[22:23], v[20:21], -v[18:19]
	v_add_f64_e32 v[20:21], 0x3fe62e42fefa39ef, v[20:21]
	v_add_f64_e64 v[22:23], |v[8:9]|, v[22:23]
	s_delay_alu instid0(VALU_DEP_1) | instskip(NEXT) | instid1(VALU_DEP_1)
	v_add_f64_e64 v[20:21], v[22:23], -v[20:21]
	v_add_f64_e32 v[20:21], 0xbc7abc9e3b39803f, v[20:21]
	s_delay_alu instid0(VALU_DEP_1) | instskip(NEXT) | instid1(VALU_DEP_1)
	v_add_f64_e32 v[22:23], v[18:19], v[20:21]
	v_add_f64_e64 v[18:19], v[18:19], -v[22:23]
	s_delay_alu instid0(VALU_DEP_1) | instskip(SKIP_1) | instid1(VALU_DEP_1)
	v_add_f64_e32 v[18:19], v[20:21], v[18:19]
	v_mul_f64_e32 v[20:21], 0x3ff71547652b82fe, v[22:23]
	v_rndne_f64_e32 v[20:21], v[20:21]
	s_delay_alu instid0(VALU_DEP_1) | instskip(NEXT) | instid1(VALU_DEP_1)
	v_fmac_f64_e32 v[22:23], 0xbfe62e42fefa3000, v[20:21]
	v_add_f64_e32 v[24:25], v[18:19], v[22:23]
	s_delay_alu instid0(VALU_DEP_1) | instskip(NEXT) | instid1(VALU_DEP_1)
	v_add_f64_e64 v[22:23], v[22:23], -v[24:25]
	v_add_f64_e32 v[18:19], v[18:19], v[22:23]
	v_mul_f64_e32 v[22:23], 0x3d53de6af278e000, v[20:21]
	s_delay_alu instid0(VALU_DEP_1) | instskip(NEXT) | instid1(VALU_DEP_1)
	v_add_f64_e64 v[26:27], v[24:25], -v[22:23]
	v_add_f64_e64 v[24:25], v[24:25], -v[26:27]
	s_delay_alu instid0(VALU_DEP_1) | instskip(NEXT) | instid1(VALU_DEP_1)
	v_add_f64_e64 v[22:23], v[24:25], -v[22:23]
	v_add_f64_e32 v[18:19], v[18:19], v[22:23]
	s_delay_alu instid0(VALU_DEP_1) | instskip(NEXT) | instid1(VALU_DEP_1)
	v_add_f64_e32 v[22:23], v[26:27], v[18:19]
	v_add_f64_e64 v[24:25], v[26:27], -v[22:23]
	s_delay_alu instid0(VALU_DEP_1) | instskip(SKIP_1) | instid1(VALU_DEP_1)
	v_add_f64_e32 v[18:19], v[18:19], v[24:25]
	v_mul_f64_e32 v[24:25], 0x3ac9cc01f97b57a0, v[20:21]
	v_add_f64_e64 v[26:27], v[22:23], -v[24:25]
	s_delay_alu instid0(VALU_DEP_1) | instskip(NEXT) | instid1(VALU_DEP_1)
	v_add_f64_e64 v[22:23], v[22:23], -v[26:27]
	v_add_f64_e64 v[22:23], v[22:23], -v[24:25]
	s_delay_alu instid0(VALU_DEP_1) | instskip(NEXT) | instid1(VALU_DEP_1)
	v_add_f64_e32 v[18:19], v[18:19], v[22:23]
	v_add_f64_e32 v[22:23], v[26:27], v[18:19]
	s_delay_alu instid0(VALU_DEP_1) | instskip(SKIP_1) | instid1(VALU_DEP_2)
	v_add_f64_e64 v[24:25], v[26:27], -v[22:23]
	v_mul_f64_e32 v[26:27], v[22:23], v[22:23]
	v_add_f64_e32 v[18:19], v[18:19], v[24:25]
	s_delay_alu instid0(VALU_DEP_2) | instskip(SKIP_1) | instid1(VALU_DEP_1)
	v_fma_f64 v[28:29], v[22:23], v[22:23], -v[26:27]
	v_fmamk_f64 v[24:25], v[22:23], 0x3e5ade156a5dcb37, v[12:13]
	v_fmaak_f64 v[24:25], v[22:23], v[24:25], 0x3ec71dee623fde64
	s_delay_alu instid0(VALU_DEP_1) | instskip(NEXT) | instid1(VALU_DEP_1)
	v_fmaak_f64 v[24:25], v[22:23], v[24:25], 0x3efa01997c89e6b0
	v_fmaak_f64 v[24:25], v[22:23], v[24:25], 0x3f2a01a014761f6e
	s_delay_alu instid0(VALU_DEP_1) | instskip(SKIP_1) | instid1(VALU_DEP_2)
	v_fmaak_f64 v[24:25], v[22:23], v[24:25], 0x3f56c16c1852b7b0
	v_add_f64_e32 v[30:31], v[18:19], v[18:19]
	v_fmaak_f64 v[24:25], v[22:23], v[24:25], 0x3f81111111122322
	s_delay_alu instid0(VALU_DEP_1) | instskip(NEXT) | instid1(VALU_DEP_1)
	v_fmaak_f64 v[24:25], v[22:23], v[24:25], 0x3fa55555555502a1
	v_fmaak_f64 v[24:25], v[22:23], v[24:25], 0x3fc5555555555511
	s_delay_alu instid0(VALU_DEP_1) | instskip(SKIP_1) | instid1(VALU_DEP_1)
	v_fmaak_f64 v[24:25], v[22:23], v[24:25], 0x3fe000000000000b
	v_fmac_f64_e32 v[28:29], v[22:23], v[30:31]
	v_add_f64_e32 v[30:31], v[26:27], v[28:29]
	s_delay_alu instid0(VALU_DEP_1) | instskip(NEXT) | instid1(VALU_DEP_1)
	v_add_f64_e64 v[26:27], v[30:31], -v[26:27]
	v_add_f64_e64 v[26:27], v[28:29], -v[26:27]
	v_mul_f64_e32 v[28:29], v[30:31], v[24:25]
	s_delay_alu instid0(VALU_DEP_1) | instskip(NEXT) | instid1(VALU_DEP_1)
	v_fma_f64 v[30:31], v[30:31], v[24:25], -v[28:29]
	v_fmac_f64_e32 v[30:31], v[26:27], v[24:25]
	s_delay_alu instid0(VALU_DEP_1) | instskip(NEXT) | instid1(VALU_DEP_1)
	v_add_f64_e32 v[24:25], v[28:29], v[30:31]
	v_add_f64_e64 v[26:27], v[24:25], -v[28:29]
	v_add_f64_e32 v[28:29], v[22:23], v[24:25]
	s_delay_alu instid0(VALU_DEP_2) | instskip(NEXT) | instid1(VALU_DEP_2)
	v_add_f64_e64 v[26:27], v[30:31], -v[26:27]
	v_add_f64_e64 v[22:23], v[28:29], -v[22:23]
	s_delay_alu instid0(VALU_DEP_2) | instskip(NEXT) | instid1(VALU_DEP_2)
	v_add_f64_e32 v[18:19], v[18:19], v[26:27]
	v_add_f64_e64 v[22:23], v[24:25], -v[22:23]
	s_delay_alu instid0(VALU_DEP_1) | instskip(NEXT) | instid1(VALU_DEP_1)
	v_add_f64_e32 v[18:19], v[18:19], v[22:23]
	v_add_f64_e32 v[22:23], v[28:29], v[18:19]
	s_delay_alu instid0(VALU_DEP_1) | instskip(NEXT) | instid1(VALU_DEP_1)
	v_add_f64_e64 v[24:25], v[22:23], -v[28:29]
	v_add_f64_e64 v[18:19], v[18:19], -v[24:25]
	v_add_f64_e32 v[24:25], 1.0, v[22:23]
	s_delay_alu instid0(VALU_DEP_1) | instskip(NEXT) | instid1(VALU_DEP_1)
	v_add_f64_e32 v[26:27], -1.0, v[24:25]
	v_add_f64_e64 v[22:23], v[22:23], -v[26:27]
	s_delay_alu instid0(VALU_DEP_1) | instskip(NEXT) | instid1(VALU_DEP_1)
	v_add_f64_e32 v[18:19], v[18:19], v[22:23]
	v_add_f64_e32 v[22:23], v[24:25], v[18:19]
	s_delay_alu instid0(VALU_DEP_1) | instskip(NEXT) | instid1(VALU_DEP_1)
	v_add_f64_e64 v[24:25], v[22:23], -v[24:25]
	v_add_f64_e64 v[18:19], v[18:19], -v[24:25]
	v_cvt_i32_f64_e32 v24, v[20:21]
	s_delay_alu instid0(VALU_DEP_1) | instskip(NEXT) | instid1(VALU_DEP_3)
	v_ldexp_f64 v[20:21], v[22:23], v24
	v_ldexp_f64 v[18:19], v[18:19], v24
	s_delay_alu instid0(VALU_DEP_2) | instskip(SKIP_1) | instid1(TRANS32_DEP_1)
	v_rcp_f64_e32 v[22:23], v[20:21]
	v_nop
	v_fma_f64 v[24:25], -v[20:21], v[22:23], 1.0
	s_delay_alu instid0(VALU_DEP_1) | instskip(NEXT) | instid1(VALU_DEP_1)
	v_fmac_f64_e32 v[22:23], v[24:25], v[22:23]
	v_fma_f64 v[24:25], -v[20:21], v[22:23], 1.0
	s_delay_alu instid0(VALU_DEP_1) | instskip(NEXT) | instid1(VALU_DEP_1)
	v_fmac_f64_e32 v[22:23], v[24:25], v[22:23]
	v_mul_f64_e32 v[24:25], v[20:21], v[22:23]
	s_delay_alu instid0(VALU_DEP_1) | instskip(NEXT) | instid1(VALU_DEP_1)
	v_fma_f64 v[26:27], v[22:23], v[20:21], -v[24:25]
	v_fmac_f64_e32 v[26:27], v[22:23], v[18:19]
	s_delay_alu instid0(VALU_DEP_1) | instskip(NEXT) | instid1(VALU_DEP_1)
	v_add_f64_e32 v[28:29], v[24:25], v[26:27]
	v_add_f64_e64 v[30:31], -v[28:29], 1.0
	v_add_f64_e64 v[24:25], v[28:29], -v[24:25]
	s_delay_alu instid0(VALU_DEP_2) | instskip(NEXT) | instid1(VALU_DEP_2)
	v_add_f64_e64 v[32:33], -v[30:31], 1.0
	v_add_f64_e64 v[24:25], v[24:25], -v[26:27]
	s_delay_alu instid0(VALU_DEP_2) | instskip(NEXT) | instid1(VALU_DEP_1)
	v_add_f64_e64 v[28:29], v[32:33], -v[28:29]
	v_add_f64_e32 v[24:25], v[24:25], v[28:29]
	s_delay_alu instid0(VALU_DEP_1) | instskip(NEXT) | instid1(VALU_DEP_1)
	v_add_f64_e32 v[26:27], v[30:31], v[24:25]
	v_add_f64_e64 v[28:29], v[30:31], -v[26:27]
	s_delay_alu instid0(VALU_DEP_1) | instskip(SKIP_1) | instid1(VALU_DEP_1)
	v_add_f64_e32 v[24:25], v[24:25], v[28:29]
	v_mul_f64_e32 v[28:29], v[22:23], v[26:27]
	v_mul_f64_e32 v[30:31], v[20:21], v[28:29]
	s_delay_alu instid0(VALU_DEP_1) | instskip(NEXT) | instid1(VALU_DEP_1)
	v_fma_f64 v[32:33], v[28:29], v[20:21], -v[30:31]
	v_fmac_f64_e32 v[32:33], v[28:29], v[18:19]
	s_delay_alu instid0(VALU_DEP_1) | instskip(NEXT) | instid1(VALU_DEP_1)
	v_add_f64_e32 v[34:35], v[30:31], v[32:33]
	v_add_f64_e64 v[36:37], v[26:27], -v[34:35]
	v_add_f64_e64 v[30:31], v[34:35], -v[30:31]
	s_delay_alu instid0(VALU_DEP_2) | instskip(NEXT) | instid1(VALU_DEP_1)
	v_add_f64_e64 v[26:27], v[26:27], -v[36:37]
	v_add_f64_e64 v[26:27], v[26:27], -v[34:35]
	s_delay_alu instid0(VALU_DEP_1) | instskip(NEXT) | instid1(VALU_DEP_4)
	v_add_f64_e32 v[24:25], v[24:25], v[26:27]
	v_add_f64_e64 v[26:27], v[30:31], -v[32:33]
	s_delay_alu instid0(VALU_DEP_1) | instskip(SKIP_1) | instid1(VALU_DEP_2)
	v_add_f64_e32 v[24:25], v[26:27], v[24:25]
	v_add_f64_e32 v[26:27], v[22:23], v[28:29]
	;; [unrolled: 1-line block ×3, first 2 shown]
	s_delay_alu instid0(VALU_DEP_1) | instskip(NEXT) | instid1(VALU_DEP_3)
	v_mul_f64_e32 v[24:25], v[22:23], v[24:25]
	v_add_f64_e64 v[22:23], v[26:27], -v[22:23]
	s_delay_alu instid0(VALU_DEP_1) | instskip(NEXT) | instid1(VALU_DEP_1)
	v_add_f64_e64 v[22:23], v[28:29], -v[22:23]
	v_add_f64_e32 v[22:23], v[22:23], v[24:25]
	s_delay_alu instid0(VALU_DEP_1) | instskip(NEXT) | instid1(VALU_DEP_1)
	v_add_f64_e32 v[24:25], v[26:27], v[22:23]
	v_add_f64_e64 v[26:27], v[24:25], -v[26:27]
	v_ldexp_f64 v[24:25], v[24:25], -2
	s_delay_alu instid0(VALU_DEP_2) | instskip(NEXT) | instid1(VALU_DEP_2)
	v_add_f64_e64 v[22:23], v[22:23], -v[26:27]
	v_add_f64_e64 v[26:27], v[20:21], -v[24:25]
	s_delay_alu instid0(VALU_DEP_2) | instskip(NEXT) | instid1(VALU_DEP_2)
	v_ldexp_f64 v[22:23], v[22:23], -2
	v_add_f64_e64 v[20:21], v[20:21], -v[26:27]
	s_delay_alu instid0(VALU_DEP_1) | instskip(NEXT) | instid1(VALU_DEP_1)
	v_add_f64_e64 v[20:21], v[20:21], -v[24:25]
	v_add_f64_e32 v[18:19], v[18:19], v[20:21]
	s_delay_alu instid0(VALU_DEP_1) | instskip(NEXT) | instid1(VALU_DEP_1)
	v_add_f64_e64 v[18:19], v[18:19], -v[22:23]
	v_add_f64_e32 v[18:19], v[26:27], v[18:19]
	s_delay_alu instid0(VALU_DEP_1) | instskip(NEXT) | instid1(VALU_DEP_2)
	v_cndmask_b32_e32 v19, 0x7ff00000, v19, vcc_lo
	v_cndmask_b32_e32 v18, 0, v18, vcc_lo
	v_cmp_gt_f64_e64 vcc_lo, 0x3e400000, |v[8:9]|
	s_delay_alu instid0(VALU_DEP_2) | instskip(SKIP_2) | instid1(VALU_DEP_3)
	v_dual_cndmask_b32 v8, v18, v8 :: v_dual_cndmask_b32 v1, v19, v1
	v_add_f64_e64 v[18:19], |v[2:3]|, s[12:13]
	v_cmp_nge_f64_e64 vcc_lo, |v[2:3]|, s[14:15]
	v_bfi_b32 v9, 0x7fffffff, v1, v9
	v_and_b32_e32 v1, 0x7fffffff, v3
	s_delay_alu instid0(VALU_DEP_4) | instskip(NEXT) | instid1(VALU_DEP_1)
	v_add_f64_e64 v[20:21], v[18:19], -|v[2:3]|
	v_add_f64_e64 v[22:23], v[20:21], -v[18:19]
	v_add_f64_e32 v[20:21], 0x3fe62e42fefa39ef, v[20:21]
	s_delay_alu instid0(VALU_DEP_2) | instskip(NEXT) | instid1(VALU_DEP_1)
	v_add_f64_e64 v[22:23], |v[2:3]|, v[22:23]
	v_add_f64_e64 v[20:21], v[22:23], -v[20:21]
	s_delay_alu instid0(VALU_DEP_1) | instskip(NEXT) | instid1(VALU_DEP_1)
	v_add_f64_e32 v[20:21], 0xbc7abc9e3b39803f, v[20:21]
	v_add_f64_e32 v[22:23], v[18:19], v[20:21]
	s_delay_alu instid0(VALU_DEP_1) | instskip(NEXT) | instid1(VALU_DEP_1)
	v_add_f64_e64 v[18:19], v[18:19], -v[22:23]
	v_add_f64_e32 v[18:19], v[20:21], v[18:19]
	v_mul_f64_e32 v[20:21], 0x3ff71547652b82fe, v[22:23]
	s_delay_alu instid0(VALU_DEP_1) | instskip(NEXT) | instid1(VALU_DEP_1)
	v_rndne_f64_e32 v[20:21], v[20:21]
	v_fmac_f64_e32 v[22:23], 0xbfe62e42fefa3000, v[20:21]
	s_delay_alu instid0(VALU_DEP_1) | instskip(NEXT) | instid1(VALU_DEP_1)
	v_add_f64_e32 v[24:25], v[18:19], v[22:23]
	v_add_f64_e64 v[22:23], v[22:23], -v[24:25]
	s_delay_alu instid0(VALU_DEP_1) | instskip(SKIP_1) | instid1(VALU_DEP_1)
	v_add_f64_e32 v[18:19], v[18:19], v[22:23]
	v_mul_f64_e32 v[22:23], 0x3d53de6af278e000, v[20:21]
	v_add_f64_e64 v[26:27], v[24:25], -v[22:23]
	s_delay_alu instid0(VALU_DEP_1) | instskip(NEXT) | instid1(VALU_DEP_1)
	v_add_f64_e64 v[24:25], v[24:25], -v[26:27]
	v_add_f64_e64 v[22:23], v[24:25], -v[22:23]
	s_delay_alu instid0(VALU_DEP_1) | instskip(NEXT) | instid1(VALU_DEP_1)
	v_add_f64_e32 v[18:19], v[18:19], v[22:23]
	v_add_f64_e32 v[22:23], v[26:27], v[18:19]
	s_delay_alu instid0(VALU_DEP_1) | instskip(NEXT) | instid1(VALU_DEP_1)
	v_add_f64_e64 v[24:25], v[26:27], -v[22:23]
	v_add_f64_e32 v[18:19], v[18:19], v[24:25]
	v_mul_f64_e32 v[24:25], 0x3ac9cc01f97b57a0, v[20:21]
	s_delay_alu instid0(VALU_DEP_1) | instskip(NEXT) | instid1(VALU_DEP_1)
	v_add_f64_e64 v[26:27], v[22:23], -v[24:25]
	v_add_f64_e64 v[22:23], v[22:23], -v[26:27]
	s_delay_alu instid0(VALU_DEP_1) | instskip(NEXT) | instid1(VALU_DEP_1)
	v_add_f64_e64 v[22:23], v[22:23], -v[24:25]
	v_add_f64_e32 v[18:19], v[18:19], v[22:23]
	s_delay_alu instid0(VALU_DEP_1) | instskip(NEXT) | instid1(VALU_DEP_1)
	v_add_f64_e32 v[22:23], v[26:27], v[18:19]
	v_add_f64_e64 v[24:25], v[26:27], -v[22:23]
	v_mul_f64_e32 v[26:27], v[22:23], v[22:23]
	s_delay_alu instid0(VALU_DEP_2) | instskip(NEXT) | instid1(VALU_DEP_2)
	v_add_f64_e32 v[18:19], v[18:19], v[24:25]
	v_fma_f64 v[28:29], v[22:23], v[22:23], -v[26:27]
	v_fmamk_f64 v[24:25], v[22:23], 0x3e5ade156a5dcb37, v[12:13]
	s_delay_alu instid0(VALU_DEP_1) | instskip(NEXT) | instid1(VALU_DEP_1)
	v_fmaak_f64 v[24:25], v[22:23], v[24:25], 0x3ec71dee623fde64
	v_fmaak_f64 v[24:25], v[22:23], v[24:25], 0x3efa01997c89e6b0
	s_delay_alu instid0(VALU_DEP_1) | instskip(NEXT) | instid1(VALU_DEP_1)
	v_fmaak_f64 v[24:25], v[22:23], v[24:25], 0x3f2a01a014761f6e
	v_fmaak_f64 v[24:25], v[22:23], v[24:25], 0x3f56c16c1852b7b0
	v_add_f64_e32 v[30:31], v[18:19], v[18:19]
	s_delay_alu instid0(VALU_DEP_2) | instskip(NEXT) | instid1(VALU_DEP_1)
	v_fmaak_f64 v[24:25], v[22:23], v[24:25], 0x3f81111111122322
	v_fmaak_f64 v[24:25], v[22:23], v[24:25], 0x3fa55555555502a1
	s_delay_alu instid0(VALU_DEP_1) | instskip(NEXT) | instid1(VALU_DEP_1)
	v_fmaak_f64 v[24:25], v[22:23], v[24:25], 0x3fc5555555555511
	v_fmaak_f64 v[24:25], v[22:23], v[24:25], 0x3fe000000000000b
	v_fmac_f64_e32 v[28:29], v[22:23], v[30:31]
	s_delay_alu instid0(VALU_DEP_1) | instskip(NEXT) | instid1(VALU_DEP_1)
	v_add_f64_e32 v[30:31], v[26:27], v[28:29]
	v_add_f64_e64 v[26:27], v[30:31], -v[26:27]
	s_delay_alu instid0(VALU_DEP_1) | instskip(SKIP_1) | instid1(VALU_DEP_1)
	v_add_f64_e64 v[26:27], v[28:29], -v[26:27]
	v_mul_f64_e32 v[28:29], v[30:31], v[24:25]
	v_fma_f64 v[30:31], v[30:31], v[24:25], -v[28:29]
	s_delay_alu instid0(VALU_DEP_1) | instskip(NEXT) | instid1(VALU_DEP_1)
	v_fmac_f64_e32 v[30:31], v[26:27], v[24:25]
	v_add_f64_e32 v[24:25], v[28:29], v[30:31]
	s_delay_alu instid0(VALU_DEP_1) | instskip(SKIP_1) | instid1(VALU_DEP_2)
	v_add_f64_e64 v[26:27], v[24:25], -v[28:29]
	v_add_f64_e32 v[28:29], v[22:23], v[24:25]
	v_add_f64_e64 v[26:27], v[30:31], -v[26:27]
	s_delay_alu instid0(VALU_DEP_2) | instskip(NEXT) | instid1(VALU_DEP_2)
	v_add_f64_e64 v[22:23], v[28:29], -v[22:23]
	v_add_f64_e32 v[18:19], v[18:19], v[26:27]
	s_delay_alu instid0(VALU_DEP_2) | instskip(NEXT) | instid1(VALU_DEP_1)
	v_add_f64_e64 v[22:23], v[24:25], -v[22:23]
	v_add_f64_e32 v[18:19], v[18:19], v[22:23]
	s_delay_alu instid0(VALU_DEP_1) | instskip(NEXT) | instid1(VALU_DEP_1)
	v_add_f64_e32 v[22:23], v[28:29], v[18:19]
	v_add_f64_e64 v[24:25], v[22:23], -v[28:29]
	s_delay_alu instid0(VALU_DEP_1) | instskip(SKIP_1) | instid1(VALU_DEP_1)
	v_add_f64_e64 v[18:19], v[18:19], -v[24:25]
	v_add_f64_e32 v[24:25], 1.0, v[22:23]
	v_add_f64_e32 v[26:27], -1.0, v[24:25]
	s_delay_alu instid0(VALU_DEP_1) | instskip(NEXT) | instid1(VALU_DEP_1)
	v_add_f64_e64 v[22:23], v[22:23], -v[26:27]
	v_add_f64_e32 v[18:19], v[18:19], v[22:23]
	s_delay_alu instid0(VALU_DEP_1) | instskip(NEXT) | instid1(VALU_DEP_1)
	v_add_f64_e32 v[22:23], v[24:25], v[18:19]
	v_add_f64_e64 v[24:25], v[22:23], -v[24:25]
	s_delay_alu instid0(VALU_DEP_1) | instskip(SKIP_1) | instid1(VALU_DEP_1)
	v_add_f64_e64 v[18:19], v[18:19], -v[24:25]
	v_cvt_i32_f64_e32 v24, v[20:21]
	v_ldexp_f64 v[20:21], v[22:23], v24
	s_delay_alu instid0(VALU_DEP_3) | instskip(NEXT) | instid1(VALU_DEP_2)
	v_ldexp_f64 v[18:19], v[18:19], v24
	v_rcp_f64_e32 v[22:23], v[20:21]
	v_nop
	s_delay_alu instid0(TRANS32_DEP_1) | instskip(NEXT) | instid1(VALU_DEP_1)
	v_fma_f64 v[24:25], -v[20:21], v[22:23], 1.0
	v_fmac_f64_e32 v[22:23], v[24:25], v[22:23]
	s_delay_alu instid0(VALU_DEP_1) | instskip(NEXT) | instid1(VALU_DEP_1)
	v_fma_f64 v[24:25], -v[20:21], v[22:23], 1.0
	v_fmac_f64_e32 v[22:23], v[24:25], v[22:23]
	s_delay_alu instid0(VALU_DEP_1) | instskip(NEXT) | instid1(VALU_DEP_1)
	v_mul_f64_e32 v[24:25], v[20:21], v[22:23]
	v_fma_f64 v[26:27], v[22:23], v[20:21], -v[24:25]
	s_delay_alu instid0(VALU_DEP_1) | instskip(NEXT) | instid1(VALU_DEP_1)
	v_fmac_f64_e32 v[26:27], v[22:23], v[18:19]
	v_add_f64_e32 v[28:29], v[24:25], v[26:27]
	s_delay_alu instid0(VALU_DEP_1) | instskip(SKIP_1) | instid1(VALU_DEP_2)
	v_add_f64_e64 v[30:31], -v[28:29], 1.0
	v_add_f64_e64 v[24:25], v[28:29], -v[24:25]
	v_add_f64_e64 v[32:33], -v[30:31], 1.0
	s_delay_alu instid0(VALU_DEP_2) | instskip(NEXT) | instid1(VALU_DEP_2)
	v_add_f64_e64 v[24:25], v[24:25], -v[26:27]
	v_add_f64_e64 v[28:29], v[32:33], -v[28:29]
	s_delay_alu instid0(VALU_DEP_1) | instskip(NEXT) | instid1(VALU_DEP_1)
	v_add_f64_e32 v[24:25], v[24:25], v[28:29]
	v_add_f64_e32 v[26:27], v[30:31], v[24:25]
	s_delay_alu instid0(VALU_DEP_1) | instskip(NEXT) | instid1(VALU_DEP_1)
	v_add_f64_e64 v[28:29], v[30:31], -v[26:27]
	v_add_f64_e32 v[24:25], v[24:25], v[28:29]
	v_mul_f64_e32 v[28:29], v[22:23], v[26:27]
	s_delay_alu instid0(VALU_DEP_1) | instskip(NEXT) | instid1(VALU_DEP_1)
	v_mul_f64_e32 v[30:31], v[20:21], v[28:29]
	v_fma_f64 v[32:33], v[28:29], v[20:21], -v[30:31]
	s_delay_alu instid0(VALU_DEP_1) | instskip(NEXT) | instid1(VALU_DEP_1)
	v_fmac_f64_e32 v[32:33], v[28:29], v[18:19]
	v_add_f64_e32 v[34:35], v[30:31], v[32:33]
	s_delay_alu instid0(VALU_DEP_1) | instskip(SKIP_1) | instid1(VALU_DEP_2)
	v_add_f64_e64 v[36:37], v[26:27], -v[34:35]
	v_add_f64_e64 v[30:31], v[34:35], -v[30:31]
	;; [unrolled: 1-line block ×3, first 2 shown]
	s_delay_alu instid0(VALU_DEP_1) | instskip(NEXT) | instid1(VALU_DEP_1)
	v_add_f64_e64 v[26:27], v[26:27], -v[34:35]
	v_add_f64_e32 v[24:25], v[24:25], v[26:27]
	s_delay_alu instid0(VALU_DEP_4) | instskip(NEXT) | instid1(VALU_DEP_1)
	v_add_f64_e64 v[26:27], v[30:31], -v[32:33]
	v_add_f64_e32 v[24:25], v[26:27], v[24:25]
	v_add_f64_e32 v[26:27], v[22:23], v[28:29]
	s_delay_alu instid0(VALU_DEP_2) | instskip(NEXT) | instid1(VALU_DEP_1)
	v_add_f64_e32 v[24:25], v[36:37], v[24:25]
	v_mul_f64_e32 v[24:25], v[22:23], v[24:25]
	s_delay_alu instid0(VALU_DEP_3) | instskip(NEXT) | instid1(VALU_DEP_1)
	v_add_f64_e64 v[22:23], v[26:27], -v[22:23]
	v_add_f64_e64 v[22:23], v[28:29], -v[22:23]
	s_delay_alu instid0(VALU_DEP_1) | instskip(NEXT) | instid1(VALU_DEP_1)
	v_add_f64_e32 v[22:23], v[22:23], v[24:25]
	v_add_f64_e32 v[24:25], v[26:27], v[22:23]
	s_delay_alu instid0(VALU_DEP_1) | instskip(SKIP_1) | instid1(VALU_DEP_2)
	v_add_f64_e64 v[26:27], v[24:25], -v[26:27]
	v_ldexp_f64 v[24:25], v[24:25], -2
	v_add_f64_e64 v[22:23], v[22:23], -v[26:27]
	s_delay_alu instid0(VALU_DEP_2) | instskip(NEXT) | instid1(VALU_DEP_2)
	v_add_f64_e64 v[26:27], v[20:21], -v[24:25]
	v_ldexp_f64 v[22:23], v[22:23], -2
	s_delay_alu instid0(VALU_DEP_2) | instskip(NEXT) | instid1(VALU_DEP_1)
	v_add_f64_e64 v[20:21], v[20:21], -v[26:27]
	v_add_f64_e64 v[20:21], v[20:21], -v[24:25]
	s_delay_alu instid0(VALU_DEP_1) | instskip(NEXT) | instid1(VALU_DEP_1)
	v_add_f64_e32 v[18:19], v[18:19], v[20:21]
	v_add_f64_e64 v[18:19], v[18:19], -v[22:23]
	s_delay_alu instid0(VALU_DEP_1) | instskip(NEXT) | instid1(VALU_DEP_1)
	v_add_f64_e32 v[18:19], v[26:27], v[18:19]
	v_cndmask_b32_e32 v19, 0x7ff00000, v19, vcc_lo
	s_delay_alu instid0(VALU_DEP_2) | instskip(SKIP_1) | instid1(VALU_DEP_2)
	v_cndmask_b32_e32 v18, 0, v18, vcc_lo
	v_cmp_gt_f64_e64 vcc_lo, 0x3e400000, |v[2:3]|
	v_dual_cndmask_b32 v2, v18, v2 :: v_dual_cndmask_b32 v1, v19, v1
	v_add_f64_e64 v[18:19], |v[4:5]|, s[12:13]
	v_cmp_nge_f64_e64 vcc_lo, |v[4:5]|, s[14:15]
	s_delay_alu instid0(VALU_DEP_3) | instskip(SKIP_1) | instid1(VALU_DEP_4)
	v_bfi_b32 v3, 0x7fffffff, v1, v3
	v_and_b32_e32 v1, 0x7fffffff, v5
	v_add_f64_e64 v[20:21], v[18:19], -|v[4:5]|
	s_delay_alu instid0(VALU_DEP_1) | instskip(SKIP_1) | instid1(VALU_DEP_2)
	v_add_f64_e64 v[22:23], v[20:21], -v[18:19]
	v_add_f64_e32 v[20:21], 0x3fe62e42fefa39ef, v[20:21]
	v_add_f64_e64 v[22:23], |v[4:5]|, v[22:23]
	s_delay_alu instid0(VALU_DEP_1) | instskip(NEXT) | instid1(VALU_DEP_1)
	v_add_f64_e64 v[20:21], v[22:23], -v[20:21]
	v_add_f64_e32 v[20:21], 0xbc7abc9e3b39803f, v[20:21]
	s_delay_alu instid0(VALU_DEP_1) | instskip(NEXT) | instid1(VALU_DEP_1)
	v_add_f64_e32 v[22:23], v[18:19], v[20:21]
	v_add_f64_e64 v[18:19], v[18:19], -v[22:23]
	s_delay_alu instid0(VALU_DEP_1) | instskip(SKIP_1) | instid1(VALU_DEP_1)
	v_add_f64_e32 v[18:19], v[20:21], v[18:19]
	v_mul_f64_e32 v[20:21], 0x3ff71547652b82fe, v[22:23]
	v_rndne_f64_e32 v[24:25], v[20:21]
	s_delay_alu instid0(VALU_DEP_1) | instskip(NEXT) | instid1(VALU_DEP_1)
	v_fmac_f64_e32 v[22:23], 0xbfe62e42fefa3000, v[24:25]
	v_add_f64_e32 v[20:21], v[18:19], v[22:23]
	s_delay_alu instid0(VALU_DEP_1) | instskip(NEXT) | instid1(VALU_DEP_1)
	v_add_f64_e64 v[22:23], v[22:23], -v[20:21]
	v_add_f64_e32 v[18:19], v[18:19], v[22:23]
	v_mul_f64_e32 v[22:23], 0x3d53de6af278e000, v[24:25]
	s_delay_alu instid0(VALU_DEP_1) | instskip(NEXT) | instid1(VALU_DEP_1)
	v_add_f64_e64 v[26:27], v[20:21], -v[22:23]
	v_add_f64_e64 v[20:21], v[20:21], -v[26:27]
	s_delay_alu instid0(VALU_DEP_1) | instskip(NEXT) | instid1(VALU_DEP_1)
	v_add_f64_e64 v[20:21], v[20:21], -v[22:23]
	v_add_f64_e32 v[18:19], v[18:19], v[20:21]
	s_delay_alu instid0(VALU_DEP_1) | instskip(NEXT) | instid1(VALU_DEP_1)
	v_add_f64_e32 v[20:21], v[26:27], v[18:19]
	v_add_f64_e64 v[22:23], v[26:27], -v[20:21]
	s_delay_alu instid0(VALU_DEP_1) | instskip(SKIP_1) | instid1(VALU_DEP_1)
	v_add_f64_e32 v[18:19], v[18:19], v[22:23]
	v_mul_f64_e32 v[22:23], 0x3ac9cc01f97b57a0, v[24:25]
	v_add_f64_e64 v[26:27], v[20:21], -v[22:23]
	s_delay_alu instid0(VALU_DEP_1) | instskip(NEXT) | instid1(VALU_DEP_1)
	v_add_f64_e64 v[20:21], v[20:21], -v[26:27]
	v_add_f64_e64 v[20:21], v[20:21], -v[22:23]
	s_delay_alu instid0(VALU_DEP_1) | instskip(NEXT) | instid1(VALU_DEP_1)
	v_add_f64_e32 v[18:19], v[18:19], v[20:21]
	v_add_f64_e32 v[20:21], v[26:27], v[18:19]
	s_delay_alu instid0(VALU_DEP_1) | instskip(SKIP_1) | instid1(VALU_DEP_2)
	v_add_f64_e64 v[22:23], v[26:27], -v[20:21]
	v_mul_f64_e32 v[26:27], v[20:21], v[20:21]
	v_add_f64_e32 v[18:19], v[18:19], v[22:23]
	s_delay_alu instid0(VALU_DEP_2) | instskip(SKIP_1) | instid1(VALU_DEP_1)
	v_fma_f64 v[28:29], v[20:21], v[20:21], -v[26:27]
	v_fmamk_f64 v[22:23], v[20:21], 0x3e5ade156a5dcb37, v[12:13]
	v_fmaak_f64 v[22:23], v[20:21], v[22:23], 0x3ec71dee623fde64
	s_delay_alu instid0(VALU_DEP_1) | instskip(NEXT) | instid1(VALU_DEP_1)
	v_fmaak_f64 v[22:23], v[20:21], v[22:23], 0x3efa01997c89e6b0
	v_fmaak_f64 v[22:23], v[20:21], v[22:23], 0x3f2a01a014761f6e
	s_delay_alu instid0(VALU_DEP_1) | instskip(SKIP_1) | instid1(VALU_DEP_2)
	v_fmaak_f64 v[22:23], v[20:21], v[22:23], 0x3f56c16c1852b7b0
	v_add_f64_e32 v[30:31], v[18:19], v[18:19]
	v_fmaak_f64 v[22:23], v[20:21], v[22:23], 0x3f81111111122322
	s_delay_alu instid0(VALU_DEP_1) | instskip(NEXT) | instid1(VALU_DEP_1)
	v_fmaak_f64 v[22:23], v[20:21], v[22:23], 0x3fa55555555502a1
	v_fmaak_f64 v[22:23], v[20:21], v[22:23], 0x3fc5555555555511
	s_delay_alu instid0(VALU_DEP_1) | instskip(SKIP_1) | instid1(VALU_DEP_1)
	v_fmaak_f64 v[22:23], v[20:21], v[22:23], 0x3fe000000000000b
	v_fmac_f64_e32 v[28:29], v[20:21], v[30:31]
	v_add_f64_e32 v[30:31], v[26:27], v[28:29]
	s_delay_alu instid0(VALU_DEP_1) | instskip(NEXT) | instid1(VALU_DEP_1)
	v_add_f64_e64 v[26:27], v[30:31], -v[26:27]
	v_add_f64_e64 v[26:27], v[28:29], -v[26:27]
	v_mul_f64_e32 v[28:29], v[30:31], v[22:23]
	s_delay_alu instid0(VALU_DEP_1) | instskip(NEXT) | instid1(VALU_DEP_1)
	v_fma_f64 v[30:31], v[30:31], v[22:23], -v[28:29]
	v_fmac_f64_e32 v[30:31], v[26:27], v[22:23]
	s_delay_alu instid0(VALU_DEP_1) | instskip(NEXT) | instid1(VALU_DEP_1)
	v_add_f64_e32 v[22:23], v[28:29], v[30:31]
	v_add_f64_e64 v[26:27], v[22:23], -v[28:29]
	v_add_f64_e32 v[28:29], v[20:21], v[22:23]
	s_delay_alu instid0(VALU_DEP_2) | instskip(NEXT) | instid1(VALU_DEP_2)
	v_add_f64_e64 v[26:27], v[30:31], -v[26:27]
	v_add_f64_e64 v[20:21], v[28:29], -v[20:21]
	s_delay_alu instid0(VALU_DEP_2) | instskip(NEXT) | instid1(VALU_DEP_2)
	v_add_f64_e32 v[18:19], v[18:19], v[26:27]
	v_add_f64_e64 v[20:21], v[22:23], -v[20:21]
	s_delay_alu instid0(VALU_DEP_1) | instskip(NEXT) | instid1(VALU_DEP_1)
	v_add_f64_e32 v[18:19], v[18:19], v[20:21]
	v_add_f64_e32 v[20:21], v[28:29], v[18:19]
	s_delay_alu instid0(VALU_DEP_1) | instskip(NEXT) | instid1(VALU_DEP_1)
	v_add_f64_e64 v[22:23], v[20:21], -v[28:29]
	v_add_f64_e64 v[18:19], v[18:19], -v[22:23]
	v_add_f64_e32 v[22:23], 1.0, v[20:21]
	s_delay_alu instid0(VALU_DEP_1) | instskip(NEXT) | instid1(VALU_DEP_1)
	v_add_f64_e32 v[26:27], -1.0, v[22:23]
	v_add_f64_e64 v[20:21], v[20:21], -v[26:27]
	s_delay_alu instid0(VALU_DEP_1) | instskip(NEXT) | instid1(VALU_DEP_1)
	v_add_f64_e32 v[20:21], v[18:19], v[20:21]
	v_add_f64_e32 v[18:19], v[22:23], v[20:21]
	s_delay_alu instid0(VALU_DEP_1) | instskip(NEXT) | instid1(VALU_DEP_1)
	v_add_f64_e64 v[22:23], v[18:19], -v[22:23]
	v_add_f64_e64 v[20:21], v[20:21], -v[22:23]
	v_cvt_i32_f64_e32 v22, v[24:25]
	s_delay_alu instid0(VALU_DEP_1) | instskip(NEXT) | instid1(VALU_DEP_3)
	v_ldexp_f64 v[18:19], v[18:19], v22
	v_ldexp_f64 v[20:21], v[20:21], v22
	s_delay_alu instid0(VALU_DEP_2) | instskip(SKIP_1) | instid1(TRANS32_DEP_1)
	v_rcp_f64_e32 v[22:23], v[18:19]
	v_nop
	v_fma_f64 v[24:25], -v[18:19], v[22:23], 1.0
	s_delay_alu instid0(VALU_DEP_1) | instskip(NEXT) | instid1(VALU_DEP_1)
	v_fmac_f64_e32 v[22:23], v[24:25], v[22:23]
	v_fma_f64 v[24:25], -v[18:19], v[22:23], 1.0
	s_delay_alu instid0(VALU_DEP_1) | instskip(NEXT) | instid1(VALU_DEP_1)
	v_fmac_f64_e32 v[22:23], v[24:25], v[22:23]
	v_mul_f64_e32 v[24:25], v[18:19], v[22:23]
	s_delay_alu instid0(VALU_DEP_1) | instskip(NEXT) | instid1(VALU_DEP_1)
	v_fma_f64 v[26:27], v[22:23], v[18:19], -v[24:25]
	v_fmac_f64_e32 v[26:27], v[22:23], v[20:21]
	s_delay_alu instid0(VALU_DEP_1) | instskip(NEXT) | instid1(VALU_DEP_1)
	v_add_f64_e32 v[28:29], v[24:25], v[26:27]
	v_add_f64_e64 v[30:31], -v[28:29], 1.0
	v_add_f64_e64 v[24:25], v[28:29], -v[24:25]
	s_delay_alu instid0(VALU_DEP_2) | instskip(NEXT) | instid1(VALU_DEP_2)
	v_add_f64_e64 v[32:33], -v[30:31], 1.0
	v_add_f64_e64 v[24:25], v[24:25], -v[26:27]
	s_delay_alu instid0(VALU_DEP_2) | instskip(NEXT) | instid1(VALU_DEP_1)
	v_add_f64_e64 v[28:29], v[32:33], -v[28:29]
	v_add_f64_e32 v[24:25], v[24:25], v[28:29]
	s_delay_alu instid0(VALU_DEP_1) | instskip(NEXT) | instid1(VALU_DEP_1)
	v_add_f64_e32 v[26:27], v[30:31], v[24:25]
	v_add_f64_e64 v[28:29], v[30:31], -v[26:27]
	s_delay_alu instid0(VALU_DEP_1) | instskip(SKIP_1) | instid1(VALU_DEP_1)
	v_add_f64_e32 v[24:25], v[24:25], v[28:29]
	v_mul_f64_e32 v[28:29], v[22:23], v[26:27]
	v_mul_f64_e32 v[30:31], v[18:19], v[28:29]
	s_delay_alu instid0(VALU_DEP_1) | instskip(NEXT) | instid1(VALU_DEP_1)
	v_fma_f64 v[32:33], v[28:29], v[18:19], -v[30:31]
	v_fmac_f64_e32 v[32:33], v[28:29], v[20:21]
	s_delay_alu instid0(VALU_DEP_1) | instskip(NEXT) | instid1(VALU_DEP_1)
	v_add_f64_e32 v[34:35], v[30:31], v[32:33]
	v_add_f64_e64 v[36:37], v[26:27], -v[34:35]
	v_add_f64_e64 v[30:31], v[34:35], -v[30:31]
	s_delay_alu instid0(VALU_DEP_2) | instskip(NEXT) | instid1(VALU_DEP_1)
	v_add_f64_e64 v[26:27], v[26:27], -v[36:37]
	v_add_f64_e64 v[26:27], v[26:27], -v[34:35]
	s_delay_alu instid0(VALU_DEP_1) | instskip(NEXT) | instid1(VALU_DEP_4)
	v_add_f64_e32 v[24:25], v[24:25], v[26:27]
	v_add_f64_e64 v[26:27], v[30:31], -v[32:33]
	s_delay_alu instid0(VALU_DEP_1) | instskip(SKIP_1) | instid1(VALU_DEP_2)
	v_add_f64_e32 v[24:25], v[26:27], v[24:25]
	v_add_f64_e32 v[26:27], v[22:23], v[28:29]
	;; [unrolled: 1-line block ×3, first 2 shown]
	s_delay_alu instid0(VALU_DEP_1) | instskip(NEXT) | instid1(VALU_DEP_3)
	v_mul_f64_e32 v[24:25], v[22:23], v[24:25]
	v_add_f64_e64 v[22:23], v[26:27], -v[22:23]
	s_delay_alu instid0(VALU_DEP_1) | instskip(NEXT) | instid1(VALU_DEP_1)
	v_add_f64_e64 v[22:23], v[28:29], -v[22:23]
	v_add_f64_e32 v[22:23], v[22:23], v[24:25]
	s_delay_alu instid0(VALU_DEP_1) | instskip(NEXT) | instid1(VALU_DEP_1)
	v_add_f64_e32 v[24:25], v[26:27], v[22:23]
	v_add_f64_e64 v[26:27], v[24:25], -v[26:27]
	v_ldexp_f64 v[24:25], v[24:25], -2
	s_delay_alu instid0(VALU_DEP_2) | instskip(NEXT) | instid1(VALU_DEP_2)
	v_add_f64_e64 v[22:23], v[22:23], -v[26:27]
	v_add_f64_e64 v[26:27], v[18:19], -v[24:25]
	s_delay_alu instid0(VALU_DEP_2) | instskip(NEXT) | instid1(VALU_DEP_2)
	v_ldexp_f64 v[22:23], v[22:23], -2
	v_add_f64_e64 v[18:19], v[18:19], -v[26:27]
	s_delay_alu instid0(VALU_DEP_1) | instskip(NEXT) | instid1(VALU_DEP_1)
	v_add_f64_e64 v[18:19], v[18:19], -v[24:25]
	v_add_f64_e32 v[18:19], v[20:21], v[18:19]
	s_delay_alu instid0(VALU_DEP_1) | instskip(NEXT) | instid1(VALU_DEP_1)
	v_add_f64_e64 v[18:19], v[18:19], -v[22:23]
	v_add_f64_e32 v[18:19], v[26:27], v[18:19]
	s_delay_alu instid0(VALU_DEP_1) | instskip(NEXT) | instid1(VALU_DEP_2)
	v_cndmask_b32_e32 v19, 0x7ff00000, v19, vcc_lo
	v_cndmask_b32_e32 v18, 0, v18, vcc_lo
	v_cmp_gt_f64_e64 vcc_lo, 0x3e400000, |v[4:5]|
	s_delay_alu instid0(VALU_DEP_2) | instskip(SKIP_2) | instid1(VALU_DEP_3)
	v_dual_cndmask_b32 v1, v19, v1 :: v_dual_cndmask_b32 v4, v18, v4
	v_add_nc_u64_e32 v[18:19], s[6:7], v[14:15]
	v_add_nc_u64_e32 v[14:15], s[16:17], v[14:15]
	v_bfi_b32 v5, 0x7fffffff, v1, v5
	s_clause 0x1
	global_store_b128 v[18:19], v[6:9], off
	global_store_b128 v[18:19], v[2:5], off offset:16
	s_wait_xcnt 0x0
	v_lshlrev_b64_e32 v[2:3], 2, v[16:17]
	s_delay_alu instid0(VALU_DEP_1) | instskip(SKIP_1) | instid1(SALU_CYCLE_1)
	v_cmp_ge_i64_e32 vcc_lo, v[2:3], v[10:11]
	s_or_b32 s19, vcc_lo, s19
	s_and_not1_b32 exec_lo, exec_lo, s19
	s_cbranch_execnz .LBB117_3
.LBB117_4:
	s_or_b32 exec_lo, exec_lo, s18
	s_mov_b32 s10, 0
.LBB117_5:
	s_delay_alu instid0(SALU_CYCLE_1)
	s_and_not1_b32 vcc_lo, exec_lo, s10
	s_cbranch_vccnz .LBB117_25
; %bb.6:
	v_cmp_lt_i64_e64 s10, s[8:9], 1
	s_and_b32 vcc_lo, exec_lo, s10
	s_cbranch_vccnz .LBB117_25
; %bb.7:
	s_load_b32 s0, s[0:1], 0xc5c
	v_min_i64 v[2:3], 0x10000, s[8:9]
	v_min_u64 v[4:5], 0x10000, s[8:9]
	v_dual_mov_b32 v1, 0 :: v_dual_lshlrev_b32 v12, 3, v0
	s_mov_b32 s13, 0
	v_mov_b64_e32 v[6:7], 0x3e928af3fca7ab0c
	s_mov_b32 s15, s13
	s_delay_alu instid0(VALU_DEP_2)
	v_dual_mov_b32 v13, v1 :: v_dual_mov_b32 v29, v1
	s_wait_xcnt 0x0
	s_mov_b32 s1, s13
	s_mov_b32 s11, s13
	s_mov_b64 s[8:9], 0xbfe62e42fefa39ef
	v_add_nc_u64_e32 v[8:9], s[2:3], v[12:13]
                                        ; implicit-def: $vgpr30_vgpr31
                                        ; implicit-def: $vgpr30_vgpr31
                                        ; implicit-def: $vgpr30_vgpr31
                                        ; implicit-def: $vgpr30_vgpr31
                                        ; implicit-def: $vgpr30_vgpr31
                                        ; implicit-def: $vgpr30_vgpr31
                                        ; implicit-def: $vgpr30_vgpr31
                                        ; implicit-def: $vgpr30_vgpr31
	s_wait_kmcnt 0x0
	s_and_b32 s12, s0, 0xffff
	s_delay_alu instid0(SALU_CYCLE_1)
	v_add_nc_u64_e32 v[10:11], s[12:13], v[0:1]
	v_mad_nc_u64_u32 v[24:25], s12, 24, v[12:13]
	s_lshl_b32 s14, s12, 4
	s_mul_i32 s10, s12, 3
	v_add_nc_u64_e32 v[20:21], s[14:15], v[12:13]
	s_lshl_b32 s0, s12, 1
	v_add_nc_u64_e32 v[12:13], s[6:7], v[12:13]
	v_lshlrev_b32_e32 v28, 3, v10
	v_add_nc_u64_e32 v[14:15], s[10:11], v[0:1]
	v_add_nc_u64_e32 v[16:17], s[0:1], v[0:1]
	s_lshl_b32 s10, s12, 2
	v_add_nc_u64_e32 v[18:19], s[2:3], v[20:21]
	v_add_nc_u64_e32 v[20:21], s[6:7], v[20:21]
	;; [unrolled: 1-line block ×6, first 2 shown]
	s_mov_b64 s[6:7], 0x408633ce8fb9f87e
	s_lshl_b32 s12, s12, 5
	s_mov_b64 s[14:15], 0
	s_branch .LBB117_9
.LBB117_8:                              ;   in Loop: Header=BB117_9 Depth=1
	s_wait_xcnt 0x0
	s_or_b32 exec_lo, exec_lo, s0
	s_add_nc_u64 s[14:15], s[14:15], s[10:11]
	v_add_nc_u64_e32 v[8:9], s[12:13], v[8:9]
	v_cmp_ge_i64_e32 vcc_lo, s[14:15], v[2:3]
	v_add_nc_u64_e32 v[12:13], s[12:13], v[12:13]
	v_add_nc_u64_e32 v[22:23], s[12:13], v[22:23]
	;; [unrolled: 1-line block ×7, first 2 shown]
	s_cbranch_vccnz .LBB117_25
.LBB117_9:                              ; =>This Inner Loop Header: Depth=1
	s_wait_loadcnt 0x0
	v_add_nc_u64_e32 v[30:31], s[14:15], v[0:1]
	v_mov_b64_e32 v[34:35], 0
	v_mov_b64_e32 v[36:37], 0
	s_delay_alu instid0(VALU_DEP_3)
	v_cmp_lt_u64_e64 s2, v[30:31], v[4:5]
	s_and_saveexec_b32 s0, s2
	s_cbranch_execz .LBB117_11
; %bb.10:                               ;   in Loop: Header=BB117_9 Depth=1
	v_add_nc_u64_e32 v[30:31], s[4:5], v[8:9]
	global_load_b64 v[36:37], v[30:31], off
.LBB117_11:                             ;   in Loop: Header=BB117_9 Depth=1
	s_wait_xcnt 0x0
	s_or_b32 exec_lo, exec_lo, s0
	v_add_nc_u64_e32 v[30:31], s[14:15], v[10:11]
	s_delay_alu instid0(VALU_DEP_1)
	v_cmp_lt_u64_e64 s1, v[30:31], v[4:5]
	s_and_saveexec_b32 s0, s1
	s_cbranch_execz .LBB117_13
; %bb.12:                               ;   in Loop: Header=BB117_9 Depth=1
	v_add_nc_u64_e32 v[30:31], s[4:5], v[26:27]
	global_load_b64 v[34:35], v[30:31], off
.LBB117_13:                             ;   in Loop: Header=BB117_9 Depth=1
	s_wait_xcnt 0x0
	s_or_b32 exec_lo, exec_lo, s0
	v_add_nc_u64_e32 v[32:33], s[14:15], v[16:17]
	v_mov_b64_e32 v[30:31], 0
	s_delay_alu instid0(VALU_DEP_2)
	v_cmp_lt_u64_e64 s0, v[32:33], v[4:5]
	v_mov_b64_e32 v[32:33], 0
	s_and_saveexec_b32 s3, s0
	s_cbranch_execz .LBB117_15
; %bb.14:                               ;   in Loop: Header=BB117_9 Depth=1
	v_add_nc_u64_e32 v[32:33], s[4:5], v[18:19]
	global_load_b64 v[32:33], v[32:33], off
.LBB117_15:                             ;   in Loop: Header=BB117_9 Depth=1
	s_wait_xcnt 0x0
	s_or_b32 exec_lo, exec_lo, s3
	v_add_nc_u64_e32 v[38:39], s[14:15], v[14:15]
	s_delay_alu instid0(VALU_DEP_1)
	v_cmp_lt_u64_e32 vcc_lo, v[38:39], v[4:5]
	s_and_saveexec_b32 s3, vcc_lo
	s_cbranch_execnz .LBB117_20
; %bb.16:                               ;   in Loop: Header=BB117_9 Depth=1
	s_or_b32 exec_lo, exec_lo, s3
	s_and_saveexec_b32 s3, s2
	s_cbranch_execnz .LBB117_21
.LBB117_17:                             ;   in Loop: Header=BB117_9 Depth=1
	s_or_b32 exec_lo, exec_lo, s3
	s_and_saveexec_b32 s2, s1
	s_cbranch_execnz .LBB117_22
.LBB117_18:                             ;   in Loop: Header=BB117_9 Depth=1
	s_or_b32 exec_lo, exec_lo, s2
	s_and_saveexec_b32 s1, s0
	s_cbranch_execnz .LBB117_23
.LBB117_19:                             ;   in Loop: Header=BB117_9 Depth=1
	s_or_b32 exec_lo, exec_lo, s1
	s_and_saveexec_b32 s0, vcc_lo
	s_cbranch_execz .LBB117_8
	s_branch .LBB117_24
.LBB117_20:                             ;   in Loop: Header=BB117_9 Depth=1
	v_add_nc_u64_e32 v[30:31], s[4:5], v[22:23]
	global_load_b64 v[30:31], v[30:31], off
	s_wait_xcnt 0x0
	s_or_b32 exec_lo, exec_lo, s3
	s_and_saveexec_b32 s3, s2
	s_cbranch_execz .LBB117_17
.LBB117_21:                             ;   in Loop: Header=BB117_9 Depth=1
	s_wait_loadcnt 0x0
	v_add_f64_e64 v[38:39], |v[36:37]|, s[8:9]
	v_cmp_nge_f64_e64 s2, |v[36:37]|, s[6:7]
	s_delay_alu instid0(VALU_DEP_2) | instskip(NEXT) | instid1(VALU_DEP_1)
	v_add_f64_e64 v[40:41], v[38:39], -|v[36:37]|
	v_add_f64_e64 v[42:43], v[40:41], -v[38:39]
	v_add_f64_e32 v[40:41], 0x3fe62e42fefa39ef, v[40:41]
	s_delay_alu instid0(VALU_DEP_2) | instskip(NEXT) | instid1(VALU_DEP_1)
	v_add_f64_e64 v[42:43], |v[36:37]|, v[42:43]
	v_add_f64_e64 v[40:41], v[42:43], -v[40:41]
	s_delay_alu instid0(VALU_DEP_1) | instskip(NEXT) | instid1(VALU_DEP_1)
	v_add_f64_e32 v[40:41], 0xbc7abc9e3b39803f, v[40:41]
	v_add_f64_e32 v[42:43], v[38:39], v[40:41]
	s_delay_alu instid0(VALU_DEP_1) | instskip(SKIP_1) | instid1(VALU_DEP_2)
	v_mul_f64_e32 v[44:45], 0x3ff71547652b82fe, v[42:43]
	v_add_f64_e64 v[38:39], v[38:39], -v[42:43]
	v_rndne_f64_e32 v[44:45], v[44:45]
	s_delay_alu instid0(VALU_DEP_2) | instskip(NEXT) | instid1(VALU_DEP_2)
	v_add_f64_e32 v[38:39], v[40:41], v[38:39]
	v_fmac_f64_e32 v[42:43], 0xbfe62e42fefa3000, v[44:45]
	v_mul_f64_e32 v[40:41], 0xbd53de6af278e000, v[44:45]
	s_delay_alu instid0(VALU_DEP_2) | instskip(NEXT) | instid1(VALU_DEP_1)
	v_add_f64_e32 v[46:47], v[38:39], v[42:43]
	v_add_f64_e32 v[48:49], v[46:47], v[40:41]
	v_add_f64_e64 v[42:43], v[42:43], -v[46:47]
	s_delay_alu instid0(VALU_DEP_2) | instskip(NEXT) | instid1(VALU_DEP_2)
	v_add_f64_e64 v[46:47], v[46:47], -v[48:49]
	v_add_f64_e32 v[38:39], v[38:39], v[42:43]
	s_delay_alu instid0(VALU_DEP_2) | instskip(NEXT) | instid1(VALU_DEP_1)
	v_add_f64_e32 v[40:41], v[46:47], v[40:41]
	v_add_f64_e32 v[38:39], v[38:39], v[40:41]
	v_mul_f64_e32 v[40:41], 0xbac9cc01f97b57a0, v[44:45]
	s_delay_alu instid0(VALU_DEP_2) | instskip(NEXT) | instid1(VALU_DEP_1)
	v_add_f64_e32 v[42:43], v[48:49], v[38:39]
	v_add_f64_e32 v[46:47], v[42:43], v[40:41]
	v_add_f64_e64 v[48:49], v[48:49], -v[42:43]
	s_delay_alu instid0(VALU_DEP_2) | instskip(NEXT) | instid1(VALU_DEP_2)
	v_add_f64_e64 v[42:43], v[42:43], -v[46:47]
	v_add_f64_e32 v[38:39], v[38:39], v[48:49]
	s_delay_alu instid0(VALU_DEP_2) | instskip(NEXT) | instid1(VALU_DEP_1)
	v_add_f64_e32 v[40:41], v[42:43], v[40:41]
	v_add_f64_e32 v[38:39], v[38:39], v[40:41]
	s_delay_alu instid0(VALU_DEP_1) | instskip(NEXT) | instid1(VALU_DEP_1)
	v_add_f64_e32 v[40:41], v[46:47], v[38:39]
	v_add_f64_e64 v[42:43], v[46:47], -v[40:41]
	v_mul_f64_e32 v[46:47], v[40:41], v[40:41]
	s_delay_alu instid0(VALU_DEP_2) | instskip(NEXT) | instid1(VALU_DEP_2)
	v_add_f64_e32 v[38:39], v[38:39], v[42:43]
	v_fma_f64 v[42:43], v[40:41], v[40:41], -v[46:47]
	s_delay_alu instid0(VALU_DEP_2) | instskip(NEXT) | instid1(VALU_DEP_1)
	v_add_f64_e32 v[48:49], v[38:39], v[38:39]
	v_fmac_f64_e32 v[42:43], v[40:41], v[48:49]
	v_fmamk_f64 v[48:49], v[40:41], 0x3e5ade156a5dcb37, v[6:7]
	s_delay_alu instid0(VALU_DEP_1) | instskip(NEXT) | instid1(VALU_DEP_1)
	v_fmaak_f64 v[48:49], v[40:41], v[48:49], 0x3ec71dee623fde64
	v_fmaak_f64 v[48:49], v[40:41], v[48:49], 0x3efa01997c89e6b0
	s_delay_alu instid0(VALU_DEP_1) | instskip(NEXT) | instid1(VALU_DEP_1)
	v_fmaak_f64 v[48:49], v[40:41], v[48:49], 0x3f2a01a014761f6e
	v_fmaak_f64 v[48:49], v[40:41], v[48:49], 0x3f56c16c1852b7b0
	v_add_f64_e32 v[50:51], v[46:47], v[42:43]
	s_delay_alu instid0(VALU_DEP_2) | instskip(NEXT) | instid1(VALU_DEP_1)
	v_fmaak_f64 v[48:49], v[40:41], v[48:49], 0x3f81111111122322
	v_fmaak_f64 v[48:49], v[40:41], v[48:49], 0x3fa55555555502a1
	s_delay_alu instid0(VALU_DEP_1) | instskip(NEXT) | instid1(VALU_DEP_1)
	v_fmaak_f64 v[48:49], v[40:41], v[48:49], 0x3fc5555555555511
	v_fmaak_f64 v[48:49], v[40:41], v[48:49], 0x3fe000000000000b
	v_add_f64_e64 v[46:47], v[50:51], -v[46:47]
	s_delay_alu instid0(VALU_DEP_2) | instskip(NEXT) | instid1(VALU_DEP_2)
	v_mul_f64_e32 v[52:53], v[50:51], v[48:49]
	v_add_f64_e64 v[42:43], v[42:43], -v[46:47]
	s_delay_alu instid0(VALU_DEP_2) | instskip(NEXT) | instid1(VALU_DEP_1)
	v_fma_f64 v[46:47], v[50:51], v[48:49], -v[52:53]
	v_fmac_f64_e32 v[46:47], v[42:43], v[48:49]
	s_delay_alu instid0(VALU_DEP_1) | instskip(NEXT) | instid1(VALU_DEP_1)
	v_add_f64_e32 v[42:43], v[52:53], v[46:47]
	v_add_f64_e64 v[48:49], v[42:43], -v[52:53]
	v_add_f64_e32 v[50:51], v[40:41], v[42:43]
	s_delay_alu instid0(VALU_DEP_2) | instskip(NEXT) | instid1(VALU_DEP_2)
	v_add_f64_e64 v[46:47], v[46:47], -v[48:49]
	v_add_f64_e64 v[40:41], v[50:51], -v[40:41]
	s_delay_alu instid0(VALU_DEP_2) | instskip(NEXT) | instid1(VALU_DEP_2)
	v_add_f64_e32 v[38:39], v[38:39], v[46:47]
	v_add_f64_e64 v[40:41], v[42:43], -v[40:41]
	s_delay_alu instid0(VALU_DEP_1) | instskip(NEXT) | instid1(VALU_DEP_1)
	v_add_f64_e32 v[38:39], v[38:39], v[40:41]
	v_add_f64_e32 v[40:41], v[50:51], v[38:39]
	s_delay_alu instid0(VALU_DEP_1) | instskip(SKIP_2) | instid1(VALU_DEP_3)
	v_add_f64_e32 v[42:43], 1.0, v[40:41]
	v_add_f64_e64 v[46:47], v[40:41], -v[50:51]
	v_cvt_i32_f64_e32 v50, v[44:45]
	v_add_f64_e32 v[48:49], -1.0, v[42:43]
	s_delay_alu instid0(VALU_DEP_3) | instskip(NEXT) | instid1(VALU_DEP_2)
	v_add_f64_e64 v[38:39], v[38:39], -v[46:47]
	v_add_f64_e64 v[40:41], v[40:41], -v[48:49]
	s_delay_alu instid0(VALU_DEP_1) | instskip(NEXT) | instid1(VALU_DEP_1)
	v_add_f64_e32 v[38:39], v[38:39], v[40:41]
	v_add_f64_e32 v[40:41], v[42:43], v[38:39]
	s_delay_alu instid0(VALU_DEP_1) | instskip(SKIP_1) | instid1(VALU_DEP_2)
	v_ldexp_f64 v[44:45], v[40:41], v50
	v_add_f64_e64 v[40:41], v[40:41], -v[42:43]
	v_rcp_f64_e32 v[46:47], v[44:45]
	s_delay_alu instid0(VALU_DEP_1) | instskip(NEXT) | instid1(VALU_DEP_1)
	v_add_f64_e64 v[38:39], v[38:39], -v[40:41]
	v_ldexp_f64 v[38:39], v[38:39], v50
	s_delay_alu instid0(TRANS32_DEP_1) | instskip(NEXT) | instid1(VALU_DEP_1)
	v_fma_f64 v[48:49], -v[44:45], v[46:47], 1.0
	v_fmac_f64_e32 v[46:47], v[48:49], v[46:47]
	s_delay_alu instid0(VALU_DEP_1) | instskip(NEXT) | instid1(VALU_DEP_1)
	v_fma_f64 v[48:49], -v[44:45], v[46:47], 1.0
	v_fmac_f64_e32 v[46:47], v[48:49], v[46:47]
	s_delay_alu instid0(VALU_DEP_1) | instskip(NEXT) | instid1(VALU_DEP_1)
	v_mul_f64_e32 v[40:41], v[44:45], v[46:47]
	v_fma_f64 v[42:43], v[46:47], v[44:45], -v[40:41]
	s_delay_alu instid0(VALU_DEP_1) | instskip(NEXT) | instid1(VALU_DEP_1)
	v_fmac_f64_e32 v[42:43], v[46:47], v[38:39]
	v_add_f64_e32 v[48:49], v[40:41], v[42:43]
	s_delay_alu instid0(VALU_DEP_1) | instskip(SKIP_1) | instid1(VALU_DEP_2)
	v_add_f64_e64 v[50:51], -v[48:49], 1.0
	v_add_f64_e64 v[40:41], v[48:49], -v[40:41]
	v_add_f64_e64 v[52:53], -v[50:51], 1.0
	s_delay_alu instid0(VALU_DEP_2) | instskip(NEXT) | instid1(VALU_DEP_2)
	v_add_f64_e64 v[40:41], v[40:41], -v[42:43]
	v_add_f64_e64 v[42:43], v[52:53], -v[48:49]
	s_delay_alu instid0(VALU_DEP_1) | instskip(NEXT) | instid1(VALU_DEP_1)
	v_add_f64_e32 v[40:41], v[40:41], v[42:43]
	v_add_f64_e32 v[42:43], v[50:51], v[40:41]
	s_delay_alu instid0(VALU_DEP_1) | instskip(SKIP_1) | instid1(VALU_DEP_2)
	v_mul_f64_e32 v[48:49], v[46:47], v[42:43]
	v_add_f64_e64 v[50:51], v[50:51], -v[42:43]
	v_mul_f64_e32 v[52:53], v[44:45], v[48:49]
	s_delay_alu instid0(VALU_DEP_2) | instskip(NEXT) | instid1(VALU_DEP_2)
	v_add_f64_e32 v[40:41], v[40:41], v[50:51]
	v_fma_f64 v[54:55], v[48:49], v[44:45], -v[52:53]
	s_delay_alu instid0(VALU_DEP_1) | instskip(NEXT) | instid1(VALU_DEP_1)
	v_fmac_f64_e32 v[54:55], v[48:49], v[38:39]
	v_add_f64_e32 v[56:57], v[52:53], v[54:55]
	s_delay_alu instid0(VALU_DEP_1) | instskip(SKIP_1) | instid1(VALU_DEP_2)
	v_add_f64_e64 v[58:59], v[42:43], -v[56:57]
	v_add_f64_e64 v[50:51], v[56:57], -v[52:53]
	;; [unrolled: 1-line block ×3, first 2 shown]
	s_delay_alu instid0(VALU_DEP_2) | instskip(NEXT) | instid1(VALU_DEP_2)
	v_add_f64_e64 v[50:51], v[50:51], -v[54:55]
	v_add_f64_e64 v[42:43], v[42:43], -v[56:57]
	s_delay_alu instid0(VALU_DEP_1) | instskip(SKIP_1) | instid1(VALU_DEP_2)
	v_add_f64_e32 v[40:41], v[40:41], v[42:43]
	v_add_f64_e32 v[42:43], v[46:47], v[48:49]
	;; [unrolled: 1-line block ×3, first 2 shown]
	s_delay_alu instid0(VALU_DEP_2) | instskip(NEXT) | instid1(VALU_DEP_2)
	v_add_f64_e64 v[50:51], v[42:43], -v[46:47]
	v_add_f64_e32 v[40:41], v[58:59], v[40:41]
	s_delay_alu instid0(VALU_DEP_2) | instskip(NEXT) | instid1(VALU_DEP_2)
	v_add_f64_e64 v[48:49], v[48:49], -v[50:51]
	v_mul_f64_e32 v[40:41], v[46:47], v[40:41]
	s_delay_alu instid0(VALU_DEP_1) | instskip(NEXT) | instid1(VALU_DEP_1)
	v_add_f64_e32 v[40:41], v[48:49], v[40:41]
	v_add_f64_e32 v[46:47], v[42:43], v[40:41]
	s_delay_alu instid0(VALU_DEP_1) | instskip(SKIP_1) | instid1(VALU_DEP_2)
	v_ldexp_f64 v[48:49], v[46:47], -2
	v_add_f64_e64 v[42:43], v[46:47], -v[42:43]
	v_add_f64_e64 v[50:51], v[44:45], -v[48:49]
	s_delay_alu instid0(VALU_DEP_2) | instskip(NEXT) | instid1(VALU_DEP_2)
	v_add_f64_e64 v[40:41], v[40:41], -v[42:43]
	v_add_f64_e64 v[44:45], v[44:45], -v[50:51]
	s_delay_alu instid0(VALU_DEP_2) | instskip(NEXT) | instid1(VALU_DEP_2)
	v_ldexp_f64 v[40:41], v[40:41], -2
	v_add_f64_e64 v[42:43], v[44:45], -v[48:49]
	s_delay_alu instid0(VALU_DEP_1) | instskip(NEXT) | instid1(VALU_DEP_1)
	v_add_f64_e32 v[38:39], v[38:39], v[42:43]
	v_add_f64_e64 v[38:39], v[38:39], -v[40:41]
	v_and_b32_e32 v40, 0x7fffffff, v37
	s_delay_alu instid0(VALU_DEP_2) | instskip(NEXT) | instid1(VALU_DEP_1)
	v_add_f64_e32 v[38:39], v[50:51], v[38:39]
	v_cndmask_b32_e64 v39, 0x7ff00000, v39, s2
	s_delay_alu instid0(VALU_DEP_2) | instskip(SKIP_1) | instid1(VALU_DEP_1)
	v_cndmask_b32_e64 v38, 0, v38, s2
	v_cmp_gt_f64_e64 s2, 0x3e400000, |v[36:37]|
	v_cndmask_b32_e64 v40, v39, v40, s2
	s_delay_alu instid0(VALU_DEP_3) | instskip(SKIP_1) | instid1(VALU_DEP_3)
	v_cndmask_b32_e64 v36, v38, v36, s2
	v_add_nc_u64_e32 v[38:39], s[4:5], v[12:13]
	v_bfi_b32 v37, 0x7fffffff, v40, v37
	global_store_b64 v[38:39], v[36:37], off
	s_wait_xcnt 0x0
	s_or_b32 exec_lo, exec_lo, s3
	s_and_saveexec_b32 s2, s1
	s_cbranch_execz .LBB117_18
.LBB117_22:                             ;   in Loop: Header=BB117_9 Depth=1
	s_wait_loadcnt 0x0
	v_add_f64_e64 v[36:37], |v[34:35]|, s[8:9]
	v_cmp_nge_f64_e64 s1, |v[34:35]|, s[6:7]
	s_delay_alu instid0(VALU_DEP_2) | instskip(NEXT) | instid1(VALU_DEP_1)
	v_add_f64_e64 v[38:39], v[36:37], -|v[34:35]|
	v_add_f64_e64 v[40:41], v[38:39], -v[36:37]
	v_add_f64_e32 v[38:39], 0x3fe62e42fefa39ef, v[38:39]
	s_delay_alu instid0(VALU_DEP_2) | instskip(NEXT) | instid1(VALU_DEP_1)
	v_add_f64_e64 v[40:41], |v[34:35]|, v[40:41]
	v_add_f64_e64 v[38:39], v[40:41], -v[38:39]
	s_delay_alu instid0(VALU_DEP_1) | instskip(NEXT) | instid1(VALU_DEP_1)
	v_add_f64_e32 v[38:39], 0xbc7abc9e3b39803f, v[38:39]
	v_add_f64_e32 v[40:41], v[36:37], v[38:39]
	s_delay_alu instid0(VALU_DEP_1) | instskip(SKIP_1) | instid1(VALU_DEP_2)
	v_mul_f64_e32 v[42:43], 0x3ff71547652b82fe, v[40:41]
	v_add_f64_e64 v[36:37], v[36:37], -v[40:41]
	v_rndne_f64_e32 v[42:43], v[42:43]
	s_delay_alu instid0(VALU_DEP_2) | instskip(NEXT) | instid1(VALU_DEP_2)
	v_add_f64_e32 v[36:37], v[38:39], v[36:37]
	v_fmac_f64_e32 v[40:41], 0xbfe62e42fefa3000, v[42:43]
	v_mul_f64_e32 v[38:39], 0xbd53de6af278e000, v[42:43]
	s_delay_alu instid0(VALU_DEP_2) | instskip(NEXT) | instid1(VALU_DEP_1)
	v_add_f64_e32 v[44:45], v[36:37], v[40:41]
	v_add_f64_e32 v[46:47], v[44:45], v[38:39]
	v_add_f64_e64 v[40:41], v[40:41], -v[44:45]
	s_delay_alu instid0(VALU_DEP_2) | instskip(NEXT) | instid1(VALU_DEP_2)
	v_add_f64_e64 v[44:45], v[44:45], -v[46:47]
	v_add_f64_e32 v[36:37], v[36:37], v[40:41]
	s_delay_alu instid0(VALU_DEP_2) | instskip(NEXT) | instid1(VALU_DEP_1)
	v_add_f64_e32 v[38:39], v[44:45], v[38:39]
	v_add_f64_e32 v[36:37], v[36:37], v[38:39]
	v_mul_f64_e32 v[38:39], 0xbac9cc01f97b57a0, v[42:43]
	s_delay_alu instid0(VALU_DEP_2) | instskip(NEXT) | instid1(VALU_DEP_1)
	v_add_f64_e32 v[40:41], v[46:47], v[36:37]
	v_add_f64_e32 v[44:45], v[40:41], v[38:39]
	v_add_f64_e64 v[46:47], v[46:47], -v[40:41]
	s_delay_alu instid0(VALU_DEP_2) | instskip(NEXT) | instid1(VALU_DEP_2)
	v_add_f64_e64 v[40:41], v[40:41], -v[44:45]
	v_add_f64_e32 v[36:37], v[36:37], v[46:47]
	s_delay_alu instid0(VALU_DEP_2) | instskip(NEXT) | instid1(VALU_DEP_1)
	v_add_f64_e32 v[38:39], v[40:41], v[38:39]
	v_add_f64_e32 v[36:37], v[36:37], v[38:39]
	s_delay_alu instid0(VALU_DEP_1) | instskip(NEXT) | instid1(VALU_DEP_1)
	v_add_f64_e32 v[38:39], v[44:45], v[36:37]
	v_add_f64_e64 v[40:41], v[44:45], -v[38:39]
	v_mul_f64_e32 v[44:45], v[38:39], v[38:39]
	s_delay_alu instid0(VALU_DEP_2) | instskip(NEXT) | instid1(VALU_DEP_2)
	v_add_f64_e32 v[36:37], v[36:37], v[40:41]
	v_fma_f64 v[40:41], v[38:39], v[38:39], -v[44:45]
	s_delay_alu instid0(VALU_DEP_2) | instskip(NEXT) | instid1(VALU_DEP_1)
	v_add_f64_e32 v[46:47], v[36:37], v[36:37]
	v_fmac_f64_e32 v[40:41], v[38:39], v[46:47]
	v_fmamk_f64 v[46:47], v[38:39], 0x3e5ade156a5dcb37, v[6:7]
	s_delay_alu instid0(VALU_DEP_1) | instskip(NEXT) | instid1(VALU_DEP_1)
	v_fmaak_f64 v[46:47], v[38:39], v[46:47], 0x3ec71dee623fde64
	v_fmaak_f64 v[46:47], v[38:39], v[46:47], 0x3efa01997c89e6b0
	s_delay_alu instid0(VALU_DEP_1) | instskip(NEXT) | instid1(VALU_DEP_1)
	v_fmaak_f64 v[46:47], v[38:39], v[46:47], 0x3f2a01a014761f6e
	v_fmaak_f64 v[46:47], v[38:39], v[46:47], 0x3f56c16c1852b7b0
	v_add_f64_e32 v[48:49], v[44:45], v[40:41]
	s_delay_alu instid0(VALU_DEP_2) | instskip(NEXT) | instid1(VALU_DEP_1)
	v_fmaak_f64 v[46:47], v[38:39], v[46:47], 0x3f81111111122322
	v_fmaak_f64 v[46:47], v[38:39], v[46:47], 0x3fa55555555502a1
	s_delay_alu instid0(VALU_DEP_1) | instskip(NEXT) | instid1(VALU_DEP_1)
	v_fmaak_f64 v[46:47], v[38:39], v[46:47], 0x3fc5555555555511
	v_fmaak_f64 v[46:47], v[38:39], v[46:47], 0x3fe000000000000b
	v_add_f64_e64 v[44:45], v[48:49], -v[44:45]
	s_delay_alu instid0(VALU_DEP_2) | instskip(NEXT) | instid1(VALU_DEP_2)
	v_mul_f64_e32 v[50:51], v[48:49], v[46:47]
	v_add_f64_e64 v[40:41], v[40:41], -v[44:45]
	s_delay_alu instid0(VALU_DEP_2) | instskip(NEXT) | instid1(VALU_DEP_1)
	v_fma_f64 v[44:45], v[48:49], v[46:47], -v[50:51]
	v_fmac_f64_e32 v[44:45], v[40:41], v[46:47]
	s_delay_alu instid0(VALU_DEP_1) | instskip(NEXT) | instid1(VALU_DEP_1)
	v_add_f64_e32 v[40:41], v[50:51], v[44:45]
	v_add_f64_e32 v[46:47], v[38:39], v[40:41]
	v_add_f64_e64 v[48:49], v[40:41], -v[50:51]
	s_delay_alu instid0(VALU_DEP_2) | instskip(NEXT) | instid1(VALU_DEP_2)
	v_add_f64_e64 v[38:39], v[46:47], -v[38:39]
	v_add_f64_e64 v[44:45], v[44:45], -v[48:49]
	v_cvt_i32_f64_e32 v48, v[42:43]
	s_delay_alu instid0(VALU_DEP_3) | instskip(NEXT) | instid1(VALU_DEP_3)
	v_add_f64_e64 v[38:39], v[40:41], -v[38:39]
	v_add_f64_e32 v[36:37], v[36:37], v[44:45]
	s_delay_alu instid0(VALU_DEP_1) | instskip(NEXT) | instid1(VALU_DEP_1)
	v_add_f64_e32 v[36:37], v[36:37], v[38:39]
	v_add_f64_e32 v[38:39], v[46:47], v[36:37]
	s_delay_alu instid0(VALU_DEP_1) | instskip(SKIP_1) | instid1(VALU_DEP_2)
	v_add_f64_e32 v[40:41], 1.0, v[38:39]
	v_add_f64_e64 v[44:45], v[38:39], -v[46:47]
	v_add_f64_e32 v[46:47], -1.0, v[40:41]
	s_delay_alu instid0(VALU_DEP_2) | instskip(NEXT) | instid1(VALU_DEP_2)
	v_add_f64_e64 v[36:37], v[36:37], -v[44:45]
	v_add_f64_e64 v[38:39], v[38:39], -v[46:47]
	s_delay_alu instid0(VALU_DEP_1) | instskip(NEXT) | instid1(VALU_DEP_1)
	v_add_f64_e32 v[36:37], v[36:37], v[38:39]
	v_add_f64_e32 v[38:39], v[40:41], v[36:37]
	s_delay_alu instid0(VALU_DEP_1) | instskip(SKIP_1) | instid1(VALU_DEP_2)
	v_ldexp_f64 v[42:43], v[38:39], v48
	v_add_f64_e64 v[38:39], v[38:39], -v[40:41]
	v_rcp_f64_e32 v[44:45], v[42:43]
	s_delay_alu instid0(VALU_DEP_1) | instskip(NEXT) | instid1(VALU_DEP_1)
	v_add_f64_e64 v[36:37], v[36:37], -v[38:39]
	v_ldexp_f64 v[36:37], v[36:37], v48
	s_delay_alu instid0(TRANS32_DEP_1) | instskip(NEXT) | instid1(VALU_DEP_1)
	v_fma_f64 v[46:47], -v[42:43], v[44:45], 1.0
	v_fmac_f64_e32 v[44:45], v[46:47], v[44:45]
	s_delay_alu instid0(VALU_DEP_1) | instskip(NEXT) | instid1(VALU_DEP_1)
	v_fma_f64 v[46:47], -v[42:43], v[44:45], 1.0
	v_fmac_f64_e32 v[44:45], v[46:47], v[44:45]
	s_delay_alu instid0(VALU_DEP_1) | instskip(NEXT) | instid1(VALU_DEP_1)
	v_mul_f64_e32 v[38:39], v[42:43], v[44:45]
	v_fma_f64 v[40:41], v[44:45], v[42:43], -v[38:39]
	s_delay_alu instid0(VALU_DEP_1) | instskip(NEXT) | instid1(VALU_DEP_1)
	v_fmac_f64_e32 v[40:41], v[44:45], v[36:37]
	v_add_f64_e32 v[46:47], v[38:39], v[40:41]
	s_delay_alu instid0(VALU_DEP_1) | instskip(SKIP_1) | instid1(VALU_DEP_2)
	v_add_f64_e64 v[48:49], -v[46:47], 1.0
	v_add_f64_e64 v[38:39], v[46:47], -v[38:39]
	v_add_f64_e64 v[50:51], -v[48:49], 1.0
	s_delay_alu instid0(VALU_DEP_2) | instskip(NEXT) | instid1(VALU_DEP_2)
	v_add_f64_e64 v[38:39], v[38:39], -v[40:41]
	v_add_f64_e64 v[40:41], v[50:51], -v[46:47]
	s_delay_alu instid0(VALU_DEP_1) | instskip(NEXT) | instid1(VALU_DEP_1)
	v_add_f64_e32 v[38:39], v[38:39], v[40:41]
	v_add_f64_e32 v[40:41], v[48:49], v[38:39]
	s_delay_alu instid0(VALU_DEP_1) | instskip(SKIP_1) | instid1(VALU_DEP_2)
	v_mul_f64_e32 v[46:47], v[44:45], v[40:41]
	v_add_f64_e64 v[48:49], v[48:49], -v[40:41]
	v_mul_f64_e32 v[50:51], v[42:43], v[46:47]
	s_delay_alu instid0(VALU_DEP_2) | instskip(NEXT) | instid1(VALU_DEP_2)
	v_add_f64_e32 v[38:39], v[38:39], v[48:49]
	v_fma_f64 v[52:53], v[46:47], v[42:43], -v[50:51]
	s_delay_alu instid0(VALU_DEP_1) | instskip(NEXT) | instid1(VALU_DEP_1)
	v_fmac_f64_e32 v[52:53], v[46:47], v[36:37]
	v_add_f64_e32 v[54:55], v[50:51], v[52:53]
	s_delay_alu instid0(VALU_DEP_1) | instskip(SKIP_1) | instid1(VALU_DEP_2)
	v_add_f64_e64 v[56:57], v[40:41], -v[54:55]
	v_add_f64_e64 v[48:49], v[54:55], -v[50:51]
	;; [unrolled: 1-line block ×3, first 2 shown]
	s_delay_alu instid0(VALU_DEP_2) | instskip(NEXT) | instid1(VALU_DEP_2)
	v_add_f64_e64 v[48:49], v[48:49], -v[52:53]
	v_add_f64_e64 v[40:41], v[40:41], -v[54:55]
	s_delay_alu instid0(VALU_DEP_1) | instskip(SKIP_1) | instid1(VALU_DEP_2)
	v_add_f64_e32 v[38:39], v[38:39], v[40:41]
	v_add_f64_e32 v[40:41], v[44:45], v[46:47]
	;; [unrolled: 1-line block ×3, first 2 shown]
	s_delay_alu instid0(VALU_DEP_2) | instskip(NEXT) | instid1(VALU_DEP_2)
	v_add_f64_e64 v[48:49], v[40:41], -v[44:45]
	v_add_f64_e32 v[38:39], v[56:57], v[38:39]
	s_delay_alu instid0(VALU_DEP_2) | instskip(NEXT) | instid1(VALU_DEP_2)
	v_add_f64_e64 v[46:47], v[46:47], -v[48:49]
	v_mul_f64_e32 v[38:39], v[44:45], v[38:39]
	s_delay_alu instid0(VALU_DEP_1) | instskip(NEXT) | instid1(VALU_DEP_1)
	v_add_f64_e32 v[38:39], v[46:47], v[38:39]
	v_add_f64_e32 v[44:45], v[40:41], v[38:39]
	s_delay_alu instid0(VALU_DEP_1) | instskip(SKIP_1) | instid1(VALU_DEP_2)
	v_ldexp_f64 v[46:47], v[44:45], -2
	v_add_f64_e64 v[40:41], v[44:45], -v[40:41]
	v_add_f64_e64 v[48:49], v[42:43], -v[46:47]
	s_delay_alu instid0(VALU_DEP_2) | instskip(NEXT) | instid1(VALU_DEP_2)
	v_add_f64_e64 v[38:39], v[38:39], -v[40:41]
	v_add_f64_e64 v[42:43], v[42:43], -v[48:49]
	s_delay_alu instid0(VALU_DEP_2) | instskip(NEXT) | instid1(VALU_DEP_2)
	v_ldexp_f64 v[38:39], v[38:39], -2
	v_add_f64_e64 v[40:41], v[42:43], -v[46:47]
	s_delay_alu instid0(VALU_DEP_1) | instskip(NEXT) | instid1(VALU_DEP_1)
	v_add_f64_e32 v[36:37], v[36:37], v[40:41]
	v_add_f64_e64 v[36:37], v[36:37], -v[38:39]
	v_and_b32_e32 v38, 0x7fffffff, v35
	s_delay_alu instid0(VALU_DEP_2) | instskip(NEXT) | instid1(VALU_DEP_1)
	v_add_f64_e32 v[36:37], v[48:49], v[36:37]
	v_cndmask_b32_e64 v37, 0x7ff00000, v37, s1
	s_delay_alu instid0(VALU_DEP_2) | instskip(SKIP_1) | instid1(VALU_DEP_1)
	v_cndmask_b32_e64 v36, 0, v36, s1
	v_cmp_gt_f64_e64 s1, 0x3e400000, |v[34:35]|
	v_cndmask_b32_e64 v38, v37, v38, s1
	s_delay_alu instid0(VALU_DEP_3) | instskip(SKIP_1) | instid1(VALU_DEP_3)
	v_cndmask_b32_e64 v34, v36, v34, s1
	v_add_nc_u64_e32 v[36:37], s[4:5], v[28:29]
	v_bfi_b32 v35, 0x7fffffff, v38, v35
	global_store_b64 v[36:37], v[34:35], off
	s_wait_xcnt 0x0
	s_or_b32 exec_lo, exec_lo, s2
	s_and_saveexec_b32 s1, s0
	s_cbranch_execz .LBB117_19
.LBB117_23:                             ;   in Loop: Header=BB117_9 Depth=1
	s_wait_loadcnt 0x0
	v_add_f64_e64 v[34:35], |v[32:33]|, s[8:9]
	v_cmp_nge_f64_e64 s0, |v[32:33]|, s[6:7]
	s_delay_alu instid0(VALU_DEP_2) | instskip(NEXT) | instid1(VALU_DEP_1)
	v_add_f64_e64 v[36:37], v[34:35], -|v[32:33]|
	v_add_f64_e64 v[38:39], v[36:37], -v[34:35]
	v_add_f64_e32 v[36:37], 0x3fe62e42fefa39ef, v[36:37]
	s_delay_alu instid0(VALU_DEP_2) | instskip(NEXT) | instid1(VALU_DEP_1)
	v_add_f64_e64 v[38:39], |v[32:33]|, v[38:39]
	v_add_f64_e64 v[36:37], v[38:39], -v[36:37]
	s_delay_alu instid0(VALU_DEP_1) | instskip(NEXT) | instid1(VALU_DEP_1)
	v_add_f64_e32 v[36:37], 0xbc7abc9e3b39803f, v[36:37]
	v_add_f64_e32 v[38:39], v[34:35], v[36:37]
	s_delay_alu instid0(VALU_DEP_1) | instskip(SKIP_1) | instid1(VALU_DEP_2)
	v_mul_f64_e32 v[40:41], 0x3ff71547652b82fe, v[38:39]
	v_add_f64_e64 v[34:35], v[34:35], -v[38:39]
	v_rndne_f64_e32 v[40:41], v[40:41]
	s_delay_alu instid0(VALU_DEP_2) | instskip(NEXT) | instid1(VALU_DEP_2)
	v_add_f64_e32 v[34:35], v[36:37], v[34:35]
	v_fmac_f64_e32 v[38:39], 0xbfe62e42fefa3000, v[40:41]
	v_mul_f64_e32 v[36:37], 0xbd53de6af278e000, v[40:41]
	s_delay_alu instid0(VALU_DEP_2) | instskip(NEXT) | instid1(VALU_DEP_1)
	v_add_f64_e32 v[42:43], v[34:35], v[38:39]
	v_add_f64_e32 v[44:45], v[42:43], v[36:37]
	v_add_f64_e64 v[38:39], v[38:39], -v[42:43]
	s_delay_alu instid0(VALU_DEP_2) | instskip(NEXT) | instid1(VALU_DEP_2)
	v_add_f64_e64 v[42:43], v[42:43], -v[44:45]
	v_add_f64_e32 v[34:35], v[34:35], v[38:39]
	s_delay_alu instid0(VALU_DEP_2) | instskip(NEXT) | instid1(VALU_DEP_1)
	v_add_f64_e32 v[36:37], v[42:43], v[36:37]
	v_add_f64_e32 v[34:35], v[34:35], v[36:37]
	v_mul_f64_e32 v[36:37], 0xbac9cc01f97b57a0, v[40:41]
	s_delay_alu instid0(VALU_DEP_2) | instskip(NEXT) | instid1(VALU_DEP_1)
	v_add_f64_e32 v[38:39], v[44:45], v[34:35]
	v_add_f64_e32 v[42:43], v[38:39], v[36:37]
	v_add_f64_e64 v[44:45], v[44:45], -v[38:39]
	s_delay_alu instid0(VALU_DEP_2) | instskip(NEXT) | instid1(VALU_DEP_2)
	v_add_f64_e64 v[38:39], v[38:39], -v[42:43]
	v_add_f64_e32 v[34:35], v[34:35], v[44:45]
	s_delay_alu instid0(VALU_DEP_2) | instskip(NEXT) | instid1(VALU_DEP_1)
	v_add_f64_e32 v[36:37], v[38:39], v[36:37]
	v_add_f64_e32 v[34:35], v[34:35], v[36:37]
	s_delay_alu instid0(VALU_DEP_1) | instskip(NEXT) | instid1(VALU_DEP_1)
	v_add_f64_e32 v[36:37], v[42:43], v[34:35]
	v_add_f64_e64 v[38:39], v[42:43], -v[36:37]
	v_mul_f64_e32 v[42:43], v[36:37], v[36:37]
	s_delay_alu instid0(VALU_DEP_2) | instskip(NEXT) | instid1(VALU_DEP_2)
	v_add_f64_e32 v[34:35], v[34:35], v[38:39]
	v_fma_f64 v[38:39], v[36:37], v[36:37], -v[42:43]
	s_delay_alu instid0(VALU_DEP_2) | instskip(NEXT) | instid1(VALU_DEP_1)
	v_add_f64_e32 v[44:45], v[34:35], v[34:35]
	v_fmac_f64_e32 v[38:39], v[36:37], v[44:45]
	v_fmamk_f64 v[44:45], v[36:37], 0x3e5ade156a5dcb37, v[6:7]
	s_delay_alu instid0(VALU_DEP_1) | instskip(NEXT) | instid1(VALU_DEP_1)
	v_fmaak_f64 v[44:45], v[36:37], v[44:45], 0x3ec71dee623fde64
	v_fmaak_f64 v[44:45], v[36:37], v[44:45], 0x3efa01997c89e6b0
	s_delay_alu instid0(VALU_DEP_1) | instskip(NEXT) | instid1(VALU_DEP_1)
	v_fmaak_f64 v[44:45], v[36:37], v[44:45], 0x3f2a01a014761f6e
	v_fmaak_f64 v[44:45], v[36:37], v[44:45], 0x3f56c16c1852b7b0
	v_add_f64_e32 v[46:47], v[42:43], v[38:39]
	s_delay_alu instid0(VALU_DEP_2) | instskip(NEXT) | instid1(VALU_DEP_1)
	v_fmaak_f64 v[44:45], v[36:37], v[44:45], 0x3f81111111122322
	v_fmaak_f64 v[44:45], v[36:37], v[44:45], 0x3fa55555555502a1
	s_delay_alu instid0(VALU_DEP_1) | instskip(NEXT) | instid1(VALU_DEP_1)
	v_fmaak_f64 v[44:45], v[36:37], v[44:45], 0x3fc5555555555511
	v_fmaak_f64 v[44:45], v[36:37], v[44:45], 0x3fe000000000000b
	v_add_f64_e64 v[42:43], v[46:47], -v[42:43]
	s_delay_alu instid0(VALU_DEP_2) | instskip(NEXT) | instid1(VALU_DEP_2)
	v_mul_f64_e32 v[48:49], v[46:47], v[44:45]
	v_add_f64_e64 v[38:39], v[38:39], -v[42:43]
	s_delay_alu instid0(VALU_DEP_2) | instskip(NEXT) | instid1(VALU_DEP_1)
	v_fma_f64 v[42:43], v[46:47], v[44:45], -v[48:49]
	v_fmac_f64_e32 v[42:43], v[38:39], v[44:45]
	s_delay_alu instid0(VALU_DEP_1) | instskip(NEXT) | instid1(VALU_DEP_1)
	v_add_f64_e32 v[38:39], v[48:49], v[42:43]
	v_add_f64_e32 v[44:45], v[36:37], v[38:39]
	v_add_f64_e64 v[46:47], v[38:39], -v[48:49]
	s_delay_alu instid0(VALU_DEP_2) | instskip(NEXT) | instid1(VALU_DEP_2)
	v_add_f64_e64 v[36:37], v[44:45], -v[36:37]
	v_add_f64_e64 v[42:43], v[42:43], -v[46:47]
	v_cvt_i32_f64_e32 v46, v[40:41]
	s_delay_alu instid0(VALU_DEP_3) | instskip(NEXT) | instid1(VALU_DEP_3)
	v_add_f64_e64 v[36:37], v[38:39], -v[36:37]
	v_add_f64_e32 v[34:35], v[34:35], v[42:43]
	s_delay_alu instid0(VALU_DEP_1) | instskip(NEXT) | instid1(VALU_DEP_1)
	v_add_f64_e32 v[34:35], v[34:35], v[36:37]
	v_add_f64_e32 v[36:37], v[44:45], v[34:35]
	s_delay_alu instid0(VALU_DEP_1) | instskip(SKIP_1) | instid1(VALU_DEP_2)
	v_add_f64_e32 v[38:39], 1.0, v[36:37]
	v_add_f64_e64 v[42:43], v[36:37], -v[44:45]
	v_add_f64_e32 v[44:45], -1.0, v[38:39]
	s_delay_alu instid0(VALU_DEP_2) | instskip(NEXT) | instid1(VALU_DEP_2)
	v_add_f64_e64 v[34:35], v[34:35], -v[42:43]
	v_add_f64_e64 v[36:37], v[36:37], -v[44:45]
	s_delay_alu instid0(VALU_DEP_1) | instskip(NEXT) | instid1(VALU_DEP_1)
	v_add_f64_e32 v[34:35], v[34:35], v[36:37]
	v_add_f64_e32 v[36:37], v[38:39], v[34:35]
	s_delay_alu instid0(VALU_DEP_1) | instskip(SKIP_1) | instid1(VALU_DEP_2)
	v_ldexp_f64 v[40:41], v[36:37], v46
	v_add_f64_e64 v[36:37], v[36:37], -v[38:39]
	v_rcp_f64_e32 v[42:43], v[40:41]
	s_delay_alu instid0(VALU_DEP_1) | instskip(NEXT) | instid1(VALU_DEP_1)
	v_add_f64_e64 v[34:35], v[34:35], -v[36:37]
	v_ldexp_f64 v[34:35], v[34:35], v46
	s_delay_alu instid0(TRANS32_DEP_1) | instskip(NEXT) | instid1(VALU_DEP_1)
	v_fma_f64 v[44:45], -v[40:41], v[42:43], 1.0
	v_fmac_f64_e32 v[42:43], v[44:45], v[42:43]
	s_delay_alu instid0(VALU_DEP_1) | instskip(NEXT) | instid1(VALU_DEP_1)
	v_fma_f64 v[44:45], -v[40:41], v[42:43], 1.0
	v_fmac_f64_e32 v[42:43], v[44:45], v[42:43]
	s_delay_alu instid0(VALU_DEP_1) | instskip(NEXT) | instid1(VALU_DEP_1)
	v_mul_f64_e32 v[36:37], v[40:41], v[42:43]
	v_fma_f64 v[38:39], v[42:43], v[40:41], -v[36:37]
	s_delay_alu instid0(VALU_DEP_1) | instskip(NEXT) | instid1(VALU_DEP_1)
	v_fmac_f64_e32 v[38:39], v[42:43], v[34:35]
	v_add_f64_e32 v[44:45], v[36:37], v[38:39]
	s_delay_alu instid0(VALU_DEP_1) | instskip(SKIP_1) | instid1(VALU_DEP_2)
	v_add_f64_e64 v[46:47], -v[44:45], 1.0
	v_add_f64_e64 v[36:37], v[44:45], -v[36:37]
	v_add_f64_e64 v[48:49], -v[46:47], 1.0
	s_delay_alu instid0(VALU_DEP_2) | instskip(NEXT) | instid1(VALU_DEP_2)
	v_add_f64_e64 v[36:37], v[36:37], -v[38:39]
	v_add_f64_e64 v[38:39], v[48:49], -v[44:45]
	s_delay_alu instid0(VALU_DEP_1) | instskip(NEXT) | instid1(VALU_DEP_1)
	v_add_f64_e32 v[36:37], v[36:37], v[38:39]
	v_add_f64_e32 v[38:39], v[46:47], v[36:37]
	s_delay_alu instid0(VALU_DEP_1) | instskip(SKIP_1) | instid1(VALU_DEP_2)
	v_mul_f64_e32 v[44:45], v[42:43], v[38:39]
	v_add_f64_e64 v[46:47], v[46:47], -v[38:39]
	v_mul_f64_e32 v[48:49], v[40:41], v[44:45]
	s_delay_alu instid0(VALU_DEP_2) | instskip(NEXT) | instid1(VALU_DEP_2)
	v_add_f64_e32 v[36:37], v[36:37], v[46:47]
	v_fma_f64 v[50:51], v[44:45], v[40:41], -v[48:49]
	s_delay_alu instid0(VALU_DEP_1) | instskip(NEXT) | instid1(VALU_DEP_1)
	v_fmac_f64_e32 v[50:51], v[44:45], v[34:35]
	v_add_f64_e32 v[52:53], v[48:49], v[50:51]
	s_delay_alu instid0(VALU_DEP_1) | instskip(SKIP_1) | instid1(VALU_DEP_2)
	v_add_f64_e64 v[54:55], v[38:39], -v[52:53]
	v_add_f64_e64 v[46:47], v[52:53], -v[48:49]
	;; [unrolled: 1-line block ×3, first 2 shown]
	s_delay_alu instid0(VALU_DEP_2) | instskip(NEXT) | instid1(VALU_DEP_2)
	v_add_f64_e64 v[46:47], v[46:47], -v[50:51]
	v_add_f64_e64 v[38:39], v[38:39], -v[52:53]
	s_delay_alu instid0(VALU_DEP_1) | instskip(SKIP_1) | instid1(VALU_DEP_2)
	v_add_f64_e32 v[36:37], v[36:37], v[38:39]
	v_add_f64_e32 v[38:39], v[42:43], v[44:45]
	;; [unrolled: 1-line block ×3, first 2 shown]
	s_delay_alu instid0(VALU_DEP_2) | instskip(NEXT) | instid1(VALU_DEP_2)
	v_add_f64_e64 v[46:47], v[38:39], -v[42:43]
	v_add_f64_e32 v[36:37], v[54:55], v[36:37]
	s_delay_alu instid0(VALU_DEP_2) | instskip(NEXT) | instid1(VALU_DEP_2)
	v_add_f64_e64 v[44:45], v[44:45], -v[46:47]
	v_mul_f64_e32 v[36:37], v[42:43], v[36:37]
	s_delay_alu instid0(VALU_DEP_1) | instskip(NEXT) | instid1(VALU_DEP_1)
	v_add_f64_e32 v[36:37], v[44:45], v[36:37]
	v_add_f64_e32 v[42:43], v[38:39], v[36:37]
	s_delay_alu instid0(VALU_DEP_1) | instskip(SKIP_1) | instid1(VALU_DEP_2)
	v_ldexp_f64 v[44:45], v[42:43], -2
	v_add_f64_e64 v[38:39], v[42:43], -v[38:39]
	v_add_f64_e64 v[46:47], v[40:41], -v[44:45]
	s_delay_alu instid0(VALU_DEP_2) | instskip(NEXT) | instid1(VALU_DEP_2)
	v_add_f64_e64 v[36:37], v[36:37], -v[38:39]
	v_add_f64_e64 v[40:41], v[40:41], -v[46:47]
	s_delay_alu instid0(VALU_DEP_2) | instskip(NEXT) | instid1(VALU_DEP_2)
	v_ldexp_f64 v[36:37], v[36:37], -2
	v_add_f64_e64 v[38:39], v[40:41], -v[44:45]
	s_delay_alu instid0(VALU_DEP_1) | instskip(NEXT) | instid1(VALU_DEP_1)
	v_add_f64_e32 v[34:35], v[34:35], v[38:39]
	v_add_f64_e64 v[34:35], v[34:35], -v[36:37]
	v_and_b32_e32 v36, 0x7fffffff, v33
	s_delay_alu instid0(VALU_DEP_2) | instskip(NEXT) | instid1(VALU_DEP_1)
	v_add_f64_e32 v[34:35], v[46:47], v[34:35]
	v_cndmask_b32_e64 v35, 0x7ff00000, v35, s0
	s_delay_alu instid0(VALU_DEP_2) | instskip(SKIP_1) | instid1(VALU_DEP_1)
	v_cndmask_b32_e64 v34, 0, v34, s0
	v_cmp_gt_f64_e64 s0, 0x3e400000, |v[32:33]|
	v_cndmask_b32_e64 v36, v35, v36, s0
	s_delay_alu instid0(VALU_DEP_3) | instskip(SKIP_1) | instid1(VALU_DEP_3)
	v_cndmask_b32_e64 v32, v34, v32, s0
	v_add_nc_u64_e32 v[34:35], s[4:5], v[20:21]
	v_bfi_b32 v33, 0x7fffffff, v36, v33
	global_store_b64 v[34:35], v[32:33], off
	s_wait_xcnt 0x0
	s_or_b32 exec_lo, exec_lo, s1
	s_and_saveexec_b32 s0, vcc_lo
	s_cbranch_execz .LBB117_8
.LBB117_24:                             ;   in Loop: Header=BB117_9 Depth=1
	s_wait_loadcnt 0x0
	v_add_f64_e64 v[32:33], |v[30:31]|, s[8:9]
	v_cmp_nge_f64_e64 vcc_lo, |v[30:31]|, s[6:7]
	s_delay_alu instid0(VALU_DEP_2) | instskip(NEXT) | instid1(VALU_DEP_1)
	v_add_f64_e64 v[34:35], v[32:33], -|v[30:31]|
	v_add_f64_e64 v[36:37], v[34:35], -v[32:33]
	v_add_f64_e32 v[34:35], 0x3fe62e42fefa39ef, v[34:35]
	s_delay_alu instid0(VALU_DEP_2) | instskip(NEXT) | instid1(VALU_DEP_1)
	v_add_f64_e64 v[36:37], |v[30:31]|, v[36:37]
	v_add_f64_e64 v[34:35], v[36:37], -v[34:35]
	s_delay_alu instid0(VALU_DEP_1) | instskip(NEXT) | instid1(VALU_DEP_1)
	v_add_f64_e32 v[34:35], 0xbc7abc9e3b39803f, v[34:35]
	v_add_f64_e32 v[36:37], v[32:33], v[34:35]
	s_delay_alu instid0(VALU_DEP_1) | instskip(SKIP_1) | instid1(VALU_DEP_2)
	v_mul_f64_e32 v[38:39], 0x3ff71547652b82fe, v[36:37]
	v_add_f64_e64 v[32:33], v[32:33], -v[36:37]
	v_rndne_f64_e32 v[38:39], v[38:39]
	s_delay_alu instid0(VALU_DEP_2) | instskip(NEXT) | instid1(VALU_DEP_2)
	v_add_f64_e32 v[32:33], v[34:35], v[32:33]
	v_fmac_f64_e32 v[36:37], 0xbfe62e42fefa3000, v[38:39]
	v_mul_f64_e32 v[34:35], 0xbd53de6af278e000, v[38:39]
	s_delay_alu instid0(VALU_DEP_2) | instskip(NEXT) | instid1(VALU_DEP_1)
	v_add_f64_e32 v[40:41], v[32:33], v[36:37]
	v_add_f64_e32 v[42:43], v[40:41], v[34:35]
	v_add_f64_e64 v[36:37], v[36:37], -v[40:41]
	s_delay_alu instid0(VALU_DEP_2) | instskip(NEXT) | instid1(VALU_DEP_2)
	v_add_f64_e64 v[40:41], v[40:41], -v[42:43]
	v_add_f64_e32 v[32:33], v[32:33], v[36:37]
	s_delay_alu instid0(VALU_DEP_2) | instskip(NEXT) | instid1(VALU_DEP_1)
	v_add_f64_e32 v[34:35], v[40:41], v[34:35]
	v_add_f64_e32 v[32:33], v[32:33], v[34:35]
	v_mul_f64_e32 v[34:35], 0xbac9cc01f97b57a0, v[38:39]
	s_delay_alu instid0(VALU_DEP_2) | instskip(NEXT) | instid1(VALU_DEP_1)
	v_add_f64_e32 v[36:37], v[42:43], v[32:33]
	v_add_f64_e32 v[40:41], v[36:37], v[34:35]
	v_add_f64_e64 v[42:43], v[42:43], -v[36:37]
	s_delay_alu instid0(VALU_DEP_2) | instskip(NEXT) | instid1(VALU_DEP_2)
	v_add_f64_e64 v[36:37], v[36:37], -v[40:41]
	v_add_f64_e32 v[32:33], v[32:33], v[42:43]
	s_delay_alu instid0(VALU_DEP_2) | instskip(NEXT) | instid1(VALU_DEP_1)
	v_add_f64_e32 v[34:35], v[36:37], v[34:35]
	v_add_f64_e32 v[32:33], v[32:33], v[34:35]
	s_delay_alu instid0(VALU_DEP_1) | instskip(NEXT) | instid1(VALU_DEP_1)
	v_add_f64_e32 v[34:35], v[40:41], v[32:33]
	v_add_f64_e64 v[36:37], v[40:41], -v[34:35]
	v_mul_f64_e32 v[40:41], v[34:35], v[34:35]
	s_delay_alu instid0(VALU_DEP_2) | instskip(NEXT) | instid1(VALU_DEP_2)
	v_add_f64_e32 v[32:33], v[32:33], v[36:37]
	v_fma_f64 v[36:37], v[34:35], v[34:35], -v[40:41]
	s_delay_alu instid0(VALU_DEP_2) | instskip(NEXT) | instid1(VALU_DEP_1)
	v_add_f64_e32 v[42:43], v[32:33], v[32:33]
	v_fmac_f64_e32 v[36:37], v[34:35], v[42:43]
	v_fmamk_f64 v[42:43], v[34:35], 0x3e5ade156a5dcb37, v[6:7]
	s_delay_alu instid0(VALU_DEP_1) | instskip(NEXT) | instid1(VALU_DEP_1)
	v_fmaak_f64 v[42:43], v[34:35], v[42:43], 0x3ec71dee623fde64
	v_fmaak_f64 v[42:43], v[34:35], v[42:43], 0x3efa01997c89e6b0
	s_delay_alu instid0(VALU_DEP_1) | instskip(NEXT) | instid1(VALU_DEP_1)
	v_fmaak_f64 v[42:43], v[34:35], v[42:43], 0x3f2a01a014761f6e
	v_fmaak_f64 v[42:43], v[34:35], v[42:43], 0x3f56c16c1852b7b0
	v_add_f64_e32 v[44:45], v[40:41], v[36:37]
	s_delay_alu instid0(VALU_DEP_2) | instskip(NEXT) | instid1(VALU_DEP_1)
	v_fmaak_f64 v[42:43], v[34:35], v[42:43], 0x3f81111111122322
	v_fmaak_f64 v[42:43], v[34:35], v[42:43], 0x3fa55555555502a1
	s_delay_alu instid0(VALU_DEP_1) | instskip(NEXT) | instid1(VALU_DEP_1)
	v_fmaak_f64 v[42:43], v[34:35], v[42:43], 0x3fc5555555555511
	v_fmaak_f64 v[42:43], v[34:35], v[42:43], 0x3fe000000000000b
	v_add_f64_e64 v[40:41], v[44:45], -v[40:41]
	s_delay_alu instid0(VALU_DEP_2) | instskip(NEXT) | instid1(VALU_DEP_2)
	v_mul_f64_e32 v[46:47], v[44:45], v[42:43]
	v_add_f64_e64 v[36:37], v[36:37], -v[40:41]
	s_delay_alu instid0(VALU_DEP_2) | instskip(NEXT) | instid1(VALU_DEP_1)
	v_fma_f64 v[40:41], v[44:45], v[42:43], -v[46:47]
	v_fmac_f64_e32 v[40:41], v[36:37], v[42:43]
	s_delay_alu instid0(VALU_DEP_1) | instskip(NEXT) | instid1(VALU_DEP_1)
	v_add_f64_e32 v[36:37], v[46:47], v[40:41]
	v_add_f64_e32 v[42:43], v[34:35], v[36:37]
	v_add_f64_e64 v[44:45], v[36:37], -v[46:47]
	s_delay_alu instid0(VALU_DEP_2) | instskip(NEXT) | instid1(VALU_DEP_2)
	v_add_f64_e64 v[34:35], v[42:43], -v[34:35]
	v_add_f64_e64 v[40:41], v[40:41], -v[44:45]
	v_cvt_i32_f64_e32 v44, v[38:39]
	s_delay_alu instid0(VALU_DEP_3) | instskip(NEXT) | instid1(VALU_DEP_3)
	v_add_f64_e64 v[34:35], v[36:37], -v[34:35]
	v_add_f64_e32 v[32:33], v[32:33], v[40:41]
	s_delay_alu instid0(VALU_DEP_1) | instskip(NEXT) | instid1(VALU_DEP_1)
	v_add_f64_e32 v[32:33], v[32:33], v[34:35]
	v_add_f64_e32 v[34:35], v[42:43], v[32:33]
	s_delay_alu instid0(VALU_DEP_1) | instskip(SKIP_1) | instid1(VALU_DEP_2)
	v_add_f64_e32 v[36:37], 1.0, v[34:35]
	v_add_f64_e64 v[40:41], v[34:35], -v[42:43]
	v_add_f64_e32 v[42:43], -1.0, v[36:37]
	s_delay_alu instid0(VALU_DEP_2) | instskip(NEXT) | instid1(VALU_DEP_2)
	v_add_f64_e64 v[32:33], v[32:33], -v[40:41]
	v_add_f64_e64 v[34:35], v[34:35], -v[42:43]
	s_delay_alu instid0(VALU_DEP_1) | instskip(NEXT) | instid1(VALU_DEP_1)
	v_add_f64_e32 v[32:33], v[32:33], v[34:35]
	v_add_f64_e32 v[34:35], v[36:37], v[32:33]
	s_delay_alu instid0(VALU_DEP_1) | instskip(SKIP_1) | instid1(VALU_DEP_2)
	v_ldexp_f64 v[38:39], v[34:35], v44
	v_add_f64_e64 v[34:35], v[34:35], -v[36:37]
	v_rcp_f64_e32 v[40:41], v[38:39]
	s_delay_alu instid0(VALU_DEP_1) | instskip(NEXT) | instid1(VALU_DEP_1)
	v_add_f64_e64 v[32:33], v[32:33], -v[34:35]
	v_ldexp_f64 v[32:33], v[32:33], v44
	s_delay_alu instid0(TRANS32_DEP_1) | instskip(NEXT) | instid1(VALU_DEP_1)
	v_fma_f64 v[42:43], -v[38:39], v[40:41], 1.0
	v_fmac_f64_e32 v[40:41], v[42:43], v[40:41]
	s_delay_alu instid0(VALU_DEP_1) | instskip(NEXT) | instid1(VALU_DEP_1)
	v_fma_f64 v[42:43], -v[38:39], v[40:41], 1.0
	v_fmac_f64_e32 v[40:41], v[42:43], v[40:41]
	s_delay_alu instid0(VALU_DEP_1) | instskip(NEXT) | instid1(VALU_DEP_1)
	v_mul_f64_e32 v[34:35], v[38:39], v[40:41]
	v_fma_f64 v[36:37], v[40:41], v[38:39], -v[34:35]
	s_delay_alu instid0(VALU_DEP_1) | instskip(NEXT) | instid1(VALU_DEP_1)
	v_fmac_f64_e32 v[36:37], v[40:41], v[32:33]
	v_add_f64_e32 v[42:43], v[34:35], v[36:37]
	s_delay_alu instid0(VALU_DEP_1) | instskip(SKIP_1) | instid1(VALU_DEP_2)
	v_add_f64_e64 v[44:45], -v[42:43], 1.0
	v_add_f64_e64 v[34:35], v[42:43], -v[34:35]
	v_add_f64_e64 v[46:47], -v[44:45], 1.0
	s_delay_alu instid0(VALU_DEP_2) | instskip(NEXT) | instid1(VALU_DEP_2)
	v_add_f64_e64 v[34:35], v[34:35], -v[36:37]
	v_add_f64_e64 v[36:37], v[46:47], -v[42:43]
	s_delay_alu instid0(VALU_DEP_1) | instskip(NEXT) | instid1(VALU_DEP_1)
	v_add_f64_e32 v[34:35], v[34:35], v[36:37]
	v_add_f64_e32 v[36:37], v[44:45], v[34:35]
	s_delay_alu instid0(VALU_DEP_1) | instskip(SKIP_1) | instid1(VALU_DEP_2)
	v_mul_f64_e32 v[42:43], v[40:41], v[36:37]
	v_add_f64_e64 v[44:45], v[44:45], -v[36:37]
	v_mul_f64_e32 v[46:47], v[38:39], v[42:43]
	s_delay_alu instid0(VALU_DEP_2) | instskip(NEXT) | instid1(VALU_DEP_2)
	v_add_f64_e32 v[34:35], v[34:35], v[44:45]
	v_fma_f64 v[48:49], v[42:43], v[38:39], -v[46:47]
	s_delay_alu instid0(VALU_DEP_1) | instskip(NEXT) | instid1(VALU_DEP_1)
	v_fmac_f64_e32 v[48:49], v[42:43], v[32:33]
	v_add_f64_e32 v[50:51], v[46:47], v[48:49]
	s_delay_alu instid0(VALU_DEP_1) | instskip(SKIP_1) | instid1(VALU_DEP_2)
	v_add_f64_e64 v[52:53], v[36:37], -v[50:51]
	v_add_f64_e64 v[44:45], v[50:51], -v[46:47]
	;; [unrolled: 1-line block ×3, first 2 shown]
	s_delay_alu instid0(VALU_DEP_2) | instskip(NEXT) | instid1(VALU_DEP_2)
	v_add_f64_e64 v[44:45], v[44:45], -v[48:49]
	v_add_f64_e64 v[36:37], v[36:37], -v[50:51]
	s_delay_alu instid0(VALU_DEP_1) | instskip(SKIP_1) | instid1(VALU_DEP_2)
	v_add_f64_e32 v[34:35], v[34:35], v[36:37]
	v_add_f64_e32 v[36:37], v[40:41], v[42:43]
	;; [unrolled: 1-line block ×3, first 2 shown]
	s_delay_alu instid0(VALU_DEP_2) | instskip(NEXT) | instid1(VALU_DEP_2)
	v_add_f64_e64 v[44:45], v[36:37], -v[40:41]
	v_add_f64_e32 v[34:35], v[52:53], v[34:35]
	s_delay_alu instid0(VALU_DEP_2) | instskip(NEXT) | instid1(VALU_DEP_2)
	v_add_f64_e64 v[42:43], v[42:43], -v[44:45]
	v_mul_f64_e32 v[34:35], v[40:41], v[34:35]
	s_delay_alu instid0(VALU_DEP_1) | instskip(NEXT) | instid1(VALU_DEP_1)
	v_add_f64_e32 v[34:35], v[42:43], v[34:35]
	v_add_f64_e32 v[40:41], v[36:37], v[34:35]
	s_delay_alu instid0(VALU_DEP_1) | instskip(SKIP_1) | instid1(VALU_DEP_2)
	v_ldexp_f64 v[42:43], v[40:41], -2
	v_add_f64_e64 v[36:37], v[40:41], -v[36:37]
	v_add_f64_e64 v[44:45], v[38:39], -v[42:43]
	s_delay_alu instid0(VALU_DEP_2) | instskip(NEXT) | instid1(VALU_DEP_2)
	v_add_f64_e64 v[34:35], v[34:35], -v[36:37]
	v_add_f64_e64 v[38:39], v[38:39], -v[44:45]
	s_delay_alu instid0(VALU_DEP_2) | instskip(NEXT) | instid1(VALU_DEP_2)
	v_ldexp_f64 v[34:35], v[34:35], -2
	v_add_f64_e64 v[36:37], v[38:39], -v[42:43]
	s_delay_alu instid0(VALU_DEP_1) | instskip(NEXT) | instid1(VALU_DEP_1)
	v_add_f64_e32 v[32:33], v[32:33], v[36:37]
	v_add_f64_e64 v[32:33], v[32:33], -v[34:35]
	v_and_b32_e32 v34, 0x7fffffff, v31
	s_delay_alu instid0(VALU_DEP_2) | instskip(NEXT) | instid1(VALU_DEP_1)
	v_add_f64_e32 v[32:33], v[44:45], v[32:33]
	v_cndmask_b32_e32 v33, 0x7ff00000, v33, vcc_lo
	s_delay_alu instid0(VALU_DEP_2) | instskip(SKIP_1) | instid1(VALU_DEP_3)
	v_cndmask_b32_e32 v32, 0, v32, vcc_lo
	v_cmp_gt_f64_e64 vcc_lo, 0x3e400000, |v[30:31]|
	v_cndmask_b32_e32 v34, v33, v34, vcc_lo
	s_delay_alu instid0(VALU_DEP_3) | instskip(SKIP_1) | instid1(VALU_DEP_3)
	v_cndmask_b32_e32 v30, v32, v30, vcc_lo
	v_add_nc_u64_e32 v[32:33], s[4:5], v[24:25]
	v_bfi_b32 v31, 0x7fffffff, v34, v31
	global_store_b64 v[32:33], v[30:31], off
	s_branch .LBB117_8
.LBB117_25:
	s_endpgm
	.section	.rodata,"a",@progbits
	.p2align	6, 0x0
	.amdhsa_kernel _ZN2at6native12_GLOBAL__N_125multi_tensor_apply_kernelINS1_18TensorListMetadataILi2EEENS1_14UnaryOpFunctorIdLi2ELi1ELi1EEEJNS0_4SinhIdEEEEEvT_T0_DpT1_
		.amdhsa_group_segment_fixed_size 0
		.amdhsa_private_segment_fixed_size 0
		.amdhsa_kernarg_size 3408
		.amdhsa_user_sgpr_count 2
		.amdhsa_user_sgpr_dispatch_ptr 0
		.amdhsa_user_sgpr_queue_ptr 0
		.amdhsa_user_sgpr_kernarg_segment_ptr 1
		.amdhsa_user_sgpr_dispatch_id 0
		.amdhsa_user_sgpr_kernarg_preload_length 0
		.amdhsa_user_sgpr_kernarg_preload_offset 0
		.amdhsa_user_sgpr_private_segment_size 0
		.amdhsa_wavefront_size32 1
		.amdhsa_uses_dynamic_stack 0
		.amdhsa_enable_private_segment 0
		.amdhsa_system_sgpr_workgroup_id_x 1
		.amdhsa_system_sgpr_workgroup_id_y 0
		.amdhsa_system_sgpr_workgroup_id_z 0
		.amdhsa_system_sgpr_workgroup_info 0
		.amdhsa_system_vgpr_workitem_id 0
		.amdhsa_next_free_vgpr 60
		.amdhsa_next_free_sgpr 20
		.amdhsa_named_barrier_count 0
		.amdhsa_reserve_vcc 1
		.amdhsa_float_round_mode_32 0
		.amdhsa_float_round_mode_16_64 0
		.amdhsa_float_denorm_mode_32 3
		.amdhsa_float_denorm_mode_16_64 3
		.amdhsa_fp16_overflow 0
		.amdhsa_memory_ordered 1
		.amdhsa_forward_progress 1
		.amdhsa_inst_pref_size 77
		.amdhsa_round_robin_scheduling 0
		.amdhsa_exception_fp_ieee_invalid_op 0
		.amdhsa_exception_fp_denorm_src 0
		.amdhsa_exception_fp_ieee_div_zero 0
		.amdhsa_exception_fp_ieee_overflow 0
		.amdhsa_exception_fp_ieee_underflow 0
		.amdhsa_exception_fp_ieee_inexact 0
		.amdhsa_exception_int_div_zero 0
	.end_amdhsa_kernel
	.section	.text._ZN2at6native12_GLOBAL__N_125multi_tensor_apply_kernelINS1_18TensorListMetadataILi2EEENS1_14UnaryOpFunctorIdLi2ELi1ELi1EEEJNS0_4SinhIdEEEEEvT_T0_DpT1_,"axG",@progbits,_ZN2at6native12_GLOBAL__N_125multi_tensor_apply_kernelINS1_18TensorListMetadataILi2EEENS1_14UnaryOpFunctorIdLi2ELi1ELi1EEEJNS0_4SinhIdEEEEEvT_T0_DpT1_,comdat
.Lfunc_end117:
	.size	_ZN2at6native12_GLOBAL__N_125multi_tensor_apply_kernelINS1_18TensorListMetadataILi2EEENS1_14UnaryOpFunctorIdLi2ELi1ELi1EEEJNS0_4SinhIdEEEEEvT_T0_DpT1_, .Lfunc_end117-_ZN2at6native12_GLOBAL__N_125multi_tensor_apply_kernelINS1_18TensorListMetadataILi2EEENS1_14UnaryOpFunctorIdLi2ELi1ELi1EEEJNS0_4SinhIdEEEEEvT_T0_DpT1_
                                        ; -- End function
	.set _ZN2at6native12_GLOBAL__N_125multi_tensor_apply_kernelINS1_18TensorListMetadataILi2EEENS1_14UnaryOpFunctorIdLi2ELi1ELi1EEEJNS0_4SinhIdEEEEEvT_T0_DpT1_.num_vgpr, 60
	.set _ZN2at6native12_GLOBAL__N_125multi_tensor_apply_kernelINS1_18TensorListMetadataILi2EEENS1_14UnaryOpFunctorIdLi2ELi1ELi1EEEJNS0_4SinhIdEEEEEvT_T0_DpT1_.num_agpr, 0
	.set _ZN2at6native12_GLOBAL__N_125multi_tensor_apply_kernelINS1_18TensorListMetadataILi2EEENS1_14UnaryOpFunctorIdLi2ELi1ELi1EEEJNS0_4SinhIdEEEEEvT_T0_DpT1_.numbered_sgpr, 20
	.set _ZN2at6native12_GLOBAL__N_125multi_tensor_apply_kernelINS1_18TensorListMetadataILi2EEENS1_14UnaryOpFunctorIdLi2ELi1ELi1EEEJNS0_4SinhIdEEEEEvT_T0_DpT1_.num_named_barrier, 0
	.set _ZN2at6native12_GLOBAL__N_125multi_tensor_apply_kernelINS1_18TensorListMetadataILi2EEENS1_14UnaryOpFunctorIdLi2ELi1ELi1EEEJNS0_4SinhIdEEEEEvT_T0_DpT1_.private_seg_size, 0
	.set _ZN2at6native12_GLOBAL__N_125multi_tensor_apply_kernelINS1_18TensorListMetadataILi2EEENS1_14UnaryOpFunctorIdLi2ELi1ELi1EEEJNS0_4SinhIdEEEEEvT_T0_DpT1_.uses_vcc, 1
	.set _ZN2at6native12_GLOBAL__N_125multi_tensor_apply_kernelINS1_18TensorListMetadataILi2EEENS1_14UnaryOpFunctorIdLi2ELi1ELi1EEEJNS0_4SinhIdEEEEEvT_T0_DpT1_.uses_flat_scratch, 0
	.set _ZN2at6native12_GLOBAL__N_125multi_tensor_apply_kernelINS1_18TensorListMetadataILi2EEENS1_14UnaryOpFunctorIdLi2ELi1ELi1EEEJNS0_4SinhIdEEEEEvT_T0_DpT1_.has_dyn_sized_stack, 0
	.set _ZN2at6native12_GLOBAL__N_125multi_tensor_apply_kernelINS1_18TensorListMetadataILi2EEENS1_14UnaryOpFunctorIdLi2ELi1ELi1EEEJNS0_4SinhIdEEEEEvT_T0_DpT1_.has_recursion, 0
	.set _ZN2at6native12_GLOBAL__N_125multi_tensor_apply_kernelINS1_18TensorListMetadataILi2EEENS1_14UnaryOpFunctorIdLi2ELi1ELi1EEEJNS0_4SinhIdEEEEEvT_T0_DpT1_.has_indirect_call, 0
	.section	.AMDGPU.csdata,"",@progbits
; Kernel info:
; codeLenInByte = 9804
; TotalNumSgprs: 22
; NumVgprs: 60
; ScratchSize: 0
; MemoryBound: 0
; FloatMode: 240
; IeeeMode: 1
; LDSByteSize: 0 bytes/workgroup (compile time only)
; SGPRBlocks: 0
; VGPRBlocks: 3
; NumSGPRsForWavesPerEU: 22
; NumVGPRsForWavesPerEU: 60
; NamedBarCnt: 0
; Occupancy: 16
; WaveLimiterHint : 0
; COMPUTE_PGM_RSRC2:SCRATCH_EN: 0
; COMPUTE_PGM_RSRC2:USER_SGPR: 2
; COMPUTE_PGM_RSRC2:TRAP_HANDLER: 0
; COMPUTE_PGM_RSRC2:TGID_X_EN: 1
; COMPUTE_PGM_RSRC2:TGID_Y_EN: 0
; COMPUTE_PGM_RSRC2:TGID_Z_EN: 0
; COMPUTE_PGM_RSRC2:TIDIG_COMP_CNT: 0
	.section	.text._ZN2at6native12_GLOBAL__N_125multi_tensor_apply_kernelINS1_18TensorListMetadataILi2EEENS1_14UnaryOpFunctorIfLi2ELi1ELi1EEEJNS0_4SinhIfEEEEEvT_T0_DpT1_,"axG",@progbits,_ZN2at6native12_GLOBAL__N_125multi_tensor_apply_kernelINS1_18TensorListMetadataILi2EEENS1_14UnaryOpFunctorIfLi2ELi1ELi1EEEJNS0_4SinhIfEEEEEvT_T0_DpT1_,comdat
	.globl	_ZN2at6native12_GLOBAL__N_125multi_tensor_apply_kernelINS1_18TensorListMetadataILi2EEENS1_14UnaryOpFunctorIfLi2ELi1ELi1EEEJNS0_4SinhIfEEEEEvT_T0_DpT1_ ; -- Begin function _ZN2at6native12_GLOBAL__N_125multi_tensor_apply_kernelINS1_18TensorListMetadataILi2EEENS1_14UnaryOpFunctorIfLi2ELi1ELi1EEEJNS0_4SinhIfEEEEEvT_T0_DpT1_
	.p2align	8
	.type	_ZN2at6native12_GLOBAL__N_125multi_tensor_apply_kernelINS1_18TensorListMetadataILi2EEENS1_14UnaryOpFunctorIfLi2ELi1ELi1EEEJNS0_4SinhIfEEEEEvT_T0_DpT1_,@function
_ZN2at6native12_GLOBAL__N_125multi_tensor_apply_kernelINS1_18TensorListMetadataILi2EEENS1_14UnaryOpFunctorIfLi2ELi1ELi1EEEJNS0_4SinhIfEEEEEvT_T0_DpT1_: ; @_ZN2at6native12_GLOBAL__N_125multi_tensor_apply_kernelINS1_18TensorListMetadataILi2EEENS1_14UnaryOpFunctorIfLi2ELi1ELi1EEEJNS0_4SinhIfEEEEEvT_T0_DpT1_
; %bb.0:
	s_bfe_u32 s2, ttmp6, 0x4000c
	s_and_b32 s3, ttmp6, 15
	s_add_co_i32 s2, s2, 1
	s_getreg_b32 s4, hwreg(HW_REG_IB_STS2, 6, 4)
	s_mul_i32 s2, ttmp9, s2
	s_delay_alu instid0(SALU_CYCLE_1)
	s_add_co_i32 s3, s3, s2
	s_cmp_eq_u32 s4, 0
	s_cselect_b32 s2, ttmp9, s3
	s_mov_b32 s3, 0
	s_load_u8 s11, s[0:1], s2 offset:0x600
	s_add_nc_u64 s[4:5], s[0:1], s[2:3]
	s_mul_u64 s[6:7], s[2:3], 3
	s_mov_b32 s15, s3
	s_add_nc_u64 s[4:5], s[4:5], s[6:7]
	s_load_b32 s10, s[4:5], 0x740
	s_wait_kmcnt 0x0
	s_clause 0x2
	s_load_b64 s[6:7], s[0:1], s11 offset:0x0 scale_offset
	s_load_b64 s[8:9], s[0:1], s11 offset:0x200 scale_offset
	;; [unrolled: 1-line block ×3, first 2 shown]
	s_wait_xcnt 0x0
	s_ashr_i32 s11, s10, 31
	s_delay_alu instid0(SALU_CYCLE_1)
	s_lshl_b64 s[4:5], s[10:11], 18
	s_wait_kmcnt 0x0
	s_and_b64 s[18:19], s[8:9], 15
	s_add_nc_u64 s[16:17], s[6:7], s[4:5]
	s_and_b32 s14, s12, 3
	s_and_b32 s2, s16, 15
	s_or_b64 s[14:15], s[18:19], s[14:15]
	s_lshl_b64 s[10:11], s[10:11], 16
	s_or_b64 s[2:3], s[14:15], s[2:3]
	s_sub_nc_u64 s[10:11], s[12:13], s[10:11]
	s_cmp_eq_u64 s[2:3], 0
	s_mov_b32 s2, -1
	s_cbranch_scc0 .LBB118_5
; %bb.1:
	v_min_i64 v[6:7], 0x10000, s[10:11]
	v_dual_mov_b32 v3, 0 :: v_dual_lshlrev_b32 v2, 2, v0
	s_mov_b32 s3, exec_lo
	s_delay_alu instid0(VALU_DEP_1)
	v_cmpx_lt_i64_e64 v[2:3], v[6:7]
	s_cbranch_execz .LBB118_4
; %bb.2:
	s_load_b32 s2, s[0:1], 0xc5c
	v_dual_mov_b32 v1, v3 :: v_dual_lshlrev_b32 v2, 4, v0
	s_mov_b32 s17, -1.0
	v_mov_b32_e32 v9, 0x3f317218
	v_mov_b64_e32 v[14:15], s[16:17]
	s_delay_alu instid0(VALU_DEP_3)
	v_mov_b64_e32 v[18:19], v[0:1]
	v_add_nc_u64_e32 v[16:17], s[4:5], v[2:3]
	v_dual_mov_b32 v11, -1.0 :: v_dual_mov_b32 v13, 1.0
	s_mov_b32 s13, 0
	s_add_nc_u64 s[14:15], s[6:7], 8
	s_mov_b32 s18, 0x3ab42872
	s_mov_b32 s17, s13
	;; [unrolled: 1-line block ×3, first 2 shown]
	s_wait_kmcnt 0x0
	s_and_b32 s12, s2, 0xffff
	s_delay_alu instid0(SALU_CYCLE_1)
	s_lshl_b32 s16, s12, 4
.LBB118_3:                              ; =>This Inner Loop Header: Depth=1
	v_add_nc_u64_e32 v[2:3], s[14:15], v[16:17]
	v_add_nc_u64_e32 v[18:19], s[12:13], v[18:19]
	;; [unrolled: 1-line block ×4, first 2 shown]
	global_load_b128 v[2:5], v[2:3], off offset:-8
	v_lshlrev_b64_e32 v[22:23], 2, v[18:19]
	s_wait_loadcnt 0x0
	v_add_f32_e64 v1, 0xbf317218, |v2|
	v_add_f32_e64 v10, 0xbf317218, |v3|
	v_and_b32_e32 v8, 0x7fffffff, v2
	v_add_f32_e64 v12, 0xbf317218, |v4|
	v_add_f32_e64 v32, 0xbf317218, |v5|
	v_sub_f32_e64 v25, v1, |v2|
	v_sub_f32_e64 v27, v10, |v3|
	v_cmp_nlt_f32_e64 vcc_lo, 0x42b2d4fc, |v2|
	v_sub_f32_e64 v29, v12, |v4|
	v_sub_f32_e64 v31, v32, |v5|
	s_delay_alu instid0(VALU_DEP_4) | instskip(SKIP_2) | instid1(VALU_DEP_3)
	v_dual_sub_f32 v24, v25, v1 :: v_dual_sub_f32 v26, v27, v10
	v_cmp_nlt_f32_e64 s2, 0x42b2d4fc, |v3|
	v_cmp_gt_f32_e64 s20, 0x39800000, |v3|
	v_pk_add_f32 v[24:25], v[8:9], v[24:25]
	v_and_b32_e32 v8, 0x7fffffff, v3
	s_delay_alu instid0(VALU_DEP_2) | instskip(NEXT) | instid1(VALU_DEP_2)
	v_dual_sub_f32 v28, v29, v12 :: v_dual_sub_f32 v33, v24, v25
	v_pk_add_f32 v[24:25], v[8:9], v[26:27]
	v_sub_f32_e32 v30, v31, v32
	v_and_b32_e32 v8, 0x7fffffff, v4
	s_delay_alu instid0(VALU_DEP_3) | instskip(SKIP_1) | instid1(VALU_DEP_3)
	v_sub_f32_e32 v27, v24, v25
	v_add_f32_e32 v26, 0x3102e308, v33
	v_pk_add_f32 v[24:25], v[8:9], v[28:29]
	v_and_b32_e32 v8, 0x7fffffff, v5
	s_delay_alu instid0(VALU_DEP_3) | instskip(NEXT) | instid1(VALU_DEP_3)
	v_dual_add_f32 v27, 0x3102e308, v27 :: v_dual_add_f32 v28, v1, v26
	v_sub_f32_e32 v29, v24, v25
	s_delay_alu instid0(VALU_DEP_3) | instskip(NEXT) | instid1(VALU_DEP_3)
	v_pk_add_f32 v[24:25], v[8:9], v[30:31]
	v_dual_add_f32 v30, v10, v27 :: v_dual_sub_f32 v1, v1, v28
	v_mul_f32_e32 v8, 0x3fb8aa3b, v28
	s_delay_alu instid0(VALU_DEP_4) | instskip(NEXT) | instid1(VALU_DEP_3)
	v_add_f32_e32 v29, 0x3102e308, v29
	v_dual_sub_f32 v24, v24, v25 :: v_dual_sub_f32 v10, v10, v30
	s_delay_alu instid0(VALU_DEP_4) | instskip(NEXT) | instid1(VALU_DEP_4)
	v_dual_add_f32 v1, v26, v1 :: v_dual_mul_f32 v26, 0x3fb8aa3b, v30
	v_rndne_f32_e32 v8, v8
	s_delay_alu instid0(VALU_DEP_3) | instskip(NEXT) | instid1(VALU_DEP_4)
	v_dual_add_f32 v33, v12, v29 :: v_dual_add_f32 v24, 0x3102e308, v24
	v_add_f32_e32 v10, v27, v10
	s_delay_alu instid0(VALU_DEP_4) | instskip(NEXT) | instid1(VALU_DEP_3)
	v_rndne_f32_e32 v26, v26
	v_dual_mul_f32 v25, 0x2ea39ef3, v8 :: v_dual_sub_f32 v12, v12, v33
	v_mul_f32_e32 v31, 0x3fb8aa3b, v33
	s_delay_alu instid0(VALU_DEP_3)
	v_dual_add_f32 v37, v32, v24 :: v_dual_fmac_f32 v30, 0xbf317200, v26
	v_fmac_f32_e32 v28, 0xbf317200, v8
	v_mul_f32_e32 v34, 0x35bfbc00, v8
	v_mul_f32_e32 v38, 0x35bfbc00, v26
	v_dual_mul_f32 v27, 0x2ea39ef3, v26 :: v_dual_add_f32 v12, v29, v12
	v_cvt_i32_f32_e32 v42, v26
	v_rndne_f32_e32 v26, v31
	v_dual_sub_f32 v29, v32, v37 :: v_dual_add_f32 v35, v1, v28
	v_add_f32_e32 v39, v10, v30
	v_cvt_i32_f32_e32 v8, v8
	s_delay_alu instid0(VALU_DEP_3) | instskip(NEXT) | instid1(VALU_DEP_4)
	v_dual_fmac_f32 v33, 0xbf317200, v26 :: v_dual_add_f32 v24, v24, v29
	v_dual_sub_f32 v36, v28, v35 :: v_dual_sub_f32 v28, v35, v34
	v_mul_f32_e32 v32, 0x3fb8aa3b, v37
	v_mul_f32_e32 v40, 0x35bfbc00, v26
	v_dual_mul_f32 v31, 0x2ea39ef3, v26 :: v_dual_sub_f32 v30, v30, v39
	v_cvt_i32_f32_e32 v48, v26
	v_add_f32_e32 v1, v1, v36
	v_rndne_f32_e32 v26, v32
	v_sub_f32_e32 v29, v35, v28
	v_dual_sub_f32 v32, v39, v38 :: v_dual_add_f32 v41, v12, v33
	s_delay_alu instid0(VALU_DEP_3) | instskip(SKIP_2) | instid1(VALU_DEP_4)
	v_fmac_f32_e32 v37, 0xbf317200, v26
	v_mul_f32_e32 v43, 0x35bfbc00, v26
	v_cvt_i32_f32_e32 v49, v26
	v_dual_sub_f32 v36, v41, v40 :: v_dual_mul_f32 v35, 0x2ea39ef3, v26
	v_dual_sub_f32 v26, v29, v34 :: v_dual_sub_f32 v29, v39, v32
	v_dual_add_f32 v10, v10, v30 :: v_dual_sub_f32 v30, v33, v41
	s_delay_alu instid0(VALU_DEP_2) | instskip(NEXT) | instid1(VALU_DEP_3)
	v_dual_add_f32 v33, v24, v37 :: v_dual_add_f32 v1, v1, v26
	v_sub_f32_e32 v26, v29, v38
	s_delay_alu instid0(VALU_DEP_2) | instskip(SKIP_1) | instid1(VALU_DEP_3)
	v_dual_add_f32 v12, v12, v30 :: v_dual_sub_f32 v38, v33, v43
	v_sub_f32_e32 v30, v41, v36
	v_dual_sub_f32 v34, v37, v33 :: v_dual_add_f32 v10, v10, v26
	s_delay_alu instid0(VALU_DEP_2) | instskip(NEXT) | instid1(VALU_DEP_4)
	v_dual_add_f32 v29, v28, v1 :: v_dual_sub_f32 v26, v30, v40
	v_sub_f32_e32 v30, v33, v38
	s_delay_alu instid0(VALU_DEP_2) | instskip(NEXT) | instid1(VALU_DEP_4)
	v_dual_add_f32 v34, v24, v34 :: v_dual_mov_b32 v24, v29
	v_add_f32_e32 v33, v32, v10
	s_delay_alu instid0(VALU_DEP_2) | instskip(NEXT) | instid1(VALU_DEP_2)
	v_pk_add_f32 v[40:41], v[28:29], v[24:25] neg_lo:[0,1] neg_hi:[0,1]
	v_dual_add_f32 v12, v12, v26 :: v_dual_mov_b32 v26, v33
	s_delay_alu instid0(VALU_DEP_2) | instskip(NEXT) | instid1(VALU_DEP_2)
	v_dual_sub_f32 v30, v30, v43 :: v_dual_sub_f32 v24, v29, v41
	v_add_f32_e32 v37, v36, v12
	s_delay_alu instid0(VALU_DEP_3) | instskip(NEXT) | instid1(VALU_DEP_3)
	v_pk_add_f32 v[28:29], v[32:33], v[26:27] neg_lo:[0,1] neg_hi:[0,1]
	v_dual_add_f32 v43, v34, v30 :: v_dual_add_f32 v1, v1, v40
	s_delay_alu instid0(VALU_DEP_3) | instskip(NEXT) | instid1(VALU_DEP_3)
	v_dual_sub_f32 v26, v24, v25 :: v_dual_mov_b32 v30, v37
	v_add_f32_e32 v10, v10, v28
	s_delay_alu instid0(VALU_DEP_3) | instskip(NEXT) | instid1(VALU_DEP_3)
	v_dual_add_f32 v39, v38, v43 :: v_dual_sub_f32 v32, v33, v29
	v_add_f32_e32 v1, v1, v26
	s_delay_alu instid0(VALU_DEP_4) | instskip(NEXT) | instid1(VALU_DEP_3)
	v_pk_add_f32 v[24:25], v[36:37], v[30:31] neg_lo:[0,1] neg_hi:[0,1]
	v_dual_mov_b32 v34, v39 :: v_dual_sub_f32 v28, v32, v27
	s_delay_alu instid0(VALU_DEP_2) | instskip(NEXT) | instid1(VALU_DEP_4)
	v_dual_sub_f32 v30, v37, v25 :: v_dual_add_f32 v12, v12, v24
	v_add_f32_e32 v24, v41, v1
	s_delay_alu instid0(VALU_DEP_3) | instskip(NEXT) | instid1(VALU_DEP_4)
	v_pk_add_f32 v[26:27], v[38:39], v[34:35] neg_lo:[0,1] neg_hi:[0,1]
	v_add_f32_e32 v10, v10, v28
	s_delay_alu instid0(VALU_DEP_3) | instskip(NEXT) | instid1(VALU_DEP_3)
	v_dual_sub_f32 v28, v30, v31 :: v_dual_fmaak_f32 v31, s18, v24, 0x3c091de6
	v_dual_sub_f32 v32, v41, v24 :: v_dual_sub_f32 v30, v39, v27
	s_delay_alu instid0(VALU_DEP_3) | instskip(NEXT) | instid1(VALU_DEP_3)
	v_dual_mul_f32 v33, v24, v24 :: v_dual_add_f32 v34, v29, v10
	v_dual_add_f32 v26, v43, v26 :: v_dual_add_f32 v12, v12, v28
	s_delay_alu instid0(VALU_DEP_3) | instskip(NEXT) | instid1(VALU_DEP_4)
	v_sub_f32_e32 v28, v30, v35
	v_dual_fmaak_f32 v30, v24, v31, 0x3d2aadcc :: v_dual_add_f32 v1, v1, v32
	s_delay_alu instid0(VALU_DEP_4) | instskip(SKIP_3) | instid1(VALU_DEP_4)
	v_dual_fma_f32 v31, v24, v24, -v33 :: v_dual_sub_f32 v29, v29, v34
	v_dual_fmaak_f32 v32, s18, v34, 0x3c091de6 :: v_dual_mul_f32 v35, v34, v34
	v_add_f32_e32 v36, v25, v12
	v_add_f32_e32 v26, v26, v28
	v_dual_add_f32 v29, v10, v29 :: v_dual_fmaak_f32 v28, v24, v30, 0x3e2aaa47
	v_add_f32_e32 v30, v1, v1
	s_delay_alu instid0(VALU_DEP_3)
	v_dual_fmaak_f32 v32, v34, v32, 0x3d2aadcc :: v_dual_add_f32 v43, v27, v26
	v_dual_fma_f32 v10, v34, v34, -v35 :: v_dual_mul_f32 v38, v36, v36
	v_fmaak_f32 v37, s18, v36, 0x3c091de6
	v_sub_f32_e32 v25, v25, v36
	v_dual_fmaak_f32 v28, v24, v28, 0x3efffffc :: v_dual_fmac_f32 v31, v24, v30
	v_dual_fmaak_f32 v30, v34, v32, 0x3e2aaa47 :: v_dual_sub_f32 v27, v27, v43
	v_add_f32_e32 v32, v29, v29
	v_dual_fmaak_f32 v37, v36, v37, 0x3d2aadcc :: v_dual_mul_f32 v40, v43, v43
	v_dual_add_f32 v12, v12, v25 :: v_dual_fmaak_f32 v39, s18, v43, 0x3c091de6
	v_dual_fma_f32 v25, v36, v36, -v38 :: v_dual_add_f32 v41, v33, v31
	v_fmaak_f32 v30, v34, v30, 0x3efffffc
	s_delay_alu instid0(VALU_DEP_3) | instskip(SKIP_3) | instid1(VALU_DEP_4)
	v_dual_fmac_f32 v10, v34, v32 :: v_dual_fmaak_f32 v39, v43, v39, 0x3d2aadcc
	v_fmaak_f32 v32, v36, v37, 0x3e2aaa47
	v_dual_add_f32 v37, v12, v12 :: v_dual_add_f32 v44, v26, v27
	v_dual_sub_f32 v27, v41, v33 :: v_dual_fma_f32 v26, v43, v43, -v40
	v_dual_mul_f32 v33, v28, v41 :: v_dual_add_f32 v45, v35, v10
	s_delay_alu instid0(VALU_DEP_3) | instskip(SKIP_1) | instid1(VALU_DEP_4)
	v_dual_fmaak_f32 v32, v36, v32, 0x3efffffc :: v_dual_fmac_f32 v25, v36, v37
	v_fmaak_f32 v37, v43, v39, 0x3e2aaa47
	v_dual_add_f32 v39, v44, v44 :: v_dual_sub_f32 v27, v31, v27
	s_delay_alu instid0(VALU_DEP_4) | instskip(NEXT) | instid1(VALU_DEP_4)
	v_dual_fma_f32 v31, v41, v28, -v33 :: v_dual_mul_f32 v41, v30, v45
	v_dual_sub_f32 v35, v45, v35 :: v_dual_add_f32 v46, v38, v25
	s_delay_alu instid0(VALU_DEP_3) | instskip(NEXT) | instid1(VALU_DEP_2)
	v_dual_fmaak_f32 v37, v43, v37, 0x3efffffc :: v_dual_fmac_f32 v26, v43, v39
	v_dual_fmac_f32 v31, v27, v28 :: v_dual_sub_f32 v10, v10, v35
	s_delay_alu instid0(VALU_DEP_4) | instskip(NEXT) | instid1(VALU_DEP_2)
	v_fma_f32 v27, v45, v30, -v41
	v_dual_sub_f32 v28, v46, v38 :: v_dual_add_f32 v39, v33, v31
	v_mul_f32_e32 v35, v32, v46
	v_add_f32_e32 v38, v40, v26
	s_delay_alu instid0(VALU_DEP_3) | instskip(NEXT) | instid1(VALU_DEP_3)
	v_dual_fmac_f32 v27, v10, v30 :: v_dual_sub_f32 v25, v25, v28
	v_dual_sub_f32 v33, v39, v33 :: v_dual_fma_f32 v28, v46, v32, -v35
	s_delay_alu instid0(VALU_DEP_3) | instskip(SKIP_1) | instid1(VALU_DEP_4)
	v_dual_sub_f32 v30, v38, v40 :: v_dual_mul_f32 v40, v37, v38
	v_add_f32_e32 v10, v24, v39
	v_add_f32_e32 v45, v41, v27
	s_delay_alu instid0(VALU_DEP_3) | instskip(NEXT) | instid1(VALU_DEP_4)
	v_dual_fmac_f32 v28, v25, v32 :: v_dual_sub_f32 v25, v26, v30
	v_fma_f32 v30, v38, v37, -v40
	s_delay_alu instid0(VALU_DEP_4) | instskip(NEXT) | instid1(VALU_DEP_3)
	v_dual_sub_f32 v24, v10, v24 :: v_dual_sub_f32 v26, v31, v33
	v_dual_sub_f32 v31, v45, v41 :: v_dual_add_f32 v38, v35, v28
	s_delay_alu instid0(VALU_DEP_2) | instskip(NEXT) | instid1(VALU_DEP_2)
	v_dual_sub_f32 v24, v39, v24 :: v_dual_fmac_f32 v30, v25, v37
	v_dual_sub_f32 v25, v27, v31 :: v_dual_add_f32 v1, v1, v26
	s_delay_alu instid0(VALU_DEP_2) | instskip(NEXT) | instid1(VALU_DEP_2)
	v_dual_sub_f32 v26, v38, v35 :: v_dual_add_f32 v46, v40, v30
	v_add_f32_e32 v24, v1, v24
	s_delay_alu instid0(VALU_DEP_2) | instskip(NEXT) | instid1(VALU_DEP_3)
	v_dual_add_f32 v1, v29, v25 :: v_dual_sub_f32 v25, v28, v26
	v_sub_f32_e32 v27, v46, v40
	s_delay_alu instid0(VALU_DEP_2) | instskip(NEXT) | instid1(VALU_DEP_1)
	v_dual_add_f32 v26, v10, v24 :: v_dual_add_f32 v12, v12, v25
	v_dual_sub_f32 v28, v30, v27 :: v_dual_add_f32 v27, 1.0, v26
	s_delay_alu instid0(VALU_DEP_1) | instskip(NEXT) | instid1(VALU_DEP_2)
	v_add_f32_e32 v44, v44, v28
	v_pk_add_f32 v[28:29], v[26:27], v[10:11] neg_lo:[0,1] neg_hi:[0,1]
	v_pk_add_f32 v[30:31], v[26:27], v[14:15]
	s_delay_alu instid0(VALU_DEP_1) | instskip(SKIP_1) | instid1(VALU_DEP_2)
	v_dual_add_f32 v10, v34, v45 :: v_dual_mov_b32 v29, v31
	v_mov_b32_e32 v25, v26
	v_sub_f32_e32 v26, v10, v34
	s_delay_alu instid0(VALU_DEP_1) | instskip(NEXT) | instid1(VALU_DEP_3)
	v_sub_f32_e32 v26, v45, v26
	v_pk_add_f32 v[24:25], v[24:25], v[28:29] neg_lo:[0,1] neg_hi:[0,1]
	s_delay_alu instid0(VALU_DEP_1) | instskip(NEXT) | instid1(VALU_DEP_1)
	v_dual_add_f32 v34, v24, v25 :: v_dual_add_f32 v24, v1, v26
	v_dual_add_f32 v1, v27, v34 :: v_dual_add_f32 v28, v10, v24
	s_delay_alu instid0(VALU_DEP_1) | instskip(NEXT) | instid1(VALU_DEP_2)
	v_ldexp_f32 v26, v1, v8
	v_dual_add_f32 v29, 1.0, v28 :: v_dual_sub_f32 v1, v1, v27
	v_mov_b32_e32 v25, v28
	s_delay_alu instid0(VALU_DEP_3) | instskip(NEXT) | instid1(VALU_DEP_2)
	v_rcp_f32_e32 v50, v26
	v_pk_add_f32 v[30:31], v[28:29], v[14:15]
	v_pk_add_f32 v[32:33], v[28:29], v[10:11] neg_lo:[0,1] neg_hi:[0,1]
	v_dual_add_f32 v10, v36, v38 :: v_dual_sub_f32 v1, v34, v1
	s_delay_alu instid0(VALU_DEP_1) | instskip(NEXT) | instid1(VALU_DEP_2)
	v_dual_mov_b32 v33, v31 :: v_dual_sub_f32 v27, v10, v36
	v_ldexp_f32 v28, v1, v8
	s_delay_alu instid0(VALU_DEP_2) | instskip(SKIP_1) | instid1(VALU_DEP_2)
	v_pk_add_f32 v[24:25], v[24:25], v[32:33] neg_lo:[0,1] neg_hi:[0,1]
	v_mul_f32_e32 v30, v26, v50
	v_dual_sub_f32 v1, v38, v27 :: v_dual_add_f32 v8, v24, v25
	s_delay_alu instid0(VALU_DEP_1) | instskip(NEXT) | instid1(VALU_DEP_1)
	v_dual_fma_f32 v32, v50, v26, -v30 :: v_dual_add_f32 v24, v12, v1
	v_add_f32_e32 v34, v10, v24
	s_delay_alu instid0(VALU_DEP_1) | instskip(NEXT) | instid1(VALU_DEP_1)
	v_dual_add_f32 v1, v29, v8 :: v_dual_mov_b32 v25, v34
	v_dual_fmac_f32 v32, v50, v28 :: v_dual_sub_f32 v29, v1, v29
	v_ldexp_f32 v27, v1, v42
	s_delay_alu instid0(VALU_DEP_2) | instskip(NEXT) | instid1(VALU_DEP_2)
	v_dual_add_f32 v12, v30, v32 :: v_dual_sub_f32 v1, v8, v29
	v_rcp_f32_e32 v8, v27
	s_delay_alu instid0(VALU_DEP_1) | instskip(SKIP_1) | instid1(VALU_DEP_3)
	v_dual_mov_b32 v33, v12 :: v_dual_add_f32 v35, 1.0, v34
	v_sub_f32_e32 v31, 1.0, v12
	v_ldexp_f32 v29, v1, v42
	s_delay_alu instid0(VALU_DEP_3) | instskip(SKIP_3) | instid1(VALU_DEP_2)
	v_pk_add_f32 v[36:37], v[34:35], v[10:11] neg_lo:[0,1] neg_hi:[0,1]
	v_pk_add_f32 v[38:39], v[34:35], v[14:15]
	v_add_f32_e32 v10, v43, v46
	v_pk_add_f32 v[40:41], v[12:13], v[30:31] neg_lo:[0,1] neg_hi:[0,1]
	v_dual_mov_b32 v37, v39 :: v_dual_sub_f32 v1, v10, v43
	v_mul_f32_e32 v30, v27, v8
	s_delay_alu instid0(VALU_DEP_3) | instskip(NEXT) | instid1(VALU_DEP_3)
	v_pk_add_f32 v[32:33], v[40:41], v[32:33] neg_lo:[0,1] neg_hi:[0,1]
	v_pk_add_f32 v[24:25], v[24:25], v[36:37] neg_lo:[0,1] neg_hi:[0,1]
	s_delay_alu instid0(VALU_DEP_4) | instskip(NEXT) | instid1(VALU_DEP_2)
	v_sub_f32_e32 v1, v46, v1
	v_add_f32_e32 v36, v24, v25
	s_delay_alu instid0(VALU_DEP_2) | instskip(NEXT) | instid1(VALU_DEP_1)
	v_add_f32_e32 v24, v44, v1
	v_dual_add_f32 v34, v10, v24 :: v_dual_add_f32 v33, v32, v33
	s_delay_alu instid0(VALU_DEP_3) | instskip(NEXT) | instid1(VALU_DEP_2)
	v_dual_add_f32 v1, v35, v36 :: v_dual_fma_f32 v32, v8, v27, -v30
	v_dual_mov_b32 v25, v34 :: v_dual_add_f32 v37, v31, v33
	s_delay_alu instid0(VALU_DEP_2) | instskip(SKIP_1) | instid1(VALU_DEP_3)
	v_dual_sub_f32 v41, v1, v35 :: v_dual_fmac_f32 v32, v8, v29
	v_ldexp_f32 v38, v1, v48
	v_dual_add_f32 v35, 1.0, v34 :: v_dual_mul_f32 v39, v50, v37
	s_delay_alu instid0(VALU_DEP_3) | instskip(NEXT) | instid1(VALU_DEP_3)
	v_dual_sub_f32 v31, v31, v37 :: v_dual_add_f32 v12, v30, v32
	v_rcp_f32_e32 v52, v38
	s_delay_alu instid0(VALU_DEP_2) | instskip(NEXT) | instid1(VALU_DEP_3)
	v_pk_add_f32 v[44:45], v[34:35], v[14:15]
	v_mul_f32_e32 v40, v26, v39
	s_delay_alu instid0(VALU_DEP_3) | instskip(SKIP_4) | instid1(VALU_DEP_4)
	v_dual_add_f32 v1, v33, v31 :: v_dual_mov_b32 v33, v12
	v_sub_f32_e32 v31, 1.0, v12
	v_pk_add_f32 v[42:43], v[34:35], v[10:11] neg_lo:[0,1] neg_hi:[0,1]
	v_dual_add_f32 v51, v50, v39 :: v_dual_sub_f32 v36, v36, v41
	v_dual_fma_f32 v44, v39, v26, -v40 :: v_dual_mov_b32 v43, v45
	v_pk_add_f32 v[46:47], v[12:13], v[30:31] neg_lo:[0,1] neg_hi:[0,1]
	s_delay_alu instid0(VALU_DEP_3) | instskip(NEXT) | instid1(VALU_DEP_3)
	v_dual_sub_f32 v10, v51, v50 :: v_dual_mul_f32 v34, v38, v52
	v_fmac_f32_e32 v44, v39, v28
	s_delay_alu instid0(VALU_DEP_4) | instskip(NEXT) | instid1(VALU_DEP_4)
	v_pk_add_f32 v[24:25], v[24:25], v[42:43] neg_lo:[0,1] neg_hi:[0,1]
	v_pk_add_f32 v[32:33], v[46:47], v[32:33] neg_lo:[0,1] neg_hi:[0,1]
	v_ldexp_f32 v30, v36, v48
	s_delay_alu instid0(VALU_DEP_3) | instskip(NEXT) | instid1(VALU_DEP_3)
	v_dual_sub_f32 v10, v39, v10 :: v_dual_add_f32 v24, v24, v25
	v_add_f32_e32 v33, v32, v33
	s_delay_alu instid0(VALU_DEP_1) | instskip(NEXT) | instid1(VALU_DEP_1)
	v_dual_add_f32 v36, v40, v44 :: v_dual_add_f32 v25, v31, v33
	v_dual_sub_f32 v41, v37, v36 :: v_dual_sub_f32 v31, v31, v25
	s_delay_alu instid0(VALU_DEP_4) | instskip(NEXT) | instid1(VALU_DEP_2)
	v_dual_fma_f32 v32, v52, v38, -v34 :: v_dual_add_f32 v39, v35, v24
	v_dual_mul_f32 v43, v8, v25 :: v_dual_add_f32 v46, v33, v31
	s_delay_alu instid0(VALU_DEP_2) | instskip(SKIP_3) | instid1(VALU_DEP_4)
	v_dual_fmac_f32 v32, v52, v30 :: v_dual_sub_f32 v42, v39, v35
	v_mov_b32_e32 v45, v36
	v_pk_add_f32 v[36:37], v[36:37], v[40:41] neg_lo:[0,1] neg_hi:[0,1]
	v_ldexp_f32 v39, v39, v49
	v_dual_add_f32 v12, v34, v32 :: v_dual_mul_f32 v40, v27, v43
	v_add_f32_e32 v47, v8, v43
	s_delay_alu instid0(VALU_DEP_4) | instskip(NEXT) | instid1(VALU_DEP_4)
	v_pk_add_f32 v[36:37], v[36:37], v[44:45] neg_lo:[0,1] neg_hi:[0,1]
	v_rcp_f32_e32 v48, v39
	s_delay_alu instid0(VALU_DEP_3) | instskip(NEXT) | instid1(VALU_DEP_2)
	v_dual_sub_f32 v35, 1.0, v12 :: v_dual_mov_b32 v33, v12
	v_dual_sub_f32 v24, v24, v42 :: v_dual_add_f32 v1, v1, v37
	v_fma_f32 v42, v43, v27, -v40
	s_delay_alu instid0(VALU_DEP_3) | instskip(NEXT) | instid1(VALU_DEP_3)
	v_pk_add_f32 v[44:45], v[12:13], v[34:35] neg_lo:[0,1] neg_hi:[0,1]
	v_ldexp_f32 v31, v24, v49
	s_delay_alu instid0(TRANS32_DEP_1) | instid1(VALU_DEP_4)
	v_dual_add_f32 v1, v36, v1 :: v_dual_mul_f32 v34, v39, v48
	s_delay_alu instid0(VALU_DEP_3) | instskip(NEXT) | instid1(VALU_DEP_2)
	v_pk_add_f32 v[32:33], v[44:45], v[32:33] neg_lo:[0,1] neg_hi:[0,1]
	v_dual_add_f32 v1, v41, v1 :: v_dual_sub_f32 v37, v47, v8
	s_delay_alu instid0(VALU_DEP_3) | instskip(NEXT) | instid1(VALU_DEP_1)
	v_fma_f32 v36, v48, v39, -v34
	v_dual_fmac_f32 v42, v43, v29 :: v_dual_fmac_f32 v36, v48, v31
	s_delay_alu instid0(VALU_DEP_1) | instskip(NEXT) | instid1(VALU_DEP_2)
	v_dual_sub_f32 v49, v43, v37 :: v_dual_add_f32 v24, v40, v42
	v_dual_add_f32 v32, v32, v33 :: v_dual_add_f32 v12, v34, v36
	s_delay_alu instid0(VALU_DEP_2) | instskip(NEXT) | instid1(VALU_DEP_2)
	v_dual_mov_b32 v43, v24 :: v_dual_sub_f32 v41, v25, v24
	v_dual_mul_f32 v1, v50, v1 :: v_dual_add_f32 v33, v35, v32
	s_delay_alu instid0(VALU_DEP_3) | instskip(NEXT) | instid1(VALU_DEP_3)
	v_mov_b32_e32 v37, v12
	v_pk_add_f32 v[24:25], v[24:25], v[40:41] neg_lo:[0,1] neg_hi:[0,1]
	s_delay_alu instid0(VALU_DEP_3) | instskip(NEXT) | instid1(VALU_DEP_4)
	v_add_f32_e32 v1, v10, v1
	v_dual_mul_f32 v10, v52, v33 :: v_dual_sub_f32 v40, v35, v33
	v_sub_f32_e32 v35, 1.0, v12
	s_delay_alu instid0(VALU_DEP_4) | instskip(NEXT) | instid1(VALU_DEP_3)
	v_pk_add_f32 v[24:25], v[24:25], v[42:43] neg_lo:[0,1] neg_hi:[0,1]
	v_dual_add_f32 v45, v51, v1 :: v_dual_add_f32 v53, v52, v10
	s_delay_alu instid0(VALU_DEP_3) | instskip(SKIP_1) | instid1(VALU_DEP_3)
	v_pk_add_f32 v[42:43], v[12:13], v[34:35] neg_lo:[0,1] neg_hi:[0,1]
	v_dual_mul_f32 v34, v38, v10 :: v_dual_add_f32 v12, v32, v40
	v_dual_add_f32 v25, v46, v25 :: v_dual_sub_f32 v55, v53, v52
	s_delay_alu instid0(VALU_DEP_3) | instskip(NEXT) | instid1(VALU_DEP_3)
	v_pk_add_f32 v[36:37], v[42:43], v[36:37] neg_lo:[0,1] neg_hi:[0,1]
	v_fma_f32 v42, v10, v38, -v34
	v_ldexp_f32 v40, v45, -2
	s_delay_alu instid0(VALU_DEP_4) | instskip(NEXT) | instid1(VALU_DEP_4)
	v_dual_add_f32 v54, v24, v25 :: v_dual_sub_f32 v25, v45, v51
	v_add_f32_e32 v50, v36, v37
	s_delay_alu instid0(VALU_DEP_1) | instskip(NEXT) | instid1(VALU_DEP_1)
	v_dual_sub_f32 v1, v1, v25 :: v_dual_add_f32 v37, v35, v50
	v_dual_mul_f32 v46, v48, v37 :: v_dual_sub_f32 v51, v35, v37
	s_delay_alu instid0(VALU_DEP_1) | instskip(NEXT) | instid1(VALU_DEP_1)
	v_mul_f32_e32 v44, v39, v46
	v_fma_f32 v24, v46, v39, -v44
	s_delay_alu instid0(VALU_DEP_1) | instskip(SKIP_1) | instid1(VALU_DEP_1)
	v_fmac_f32_e32 v24, v46, v31
	v_dual_fmac_f32 v42, v10, v30 :: v_dual_sub_f32 v10, v10, v55
	v_dual_add_f32 v36, v44, v24 :: v_dual_add_f32 v32, v34, v42
	s_delay_alu instid0(VALU_DEP_1) | instskip(NEXT) | instid1(VALU_DEP_2)
	v_sub_f32_e32 v45, v37, v36
	v_dual_sub_f32 v35, v33, v32 :: v_dual_mov_b32 v43, v32
	v_mov_b32_e32 v25, v36
	s_delay_alu instid0(VALU_DEP_3) | instskip(NEXT) | instid1(VALU_DEP_3)
	v_pk_add_f32 v[36:37], v[36:37], v[44:45] neg_lo:[0,1] neg_hi:[0,1]
	v_pk_add_f32 v[32:33], v[32:33], v[34:35] neg_lo:[0,1] neg_hi:[0,1]
	v_ldexp_f32 v34, v1, -2
	s_delay_alu instid0(VALU_DEP_3) | instskip(NEXT) | instid1(VALU_DEP_3)
	v_pk_add_f32 v[24:25], v[36:37], v[24:25] neg_lo:[0,1] neg_hi:[0,1]
	v_pk_add_f32 v[32:33], v[32:33], v[42:43] neg_lo:[0,1] neg_hi:[0,1]
	v_dual_add_f32 v42, v50, v51 :: v_dual_add_f32 v36, v41, v54
	s_delay_alu instid0(VALU_DEP_1) | instskip(NEXT) | instid1(VALU_DEP_3)
	v_mul_f32_e32 v8, v8, v36
	v_add_f32_e32 v1, v12, v33
	s_delay_alu instid0(VALU_DEP_3) | instskip(NEXT) | instid1(VALU_DEP_2)
	v_dual_add_f32 v12, v42, v25 :: v_dual_add_f32 v42, v48, v46
	v_dual_add_f32 v8, v49, v8 :: v_dual_add_f32 v1, v32, v1
	s_delay_alu instid0(VALU_DEP_1) | instskip(NEXT) | instid1(VALU_DEP_3)
	v_add_f32_e32 v25, v47, v8
	v_add_f32_e32 v12, v24, v12
	s_delay_alu instid0(VALU_DEP_3) | instskip(NEXT) | instid1(VALU_DEP_3)
	v_dual_sub_f32 v24, v42, v48 :: v_dual_add_f32 v1, v35, v1
	v_sub_f32_e32 v32, v25, v47
	s_delay_alu instid0(VALU_DEP_2) | instskip(NEXT) | instid1(VALU_DEP_2)
	v_dual_add_f32 v12, v45, v12 :: v_dual_mul_f32 v1, v52, v1
	v_sub_f32_e32 v8, v8, v32
	s_delay_alu instid0(VALU_DEP_2) | instskip(SKIP_2) | instid1(VALU_DEP_4)
	v_dual_mul_f32 v12, v48, v12 :: v_dual_add_f32 v1, v10, v1
	v_sub_f32_e32 v24, v46, v24
	v_ldexp_f32 v41, v25, -2
	v_ldexp_f32 v35, v8, -2
	s_delay_alu instid0(VALU_DEP_3) | instskip(NEXT) | instid1(VALU_DEP_3)
	v_add_f32_e32 v10, v24, v12
	v_pk_add_f32 v[24:25], v[26:27], v[40:41] neg_lo:[0,1] neg_hi:[0,1]
	s_delay_alu instid0(VALU_DEP_2) | instskip(NEXT) | instid1(VALU_DEP_2)
	v_dual_add_f32 v12, v53, v1 :: v_dual_add_f32 v43, v42, v10
	v_pk_add_f32 v[26:27], v[26:27], v[24:25] neg_lo:[0,1] neg_hi:[0,1]
	s_delay_alu instid0(VALU_DEP_2) | instskip(SKIP_1) | instid1(VALU_DEP_4)
	v_ldexp_f32 v32, v12, -2
	v_sub_f32_e32 v8, v12, v53
	v_ldexp_f32 v33, v43, -2
	s_delay_alu instid0(VALU_DEP_4) | instskip(NEXT) | instid1(VALU_DEP_3)
	v_pk_add_f32 v[26:27], v[26:27], v[40:41] neg_lo:[0,1] neg_hi:[0,1]
	v_dual_sub_f32 v12, v43, v42 :: v_dual_sub_f32 v1, v1, v8
	s_delay_alu instid0(VALU_DEP_3) | instskip(NEXT) | instid1(VALU_DEP_3)
	v_pk_add_f32 v[36:37], v[38:39], v[32:33] neg_lo:[0,1] neg_hi:[0,1]
	v_pk_add_f32 v[26:27], v[28:29], v[26:27]
	s_delay_alu instid0(VALU_DEP_3) | instskip(NEXT) | instid1(VALU_DEP_3)
	v_sub_f32_e32 v8, v10, v12
	v_pk_add_f32 v[28:29], v[38:39], v[36:37] neg_lo:[0,1] neg_hi:[0,1]
	s_delay_alu instid0(VALU_DEP_3) | instskip(NEXT) | instid1(VALU_DEP_2)
	v_pk_add_f32 v[26:27], v[26:27], v[34:35] neg_lo:[0,1] neg_hi:[0,1]
	v_pk_add_f32 v[28:29], v[28:29], v[32:33] neg_lo:[0,1] neg_hi:[0,1]
	s_delay_alu instid0(VALU_DEP_2) | instskip(SKIP_2) | instid1(VALU_DEP_4)
	v_pk_add_f32 v[24:25], v[24:25], v[26:27]
	v_ldexp_f32 v26, v1, -2
	v_ldexp_f32 v27, v8, -2
	v_pk_add_f32 v[28:29], v[30:31], v[28:29]
	s_delay_alu instid0(VALU_DEP_4)
	v_cndmask_b32_e64 v1, 0x7f800000, v25, s2
	v_cndmask_b32_e32 v8, 0x7f800000, v24, vcc_lo
	v_cmp_gt_f32_e64 s2, 0x39800000, |v2|
	v_cmp_nlt_f32_e64 vcc_lo, 0x42b2d4fc, |v4|
	v_pk_add_f32 v[26:27], v[28:29], v[26:27] neg_lo:[0,1] neg_hi:[0,1]
	v_cndmask_b32_e64 v1, v1, |v3|, s20
	v_cmp_gt_f32_e64 s20, 0x39800000, |v5|
	v_cndmask_b32_e64 v8, v8, |v2|, s2
	v_cmp_nlt_f32_e64 s2, 0x42b2d4fc, |v5|
	v_pk_add_f32 v[24:25], v[36:37], v[26:27]
	s_wait_xcnt 0x0
	v_bfi_b32 v3, 0x7fffffff, v1, v3
	v_bfi_b32 v2, 0x7fffffff, v8, v2
	s_delay_alu instid0(VALU_DEP_3) | instskip(SKIP_3) | instid1(VALU_DEP_4)
	v_cndmask_b32_e64 v10, 0x7f800000, v25, s2
	v_cndmask_b32_e32 v12, 0x7f800000, v24, vcc_lo
	v_cmp_gt_f32_e64 s2, 0x39800000, |v4|
	v_cmp_ge_i64_e32 vcc_lo, v[22:23], v[6:7]
	v_cndmask_b32_e64 v10, v10, |v5|, s20
	s_delay_alu instid0(VALU_DEP_3) | instskip(NEXT) | instid1(VALU_DEP_2)
	v_cndmask_b32_e64 v12, v12, |v4|, s2
	v_bfi_b32 v5, 0x7fffffff, v10, v5
	s_or_b32 s19, vcc_lo, s19
	s_delay_alu instid0(VALU_DEP_2)
	v_bfi_b32 v4, 0x7fffffff, v12, v4
	global_store_b128 v[20:21], v[2:5], off
	s_wait_xcnt 0x0
	s_and_not1_b32 exec_lo, exec_lo, s19
	s_cbranch_execnz .LBB118_3
.LBB118_4:
	s_or_b32 exec_lo, exec_lo, s3
	s_mov_b32 s2, 0
.LBB118_5:
	s_delay_alu instid0(SALU_CYCLE_1)
	s_and_not1_b32 vcc_lo, exec_lo, s2
	s_cbranch_vccnz .LBB118_25
; %bb.6:
	v_cmp_lt_i64_e64 s2, s[10:11], 1
	s_and_b32 vcc_lo, exec_lo, s2
	s_cbranch_vccnz .LBB118_25
; %bb.7:
	s_load_b32 s0, s[0:1], 0xc5c
	v_min_i64 v[2:3], 0x10000, s[10:11]
	v_min_u64 v[4:5], 0x10000, s[10:11]
	v_dual_mov_b32 v1, 0 :: v_dual_lshlrev_b32 v12, 2, v0
	s_wait_xcnt 0x0
	s_mov_b32 s1, 0
	v_dual_mov_b32 v31, 1.0 :: v_dual_mov_b32 v33, -1.0
	s_delay_alu instid0(VALU_DEP_2) | instskip(SKIP_3) | instid1(VALU_DEP_1)
	v_dual_mov_b32 v13, v1 :: v_dual_mov_b32 v27, v1
	s_mov_b32 s17, s1
	s_mov_b32 s3, s1
	;; [unrolled: 1-line block ×3, first 2 shown]
	v_add_nc_u64_e32 v[6:7], s[6:7], v[12:13]
	v_add_nc_u64_e32 v[8:9], s[8:9], v[12:13]
	s_mov_b32 s11, s1
	s_mov_b32 s13, s1
	v_mov_b32_e32 v29, 0x3f317218
	s_wait_kmcnt 0x0
	s_and_b32 s0, s0, 0xffff
	s_delay_alu instid0(SALU_CYCLE_1)
	v_add_nc_u64_e32 v[10:11], s[0:1], v[0:1]
	v_mad_nc_u64_u32 v[22:23], s0, 12, v[12:13]
	s_lshl_b32 s16, s0, 3
	s_lshl_b32 s2, s0, 1
	v_add_nc_u64_e32 v[18:19], s[16:17], v[12:13]
	s_mul_i32 s14, s0, 3
	v_add_nc_u64_e32 v[14:15], s[2:3], v[0:1]
	v_lshlrev_b32_e32 v26, 2, v10
	v_add_nc_u64_e32 v[12:13], s[14:15], v[0:1]
	s_lshl_b32 s10, s0, 2
	s_lshl_b32 s12, s0, 4
	v_add_nc_u64_e32 v[16:17], s[6:7], v[18:19]
	v_add_nc_u64_e32 v[18:19], s[8:9], v[18:19]
	;; [unrolled: 1-line block ×6, first 2 shown]
	s_mov_b64 s[6:7], 0
	s_mov_b32 s8, 0x3ab42872
	s_mov_b32 s3, -1.0
	s_branch .LBB118_9
.LBB118_8:                              ;   in Loop: Header=BB118_9 Depth=1
	s_wait_xcnt 0x0
	s_or_b32 exec_lo, exec_lo, s0
	s_add_nc_u64 s[6:7], s[6:7], s[10:11]
	v_add_nc_u64_e32 v[6:7], s[12:13], v[6:7]
	v_cmp_ge_i64_e32 vcc_lo, s[6:7], v[2:3]
	v_add_nc_u64_e32 v[8:9], s[12:13], v[8:9]
	v_add_nc_u64_e32 v[20:21], s[12:13], v[20:21]
	;; [unrolled: 1-line block ×7, first 2 shown]
	s_cbranch_vccnz .LBB118_25
.LBB118_9:                              ; =>This Inner Loop Header: Depth=1
	s_wait_loadcnt 0x0
	v_add_nc_u64_e32 v[34:35], s[6:7], v[0:1]
	v_mov_b32_e32 v37, 0
	s_delay_alu instid0(VALU_DEP_2)
	v_cmp_lt_u64_e64 s2, v[34:35], v[4:5]
	s_and_saveexec_b32 s0, s2
	s_cbranch_execz .LBB118_11
; %bb.10:                               ;   in Loop: Header=BB118_9 Depth=1
	v_add_nc_u64_e32 v[34:35], s[4:5], v[6:7]
	global_load_b32 v37, v[34:35], off
.LBB118_11:                             ;   in Loop: Header=BB118_9 Depth=1
	s_wait_xcnt 0x0
	s_or_b32 exec_lo, exec_lo, s0
	v_add_nc_u64_e32 v[34:35], s[6:7], v[10:11]
	v_mov_b32_e32 v36, 0
	s_delay_alu instid0(VALU_DEP_2)
	v_cmp_lt_u64_e64 s1, v[34:35], v[4:5]
	v_mov_b32_e32 v35, 0
	s_and_saveexec_b32 s0, s1
	s_cbranch_execz .LBB118_13
; %bb.12:                               ;   in Loop: Header=BB118_9 Depth=1
	v_add_nc_u64_e32 v[38:39], s[4:5], v[24:25]
	global_load_b32 v36, v[38:39], off
.LBB118_13:                             ;   in Loop: Header=BB118_9 Depth=1
	s_wait_xcnt 0x0
	s_or_b32 exec_lo, exec_lo, s0
	v_add_nc_u64_e32 v[38:39], s[6:7], v[14:15]
	s_delay_alu instid0(VALU_DEP_1)
	v_cmp_lt_u64_e64 s0, v[38:39], v[4:5]
	s_and_saveexec_b32 s9, s0
	s_cbranch_execz .LBB118_15
; %bb.14:                               ;   in Loop: Header=BB118_9 Depth=1
	v_add_nc_u64_e32 v[34:35], s[4:5], v[16:17]
	global_load_b32 v35, v[34:35], off
.LBB118_15:                             ;   in Loop: Header=BB118_9 Depth=1
	s_wait_xcnt 0x0
	s_or_b32 exec_lo, exec_lo, s9
	v_add_nc_u64_e32 v[38:39], s[6:7], v[12:13]
	v_mov_b32_e32 v34, 0
	s_delay_alu instid0(VALU_DEP_2)
	v_cmp_lt_u64_e32 vcc_lo, v[38:39], v[4:5]
	s_and_saveexec_b32 s9, vcc_lo
	s_cbranch_execnz .LBB118_20
; %bb.16:                               ;   in Loop: Header=BB118_9 Depth=1
	s_or_b32 exec_lo, exec_lo, s9
	s_and_saveexec_b32 s9, s2
	s_cbranch_execnz .LBB118_21
.LBB118_17:                             ;   in Loop: Header=BB118_9 Depth=1
	s_or_b32 exec_lo, exec_lo, s9
	s_and_saveexec_b32 s2, s1
	s_cbranch_execnz .LBB118_22
.LBB118_18:                             ;   in Loop: Header=BB118_9 Depth=1
	s_or_b32 exec_lo, exec_lo, s2
	s_and_saveexec_b32 s1, s0
	s_cbranch_execnz .LBB118_23
.LBB118_19:                             ;   in Loop: Header=BB118_9 Depth=1
	s_or_b32 exec_lo, exec_lo, s1
	s_and_saveexec_b32 s0, vcc_lo
	s_cbranch_execz .LBB118_8
	s_branch .LBB118_24
.LBB118_20:                             ;   in Loop: Header=BB118_9 Depth=1
	v_add_nc_u64_e32 v[38:39], s[4:5], v[20:21]
	global_load_b32 v34, v[38:39], off
	s_wait_xcnt 0x0
	s_or_b32 exec_lo, exec_lo, s9
	s_and_saveexec_b32 s9, s2
	s_cbranch_execz .LBB118_17
.LBB118_21:                             ;   in Loop: Header=BB118_9 Depth=1
	s_wait_loadcnt 0x0
	v_add_f32_e64 v30, 0xbf317218, |v37|
	v_and_b32_e32 v28, 0x7fffffff, v37
	s_delay_alu instid0(VALU_DEP_2) | instskip(NEXT) | instid1(VALU_DEP_1)
	v_sub_f32_e64 v39, v30, |v37|
	v_sub_f32_e32 v38, v39, v30
	s_delay_alu instid0(VALU_DEP_1) | instskip(NEXT) | instid1(VALU_DEP_1)
	v_pk_add_f32 v[38:39], v[28:29], v[38:39]
	v_sub_f32_e32 v28, v38, v39
	s_delay_alu instid0(VALU_DEP_1) | instskip(NEXT) | instid1(VALU_DEP_1)
	v_add_f32_e32 v28, 0x3102e308, v28
	v_add_f32_e32 v32, v30, v28
	s_delay_alu instid0(VALU_DEP_1) | instskip(NEXT) | instid1(VALU_DEP_1)
	v_sub_f32_e32 v30, v30, v32
	v_add_f32_e32 v28, v28, v30
	v_mul_f32_e32 v38, 0x3fb8aa3b, v32
	s_delay_alu instid0(VALU_DEP_1) | instskip(NEXT) | instid1(VALU_DEP_1)
	v_rndne_f32_e32 v46, v38
	v_fmac_f32_e32 v32, 0xbf317200, v46
	v_mul_f32_e32 v30, 0x35bfbc00, v46
	v_mul_f32_e32 v41, 0x2ea39ef3, v46
	s_delay_alu instid0(VALU_DEP_3) | instskip(NEXT) | instid1(VALU_DEP_1)
	v_add_f32_e32 v39, v28, v32
	v_dual_sub_f32 v38, v39, v30 :: v_dual_sub_f32 v32, v32, v39
	s_delay_alu instid0(VALU_DEP_1) | instskip(NEXT) | instid1(VALU_DEP_1)
	v_sub_f32_e32 v39, v39, v38
	v_dual_sub_f32 v30, v39, v30 :: v_dual_add_f32 v28, v28, v32
	s_delay_alu instid0(VALU_DEP_1) | instskip(NEXT) | instid1(VALU_DEP_1)
	v_add_f32_e32 v28, v28, v30
	v_add_f32_e32 v39, v38, v28
	s_delay_alu instid0(VALU_DEP_1) | instskip(NEXT) | instid1(VALU_DEP_1)
	v_mov_b32_e32 v40, v39
	v_pk_add_f32 v[42:43], v[38:39], v[40:41] neg_lo:[0,1] neg_hi:[0,1]
	s_delay_alu instid0(VALU_DEP_1) | instskip(NEXT) | instid1(VALU_DEP_1)
	v_dual_sub_f32 v30, v39, v43 :: v_dual_add_f32 v28, v28, v42
	v_sub_f32_e32 v30, v30, v41
	s_delay_alu instid0(VALU_DEP_1) | instskip(NEXT) | instid1(VALU_DEP_1)
	v_add_f32_e32 v28, v28, v30
	v_add_f32_e32 v30, v43, v28
	s_delay_alu instid0(VALU_DEP_1) | instskip(SKIP_2) | instid1(VALU_DEP_3)
	v_sub_f32_e32 v32, v43, v30
	v_mov_b64_e32 v[42:43], s[2:3]
	v_cmp_nlt_f32_e64 s2, 0x42b2d4fc, |v37|
	v_add_f32_e32 v28, v28, v32
	s_delay_alu instid0(VALU_DEP_1) | instskip(SKIP_1) | instid1(VALU_DEP_2)
	v_dual_add_f32 v40, v28, v28 :: v_dual_mul_f32 v38, v30, v30
	v_fmaak_f32 v32, s8, v30, 0x3c091de6
	v_fma_f32 v39, v30, v30, -v38
	s_delay_alu instid0(VALU_DEP_2) | instskip(NEXT) | instid1(VALU_DEP_2)
	v_fmaak_f32 v32, v30, v32, 0x3d2aadcc
	v_fmac_f32_e32 v39, v30, v40
	s_delay_alu instid0(VALU_DEP_2) | instskip(NEXT) | instid1(VALU_DEP_2)
	v_fmaak_f32 v32, v30, v32, 0x3e2aaa47
	v_add_f32_e32 v40, v38, v39
	s_delay_alu instid0(VALU_DEP_2) | instskip(NEXT) | instid1(VALU_DEP_2)
	v_fmaak_f32 v32, v30, v32, 0x3efffffc
	v_sub_f32_e32 v38, v40, v38
	s_delay_alu instid0(VALU_DEP_1) | instskip(NEXT) | instid1(VALU_DEP_1)
	v_dual_sub_f32 v38, v39, v38 :: v_dual_mul_f32 v41, v32, v40
	v_fma_f32 v39, v40, v32, -v41
	s_delay_alu instid0(VALU_DEP_1) | instskip(NEXT) | instid1(VALU_DEP_1)
	v_fmac_f32_e32 v39, v38, v32
	v_add_f32_e32 v38, v41, v39
	s_delay_alu instid0(VALU_DEP_1) | instskip(NEXT) | instid1(VALU_DEP_1)
	v_sub_f32_e32 v40, v38, v41
	v_sub_f32_e32 v39, v39, v40
	s_delay_alu instid0(VALU_DEP_1) | instskip(NEXT) | instid1(VALU_DEP_1)
	v_dual_add_f32 v28, v28, v39 :: v_dual_add_f32 v32, v30, v38
	v_sub_f32_e32 v30, v32, v30
	s_delay_alu instid0(VALU_DEP_1) | instskip(NEXT) | instid1(VALU_DEP_1)
	v_sub_f32_e32 v30, v38, v30
	v_add_f32_e32 v38, v28, v30
	v_cvt_i32_f32_e32 v30, v46
	s_delay_alu instid0(VALU_DEP_2) | instskip(NEXT) | instid1(VALU_DEP_1)
	v_add_f32_e32 v40, v32, v38
	v_dual_add_f32 v41, 1.0, v40 :: v_dual_mov_b32 v39, v40
	s_delay_alu instid0(VALU_DEP_1) | instskip(SKIP_1) | instid1(VALU_DEP_2)
	v_pk_add_f32 v[42:43], v[40:41], v[42:43]
	v_pk_add_f32 v[44:45], v[40:41], v[32:33] neg_lo:[0,1] neg_hi:[0,1]
	v_mov_b32_e32 v45, v43
	s_delay_alu instid0(VALU_DEP_1) | instskip(NEXT) | instid1(VALU_DEP_1)
	v_pk_add_f32 v[38:39], v[38:39], v[44:45] neg_lo:[0,1] neg_hi:[0,1]
	v_add_f32_e32 v28, v38, v39
	s_delay_alu instid0(VALU_DEP_1) | instskip(NEXT) | instid1(VALU_DEP_1)
	v_add_f32_e32 v32, v41, v28
	v_ldexp_f32 v44, v32, v30
	v_sub_f32_e32 v32, v32, v41
	s_delay_alu instid0(VALU_DEP_2) | instskip(NEXT) | instid1(VALU_DEP_1)
	v_rcp_f32_e32 v45, v44
	v_sub_f32_e32 v28, v28, v32
	s_delay_alu instid0(VALU_DEP_1) | instskip(NEXT) | instid1(TRANS32_DEP_1)
	v_ldexp_f32 v28, v28, v30
	v_mul_f32_e32 v38, v44, v45
	s_delay_alu instid0(VALU_DEP_1) | instskip(NEXT) | instid1(VALU_DEP_1)
	v_fma_f32 v40, v45, v44, -v38
	v_fmac_f32_e32 v40, v45, v28
	s_delay_alu instid0(VALU_DEP_1) | instskip(NEXT) | instid1(VALU_DEP_1)
	v_add_f32_e32 v30, v38, v40
	v_dual_sub_f32 v39, 1.0, v30 :: v_dual_mov_b32 v41, v30
	s_delay_alu instid0(VALU_DEP_1) | instskip(NEXT) | instid1(VALU_DEP_1)
	v_pk_add_f32 v[42:43], v[30:31], v[38:39] neg_lo:[0,1] neg_hi:[0,1]
	v_pk_add_f32 v[40:41], v[42:43], v[40:41] neg_lo:[0,1] neg_hi:[0,1]
	s_delay_alu instid0(VALU_DEP_1) | instskip(NEXT) | instid1(VALU_DEP_1)
	v_add_f32_e32 v30, v40, v41
	v_add_f32_e32 v41, v39, v30
	s_delay_alu instid0(VALU_DEP_1) | instskip(NEXT) | instid1(VALU_DEP_1)
	v_dual_mul_f32 v32, v45, v41 :: v_dual_sub_f32 v46, v39, v41
	v_mul_f32_e32 v42, v44, v32
	s_delay_alu instid0(VALU_DEP_1) | instskip(NEXT) | instid1(VALU_DEP_1)
	v_fma_f32 v38, v32, v44, -v42
	v_fmac_f32_e32 v38, v32, v28
	s_delay_alu instid0(VALU_DEP_1) | instskip(NEXT) | instid1(VALU_DEP_1)
	v_add_f32_e32 v40, v42, v38
	v_dual_add_f32 v30, v30, v46 :: v_dual_sub_f32 v43, v41, v40
	v_mov_b32_e32 v39, v40
	s_delay_alu instid0(VALU_DEP_2) | instskip(NEXT) | instid1(VALU_DEP_1)
	v_pk_add_f32 v[40:41], v[40:41], v[42:43] neg_lo:[0,1] neg_hi:[0,1]
	v_pk_add_f32 v[38:39], v[40:41], v[38:39] neg_lo:[0,1] neg_hi:[0,1]
	s_delay_alu instid0(VALU_DEP_1) | instskip(NEXT) | instid1(VALU_DEP_1)
	v_dual_add_f32 v30, v30, v39 :: v_dual_add_f32 v39, v45, v32
	v_add_f32_e32 v30, v38, v30
	s_delay_alu instid0(VALU_DEP_1) | instskip(NEXT) | instid1(VALU_DEP_1)
	v_add_f32_e32 v30, v43, v30
	v_dual_sub_f32 v38, v39, v45 :: v_dual_mul_f32 v30, v45, v30
	s_delay_alu instid0(VALU_DEP_1) | instskip(NEXT) | instid1(VALU_DEP_1)
	v_sub_f32_e32 v32, v32, v38
	v_add_f32_e32 v30, v32, v30
	s_delay_alu instid0(VALU_DEP_1) | instskip(NEXT) | instid1(VALU_DEP_1)
	v_add_f32_e32 v32, v39, v30
	v_ldexp_f32 v38, v32, -2
	v_sub_f32_e32 v32, v32, v39
	s_delay_alu instid0(VALU_DEP_1) | instskip(NEXT) | instid1(VALU_DEP_1)
	v_dual_sub_f32 v40, v44, v38 :: v_dual_sub_f32 v30, v30, v32
	v_sub_f32_e32 v41, v44, v40
	s_delay_alu instid0(VALU_DEP_2) | instskip(NEXT) | instid1(VALU_DEP_2)
	v_ldexp_f32 v30, v30, -2
	v_sub_f32_e32 v38, v41, v38
	s_delay_alu instid0(VALU_DEP_1) | instskip(SKIP_1) | instid1(VALU_DEP_2)
	v_add_f32_e32 v28, v28, v38
	v_add_nc_u64_e32 v[38:39], s[4:5], v[8:9]
	v_sub_f32_e32 v28, v28, v30
	s_delay_alu instid0(VALU_DEP_1) | instskip(NEXT) | instid1(VALU_DEP_1)
	v_add_f32_e32 v28, v40, v28
	v_cndmask_b32_e64 v28, 0x7f800000, v28, s2
	v_cmp_gt_f32_e64 s2, 0x39800000, |v37|
	s_delay_alu instid0(VALU_DEP_1) | instskip(NEXT) | instid1(VALU_DEP_1)
	v_cndmask_b32_e64 v28, v28, |v37|, s2
	v_bfi_b32 v28, 0x7fffffff, v28, v37
	global_store_b32 v[38:39], v28, off
	s_wait_xcnt 0x0
	s_or_b32 exec_lo, exec_lo, s9
	s_and_saveexec_b32 s2, s1
	s_cbranch_execz .LBB118_18
.LBB118_22:                             ;   in Loop: Header=BB118_9 Depth=1
	s_wait_loadcnt 0x0
	v_add_f32_e64 v28, 0xbf317218, |v36|
	v_cmp_nlt_f32_e64 s1, 0x42b2d4fc, |v36|
	s_delay_alu instid0(VALU_DEP_2) | instskip(NEXT) | instid1(VALU_DEP_1)
	v_sub_f32_e64 v30, v28, |v36|
	v_sub_f32_e32 v32, v30, v28
	v_add_f32_e32 v30, 0x3f317218, v30
	s_delay_alu instid0(VALU_DEP_2) | instskip(NEXT) | instid1(VALU_DEP_1)
	v_add_f32_e64 v32, |v36|, v32
	v_sub_f32_e32 v30, v32, v30
	s_delay_alu instid0(VALU_DEP_1) | instskip(NEXT) | instid1(VALU_DEP_1)
	v_add_f32_e32 v30, 0x3102e308, v30
	v_add_f32_e32 v32, v28, v30
	s_delay_alu instid0(VALU_DEP_1) | instskip(NEXT) | instid1(VALU_DEP_1)
	v_dual_mul_f32 v37, 0x3fb8aa3b, v32 :: v_dual_sub_f32 v28, v28, v32
	v_rndne_f32_e32 v37, v37
	s_delay_alu instid0(VALU_DEP_2) | instskip(NEXT) | instid1(VALU_DEP_2)
	v_add_f32_e32 v28, v30, v28
	v_fmac_f32_e32 v32, 0xbf317200, v37
	v_mul_f32_e32 v30, 0x35bfbc00, v37
	s_delay_alu instid0(VALU_DEP_2) | instskip(NEXT) | instid1(VALU_DEP_1)
	v_add_f32_e32 v38, v28, v32
	v_sub_f32_e32 v32, v32, v38
	s_delay_alu instid0(VALU_DEP_1) | instskip(NEXT) | instid1(VALU_DEP_1)
	v_dual_add_f32 v28, v28, v32 :: v_dual_sub_f32 v39, v38, v30
	v_sub_f32_e32 v38, v38, v39
	s_delay_alu instid0(VALU_DEP_1) | instskip(NEXT) | instid1(VALU_DEP_1)
	v_sub_f32_e32 v30, v38, v30
	v_add_f32_e32 v28, v28, v30
	v_mul_f32_e32 v30, 0x2ea39ef3, v37
	s_delay_alu instid0(VALU_DEP_2) | instskip(NEXT) | instid1(VALU_DEP_1)
	v_add_f32_e32 v32, v39, v28
	v_dual_sub_f32 v38, v32, v30 :: v_dual_sub_f32 v39, v39, v32
	s_delay_alu instid0(VALU_DEP_1) | instskip(NEXT) | instid1(VALU_DEP_2)
	v_sub_f32_e32 v32, v32, v38
	v_add_f32_e32 v28, v28, v39
	s_delay_alu instid0(VALU_DEP_2) | instskip(NEXT) | instid1(VALU_DEP_1)
	v_sub_f32_e32 v30, v32, v30
	v_add_f32_e32 v28, v28, v30
	s_delay_alu instid0(VALU_DEP_1) | instskip(NEXT) | instid1(VALU_DEP_1)
	v_add_f32_e32 v30, v38, v28
	v_sub_f32_e32 v32, v38, v30
	v_mul_f32_e32 v38, v30, v30
	s_delay_alu instid0(VALU_DEP_1) | instskip(SKIP_1) | instid1(VALU_DEP_2)
	v_dual_fma_f32 v39, v30, v30, -v38 :: v_dual_add_f32 v28, v28, v32
	v_fmaak_f32 v32, s8, v30, 0x3c091de6
	v_add_f32_e32 v40, v28, v28
	s_delay_alu instid0(VALU_DEP_2) | instskip(NEXT) | instid1(VALU_DEP_2)
	v_fmaak_f32 v32, v30, v32, 0x3d2aadcc
	v_fmac_f32_e32 v39, v30, v40
	s_delay_alu instid0(VALU_DEP_2) | instskip(NEXT) | instid1(VALU_DEP_2)
	v_fmaak_f32 v32, v30, v32, 0x3e2aaa47
	v_add_f32_e32 v40, v38, v39
	s_delay_alu instid0(VALU_DEP_2) | instskip(NEXT) | instid1(VALU_DEP_1)
	v_fmaak_f32 v32, v30, v32, 0x3efffffc
	v_mul_f32_e32 v41, v32, v40
	v_sub_f32_e32 v38, v40, v38
	s_delay_alu instid0(VALU_DEP_1) | instskip(NEXT) | instid1(VALU_DEP_1)
	v_dual_sub_f32 v38, v39, v38 :: v_dual_fma_f32 v39, v40, v32, -v41
	v_fmac_f32_e32 v39, v38, v32
	s_delay_alu instid0(VALU_DEP_1) | instskip(NEXT) | instid1(VALU_DEP_1)
	v_add_f32_e32 v32, v41, v39
	v_dual_add_f32 v38, v30, v32 :: v_dual_sub_f32 v40, v32, v41
	s_delay_alu instid0(VALU_DEP_1) | instskip(NEXT) | instid1(VALU_DEP_1)
	v_dual_sub_f32 v39, v39, v40 :: v_dual_sub_f32 v30, v38, v30
	v_add_f32_e32 v28, v28, v39
	s_delay_alu instid0(VALU_DEP_2) | instskip(NEXT) | instid1(VALU_DEP_1)
	v_sub_f32_e32 v30, v32, v30
	v_add_f32_e32 v28, v28, v30
	s_delay_alu instid0(VALU_DEP_1) | instskip(NEXT) | instid1(VALU_DEP_1)
	v_add_f32_e32 v30, v38, v28
	v_add_f32_e32 v32, 1.0, v30
	s_delay_alu instid0(VALU_DEP_1) | instskip(NEXT) | instid1(VALU_DEP_1)
	v_dual_add_f32 v39, -1.0, v32 :: v_dual_sub_f32 v38, v30, v38
	v_dual_sub_f32 v28, v28, v38 :: v_dual_sub_f32 v30, v30, v39
	s_delay_alu instid0(VALU_DEP_1) | instskip(SKIP_1) | instid1(VALU_DEP_2)
	v_add_f32_e32 v28, v28, v30
	v_cvt_i32_f32_e32 v30, v37
	v_add_f32_e32 v37, v32, v28
	s_delay_alu instid0(VALU_DEP_1) | instskip(SKIP_1) | instid1(VALU_DEP_2)
	v_ldexp_f32 v38, v37, v30
	v_sub_f32_e32 v32, v37, v32
	v_rcp_f32_e32 v39, v38
	s_delay_alu instid0(VALU_DEP_1) | instskip(NEXT) | instid1(VALU_DEP_1)
	v_sub_f32_e32 v28, v28, v32
	v_ldexp_f32 v28, v28, v30
	s_delay_alu instid0(TRANS32_DEP_1) | instskip(NEXT) | instid1(VALU_DEP_1)
	v_mul_f32_e32 v32, v38, v39
	v_fma_f32 v30, v39, v38, -v32
	s_delay_alu instid0(VALU_DEP_1) | instskip(NEXT) | instid1(VALU_DEP_1)
	v_fmac_f32_e32 v30, v39, v28
	v_add_f32_e32 v37, v32, v30
	s_delay_alu instid0(VALU_DEP_1) | instskip(NEXT) | instid1(VALU_DEP_1)
	v_dual_sub_f32 v40, 1.0, v37 :: v_dual_sub_f32 v32, v37, v32
	v_dual_sub_f32 v41, 1.0, v40 :: v_dual_sub_f32 v30, v32, v30
	s_delay_alu instid0(VALU_DEP_1) | instskip(NEXT) | instid1(VALU_DEP_1)
	v_sub_f32_e32 v32, v41, v37
	v_add_f32_e32 v30, v30, v32
	s_delay_alu instid0(VALU_DEP_1) | instskip(NEXT) | instid1(VALU_DEP_1)
	v_add_f32_e32 v32, v40, v30
	v_mul_f32_e32 v37, v39, v32
	s_delay_alu instid0(VALU_DEP_1) | instskip(NEXT) | instid1(VALU_DEP_1)
	v_mul_f32_e32 v41, v38, v37
	v_fma_f32 v42, v37, v38, -v41
	s_delay_alu instid0(VALU_DEP_1) | instskip(NEXT) | instid1(VALU_DEP_1)
	v_fmac_f32_e32 v42, v37, v28
	v_dual_sub_f32 v40, v40, v32 :: v_dual_add_f32 v43, v41, v42
	s_delay_alu instid0(VALU_DEP_1) | instskip(NEXT) | instid1(VALU_DEP_1)
	v_dual_add_f32 v30, v30, v40 :: v_dual_sub_f32 v44, v32, v43
	v_dual_sub_f32 v40, v43, v41 :: v_dual_sub_f32 v32, v32, v44
	s_delay_alu instid0(VALU_DEP_1) | instskip(NEXT) | instid1(VALU_DEP_2)
	v_sub_f32_e32 v40, v40, v42
	v_sub_f32_e32 v32, v32, v43
	s_delay_alu instid0(VALU_DEP_1) | instskip(NEXT) | instid1(VALU_DEP_1)
	v_dual_add_f32 v30, v30, v32 :: v_dual_add_f32 v32, v39, v37
	v_add_f32_e32 v30, v40, v30
	s_delay_alu instid0(VALU_DEP_2) | instskip(NEXT) | instid1(VALU_DEP_1)
	v_sub_f32_e32 v40, v32, v39
	v_dual_sub_f32 v37, v37, v40 :: v_dual_add_f32 v30, v44, v30
	s_delay_alu instid0(VALU_DEP_1) | instskip(NEXT) | instid1(VALU_DEP_1)
	v_mul_f32_e32 v30, v39, v30
	v_add_f32_e32 v30, v37, v30
	s_delay_alu instid0(VALU_DEP_1) | instskip(NEXT) | instid1(VALU_DEP_1)
	v_add_f32_e32 v37, v32, v30
	v_sub_f32_e32 v32, v37, v32
	s_delay_alu instid0(VALU_DEP_1) | instskip(SKIP_1) | instid1(VALU_DEP_2)
	v_sub_f32_e32 v30, v30, v32
	v_ldexp_f32 v39, v37, -2
	v_ldexp_f32 v30, v30, -2
	s_delay_alu instid0(VALU_DEP_2) | instskip(NEXT) | instid1(VALU_DEP_1)
	v_sub_f32_e32 v40, v38, v39
	v_sub_f32_e32 v37, v38, v40
	s_delay_alu instid0(VALU_DEP_1) | instskip(SKIP_1) | instid1(VALU_DEP_2)
	v_sub_f32_e32 v32, v37, v39
	v_add_nc_u64_e32 v[38:39], s[4:5], v[26:27]
	v_add_f32_e32 v28, v28, v32
	s_delay_alu instid0(VALU_DEP_1) | instskip(NEXT) | instid1(VALU_DEP_1)
	v_sub_f32_e32 v28, v28, v30
	v_add_f32_e32 v28, v40, v28
	s_delay_alu instid0(VALU_DEP_1) | instskip(SKIP_1) | instid1(VALU_DEP_1)
	v_cndmask_b32_e64 v28, 0x7f800000, v28, s1
	v_cmp_gt_f32_e64 s1, 0x39800000, |v36|
	v_cndmask_b32_e64 v28, v28, |v36|, s1
	s_delay_alu instid0(VALU_DEP_1)
	v_bfi_b32 v28, 0x7fffffff, v28, v36
	global_store_b32 v[38:39], v28, off
	s_wait_xcnt 0x0
	s_or_b32 exec_lo, exec_lo, s2
	s_and_saveexec_b32 s1, s0
	s_cbranch_execz .LBB118_19
.LBB118_23:                             ;   in Loop: Header=BB118_9 Depth=1
	s_wait_loadcnt 0x0
	v_add_f32_e64 v28, 0xbf317218, |v35|
	v_cmp_nlt_f32_e64 s0, 0x42b2d4fc, |v35|
	s_delay_alu instid0(VALU_DEP_2) | instskip(NEXT) | instid1(VALU_DEP_1)
	v_sub_f32_e64 v30, v28, |v35|
	v_sub_f32_e32 v32, v30, v28
	v_add_f32_e32 v30, 0x3f317218, v30
	s_delay_alu instid0(VALU_DEP_2) | instskip(NEXT) | instid1(VALU_DEP_1)
	v_add_f32_e64 v32, |v35|, v32
	v_sub_f32_e32 v30, v32, v30
	s_delay_alu instid0(VALU_DEP_1) | instskip(NEXT) | instid1(VALU_DEP_1)
	v_add_f32_e32 v30, 0x3102e308, v30
	v_add_f32_e32 v32, v28, v30
	s_delay_alu instid0(VALU_DEP_1) | instskip(SKIP_1) | instid1(VALU_DEP_2)
	v_mul_f32_e32 v36, 0x3fb8aa3b, v32
	v_sub_f32_e32 v28, v28, v32
	v_rndne_f32_e32 v36, v36
	s_delay_alu instid0(VALU_DEP_2) | instskip(NEXT) | instid1(VALU_DEP_2)
	v_add_f32_e32 v28, v30, v28
	v_fmac_f32_e32 v32, 0xbf317200, v36
	v_mul_f32_e32 v30, 0x35bfbc00, v36
	s_delay_alu instid0(VALU_DEP_2) | instskip(NEXT) | instid1(VALU_DEP_1)
	v_add_f32_e32 v37, v28, v32
	v_dual_sub_f32 v38, v37, v30 :: v_dual_sub_f32 v32, v32, v37
	s_delay_alu instid0(VALU_DEP_1) | instskip(NEXT) | instid1(VALU_DEP_1)
	v_dual_sub_f32 v37, v37, v38 :: v_dual_add_f32 v28, v28, v32
	v_sub_f32_e32 v30, v37, v30
	s_delay_alu instid0(VALU_DEP_1) | instskip(SKIP_1) | instid1(VALU_DEP_2)
	v_add_f32_e32 v28, v28, v30
	v_mul_f32_e32 v30, 0x2ea39ef3, v36
	v_add_f32_e32 v32, v38, v28
	s_delay_alu instid0(VALU_DEP_1) | instskip(NEXT) | instid1(VALU_DEP_1)
	v_sub_f32_e32 v38, v38, v32
	v_add_f32_e32 v28, v28, v38
	s_delay_alu instid0(VALU_DEP_4) | instskip(NEXT) | instid1(VALU_DEP_1)
	v_sub_f32_e32 v37, v32, v30
	v_sub_f32_e32 v32, v32, v37
	s_delay_alu instid0(VALU_DEP_1) | instskip(NEXT) | instid1(VALU_DEP_1)
	v_sub_f32_e32 v30, v32, v30
	v_add_f32_e32 v28, v28, v30
	s_delay_alu instid0(VALU_DEP_1) | instskip(NEXT) | instid1(VALU_DEP_1)
	v_add_f32_e32 v30, v37, v28
	v_dual_sub_f32 v32, v37, v30 :: v_dual_mul_f32 v37, v30, v30
	s_delay_alu instid0(VALU_DEP_1) | instskip(NEXT) | instid1(VALU_DEP_1)
	v_dual_fma_f32 v38, v30, v30, -v37 :: v_dual_add_f32 v28, v28, v32
	v_add_f32_e32 v39, v28, v28
	s_delay_alu instid0(VALU_DEP_1) | instskip(NEXT) | instid1(VALU_DEP_1)
	v_fmac_f32_e32 v38, v30, v39
	v_add_f32_e32 v39, v37, v38
	s_delay_alu instid0(VALU_DEP_1) | instskip(NEXT) | instid1(VALU_DEP_1)
	v_dual_sub_f32 v37, v39, v37 :: v_dual_fmaak_f32 v32, s8, v30, 0x3c091de6
	v_sub_f32_e32 v37, v38, v37
	s_delay_alu instid0(VALU_DEP_2) | instskip(NEXT) | instid1(VALU_DEP_1)
	v_fmaak_f32 v32, v30, v32, 0x3d2aadcc
	v_fmaak_f32 v32, v30, v32, 0x3e2aaa47
	s_delay_alu instid0(VALU_DEP_1) | instskip(NEXT) | instid1(VALU_DEP_1)
	v_fmaak_f32 v32, v30, v32, 0x3efffffc
	v_mul_f32_e32 v40, v32, v39
	s_delay_alu instid0(VALU_DEP_1) | instskip(NEXT) | instid1(VALU_DEP_1)
	v_fma_f32 v38, v39, v32, -v40
	v_fmac_f32_e32 v38, v37, v32
	s_delay_alu instid0(VALU_DEP_1) | instskip(NEXT) | instid1(VALU_DEP_1)
	v_add_f32_e32 v32, v40, v38
	v_sub_f32_e32 v39, v32, v40
	s_delay_alu instid0(VALU_DEP_1) | instskip(NEXT) | instid1(VALU_DEP_1)
	v_sub_f32_e32 v38, v38, v39
	v_dual_add_f32 v37, v30, v32 :: v_dual_add_f32 v28, v28, v38
	s_delay_alu instid0(VALU_DEP_1) | instskip(NEXT) | instid1(VALU_DEP_1)
	v_sub_f32_e32 v30, v37, v30
	v_sub_f32_e32 v30, v32, v30
	s_delay_alu instid0(VALU_DEP_1) | instskip(NEXT) | instid1(VALU_DEP_1)
	v_add_f32_e32 v28, v28, v30
	v_add_f32_e32 v30, v37, v28
	s_delay_alu instid0(VALU_DEP_1) | instskip(NEXT) | instid1(VALU_DEP_1)
	v_dual_add_f32 v32, 1.0, v30 :: v_dual_sub_f32 v37, v30, v37
	v_dual_add_f32 v38, -1.0, v32 :: v_dual_sub_f32 v28, v28, v37
	s_delay_alu instid0(VALU_DEP_1) | instskip(NEXT) | instid1(VALU_DEP_1)
	v_sub_f32_e32 v30, v30, v38
	v_add_f32_e32 v28, v28, v30
	v_cvt_i32_f32_e32 v30, v36
	s_delay_alu instid0(VALU_DEP_2) | instskip(NEXT) | instid1(VALU_DEP_1)
	v_add_f32_e32 v36, v32, v28
	v_ldexp_f32 v37, v36, v30
	v_sub_f32_e32 v32, v36, v32
	s_delay_alu instid0(VALU_DEP_2) | instskip(NEXT) | instid1(VALU_DEP_1)
	v_rcp_f32_e32 v38, v37
	v_sub_f32_e32 v28, v28, v32
	s_delay_alu instid0(VALU_DEP_1) | instskip(NEXT) | instid1(TRANS32_DEP_1)
	v_ldexp_f32 v28, v28, v30
	v_mul_f32_e32 v32, v37, v38
	s_delay_alu instid0(VALU_DEP_1) | instskip(NEXT) | instid1(VALU_DEP_1)
	v_fma_f32 v30, v38, v37, -v32
	v_fmac_f32_e32 v30, v38, v28
	s_delay_alu instid0(VALU_DEP_1) | instskip(NEXT) | instid1(VALU_DEP_1)
	v_add_f32_e32 v36, v32, v30
	v_sub_f32_e32 v32, v36, v32
	s_delay_alu instid0(VALU_DEP_1) | instskip(NEXT) | instid1(VALU_DEP_1)
	v_dual_sub_f32 v30, v32, v30 :: v_dual_sub_f32 v39, 1.0, v36
	v_sub_f32_e32 v40, 1.0, v39
	s_delay_alu instid0(VALU_DEP_1) | instskip(NEXT) | instid1(VALU_DEP_1)
	v_sub_f32_e32 v32, v40, v36
	v_add_f32_e32 v30, v30, v32
	s_delay_alu instid0(VALU_DEP_1) | instskip(NEXT) | instid1(VALU_DEP_1)
	v_add_f32_e32 v32, v39, v30
	v_mul_f32_e32 v36, v38, v32
	s_delay_alu instid0(VALU_DEP_1) | instskip(NEXT) | instid1(VALU_DEP_1)
	v_mul_f32_e32 v40, v37, v36
	v_dual_sub_f32 v39, v39, v32 :: v_dual_fma_f32 v41, v36, v37, -v40
	s_delay_alu instid0(VALU_DEP_1) | instskip(NEXT) | instid1(VALU_DEP_1)
	v_dual_add_f32 v30, v30, v39 :: v_dual_fmac_f32 v41, v36, v28
	v_add_f32_e32 v42, v40, v41
	s_delay_alu instid0(VALU_DEP_1) | instskip(NEXT) | instid1(VALU_DEP_1)
	v_dual_sub_f32 v43, v32, v42 :: v_dual_sub_f32 v39, v42, v40
	v_dual_sub_f32 v32, v32, v43 :: v_dual_sub_f32 v39, v39, v41
	s_delay_alu instid0(VALU_DEP_1) | instskip(NEXT) | instid1(VALU_DEP_1)
	v_sub_f32_e32 v32, v32, v42
	v_add_f32_e32 v30, v30, v32
	s_delay_alu instid0(VALU_DEP_1) | instskip(NEXT) | instid1(VALU_DEP_1)
	v_dual_add_f32 v30, v39, v30 :: v_dual_add_f32 v32, v38, v36
	v_add_f32_e32 v30, v43, v30
	s_delay_alu instid0(VALU_DEP_2) | instskip(NEXT) | instid1(VALU_DEP_1)
	v_sub_f32_e32 v39, v32, v38
	v_dual_mul_f32 v30, v38, v30 :: v_dual_sub_f32 v36, v36, v39
	s_delay_alu instid0(VALU_DEP_1) | instskip(NEXT) | instid1(VALU_DEP_1)
	v_add_f32_e32 v30, v36, v30
	v_add_f32_e32 v36, v32, v30
	s_delay_alu instid0(VALU_DEP_1) | instskip(NEXT) | instid1(VALU_DEP_1)
	v_sub_f32_e32 v32, v36, v32
	v_sub_f32_e32 v30, v30, v32
	v_ldexp_f32 v38, v36, -2
	s_delay_alu instid0(VALU_DEP_2) | instskip(NEXT) | instid1(VALU_DEP_2)
	v_ldexp_f32 v30, v30, -2
	v_sub_f32_e32 v39, v37, v38
	s_delay_alu instid0(VALU_DEP_1) | instskip(NEXT) | instid1(VALU_DEP_1)
	v_sub_f32_e32 v36, v37, v39
	v_sub_f32_e32 v32, v36, v38
	v_add_nc_u64_e32 v[36:37], s[4:5], v[18:19]
	s_delay_alu instid0(VALU_DEP_2) | instskip(NEXT) | instid1(VALU_DEP_1)
	v_add_f32_e32 v28, v28, v32
	v_sub_f32_e32 v28, v28, v30
	s_delay_alu instid0(VALU_DEP_1) | instskip(NEXT) | instid1(VALU_DEP_1)
	v_add_f32_e32 v28, v39, v28
	v_cndmask_b32_e64 v28, 0x7f800000, v28, s0
	v_cmp_gt_f32_e64 s0, 0x39800000, |v35|
	s_delay_alu instid0(VALU_DEP_1) | instskip(NEXT) | instid1(VALU_DEP_1)
	v_cndmask_b32_e64 v28, v28, |v35|, s0
	v_bfi_b32 v28, 0x7fffffff, v28, v35
	global_store_b32 v[36:37], v28, off
	s_wait_xcnt 0x0
	s_or_b32 exec_lo, exec_lo, s1
	s_and_saveexec_b32 s0, vcc_lo
	s_cbranch_execz .LBB118_8
.LBB118_24:                             ;   in Loop: Header=BB118_9 Depth=1
	s_wait_loadcnt 0x0
	v_add_f32_e64 v28, 0xbf317218, |v34|
	v_cmp_nlt_f32_e64 vcc_lo, 0x42b2d4fc, |v34|
	v_cmp_gt_f32_e64 s1, 0x39800000, |v34|
	s_delay_alu instid0(VALU_DEP_3) | instskip(NEXT) | instid1(VALU_DEP_1)
	v_sub_f32_e64 v30, v28, |v34|
	v_sub_f32_e32 v32, v30, v28
	v_add_f32_e32 v30, 0x3f317218, v30
	s_delay_alu instid0(VALU_DEP_2) | instskip(NEXT) | instid1(VALU_DEP_1)
	v_add_f32_e64 v32, |v34|, v32
	v_sub_f32_e32 v30, v32, v30
	s_delay_alu instid0(VALU_DEP_1) | instskip(NEXT) | instid1(VALU_DEP_1)
	v_add_f32_e32 v30, 0x3102e308, v30
	v_add_f32_e32 v32, v28, v30
	s_delay_alu instid0(VALU_DEP_1) | instskip(NEXT) | instid1(VALU_DEP_1)
	v_dual_mul_f32 v35, 0x3fb8aa3b, v32 :: v_dual_sub_f32 v28, v28, v32
	v_rndne_f32_e32 v35, v35
	s_delay_alu instid0(VALU_DEP_2) | instskip(NEXT) | instid1(VALU_DEP_2)
	v_add_f32_e32 v28, v30, v28
	v_mul_f32_e32 v30, 0x35bfbc00, v35
	v_fmac_f32_e32 v32, 0xbf317200, v35
	s_delay_alu instid0(VALU_DEP_1) | instskip(NEXT) | instid1(VALU_DEP_1)
	v_add_f32_e32 v36, v28, v32
	v_sub_f32_e32 v37, v36, v30
	v_sub_f32_e32 v32, v32, v36
	s_delay_alu instid0(VALU_DEP_1) | instskip(NEXT) | instid1(VALU_DEP_3)
	v_add_f32_e32 v28, v28, v32
	v_sub_f32_e32 v36, v36, v37
	s_delay_alu instid0(VALU_DEP_1) | instskip(NEXT) | instid1(VALU_DEP_1)
	v_sub_f32_e32 v30, v36, v30
	v_add_f32_e32 v28, v28, v30
	v_mul_f32_e32 v30, 0x2ea39ef3, v35
	s_delay_alu instid0(VALU_DEP_2) | instskip(NEXT) | instid1(VALU_DEP_1)
	v_add_f32_e32 v32, v37, v28
	v_dual_sub_f32 v36, v32, v30 :: v_dual_sub_f32 v37, v37, v32
	s_delay_alu instid0(VALU_DEP_1) | instskip(NEXT) | instid1(VALU_DEP_2)
	v_sub_f32_e32 v32, v32, v36
	v_add_f32_e32 v28, v28, v37
	s_delay_alu instid0(VALU_DEP_2) | instskip(NEXT) | instid1(VALU_DEP_1)
	v_sub_f32_e32 v30, v32, v30
	v_add_f32_e32 v28, v28, v30
	s_delay_alu instid0(VALU_DEP_1) | instskip(NEXT) | instid1(VALU_DEP_1)
	v_add_f32_e32 v30, v36, v28
	v_dual_sub_f32 v32, v36, v30 :: v_dual_mul_f32 v36, v30, v30
	s_delay_alu instid0(VALU_DEP_1) | instskip(SKIP_1) | instid1(VALU_DEP_2)
	v_add_f32_e32 v28, v28, v32
	v_fmaak_f32 v32, s8, v30, 0x3c091de6
	v_dual_fma_f32 v37, v30, v30, -v36 :: v_dual_add_f32 v38, v28, v28
	s_delay_alu instid0(VALU_DEP_1) | instskip(NEXT) | instid1(VALU_DEP_1)
	v_dual_fmaak_f32 v32, v30, v32, 0x3d2aadcc :: v_dual_fmac_f32 v37, v30, v38
	v_fmaak_f32 v32, v30, v32, 0x3e2aaa47
	s_delay_alu instid0(VALU_DEP_2) | instskip(NEXT) | instid1(VALU_DEP_2)
	v_add_f32_e32 v38, v36, v37
	v_fmaak_f32 v32, v30, v32, 0x3efffffc
	s_delay_alu instid0(VALU_DEP_1) | instskip(NEXT) | instid1(VALU_DEP_1)
	v_dual_sub_f32 v36, v38, v36 :: v_dual_mul_f32 v39, v32, v38
	v_sub_f32_e32 v36, v37, v36
	s_delay_alu instid0(VALU_DEP_2) | instskip(NEXT) | instid1(VALU_DEP_1)
	v_fma_f32 v37, v38, v32, -v39
	v_fmac_f32_e32 v37, v36, v32
	s_delay_alu instid0(VALU_DEP_1) | instskip(NEXT) | instid1(VALU_DEP_1)
	v_add_f32_e32 v32, v39, v37
	v_dual_add_f32 v36, v30, v32 :: v_dual_sub_f32 v38, v32, v39
	s_delay_alu instid0(VALU_DEP_1) | instskip(NEXT) | instid1(VALU_DEP_2)
	v_sub_f32_e32 v30, v36, v30
	v_sub_f32_e32 v37, v37, v38
	s_delay_alu instid0(VALU_DEP_2) | instskip(NEXT) | instid1(VALU_DEP_2)
	v_sub_f32_e32 v30, v32, v30
	v_add_f32_e32 v28, v28, v37
	s_delay_alu instid0(VALU_DEP_1) | instskip(NEXT) | instid1(VALU_DEP_1)
	v_add_f32_e32 v28, v28, v30
	v_add_f32_e32 v30, v36, v28
	s_delay_alu instid0(VALU_DEP_1) | instskip(NEXT) | instid1(VALU_DEP_1)
	v_add_f32_e32 v32, 1.0, v30
	v_add_f32_e32 v37, -1.0, v32
	s_delay_alu instid0(VALU_DEP_1) | instskip(NEXT) | instid1(VALU_DEP_1)
	v_dual_sub_f32 v36, v30, v36 :: v_dual_sub_f32 v30, v30, v37
	v_sub_f32_e32 v28, v28, v36
	s_delay_alu instid0(VALU_DEP_1) | instskip(SKIP_1) | instid1(VALU_DEP_2)
	v_add_f32_e32 v28, v28, v30
	v_cvt_i32_f32_e32 v30, v35
	v_add_f32_e32 v35, v32, v28
	s_delay_alu instid0(VALU_DEP_1) | instskip(SKIP_1) | instid1(VALU_DEP_2)
	v_ldexp_f32 v36, v35, v30
	v_sub_f32_e32 v32, v35, v32
	v_rcp_f32_e32 v37, v36
	s_delay_alu instid0(VALU_DEP_1) | instskip(NEXT) | instid1(VALU_DEP_1)
	v_sub_f32_e32 v28, v28, v32
	v_ldexp_f32 v28, v28, v30
	s_delay_alu instid0(TRANS32_DEP_1) | instskip(NEXT) | instid1(VALU_DEP_1)
	v_mul_f32_e32 v32, v36, v37
	v_fma_f32 v30, v37, v36, -v32
	s_delay_alu instid0(VALU_DEP_1) | instskip(NEXT) | instid1(VALU_DEP_1)
	v_fmac_f32_e32 v30, v37, v28
	v_add_f32_e32 v35, v32, v30
	s_delay_alu instid0(VALU_DEP_1) | instskip(NEXT) | instid1(VALU_DEP_1)
	v_sub_f32_e32 v32, v35, v32
	v_dual_sub_f32 v30, v32, v30 :: v_dual_sub_f32 v38, 1.0, v35
	s_delay_alu instid0(VALU_DEP_1) | instskip(NEXT) | instid1(VALU_DEP_1)
	v_sub_f32_e32 v39, 1.0, v38
	v_sub_f32_e32 v32, v39, v35
	s_delay_alu instid0(VALU_DEP_1) | instskip(NEXT) | instid1(VALU_DEP_1)
	v_add_f32_e32 v30, v30, v32
	v_add_f32_e32 v32, v38, v30
	s_delay_alu instid0(VALU_DEP_1) | instskip(NEXT) | instid1(VALU_DEP_1)
	v_mul_f32_e32 v35, v37, v32
	v_mul_f32_e32 v39, v36, v35
	s_delay_alu instid0(VALU_DEP_1) | instskip(NEXT) | instid1(VALU_DEP_1)
	v_fma_f32 v40, v35, v36, -v39
	v_fmac_f32_e32 v40, v35, v28
	s_delay_alu instid0(VALU_DEP_1) | instskip(NEXT) | instid1(VALU_DEP_1)
	v_add_f32_e32 v41, v39, v40
	v_dual_sub_f32 v42, v32, v41 :: v_dual_sub_f32 v38, v38, v32
	s_delay_alu instid0(VALU_DEP_1) | instskip(NEXT) | instid1(VALU_DEP_2)
	v_sub_f32_e32 v32, v32, v42
	v_dual_add_f32 v30, v30, v38 :: v_dual_sub_f32 v38, v41, v39
	s_delay_alu instid0(VALU_DEP_1) | instskip(NEXT) | instid1(VALU_DEP_1)
	v_dual_sub_f32 v32, v32, v41 :: v_dual_sub_f32 v38, v38, v40
	v_dual_add_f32 v30, v30, v32 :: v_dual_add_f32 v32, v37, v35
	s_delay_alu instid0(VALU_DEP_1) | instskip(NEXT) | instid1(VALU_DEP_1)
	v_dual_add_f32 v30, v38, v30 :: v_dual_sub_f32 v38, v32, v37
	v_add_f32_e32 v30, v42, v30
	s_delay_alu instid0(VALU_DEP_2) | instskip(NEXT) | instid1(VALU_DEP_2)
	v_sub_f32_e32 v35, v35, v38
	v_mul_f32_e32 v30, v37, v30
	s_delay_alu instid0(VALU_DEP_1) | instskip(NEXT) | instid1(VALU_DEP_1)
	v_add_f32_e32 v30, v35, v30
	v_add_f32_e32 v35, v32, v30
	s_delay_alu instid0(VALU_DEP_1) | instskip(NEXT) | instid1(VALU_DEP_1)
	v_sub_f32_e32 v32, v35, v32
	v_sub_f32_e32 v30, v30, v32
	v_ldexp_f32 v37, v35, -2
	s_delay_alu instid0(VALU_DEP_2) | instskip(NEXT) | instid1(VALU_DEP_2)
	v_ldexp_f32 v30, v30, -2
	v_sub_f32_e32 v38, v36, v37
	s_delay_alu instid0(VALU_DEP_1) | instskip(NEXT) | instid1(VALU_DEP_1)
	v_sub_f32_e32 v35, v36, v38
	v_sub_f32_e32 v32, v35, v37
	v_add_nc_u64_e32 v[36:37], s[4:5], v[22:23]
	s_delay_alu instid0(VALU_DEP_2) | instskip(NEXT) | instid1(VALU_DEP_1)
	v_add_f32_e32 v28, v28, v32
	v_sub_f32_e32 v28, v28, v30
	s_delay_alu instid0(VALU_DEP_1) | instskip(NEXT) | instid1(VALU_DEP_1)
	v_add_f32_e32 v28, v38, v28
	v_cndmask_b32_e32 v28, 0x7f800000, v28, vcc_lo
	s_delay_alu instid0(VALU_DEP_1) | instskip(NEXT) | instid1(VALU_DEP_1)
	v_cndmask_b32_e64 v28, v28, |v34|, s1
	v_bfi_b32 v28, 0x7fffffff, v28, v34
	global_store_b32 v[36:37], v28, off
	s_branch .LBB118_8
.LBB118_25:
	s_endpgm
	.section	.rodata,"a",@progbits
	.p2align	6, 0x0
	.amdhsa_kernel _ZN2at6native12_GLOBAL__N_125multi_tensor_apply_kernelINS1_18TensorListMetadataILi2EEENS1_14UnaryOpFunctorIfLi2ELi1ELi1EEEJNS0_4SinhIfEEEEEvT_T0_DpT1_
		.amdhsa_group_segment_fixed_size 0
		.amdhsa_private_segment_fixed_size 0
		.amdhsa_kernarg_size 3408
		.amdhsa_user_sgpr_count 2
		.amdhsa_user_sgpr_dispatch_ptr 0
		.amdhsa_user_sgpr_queue_ptr 0
		.amdhsa_user_sgpr_kernarg_segment_ptr 1
		.amdhsa_user_sgpr_dispatch_id 0
		.amdhsa_user_sgpr_kernarg_preload_length 0
		.amdhsa_user_sgpr_kernarg_preload_offset 0
		.amdhsa_user_sgpr_private_segment_size 0
		.amdhsa_wavefront_size32 1
		.amdhsa_uses_dynamic_stack 0
		.amdhsa_enable_private_segment 0
		.amdhsa_system_sgpr_workgroup_id_x 1
		.amdhsa_system_sgpr_workgroup_id_y 0
		.amdhsa_system_sgpr_workgroup_id_z 0
		.amdhsa_system_sgpr_workgroup_info 0
		.amdhsa_system_vgpr_workitem_id 0
		.amdhsa_next_free_vgpr 56
		.amdhsa_next_free_sgpr 21
		.amdhsa_named_barrier_count 0
		.amdhsa_reserve_vcc 1
		.amdhsa_float_round_mode_32 0
		.amdhsa_float_round_mode_16_64 0
		.amdhsa_float_denorm_mode_32 3
		.amdhsa_float_denorm_mode_16_64 3
		.amdhsa_fp16_overflow 0
		.amdhsa_memory_ordered 1
		.amdhsa_forward_progress 1
		.amdhsa_inst_pref_size 58
		.amdhsa_round_robin_scheduling 0
		.amdhsa_exception_fp_ieee_invalid_op 0
		.amdhsa_exception_fp_denorm_src 0
		.amdhsa_exception_fp_ieee_div_zero 0
		.amdhsa_exception_fp_ieee_overflow 0
		.amdhsa_exception_fp_ieee_underflow 0
		.amdhsa_exception_fp_ieee_inexact 0
		.amdhsa_exception_int_div_zero 0
	.end_amdhsa_kernel
	.section	.text._ZN2at6native12_GLOBAL__N_125multi_tensor_apply_kernelINS1_18TensorListMetadataILi2EEENS1_14UnaryOpFunctorIfLi2ELi1ELi1EEEJNS0_4SinhIfEEEEEvT_T0_DpT1_,"axG",@progbits,_ZN2at6native12_GLOBAL__N_125multi_tensor_apply_kernelINS1_18TensorListMetadataILi2EEENS1_14UnaryOpFunctorIfLi2ELi1ELi1EEEJNS0_4SinhIfEEEEEvT_T0_DpT1_,comdat
.Lfunc_end118:
	.size	_ZN2at6native12_GLOBAL__N_125multi_tensor_apply_kernelINS1_18TensorListMetadataILi2EEENS1_14UnaryOpFunctorIfLi2ELi1ELi1EEEJNS0_4SinhIfEEEEEvT_T0_DpT1_, .Lfunc_end118-_ZN2at6native12_GLOBAL__N_125multi_tensor_apply_kernelINS1_18TensorListMetadataILi2EEENS1_14UnaryOpFunctorIfLi2ELi1ELi1EEEJNS0_4SinhIfEEEEEvT_T0_DpT1_
                                        ; -- End function
	.set _ZN2at6native12_GLOBAL__N_125multi_tensor_apply_kernelINS1_18TensorListMetadataILi2EEENS1_14UnaryOpFunctorIfLi2ELi1ELi1EEEJNS0_4SinhIfEEEEEvT_T0_DpT1_.num_vgpr, 56
	.set _ZN2at6native12_GLOBAL__N_125multi_tensor_apply_kernelINS1_18TensorListMetadataILi2EEENS1_14UnaryOpFunctorIfLi2ELi1ELi1EEEJNS0_4SinhIfEEEEEvT_T0_DpT1_.num_agpr, 0
	.set _ZN2at6native12_GLOBAL__N_125multi_tensor_apply_kernelINS1_18TensorListMetadataILi2EEENS1_14UnaryOpFunctorIfLi2ELi1ELi1EEEJNS0_4SinhIfEEEEEvT_T0_DpT1_.numbered_sgpr, 21
	.set _ZN2at6native12_GLOBAL__N_125multi_tensor_apply_kernelINS1_18TensorListMetadataILi2EEENS1_14UnaryOpFunctorIfLi2ELi1ELi1EEEJNS0_4SinhIfEEEEEvT_T0_DpT1_.num_named_barrier, 0
	.set _ZN2at6native12_GLOBAL__N_125multi_tensor_apply_kernelINS1_18TensorListMetadataILi2EEENS1_14UnaryOpFunctorIfLi2ELi1ELi1EEEJNS0_4SinhIfEEEEEvT_T0_DpT1_.private_seg_size, 0
	.set _ZN2at6native12_GLOBAL__N_125multi_tensor_apply_kernelINS1_18TensorListMetadataILi2EEENS1_14UnaryOpFunctorIfLi2ELi1ELi1EEEJNS0_4SinhIfEEEEEvT_T0_DpT1_.uses_vcc, 1
	.set _ZN2at6native12_GLOBAL__N_125multi_tensor_apply_kernelINS1_18TensorListMetadataILi2EEENS1_14UnaryOpFunctorIfLi2ELi1ELi1EEEJNS0_4SinhIfEEEEEvT_T0_DpT1_.uses_flat_scratch, 0
	.set _ZN2at6native12_GLOBAL__N_125multi_tensor_apply_kernelINS1_18TensorListMetadataILi2EEENS1_14UnaryOpFunctorIfLi2ELi1ELi1EEEJNS0_4SinhIfEEEEEvT_T0_DpT1_.has_dyn_sized_stack, 0
	.set _ZN2at6native12_GLOBAL__N_125multi_tensor_apply_kernelINS1_18TensorListMetadataILi2EEENS1_14UnaryOpFunctorIfLi2ELi1ELi1EEEJNS0_4SinhIfEEEEEvT_T0_DpT1_.has_recursion, 0
	.set _ZN2at6native12_GLOBAL__N_125multi_tensor_apply_kernelINS1_18TensorListMetadataILi2EEENS1_14UnaryOpFunctorIfLi2ELi1ELi1EEEJNS0_4SinhIfEEEEEvT_T0_DpT1_.has_indirect_call, 0
	.section	.AMDGPU.csdata,"",@progbits
; Kernel info:
; codeLenInByte = 7388
; TotalNumSgprs: 23
; NumVgprs: 56
; ScratchSize: 0
; MemoryBound: 0
; FloatMode: 240
; IeeeMode: 1
; LDSByteSize: 0 bytes/workgroup (compile time only)
; SGPRBlocks: 0
; VGPRBlocks: 3
; NumSGPRsForWavesPerEU: 23
; NumVGPRsForWavesPerEU: 56
; NamedBarCnt: 0
; Occupancy: 16
; WaveLimiterHint : 0
; COMPUTE_PGM_RSRC2:SCRATCH_EN: 0
; COMPUTE_PGM_RSRC2:USER_SGPR: 2
; COMPUTE_PGM_RSRC2:TRAP_HANDLER: 0
; COMPUTE_PGM_RSRC2:TGID_X_EN: 1
; COMPUTE_PGM_RSRC2:TGID_Y_EN: 0
; COMPUTE_PGM_RSRC2:TGID_Z_EN: 0
; COMPUTE_PGM_RSRC2:TIDIG_COMP_CNT: 0
	.section	.text._ZN2at6native12_GLOBAL__N_125multi_tensor_apply_kernelINS1_18TensorListMetadataILi2EEENS1_14UnaryOpFunctorIN3c107complexIdEELi2ELi1ELi1EEEJNS0_4SinhIS8_EEEEEvT_T0_DpT1_,"axG",@progbits,_ZN2at6native12_GLOBAL__N_125multi_tensor_apply_kernelINS1_18TensorListMetadataILi2EEENS1_14UnaryOpFunctorIN3c107complexIdEELi2ELi1ELi1EEEJNS0_4SinhIS8_EEEEEvT_T0_DpT1_,comdat
	.globl	_ZN2at6native12_GLOBAL__N_125multi_tensor_apply_kernelINS1_18TensorListMetadataILi2EEENS1_14UnaryOpFunctorIN3c107complexIdEELi2ELi1ELi1EEEJNS0_4SinhIS8_EEEEEvT_T0_DpT1_ ; -- Begin function _ZN2at6native12_GLOBAL__N_125multi_tensor_apply_kernelINS1_18TensorListMetadataILi2EEENS1_14UnaryOpFunctorIN3c107complexIdEELi2ELi1ELi1EEEJNS0_4SinhIS8_EEEEEvT_T0_DpT1_
	.p2align	8
	.type	_ZN2at6native12_GLOBAL__N_125multi_tensor_apply_kernelINS1_18TensorListMetadataILi2EEENS1_14UnaryOpFunctorIN3c107complexIdEELi2ELi1ELi1EEEJNS0_4SinhIS8_EEEEEvT_T0_DpT1_,@function
_ZN2at6native12_GLOBAL__N_125multi_tensor_apply_kernelINS1_18TensorListMetadataILi2EEENS1_14UnaryOpFunctorIN3c107complexIdEELi2ELi1ELi1EEEJNS0_4SinhIS8_EEEEEvT_T0_DpT1_: ; @_ZN2at6native12_GLOBAL__N_125multi_tensor_apply_kernelINS1_18TensorListMetadataILi2EEENS1_14UnaryOpFunctorIN3c107complexIdEELi2ELi1ELi1EEEJNS0_4SinhIS8_EEEEEvT_T0_DpT1_
; %bb.0:
	s_mov_b64 s[10:11], s[0:1]
	s_bfe_u32 s0, ttmp6, 0x4000c
	s_and_b32 s1, ttmp6, 15
	s_add_co_i32 s0, s0, 1
	s_getreg_b32 s2, hwreg(HW_REG_IB_STS2, 6, 4)
	s_mul_i32 s0, ttmp9, s0
	v_mov_b32_e32 v60, v0
	s_add_co_i32 s1, s1, s0
	s_cmp_eq_u32 s2, 0
	s_mov_b32 s32, 0
	s_cselect_b32 s0, ttmp9, s1
	s_mov_b32 s1, 0
	s_load_u8 s14, s[10:11], s0 offset:0x600
	s_add_nc_u64 s[2:3], s[10:11], s[0:1]
	s_mul_u64 s[4:5], s[0:1], 3
	s_delay_alu instid0(SALU_CYCLE_1)
	s_add_nc_u64 s[2:3], s[2:3], s[4:5]
	s_load_b32 s4, s[2:3], 0x740
	s_wait_kmcnt 0x0
	s_clause 0x2
	s_load_b64 s[6:7], s[10:11], s14 offset:0x0 scale_offset
	s_load_b64 s[8:9], s[10:11], s14 offset:0x200 scale_offset
	;; [unrolled: 1-line block ×3, first 2 shown]
	s_ashr_i32 s5, s4, 31
	s_delay_alu instid0(SALU_CYCLE_1)
	s_lshl_b64 s[2:3], s[4:5], 20
	s_lshl_b64 s[4:5], s[4:5], 16
	s_wait_kmcnt 0x0
	s_add_nc_u64 s[16:17], s[8:9], s[2:3]
	s_add_nc_u64 s[14:15], s[6:7], s[2:3]
	s_and_b32 s2, s12, 3
	s_and_b64 s[6:7], s[16:17], 63
	s_mov_b32 s3, s1
	s_and_b32 s0, s14, 63
	s_or_b64 s[2:3], s[6:7], s[2:3]
	s_sub_nc_u64 s[12:13], s[12:13], s[4:5]
	s_or_b64 s[0:1], s[2:3], s[0:1]
	s_delay_alu instid0(SALU_CYCLE_1)
	s_cmp_eq_u64 s[0:1], 0
	s_mov_b32 s0, -1
	s_cbranch_scc0 .LBB119_5
; %bb.1:
	v_min_i64 v[62:63], 0x10000, s[12:13]
	v_dual_mov_b32 v77, 0 :: v_dual_lshlrev_b32 v76, 2, v60
	s_mov_b32 s28, exec_lo
	s_delay_alu instid0(VALU_DEP_1)
	v_cmpx_lt_i64_e64 v[76:77], v[62:63]
	s_cbranch_execz .LBB119_4
; %bb.2:
	s_load_b32 s0, s[10:11], 0xc5c
	v_dual_mov_b32 v61, v77 :: v_dual_lshlrev_b32 v76, 6, v60
	s_mov_b32 s19, 0
	s_mov_b64 s[22:23], s[14:15]
	s_mov_b32 s25, s19
	s_delay_alu instid0(VALU_DEP_1)
	v_mov_b64_e32 v[78:79], v[60:61]
	s_mov_b32 s29, s19
	s_mov_b64 s[26:27], s[16:17]
	s_get_pc_i64 s[20:21]
	s_add_nc_u64 s[20:21], s[20:21], _ZN6thrust23THRUST_200600_302600_NS6detail7complex5csinhERKNS0_7complexIdEE@rel64+4
	s_wait_kmcnt 0x0
	s_and_b32 s18, s0, 0xffff
	s_delay_alu instid0(SALU_CYCLE_1)
	s_lshl_b32 s24, s18, 6
.LBB119_3:                              ; =>This Inner Loop Header: Depth=1
	v_add_nc_u64_e32 v[4:5], s[22:23], v[76:77]
	s_clause 0x3
	global_load_b128 v[0:3], v[4:5], off
	global_load_b128 v[40:43], v[4:5], off offset:16
	global_load_b128 v[44:47], v[4:5], off offset:48
	;; [unrolled: 1-line block ×3, first 2 shown]
	s_swap_pc_i64 s[30:31], s[20:21]
	v_dual_mov_b32 v72, v0 :: v_dual_mov_b32 v73, v1
	v_dual_mov_b32 v74, v2 :: v_dual_mov_b32 v75, v3
	;; [unrolled: 1-line block ×4, first 2 shown]
	s_swap_pc_i64 s[30:31], s[20:21]
	s_delay_alu instid0(VALU_DEP_2) | instskip(NEXT) | instid1(VALU_DEP_2)
	v_dual_mov_b32 v40, v0 :: v_dual_mov_b32 v41, v1
	v_dual_mov_b32 v42, v2 :: v_dual_mov_b32 v43, v3
	;; [unrolled: 1-line block ×4, first 2 shown]
	s_swap_pc_i64 s[30:31], s[20:21]
	s_delay_alu instid0(VALU_DEP_2) | instskip(NEXT) | instid1(VALU_DEP_2)
	v_dual_mov_b32 v56, v0 :: v_dual_mov_b32 v57, v1
	v_dual_mov_b32 v58, v2 :: v_dual_mov_b32 v59, v3
	;; [unrolled: 1-line block ×4, first 2 shown]
	s_swap_pc_i64 s[30:31], s[20:21]
	v_add_nc_u64_e32 v[78:79], s[18:19], v[78:79]
	s_add_nc_u64 s[22:23], s[22:23], s[24:25]
	s_wait_xcnt 0x0
	s_delay_alu instid0(VALU_DEP_1) | instskip(NEXT) | instid1(VALU_DEP_1)
	v_lshlrev_b64_e32 v[4:5], 2, v[78:79]
	v_cmp_ge_i64_e32 vcc_lo, v[4:5], v[62:63]
	v_add_nc_u64_e32 v[4:5], s[26:27], v[76:77]
	s_add_nc_u64 s[26:27], s[26:27], s[24:25]
	s_clause 0x1
	global_store_b128 v[4:5], v[72:75], off
	global_store_b128 v[4:5], v[40:43], off offset:16
	s_or_b32 s29, vcc_lo, s29
	s_clause 0x1
	global_store_b128 v[4:5], v[56:59], off offset:32
	global_store_b128 v[4:5], v[0:3], off offset:48
	s_wait_xcnt 0x0
	s_and_not1_b32 exec_lo, exec_lo, s29
	s_cbranch_execnz .LBB119_3
.LBB119_4:
	s_or_b32 exec_lo, exec_lo, s28
	s_mov_b32 s0, 0
.LBB119_5:
	s_delay_alu instid0(SALU_CYCLE_1)
	s_and_not1_b32 vcc_lo, exec_lo, s0
	s_cbranch_vccnz .LBB119_25
; %bb.6:
	v_cmp_lt_i64_e64 s0, s[12:13], 1
	s_and_b32 vcc_lo, exec_lo, s0
	s_cbranch_vccnz .LBB119_25
; %bb.7:
	v_min_i64 v[62:63], 0x10000, s[12:13]
	v_min_u64 v[72:73], 0x10000, s[12:13]
	s_load_b32 s0, s[10:11], 0xc5c
	v_mov_b32_e32 v61, 0
	s_mov_b32 s19, 0
	s_mov_b64 s[28:29], 0
	s_mov_b32 s21, s19
	s_mov_b32 s23, s19
	;; [unrolled: 1-line block ×3, first 2 shown]
	s_get_pc_i64 s[24:25]
	s_add_nc_u64 s[24:25], s[24:25], _ZN6thrust23THRUST_200600_302600_NS6detail7complex5csinhERKNS0_7complexIdEE@rel64+4
	s_wait_kmcnt 0x0
	s_and_b32 s18, s0, 0xffff
	s_delay_alu instid0(SALU_CYCLE_1)
	s_lshl_b32 s20, s18, 1
	s_mul_i32 s22, s18, 3
	s_lshl_b32 s26, s18, 2
	s_branch .LBB119_9
.LBB119_8:                              ;   in Loop: Header=BB119_9 Depth=1
	s_wait_xcnt 0x0
	s_or_b32 exec_lo, exec_lo, s11
	s_add_nc_u64 s[28:29], s[28:29], s[26:27]
	s_delay_alu instid0(SALU_CYCLE_1)
	v_cmp_ge_i64_e32 vcc_lo, s[28:29], v[62:63]
	s_cbranch_vccnz .LBB119_25
.LBB119_9:                              ; =>This Inner Loop Header: Depth=1
	v_add_nc_u64_e32 v[84:85], s[28:29], v[60:61]
	s_wait_loadcnt 0x0
	v_mov_b64_e32 v[46:47], 0
	v_mov_b64_e32 v[2:3], 0
	;; [unrolled: 1-line block ×3, first 2 shown]
	s_delay_alu instid0(VALU_DEP_4)
	v_cmp_lt_u64_e32 vcc_lo, v[84:85], v[72:73]
	s_and_saveexec_b32 s0, vcc_lo
	s_cbranch_execz .LBB119_11
; %bb.10:                               ;   in Loop: Header=BB119_9 Depth=1
	v_lshl_add_u64 v[0:1], v[84:85], 4, s[14:15]
	global_load_b128 v[0:3], v[0:1], off
.LBB119_11:                             ;   in Loop: Header=BB119_9 Depth=1
	s_wait_xcnt 0x0
	s_or_b32 exec_lo, exec_lo, s0
	v_add_nc_u64_e32 v[78:79], s[18:19], v[84:85]
	v_mov_b64_e32 v[44:45], 0
	s_delay_alu instid0(VALU_DEP_2)
	v_cmp_lt_u64_e64 s12, v[78:79], v[72:73]
	s_and_saveexec_b32 s0, s12
	s_cbranch_execz .LBB119_13
; %bb.12:                               ;   in Loop: Header=BB119_9 Depth=1
	v_lshl_add_u64 v[4:5], v[78:79], 4, s[14:15]
	global_load_b128 v[44:47], v[4:5], off
.LBB119_13:                             ;   in Loop: Header=BB119_9 Depth=1
	s_wait_xcnt 0x0
	s_or_b32 exec_lo, exec_lo, s0
	v_add_nc_u64_e32 v[76:77], s[20:21], v[84:85]
	v_mov_b64_e32 v[42:43], 0
	v_mov_b64_e32 v[58:59], 0
	;; [unrolled: 1-line block ×3, first 2 shown]
	s_delay_alu instid0(VALU_DEP_4)
	v_cmp_lt_u64_e64 s11, v[76:77], v[72:73]
	s_and_saveexec_b32 s0, s11
	s_cbranch_execz .LBB119_15
; %bb.14:                               ;   in Loop: Header=BB119_9 Depth=1
	v_lshl_add_u64 v[4:5], v[76:77], 4, s[14:15]
	global_load_b128 v[56:59], v[4:5], off
.LBB119_15:                             ;   in Loop: Header=BB119_9 Depth=1
	s_wait_xcnt 0x0
	s_or_b32 exec_lo, exec_lo, s0
	v_add_nc_u64_e32 v[74:75], s[22:23], v[84:85]
	v_mov_b64_e32 v[40:41], 0
	s_delay_alu instid0(VALU_DEP_2)
	v_cmp_lt_u64_e64 s10, v[74:75], v[72:73]
	s_and_saveexec_b32 s0, s10
	s_cbranch_execnz .LBB119_20
; %bb.16:                               ;   in Loop: Header=BB119_9 Depth=1
	s_or_b32 exec_lo, exec_lo, s0
	s_and_saveexec_b32 s13, vcc_lo
	s_cbranch_execnz .LBB119_21
.LBB119_17:                             ;   in Loop: Header=BB119_9 Depth=1
	s_or_b32 exec_lo, exec_lo, s13
	s_and_saveexec_b32 s13, s12
	s_cbranch_execnz .LBB119_22
.LBB119_18:                             ;   in Loop: Header=BB119_9 Depth=1
	s_or_b32 exec_lo, exec_lo, s13
	s_and_saveexec_b32 s12, s11
	s_cbranch_execnz .LBB119_23
.LBB119_19:                             ;   in Loop: Header=BB119_9 Depth=1
	s_or_b32 exec_lo, exec_lo, s12
	s_and_saveexec_b32 s11, s10
	s_cbranch_execz .LBB119_8
	s_branch .LBB119_24
.LBB119_20:                             ;   in Loop: Header=BB119_9 Depth=1
	v_lshl_add_u64 v[4:5], v[74:75], 4, s[14:15]
	global_load_b128 v[40:43], v[4:5], off
	s_wait_xcnt 0x0
	s_or_b32 exec_lo, exec_lo, s0
	s_and_saveexec_b32 s13, vcc_lo
	s_cbranch_execz .LBB119_17
.LBB119_21:                             ;   in Loop: Header=BB119_9 Depth=1
	s_swap_pc_i64 s[30:31], s[24:25]
	v_lshl_add_u64 v[4:5], v[84:85], 4, s[16:17]
	global_store_b128 v[4:5], v[0:3], off
	s_wait_xcnt 0x0
	s_or_b32 exec_lo, exec_lo, s13
	s_and_saveexec_b32 s13, s12
	s_cbranch_execz .LBB119_18
.LBB119_22:                             ;   in Loop: Header=BB119_9 Depth=1
	s_wait_loadcnt 0x0
	v_dual_mov_b32 v0, v44 :: v_dual_mov_b32 v1, v45
	v_dual_mov_b32 v2, v46 :: v_dual_mov_b32 v3, v47
	s_swap_pc_i64 s[30:31], s[24:25]
	v_lshl_add_u64 v[4:5], v[78:79], 4, s[16:17]
	global_store_b128 v[4:5], v[0:3], off
	s_wait_xcnt 0x0
	s_or_b32 exec_lo, exec_lo, s13
	s_and_saveexec_b32 s12, s11
	s_cbranch_execz .LBB119_19
.LBB119_23:                             ;   in Loop: Header=BB119_9 Depth=1
	s_wait_loadcnt 0x0
	v_dual_mov_b32 v0, v56 :: v_dual_mov_b32 v1, v57
	v_dual_mov_b32 v2, v58 :: v_dual_mov_b32 v3, v59
	s_swap_pc_i64 s[30:31], s[24:25]
	v_lshl_add_u64 v[4:5], v[76:77], 4, s[16:17]
	global_store_b128 v[4:5], v[0:3], off
	s_wait_xcnt 0x0
	s_or_b32 exec_lo, exec_lo, s12
	s_and_saveexec_b32 s11, s10
	s_cbranch_execz .LBB119_8
.LBB119_24:                             ;   in Loop: Header=BB119_9 Depth=1
	s_wait_loadcnt 0x0
	v_dual_mov_b32 v0, v40 :: v_dual_mov_b32 v1, v41
	v_dual_mov_b32 v2, v42 :: v_dual_mov_b32 v3, v43
	s_swap_pc_i64 s[30:31], s[24:25]
	v_lshl_add_u64 v[4:5], v[74:75], 4, s[16:17]
	global_store_b128 v[4:5], v[0:3], off
	s_branch .LBB119_8
.LBB119_25:
	s_endpgm
	.section	.rodata,"a",@progbits
	.p2align	6, 0x0
	.amdhsa_kernel _ZN2at6native12_GLOBAL__N_125multi_tensor_apply_kernelINS1_18TensorListMetadataILi2EEENS1_14UnaryOpFunctorIN3c107complexIdEELi2ELi1ELi1EEEJNS0_4SinhIS8_EEEEEvT_T0_DpT1_
		.amdhsa_group_segment_fixed_size 0
		.amdhsa_private_segment_fixed_size 0
		.amdhsa_kernarg_size 3408
		.amdhsa_user_sgpr_count 2
		.amdhsa_user_sgpr_dispatch_ptr 0
		.amdhsa_user_sgpr_queue_ptr 0
		.amdhsa_user_sgpr_kernarg_segment_ptr 1
		.amdhsa_user_sgpr_dispatch_id 0
		.amdhsa_user_sgpr_kernarg_preload_length 0
		.amdhsa_user_sgpr_kernarg_preload_offset 0
		.amdhsa_user_sgpr_private_segment_size 0
		.amdhsa_wavefront_size32 1
		.amdhsa_uses_dynamic_stack 0
		.amdhsa_enable_private_segment 0
		.amdhsa_system_sgpr_workgroup_id_x 1
		.amdhsa_system_sgpr_workgroup_id_y 0
		.amdhsa_system_sgpr_workgroup_id_z 0
		.amdhsa_system_sgpr_workgroup_info 0
		.amdhsa_system_vgpr_workitem_id 0
		.amdhsa_next_free_vgpr 86
		.amdhsa_next_free_sgpr 33
		.amdhsa_named_barrier_count 0
		.amdhsa_reserve_vcc 1
		.amdhsa_float_round_mode_32 0
		.amdhsa_float_round_mode_16_64 0
		.amdhsa_float_denorm_mode_32 3
		.amdhsa_float_denorm_mode_16_64 3
		.amdhsa_fp16_overflow 0
		.amdhsa_memory_ordered 1
		.amdhsa_forward_progress 1
		.amdhsa_inst_pref_size 10
		.amdhsa_round_robin_scheduling 0
		.amdhsa_exception_fp_ieee_invalid_op 0
		.amdhsa_exception_fp_denorm_src 0
		.amdhsa_exception_fp_ieee_div_zero 0
		.amdhsa_exception_fp_ieee_overflow 0
		.amdhsa_exception_fp_ieee_underflow 0
		.amdhsa_exception_fp_ieee_inexact 0
		.amdhsa_exception_int_div_zero 0
	.end_amdhsa_kernel
	.section	.text._ZN2at6native12_GLOBAL__N_125multi_tensor_apply_kernelINS1_18TensorListMetadataILi2EEENS1_14UnaryOpFunctorIN3c107complexIdEELi2ELi1ELi1EEEJNS0_4SinhIS8_EEEEEvT_T0_DpT1_,"axG",@progbits,_ZN2at6native12_GLOBAL__N_125multi_tensor_apply_kernelINS1_18TensorListMetadataILi2EEENS1_14UnaryOpFunctorIN3c107complexIdEELi2ELi1ELi1EEEJNS0_4SinhIS8_EEEEEvT_T0_DpT1_,comdat
.Lfunc_end119:
	.size	_ZN2at6native12_GLOBAL__N_125multi_tensor_apply_kernelINS1_18TensorListMetadataILi2EEENS1_14UnaryOpFunctorIN3c107complexIdEELi2ELi1ELi1EEEJNS0_4SinhIS8_EEEEEvT_T0_DpT1_, .Lfunc_end119-_ZN2at6native12_GLOBAL__N_125multi_tensor_apply_kernelINS1_18TensorListMetadataILi2EEENS1_14UnaryOpFunctorIN3c107complexIdEELi2ELi1ELi1EEEJNS0_4SinhIS8_EEEEEvT_T0_DpT1_
                                        ; -- End function
	.set _ZN2at6native12_GLOBAL__N_125multi_tensor_apply_kernelINS1_18TensorListMetadataILi2EEENS1_14UnaryOpFunctorIN3c107complexIdEELi2ELi1ELi1EEEJNS0_4SinhIS8_EEEEEvT_T0_DpT1_.num_vgpr, max(86, .L_ZN6thrust23THRUST_200600_302600_NS6detail7complex5csinhERKNS0_7complexIdEE.num_vgpr)
	.set _ZN2at6native12_GLOBAL__N_125multi_tensor_apply_kernelINS1_18TensorListMetadataILi2EEENS1_14UnaryOpFunctorIN3c107complexIdEELi2ELi1ELi1EEEJNS0_4SinhIS8_EEEEEvT_T0_DpT1_.num_agpr, max(0, .L_ZN6thrust23THRUST_200600_302600_NS6detail7complex5csinhERKNS0_7complexIdEE.num_agpr)
	.set _ZN2at6native12_GLOBAL__N_125multi_tensor_apply_kernelINS1_18TensorListMetadataILi2EEENS1_14UnaryOpFunctorIN3c107complexIdEELi2ELi1ELi1EEEJNS0_4SinhIS8_EEEEEvT_T0_DpT1_.numbered_sgpr, max(33, .L_ZN6thrust23THRUST_200600_302600_NS6detail7complex5csinhERKNS0_7complexIdEE.numbered_sgpr)
	.set _ZN2at6native12_GLOBAL__N_125multi_tensor_apply_kernelINS1_18TensorListMetadataILi2EEENS1_14UnaryOpFunctorIN3c107complexIdEELi2ELi1ELi1EEEJNS0_4SinhIS8_EEEEEvT_T0_DpT1_.num_named_barrier, max(0, .L_ZN6thrust23THRUST_200600_302600_NS6detail7complex5csinhERKNS0_7complexIdEE.num_named_barrier)
	.set _ZN2at6native12_GLOBAL__N_125multi_tensor_apply_kernelINS1_18TensorListMetadataILi2EEENS1_14UnaryOpFunctorIN3c107complexIdEELi2ELi1ELi1EEEJNS0_4SinhIS8_EEEEEvT_T0_DpT1_.private_seg_size, 0+max(.L_ZN6thrust23THRUST_200600_302600_NS6detail7complex5csinhERKNS0_7complexIdEE.private_seg_size)
	.set _ZN2at6native12_GLOBAL__N_125multi_tensor_apply_kernelINS1_18TensorListMetadataILi2EEENS1_14UnaryOpFunctorIN3c107complexIdEELi2ELi1ELi1EEEJNS0_4SinhIS8_EEEEEvT_T0_DpT1_.uses_vcc, or(1, .L_ZN6thrust23THRUST_200600_302600_NS6detail7complex5csinhERKNS0_7complexIdEE.uses_vcc)
	.set _ZN2at6native12_GLOBAL__N_125multi_tensor_apply_kernelINS1_18TensorListMetadataILi2EEENS1_14UnaryOpFunctorIN3c107complexIdEELi2ELi1ELi1EEEJNS0_4SinhIS8_EEEEEvT_T0_DpT1_.uses_flat_scratch, or(0, .L_ZN6thrust23THRUST_200600_302600_NS6detail7complex5csinhERKNS0_7complexIdEE.uses_flat_scratch)
	.set _ZN2at6native12_GLOBAL__N_125multi_tensor_apply_kernelINS1_18TensorListMetadataILi2EEENS1_14UnaryOpFunctorIN3c107complexIdEELi2ELi1ELi1EEEJNS0_4SinhIS8_EEEEEvT_T0_DpT1_.has_dyn_sized_stack, or(0, .L_ZN6thrust23THRUST_200600_302600_NS6detail7complex5csinhERKNS0_7complexIdEE.has_dyn_sized_stack)
	.set _ZN2at6native12_GLOBAL__N_125multi_tensor_apply_kernelINS1_18TensorListMetadataILi2EEENS1_14UnaryOpFunctorIN3c107complexIdEELi2ELi1ELi1EEEJNS0_4SinhIS8_EEEEEvT_T0_DpT1_.has_recursion, or(0, .L_ZN6thrust23THRUST_200600_302600_NS6detail7complex5csinhERKNS0_7complexIdEE.has_recursion)
	.set _ZN2at6native12_GLOBAL__N_125multi_tensor_apply_kernelINS1_18TensorListMetadataILi2EEENS1_14UnaryOpFunctorIN3c107complexIdEELi2ELi1ELi1EEEJNS0_4SinhIS8_EEEEEvT_T0_DpT1_.has_indirect_call, or(0, .L_ZN6thrust23THRUST_200600_302600_NS6detail7complex5csinhERKNS0_7complexIdEE.has_indirect_call)
	.section	.AMDGPU.csdata,"",@progbits
; Kernel info:
; codeLenInByte = 1264
; TotalNumSgprs: 35
; NumVgprs: 86
; ScratchSize: 0
; MemoryBound: 1
; FloatMode: 240
; IeeeMode: 1
; LDSByteSize: 0 bytes/workgroup (compile time only)
; SGPRBlocks: 0
; VGPRBlocks: 5
; NumSGPRsForWavesPerEU: 35
; NumVGPRsForWavesPerEU: 86
; NamedBarCnt: 0
; Occupancy: 10
; WaveLimiterHint : 0
; COMPUTE_PGM_RSRC2:SCRATCH_EN: 0
; COMPUTE_PGM_RSRC2:USER_SGPR: 2
; COMPUTE_PGM_RSRC2:TRAP_HANDLER: 0
; COMPUTE_PGM_RSRC2:TGID_X_EN: 1
; COMPUTE_PGM_RSRC2:TGID_Y_EN: 0
; COMPUTE_PGM_RSRC2:TGID_Z_EN: 0
; COMPUTE_PGM_RSRC2:TIDIG_COMP_CNT: 0
	.section	.text._ZN2at6native12_GLOBAL__N_125multi_tensor_apply_kernelINS1_18TensorListMetadataILi2EEENS1_14UnaryOpFunctorIN3c107complexIfEELi2ELi1ELi1EEEJNS0_4SinhIS8_EEEEEvT_T0_DpT1_,"axG",@progbits,_ZN2at6native12_GLOBAL__N_125multi_tensor_apply_kernelINS1_18TensorListMetadataILi2EEENS1_14UnaryOpFunctorIN3c107complexIfEELi2ELi1ELi1EEEJNS0_4SinhIS8_EEEEEvT_T0_DpT1_,comdat
	.globl	_ZN2at6native12_GLOBAL__N_125multi_tensor_apply_kernelINS1_18TensorListMetadataILi2EEENS1_14UnaryOpFunctorIN3c107complexIfEELi2ELi1ELi1EEEJNS0_4SinhIS8_EEEEEvT_T0_DpT1_ ; -- Begin function _ZN2at6native12_GLOBAL__N_125multi_tensor_apply_kernelINS1_18TensorListMetadataILi2EEENS1_14UnaryOpFunctorIN3c107complexIfEELi2ELi1ELi1EEEJNS0_4SinhIS8_EEEEEvT_T0_DpT1_
	.p2align	8
	.type	_ZN2at6native12_GLOBAL__N_125multi_tensor_apply_kernelINS1_18TensorListMetadataILi2EEENS1_14UnaryOpFunctorIN3c107complexIfEELi2ELi1ELi1EEEJNS0_4SinhIS8_EEEEEvT_T0_DpT1_,@function
_ZN2at6native12_GLOBAL__N_125multi_tensor_apply_kernelINS1_18TensorListMetadataILi2EEENS1_14UnaryOpFunctorIN3c107complexIfEELi2ELi1ELi1EEEJNS0_4SinhIS8_EEEEEvT_T0_DpT1_: ; @_ZN2at6native12_GLOBAL__N_125multi_tensor_apply_kernelINS1_18TensorListMetadataILi2EEENS1_14UnaryOpFunctorIN3c107complexIfEELi2ELi1ELi1EEEJNS0_4SinhIS8_EEEEEvT_T0_DpT1_
; %bb.0:
	s_mov_b64 s[10:11], s[0:1]
	s_bfe_u32 s0, ttmp6, 0x4000c
	s_and_b32 s1, ttmp6, 15
	s_add_co_i32 s0, s0, 1
	s_getreg_b32 s2, hwreg(HW_REG_IB_STS2, 6, 4)
	s_mul_i32 s0, ttmp9, s0
	v_mov_b32_e32 v22, v0
	s_add_co_i32 s1, s1, s0
	s_cmp_eq_u32 s2, 0
	s_mov_b32 s32, 0
	s_cselect_b32 s0, ttmp9, s1
	s_mov_b32 s1, 0
	s_load_u8 s14, s[10:11], s0 offset:0x600
	s_add_nc_u64 s[2:3], s[10:11], s[0:1]
	s_mul_u64 s[4:5], s[0:1], 3
	s_delay_alu instid0(SALU_CYCLE_1)
	s_add_nc_u64 s[2:3], s[2:3], s[4:5]
	s_load_b32 s4, s[2:3], 0x740
	s_wait_kmcnt 0x0
	s_clause 0x2
	s_load_b64 s[6:7], s[10:11], s14 offset:0x0 scale_offset
	s_load_b64 s[8:9], s[10:11], s14 offset:0x200 scale_offset
	s_load_b64 s[12:13], s[10:11], s14 offset:0x400 scale_offset
	s_ashr_i32 s5, s4, 31
	s_delay_alu instid0(SALU_CYCLE_1)
	s_lshl_b64 s[2:3], s[4:5], 19
	s_lshl_b64 s[4:5], s[4:5], 16
	s_wait_kmcnt 0x0
	s_add_nc_u64 s[16:17], s[8:9], s[2:3]
	s_add_nc_u64 s[14:15], s[6:7], s[2:3]
	s_and_b32 s2, s12, 3
	s_and_b64 s[6:7], s[16:17], 31
	s_mov_b32 s3, s1
	s_and_b32 s0, s14, 31
	s_or_b64 s[2:3], s[6:7], s[2:3]
	s_sub_nc_u64 s[12:13], s[12:13], s[4:5]
	s_or_b64 s[0:1], s[2:3], s[0:1]
	s_delay_alu instid0(SALU_CYCLE_1)
	s_cmp_eq_u64 s[0:1], 0
	s_mov_b32 s0, -1
	s_cbranch_scc0 .LBB120_5
; %bb.1:
	v_min_i64 v[32:33], 0x10000, s[12:13]
	v_dual_mov_b32 v35, 0 :: v_dual_lshlrev_b32 v34, 2, v22
	s_mov_b32 s28, exec_lo
	s_delay_alu instid0(VALU_DEP_1)
	v_cmpx_lt_i64_e64 v[34:35], v[32:33]
	s_cbranch_execz .LBB120_4
; %bb.2:
	s_load_b32 s0, s[10:11], 0xc5c
	v_dual_mov_b32 v23, v35 :: v_dual_lshlrev_b32 v34, 5, v22
	s_mov_b32 s19, 0
	s_mov_b64 s[22:23], s[14:15]
	s_mov_b32 s25, s19
	s_delay_alu instid0(VALU_DEP_1)
	v_mov_b64_e32 v[36:37], v[22:23]
	s_mov_b32 s29, s19
	s_mov_b64 s[26:27], s[16:17]
	s_get_pc_i64 s[20:21]
	s_add_nc_u64 s[20:21], s[20:21], _ZN6thrust23THRUST_200600_302600_NS6detail7complex6csinhfERKNS0_7complexIfEE@rel64+4
	s_wait_kmcnt 0x0
	s_and_b32 s18, s0, 0xffff
	s_delay_alu instid0(SALU_CYCLE_1)
	s_lshl_b32 s24, s18, 5
.LBB120_3:                              ; =>This Inner Loop Header: Depth=1
	v_add_nc_u64_e32 v[0:1], s[22:23], v[34:35]
	s_clause 0x1
	global_load_b128 v[24:27], v[0:1], off
	global_load_b128 v[28:31], v[0:1], off offset:16
	s_wait_loadcnt 0x1
	s_wait_xcnt 0x0
	v_dual_mov_b32 v0, v24 :: v_dual_mov_b32 v1, v25
	s_swap_pc_i64 s[30:31], s[20:21]
	s_delay_alu instid0(VALU_DEP_1) | instskip(SKIP_2) | instid1(VALU_DEP_1)
	v_dual_mov_b32 v24, v0 :: v_dual_mov_b32 v25, v1
	v_dual_mov_b32 v0, v26 :: v_dual_mov_b32 v1, v27
	s_swap_pc_i64 s[30:31], s[20:21]
	v_dual_mov_b32 v26, v0 :: v_dual_mov_b32 v27, v1
	v_dual_mov_b32 v0, v28 :: v_dual_mov_b32 v1, v29
	s_swap_pc_i64 s[30:31], s[20:21]
	s_delay_alu instid0(VALU_DEP_1) | instskip(SKIP_3) | instid1(VALU_DEP_2)
	v_dual_mov_b32 v28, v0 :: v_dual_mov_b32 v29, v1
	v_dual_mov_b32 v0, v30 :: v_dual_mov_b32 v1, v31
	s_swap_pc_i64 s[30:31], s[20:21]
	v_add_nc_u64_e32 v[36:37], s[18:19], v[36:37]
	v_dual_mov_b32 v30, v0 :: v_dual_mov_b32 v31, v1
	s_add_nc_u64 s[22:23], s[22:23], s[24:25]
	s_delay_alu instid0(VALU_DEP_2) | instskip(NEXT) | instid1(VALU_DEP_1)
	v_lshlrev_b64_e32 v[0:1], 2, v[36:37]
	v_cmp_ge_i64_e32 vcc_lo, v[0:1], v[32:33]
	v_add_nc_u64_e32 v[0:1], s[26:27], v[34:35]
	s_add_nc_u64 s[26:27], s[26:27], s[24:25]
	s_clause 0x1
	global_store_b128 v[0:1], v[24:27], off
	global_store_b128 v[0:1], v[28:31], off offset:16
	s_or_b32 s29, vcc_lo, s29
	s_wait_xcnt 0x0
	s_and_not1_b32 exec_lo, exec_lo, s29
	s_cbranch_execnz .LBB120_3
.LBB120_4:
	s_or_b32 exec_lo, exec_lo, s28
	s_mov_b32 s0, 0
.LBB120_5:
	s_delay_alu instid0(SALU_CYCLE_1)
	s_and_not1_b32 vcc_lo, exec_lo, s0
	s_cbranch_vccnz .LBB120_25
; %bb.6:
	v_cmp_lt_i64_e64 s0, s[12:13], 1
	s_and_b32 vcc_lo, exec_lo, s0
	s_cbranch_vccnz .LBB120_25
; %bb.7:
	v_min_i64 v[30:31], 0x10000, s[12:13]
	v_min_u64 v[32:33], 0x10000, s[12:13]
	s_load_b32 s0, s[10:11], 0xc5c
	v_mov_b32_e32 v23, 0
	s_mov_b32 s19, 0
	s_mov_b64 s[28:29], 0
	s_mov_b32 s21, s19
	s_mov_b32 s23, s19
	;; [unrolled: 1-line block ×3, first 2 shown]
	s_get_pc_i64 s[24:25]
	s_add_nc_u64 s[24:25], s[24:25], _ZN6thrust23THRUST_200600_302600_NS6detail7complex6csinhfERKNS0_7complexIfEE@rel64+4
	s_wait_kmcnt 0x0
	s_and_b32 s18, s0, 0xffff
	s_delay_alu instid0(SALU_CYCLE_1)
	s_lshl_b32 s20, s18, 1
	s_mul_i32 s22, s18, 3
	s_lshl_b32 s26, s18, 2
	s_branch .LBB120_9
.LBB120_8:                              ;   in Loop: Header=BB120_9 Depth=1
	s_wait_xcnt 0x0
	s_or_b32 exec_lo, exec_lo, s11
	s_add_nc_u64 s[28:29], s[28:29], s[26:27]
	s_delay_alu instid0(SALU_CYCLE_1)
	v_cmp_ge_i64_e32 vcc_lo, s[28:29], v[30:31]
	s_cbranch_vccnz .LBB120_25
.LBB120_9:                              ; =>This Inner Loop Header: Depth=1
	v_add_nc_u64_e32 v[40:41], s[28:29], v[22:23]
	s_wait_loadcnt 0x0
	v_dual_mov_b32 v0, 0 :: v_dual_mov_b32 v1, 0
	s_delay_alu instid0(VALU_DEP_2)
	v_cmp_lt_u64_e32 vcc_lo, v[40:41], v[32:33]
	s_and_saveexec_b32 s0, vcc_lo
	s_cbranch_execz .LBB120_11
; %bb.10:                               ;   in Loop: Header=BB120_9 Depth=1
	v_lshl_add_u64 v[0:1], v[40:41], 3, s[14:15]
	global_load_b64 v[0:1], v[0:1], off
.LBB120_11:                             ;   in Loop: Header=BB120_9 Depth=1
	s_wait_xcnt 0x0
	s_or_b32 exec_lo, exec_lo, s0
	v_add_nc_u64_e32 v[38:39], s[18:19], v[40:41]
	v_dual_mov_b32 v24, 0 :: v_dual_mov_b32 v28, 0
	v_mov_b32_e32 v29, 0
	s_delay_alu instid0(VALU_DEP_3)
	v_cmp_lt_u64_e64 s12, v[38:39], v[32:33]
	s_and_saveexec_b32 s0, s12
	s_cbranch_execz .LBB120_13
; %bb.12:                               ;   in Loop: Header=BB120_9 Depth=1
	v_lshl_add_u64 v[2:3], v[38:39], 3, s[14:15]
	global_load_b64 v[28:29], v[2:3], off
.LBB120_13:                             ;   in Loop: Header=BB120_9 Depth=1
	s_wait_xcnt 0x0
	s_or_b32 exec_lo, exec_lo, s0
	v_add_nc_u64_e32 v[36:37], s[20:21], v[40:41]
	v_mov_b32_e32 v25, 0
	s_delay_alu instid0(VALU_DEP_2)
	v_cmp_lt_u64_e64 s11, v[36:37], v[32:33]
	s_and_saveexec_b32 s0, s11
	s_cbranch_execz .LBB120_15
; %bb.14:                               ;   in Loop: Header=BB120_9 Depth=1
	v_lshl_add_u64 v[2:3], v[36:37], 3, s[14:15]
	global_load_b64 v[24:25], v[2:3], off
.LBB120_15:                             ;   in Loop: Header=BB120_9 Depth=1
	s_wait_xcnt 0x0
	s_or_b32 exec_lo, exec_lo, s0
	v_add_nc_u64_e32 v[34:35], s[22:23], v[40:41]
	v_dual_mov_b32 v26, 0 :: v_dual_mov_b32 v27, 0
	s_delay_alu instid0(VALU_DEP_2)
	v_cmp_lt_u64_e64 s10, v[34:35], v[32:33]
	s_and_saveexec_b32 s0, s10
	s_cbranch_execnz .LBB120_20
; %bb.16:                               ;   in Loop: Header=BB120_9 Depth=1
	s_or_b32 exec_lo, exec_lo, s0
	s_and_saveexec_b32 s13, vcc_lo
	s_cbranch_execnz .LBB120_21
.LBB120_17:                             ;   in Loop: Header=BB120_9 Depth=1
	s_or_b32 exec_lo, exec_lo, s13
	s_and_saveexec_b32 s13, s12
	s_cbranch_execnz .LBB120_22
.LBB120_18:                             ;   in Loop: Header=BB120_9 Depth=1
	s_or_b32 exec_lo, exec_lo, s13
	s_and_saveexec_b32 s12, s11
	s_cbranch_execnz .LBB120_23
.LBB120_19:                             ;   in Loop: Header=BB120_9 Depth=1
	s_or_b32 exec_lo, exec_lo, s12
	s_and_saveexec_b32 s11, s10
	s_cbranch_execz .LBB120_8
	s_branch .LBB120_24
.LBB120_20:                             ;   in Loop: Header=BB120_9 Depth=1
	v_lshl_add_u64 v[2:3], v[34:35], 3, s[14:15]
	global_load_b64 v[26:27], v[2:3], off
	s_wait_xcnt 0x0
	s_or_b32 exec_lo, exec_lo, s0
	s_and_saveexec_b32 s13, vcc_lo
	s_cbranch_execz .LBB120_17
.LBB120_21:                             ;   in Loop: Header=BB120_9 Depth=1
	s_swap_pc_i64 s[30:31], s[24:25]
	v_lshl_add_u64 v[2:3], v[40:41], 3, s[16:17]
	global_store_b64 v[2:3], v[0:1], off
	s_wait_xcnt 0x0
	s_or_b32 exec_lo, exec_lo, s13
	s_and_saveexec_b32 s13, s12
	s_cbranch_execz .LBB120_18
.LBB120_22:                             ;   in Loop: Header=BB120_9 Depth=1
	s_wait_loadcnt 0x0
	v_dual_mov_b32 v0, v28 :: v_dual_mov_b32 v1, v29
	s_swap_pc_i64 s[30:31], s[24:25]
	v_lshl_add_u64 v[2:3], v[38:39], 3, s[16:17]
	global_store_b64 v[2:3], v[0:1], off
	s_wait_xcnt 0x0
	s_or_b32 exec_lo, exec_lo, s13
	s_and_saveexec_b32 s12, s11
	s_cbranch_execz .LBB120_19
.LBB120_23:                             ;   in Loop: Header=BB120_9 Depth=1
	s_wait_loadcnt 0x0
	v_dual_mov_b32 v0, v24 :: v_dual_mov_b32 v1, v25
	s_swap_pc_i64 s[30:31], s[24:25]
	v_lshl_add_u64 v[2:3], v[36:37], 3, s[16:17]
	global_store_b64 v[2:3], v[0:1], off
	s_wait_xcnt 0x0
	s_or_b32 exec_lo, exec_lo, s12
	s_and_saveexec_b32 s11, s10
	s_cbranch_execz .LBB120_8
.LBB120_24:                             ;   in Loop: Header=BB120_9 Depth=1
	s_wait_loadcnt 0x0
	v_dual_mov_b32 v0, v26 :: v_dual_mov_b32 v1, v27
	s_swap_pc_i64 s[30:31], s[24:25]
	v_lshl_add_u64 v[2:3], v[34:35], 3, s[16:17]
	global_store_b64 v[2:3], v[0:1], off
	s_branch .LBB120_8
.LBB120_25:
	s_endpgm
	.section	.rodata,"a",@progbits
	.p2align	6, 0x0
	.amdhsa_kernel _ZN2at6native12_GLOBAL__N_125multi_tensor_apply_kernelINS1_18TensorListMetadataILi2EEENS1_14UnaryOpFunctorIN3c107complexIfEELi2ELi1ELi1EEEJNS0_4SinhIS8_EEEEEvT_T0_DpT1_
		.amdhsa_group_segment_fixed_size 0
		.amdhsa_private_segment_fixed_size 0
		.amdhsa_kernarg_size 3408
		.amdhsa_user_sgpr_count 2
		.amdhsa_user_sgpr_dispatch_ptr 0
		.amdhsa_user_sgpr_queue_ptr 0
		.amdhsa_user_sgpr_kernarg_segment_ptr 1
		.amdhsa_user_sgpr_dispatch_id 0
		.amdhsa_user_sgpr_kernarg_preload_length 0
		.amdhsa_user_sgpr_kernarg_preload_offset 0
		.amdhsa_user_sgpr_private_segment_size 0
		.amdhsa_wavefront_size32 1
		.amdhsa_uses_dynamic_stack 0
		.amdhsa_enable_private_segment 0
		.amdhsa_system_sgpr_workgroup_id_x 1
		.amdhsa_system_sgpr_workgroup_id_y 0
		.amdhsa_system_sgpr_workgroup_id_z 0
		.amdhsa_system_sgpr_workgroup_info 0
		.amdhsa_system_vgpr_workitem_id 0
		.amdhsa_next_free_vgpr 42
		.amdhsa_next_free_sgpr 33
		.amdhsa_named_barrier_count 0
		.amdhsa_reserve_vcc 1
		.amdhsa_float_round_mode_32 0
		.amdhsa_float_round_mode_16_64 0
		.amdhsa_float_denorm_mode_32 3
		.amdhsa_float_denorm_mode_16_64 3
		.amdhsa_fp16_overflow 0
		.amdhsa_memory_ordered 1
		.amdhsa_forward_progress 1
		.amdhsa_inst_pref_size 10
		.amdhsa_round_robin_scheduling 0
		.amdhsa_exception_fp_ieee_invalid_op 0
		.amdhsa_exception_fp_denorm_src 0
		.amdhsa_exception_fp_ieee_div_zero 0
		.amdhsa_exception_fp_ieee_overflow 0
		.amdhsa_exception_fp_ieee_underflow 0
		.amdhsa_exception_fp_ieee_inexact 0
		.amdhsa_exception_int_div_zero 0
	.end_amdhsa_kernel
	.section	.text._ZN2at6native12_GLOBAL__N_125multi_tensor_apply_kernelINS1_18TensorListMetadataILi2EEENS1_14UnaryOpFunctorIN3c107complexIfEELi2ELi1ELi1EEEJNS0_4SinhIS8_EEEEEvT_T0_DpT1_,"axG",@progbits,_ZN2at6native12_GLOBAL__N_125multi_tensor_apply_kernelINS1_18TensorListMetadataILi2EEENS1_14UnaryOpFunctorIN3c107complexIfEELi2ELi1ELi1EEEJNS0_4SinhIS8_EEEEEvT_T0_DpT1_,comdat
.Lfunc_end120:
	.size	_ZN2at6native12_GLOBAL__N_125multi_tensor_apply_kernelINS1_18TensorListMetadataILi2EEENS1_14UnaryOpFunctorIN3c107complexIfEELi2ELi1ELi1EEEJNS0_4SinhIS8_EEEEEvT_T0_DpT1_, .Lfunc_end120-_ZN2at6native12_GLOBAL__N_125multi_tensor_apply_kernelINS1_18TensorListMetadataILi2EEENS1_14UnaryOpFunctorIN3c107complexIfEELi2ELi1ELi1EEEJNS0_4SinhIS8_EEEEEvT_T0_DpT1_
                                        ; -- End function
	.set _ZN2at6native12_GLOBAL__N_125multi_tensor_apply_kernelINS1_18TensorListMetadataILi2EEENS1_14UnaryOpFunctorIN3c107complexIfEELi2ELi1ELi1EEEJNS0_4SinhIS8_EEEEEvT_T0_DpT1_.num_vgpr, max(42, .L_ZN6thrust23THRUST_200600_302600_NS6detail7complex6csinhfERKNS0_7complexIfEE.num_vgpr)
	.set _ZN2at6native12_GLOBAL__N_125multi_tensor_apply_kernelINS1_18TensorListMetadataILi2EEENS1_14UnaryOpFunctorIN3c107complexIfEELi2ELi1ELi1EEEJNS0_4SinhIS8_EEEEEvT_T0_DpT1_.num_agpr, max(0, .L_ZN6thrust23THRUST_200600_302600_NS6detail7complex6csinhfERKNS0_7complexIfEE.num_agpr)
	.set _ZN2at6native12_GLOBAL__N_125multi_tensor_apply_kernelINS1_18TensorListMetadataILi2EEENS1_14UnaryOpFunctorIN3c107complexIfEELi2ELi1ELi1EEEJNS0_4SinhIS8_EEEEEvT_T0_DpT1_.numbered_sgpr, max(33, .L_ZN6thrust23THRUST_200600_302600_NS6detail7complex6csinhfERKNS0_7complexIfEE.numbered_sgpr)
	.set _ZN2at6native12_GLOBAL__N_125multi_tensor_apply_kernelINS1_18TensorListMetadataILi2EEENS1_14UnaryOpFunctorIN3c107complexIfEELi2ELi1ELi1EEEJNS0_4SinhIS8_EEEEEvT_T0_DpT1_.num_named_barrier, max(0, .L_ZN6thrust23THRUST_200600_302600_NS6detail7complex6csinhfERKNS0_7complexIfEE.num_named_barrier)
	.set _ZN2at6native12_GLOBAL__N_125multi_tensor_apply_kernelINS1_18TensorListMetadataILi2EEENS1_14UnaryOpFunctorIN3c107complexIfEELi2ELi1ELi1EEEJNS0_4SinhIS8_EEEEEvT_T0_DpT1_.private_seg_size, 0+max(.L_ZN6thrust23THRUST_200600_302600_NS6detail7complex6csinhfERKNS0_7complexIfEE.private_seg_size)
	.set _ZN2at6native12_GLOBAL__N_125multi_tensor_apply_kernelINS1_18TensorListMetadataILi2EEENS1_14UnaryOpFunctorIN3c107complexIfEELi2ELi1ELi1EEEJNS0_4SinhIS8_EEEEEvT_T0_DpT1_.uses_vcc, or(1, .L_ZN6thrust23THRUST_200600_302600_NS6detail7complex6csinhfERKNS0_7complexIfEE.uses_vcc)
	.set _ZN2at6native12_GLOBAL__N_125multi_tensor_apply_kernelINS1_18TensorListMetadataILi2EEENS1_14UnaryOpFunctorIN3c107complexIfEELi2ELi1ELi1EEEJNS0_4SinhIS8_EEEEEvT_T0_DpT1_.uses_flat_scratch, or(0, .L_ZN6thrust23THRUST_200600_302600_NS6detail7complex6csinhfERKNS0_7complexIfEE.uses_flat_scratch)
	.set _ZN2at6native12_GLOBAL__N_125multi_tensor_apply_kernelINS1_18TensorListMetadataILi2EEENS1_14UnaryOpFunctorIN3c107complexIfEELi2ELi1ELi1EEEJNS0_4SinhIS8_EEEEEvT_T0_DpT1_.has_dyn_sized_stack, or(0, .L_ZN6thrust23THRUST_200600_302600_NS6detail7complex6csinhfERKNS0_7complexIfEE.has_dyn_sized_stack)
	.set _ZN2at6native12_GLOBAL__N_125multi_tensor_apply_kernelINS1_18TensorListMetadataILi2EEENS1_14UnaryOpFunctorIN3c107complexIfEELi2ELi1ELi1EEEJNS0_4SinhIS8_EEEEEvT_T0_DpT1_.has_recursion, or(0, .L_ZN6thrust23THRUST_200600_302600_NS6detail7complex6csinhfERKNS0_7complexIfEE.has_recursion)
	.set _ZN2at6native12_GLOBAL__N_125multi_tensor_apply_kernelINS1_18TensorListMetadataILi2EEENS1_14UnaryOpFunctorIN3c107complexIfEELi2ELi1ELi1EEEJNS0_4SinhIS8_EEEEEvT_T0_DpT1_.has_indirect_call, or(0, .L_ZN6thrust23THRUST_200600_302600_NS6detail7complex6csinhfERKNS0_7complexIfEE.has_indirect_call)
	.section	.AMDGPU.csdata,"",@progbits
; Kernel info:
; codeLenInByte = 1164
; TotalNumSgprs: 35
; NumVgprs: 42
; ScratchSize: 0
; MemoryBound: 0
; FloatMode: 240
; IeeeMode: 1
; LDSByteSize: 0 bytes/workgroup (compile time only)
; SGPRBlocks: 0
; VGPRBlocks: 2
; NumSGPRsForWavesPerEU: 35
; NumVGPRsForWavesPerEU: 42
; NamedBarCnt: 0
; Occupancy: 16
; WaveLimiterHint : 0
; COMPUTE_PGM_RSRC2:SCRATCH_EN: 0
; COMPUTE_PGM_RSRC2:USER_SGPR: 2
; COMPUTE_PGM_RSRC2:TRAP_HANDLER: 0
; COMPUTE_PGM_RSRC2:TGID_X_EN: 1
; COMPUTE_PGM_RSRC2:TGID_Y_EN: 0
; COMPUTE_PGM_RSRC2:TGID_Z_EN: 0
; COMPUTE_PGM_RSRC2:TIDIG_COMP_CNT: 0
	.section	.text._ZN2at6native12_GLOBAL__N_125multi_tensor_apply_kernelINS1_18TensorListMetadataILi2EEENS1_14UnaryOpFunctorIN3c104HalfELi2ELi1ELi1EEEJNS0_4SinhIfEEEEEvT_T0_DpT1_,"axG",@progbits,_ZN2at6native12_GLOBAL__N_125multi_tensor_apply_kernelINS1_18TensorListMetadataILi2EEENS1_14UnaryOpFunctorIN3c104HalfELi2ELi1ELi1EEEJNS0_4SinhIfEEEEEvT_T0_DpT1_,comdat
	.globl	_ZN2at6native12_GLOBAL__N_125multi_tensor_apply_kernelINS1_18TensorListMetadataILi2EEENS1_14UnaryOpFunctorIN3c104HalfELi2ELi1ELi1EEEJNS0_4SinhIfEEEEEvT_T0_DpT1_ ; -- Begin function _ZN2at6native12_GLOBAL__N_125multi_tensor_apply_kernelINS1_18TensorListMetadataILi2EEENS1_14UnaryOpFunctorIN3c104HalfELi2ELi1ELi1EEEJNS0_4SinhIfEEEEEvT_T0_DpT1_
	.p2align	8
	.type	_ZN2at6native12_GLOBAL__N_125multi_tensor_apply_kernelINS1_18TensorListMetadataILi2EEENS1_14UnaryOpFunctorIN3c104HalfELi2ELi1ELi1EEEJNS0_4SinhIfEEEEEvT_T0_DpT1_,@function
_ZN2at6native12_GLOBAL__N_125multi_tensor_apply_kernelINS1_18TensorListMetadataILi2EEENS1_14UnaryOpFunctorIN3c104HalfELi2ELi1ELi1EEEJNS0_4SinhIfEEEEEvT_T0_DpT1_: ; @_ZN2at6native12_GLOBAL__N_125multi_tensor_apply_kernelINS1_18TensorListMetadataILi2EEENS1_14UnaryOpFunctorIN3c104HalfELi2ELi1ELi1EEEJNS0_4SinhIfEEEEEvT_T0_DpT1_
; %bb.0:
	s_bfe_u32 s2, ttmp6, 0x4000c
	s_and_b32 s3, ttmp6, 15
	s_add_co_i32 s2, s2, 1
	s_getreg_b32 s4, hwreg(HW_REG_IB_STS2, 6, 4)
	s_mul_i32 s2, ttmp9, s2
	s_delay_alu instid0(SALU_CYCLE_1)
	s_add_co_i32 s3, s3, s2
	s_cmp_eq_u32 s4, 0
	s_cselect_b32 s2, ttmp9, s3
	s_mov_b32 s3, 0
	s_load_u8 s11, s[0:1], s2 offset:0x600
	s_add_nc_u64 s[4:5], s[0:1], s[2:3]
	s_mul_u64 s[6:7], s[2:3], 3
	s_mov_b32 s15, s3
	s_add_nc_u64 s[4:5], s[4:5], s[6:7]
	s_load_b32 s10, s[4:5], 0x740
	s_wait_kmcnt 0x0
	s_clause 0x2
	s_load_b64 s[6:7], s[0:1], s11 offset:0x0 scale_offset
	s_load_b64 s[8:9], s[0:1], s11 offset:0x200 scale_offset
	;; [unrolled: 1-line block ×3, first 2 shown]
	s_wait_xcnt 0x0
	s_ashr_i32 s11, s10, 31
	s_delay_alu instid0(SALU_CYCLE_1)
	s_lshl_b64 s[4:5], s[10:11], 17
	s_wait_kmcnt 0x0
	s_and_b64 s[18:19], s[8:9], 7
	s_add_nc_u64 s[16:17], s[6:7], s[4:5]
	s_and_b32 s14, s12, 3
	s_and_b32 s2, s16, 7
	s_or_b64 s[14:15], s[18:19], s[14:15]
	s_lshl_b64 s[10:11], s[10:11], 16
	s_or_b64 s[2:3], s[14:15], s[2:3]
	s_sub_nc_u64 s[10:11], s[12:13], s[10:11]
	s_cmp_eq_u64 s[2:3], 0
	s_mov_b32 s2, -1
	s_cbranch_scc0 .LBB121_5
; %bb.1:
	v_min_i64 v[2:3], 0x10000, s[10:11]
	v_dual_mov_b32 v13, 0 :: v_dual_lshlrev_b32 v12, 2, v0
	s_mov_b32 s3, exec_lo
	s_delay_alu instid0(VALU_DEP_1)
	v_cmpx_lt_i64_e64 v[12:13], v[2:3]
	s_cbranch_execz .LBB121_4
; %bb.2:
	s_load_b32 s2, s[0:1], 0xc5c
	v_dual_mov_b32 v1, v13 :: v_dual_lshlrev_b32 v12, 3, v0
	s_mov_b32 s15, -1.0
	v_mov_b32_e32 v5, 0x3f317218
	v_mov_b64_e32 v[10:11], s[14:15]
	s_delay_alu instid0(VALU_DEP_3)
	v_mov_b64_e32 v[14:15], v[0:1]
	v_add_nc_u64_e32 v[12:13], s[4:5], v[12:13]
	v_dual_mov_b32 v7, -1.0 :: v_dual_mov_b32 v9, 1.0
	s_mov_b32 s13, 0
	s_mov_b32 s16, 0x3ab42872
	;; [unrolled: 1-line block ×4, first 2 shown]
	s_wait_kmcnt 0x0
	s_and_b32 s12, s2, 0xffff
	s_delay_alu instid0(SALU_CYCLE_1)
	s_lshl_b32 s14, s12, 3
.LBB121_3:                              ; =>This Inner Loop Header: Depth=1
	v_add_nc_u64_e32 v[16:17], s[6:7], v[12:13]
	v_dual_mov_b32 v21, v5 :: v_dual_mov_b32 v23, v5
	v_add_nc_u64_e32 v[14:15], s[12:13], v[14:15]
	global_load_b64 v[16:17], v[16:17], off
	v_mov_b32_e32 v25, v5
	v_lshlrev_b64_e32 v[18:19], 2, v[14:15]
	s_wait_loadcnt 0x0
	v_cvt_f32_f16_e32 v38, v17
	v_cvt_f32_f16_e32 v1, v16
	v_dual_lshrrev_b32 v6, 16, v16 :: v_dual_lshrrev_b32 v8, 16, v17
	v_lshlrev_b32_e32 v39, 16, v16
	s_delay_alu instid0(VALU_DEP_4) | instskip(NEXT) | instid1(VALU_DEP_4)
	v_add_f32_e64 v33, 0xbf317218, |v38|
	v_add_f32_e64 v32, 0xbf317218, |v1|
	s_delay_alu instid0(VALU_DEP_4) | instskip(SKIP_1) | instid1(VALU_DEP_4)
	v_cvt_f32_f16_e32 v41, v6
	v_dual_lshlrev_b32 v40, 16, v17 :: v_dual_lshlrev_b32 v43, 16, v6
	v_sub_f32_e64 v27, v33, |v38|
	v_cvt_f32_f16_e32 v42, v8
	v_and_b32_e32 v22, 0x7fffffff, v38
	v_lshlrev_b32_e32 v44, 16, v8
	s_wait_xcnt 0x0
	v_sub_f32_e64 v17, v32, |v1|
	v_add_f32_e64 v6, 0xbf317218, |v41|
	v_sub_f32_e32 v26, v27, v33
	v_and_b32_e32 v4, 0x7fffffff, v1
	v_add_f32_e64 v8, 0xbf317218, |v42|
	v_and_b32_e32 v20, 0x7fffffff, v41
	v_sub_f32_e64 v29, v6, |v41|
	v_pk_add_f32 v[22:23], v[22:23], v[26:27]
	v_sub_f32_e32 v16, v17, v32
	v_sub_f32_e64 v31, v8, |v42|
	v_and_b32_e32 v24, 0x7fffffff, v42
	s_delay_alu instid0(VALU_DEP_4) | instskip(NEXT) | instid1(VALU_DEP_4)
	v_dual_sub_f32 v28, v29, v6 :: v_dual_sub_f32 v22, v22, v23
	v_pk_add_f32 v[16:17], v[4:5], v[16:17]
	s_delay_alu instid0(VALU_DEP_4)
	v_sub_f32_e32 v30, v31, v8
	v_cmp_nlt_f32_e64 vcc_lo, 0x42b2d4fc, |v1|
	v_cmp_nlt_f32_e64 s2, 0x42b2d4fc, |v41|
	v_cmp_gt_f32_e64 s18, 0x39800000, |v41|
	v_sub_f32_e32 v4, v16, v17
	v_pk_add_f32 v[16:17], v[20:21], v[28:29]
	v_pk_add_f32 v[20:21], v[24:25], v[30:31]
	s_delay_alu instid0(VALU_DEP_2) | instskip(NEXT) | instid1(VALU_DEP_4)
	v_sub_f32_e32 v16, v16, v17
	v_dual_add_f32 v4, 0x3102e308, v4 :: v_dual_add_f32 v17, 0x3102e308, v22
	s_delay_alu instid0(VALU_DEP_1) | instskip(NEXT) | instid1(VALU_DEP_4)
	v_dual_add_f32 v22, v32, v4 :: v_dual_add_f32 v24, v33, v17
	v_sub_f32_e32 v20, v20, v21
	s_delay_alu instid0(VALU_DEP_2) | instskip(SKIP_1) | instid1(VALU_DEP_4)
	v_dual_add_f32 v16, 0x3102e308, v16 :: v_dual_sub_f32 v21, v32, v22
	v_mul_f32_e32 v23, 0x3fb8aa3b, v22
	v_dual_sub_f32 v25, v33, v24 :: v_dual_mul_f32 v26, 0x3fb8aa3b, v24
	s_delay_alu instid0(VALU_DEP_4) | instskip(NEXT) | instid1(VALU_DEP_4)
	v_add_f32_e32 v20, 0x3102e308, v20
	v_dual_add_f32 v27, v6, v16 :: v_dual_add_f32 v4, v4, v21
	s_delay_alu instid0(VALU_DEP_3) | instskip(SKIP_1) | instid1(VALU_DEP_3)
	v_add_f32_e32 v31, v17, v25
	v_rndne_f32_e32 v21, v23
	v_dual_add_f32 v29, v8, v20 :: v_dual_sub_f32 v6, v6, v27
	v_mul_f32_e32 v23, 0x3fb8aa3b, v27
	v_rndne_f32_e32 v25, v26
	s_delay_alu instid0(VALU_DEP_4) | instskip(NEXT) | instid1(VALU_DEP_4)
	v_mul_f32_e32 v33, 0x35bfbc00, v21
	v_sub_f32_e32 v8, v8, v29
	v_dual_mul_f32 v17, 0x2ea39ef3, v21 :: v_dual_add_f32 v6, v16, v6
	v_rndne_f32_e32 v16, v23
	v_fmac_f32_e32 v22, 0xbf317200, v21
	s_delay_alu instid0(VALU_DEP_4) | instskip(SKIP_4) | instid1(VALU_DEP_4)
	v_add_f32_e32 v8, v20, v8
	v_mul_f32_e32 v26, 0x3fb8aa3b, v29
	v_cvt_i32_f32_e32 v45, v21
	v_fmac_f32_e32 v27, 0xbf317200, v16
	v_dual_mul_f32 v21, 0x2ea39ef3, v25 :: v_dual_add_f32 v30, v4, v22
	v_rndne_f32_e32 v20, v26
	v_fmac_f32_e32 v24, 0xbf317200, v25
	v_dual_mul_f32 v34, 0x35bfbc00, v25 :: v_dual_mul_f32 v35, 0x35bfbc00, v16
	v_cvt_i32_f32_e32 v46, v25
	v_mul_f32_e32 v23, 0x2ea39ef3, v16
	v_cvt_i32_f32_e32 v47, v16
	v_fmac_f32_e32 v29, 0xbf317200, v20
	v_dual_add_f32 v16, v31, v24 :: v_dual_sub_f32 v26, v30, v33
	v_mul_f32_e32 v36, 0x35bfbc00, v20
	v_mul_f32_e32 v25, 0x2ea39ef3, v20
	v_cvt_i32_f32_e32 v48, v20
	v_sub_f32_e32 v20, v22, v30
	v_dual_add_f32 v22, v6, v27 :: v_dual_sub_f32 v24, v24, v16
	v_sub_f32_e32 v28, v16, v34
	v_add_f32_e32 v37, v8, v29
	s_delay_alu instid0(VALU_DEP_4) | instskip(NEXT) | instid1(VALU_DEP_4)
	v_dual_add_f32 v4, v4, v20 :: v_dual_sub_f32 v20, v30, v26
	v_dual_sub_f32 v30, v22, v35 :: v_dual_sub_f32 v27, v27, v22
	v_add_f32_e32 v24, v31, v24
	s_delay_alu instid0(VALU_DEP_4) | instskip(NEXT) | instid1(VALU_DEP_3)
	v_dual_sub_f32 v16, v16, v28 :: v_dual_sub_f32 v29, v29, v37
	v_dual_sub_f32 v32, v37, v36 :: v_dual_sub_f32 v22, v22, v30
	s_delay_alu instid0(VALU_DEP_4) | instskip(NEXT) | instid1(VALU_DEP_2)
	v_dual_sub_f32 v20, v20, v33 :: v_dual_add_f32 v6, v6, v27
	v_dual_sub_f32 v16, v16, v34 :: v_dual_sub_f32 v27, v37, v32
	s_delay_alu instid0(VALU_DEP_4) | instskip(NEXT) | instid1(VALU_DEP_3)
	v_add_f32_e32 v8, v8, v29
	v_dual_add_f32 v4, v4, v20 :: v_dual_sub_f32 v20, v22, v35
	s_delay_alu instid0(VALU_DEP_3) | instskip(NEXT) | instid1(VALU_DEP_4)
	v_add_f32_e32 v49, v24, v16
	v_sub_f32_e32 v16, v27, v36
	s_delay_alu instid0(VALU_DEP_3) | instskip(NEXT) | instid1(VALU_DEP_4)
	v_add_f32_e32 v6, v6, v20
	v_add_f32_e32 v27, v26, v4
	s_delay_alu instid0(VALU_DEP_2) | instskip(NEXT) | instid1(VALU_DEP_2)
	v_dual_add_f32 v8, v8, v16 :: v_dual_add_f32 v31, v30, v6
	v_dual_mov_b32 v16, v27 :: v_dual_add_f32 v29, v28, v49
	s_delay_alu instid0(VALU_DEP_2) | instskip(NEXT) | instid1(VALU_DEP_2)
	v_dual_add_f32 v33, v32, v8 :: v_dual_mov_b32 v22, v31
	v_mov_b32_e32 v20, v29
	s_delay_alu instid0(VALU_DEP_3) | instskip(NEXT) | instid1(VALU_DEP_3)
	v_pk_add_f32 v[34:35], v[26:27], v[16:17] neg_lo:[0,1] neg_hi:[0,1]
	v_mov_b32_e32 v24, v33
	s_delay_alu instid0(VALU_DEP_3) | instskip(NEXT) | instid1(VALU_DEP_3)
	v_pk_add_f32 v[36:37], v[28:29], v[20:21] neg_lo:[0,1] neg_hi:[0,1]
	v_dual_sub_f32 v16, v27, v35 :: v_dual_add_f32 v4, v4, v34
	v_pk_add_f32 v[26:27], v[30:31], v[22:23] neg_lo:[0,1] neg_hi:[0,1]
	s_delay_alu instid0(VALU_DEP_3) | instskip(SKIP_1) | instid1(VALU_DEP_4)
	v_sub_f32_e32 v20, v29, v37
	v_pk_add_f32 v[28:29], v[32:33], v[24:25] neg_lo:[0,1] neg_hi:[0,1]
	v_dual_add_f32 v22, v49, v36 :: v_dual_sub_f32 v16, v16, v17
	s_delay_alu instid0(VALU_DEP_4) | instskip(NEXT) | instid1(VALU_DEP_4)
	v_dual_sub_f32 v17, v31, v27 :: v_dual_add_f32 v6, v6, v26
	v_sub_f32_e32 v20, v20, v21
	s_delay_alu instid0(VALU_DEP_4) | instskip(NEXT) | instid1(VALU_DEP_3)
	v_dual_sub_f32 v21, v33, v29 :: v_dual_add_f32 v8, v8, v28
	v_dual_add_f32 v4, v4, v16 :: v_dual_sub_f32 v16, v17, v23
	s_delay_alu instid0(VALU_DEP_2) | instskip(NEXT) | instid1(VALU_DEP_1)
	v_dual_add_f32 v17, v22, v20 :: v_dual_sub_f32 v20, v21, v25
	v_add_f32_e32 v8, v8, v20
	s_delay_alu instid0(VALU_DEP_2) | instskip(NEXT) | instid1(VALU_DEP_1)
	v_dual_add_f32 v21, v35, v4 :: v_dual_add_f32 v26, v37, v17
	v_dual_add_f32 v6, v6, v16 :: v_dual_sub_f32 v20, v35, v21
	s_delay_alu instid0(VALU_DEP_2) | instskip(NEXT) | instid1(VALU_DEP_2)
	v_dual_fmaak_f32 v16, s16, v21, 0x3c091de6 :: v_dual_fmaak_f32 v23, s16, v26, 0x3c091de6
	v_dual_mul_f32 v22, v21, v21 :: v_dual_add_f32 v28, v27, v6
	v_dual_sub_f32 v24, v37, v26 :: v_dual_mul_f32 v25, v26, v26
	s_delay_alu instid0(VALU_DEP_3) | instskip(NEXT) | instid1(VALU_DEP_4)
	v_dual_add_f32 v34, v29, v8 :: v_dual_fmaak_f32 v23, v26, v23, 0x3d2aadcc
	v_fmaak_f32 v16, v21, v16, 0x3d2aadcc
	s_delay_alu instid0(VALU_DEP_4) | instskip(SKIP_3) | instid1(VALU_DEP_4)
	v_dual_add_f32 v4, v4, v20 :: v_dual_fma_f32 v20, v21, v21, -v22
	v_dual_fmaak_f32 v30, s16, v28, 0x3c091de6 :: v_dual_sub_f32 v27, v27, v28
	v_mul_f32_e32 v31, v28, v28
	v_dual_add_f32 v17, v17, v24 :: v_dual_fmaak_f32 v32, s16, v34, 0x3c091de6
	v_dual_sub_f32 v29, v29, v34 :: v_dual_add_f32 v35, v4, v4
	v_dual_mul_f32 v33, v34, v34 :: v_dual_fmaak_f32 v16, v21, v16, 0x3e2aaa47
	v_add_f32_e32 v27, v6, v27
	v_fma_f32 v24, v26, v26, -v25
	v_fmaak_f32 v30, v28, v30, 0x3d2aadcc
	v_dual_fma_f32 v6, v28, v28, -v31 :: v_dual_add_f32 v36, v17, v17
	v_dual_fmaak_f32 v23, v26, v23, 0x3e2aaa47 :: v_dual_add_f32 v8, v8, v29
	v_dual_fma_f32 v29, v34, v34, -v33 :: v_dual_fmac_f32 v20, v21, v35
	v_dual_add_f32 v35, v27, v27 :: v_dual_fmaak_f32 v16, v21, v16, 0x3efffffc
	s_delay_alu instid0(VALU_DEP_3) | instskip(NEXT) | instid1(VALU_DEP_3)
	v_fmaak_f32 v23, v26, v23, 0x3efffffc
	v_dual_fmaak_f32 v30, v28, v30, 0x3e2aaa47 :: v_dual_add_f32 v37, v22, v20
	s_delay_alu instid0(VALU_DEP_3) | instskip(SKIP_1) | instid1(VALU_DEP_3)
	v_dual_fmac_f32 v24, v26, v36 :: v_dual_fmac_f32 v6, v28, v35
	v_fmaak_f32 v32, v34, v32, 0x3d2aadcc
	v_dual_add_f32 v36, v8, v8 :: v_dual_sub_f32 v22, v37, v22
	s_delay_alu instid0(VALU_DEP_3) | instskip(NEXT) | instid1(VALU_DEP_3)
	v_dual_fmaak_f32 v30, v28, v30, 0x3efffffc :: v_dual_add_f32 v35, v25, v24
	v_dual_add_f32 v49, v31, v6 :: v_dual_fmaak_f32 v32, v34, v32, 0x3e2aaa47
	s_delay_alu instid0(VALU_DEP_3) | instskip(NEXT) | instid1(VALU_DEP_3)
	v_dual_fmac_f32 v29, v34, v36 :: v_dual_mul_f32 v36, v16, v37
	v_sub_f32_e32 v25, v35, v25
	v_dual_mul_f32 v50, v23, v35 :: v_dual_sub_f32 v20, v20, v22
	s_delay_alu instid0(VALU_DEP_3) | instskip(NEXT) | instid1(VALU_DEP_4)
	v_dual_fmaak_f32 v32, v34, v32, 0x3efffffc :: v_dual_add_f32 v51, v33, v29
	v_dual_fma_f32 v22, v37, v16, -v36 :: v_dual_mul_f32 v37, v30, v49
	s_delay_alu instid0(VALU_DEP_4) | instskip(NEXT) | instid1(VALU_DEP_4)
	v_dual_sub_f32 v31, v49, v31 :: v_dual_sub_f32 v24, v24, v25
	v_fma_f32 v25, v35, v23, -v50
	s_delay_alu instid0(VALU_DEP_4) | instskip(NEXT) | instid1(VALU_DEP_3)
	v_dual_sub_f32 v33, v51, v33 :: v_dual_mul_f32 v35, v32, v51
	v_dual_fmac_f32 v22, v20, v16 :: v_dual_sub_f32 v6, v6, v31
	v_fma_f32 v16, v49, v30, -v37
	s_delay_alu instid0(VALU_DEP_3) | instskip(NEXT) | instid1(VALU_DEP_3)
	v_dual_fmac_f32 v25, v24, v23 :: v_dual_sub_f32 v20, v29, v33
	v_dual_fma_f32 v23, v51, v32, -v35 :: v_dual_add_f32 v24, v36, v22
	s_delay_alu instid0(VALU_DEP_3) | instskip(NEXT) | instid1(VALU_DEP_2)
	v_fmac_f32_e32 v16, v6, v30
	v_dual_add_f32 v29, v50, v25 :: v_dual_fmac_f32 v23, v20, v32
	s_delay_alu instid0(VALU_DEP_3) | instskip(NEXT) | instid1(VALU_DEP_2)
	v_add_f32_e32 v6, v21, v24
	v_dual_sub_f32 v20, v24, v36 :: v_dual_sub_f32 v31, v29, v50
	s_delay_alu instid0(VALU_DEP_3) | instskip(NEXT) | instid1(VALU_DEP_3)
	v_dual_add_f32 v30, v37, v16 :: v_dual_add_f32 v36, v35, v23
	v_sub_f32_e32 v21, v6, v21
	s_delay_alu instid0(VALU_DEP_3) | instskip(NEXT) | instid1(VALU_DEP_3)
	v_dual_sub_f32 v20, v22, v20 :: v_dual_sub_f32 v25, v25, v31
	v_dual_sub_f32 v31, v36, v35 :: v_dual_sub_f32 v22, v30, v37
	s_delay_alu instid0(VALU_DEP_2) | instskip(NEXT) | instid1(VALU_DEP_4)
	v_add_f32_e32 v4, v4, v20
	v_sub_f32_e32 v21, v24, v21
	s_delay_alu instid0(VALU_DEP_3) | instskip(NEXT) | instid1(VALU_DEP_4)
	v_dual_add_f32 v32, v17, v25 :: v_dual_sub_f32 v17, v23, v31
	v_sub_f32_e32 v20, v16, v22
	s_delay_alu instid0(VALU_DEP_3) | instskip(NEXT) | instid1(VALU_DEP_2)
	v_add_f32_e32 v16, v4, v21
	v_dual_add_f32 v35, v8, v17 :: v_dual_add_f32 v4, v27, v20
	s_delay_alu instid0(VALU_DEP_2) | instskip(NEXT) | instid1(VALU_DEP_1)
	v_add_f32_e32 v20, v6, v16
	v_dual_add_f32 v21, 1.0, v20 :: v_dual_mov_b32 v17, v20
	s_delay_alu instid0(VALU_DEP_1) | instskip(SKIP_1) | instid1(VALU_DEP_2)
	v_pk_add_f32 v[24:25], v[20:21], v[10:11]
	v_pk_add_f32 v[22:23], v[20:21], v[6:7] neg_lo:[0,1] neg_hi:[0,1]
	v_dual_add_f32 v6, v28, v30 :: v_dual_mov_b32 v23, v25
	s_delay_alu instid0(VALU_DEP_1) | instskip(NEXT) | instid1(VALU_DEP_1)
	v_pk_add_f32 v[16:17], v[16:17], v[22:23] neg_lo:[0,1] neg_hi:[0,1]
	v_dual_sub_f32 v8, v6, v28 :: v_dual_add_f32 v27, v16, v17
	s_delay_alu instid0(VALU_DEP_1) | instskip(NEXT) | instid1(VALU_DEP_1)
	v_sub_f32_e32 v8, v30, v8
	v_dual_add_f32 v16, v4, v8 :: v_dual_add_f32 v4, v21, v27
	s_delay_alu instid0(VALU_DEP_1) | instskip(NEXT) | instid1(VALU_DEP_2)
	v_add_f32_e32 v22, v6, v16
	v_ldexp_f32 v49, v4, v45
	s_delay_alu instid0(VALU_DEP_2) | instskip(NEXT) | instid1(VALU_DEP_1)
	v_dual_sub_f32 v4, v4, v21 :: v_dual_add_f32 v23, 1.0, v22
	v_dual_mov_b32 v17, v22 :: v_dual_sub_f32 v4, v27, v4
	s_delay_alu instid0(VALU_DEP_3) | instskip(NEXT) | instid1(VALU_DEP_2)
	v_rcp_f32_e32 v50, v49
	v_pk_add_f32 v[20:21], v[22:23], v[10:11]
	v_pk_add_f32 v[24:25], v[22:23], v[6:7] neg_lo:[0,1] neg_hi:[0,1]
	v_add_f32_e32 v6, v26, v29
	v_ldexp_f32 v20, v4, v45
	s_delay_alu instid0(VALU_DEP_4) | instskip(NEXT) | instid1(VALU_DEP_1)
	v_mov_b32_e32 v25, v21
	v_pk_add_f32 v[16:17], v[16:17], v[24:25] neg_lo:[0,1] neg_hi:[0,1]
	s_delay_alu instid0(VALU_DEP_1) | instskip(NEXT) | instid1(VALU_DEP_1)
	v_dual_sub_f32 v8, v6, v26 :: v_dual_add_f32 v21, v16, v17
	v_sub_f32_e32 v4, v29, v8
	s_delay_alu instid0(VALU_DEP_1) | instskip(NEXT) | instid1(VALU_DEP_1)
	v_dual_mul_f32 v22, v49, v50 :: v_dual_add_f32 v16, v32, v4
	v_fma_f32 v24, v50, v49, -v22
	s_delay_alu instid0(VALU_DEP_2) | instskip(NEXT) | instid1(VALU_DEP_1)
	v_dual_add_f32 v4, v23, v21 :: v_dual_add_f32 v26, v6, v16
	v_dual_fmac_f32 v24, v50, v20 :: v_dual_sub_f32 v28, v4, v23
	v_ldexp_f32 v4, v4, v47
	s_delay_alu instid0(VALU_DEP_2) | instskip(SKIP_1) | instid1(VALU_DEP_3)
	v_dual_add_f32 v27, 1.0, v26 :: v_dual_add_f32 v8, v22, v24
	v_mov_b32_e32 v17, v26
	v_rcp_f32_e32 v45, v4
	v_sub_f32_e32 v21, v21, v28
	s_delay_alu instid0(VALU_DEP_3) | instskip(SKIP_4) | instid1(VALU_DEP_4)
	v_pk_add_f32 v[28:29], v[26:27], v[6:7] neg_lo:[0,1] neg_hi:[0,1]
	v_dual_sub_f32 v23, 1.0, v8 :: v_dual_mov_b32 v25, v8
	v_pk_add_f32 v[30:31], v[26:27], v[10:11]
	v_add_f32_e32 v6, v34, v36
	v_ldexp_f32 v21, v21, v47
	v_pk_add_f32 v[32:33], v[8:9], v[22:23] neg_lo:[0,1] neg_hi:[0,1]
	s_delay_alu instid0(VALU_DEP_4) | instskip(NEXT) | instid1(VALU_DEP_4)
	v_dual_mul_f32 v22, v4, v45 :: v_dual_mov_b32 v29, v31
	v_sub_f32_e32 v8, v6, v34
	s_delay_alu instid0(VALU_DEP_3) | instskip(NEXT) | instid1(VALU_DEP_3)
	v_pk_add_f32 v[24:25], v[32:33], v[24:25] neg_lo:[0,1] neg_hi:[0,1]
	v_pk_add_f32 v[16:17], v[16:17], v[28:29] neg_lo:[0,1] neg_hi:[0,1]
	s_delay_alu instid0(VALU_DEP_2) | instskip(NEXT) | instid1(VALU_DEP_1)
	v_dual_add_f32 v25, v24, v25 :: v_dual_fma_f32 v24, v45, v4, -v22
	v_dual_sub_f32 v8, v36, v8 :: v_dual_add_f32 v29, v23, v25
	s_delay_alu instid0(VALU_DEP_1) | instskip(NEXT) | instid1(VALU_DEP_3)
	v_dual_add_f32 v28, v16, v17 :: v_dual_add_f32 v16, v35, v8
	v_fmac_f32_e32 v24, v45, v21
	s_delay_alu instid0(VALU_DEP_3) | instskip(NEXT) | instid1(VALU_DEP_3)
	v_sub_f32_e32 v23, v23, v29
	v_add_f32_e32 v17, v27, v28
	s_delay_alu instid0(VALU_DEP_4) | instskip(SKIP_1) | instid1(VALU_DEP_3)
	v_add_f32_e32 v26, v6, v16
	v_mul_f32_e32 v31, v50, v29
	v_dual_add_f32 v8, v22, v24 :: v_dual_sub_f32 v32, v17, v27
	v_ldexp_f32 v47, v17, v46
	s_delay_alu instid0(VALU_DEP_4) | instskip(NEXT) | instid1(VALU_DEP_4)
	v_dual_add_f32 v27, 1.0, v26 :: v_dual_mov_b32 v17, v26
	v_mul_f32_e32 v30, v49, v31
	s_delay_alu instid0(VALU_DEP_4)
	v_dual_add_f32 v51, v25, v23 :: v_dual_sub_f32 v23, 1.0, v8
	v_dual_add_f32 v52, v50, v31 :: v_dual_mov_b32 v25, v8
	v_rcp_f32_e32 v53, v47
	v_pk_add_f32 v[34:35], v[26:27], v[10:11]
	v_dual_sub_f32 v28, v28, v32 :: v_dual_fma_f32 v34, v31, v49, -v30
	v_pk_add_f32 v[32:33], v[26:27], v[6:7] neg_lo:[0,1] neg_hi:[0,1]
	v_pk_add_f32 v[36:37], v[8:9], v[22:23] neg_lo:[0,1] neg_hi:[0,1]
	s_delay_alu instid0(VALU_DEP_4) | instskip(NEXT) | instid1(VALU_DEP_4)
	v_dual_sub_f32 v6, v52, v50 :: v_dual_mov_b32 v33, v35
	v_fmac_f32_e32 v34, v31, v20
	v_ldexp_f32 v22, v28, v46
	s_delay_alu instid0(VALU_DEP_4) | instskip(NEXT) | instid1(VALU_DEP_4)
	v_pk_add_f32 v[24:25], v[36:37], v[24:25] neg_lo:[0,1] neg_hi:[0,1]
	v_sub_f32_e32 v6, v31, v6
	s_delay_alu instid0(VALU_DEP_4) | instskip(SKIP_1) | instid1(VALU_DEP_2)
	v_dual_mul_f32 v26, v47, v53 :: v_dual_add_f32 v28, v30, v34
	v_pk_add_f32 v[16:17], v[16:17], v[32:33] neg_lo:[0,1] neg_hi:[0,1]
	v_dual_add_f32 v25, v24, v25 :: v_dual_fma_f32 v24, v53, v47, -v26
	s_delay_alu instid0(VALU_DEP_2) | instskip(NEXT) | instid1(VALU_DEP_2)
	v_dual_sub_f32 v31, v29, v28 :: v_dual_add_f32 v16, v16, v17
	v_dual_add_f32 v17, v23, v25 :: v_dual_mov_b32 v35, v28
	s_delay_alu instid0(VALU_DEP_3) | instskip(NEXT) | instid1(VALU_DEP_3)
	v_fmac_f32_e32 v24, v53, v22
	v_pk_add_f32 v[28:29], v[28:29], v[30:31] neg_lo:[0,1] neg_hi:[0,1]
	s_delay_alu instid0(VALU_DEP_3) | instskip(NEXT) | instid1(VALU_DEP_3)
	v_dual_add_f32 v32, v27, v16 :: v_dual_mul_f32 v33, v45, v17
	v_dual_sub_f32 v23, v23, v17 :: v_dual_add_f32 v8, v26, v24
	s_delay_alu instid0(VALU_DEP_3) | instskip(NEXT) | instid1(VALU_DEP_3)
	v_pk_add_f32 v[28:29], v[28:29], v[34:35] neg_lo:[0,1] neg_hi:[0,1]
	v_sub_f32_e32 v36, v32, v27
	v_ldexp_f32 v37, v32, v48
	s_delay_alu instid0(VALU_DEP_4) | instskip(SKIP_1) | instid1(VALU_DEP_4)
	v_dual_mul_f32 v30, v4, v33 :: v_dual_add_f32 v46, v25, v23
	v_dual_add_f32 v54, v45, v33 :: v_dual_sub_f32 v27, 1.0, v8
	v_sub_f32_e32 v16, v16, v36
	s_delay_alu instid0(VALU_DEP_4)
	v_rcp_f32_e32 v36, v37
	v_dual_mov_b32 v25, v8 :: v_dual_add_f32 v29, v51, v29
	v_fma_f32 v32, v33, v4, -v30
	v_pk_add_f32 v[34:35], v[8:9], v[26:27] neg_lo:[0,1] neg_hi:[0,1]
	v_sub_f32_e32 v8, v54, v45
	v_ldexp_f32 v23, v16, v48
	v_add_f32_e32 v16, v28, v29
	v_fmac_f32_e32 v32, v33, v21
	v_pk_add_f32 v[24:25], v[34:35], v[24:25] neg_lo:[0,1] neg_hi:[0,1]
	v_mul_f32_e32 v26, v37, v36
	v_sub_f32_e32 v48, v33, v8
	s_delay_alu instid0(VALU_DEP_3) | instskip(NEXT) | instid1(VALU_DEP_3)
	v_dual_add_f32 v8, v31, v16 :: v_dual_add_f32 v25, v24, v25
	v_dual_add_f32 v16, v30, v32 :: v_dual_fma_f32 v24, v36, v37, -v26
	s_delay_alu instid0(VALU_DEP_2) | instskip(NEXT) | instid1(VALU_DEP_2)
	v_dual_add_f32 v29, v27, v25 :: v_dual_mul_f32 v8, v50, v8
	v_dual_mov_b32 v33, v16 :: v_dual_sub_f32 v31, v17, v16
	s_delay_alu instid0(VALU_DEP_2) | instskip(NEXT) | instid1(VALU_DEP_3)
	v_dual_fmac_f32 v24, v36, v23 :: v_dual_sub_f32 v27, v27, v29
	v_dual_add_f32 v6, v6, v8 :: v_dual_mul_f32 v28, v53, v29
	s_delay_alu instid0(VALU_DEP_3) | instskip(NEXT) | instid1(VALU_DEP_3)
	v_pk_add_f32 v[16:17], v[16:17], v[30:31] neg_lo:[0,1] neg_hi:[0,1]
	v_dual_add_f32 v8, v26, v24 :: v_dual_add_f32 v50, v25, v27
	s_delay_alu instid0(VALU_DEP_3) | instskip(NEXT) | instid1(VALU_DEP_3)
	v_dual_add_f32 v35, v52, v6 :: v_dual_mul_f32 v30, v47, v28
	v_pk_add_f32 v[16:17], v[16:17], v[32:33] neg_lo:[0,1] neg_hi:[0,1]
	s_delay_alu instid0(VALU_DEP_3) | instskip(SKIP_1) | instid1(VALU_DEP_3)
	v_sub_f32_e32 v27, 1.0, v8
	v_dual_add_f32 v51, v53, v28 :: v_dual_mov_b32 v25, v8
	v_dual_sub_f32 v52, v35, v52 :: v_dual_add_f32 v17, v46, v17
	s_delay_alu instid0(VALU_DEP_3) | instskip(SKIP_2) | instid1(VALU_DEP_4)
	v_pk_add_f32 v[32:33], v[8:9], v[26:27] neg_lo:[0,1] neg_hi:[0,1]
	v_fma_f32 v34, v28, v47, -v30
	v_ldexp_f32 v26, v35, -2
	v_dual_sub_f32 v6, v6, v52 :: v_dual_sub_f32 v8, v51, v53
	s_delay_alu instid0(VALU_DEP_4) | instskip(NEXT) | instid1(VALU_DEP_3)
	v_pk_add_f32 v[24:25], v[32:33], v[24:25] neg_lo:[0,1] neg_hi:[0,1]
	v_dual_add_f32 v17, v16, v17 :: v_dual_sub_f32 v16, v49, v26
	s_delay_alu instid0(VALU_DEP_3) | instskip(NEXT) | instid1(VALU_DEP_3)
	v_dual_fmac_f32 v34, v28, v22 :: v_dual_sub_f32 v8, v28, v8
	v_add_f32_e32 v24, v24, v25
	s_delay_alu instid0(VALU_DEP_3) | instskip(SKIP_1) | instid1(VALU_DEP_4)
	v_add_f32_e32 v17, v31, v17
	v_ldexp_f32 v6, v6, -2
	v_dual_add_f32 v28, v30, v34 :: v_dual_sub_f32 v32, v49, v16
	s_delay_alu instid0(VALU_DEP_3) | instskip(NEXT) | instid1(VALU_DEP_2)
	v_dual_add_f32 v25, v27, v24 :: v_dual_mul_f32 v17, v45, v17
	v_dual_mov_b32 v35, v28 :: v_dual_sub_f32 v31, v29, v28
	s_delay_alu instid0(VALU_DEP_3) | instskip(NEXT) | instid1(VALU_DEP_3)
	v_sub_f32_e32 v26, v32, v26
	v_dual_mul_f32 v45, v36, v25 :: v_dual_sub_f32 v27, v27, v25
	s_delay_alu instid0(VALU_DEP_4) | instskip(NEXT) | instid1(VALU_DEP_4)
	v_add_f32_e32 v17, v48, v17
	v_pk_add_f32 v[28:29], v[28:29], v[30:31] neg_lo:[0,1] neg_hi:[0,1]
	s_delay_alu instid0(VALU_DEP_3) | instskip(SKIP_1) | instid1(VALU_DEP_3)
	v_dual_mul_f32 v32, v37, v45 :: v_dual_add_f32 v27, v24, v27
	v_add_f32_e32 v46, v36, v45
	v_pk_add_f32 v[28:29], v[28:29], v[34:35] neg_lo:[0,1] neg_hi:[0,1]
	s_delay_alu instid0(VALU_DEP_2) | instskip(NEXT) | instid1(VALU_DEP_1)
	v_dual_fma_f32 v34, v45, v37, -v32 :: v_dual_sub_f32 v48, v46, v36
	v_dual_add_f32 v30, v54, v17 :: v_dual_fmac_f32 v34, v45, v23
	s_delay_alu instid0(VALU_DEP_3) | instskip(NEXT) | instid1(VALU_DEP_2)
	v_add_f32_e32 v29, v50, v29
	v_sub_f32_e32 v33, v30, v54
	v_ldexp_f32 v30, v30, -2
	s_delay_alu instid0(VALU_DEP_4) | instskip(NEXT) | instid1(VALU_DEP_4)
	v_add_f32_e32 v24, v32, v34
	v_dual_add_f32 v28, v28, v29 :: v_dual_sub_f32 v29, v45, v48
	s_delay_alu instid0(VALU_DEP_3) | instskip(NEXT) | instid1(VALU_DEP_3)
	v_dual_sub_f32 v49, v17, v33 :: v_dual_sub_f32 v17, v4, v30
	v_dual_sub_f32 v33, v25, v24 :: v_dual_mov_b32 v35, v24
	s_delay_alu instid0(VALU_DEP_3) | instskip(NEXT) | instid1(VALU_DEP_2)
	v_add_f32_e32 v28, v31, v28
	v_pk_add_f32 v[24:25], v[24:25], v[32:33] neg_lo:[0,1] neg_hi:[0,1]
	s_delay_alu instid0(VALU_DEP_4) | instskip(NEXT) | instid1(VALU_DEP_3)
	v_ldexp_f32 v32, v49, -2
	v_mul_f32_e32 v28, v53, v28
	s_delay_alu instid0(VALU_DEP_3) | instskip(NEXT) | instid1(VALU_DEP_1)
	v_pk_add_f32 v[24:25], v[24:25], v[34:35] neg_lo:[0,1] neg_hi:[0,1]
	v_add_f32_e32 v25, v27, v25
	s_delay_alu instid0(VALU_DEP_1) | instskip(SKIP_1) | instid1(VALU_DEP_1)
	v_add_f32_e32 v24, v24, v25
	v_sub_f32_e32 v4, v4, v17
	v_sub_f32_e32 v27, v4, v30
	v_add_f32_e32 v4, v8, v28
	s_delay_alu instid0(VALU_DEP_2) | instskip(NEXT) | instid1(VALU_DEP_1)
	v_pk_add_f32 v[20:21], v[20:21], v[26:27]
	v_sub_f32_e32 v21, v21, v32
	v_add_f32_e32 v8, v33, v24
	s_delay_alu instid0(VALU_DEP_1) | instskip(NEXT) | instid1(VALU_DEP_1)
	v_mul_f32_e32 v8, v36, v8
	v_dual_sub_f32 v20, v20, v6 :: v_dual_add_f32 v6, v29, v8
	s_delay_alu instid0(VALU_DEP_1) | instskip(NEXT) | instid1(VALU_DEP_2)
	v_pk_add_f32 v[16:17], v[16:17], v[20:21]
	v_dual_add_f32 v25, v46, v6 :: v_dual_add_f32 v24, v51, v4
	s_delay_alu instid0(VALU_DEP_1) | instskip(NEXT) | instid1(VALU_DEP_2)
	v_ldexp_f32 v26, v25, -2
	v_sub_f32_e32 v8, v24, v51
	v_ldexp_f32 v24, v24, -2
	v_sub_f32_e32 v25, v25, v46
	s_delay_alu instid0(VALU_DEP_2) | instskip(NEXT) | instid1(VALU_DEP_2)
	v_dual_sub_f32 v21, v37, v26 :: v_dual_sub_f32 v20, v47, v24
	v_dual_sub_f32 v4, v4, v8 :: v_dual_sub_f32 v6, v6, v25
	s_delay_alu instid0(VALU_DEP_2) | instskip(NEXT) | instid1(VALU_DEP_2)
	v_dual_sub_f32 v27, v37, v21 :: v_dual_sub_f32 v8, v47, v20
	v_ldexp_f32 v4, v4, -2
	s_delay_alu instid0(VALU_DEP_3) | instskip(NEXT) | instid1(VALU_DEP_3)
	v_ldexp_f32 v6, v6, -2
	v_dual_sub_f32 v25, v27, v26 :: v_dual_sub_f32 v24, v8, v24
	v_cndmask_b32_e64 v8, 0x7f800000, v17, s2
	v_cmp_gt_f32_e64 s2, 0x39800000, |v1|
	s_delay_alu instid0(VALU_DEP_3) | instskip(NEXT) | instid1(VALU_DEP_3)
	v_pk_add_f32 v[22:23], v[22:23], v[24:25]
	v_cndmask_b32_e64 v8, v8, |v41|, s18
	v_cmp_gt_f32_e64 s18, 0x39800000, |v42|
	s_delay_alu instid0(VALU_DEP_3) | instskip(SKIP_3) | instid1(VALU_DEP_4)
	v_dual_sub_f32 v23, v23, v6 :: v_dual_sub_f32 v22, v22, v4
	v_cndmask_b32_e32 v4, 0x7f800000, v16, vcc_lo
	v_cmp_nlt_f32_e64 vcc_lo, 0x42b2d4fc, |v38|
	v_bfi_b32 v8, 0x7fffffff, v8, v43
	v_pk_add_f32 v[16:17], v[20:21], v[22:23]
	s_delay_alu instid0(VALU_DEP_4) | instskip(SKIP_1) | instid1(VALU_DEP_3)
	v_cndmask_b32_e64 v1, v4, |v1|, s2
	v_cmp_nlt_f32_e64 s2, 0x42b2d4fc, |v42|
	v_cndmask_b32_e32 v6, 0x7f800000, v16, vcc_lo
	s_delay_alu instid0(VALU_DEP_3) | instskip(NEXT) | instid1(VALU_DEP_3)
	v_bfi_b32 v1, 0x7fffffff, v1, v39
	v_cndmask_b32_e64 v4, 0x7f800000, v17, s2
	v_cmp_gt_f32_e64 s2, 0x39800000, |v38|
	v_cmp_ge_i64_e32 vcc_lo, v[18:19], v[2:3]
	v_add_nc_u64_e32 v[16:17], s[8:9], v[12:13]
	v_add_nc_u64_e32 v[12:13], s[14:15], v[12:13]
	v_cndmask_b32_e64 v4, v4, |v42|, s18
	v_cndmask_b32_e64 v6, v6, |v38|, s2
	v_cvt_pk_f16_f32 v18, v1, v8
	s_or_b32 s17, vcc_lo, s17
	s_delay_alu instid0(VALU_DEP_3) | instskip(NEXT) | instid1(VALU_DEP_3)
	v_bfi_b32 v4, 0x7fffffff, v4, v44
	v_bfi_b32 v6, 0x7fffffff, v6, v40
	s_delay_alu instid0(VALU_DEP_1)
	v_cvt_pk_f16_f32 v19, v6, v4
	global_store_b64 v[16:17], v[18:19], off
	s_wait_xcnt 0x0
	s_and_not1_b32 exec_lo, exec_lo, s17
	s_cbranch_execnz .LBB121_3
.LBB121_4:
	s_or_b32 exec_lo, exec_lo, s3
	s_mov_b32 s2, 0
.LBB121_5:
	s_delay_alu instid0(SALU_CYCLE_1)
	s_and_not1_b32 vcc_lo, exec_lo, s2
	s_cbranch_vccnz .LBB121_25
; %bb.6:
	v_cmp_lt_i64_e64 s2, s[10:11], 1
	s_and_b32 vcc_lo, exec_lo, s2
	s_cbranch_vccnz .LBB121_25
; %bb.7:
	s_load_b32 s0, s[0:1], 0xc5c
	v_min_i64 v[2:3], 0x10000, s[10:11]
	v_min_u64 v[4:5], 0x10000, s[10:11]
	v_dual_mov_b32 v1, 0 :: v_dual_lshlrev_b32 v12, 1, v0
	s_wait_xcnt 0x0
	s_mov_b32 s1, 0
	v_dual_mov_b32 v31, 1.0 :: v_dual_mov_b32 v33, -1.0
	s_delay_alu instid0(VALU_DEP_2) | instskip(SKIP_3) | instid1(VALU_DEP_1)
	v_dual_mov_b32 v13, v1 :: v_dual_mov_b32 v27, v1
	s_mov_b32 s11, s1
	s_mov_b32 s3, s1
	;; [unrolled: 1-line block ×3, first 2 shown]
	v_add_nc_u64_e32 v[6:7], s[6:7], v[12:13]
	v_add_nc_u64_e32 v[8:9], s[8:9], v[12:13]
	s_mov_b32 s13, s1
	v_mov_b32_e32 v29, 0x3f317218
	s_wait_kmcnt 0x0
	s_and_b32 s0, s0, 0xffff
	s_delay_alu instid0(SALU_CYCLE_1)
	v_add_nc_u64_e32 v[10:11], s[0:1], v[0:1]
	v_mad_nc_u64_u32 v[22:23], s0, 6, v[12:13]
	s_lshl_b32 s10, s0, 2
	s_lshl_b32 s2, s0, 1
	v_add_nc_u64_e32 v[18:19], s[10:11], v[12:13]
	s_mul_i32 s14, s0, 3
	v_add_nc_u64_e32 v[14:15], s[2:3], v[0:1]
	v_lshlrev_b32_e32 v26, 1, v10
	v_add_nc_u64_e32 v[12:13], s[14:15], v[0:1]
	s_lshl_b32 s12, s0, 3
	s_mov_b32 s3, -1.0
	v_add_nc_u64_e32 v[16:17], s[6:7], v[18:19]
	v_add_nc_u64_e32 v[18:19], s[8:9], v[18:19]
	;; [unrolled: 1-line block ×6, first 2 shown]
	s_mov_b64 s[6:7], 0
	s_mov_b32 s8, 0x3ab42872
	s_branch .LBB121_9
.LBB121_8:                              ;   in Loop: Header=BB121_9 Depth=1
	s_wait_xcnt 0x0
	s_or_b32 exec_lo, exec_lo, s0
	s_add_nc_u64 s[6:7], s[6:7], s[10:11]
	v_add_nc_u64_e32 v[6:7], s[12:13], v[6:7]
	v_cmp_ge_i64_e32 vcc_lo, s[6:7], v[2:3]
	v_add_nc_u64_e32 v[8:9], s[12:13], v[8:9]
	v_add_nc_u64_e32 v[20:21], s[12:13], v[20:21]
	;; [unrolled: 1-line block ×7, first 2 shown]
	s_cbranch_vccnz .LBB121_25
.LBB121_9:                              ; =>This Inner Loop Header: Depth=1
	v_add_nc_u64_e32 v[34:35], s[6:7], v[0:1]
	v_mov_b32_e32 v37, 0
	s_delay_alu instid0(VALU_DEP_2)
	v_cmp_lt_u64_e64 s2, v[34:35], v[4:5]
	s_and_saveexec_b32 s0, s2
	s_cbranch_execz .LBB121_11
; %bb.10:                               ;   in Loop: Header=BB121_9 Depth=1
	v_add_nc_u64_e32 v[34:35], s[4:5], v[6:7]
	global_load_u16 v28, v[34:35], off
	s_wait_loadcnt 0x0
	v_cvt_f32_f16_e32 v37, v28
.LBB121_11:                             ;   in Loop: Header=BB121_9 Depth=1
	s_wait_xcnt 0x0
	s_or_b32 exec_lo, exec_lo, s0
	v_add_nc_u64_e32 v[34:35], s[6:7], v[10:11]
	v_mov_b32_e32 v36, 0
	s_delay_alu instid0(VALU_DEP_2)
	v_cmp_lt_u64_e64 s1, v[34:35], v[4:5]
	v_mov_b32_e32 v35, 0
	s_and_saveexec_b32 s0, s1
	s_cbranch_execz .LBB121_13
; %bb.12:                               ;   in Loop: Header=BB121_9 Depth=1
	v_add_nc_u64_e32 v[38:39], s[4:5], v[24:25]
	global_load_u16 v28, v[38:39], off
	s_wait_loadcnt 0x0
	v_cvt_f32_f16_e32 v36, v28
.LBB121_13:                             ;   in Loop: Header=BB121_9 Depth=1
	s_wait_xcnt 0x0
	s_or_b32 exec_lo, exec_lo, s0
	v_add_nc_u64_e32 v[38:39], s[6:7], v[14:15]
	s_delay_alu instid0(VALU_DEP_1)
	v_cmp_lt_u64_e64 s0, v[38:39], v[4:5]
	s_and_saveexec_b32 s9, s0
	s_cbranch_execz .LBB121_15
; %bb.14:                               ;   in Loop: Header=BB121_9 Depth=1
	v_add_nc_u64_e32 v[34:35], s[4:5], v[16:17]
	global_load_u16 v28, v[34:35], off
	s_wait_loadcnt 0x0
	v_cvt_f32_f16_e32 v35, v28
.LBB121_15:                             ;   in Loop: Header=BB121_9 Depth=1
	s_or_b32 exec_lo, exec_lo, s9
	v_add_nc_u64_e32 v[38:39], s[6:7], v[12:13]
	v_mov_b32_e32 v34, 0
	s_delay_alu instid0(VALU_DEP_2)
	v_cmp_lt_u64_e32 vcc_lo, v[38:39], v[4:5]
	s_and_saveexec_b32 s9, vcc_lo
	s_cbranch_execnz .LBB121_20
; %bb.16:                               ;   in Loop: Header=BB121_9 Depth=1
	s_or_b32 exec_lo, exec_lo, s9
	s_and_saveexec_b32 s9, s2
	s_cbranch_execnz .LBB121_21
.LBB121_17:                             ;   in Loop: Header=BB121_9 Depth=1
	s_or_b32 exec_lo, exec_lo, s9
	s_and_saveexec_b32 s2, s1
	s_cbranch_execnz .LBB121_22
.LBB121_18:                             ;   in Loop: Header=BB121_9 Depth=1
	s_or_b32 exec_lo, exec_lo, s2
	s_and_saveexec_b32 s1, s0
	s_cbranch_execnz .LBB121_23
.LBB121_19:                             ;   in Loop: Header=BB121_9 Depth=1
	s_or_b32 exec_lo, exec_lo, s1
	s_and_saveexec_b32 s0, vcc_lo
	s_cbranch_execz .LBB121_8
	s_branch .LBB121_24
.LBB121_20:                             ;   in Loop: Header=BB121_9 Depth=1
	v_add_nc_u64_e32 v[38:39], s[4:5], v[20:21]
	global_load_u16 v28, v[38:39], off
	s_wait_loadcnt 0x0
	v_cvt_f32_f16_e32 v34, v28
	s_wait_xcnt 0x0
	s_or_b32 exec_lo, exec_lo, s9
	s_and_saveexec_b32 s9, s2
	s_cbranch_execz .LBB121_17
.LBB121_21:                             ;   in Loop: Header=BB121_9 Depth=1
	v_add_f32_e64 v30, 0xbf317218, |v37|
	v_and_b32_e32 v28, 0x7fffffff, v37
	s_delay_alu instid0(VALU_DEP_2) | instskip(NEXT) | instid1(VALU_DEP_1)
	v_sub_f32_e64 v39, v30, |v37|
	v_sub_f32_e32 v38, v39, v30
	s_delay_alu instid0(VALU_DEP_1) | instskip(NEXT) | instid1(VALU_DEP_1)
	v_pk_add_f32 v[38:39], v[28:29], v[38:39]
	v_sub_f32_e32 v28, v38, v39
	s_delay_alu instid0(VALU_DEP_1) | instskip(NEXT) | instid1(VALU_DEP_1)
	v_add_f32_e32 v28, 0x3102e308, v28
	v_add_f32_e32 v32, v30, v28
	s_delay_alu instid0(VALU_DEP_1) | instskip(NEXT) | instid1(VALU_DEP_1)
	v_sub_f32_e32 v30, v30, v32
	v_add_f32_e32 v28, v28, v30
	v_mul_f32_e32 v38, 0x3fb8aa3b, v32
	s_delay_alu instid0(VALU_DEP_1) | instskip(NEXT) | instid1(VALU_DEP_1)
	v_rndne_f32_e32 v46, v38
	v_fmac_f32_e32 v32, 0xbf317200, v46
	v_mul_f32_e32 v30, 0x35bfbc00, v46
	v_mul_f32_e32 v41, 0x2ea39ef3, v46
	s_delay_alu instid0(VALU_DEP_3) | instskip(NEXT) | instid1(VALU_DEP_1)
	v_add_f32_e32 v39, v28, v32
	v_dual_sub_f32 v38, v39, v30 :: v_dual_sub_f32 v32, v32, v39
	s_delay_alu instid0(VALU_DEP_1) | instskip(NEXT) | instid1(VALU_DEP_1)
	v_sub_f32_e32 v39, v39, v38
	v_dual_sub_f32 v30, v39, v30 :: v_dual_add_f32 v28, v28, v32
	s_delay_alu instid0(VALU_DEP_1) | instskip(NEXT) | instid1(VALU_DEP_1)
	v_add_f32_e32 v28, v28, v30
	v_add_f32_e32 v39, v38, v28
	s_delay_alu instid0(VALU_DEP_1) | instskip(NEXT) | instid1(VALU_DEP_1)
	v_mov_b32_e32 v40, v39
	v_pk_add_f32 v[42:43], v[38:39], v[40:41] neg_lo:[0,1] neg_hi:[0,1]
	s_delay_alu instid0(VALU_DEP_1) | instskip(NEXT) | instid1(VALU_DEP_1)
	v_dual_sub_f32 v30, v39, v43 :: v_dual_add_f32 v28, v28, v42
	v_sub_f32_e32 v30, v30, v41
	s_delay_alu instid0(VALU_DEP_1) | instskip(NEXT) | instid1(VALU_DEP_1)
	v_add_f32_e32 v28, v28, v30
	v_add_f32_e32 v30, v43, v28
	s_delay_alu instid0(VALU_DEP_1) | instskip(SKIP_2) | instid1(VALU_DEP_3)
	v_sub_f32_e32 v32, v43, v30
	v_mov_b64_e32 v[42:43], s[2:3]
	v_cmp_nlt_f32_e64 s2, 0x42b2d4fc, |v37|
	v_add_f32_e32 v28, v28, v32
	s_delay_alu instid0(VALU_DEP_1) | instskip(SKIP_1) | instid1(VALU_DEP_2)
	v_dual_add_f32 v40, v28, v28 :: v_dual_mul_f32 v38, v30, v30
	v_fmaak_f32 v32, s8, v30, 0x3c091de6
	v_fma_f32 v39, v30, v30, -v38
	s_delay_alu instid0(VALU_DEP_2) | instskip(NEXT) | instid1(VALU_DEP_2)
	v_fmaak_f32 v32, v30, v32, 0x3d2aadcc
	v_fmac_f32_e32 v39, v30, v40
	s_delay_alu instid0(VALU_DEP_2) | instskip(NEXT) | instid1(VALU_DEP_2)
	v_fmaak_f32 v32, v30, v32, 0x3e2aaa47
	v_add_f32_e32 v40, v38, v39
	s_delay_alu instid0(VALU_DEP_2) | instskip(NEXT) | instid1(VALU_DEP_2)
	v_fmaak_f32 v32, v30, v32, 0x3efffffc
	v_sub_f32_e32 v38, v40, v38
	s_delay_alu instid0(VALU_DEP_1) | instskip(NEXT) | instid1(VALU_DEP_1)
	v_dual_sub_f32 v38, v39, v38 :: v_dual_mul_f32 v41, v32, v40
	v_fma_f32 v39, v40, v32, -v41
	s_delay_alu instid0(VALU_DEP_1) | instskip(NEXT) | instid1(VALU_DEP_1)
	v_fmac_f32_e32 v39, v38, v32
	v_add_f32_e32 v38, v41, v39
	s_delay_alu instid0(VALU_DEP_1) | instskip(NEXT) | instid1(VALU_DEP_1)
	v_sub_f32_e32 v40, v38, v41
	v_sub_f32_e32 v39, v39, v40
	s_delay_alu instid0(VALU_DEP_1) | instskip(NEXT) | instid1(VALU_DEP_1)
	v_dual_add_f32 v28, v28, v39 :: v_dual_add_f32 v32, v30, v38
	v_sub_f32_e32 v30, v32, v30
	s_delay_alu instid0(VALU_DEP_1) | instskip(NEXT) | instid1(VALU_DEP_1)
	v_sub_f32_e32 v30, v38, v30
	v_add_f32_e32 v38, v28, v30
	v_cvt_i32_f32_e32 v30, v46
	s_delay_alu instid0(VALU_DEP_2) | instskip(NEXT) | instid1(VALU_DEP_1)
	v_add_f32_e32 v40, v32, v38
	v_dual_add_f32 v41, 1.0, v40 :: v_dual_mov_b32 v39, v40
	s_delay_alu instid0(VALU_DEP_1) | instskip(SKIP_1) | instid1(VALU_DEP_2)
	v_pk_add_f32 v[42:43], v[40:41], v[42:43]
	v_pk_add_f32 v[44:45], v[40:41], v[32:33] neg_lo:[0,1] neg_hi:[0,1]
	v_mov_b32_e32 v45, v43
	s_delay_alu instid0(VALU_DEP_1) | instskip(NEXT) | instid1(VALU_DEP_1)
	v_pk_add_f32 v[38:39], v[38:39], v[44:45] neg_lo:[0,1] neg_hi:[0,1]
	v_add_f32_e32 v28, v38, v39
	s_delay_alu instid0(VALU_DEP_1) | instskip(NEXT) | instid1(VALU_DEP_1)
	v_add_f32_e32 v32, v41, v28
	v_ldexp_f32 v44, v32, v30
	v_sub_f32_e32 v32, v32, v41
	s_delay_alu instid0(VALU_DEP_2) | instskip(NEXT) | instid1(VALU_DEP_1)
	v_rcp_f32_e32 v45, v44
	v_sub_f32_e32 v28, v28, v32
	s_delay_alu instid0(VALU_DEP_1) | instskip(NEXT) | instid1(TRANS32_DEP_1)
	v_ldexp_f32 v28, v28, v30
	v_mul_f32_e32 v38, v44, v45
	s_delay_alu instid0(VALU_DEP_1) | instskip(NEXT) | instid1(VALU_DEP_1)
	v_fma_f32 v40, v45, v44, -v38
	v_fmac_f32_e32 v40, v45, v28
	s_delay_alu instid0(VALU_DEP_1) | instskip(NEXT) | instid1(VALU_DEP_1)
	v_add_f32_e32 v30, v38, v40
	v_dual_sub_f32 v39, 1.0, v30 :: v_dual_mov_b32 v41, v30
	s_delay_alu instid0(VALU_DEP_1) | instskip(NEXT) | instid1(VALU_DEP_1)
	v_pk_add_f32 v[42:43], v[30:31], v[38:39] neg_lo:[0,1] neg_hi:[0,1]
	v_pk_add_f32 v[40:41], v[42:43], v[40:41] neg_lo:[0,1] neg_hi:[0,1]
	s_delay_alu instid0(VALU_DEP_1) | instskip(NEXT) | instid1(VALU_DEP_1)
	v_add_f32_e32 v30, v40, v41
	v_add_f32_e32 v41, v39, v30
	s_delay_alu instid0(VALU_DEP_1) | instskip(NEXT) | instid1(VALU_DEP_1)
	v_dual_mul_f32 v32, v45, v41 :: v_dual_sub_f32 v46, v39, v41
	v_mul_f32_e32 v42, v44, v32
	s_delay_alu instid0(VALU_DEP_1) | instskip(NEXT) | instid1(VALU_DEP_1)
	v_fma_f32 v38, v32, v44, -v42
	v_fmac_f32_e32 v38, v32, v28
	s_delay_alu instid0(VALU_DEP_1) | instskip(NEXT) | instid1(VALU_DEP_1)
	v_add_f32_e32 v40, v42, v38
	v_dual_add_f32 v30, v30, v46 :: v_dual_sub_f32 v43, v41, v40
	v_mov_b32_e32 v39, v40
	s_delay_alu instid0(VALU_DEP_2) | instskip(NEXT) | instid1(VALU_DEP_1)
	v_pk_add_f32 v[40:41], v[40:41], v[42:43] neg_lo:[0,1] neg_hi:[0,1]
	v_pk_add_f32 v[38:39], v[40:41], v[38:39] neg_lo:[0,1] neg_hi:[0,1]
	s_delay_alu instid0(VALU_DEP_1) | instskip(NEXT) | instid1(VALU_DEP_1)
	v_dual_add_f32 v30, v30, v39 :: v_dual_add_f32 v39, v45, v32
	v_add_f32_e32 v30, v38, v30
	s_delay_alu instid0(VALU_DEP_1) | instskip(NEXT) | instid1(VALU_DEP_1)
	v_add_f32_e32 v30, v43, v30
	v_dual_sub_f32 v38, v39, v45 :: v_dual_mul_f32 v30, v45, v30
	s_delay_alu instid0(VALU_DEP_1) | instskip(NEXT) | instid1(VALU_DEP_1)
	v_sub_f32_e32 v32, v32, v38
	v_add_f32_e32 v30, v32, v30
	s_delay_alu instid0(VALU_DEP_1) | instskip(NEXT) | instid1(VALU_DEP_1)
	v_add_f32_e32 v32, v39, v30
	v_ldexp_f32 v38, v32, -2
	v_sub_f32_e32 v32, v32, v39
	s_delay_alu instid0(VALU_DEP_1) | instskip(NEXT) | instid1(VALU_DEP_1)
	v_dual_sub_f32 v40, v44, v38 :: v_dual_sub_f32 v30, v30, v32
	v_sub_f32_e32 v39, v44, v40
	s_delay_alu instid0(VALU_DEP_2) | instskip(NEXT) | instid1(VALU_DEP_2)
	v_ldexp_f32 v30, v30, -2
	v_sub_f32_e32 v32, v39, v38
	v_add_nc_u64_e32 v[38:39], s[4:5], v[8:9]
	s_delay_alu instid0(VALU_DEP_2) | instskip(NEXT) | instid1(VALU_DEP_1)
	v_add_f32_e32 v28, v28, v32
	v_dual_sub_f32 v28, v28, v30 :: v_dual_lshrrev_b32 v30, 16, v37
	s_delay_alu instid0(VALU_DEP_1) | instskip(NEXT) | instid1(VALU_DEP_1)
	v_add_f32_e32 v28, v40, v28
	v_cndmask_b32_e64 v28, 0x7f800000, v28, s2
	v_cmp_gt_f32_e64 s2, 0x39800000, |v37|
	s_delay_alu instid0(VALU_DEP_1) | instskip(NEXT) | instid1(VALU_DEP_1)
	v_cndmask_b32_e64 v28, v28, |v37|, s2
	v_cvt_f16_f32_e32 v28, v28
	s_delay_alu instid0(VALU_DEP_1)
	v_bfi_b32 v28, 0x7fff, v28, v30
	global_store_b16 v[38:39], v28, off
	s_wait_xcnt 0x0
	s_or_b32 exec_lo, exec_lo, s9
	s_and_saveexec_b32 s2, s1
	s_cbranch_execz .LBB121_18
.LBB121_22:                             ;   in Loop: Header=BB121_9 Depth=1
	v_add_f32_e64 v28, 0xbf317218, |v36|
	v_cmp_nlt_f32_e64 s1, 0x42b2d4fc, |v36|
	s_delay_alu instid0(VALU_DEP_2) | instskip(NEXT) | instid1(VALU_DEP_1)
	v_sub_f32_e64 v30, v28, |v36|
	v_sub_f32_e32 v32, v30, v28
	v_add_f32_e32 v30, 0x3f317218, v30
	s_delay_alu instid0(VALU_DEP_2) | instskip(NEXT) | instid1(VALU_DEP_1)
	v_add_f32_e64 v32, |v36|, v32
	v_sub_f32_e32 v30, v32, v30
	s_delay_alu instid0(VALU_DEP_1) | instskip(NEXT) | instid1(VALU_DEP_1)
	v_add_f32_e32 v30, 0x3102e308, v30
	v_add_f32_e32 v32, v28, v30
	s_delay_alu instid0(VALU_DEP_1) | instskip(NEXT) | instid1(VALU_DEP_1)
	v_dual_mul_f32 v37, 0x3fb8aa3b, v32 :: v_dual_sub_f32 v28, v28, v32
	v_rndne_f32_e32 v37, v37
	s_delay_alu instid0(VALU_DEP_2) | instskip(NEXT) | instid1(VALU_DEP_2)
	v_add_f32_e32 v28, v30, v28
	v_fmac_f32_e32 v32, 0xbf317200, v37
	v_mul_f32_e32 v30, 0x35bfbc00, v37
	s_delay_alu instid0(VALU_DEP_2) | instskip(NEXT) | instid1(VALU_DEP_1)
	v_add_f32_e32 v38, v28, v32
	v_sub_f32_e32 v32, v32, v38
	s_delay_alu instid0(VALU_DEP_1) | instskip(NEXT) | instid1(VALU_DEP_1)
	v_dual_add_f32 v28, v28, v32 :: v_dual_sub_f32 v39, v38, v30
	v_sub_f32_e32 v38, v38, v39
	s_delay_alu instid0(VALU_DEP_1) | instskip(NEXT) | instid1(VALU_DEP_1)
	v_sub_f32_e32 v30, v38, v30
	v_add_f32_e32 v28, v28, v30
	v_mul_f32_e32 v30, 0x2ea39ef3, v37
	s_delay_alu instid0(VALU_DEP_2) | instskip(NEXT) | instid1(VALU_DEP_1)
	v_add_f32_e32 v32, v39, v28
	v_dual_sub_f32 v38, v32, v30 :: v_dual_sub_f32 v39, v39, v32
	s_delay_alu instid0(VALU_DEP_1) | instskip(NEXT) | instid1(VALU_DEP_2)
	v_sub_f32_e32 v32, v32, v38
	v_add_f32_e32 v28, v28, v39
	s_delay_alu instid0(VALU_DEP_2) | instskip(NEXT) | instid1(VALU_DEP_1)
	v_sub_f32_e32 v30, v32, v30
	v_add_f32_e32 v28, v28, v30
	s_delay_alu instid0(VALU_DEP_1) | instskip(NEXT) | instid1(VALU_DEP_1)
	v_add_f32_e32 v30, v38, v28
	v_sub_f32_e32 v32, v38, v30
	v_mul_f32_e32 v38, v30, v30
	s_delay_alu instid0(VALU_DEP_1) | instskip(SKIP_1) | instid1(VALU_DEP_2)
	v_dual_fma_f32 v39, v30, v30, -v38 :: v_dual_add_f32 v28, v28, v32
	v_fmaak_f32 v32, s8, v30, 0x3c091de6
	v_add_f32_e32 v40, v28, v28
	s_delay_alu instid0(VALU_DEP_2) | instskip(NEXT) | instid1(VALU_DEP_2)
	v_fmaak_f32 v32, v30, v32, 0x3d2aadcc
	v_fmac_f32_e32 v39, v30, v40
	s_delay_alu instid0(VALU_DEP_2) | instskip(NEXT) | instid1(VALU_DEP_2)
	v_fmaak_f32 v32, v30, v32, 0x3e2aaa47
	v_add_f32_e32 v40, v38, v39
	s_delay_alu instid0(VALU_DEP_2) | instskip(NEXT) | instid1(VALU_DEP_1)
	v_fmaak_f32 v32, v30, v32, 0x3efffffc
	v_mul_f32_e32 v41, v32, v40
	v_sub_f32_e32 v38, v40, v38
	s_delay_alu instid0(VALU_DEP_1) | instskip(NEXT) | instid1(VALU_DEP_1)
	v_dual_sub_f32 v38, v39, v38 :: v_dual_fma_f32 v39, v40, v32, -v41
	v_fmac_f32_e32 v39, v38, v32
	s_delay_alu instid0(VALU_DEP_1) | instskip(NEXT) | instid1(VALU_DEP_1)
	v_add_f32_e32 v32, v41, v39
	v_dual_add_f32 v38, v30, v32 :: v_dual_sub_f32 v40, v32, v41
	s_delay_alu instid0(VALU_DEP_1) | instskip(NEXT) | instid1(VALU_DEP_1)
	v_dual_sub_f32 v39, v39, v40 :: v_dual_sub_f32 v30, v38, v30
	v_add_f32_e32 v28, v28, v39
	s_delay_alu instid0(VALU_DEP_2) | instskip(NEXT) | instid1(VALU_DEP_1)
	v_sub_f32_e32 v30, v32, v30
	v_add_f32_e32 v28, v28, v30
	s_delay_alu instid0(VALU_DEP_1) | instskip(NEXT) | instid1(VALU_DEP_1)
	v_add_f32_e32 v30, v38, v28
	v_add_f32_e32 v32, 1.0, v30
	s_delay_alu instid0(VALU_DEP_1) | instskip(NEXT) | instid1(VALU_DEP_1)
	v_dual_add_f32 v39, -1.0, v32 :: v_dual_sub_f32 v38, v30, v38
	v_dual_sub_f32 v28, v28, v38 :: v_dual_sub_f32 v30, v30, v39
	s_delay_alu instid0(VALU_DEP_1) | instskip(SKIP_1) | instid1(VALU_DEP_2)
	v_add_f32_e32 v28, v28, v30
	v_cvt_i32_f32_e32 v30, v37
	v_add_f32_e32 v37, v32, v28
	s_delay_alu instid0(VALU_DEP_1) | instskip(SKIP_1) | instid1(VALU_DEP_2)
	v_ldexp_f32 v38, v37, v30
	v_sub_f32_e32 v32, v37, v32
	v_rcp_f32_e32 v39, v38
	s_delay_alu instid0(VALU_DEP_1) | instskip(NEXT) | instid1(VALU_DEP_1)
	v_sub_f32_e32 v28, v28, v32
	v_ldexp_f32 v28, v28, v30
	s_delay_alu instid0(TRANS32_DEP_1) | instskip(NEXT) | instid1(VALU_DEP_1)
	v_mul_f32_e32 v32, v38, v39
	v_fma_f32 v30, v39, v38, -v32
	s_delay_alu instid0(VALU_DEP_1) | instskip(NEXT) | instid1(VALU_DEP_1)
	v_fmac_f32_e32 v30, v39, v28
	v_add_f32_e32 v37, v32, v30
	s_delay_alu instid0(VALU_DEP_1) | instskip(NEXT) | instid1(VALU_DEP_1)
	v_dual_sub_f32 v40, 1.0, v37 :: v_dual_sub_f32 v32, v37, v32
	v_dual_sub_f32 v41, 1.0, v40 :: v_dual_sub_f32 v30, v32, v30
	s_delay_alu instid0(VALU_DEP_1) | instskip(NEXT) | instid1(VALU_DEP_1)
	v_sub_f32_e32 v32, v41, v37
	v_add_f32_e32 v30, v30, v32
	s_delay_alu instid0(VALU_DEP_1) | instskip(NEXT) | instid1(VALU_DEP_1)
	v_add_f32_e32 v32, v40, v30
	v_mul_f32_e32 v37, v39, v32
	s_delay_alu instid0(VALU_DEP_1) | instskip(NEXT) | instid1(VALU_DEP_1)
	v_mul_f32_e32 v41, v38, v37
	v_fma_f32 v42, v37, v38, -v41
	s_delay_alu instid0(VALU_DEP_1) | instskip(NEXT) | instid1(VALU_DEP_1)
	v_fmac_f32_e32 v42, v37, v28
	v_dual_sub_f32 v40, v40, v32 :: v_dual_add_f32 v43, v41, v42
	s_delay_alu instid0(VALU_DEP_1) | instskip(NEXT) | instid1(VALU_DEP_1)
	v_dual_add_f32 v30, v30, v40 :: v_dual_sub_f32 v44, v32, v43
	v_dual_sub_f32 v40, v43, v41 :: v_dual_sub_f32 v32, v32, v44
	s_delay_alu instid0(VALU_DEP_1) | instskip(NEXT) | instid1(VALU_DEP_2)
	v_sub_f32_e32 v40, v40, v42
	v_sub_f32_e32 v32, v32, v43
	s_delay_alu instid0(VALU_DEP_1) | instskip(NEXT) | instid1(VALU_DEP_1)
	v_dual_add_f32 v30, v30, v32 :: v_dual_add_f32 v32, v39, v37
	v_add_f32_e32 v30, v40, v30
	s_delay_alu instid0(VALU_DEP_1) | instskip(NEXT) | instid1(VALU_DEP_1)
	v_add_f32_e32 v30, v44, v30
	v_dual_sub_f32 v40, v32, v39 :: v_dual_mul_f32 v30, v39, v30
	s_delay_alu instid0(VALU_DEP_1) | instskip(NEXT) | instid1(VALU_DEP_1)
	v_sub_f32_e32 v37, v37, v40
	v_add_f32_e32 v30, v37, v30
	s_delay_alu instid0(VALU_DEP_1) | instskip(NEXT) | instid1(VALU_DEP_1)
	v_add_f32_e32 v37, v32, v30
	v_ldexp_f32 v39, v37, -2
	s_delay_alu instid0(VALU_DEP_1) | instskip(NEXT) | instid1(VALU_DEP_1)
	v_dual_sub_f32 v32, v37, v32 :: v_dual_sub_f32 v40, v38, v39
	v_sub_f32_e32 v37, v38, v40
	s_delay_alu instid0(VALU_DEP_2) | instskip(NEXT) | instid1(VALU_DEP_1)
	v_sub_f32_e32 v30, v30, v32
	v_ldexp_f32 v30, v30, -2
	s_delay_alu instid0(VALU_DEP_3) | instskip(NEXT) | instid1(VALU_DEP_1)
	v_sub_f32_e32 v32, v37, v39
	v_add_f32_e32 v28, v28, v32
	s_delay_alu instid0(VALU_DEP_1) | instskip(NEXT) | instid1(VALU_DEP_1)
	v_dual_sub_f32 v28, v28, v30 :: v_dual_lshrrev_b32 v30, 16, v36
	v_add_f32_e32 v28, v40, v28
	s_delay_alu instid0(VALU_DEP_1) | instskip(SKIP_1) | instid1(VALU_DEP_1)
	v_cndmask_b32_e64 v28, 0x7f800000, v28, s1
	v_cmp_gt_f32_e64 s1, 0x39800000, |v36|
	v_cndmask_b32_e64 v28, v28, |v36|, s1
	v_add_nc_u64_e32 v[36:37], s[4:5], v[26:27]
	s_delay_alu instid0(VALU_DEP_2) | instskip(NEXT) | instid1(VALU_DEP_1)
	v_cvt_f16_f32_e32 v28, v28
	v_bfi_b32 v28, 0x7fff, v28, v30
	global_store_b16 v[36:37], v28, off
	s_wait_xcnt 0x0
	s_or_b32 exec_lo, exec_lo, s2
	s_and_saveexec_b32 s1, s0
	s_cbranch_execz .LBB121_19
.LBB121_23:                             ;   in Loop: Header=BB121_9 Depth=1
	v_add_f32_e64 v28, 0xbf317218, |v35|
	v_cmp_nlt_f32_e64 s0, 0x42b2d4fc, |v35|
	s_delay_alu instid0(VALU_DEP_2) | instskip(NEXT) | instid1(VALU_DEP_1)
	v_sub_f32_e64 v30, v28, |v35|
	v_sub_f32_e32 v32, v30, v28
	v_add_f32_e32 v30, 0x3f317218, v30
	s_delay_alu instid0(VALU_DEP_2) | instskip(NEXT) | instid1(VALU_DEP_1)
	v_add_f32_e64 v32, |v35|, v32
	v_sub_f32_e32 v30, v32, v30
	s_delay_alu instid0(VALU_DEP_1) | instskip(NEXT) | instid1(VALU_DEP_1)
	v_add_f32_e32 v30, 0x3102e308, v30
	v_add_f32_e32 v32, v28, v30
	s_delay_alu instid0(VALU_DEP_1) | instskip(SKIP_1) | instid1(VALU_DEP_2)
	v_mul_f32_e32 v36, 0x3fb8aa3b, v32
	v_sub_f32_e32 v28, v28, v32
	v_rndne_f32_e32 v36, v36
	s_delay_alu instid0(VALU_DEP_2) | instskip(NEXT) | instid1(VALU_DEP_2)
	v_add_f32_e32 v28, v30, v28
	v_fmac_f32_e32 v32, 0xbf317200, v36
	v_mul_f32_e32 v30, 0x35bfbc00, v36
	s_delay_alu instid0(VALU_DEP_2) | instskip(NEXT) | instid1(VALU_DEP_1)
	v_add_f32_e32 v37, v28, v32
	v_dual_sub_f32 v38, v37, v30 :: v_dual_sub_f32 v32, v32, v37
	s_delay_alu instid0(VALU_DEP_1) | instskip(NEXT) | instid1(VALU_DEP_1)
	v_dual_sub_f32 v37, v37, v38 :: v_dual_add_f32 v28, v28, v32
	v_sub_f32_e32 v30, v37, v30
	s_delay_alu instid0(VALU_DEP_1) | instskip(SKIP_1) | instid1(VALU_DEP_2)
	v_add_f32_e32 v28, v28, v30
	v_mul_f32_e32 v30, 0x2ea39ef3, v36
	v_add_f32_e32 v32, v38, v28
	s_delay_alu instid0(VALU_DEP_1) | instskip(NEXT) | instid1(VALU_DEP_1)
	v_sub_f32_e32 v38, v38, v32
	v_add_f32_e32 v28, v28, v38
	s_delay_alu instid0(VALU_DEP_4) | instskip(NEXT) | instid1(VALU_DEP_1)
	v_sub_f32_e32 v37, v32, v30
	v_sub_f32_e32 v32, v32, v37
	s_delay_alu instid0(VALU_DEP_1) | instskip(NEXT) | instid1(VALU_DEP_1)
	v_sub_f32_e32 v30, v32, v30
	v_add_f32_e32 v28, v28, v30
	s_delay_alu instid0(VALU_DEP_1) | instskip(NEXT) | instid1(VALU_DEP_1)
	v_add_f32_e32 v30, v37, v28
	v_dual_sub_f32 v32, v37, v30 :: v_dual_mul_f32 v37, v30, v30
	s_delay_alu instid0(VALU_DEP_1) | instskip(NEXT) | instid1(VALU_DEP_1)
	v_dual_fma_f32 v38, v30, v30, -v37 :: v_dual_add_f32 v28, v28, v32
	v_add_f32_e32 v39, v28, v28
	s_delay_alu instid0(VALU_DEP_1) | instskip(NEXT) | instid1(VALU_DEP_1)
	v_fmac_f32_e32 v38, v30, v39
	v_add_f32_e32 v39, v37, v38
	s_delay_alu instid0(VALU_DEP_1) | instskip(NEXT) | instid1(VALU_DEP_1)
	v_dual_sub_f32 v37, v39, v37 :: v_dual_fmaak_f32 v32, s8, v30, 0x3c091de6
	v_sub_f32_e32 v37, v38, v37
	s_delay_alu instid0(VALU_DEP_2) | instskip(NEXT) | instid1(VALU_DEP_1)
	v_fmaak_f32 v32, v30, v32, 0x3d2aadcc
	v_fmaak_f32 v32, v30, v32, 0x3e2aaa47
	s_delay_alu instid0(VALU_DEP_1) | instskip(NEXT) | instid1(VALU_DEP_1)
	v_fmaak_f32 v32, v30, v32, 0x3efffffc
	v_mul_f32_e32 v40, v32, v39
	s_delay_alu instid0(VALU_DEP_1) | instskip(NEXT) | instid1(VALU_DEP_1)
	v_fma_f32 v38, v39, v32, -v40
	v_fmac_f32_e32 v38, v37, v32
	s_delay_alu instid0(VALU_DEP_1) | instskip(NEXT) | instid1(VALU_DEP_1)
	v_add_f32_e32 v32, v40, v38
	v_sub_f32_e32 v39, v32, v40
	s_delay_alu instid0(VALU_DEP_1) | instskip(NEXT) | instid1(VALU_DEP_1)
	v_sub_f32_e32 v38, v38, v39
	v_dual_add_f32 v37, v30, v32 :: v_dual_add_f32 v28, v28, v38
	s_delay_alu instid0(VALU_DEP_1) | instskip(NEXT) | instid1(VALU_DEP_1)
	v_sub_f32_e32 v30, v37, v30
	v_sub_f32_e32 v30, v32, v30
	s_delay_alu instid0(VALU_DEP_1) | instskip(NEXT) | instid1(VALU_DEP_1)
	v_add_f32_e32 v28, v28, v30
	v_add_f32_e32 v30, v37, v28
	s_delay_alu instid0(VALU_DEP_1) | instskip(NEXT) | instid1(VALU_DEP_1)
	v_dual_add_f32 v32, 1.0, v30 :: v_dual_sub_f32 v37, v30, v37
	v_dual_add_f32 v38, -1.0, v32 :: v_dual_sub_f32 v28, v28, v37
	s_delay_alu instid0(VALU_DEP_1) | instskip(NEXT) | instid1(VALU_DEP_1)
	v_sub_f32_e32 v30, v30, v38
	v_add_f32_e32 v28, v28, v30
	v_cvt_i32_f32_e32 v30, v36
	s_delay_alu instid0(VALU_DEP_2) | instskip(NEXT) | instid1(VALU_DEP_1)
	v_add_f32_e32 v36, v32, v28
	v_ldexp_f32 v37, v36, v30
	v_sub_f32_e32 v32, v36, v32
	s_delay_alu instid0(VALU_DEP_2) | instskip(NEXT) | instid1(VALU_DEP_1)
	v_rcp_f32_e32 v38, v37
	v_sub_f32_e32 v28, v28, v32
	s_delay_alu instid0(VALU_DEP_1) | instskip(NEXT) | instid1(TRANS32_DEP_1)
	v_ldexp_f32 v28, v28, v30
	v_mul_f32_e32 v32, v37, v38
	s_delay_alu instid0(VALU_DEP_1) | instskip(NEXT) | instid1(VALU_DEP_1)
	v_fma_f32 v30, v38, v37, -v32
	v_fmac_f32_e32 v30, v38, v28
	s_delay_alu instid0(VALU_DEP_1) | instskip(NEXT) | instid1(VALU_DEP_1)
	v_add_f32_e32 v36, v32, v30
	v_sub_f32_e32 v32, v36, v32
	s_delay_alu instid0(VALU_DEP_1) | instskip(NEXT) | instid1(VALU_DEP_1)
	v_dual_sub_f32 v30, v32, v30 :: v_dual_sub_f32 v39, 1.0, v36
	v_sub_f32_e32 v40, 1.0, v39
	s_delay_alu instid0(VALU_DEP_1) | instskip(NEXT) | instid1(VALU_DEP_1)
	v_sub_f32_e32 v32, v40, v36
	v_add_f32_e32 v30, v30, v32
	s_delay_alu instid0(VALU_DEP_1) | instskip(NEXT) | instid1(VALU_DEP_1)
	v_add_f32_e32 v32, v39, v30
	v_mul_f32_e32 v36, v38, v32
	s_delay_alu instid0(VALU_DEP_1) | instskip(NEXT) | instid1(VALU_DEP_1)
	v_mul_f32_e32 v40, v37, v36
	v_dual_sub_f32 v39, v39, v32 :: v_dual_fma_f32 v41, v36, v37, -v40
	s_delay_alu instid0(VALU_DEP_1) | instskip(NEXT) | instid1(VALU_DEP_1)
	v_dual_add_f32 v30, v30, v39 :: v_dual_fmac_f32 v41, v36, v28
	v_add_f32_e32 v42, v40, v41
	s_delay_alu instid0(VALU_DEP_1) | instskip(NEXT) | instid1(VALU_DEP_1)
	v_dual_sub_f32 v43, v32, v42 :: v_dual_sub_f32 v39, v42, v40
	v_dual_sub_f32 v32, v32, v43 :: v_dual_sub_f32 v39, v39, v41
	s_delay_alu instid0(VALU_DEP_1) | instskip(NEXT) | instid1(VALU_DEP_1)
	v_sub_f32_e32 v32, v32, v42
	v_add_f32_e32 v30, v30, v32
	s_delay_alu instid0(VALU_DEP_1) | instskip(NEXT) | instid1(VALU_DEP_1)
	v_dual_add_f32 v30, v39, v30 :: v_dual_add_f32 v32, v38, v36
	v_add_f32_e32 v30, v43, v30
	s_delay_alu instid0(VALU_DEP_2) | instskip(NEXT) | instid1(VALU_DEP_1)
	v_sub_f32_e32 v39, v32, v38
	v_dual_mul_f32 v30, v38, v30 :: v_dual_sub_f32 v36, v36, v39
	s_delay_alu instid0(VALU_DEP_1) | instskip(NEXT) | instid1(VALU_DEP_1)
	v_add_f32_e32 v30, v36, v30
	v_add_f32_e32 v36, v32, v30
	s_delay_alu instid0(VALU_DEP_1) | instskip(NEXT) | instid1(VALU_DEP_1)
	v_sub_f32_e32 v32, v36, v32
	v_sub_f32_e32 v30, v30, v32
	v_ldexp_f32 v38, v36, -2
	s_delay_alu instid0(VALU_DEP_2) | instskip(NEXT) | instid1(VALU_DEP_2)
	v_ldexp_f32 v30, v30, -2
	v_sub_f32_e32 v39, v37, v38
	s_delay_alu instid0(VALU_DEP_1) | instskip(NEXT) | instid1(VALU_DEP_1)
	v_sub_f32_e32 v36, v37, v39
	v_sub_f32_e32 v32, v36, v38
	v_add_nc_u64_e32 v[36:37], s[4:5], v[18:19]
	s_delay_alu instid0(VALU_DEP_2) | instskip(NEXT) | instid1(VALU_DEP_1)
	v_add_f32_e32 v28, v28, v32
	v_dual_sub_f32 v28, v28, v30 :: v_dual_lshrrev_b32 v30, 16, v35
	s_delay_alu instid0(VALU_DEP_1) | instskip(NEXT) | instid1(VALU_DEP_1)
	v_add_f32_e32 v28, v39, v28
	v_cndmask_b32_e64 v28, 0x7f800000, v28, s0
	v_cmp_gt_f32_e64 s0, 0x39800000, |v35|
	s_delay_alu instid0(VALU_DEP_1) | instskip(NEXT) | instid1(VALU_DEP_1)
	v_cndmask_b32_e64 v28, v28, |v35|, s0
	v_cvt_f16_f32_e32 v28, v28
	s_delay_alu instid0(VALU_DEP_1)
	v_bfi_b32 v28, 0x7fff, v28, v30
	global_store_b16 v[36:37], v28, off
	s_wait_xcnt 0x0
	s_or_b32 exec_lo, exec_lo, s1
	s_and_saveexec_b32 s0, vcc_lo
	s_cbranch_execz .LBB121_8
.LBB121_24:                             ;   in Loop: Header=BB121_9 Depth=1
	v_add_f32_e64 v28, 0xbf317218, |v34|
	v_cmp_nlt_f32_e64 vcc_lo, 0x42b2d4fc, |v34|
	v_cmp_gt_f32_e64 s1, 0x39800000, |v34|
	s_delay_alu instid0(VALU_DEP_3) | instskip(NEXT) | instid1(VALU_DEP_1)
	v_sub_f32_e64 v30, v28, |v34|
	v_sub_f32_e32 v32, v30, v28
	v_add_f32_e32 v30, 0x3f317218, v30
	s_delay_alu instid0(VALU_DEP_2) | instskip(NEXT) | instid1(VALU_DEP_1)
	v_add_f32_e64 v32, |v34|, v32
	v_sub_f32_e32 v30, v32, v30
	s_delay_alu instid0(VALU_DEP_1) | instskip(NEXT) | instid1(VALU_DEP_1)
	v_add_f32_e32 v30, 0x3102e308, v30
	v_add_f32_e32 v32, v28, v30
	s_delay_alu instid0(VALU_DEP_1) | instskip(NEXT) | instid1(VALU_DEP_1)
	v_dual_mul_f32 v35, 0x3fb8aa3b, v32 :: v_dual_sub_f32 v28, v28, v32
	v_rndne_f32_e32 v35, v35
	s_delay_alu instid0(VALU_DEP_2) | instskip(NEXT) | instid1(VALU_DEP_2)
	v_add_f32_e32 v28, v30, v28
	v_mul_f32_e32 v30, 0x35bfbc00, v35
	v_fmac_f32_e32 v32, 0xbf317200, v35
	s_delay_alu instid0(VALU_DEP_1) | instskip(NEXT) | instid1(VALU_DEP_1)
	v_add_f32_e32 v36, v28, v32
	v_sub_f32_e32 v37, v36, v30
	v_sub_f32_e32 v32, v32, v36
	s_delay_alu instid0(VALU_DEP_1) | instskip(NEXT) | instid1(VALU_DEP_3)
	v_add_f32_e32 v28, v28, v32
	v_sub_f32_e32 v36, v36, v37
	s_delay_alu instid0(VALU_DEP_1) | instskip(NEXT) | instid1(VALU_DEP_1)
	v_sub_f32_e32 v30, v36, v30
	v_add_f32_e32 v28, v28, v30
	v_mul_f32_e32 v30, 0x2ea39ef3, v35
	s_delay_alu instid0(VALU_DEP_2) | instskip(NEXT) | instid1(VALU_DEP_1)
	v_add_f32_e32 v32, v37, v28
	v_dual_sub_f32 v36, v32, v30 :: v_dual_sub_f32 v37, v37, v32
	s_delay_alu instid0(VALU_DEP_1) | instskip(NEXT) | instid1(VALU_DEP_2)
	v_sub_f32_e32 v32, v32, v36
	v_add_f32_e32 v28, v28, v37
	s_delay_alu instid0(VALU_DEP_2) | instskip(NEXT) | instid1(VALU_DEP_1)
	v_sub_f32_e32 v30, v32, v30
	v_add_f32_e32 v28, v28, v30
	s_delay_alu instid0(VALU_DEP_1) | instskip(NEXT) | instid1(VALU_DEP_1)
	v_add_f32_e32 v30, v36, v28
	v_dual_sub_f32 v32, v36, v30 :: v_dual_mul_f32 v36, v30, v30
	s_delay_alu instid0(VALU_DEP_1) | instskip(SKIP_1) | instid1(VALU_DEP_2)
	v_add_f32_e32 v28, v28, v32
	v_fmaak_f32 v32, s8, v30, 0x3c091de6
	v_dual_fma_f32 v37, v30, v30, -v36 :: v_dual_add_f32 v38, v28, v28
	s_delay_alu instid0(VALU_DEP_1) | instskip(NEXT) | instid1(VALU_DEP_1)
	v_dual_fmaak_f32 v32, v30, v32, 0x3d2aadcc :: v_dual_fmac_f32 v37, v30, v38
	v_fmaak_f32 v32, v30, v32, 0x3e2aaa47
	s_delay_alu instid0(VALU_DEP_2) | instskip(NEXT) | instid1(VALU_DEP_2)
	v_add_f32_e32 v38, v36, v37
	v_fmaak_f32 v32, v30, v32, 0x3efffffc
	s_delay_alu instid0(VALU_DEP_1) | instskip(NEXT) | instid1(VALU_DEP_1)
	v_dual_sub_f32 v36, v38, v36 :: v_dual_mul_f32 v39, v32, v38
	v_sub_f32_e32 v36, v37, v36
	s_delay_alu instid0(VALU_DEP_2) | instskip(NEXT) | instid1(VALU_DEP_1)
	v_fma_f32 v37, v38, v32, -v39
	v_fmac_f32_e32 v37, v36, v32
	s_delay_alu instid0(VALU_DEP_1) | instskip(NEXT) | instid1(VALU_DEP_1)
	v_add_f32_e32 v32, v39, v37
	v_dual_add_f32 v36, v30, v32 :: v_dual_sub_f32 v38, v32, v39
	s_delay_alu instid0(VALU_DEP_1) | instskip(NEXT) | instid1(VALU_DEP_2)
	v_sub_f32_e32 v30, v36, v30
	v_sub_f32_e32 v37, v37, v38
	s_delay_alu instid0(VALU_DEP_2) | instskip(NEXT) | instid1(VALU_DEP_2)
	v_sub_f32_e32 v30, v32, v30
	v_add_f32_e32 v28, v28, v37
	s_delay_alu instid0(VALU_DEP_1) | instskip(NEXT) | instid1(VALU_DEP_1)
	v_add_f32_e32 v28, v28, v30
	v_add_f32_e32 v30, v36, v28
	s_delay_alu instid0(VALU_DEP_1) | instskip(NEXT) | instid1(VALU_DEP_1)
	v_add_f32_e32 v32, 1.0, v30
	v_add_f32_e32 v37, -1.0, v32
	s_delay_alu instid0(VALU_DEP_1) | instskip(NEXT) | instid1(VALU_DEP_1)
	v_dual_sub_f32 v36, v30, v36 :: v_dual_sub_f32 v30, v30, v37
	v_sub_f32_e32 v28, v28, v36
	s_delay_alu instid0(VALU_DEP_1) | instskip(SKIP_1) | instid1(VALU_DEP_2)
	v_add_f32_e32 v28, v28, v30
	v_cvt_i32_f32_e32 v30, v35
	v_add_f32_e32 v35, v32, v28
	s_delay_alu instid0(VALU_DEP_1) | instskip(SKIP_1) | instid1(VALU_DEP_2)
	v_ldexp_f32 v36, v35, v30
	v_sub_f32_e32 v32, v35, v32
	v_rcp_f32_e32 v37, v36
	s_delay_alu instid0(VALU_DEP_1) | instskip(NEXT) | instid1(VALU_DEP_1)
	v_sub_f32_e32 v28, v28, v32
	v_ldexp_f32 v28, v28, v30
	s_delay_alu instid0(TRANS32_DEP_1) | instskip(NEXT) | instid1(VALU_DEP_1)
	v_mul_f32_e32 v32, v36, v37
	v_fma_f32 v30, v37, v36, -v32
	s_delay_alu instid0(VALU_DEP_1) | instskip(NEXT) | instid1(VALU_DEP_1)
	v_fmac_f32_e32 v30, v37, v28
	v_add_f32_e32 v35, v32, v30
	s_delay_alu instid0(VALU_DEP_1) | instskip(NEXT) | instid1(VALU_DEP_1)
	v_sub_f32_e32 v32, v35, v32
	v_dual_sub_f32 v30, v32, v30 :: v_dual_sub_f32 v38, 1.0, v35
	s_delay_alu instid0(VALU_DEP_1) | instskip(NEXT) | instid1(VALU_DEP_1)
	v_sub_f32_e32 v39, 1.0, v38
	v_sub_f32_e32 v32, v39, v35
	s_delay_alu instid0(VALU_DEP_1) | instskip(NEXT) | instid1(VALU_DEP_1)
	v_add_f32_e32 v30, v30, v32
	v_add_f32_e32 v32, v38, v30
	s_delay_alu instid0(VALU_DEP_1) | instskip(NEXT) | instid1(VALU_DEP_1)
	v_mul_f32_e32 v35, v37, v32
	v_mul_f32_e32 v39, v36, v35
	s_delay_alu instid0(VALU_DEP_1) | instskip(NEXT) | instid1(VALU_DEP_1)
	v_fma_f32 v40, v35, v36, -v39
	v_fmac_f32_e32 v40, v35, v28
	s_delay_alu instid0(VALU_DEP_1) | instskip(NEXT) | instid1(VALU_DEP_1)
	v_add_f32_e32 v41, v39, v40
	v_dual_sub_f32 v42, v32, v41 :: v_dual_sub_f32 v38, v38, v32
	s_delay_alu instid0(VALU_DEP_1) | instskip(NEXT) | instid1(VALU_DEP_2)
	v_sub_f32_e32 v32, v32, v42
	v_dual_add_f32 v30, v30, v38 :: v_dual_sub_f32 v38, v41, v39
	s_delay_alu instid0(VALU_DEP_1) | instskip(NEXT) | instid1(VALU_DEP_1)
	v_dual_sub_f32 v32, v32, v41 :: v_dual_sub_f32 v38, v38, v40
	v_dual_add_f32 v30, v30, v32 :: v_dual_add_f32 v32, v37, v35
	s_delay_alu instid0(VALU_DEP_1) | instskip(NEXT) | instid1(VALU_DEP_1)
	v_dual_add_f32 v30, v38, v30 :: v_dual_sub_f32 v38, v32, v37
	v_add_f32_e32 v30, v42, v30
	s_delay_alu instid0(VALU_DEP_2) | instskip(NEXT) | instid1(VALU_DEP_2)
	v_sub_f32_e32 v35, v35, v38
	v_mul_f32_e32 v30, v37, v30
	s_delay_alu instid0(VALU_DEP_1) | instskip(NEXT) | instid1(VALU_DEP_1)
	v_add_f32_e32 v30, v35, v30
	v_add_f32_e32 v35, v32, v30
	s_delay_alu instid0(VALU_DEP_1) | instskip(NEXT) | instid1(VALU_DEP_1)
	v_sub_f32_e32 v32, v35, v32
	v_sub_f32_e32 v30, v30, v32
	v_ldexp_f32 v37, v35, -2
	s_delay_alu instid0(VALU_DEP_2) | instskip(NEXT) | instid1(VALU_DEP_2)
	v_ldexp_f32 v30, v30, -2
	v_sub_f32_e32 v38, v36, v37
	s_delay_alu instid0(VALU_DEP_1) | instskip(NEXT) | instid1(VALU_DEP_1)
	v_sub_f32_e32 v35, v36, v38
	v_sub_f32_e32 v32, v35, v37
	s_delay_alu instid0(VALU_DEP_1) | instskip(NEXT) | instid1(VALU_DEP_1)
	v_add_f32_e32 v28, v28, v32
	v_sub_f32_e32 v28, v28, v30
	s_delay_alu instid0(VALU_DEP_1) | instskip(NEXT) | instid1(VALU_DEP_1)
	v_dual_lshrrev_b32 v30, 16, v34 :: v_dual_add_f32 v28, v38, v28
	v_cndmask_b32_e32 v28, 0x7f800000, v28, vcc_lo
	s_delay_alu instid0(VALU_DEP_1) | instskip(SKIP_1) | instid1(VALU_DEP_2)
	v_cndmask_b32_e64 v28, v28, |v34|, s1
	v_add_nc_u64_e32 v[34:35], s[4:5], v[22:23]
	v_cvt_f16_f32_e32 v28, v28
	s_delay_alu instid0(VALU_DEP_1)
	v_bfi_b32 v28, 0x7fff, v28, v30
	global_store_b16 v[34:35], v28, off
	s_branch .LBB121_8
.LBB121_25:
	s_endpgm
	.section	.rodata,"a",@progbits
	.p2align	6, 0x0
	.amdhsa_kernel _ZN2at6native12_GLOBAL__N_125multi_tensor_apply_kernelINS1_18TensorListMetadataILi2EEENS1_14UnaryOpFunctorIN3c104HalfELi2ELi1ELi1EEEJNS0_4SinhIfEEEEEvT_T0_DpT1_
		.amdhsa_group_segment_fixed_size 0
		.amdhsa_private_segment_fixed_size 0
		.amdhsa_kernarg_size 3408
		.amdhsa_user_sgpr_count 2
		.amdhsa_user_sgpr_dispatch_ptr 0
		.amdhsa_user_sgpr_queue_ptr 0
		.amdhsa_user_sgpr_kernarg_segment_ptr 1
		.amdhsa_user_sgpr_dispatch_id 0
		.amdhsa_user_sgpr_kernarg_preload_length 0
		.amdhsa_user_sgpr_kernarg_preload_offset 0
		.amdhsa_user_sgpr_private_segment_size 0
		.amdhsa_wavefront_size32 1
		.amdhsa_uses_dynamic_stack 0
		.amdhsa_enable_private_segment 0
		.amdhsa_system_sgpr_workgroup_id_x 1
		.amdhsa_system_sgpr_workgroup_id_y 0
		.amdhsa_system_sgpr_workgroup_id_z 0
		.amdhsa_system_sgpr_workgroup_info 0
		.amdhsa_system_vgpr_workitem_id 0
		.amdhsa_next_free_vgpr 55
		.amdhsa_next_free_sgpr 20
		.amdhsa_named_barrier_count 0
		.amdhsa_reserve_vcc 1
		.amdhsa_float_round_mode_32 0
		.amdhsa_float_round_mode_16_64 0
		.amdhsa_float_denorm_mode_32 3
		.amdhsa_float_denorm_mode_16_64 3
		.amdhsa_fp16_overflow 0
		.amdhsa_memory_ordered 1
		.amdhsa_forward_progress 1
		.amdhsa_inst_pref_size 59
		.amdhsa_round_robin_scheduling 0
		.amdhsa_exception_fp_ieee_invalid_op 0
		.amdhsa_exception_fp_denorm_src 0
		.amdhsa_exception_fp_ieee_div_zero 0
		.amdhsa_exception_fp_ieee_overflow 0
		.amdhsa_exception_fp_ieee_underflow 0
		.amdhsa_exception_fp_ieee_inexact 0
		.amdhsa_exception_int_div_zero 0
	.end_amdhsa_kernel
	.section	.text._ZN2at6native12_GLOBAL__N_125multi_tensor_apply_kernelINS1_18TensorListMetadataILi2EEENS1_14UnaryOpFunctorIN3c104HalfELi2ELi1ELi1EEEJNS0_4SinhIfEEEEEvT_T0_DpT1_,"axG",@progbits,_ZN2at6native12_GLOBAL__N_125multi_tensor_apply_kernelINS1_18TensorListMetadataILi2EEENS1_14UnaryOpFunctorIN3c104HalfELi2ELi1ELi1EEEJNS0_4SinhIfEEEEEvT_T0_DpT1_,comdat
.Lfunc_end121:
	.size	_ZN2at6native12_GLOBAL__N_125multi_tensor_apply_kernelINS1_18TensorListMetadataILi2EEENS1_14UnaryOpFunctorIN3c104HalfELi2ELi1ELi1EEEJNS0_4SinhIfEEEEEvT_T0_DpT1_, .Lfunc_end121-_ZN2at6native12_GLOBAL__N_125multi_tensor_apply_kernelINS1_18TensorListMetadataILi2EEENS1_14UnaryOpFunctorIN3c104HalfELi2ELi1ELi1EEEJNS0_4SinhIfEEEEEvT_T0_DpT1_
                                        ; -- End function
	.set _ZN2at6native12_GLOBAL__N_125multi_tensor_apply_kernelINS1_18TensorListMetadataILi2EEENS1_14UnaryOpFunctorIN3c104HalfELi2ELi1ELi1EEEJNS0_4SinhIfEEEEEvT_T0_DpT1_.num_vgpr, 55
	.set _ZN2at6native12_GLOBAL__N_125multi_tensor_apply_kernelINS1_18TensorListMetadataILi2EEENS1_14UnaryOpFunctorIN3c104HalfELi2ELi1ELi1EEEJNS0_4SinhIfEEEEEvT_T0_DpT1_.num_agpr, 0
	.set _ZN2at6native12_GLOBAL__N_125multi_tensor_apply_kernelINS1_18TensorListMetadataILi2EEENS1_14UnaryOpFunctorIN3c104HalfELi2ELi1ELi1EEEJNS0_4SinhIfEEEEEvT_T0_DpT1_.numbered_sgpr, 20
	.set _ZN2at6native12_GLOBAL__N_125multi_tensor_apply_kernelINS1_18TensorListMetadataILi2EEENS1_14UnaryOpFunctorIN3c104HalfELi2ELi1ELi1EEEJNS0_4SinhIfEEEEEvT_T0_DpT1_.num_named_barrier, 0
	.set _ZN2at6native12_GLOBAL__N_125multi_tensor_apply_kernelINS1_18TensorListMetadataILi2EEENS1_14UnaryOpFunctorIN3c104HalfELi2ELi1ELi1EEEJNS0_4SinhIfEEEEEvT_T0_DpT1_.private_seg_size, 0
	.set _ZN2at6native12_GLOBAL__N_125multi_tensor_apply_kernelINS1_18TensorListMetadataILi2EEENS1_14UnaryOpFunctorIN3c104HalfELi2ELi1ELi1EEEJNS0_4SinhIfEEEEEvT_T0_DpT1_.uses_vcc, 1
	.set _ZN2at6native12_GLOBAL__N_125multi_tensor_apply_kernelINS1_18TensorListMetadataILi2EEENS1_14UnaryOpFunctorIN3c104HalfELi2ELi1ELi1EEEJNS0_4SinhIfEEEEEvT_T0_DpT1_.uses_flat_scratch, 0
	.set _ZN2at6native12_GLOBAL__N_125multi_tensor_apply_kernelINS1_18TensorListMetadataILi2EEENS1_14UnaryOpFunctorIN3c104HalfELi2ELi1ELi1EEEJNS0_4SinhIfEEEEEvT_T0_DpT1_.has_dyn_sized_stack, 0
	.set _ZN2at6native12_GLOBAL__N_125multi_tensor_apply_kernelINS1_18TensorListMetadataILi2EEENS1_14UnaryOpFunctorIN3c104HalfELi2ELi1ELi1EEEJNS0_4SinhIfEEEEEvT_T0_DpT1_.has_recursion, 0
	.set _ZN2at6native12_GLOBAL__N_125multi_tensor_apply_kernelINS1_18TensorListMetadataILi2EEENS1_14UnaryOpFunctorIN3c104HalfELi2ELi1ELi1EEEJNS0_4SinhIfEEEEEvT_T0_DpT1_.has_indirect_call, 0
	.section	.AMDGPU.csdata,"",@progbits
; Kernel info:
; codeLenInByte = 7500
; TotalNumSgprs: 22
; NumVgprs: 55
; ScratchSize: 0
; MemoryBound: 0
; FloatMode: 240
; IeeeMode: 1
; LDSByteSize: 0 bytes/workgroup (compile time only)
; SGPRBlocks: 0
; VGPRBlocks: 3
; NumSGPRsForWavesPerEU: 22
; NumVGPRsForWavesPerEU: 55
; NamedBarCnt: 0
; Occupancy: 16
; WaveLimiterHint : 0
; COMPUTE_PGM_RSRC2:SCRATCH_EN: 0
; COMPUTE_PGM_RSRC2:USER_SGPR: 2
; COMPUTE_PGM_RSRC2:TRAP_HANDLER: 0
; COMPUTE_PGM_RSRC2:TGID_X_EN: 1
; COMPUTE_PGM_RSRC2:TGID_Y_EN: 0
; COMPUTE_PGM_RSRC2:TGID_Z_EN: 0
; COMPUTE_PGM_RSRC2:TIDIG_COMP_CNT: 0
	.section	.text._ZN2at6native12_GLOBAL__N_125multi_tensor_apply_kernelINS1_18TensorListMetadataILi2EEENS1_14UnaryOpFunctorIN3c108BFloat16ELi2ELi1ELi1EEEJNS0_4SinhIfEEEEEvT_T0_DpT1_,"axG",@progbits,_ZN2at6native12_GLOBAL__N_125multi_tensor_apply_kernelINS1_18TensorListMetadataILi2EEENS1_14UnaryOpFunctorIN3c108BFloat16ELi2ELi1ELi1EEEJNS0_4SinhIfEEEEEvT_T0_DpT1_,comdat
	.globl	_ZN2at6native12_GLOBAL__N_125multi_tensor_apply_kernelINS1_18TensorListMetadataILi2EEENS1_14UnaryOpFunctorIN3c108BFloat16ELi2ELi1ELi1EEEJNS0_4SinhIfEEEEEvT_T0_DpT1_ ; -- Begin function _ZN2at6native12_GLOBAL__N_125multi_tensor_apply_kernelINS1_18TensorListMetadataILi2EEENS1_14UnaryOpFunctorIN3c108BFloat16ELi2ELi1ELi1EEEJNS0_4SinhIfEEEEEvT_T0_DpT1_
	.p2align	8
	.type	_ZN2at6native12_GLOBAL__N_125multi_tensor_apply_kernelINS1_18TensorListMetadataILi2EEENS1_14UnaryOpFunctorIN3c108BFloat16ELi2ELi1ELi1EEEJNS0_4SinhIfEEEEEvT_T0_DpT1_,@function
_ZN2at6native12_GLOBAL__N_125multi_tensor_apply_kernelINS1_18TensorListMetadataILi2EEENS1_14UnaryOpFunctorIN3c108BFloat16ELi2ELi1ELi1EEEJNS0_4SinhIfEEEEEvT_T0_DpT1_: ; @_ZN2at6native12_GLOBAL__N_125multi_tensor_apply_kernelINS1_18TensorListMetadataILi2EEENS1_14UnaryOpFunctorIN3c108BFloat16ELi2ELi1ELi1EEEJNS0_4SinhIfEEEEEvT_T0_DpT1_
; %bb.0:
	s_bfe_u32 s2, ttmp6, 0x4000c
	s_and_b32 s3, ttmp6, 15
	s_add_co_i32 s2, s2, 1
	s_getreg_b32 s4, hwreg(HW_REG_IB_STS2, 6, 4)
	s_mul_i32 s2, ttmp9, s2
	s_delay_alu instid0(SALU_CYCLE_1)
	s_add_co_i32 s3, s3, s2
	s_cmp_eq_u32 s4, 0
	s_cselect_b32 s2, ttmp9, s3
	s_mov_b32 s3, 0
	s_load_u8 s11, s[0:1], s2 offset:0x600
	s_add_nc_u64 s[4:5], s[0:1], s[2:3]
	s_mul_u64 s[6:7], s[2:3], 3
	s_mov_b32 s15, s3
	s_add_nc_u64 s[4:5], s[4:5], s[6:7]
	s_load_b32 s10, s[4:5], 0x740
	s_wait_kmcnt 0x0
	s_clause 0x2
	s_load_b64 s[6:7], s[0:1], s11 offset:0x0 scale_offset
	s_load_b64 s[8:9], s[0:1], s11 offset:0x200 scale_offset
	;; [unrolled: 1-line block ×3, first 2 shown]
	s_wait_xcnt 0x0
	s_ashr_i32 s11, s10, 31
	s_delay_alu instid0(SALU_CYCLE_1)
	s_lshl_b64 s[4:5], s[10:11], 17
	s_wait_kmcnt 0x0
	s_and_b64 s[18:19], s[8:9], 7
	s_add_nc_u64 s[16:17], s[6:7], s[4:5]
	s_and_b32 s14, s12, 3
	s_and_b32 s2, s16, 7
	s_or_b64 s[14:15], s[18:19], s[14:15]
	s_lshl_b64 s[10:11], s[10:11], 16
	s_or_b64 s[2:3], s[14:15], s[2:3]
	s_sub_nc_u64 s[10:11], s[12:13], s[10:11]
	s_cmp_eq_u64 s[2:3], 0
	s_mov_b32 s2, -1
	s_cbranch_scc0 .LBB122_5
; %bb.1:
	v_min_i64 v[2:3], 0x10000, s[10:11]
	v_dual_mov_b32 v13, 0 :: v_dual_lshlrev_b32 v12, 2, v0
	s_mov_b32 s3, exec_lo
	s_delay_alu instid0(VALU_DEP_1)
	v_cmpx_lt_i64_e64 v[12:13], v[2:3]
	s_cbranch_execz .LBB122_4
; %bb.2:
	s_load_b32 s2, s[0:1], 0xc5c
	v_dual_mov_b32 v1, v13 :: v_dual_lshlrev_b32 v12, 3, v0
	s_mov_b32 s15, -1.0
	v_mov_b32_e32 v5, 0x3f317218
	v_mov_b64_e32 v[10:11], s[14:15]
	s_delay_alu instid0(VALU_DEP_3)
	v_mov_b64_e32 v[14:15], v[0:1]
	v_add_nc_u64_e32 v[12:13], s[4:5], v[12:13]
	v_dual_mov_b32 v7, -1.0 :: v_dual_mov_b32 v9, 1.0
	s_mov_b32 s13, 0
	s_mov_b32 s16, 0x3ab42872
	;; [unrolled: 1-line block ×4, first 2 shown]
	s_wait_kmcnt 0x0
	s_and_b32 s12, s2, 0xffff
	s_delay_alu instid0(SALU_CYCLE_1)
	s_lshl_b32 s14, s12, 3
.LBB122_3:                              ; =>This Inner Loop Header: Depth=1
	v_add_nc_u64_e32 v[16:17], s[6:7], v[12:13]
	v_add_nc_u64_e32 v[14:15], s[12:13], v[14:15]
	global_load_b64 v[16:17], v[16:17], off
	v_lshlrev_b64_e32 v[18:19], 2, v[14:15]
	s_wait_loadcnt 0x0
	v_and_b32_e32 v44, 0xffff0000, v16
	v_alignbit_b32 v6, v17, v16, 16
	v_and_b32_e32 v45, 0xffff0000, v17
	s_delay_alu instid0(VALU_DEP_3) | instskip(NEXT) | instid1(VALU_DEP_3)
	v_add_f32_e64 v26, 0xbf317218, |v44|
	v_and_b32_e32 v46, 0xffff0000, v6
	s_delay_alu instid0(VALU_DEP_3) | instskip(SKIP_1) | instid1(VALU_DEP_4)
	v_add_f32_e64 v6, 0xbf317218, |v45|
	v_cmp_nlt_f32_e64 s2, 0x42b2d4fc, |v44|
	v_sub_f32_e64 v21, v26, |v44|
	v_lshlrev_b32_e32 v1, 16, v16
	v_add_f32_e64 v27, 0xbf317218, |v46|
	v_sub_f32_e64 v23, v6, |v45|
	s_delay_alu instid0(VALU_DEP_4) | instskip(NEXT) | instid1(VALU_DEP_4)
	v_sub_f32_e32 v20, v21, v26
	v_add_f32_e64 v8, 0xbf317218, |v1|
	v_and_b32_e32 v4, 0x7fffffff, v1
	v_sub_f32_e64 v25, v27, |v46|
	v_cmp_nlt_f32_e64 vcc_lo, 0x42b2d4fc, |v1|
	v_cmp_gt_f32_e64 s18, 0x39800000, |v1|
	s_wait_xcnt 0x0
	v_sub_f32_e64 v17, v8, |v1|
	s_delay_alu instid0(VALU_DEP_1) | instskip(NEXT) | instid1(VALU_DEP_1)
	v_dual_sub_f32 v22, v23, v6 :: v_dual_sub_f32 v16, v17, v8
	v_pk_add_f32 v[16:17], v[4:5], v[16:17]
	v_and_b32_e32 v4, 0x7fffffff, v44
	s_delay_alu instid0(VALU_DEP_2) | instskip(NEXT) | instid1(VALU_DEP_2)
	v_dual_sub_f32 v24, v25, v27 :: v_dual_sub_f32 v28, v16, v17
	v_pk_add_f32 v[16:17], v[4:5], v[20:21]
	v_and_b32_e32 v4, 0x7fffffff, v46
	s_delay_alu instid0(VALU_DEP_2) | instskip(NEXT) | instid1(VALU_DEP_2)
	v_dual_add_f32 v20, 0x3102e308, v28 :: v_dual_sub_f32 v21, v16, v17
	v_pk_add_f32 v[16:17], v[4:5], v[24:25]
	v_and_b32_e32 v4, 0x7fffffff, v45
	s_delay_alu instid0(VALU_DEP_3) | instskip(NEXT) | instid1(VALU_DEP_3)
	v_dual_add_f32 v24, v8, v20 :: v_dual_add_f32 v21, 0x3102e308, v21
	v_sub_f32_e32 v25, v16, v17
	s_delay_alu instid0(VALU_DEP_3) | instskip(NEXT) | instid1(VALU_DEP_3)
	v_pk_add_f32 v[16:17], v[4:5], v[22:23]
	v_dual_sub_f32 v4, v8, v24 :: v_dual_add_f32 v23, v26, v21
	v_mul_f32_e32 v8, 0x3fb8aa3b, v24
	s_delay_alu instid0(VALU_DEP_3) | instskip(NEXT) | instid1(VALU_DEP_3)
	v_sub_f32_e32 v16, v16, v17
	v_dual_add_f32 v4, v20, v4 :: v_dual_sub_f32 v20, v26, v23
	s_delay_alu instid0(VALU_DEP_3) | instskip(NEXT) | instid1(VALU_DEP_3)
	v_rndne_f32_e32 v8, v8
	v_add_f32_e32 v16, 0x3102e308, v16
	v_add_f32_e32 v22, 0x3102e308, v25
	v_mul_f32_e32 v25, 0x3fb8aa3b, v23
	s_delay_alu instid0(VALU_DEP_4) | instskip(NEXT) | instid1(VALU_DEP_3)
	v_mul_f32_e32 v17, 0x2ea39ef3, v8
	v_dual_add_f32 v31, v6, v16 :: v_dual_add_f32 v28, v27, v22
	s_delay_alu instid0(VALU_DEP_3) | instskip(SKIP_1) | instid1(VALU_DEP_3)
	v_rndne_f32_e32 v25, v25
	v_fmac_f32_e32 v24, 0xbf317200, v8
	v_dual_add_f32 v20, v21, v20 :: v_dual_sub_f32 v6, v6, v31
	s_delay_alu instid0(VALU_DEP_4) | instskip(NEXT) | instid1(VALU_DEP_4)
	v_dual_sub_f32 v26, v27, v28 :: v_dual_mul_f32 v27, 0x3fb8aa3b, v28
	v_fmac_f32_e32 v23, 0xbf317200, v25
	s_delay_alu instid0(VALU_DEP_4) | instskip(NEXT) | instid1(VALU_DEP_3)
	v_dual_add_f32 v29, v4, v24 :: v_dual_mul_f32 v32, 0x35bfbc00, v25
	v_add_f32_e32 v33, v22, v26
	s_delay_alu instid0(VALU_DEP_4) | instskip(SKIP_3) | instid1(VALU_DEP_4)
	v_rndne_f32_e32 v26, v27
	v_mul_f32_e32 v30, 0x35bfbc00, v8
	v_mul_f32_e32 v27, 0x3fb8aa3b, v31
	v_dual_mul_f32 v21, 0x2ea39ef3, v25 :: v_dual_add_f32 v34, v20, v23
	v_dual_mul_f32 v35, 0x35bfbc00, v26 :: v_dual_sub_f32 v24, v24, v29
	s_delay_alu instid0(VALU_DEP_4)
	v_sub_f32_e32 v22, v29, v30
	v_add_f32_e32 v6, v16, v6
	v_rndne_f32_e32 v16, v27
	v_cvt_i32_f32_e32 v36, v25
	v_fmac_f32_e32 v28, 0xbf317200, v26
	v_mul_f32_e32 v25, 0x2ea39ef3, v26
	v_cvt_i32_f32_e32 v42, v26
	v_dual_add_f32 v4, v4, v24 :: v_dual_sub_f32 v24, v29, v22
	v_sub_f32_e32 v26, v34, v32
	v_fmac_f32_e32 v31, 0xbf317200, v16
	v_dual_sub_f32 v23, v23, v34 :: v_dual_add_f32 v27, v33, v28
	v_mul_f32_e32 v37, 0x35bfbc00, v16
	v_mul_f32_e32 v29, 0x2ea39ef3, v16
	v_cvt_i32_f32_e32 v47, v16
	v_sub_f32_e32 v16, v24, v30
	v_dual_add_f32 v20, v20, v23 :: v_dual_sub_f32 v23, v34, v26
	v_sub_f32_e32 v24, v28, v27
	s_delay_alu instid0(VALU_DEP_3) | instskip(NEXT) | instid1(VALU_DEP_3)
	v_dual_sub_f32 v30, v27, v35 :: v_dual_add_f32 v4, v4, v16
	v_dual_add_f32 v28, v6, v31 :: v_dual_sub_f32 v16, v23, v32
	s_delay_alu instid0(VALU_DEP_2) | instskip(NEXT) | instid1(VALU_DEP_2)
	v_dual_add_f32 v24, v33, v24 :: v_dual_sub_f32 v27, v27, v30
	v_dual_add_f32 v23, v22, v4 :: v_dual_sub_f32 v32, v28, v37
	v_sub_f32_e32 v31, v31, v28
	s_delay_alu instid0(VALU_DEP_3) | instskip(NEXT) | instid1(VALU_DEP_3)
	v_dual_add_f32 v38, v20, v16 :: v_dual_sub_f32 v20, v27, v35
	v_dual_mov_b32 v16, v23 :: v_dual_sub_f32 v28, v28, v32
	s_delay_alu instid0(VALU_DEP_3) | instskip(NEXT) | instid1(VALU_DEP_3)
	v_add_f32_e32 v6, v6, v31
	v_dual_add_f32 v27, v26, v38 :: v_dual_add_f32 v39, v24, v20
	s_delay_alu instid0(VALU_DEP_3) | instskip(NEXT) | instid1(VALU_DEP_4)
	v_pk_add_f32 v[34:35], v[22:23], v[16:17] neg_lo:[0,1] neg_hi:[0,1]
	v_sub_f32_e32 v24, v28, v37
	v_cvt_i32_f32_e32 v8, v8
	s_delay_alu instid0(VALU_DEP_4) | instskip(NEXT) | instid1(VALU_DEP_3)
	v_mov_b32_e32 v20, v27
	v_dual_sub_f32 v16, v23, v35 :: v_dual_add_f32 v6, v6, v24
	v_add_f32_e32 v31, v30, v39
	s_delay_alu instid0(VALU_DEP_3) | instskip(SKIP_1) | instid1(VALU_DEP_4)
	v_pk_add_f32 v[22:23], v[26:27], v[20:21] neg_lo:[0,1] neg_hi:[0,1]
	v_add_f32_e32 v4, v4, v34
	v_sub_f32_e32 v20, v16, v17
	s_delay_alu instid0(VALU_DEP_4) | instskip(NEXT) | instid1(VALU_DEP_4)
	v_dual_add_f32 v33, v32, v6 :: v_dual_mov_b32 v24, v31
	v_dual_sub_f32 v26, v27, v23 :: v_dual_add_f32 v22, v38, v22
	s_delay_alu instid0(VALU_DEP_2) | instskip(NEXT) | instid1(VALU_DEP_3)
	v_dual_add_f32 v4, v4, v20 :: v_dual_mov_b32 v28, v33
	v_pk_add_f32 v[16:17], v[30:31], v[24:25] neg_lo:[0,1] neg_hi:[0,1]
	s_delay_alu instid0(VALU_DEP_3) | instskip(NEXT) | instid1(VALU_DEP_3)
	v_sub_f32_e32 v24, v26, v21
	v_pk_add_f32 v[20:21], v[32:33], v[28:29] neg_lo:[0,1] neg_hi:[0,1]
	s_delay_alu instid0(VALU_DEP_2) | instskip(SKIP_1) | instid1(VALU_DEP_2)
	v_dual_sub_f32 v26, v31, v17 :: v_dual_add_f32 v22, v22, v24
	v_add_f32_e32 v27, v35, v4
	v_dual_add_f32 v16, v39, v16 :: v_dual_sub_f32 v24, v26, v25
	s_delay_alu instid0(VALU_DEP_4) | instskip(NEXT) | instid1(VALU_DEP_3)
	v_dual_sub_f32 v25, v33, v21 :: v_dual_add_f32 v6, v6, v20
	v_sub_f32_e32 v26, v35, v27
	v_add_f32_e32 v30, v23, v22
	s_delay_alu instid0(VALU_DEP_4) | instskip(NEXT) | instid1(VALU_DEP_4)
	v_dual_mul_f32 v28, v27, v27 :: v_dual_add_f32 v16, v16, v24
	v_sub_f32_e32 v24, v25, v29
	s_delay_alu instid0(VALU_DEP_3) | instskip(NEXT) | instid1(VALU_DEP_3)
	v_dual_fmaak_f32 v20, s16, v27, 0x3c091de6 :: v_dual_sub_f32 v23, v23, v30
	v_dual_add_f32 v4, v4, v26 :: v_dual_fma_f32 v25, v27, v27, -v28
	s_delay_alu instid0(VALU_DEP_4) | instskip(NEXT) | instid1(VALU_DEP_3)
	v_dual_fmaak_f32 v26, s16, v30, 0x3c091de6 :: v_dual_add_f32 v31, v17, v16
	v_dual_fmaak_f32 v20, v27, v20, 0x3d2aadcc :: v_dual_mul_f32 v29, v30, v30
	v_add_f32_e32 v6, v6, v24
	s_delay_alu instid0(VALU_DEP_4) | instskip(NEXT) | instid1(VALU_DEP_4)
	v_dual_add_f32 v24, v4, v4 :: v_dual_add_f32 v22, v22, v23
	v_dual_fmaak_f32 v26, v30, v26, 0x3d2aadcc :: v_dual_mul_f32 v33, v31, v31
	s_delay_alu instid0(VALU_DEP_2)
	v_dual_fmaak_f32 v32, s16, v31, 0x3c091de6 :: v_dual_fmac_f32 v25, v27, v24
	v_dual_sub_f32 v17, v17, v31 :: v_dual_fmaak_f32 v20, v27, v20, 0x3e2aaa47
	v_add_f32_e32 v37, v21, v6
	v_fma_f32 v23, v30, v30, -v29
	v_fmaak_f32 v24, v30, v26, 0x3e2aaa47
	v_add_f32_e32 v26, v22, v22
	s_delay_alu instid0(VALU_DEP_4) | instskip(SKIP_1) | instid1(VALU_DEP_3)
	v_dual_fmaak_f32 v20, v27, v20, 0x3efffffc :: v_dual_sub_f32 v21, v21, v37
	v_dual_add_f32 v17, v16, v17 :: v_dual_fma_f32 v16, v31, v31, -v33
	v_dual_fmaak_f32 v32, v31, v32, 0x3d2aadcc :: v_dual_fmac_f32 v23, v30, v26
	v_add_f32_e32 v38, v28, v25
	v_mul_f32_e32 v35, v37, v37
	s_delay_alu instid0(VALU_DEP_3) | instskip(NEXT) | instid1(VALU_DEP_4)
	v_dual_add_f32 v39, v6, v21 :: v_dual_fmaak_f32 v26, v31, v32, 0x3e2aaa47
	v_add_f32_e32 v40, v29, v23
	s_delay_alu instid0(VALU_DEP_4) | instskip(NEXT) | instid1(VALU_DEP_4)
	v_dual_add_f32 v32, v17, v17 :: v_dual_sub_f32 v6, v38, v28
	v_dual_fma_f32 v21, v37, v37, -v35 :: v_dual_mul_f32 v28, v20, v38
	s_delay_alu instid0(VALU_DEP_3) | instskip(NEXT) | instid1(VALU_DEP_3)
	v_dual_fmaak_f32 v24, v30, v24, 0x3efffffc :: v_dual_sub_f32 v29, v40, v29
	v_dual_fmac_f32 v16, v31, v32 :: v_dual_sub_f32 v6, v25, v6
	v_fmaak_f32 v34, s16, v37, 0x3c091de6
	s_delay_alu instid0(VALU_DEP_4) | instskip(NEXT) | instid1(VALU_DEP_4)
	v_fma_f32 v25, v38, v20, -v28
	v_mul_f32_e32 v38, v24, v40
	s_delay_alu instid0(VALU_DEP_4) | instskip(NEXT) | instid1(VALU_DEP_3)
	v_dual_add_f32 v41, v33, v16 :: v_dual_fmaak_f32 v26, v31, v26, 0x3efffffc
	v_dual_fmaak_f32 v34, v37, v34, 0x3d2aadcc :: v_dual_fmac_f32 v25, v6, v20
	v_sub_f32_e32 v6, v23, v29
	s_delay_alu instid0(VALU_DEP_3) | instskip(NEXT) | instid1(VALU_DEP_3)
	v_sub_f32_e32 v23, v41, v33
	v_dual_mul_f32 v29, v26, v41 :: v_dual_fmaak_f32 v32, v37, v34, 0x3e2aaa47
	v_add_f32_e32 v34, v39, v39
	s_delay_alu instid0(VALU_DEP_2) | instskip(NEXT) | instid1(VALU_DEP_2)
	v_dual_sub_f32 v16, v16, v23 :: v_dual_fma_f32 v23, v41, v26, -v29
	v_dual_fmac_f32 v21, v37, v34 :: v_dual_fma_f32 v20, v40, v24, -v38
	s_delay_alu instid0(VALU_DEP_2) | instskip(NEXT) | instid1(VALU_DEP_2)
	v_dual_fmaak_f32 v32, v37, v32, 0x3efffffc :: v_dual_fmac_f32 v23, v16, v26
	v_add_f32_e32 v33, v35, v21
	s_delay_alu instid0(VALU_DEP_3) | instskip(NEXT) | instid1(VALU_DEP_2)
	v_dual_add_f32 v34, v28, v25 :: v_dual_fmac_f32 v20, v6, v24
	v_dual_sub_f32 v24, v33, v35 :: v_dual_mul_f32 v35, v32, v33
	s_delay_alu instid0(VALU_DEP_2) | instskip(NEXT) | instid1(VALU_DEP_3)
	v_dual_sub_f32 v28, v34, v28 :: v_dual_add_f32 v6, v27, v34
	v_add_f32_e32 v40, v38, v20
	s_delay_alu instid0(VALU_DEP_3) | instskip(NEXT) | instid1(VALU_DEP_3)
	v_sub_f32_e32 v16, v21, v24
	v_dual_fma_f32 v21, v33, v32, -v35 :: v_dual_sub_f32 v24, v6, v27
	s_delay_alu instid0(VALU_DEP_3) | instskip(NEXT) | instid1(VALU_DEP_2)
	v_dual_sub_f32 v26, v40, v38 :: v_dual_sub_f32 v25, v25, v28
	v_dual_add_f32 v28, v29, v23 :: v_dual_fmac_f32 v21, v16, v32
	s_delay_alu instid0(VALU_DEP_2) | instskip(NEXT) | instid1(VALU_DEP_3)
	v_dual_sub_f32 v20, v20, v26 :: v_dual_sub_f32 v16, v34, v24
	v_add_f32_e32 v4, v4, v25
	s_delay_alu instid0(VALU_DEP_3) | instskip(NEXT) | instid1(VALU_DEP_2)
	v_sub_f32_e32 v24, v28, v29
	v_dual_add_f32 v38, v35, v21 :: v_dual_add_f32 v16, v4, v16
	s_delay_alu instid0(VALU_DEP_4) | instskip(NEXT) | instid1(VALU_DEP_2)
	v_add_f32_e32 v4, v22, v20
	v_dual_sub_f32 v22, v23, v24 :: v_dual_sub_f32 v23, v38, v35
	s_delay_alu instid0(VALU_DEP_1) | instskip(NEXT) | instid1(VALU_DEP_1)
	v_dual_add_f32 v20, v6, v16 :: v_dual_add_f32 v29, v17, v22
	v_dual_sub_f32 v22, v21, v23 :: v_dual_add_f32 v21, 1.0, v20
	s_delay_alu instid0(VALU_DEP_1) | instskip(NEXT) | instid1(VALU_DEP_2)
	v_dual_mov_b32 v17, v20 :: v_dual_add_f32 v39, v39, v22
	v_pk_add_f32 v[24:25], v[20:21], v[10:11]
	v_pk_add_f32 v[22:23], v[20:21], v[6:7] neg_lo:[0,1] neg_hi:[0,1]
	s_delay_alu instid0(VALU_DEP_2) | instskip(NEXT) | instid1(VALU_DEP_1)
	v_dual_add_f32 v6, v30, v40 :: v_dual_mov_b32 v23, v25
	v_pk_add_f32 v[16:17], v[16:17], v[22:23] neg_lo:[0,1] neg_hi:[0,1]
	s_delay_alu instid0(VALU_DEP_1) | instskip(NEXT) | instid1(VALU_DEP_1)
	v_dual_sub_f32 v20, v6, v30 :: v_dual_add_f32 v24, v16, v17
	v_sub_f32_e32 v20, v40, v20
	s_delay_alu instid0(VALU_DEP_1) | instskip(NEXT) | instid1(VALU_DEP_3)
	v_add_f32_e32 v16, v4, v20
	v_add_f32_e32 v4, v21, v24
	s_delay_alu instid0(VALU_DEP_1) | instskip(NEXT) | instid1(VALU_DEP_3)
	v_ldexp_f32 v25, v4, v8
	v_dual_sub_f32 v4, v4, v21 :: v_dual_add_f32 v22, v6, v16
	s_delay_alu instid0(VALU_DEP_2) | instskip(NEXT) | instid1(VALU_DEP_1)
	v_rcp_f32_e32 v48, v25
	v_add_f32_e32 v23, 1.0, v22
	s_delay_alu instid0(VALU_DEP_1) | instskip(SKIP_1) | instid1(VALU_DEP_2)
	v_pk_add_f32 v[20:21], v[22:23], v[10:11]
	v_pk_add_f32 v[26:27], v[22:23], v[6:7] neg_lo:[0,1] neg_hi:[0,1]
	v_dual_mov_b32 v27, v21 :: v_dual_mov_b32 v17, v22
	s_delay_alu instid0(VALU_DEP_1) | instskip(NEXT) | instid1(TRANS32_DEP_1)
	v_pk_add_f32 v[16:17], v[16:17], v[26:27] neg_lo:[0,1] neg_hi:[0,1]
	v_mul_f32_e32 v22, v25, v48
	s_delay_alu instid0(VALU_DEP_1) | instskip(NEXT) | instid1(VALU_DEP_1)
	v_dual_add_f32 v6, v31, v28 :: v_dual_fma_f32 v26, v48, v25, -v22
	v_dual_sub_f32 v4, v24, v4 :: v_dual_sub_f32 v20, v6, v31
	s_delay_alu instid0(VALU_DEP_1) | instskip(NEXT) | instid1(VALU_DEP_1)
	v_ldexp_f32 v21, v4, v8
	v_fmac_f32_e32 v26, v48, v21
	s_delay_alu instid0(VALU_DEP_3) | instskip(NEXT) | instid1(VALU_DEP_2)
	v_sub_f32_e32 v4, v28, v20
	v_dual_add_f32 v20, v16, v17 :: v_dual_add_f32 v8, v22, v26
	s_delay_alu instid0(VALU_DEP_2) | instskip(NEXT) | instid1(VALU_DEP_2)
	v_add_f32_e32 v16, v29, v4
	v_dual_add_f32 v4, v23, v20 :: v_dual_mov_b32 v27, v8
	s_delay_alu instid0(VALU_DEP_1) | instskip(SKIP_1) | instid1(VALU_DEP_2)
	v_dual_sub_f32 v30, v4, v23 :: v_dual_add_f32 v28, v6, v16
	v_ldexp_f32 v24, v4, v36
	v_dual_sub_f32 v23, 1.0, v8 :: v_dual_sub_f32 v4, v20, v30
	s_delay_alu instid0(VALU_DEP_3) | instskip(NEXT) | instid1(VALU_DEP_3)
	v_dual_add_f32 v29, 1.0, v28 :: v_dual_mov_b32 v17, v28
	v_rcp_f32_e32 v49, v24
	s_delay_alu instid0(VALU_DEP_2) | instskip(NEXT) | instid1(VALU_DEP_3)
	v_pk_add_f32 v[34:35], v[8:9], v[22:23] neg_lo:[0,1] neg_hi:[0,1]
	v_ldexp_f32 v20, v4, v36
	s_delay_alu instid0(VALU_DEP_3) | instskip(SKIP_3) | instid1(VALU_DEP_4)
	v_pk_add_f32 v[32:33], v[28:29], v[10:11]
	v_pk_add_f32 v[30:31], v[28:29], v[6:7] neg_lo:[0,1] neg_hi:[0,1]
	v_add_f32_e32 v6, v37, v38
	v_pk_add_f32 v[26:27], v[34:35], v[26:27] neg_lo:[0,1] neg_hi:[0,1]
	v_dual_mul_f32 v22, v24, v49 :: v_dual_mov_b32 v31, v33
	s_delay_alu instid0(VALU_DEP_3) | instskip(NEXT) | instid1(VALU_DEP_2)
	v_sub_f32_e32 v4, v6, v37
	v_dual_add_f32 v27, v26, v27 :: v_dual_fma_f32 v26, v49, v24, -v22
	s_delay_alu instid0(VALU_DEP_3) | instskip(NEXT) | instid1(VALU_DEP_2)
	v_pk_add_f32 v[16:17], v[16:17], v[30:31] neg_lo:[0,1] neg_hi:[0,1]
	v_dual_sub_f32 v4, v38, v4 :: v_dual_add_f32 v31, v23, v27
	s_delay_alu instid0(VALU_DEP_2) | instskip(NEXT) | instid1(VALU_DEP_2)
	v_dual_fmac_f32 v26, v49, v20 :: v_dual_add_f32 v30, v16, v17
	v_dual_add_f32 v16, v39, v4 :: v_dual_mul_f32 v32, v48, v31
	s_delay_alu instid0(VALU_DEP_2) | instskip(NEXT) | instid1(VALU_DEP_2)
	v_dual_sub_f32 v23, v23, v31 :: v_dual_add_f32 v8, v22, v26
	v_dual_add_f32 v4, v29, v30 :: v_dual_add_f32 v28, v6, v16
	s_delay_alu instid0(VALU_DEP_3) | instskip(NEXT) | instid1(VALU_DEP_2)
	v_dual_mul_f32 v34, v25, v32 :: v_dual_add_f32 v50, v48, v32
	v_ldexp_f32 v33, v4, v42
	s_delay_alu instid0(VALU_DEP_3) | instskip(SKIP_2) | instid1(VALU_DEP_4)
	v_dual_sub_f32 v35, v4, v29 :: v_dual_add_f32 v29, 1.0, v28
	v_dual_mov_b32 v17, v28 :: v_dual_add_f32 v4, v27, v23
	v_dual_sub_f32 v23, 1.0, v8 :: v_dual_mov_b32 v27, v8
	v_rcp_f32_e32 v51, v33
	s_delay_alu instid0(VALU_DEP_3) | instskip(SKIP_3) | instid1(VALU_DEP_4)
	v_pk_add_f32 v[38:39], v[28:29], v[10:11]
	v_dual_sub_f32 v30, v30, v35 :: v_dual_fma_f32 v38, v32, v25, -v34
	v_pk_add_f32 v[36:37], v[28:29], v[6:7] neg_lo:[0,1] neg_hi:[0,1]
	v_pk_add_f32 v[40:41], v[8:9], v[22:23] neg_lo:[0,1] neg_hi:[0,1]
	v_dual_sub_f32 v6, v50, v48 :: v_dual_mov_b32 v37, v39
	s_delay_alu instid0(VALU_DEP_4) | instskip(SKIP_1) | instid1(VALU_DEP_4)
	v_fmac_f32_e32 v38, v32, v21
	v_ldexp_f32 v43, v30, v42
	v_pk_add_f32 v[26:27], v[40:41], v[26:27] neg_lo:[0,1] neg_hi:[0,1]
	s_delay_alu instid0(VALU_DEP_4) | instskip(NEXT) | instid1(VALU_DEP_4)
	v_dual_sub_f32 v6, v32, v6 :: v_dual_mul_f32 v22, v33, v51
	v_add_f32_e32 v30, v34, v38
	v_pk_add_f32 v[16:17], v[16:17], v[36:37] neg_lo:[0,1] neg_hi:[0,1]
	s_delay_alu instid0(VALU_DEP_3) | instskip(NEXT) | instid1(VALU_DEP_2)
	v_dual_add_f32 v27, v26, v27 :: v_dual_fma_f32 v26, v51, v33, -v22
	v_dual_sub_f32 v35, v31, v30 :: v_dual_add_f32 v16, v16, v17
	s_delay_alu instid0(VALU_DEP_2) | instskip(NEXT) | instid1(VALU_DEP_3)
	v_dual_add_f32 v17, v23, v27 :: v_dual_mov_b32 v39, v30
	v_fmac_f32_e32 v26, v51, v43
	s_delay_alu instid0(VALU_DEP_3) | instskip(NEXT) | instid1(VALU_DEP_4)
	v_pk_add_f32 v[30:31], v[30:31], v[34:35] neg_lo:[0,1] neg_hi:[0,1]
	v_add_f32_e32 v28, v29, v16
	s_delay_alu instid0(VALU_DEP_4) | instskip(NEXT) | instid1(VALU_DEP_2)
	v_dual_mul_f32 v40, v49, v17 :: v_dual_sub_f32 v23, v23, v17
	v_dual_add_f32 v8, v22, v26 :: v_dual_sub_f32 v34, v28, v29
	v_ldexp_f32 v32, v28, v47
	v_pk_add_f32 v[28:29], v[30:31], v[38:39] neg_lo:[0,1] neg_hi:[0,1]
	s_delay_alu instid0(VALU_DEP_4) | instskip(NEXT) | instid1(VALU_DEP_4)
	v_dual_mul_f32 v30, v24, v40 :: v_dual_add_f32 v38, v27, v23
	v_dual_sub_f32 v23, 1.0, v8 :: v_dual_sub_f32 v16, v16, v34
	v_dual_add_f32 v39, v49, v40 :: v_dual_mov_b32 v27, v8
	s_delay_alu instid0(VALU_DEP_3) | instskip(NEXT) | instid1(VALU_DEP_3)
	v_fma_f32 v34, v40, v24, -v30
	v_pk_add_f32 v[36:37], v[8:9], v[22:23] neg_lo:[0,1] neg_hi:[0,1]
	v_rcp_f32_e32 v41, v32
	s_delay_alu instid0(VALU_DEP_3) | instskip(SKIP_4) | instid1(VALU_DEP_2)
	v_sub_f32_e32 v8, v39, v49
	v_ldexp_f32 v42, v16, v47
	v_fmac_f32_e32 v34, v40, v20
	v_add_f32_e32 v4, v4, v29
	v_pk_add_f32 v[26:27], v[36:37], v[26:27] neg_lo:[0,1] neg_hi:[0,1]
	v_dual_add_f32 v16, v30, v34 :: v_dual_add_f32 v4, v28, v4
	s_delay_alu instid0(VALU_DEP_2) | instskip(NEXT) | instid1(VALU_DEP_2)
	v_dual_add_f32 v27, v26, v27 :: v_dual_mul_f32 v22, v32, v41
	v_add_f32_e32 v4, v35, v4
	s_delay_alu instid0(VALU_DEP_2) | instskip(NEXT) | instid1(VALU_DEP_4)
	v_dual_add_f32 v29, v23, v27 :: v_dual_fma_f32 v26, v41, v32, -v22
	v_mov_b32_e32 v35, v16
	v_sub_f32_e32 v40, v40, v8
	s_delay_alu instid0(VALU_DEP_4) | instskip(NEXT) | instid1(VALU_DEP_4)
	v_mul_f32_e32 v4, v48, v4
	v_dual_sub_f32 v31, v17, v16 :: v_dual_sub_f32 v23, v23, v29
	s_delay_alu instid0(VALU_DEP_2) | instskip(NEXT) | instid1(VALU_DEP_2)
	v_dual_fmac_f32 v26, v41, v42 :: v_dual_add_f32 v4, v6, v4
	v_pk_add_f32 v[16:17], v[16:17], v[30:31] neg_lo:[0,1] neg_hi:[0,1]
	s_delay_alu instid0(VALU_DEP_2) | instskip(NEXT) | instid1(VALU_DEP_4)
	v_dual_mul_f32 v6, v51, v29 :: v_dual_add_f32 v8, v22, v26
	v_add_f32_e32 v47, v27, v23
	s_delay_alu instid0(VALU_DEP_3) | instskip(NEXT) | instid1(VALU_DEP_3)
	v_pk_add_f32 v[16:17], v[16:17], v[34:35] neg_lo:[0,1] neg_hi:[0,1]
	v_dual_mul_f32 v30, v33, v6 :: v_dual_add_f32 v28, v50, v4
	s_delay_alu instid0(VALU_DEP_4) | instskip(NEXT) | instid1(VALU_DEP_3)
	v_dual_add_f32 v48, v51, v6 :: v_dual_sub_f32 v23, 1.0, v8
	v_dual_mov_b32 v27, v8 :: v_dual_add_f32 v38, v38, v17
	s_delay_alu instid0(VALU_DEP_3) | instskip(NEXT) | instid1(VALU_DEP_3)
	v_dual_sub_f32 v35, v28, v50 :: v_dual_fma_f32 v34, v6, v33, -v30
	v_pk_add_f32 v[36:37], v[8:9], v[22:23] neg_lo:[0,1] neg_hi:[0,1]
	s_delay_alu instid0(VALU_DEP_4) | instskip(NEXT) | instid1(VALU_DEP_4)
	v_sub_f32_e32 v8, v48, v51
	v_add_f32_e32 v16, v16, v38
	v_ldexp_f32 v17, v28, -2
	v_fmac_f32_e32 v34, v6, v43
	v_pk_add_f32 v[26:27], v[36:37], v[26:27] neg_lo:[0,1] neg_hi:[0,1]
	v_dual_sub_f32 v4, v4, v35 :: v_dual_sub_f32 v6, v6, v8
	s_delay_alu instid0(VALU_DEP_3) | instskip(NEXT) | instid1(VALU_DEP_3)
	v_dual_add_f32 v8, v31, v16 :: v_dual_add_f32 v28, v30, v34
	v_add_f32_e32 v16, v26, v27
	s_delay_alu instid0(VALU_DEP_3) | instskip(NEXT) | instid1(VALU_DEP_3)
	v_ldexp_f32 v27, v4, -2
	v_mul_f32_e32 v4, v49, v8
	s_delay_alu instid0(VALU_DEP_4) | instskip(NEXT) | instid1(VALU_DEP_4)
	v_dual_sub_f32 v31, v29, v28 :: v_dual_mov_b32 v35, v28
	v_add_f32_e32 v37, v23, v16
	s_delay_alu instid0(VALU_DEP_2) | instskip(NEXT) | instid1(VALU_DEP_2)
	v_pk_add_f32 v[28:29], v[28:29], v[30:31] neg_lo:[0,1] neg_hi:[0,1]
	v_sub_f32_e32 v26, v23, v37
	s_delay_alu instid0(VALU_DEP_2) | instskip(NEXT) | instid1(VALU_DEP_2)
	v_pk_add_f32 v[22:23], v[28:29], v[34:35] neg_lo:[0,1] neg_hi:[0,1]
	v_add_f32_e32 v38, v16, v26
	v_dual_add_f32 v4, v40, v4 :: v_dual_mul_f32 v8, v41, v37
	s_delay_alu instid0(VALU_DEP_1) | instskip(SKIP_1) | instid1(VALU_DEP_1)
	v_dual_add_f32 v23, v47, v23 :: v_dual_mul_f32 v28, v32, v8
	v_add_f32_e32 v40, v41, v8
	v_dual_add_f32 v30, v39, v4 :: v_dual_sub_f32 v29, v40, v41
	s_delay_alu instid0(VALU_DEP_1) | instskip(NEXT) | instid1(VALU_DEP_4)
	v_ldexp_f32 v16, v30, -2
	v_dual_sub_f32 v26, v30, v39 :: v_dual_fma_f32 v30, v8, v32, -v28
	s_delay_alu instid0(VALU_DEP_2) | instskip(NEXT) | instid1(VALU_DEP_2)
	v_pk_add_f32 v[34:35], v[24:25], v[16:17] neg_lo:[0,1] neg_hi:[0,1]
	v_dual_sub_f32 v4, v4, v26 :: v_dual_add_f32 v26, v22, v23
	s_delay_alu instid0(VALU_DEP_3) | instskip(NEXT) | instid1(VALU_DEP_3)
	v_dual_fmac_f32 v30, v8, v42 :: v_dual_sub_f32 v8, v8, v29
	v_pk_add_f32 v[22:23], v[24:25], v[34:35] neg_lo:[0,1] neg_hi:[0,1]
	s_delay_alu instid0(VALU_DEP_3) | instskip(NEXT) | instid1(VALU_DEP_3)
	v_add_f32_e32 v24, v31, v26
	v_add_f32_e32 v36, v28, v30
	v_ldexp_f32 v26, v4, -2
	s_delay_alu instid0(VALU_DEP_4) | instskip(NEXT) | instid1(VALU_DEP_4)
	v_pk_add_f32 v[16:17], v[22:23], v[16:17] neg_lo:[0,1] neg_hi:[0,1]
	v_mul_f32_e32 v4, v51, v24
	s_delay_alu instid0(VALU_DEP_4) | instskip(NEXT) | instid1(VALU_DEP_3)
	v_dual_sub_f32 v29, v37, v36 :: v_dual_mov_b32 v31, v36
	v_pk_add_f32 v[16:17], v[20:21], v[16:17]
	s_delay_alu instid0(VALU_DEP_3) | instskip(NEXT) | instid1(VALU_DEP_3)
	v_add_f32_e32 v4, v6, v4
	v_pk_add_f32 v[20:21], v[36:37], v[28:29] neg_lo:[0,1] neg_hi:[0,1]
	s_delay_alu instid0(VALU_DEP_3) | instskip(NEXT) | instid1(VALU_DEP_2)
	v_pk_add_f32 v[16:17], v[16:17], v[26:27] neg_lo:[0,1] neg_hi:[0,1]
	v_pk_add_f32 v[20:21], v[20:21], v[30:31] neg_lo:[0,1] neg_hi:[0,1]
	s_delay_alu instid0(VALU_DEP_4) | instskip(NEXT) | instid1(VALU_DEP_3)
	v_add_f32_e32 v6, v48, v4
	v_pk_add_f32 v[16:17], v[34:35], v[16:17]
	s_delay_alu instid0(VALU_DEP_3) | instskip(NEXT) | instid1(VALU_DEP_3)
	v_add_f32_e32 v22, v38, v21
	v_sub_f32_e32 v23, v6, v48
	v_ldexp_f32 v21, v6, -2
	s_delay_alu instid0(VALU_DEP_4) | instskip(SKIP_4) | instid1(VALU_DEP_4)
	v_cndmask_b32_e64 v6, 0x7f800000, v16, s2
	v_cmp_gt_f32_e64 s2, 0x39800000, |v44|
	v_dual_add_f32 v16, v20, v22 :: v_dual_cndmask_b32 v17, 0x7f800000, v17
	v_sub_f32_e32 v4, v4, v23
	v_cmp_nlt_f32_e64 vcc_lo, 0x42b2d4fc, |v46|
	v_cndmask_b32_e64 v6, v6, |v44|, s2
	s_delay_alu instid0(VALU_DEP_4)
	v_add_f32_e32 v16, v29, v16
	v_cndmask_b32_e64 v20, v17, |v1|, s18
	v_ldexp_f32 v17, v4, -2
	v_cmp_nlt_f32_e64 s2, 0x42b2d4fc, |v45|
	v_bfi_b32 v6, 0x7fffffff, v6, v44
	v_mul_f32_e32 v4, v41, v16
	v_bfi_b32 v1, 0x7fffffff, v20, v1
	v_cmp_gt_f32_e64 s18, 0x39800000, |v45|
	s_delay_alu instid0(VALU_DEP_4) | instskip(NEXT) | instid1(VALU_DEP_4)
	v_bfe_u32 v26, v6, 16, 1
	v_add_f32_e32 v4, v8, v4
	s_delay_alu instid0(VALU_DEP_4) | instskip(NEXT) | instid1(VALU_DEP_2)
	v_bfe_u32 v8, v1, 16, 1
	v_add_f32_e32 v16, v40, v4
	s_delay_alu instid0(VALU_DEP_2) | instskip(NEXT) | instid1(VALU_DEP_2)
	v_add3_u32 v8, v1, v8, 0x7fff
	v_ldexp_f32 v20, v16, -2
	v_sub_f32_e32 v16, v16, v40
	s_delay_alu instid0(VALU_DEP_3) | instskip(NEXT) | instid1(VALU_DEP_3)
	v_lshrrev_b32_e32 v8, 16, v8
	v_pk_add_f32 v[22:23], v[32:33], v[20:21] neg_lo:[0,1] neg_hi:[0,1]
	s_delay_alu instid0(VALU_DEP_3) | instskip(NEXT) | instid1(VALU_DEP_2)
	v_sub_f32_e32 v4, v4, v16
	v_pk_add_f32 v[24:25], v[32:33], v[22:23] neg_lo:[0,1] neg_hi:[0,1]
	s_delay_alu instid0(VALU_DEP_2) | instskip(NEXT) | instid1(VALU_DEP_2)
	v_ldexp_f32 v16, v4, -2
	v_pk_add_f32 v[20:21], v[24:25], v[20:21] neg_lo:[0,1] neg_hi:[0,1]
	s_delay_alu instid0(VALU_DEP_1) | instskip(NEXT) | instid1(VALU_DEP_1)
	v_pk_add_f32 v[20:21], v[42:43], v[20:21]
	v_pk_add_f32 v[16:17], v[20:21], v[16:17] neg_lo:[0,1] neg_hi:[0,1]
	s_delay_alu instid0(VALU_DEP_1) | instskip(NEXT) | instid1(VALU_DEP_1)
	v_pk_add_f32 v[16:17], v[22:23], v[16:17]
	v_cndmask_b32_e64 v4, 0x7f800000, v16, s2
	s_delay_alu instid0(VALU_DEP_2) | instskip(SKIP_4) | instid1(VALU_DEP_4)
	v_cndmask_b32_e32 v16, 0x7f800000, v17, vcc_lo
	v_cmp_gt_f32_e64 s2, 0x39800000, |v46|
	v_add3_u32 v17, v6, v26, 0x7fff
	v_cmp_o_f32_e32 vcc_lo, v1, v1
	v_cndmask_b32_e64 v4, v4, |v45|, s18
	v_cndmask_b32_e64 v16, v16, |v46|, s2
	s_delay_alu instid0(VALU_DEP_4) | instskip(SKIP_1) | instid1(VALU_DEP_4)
	v_and_b32_e32 v17, 0xffff0000, v17
	v_cmp_o_f32_e64 s2, v6, v6
	v_bfi_b32 v4, 0x7fffffff, v4, v45
	v_cndmask_b32_e32 v8, 0x7fc0, v8, vcc_lo
	v_bfi_b32 v16, 0x7fffffff, v16, v46
	s_delay_alu instid0(VALU_DEP_4) | instskip(NEXT) | instid1(VALU_DEP_4)
	v_cndmask_b32_e64 v1, 0x7fc00000, v17, s2
	v_bfe_u32 v20, v4, 16, 1
	v_cmp_o_f32_e64 s2, v4, v4
	s_delay_alu instid0(VALU_DEP_4) | instskip(SKIP_3) | instid1(VALU_DEP_4)
	v_bfe_u32 v21, v16, 16, 1
	v_cmp_o_f32_e32 vcc_lo, v16, v16
	v_or_b32_e32 v1, v8, v1
	v_add3_u32 v6, v4, v20, 0x7fff
	v_add3_u32 v17, v16, v21, 0x7fff
	s_delay_alu instid0(VALU_DEP_2) | instskip(NEXT) | instid1(VALU_DEP_2)
	v_and_b32_e32 v6, 0xffff0000, v6
	v_lshrrev_b32_e32 v17, 16, v17
	s_delay_alu instid0(VALU_DEP_2) | instskip(NEXT) | instid1(VALU_DEP_2)
	v_cndmask_b32_e64 v4, 0x7fc00000, v6, s2
	v_cndmask_b32_e32 v6, 0x7fc0, v17, vcc_lo
	v_cmp_ge_i64_e32 vcc_lo, v[18:19], v[2:3]
	v_add_nc_u64_e32 v[16:17], s[8:9], v[12:13]
	v_add_nc_u64_e32 v[12:13], s[14:15], v[12:13]
	v_or3_b32 v18, v1, 0, 0
	v_or3_b32 v19, 0, v6, v4
	s_or_b32 s17, vcc_lo, s17
	global_store_b64 v[16:17], v[18:19], off
	s_wait_xcnt 0x0
	s_and_not1_b32 exec_lo, exec_lo, s17
	s_cbranch_execnz .LBB122_3
.LBB122_4:
	s_or_b32 exec_lo, exec_lo, s3
	s_mov_b32 s2, 0
.LBB122_5:
	s_delay_alu instid0(SALU_CYCLE_1)
	s_and_not1_b32 vcc_lo, exec_lo, s2
	s_cbranch_vccnz .LBB122_25
; %bb.6:
	v_cmp_lt_i64_e64 s2, s[10:11], 1
	s_and_b32 vcc_lo, exec_lo, s2
	s_cbranch_vccnz .LBB122_25
; %bb.7:
	s_load_b32 s0, s[0:1], 0xc5c
	v_min_i64 v[2:3], 0x10000, s[10:11]
	v_min_u64 v[4:5], 0x10000, s[10:11]
	v_dual_mov_b32 v1, 0 :: v_dual_lshlrev_b32 v12, 1, v0
	s_wait_xcnt 0x0
	s_mov_b32 s1, 0
	v_dual_mov_b32 v31, 1.0 :: v_dual_mov_b32 v33, -1.0
	s_delay_alu instid0(VALU_DEP_2) | instskip(SKIP_3) | instid1(VALU_DEP_1)
	v_dual_mov_b32 v13, v1 :: v_dual_mov_b32 v27, v1
	s_mov_b32 s11, s1
	s_mov_b32 s3, s1
	;; [unrolled: 1-line block ×3, first 2 shown]
	v_add_nc_u64_e32 v[6:7], s[6:7], v[12:13]
	v_add_nc_u64_e32 v[8:9], s[8:9], v[12:13]
	s_mov_b32 s13, s1
	v_mov_b32_e32 v29, 0x3f317218
	s_wait_kmcnt 0x0
	s_and_b32 s0, s0, 0xffff
	s_delay_alu instid0(SALU_CYCLE_1)
	v_add_nc_u64_e32 v[10:11], s[0:1], v[0:1]
	v_mad_nc_u64_u32 v[22:23], s0, 6, v[12:13]
	s_lshl_b32 s10, s0, 2
	s_lshl_b32 s2, s0, 1
	v_add_nc_u64_e32 v[18:19], s[10:11], v[12:13]
	s_mul_i32 s14, s0, 3
	v_add_nc_u64_e32 v[14:15], s[2:3], v[0:1]
	v_lshlrev_b32_e32 v26, 1, v10
	v_add_nc_u64_e32 v[12:13], s[14:15], v[0:1]
	s_lshl_b32 s12, s0, 3
	s_mov_b32 s3, -1.0
	v_add_nc_u64_e32 v[16:17], s[6:7], v[18:19]
	v_add_nc_u64_e32 v[18:19], s[8:9], v[18:19]
	v_add_nc_u64_e32 v[20:21], s[6:7], v[22:23]
	v_add_nc_u64_e32 v[22:23], s[8:9], v[22:23]
	v_add_nc_u64_e32 v[24:25], s[6:7], v[26:27]
	v_add_nc_u64_e32 v[26:27], s[8:9], v[26:27]
	s_mov_b64 s[6:7], 0
	s_mov_b32 s8, 0x3ab42872
	s_branch .LBB122_9
.LBB122_8:                              ;   in Loop: Header=BB122_9 Depth=1
	s_wait_xcnt 0x0
	s_or_b32 exec_lo, exec_lo, s2
	s_add_nc_u64 s[6:7], s[6:7], s[10:11]
	v_add_nc_u64_e32 v[6:7], s[12:13], v[6:7]
	v_cmp_ge_i64_e32 vcc_lo, s[6:7], v[2:3]
	v_add_nc_u64_e32 v[8:9], s[12:13], v[8:9]
	v_add_nc_u64_e32 v[20:21], s[12:13], v[20:21]
	;; [unrolled: 1-line block ×7, first 2 shown]
	s_cbranch_vccnz .LBB122_25
.LBB122_9:                              ; =>This Inner Loop Header: Depth=1
	v_add_nc_u64_e32 v[34:35], s[6:7], v[0:1]
	v_mov_b32_e32 v37, 0
	s_delay_alu instid0(VALU_DEP_2)
	v_cmp_lt_u64_e64 s2, v[34:35], v[4:5]
	s_and_saveexec_b32 s0, s2
	s_cbranch_execz .LBB122_11
; %bb.10:                               ;   in Loop: Header=BB122_9 Depth=1
	v_add_nc_u64_e32 v[34:35], s[4:5], v[6:7]
	global_load_u16 v28, v[34:35], off
	s_wait_loadcnt 0x0
	v_lshlrev_b32_e32 v37, 16, v28
.LBB122_11:                             ;   in Loop: Header=BB122_9 Depth=1
	s_wait_xcnt 0x0
	s_or_b32 exec_lo, exec_lo, s0
	v_add_nc_u64_e32 v[34:35], s[6:7], v[10:11]
	v_mov_b32_e32 v36, 0
	s_delay_alu instid0(VALU_DEP_2)
	v_cmp_lt_u64_e64 s1, v[34:35], v[4:5]
	v_mov_b32_e32 v34, 0
	s_and_saveexec_b32 s0, s1
	s_cbranch_execz .LBB122_13
; %bb.12:                               ;   in Loop: Header=BB122_9 Depth=1
	v_add_nc_u64_e32 v[38:39], s[4:5], v[24:25]
	global_load_u16 v28, v[38:39], off
	s_wait_loadcnt 0x0
	v_lshlrev_b32_e32 v36, 16, v28
.LBB122_13:                             ;   in Loop: Header=BB122_9 Depth=1
	s_wait_xcnt 0x0
	s_or_b32 exec_lo, exec_lo, s0
	v_add_nc_u64_e32 v[38:39], s[6:7], v[14:15]
	s_delay_alu instid0(VALU_DEP_1)
	v_cmp_lt_u64_e32 vcc_lo, v[38:39], v[4:5]
	s_and_saveexec_b32 s0, vcc_lo
	s_cbranch_execz .LBB122_15
; %bb.14:                               ;   in Loop: Header=BB122_9 Depth=1
	v_add_nc_u64_e32 v[34:35], s[4:5], v[16:17]
	global_load_u16 v28, v[34:35], off
	s_wait_loadcnt 0x0
	v_lshlrev_b32_e32 v34, 16, v28
.LBB122_15:                             ;   in Loop: Header=BB122_9 Depth=1
	s_or_b32 exec_lo, exec_lo, s0
	v_add_nc_u64_e32 v[38:39], s[6:7], v[12:13]
	v_mov_b32_e32 v35, 0
	s_delay_alu instid0(VALU_DEP_2)
	v_cmp_lt_u64_e64 s0, v[38:39], v[4:5]
	s_and_saveexec_b32 s9, s0
	s_cbranch_execnz .LBB122_23
; %bb.16:                               ;   in Loop: Header=BB122_9 Depth=1
	s_or_b32 exec_lo, exec_lo, s9
	s_and_saveexec_b32 s9, s2
	s_cbranch_execnz .LBB122_24
.LBB122_17:                             ;   in Loop: Header=BB122_9 Depth=1
	s_or_b32 exec_lo, exec_lo, s9
	s_and_saveexec_b32 s2, s1
	s_cbranch_execz .LBB122_19
.LBB122_18:                             ;   in Loop: Header=BB122_9 Depth=1
	v_add_f32_e64 v30, 0xbf317218, |v36|
	v_and_b32_e32 v28, 0x7fffffff, v36
	v_cmp_nlt_f32_e64 s1, 0x42b2d4fc, |v36|
	s_delay_alu instid0(VALU_DEP_3) | instskip(NEXT) | instid1(VALU_DEP_1)
	v_sub_f32_e64 v39, v30, |v36|
	v_sub_f32_e32 v38, v39, v30
	s_delay_alu instid0(VALU_DEP_1) | instskip(NEXT) | instid1(VALU_DEP_1)
	v_pk_add_f32 v[38:39], v[28:29], v[38:39]
	v_sub_f32_e32 v28, v38, v39
	s_delay_alu instid0(VALU_DEP_1) | instskip(NEXT) | instid1(VALU_DEP_1)
	v_add_f32_e32 v28, 0x3102e308, v28
	v_add_f32_e32 v32, v30, v28
	s_delay_alu instid0(VALU_DEP_1) | instskip(NEXT) | instid1(VALU_DEP_1)
	v_dual_mul_f32 v37, 0x3fb8aa3b, v32 :: v_dual_sub_f32 v30, v30, v32
	v_rndne_f32_e32 v37, v37
	s_delay_alu instid0(VALU_DEP_2) | instskip(NEXT) | instid1(VALU_DEP_2)
	v_add_f32_e32 v28, v28, v30
	v_fmac_f32_e32 v32, 0xbf317200, v37
	v_mul_f32_e32 v30, 0x35bfbc00, v37
	v_mul_f32_e32 v41, 0x2ea39ef3, v37
	s_delay_alu instid0(VALU_DEP_3) | instskip(NEXT) | instid1(VALU_DEP_1)
	v_add_f32_e32 v39, v28, v32
	v_dual_sub_f32 v38, v39, v30 :: v_dual_sub_f32 v32, v32, v39
	s_delay_alu instid0(VALU_DEP_1) | instskip(NEXT) | instid1(VALU_DEP_1)
	v_sub_f32_e32 v39, v39, v38
	v_dual_sub_f32 v30, v39, v30 :: v_dual_add_f32 v28, v28, v32
	s_delay_alu instid0(VALU_DEP_1) | instskip(NEXT) | instid1(VALU_DEP_1)
	v_add_f32_e32 v28, v28, v30
	v_add_f32_e32 v39, v38, v28
	s_delay_alu instid0(VALU_DEP_1) | instskip(NEXT) | instid1(VALU_DEP_1)
	v_mov_b32_e32 v40, v39
	v_pk_add_f32 v[42:43], v[38:39], v[40:41] neg_lo:[0,1] neg_hi:[0,1]
	s_delay_alu instid0(VALU_DEP_1) | instskip(NEXT) | instid1(VALU_DEP_1)
	v_dual_sub_f32 v30, v39, v43 :: v_dual_add_f32 v28, v28, v42
	v_sub_f32_e32 v30, v30, v41
	s_delay_alu instid0(VALU_DEP_1) | instskip(NEXT) | instid1(VALU_DEP_1)
	v_add_f32_e32 v28, v28, v30
	v_add_f32_e32 v30, v43, v28
	s_delay_alu instid0(VALU_DEP_1) | instskip(SKIP_1) | instid1(VALU_DEP_2)
	v_sub_f32_e32 v32, v43, v30
	v_mov_b64_e32 v[42:43], s[2:3]
	v_add_f32_e32 v28, v28, v32
	s_delay_alu instid0(VALU_DEP_1) | instskip(SKIP_1) | instid1(VALU_DEP_2)
	v_dual_add_f32 v40, v28, v28 :: v_dual_mul_f32 v38, v30, v30
	v_fmaak_f32 v32, s8, v30, 0x3c091de6
	v_fma_f32 v39, v30, v30, -v38
	s_delay_alu instid0(VALU_DEP_2) | instskip(NEXT) | instid1(VALU_DEP_2)
	v_fmaak_f32 v32, v30, v32, 0x3d2aadcc
	v_fmac_f32_e32 v39, v30, v40
	s_delay_alu instid0(VALU_DEP_2) | instskip(NEXT) | instid1(VALU_DEP_2)
	v_fmaak_f32 v32, v30, v32, 0x3e2aaa47
	v_add_f32_e32 v40, v38, v39
	s_delay_alu instid0(VALU_DEP_2) | instskip(NEXT) | instid1(VALU_DEP_2)
	v_fmaak_f32 v32, v30, v32, 0x3efffffc
	v_sub_f32_e32 v38, v40, v38
	s_delay_alu instid0(VALU_DEP_1) | instskip(NEXT) | instid1(VALU_DEP_1)
	v_dual_sub_f32 v38, v39, v38 :: v_dual_mul_f32 v41, v32, v40
	v_fma_f32 v39, v40, v32, -v41
	s_delay_alu instid0(VALU_DEP_1) | instskip(NEXT) | instid1(VALU_DEP_1)
	v_fmac_f32_e32 v39, v38, v32
	v_add_f32_e32 v38, v41, v39
	s_delay_alu instid0(VALU_DEP_1) | instskip(NEXT) | instid1(VALU_DEP_1)
	v_sub_f32_e32 v40, v38, v41
	v_sub_f32_e32 v39, v39, v40
	s_delay_alu instid0(VALU_DEP_1) | instskip(NEXT) | instid1(VALU_DEP_1)
	v_dual_add_f32 v28, v28, v39 :: v_dual_add_f32 v32, v30, v38
	v_sub_f32_e32 v30, v32, v30
	s_delay_alu instid0(VALU_DEP_1) | instskip(NEXT) | instid1(VALU_DEP_1)
	v_sub_f32_e32 v30, v38, v30
	v_add_f32_e32 v38, v28, v30
	v_cvt_i32_f32_e32 v30, v37
	s_delay_alu instid0(VALU_DEP_2) | instskip(NEXT) | instid1(VALU_DEP_1)
	v_add_f32_e32 v40, v32, v38
	v_dual_add_f32 v41, 1.0, v40 :: v_dual_mov_b32 v39, v40
	s_delay_alu instid0(VALU_DEP_1) | instskip(SKIP_1) | instid1(VALU_DEP_2)
	v_pk_add_f32 v[42:43], v[40:41], v[42:43]
	v_pk_add_f32 v[44:45], v[40:41], v[32:33] neg_lo:[0,1] neg_hi:[0,1]
	v_mov_b32_e32 v45, v43
	s_delay_alu instid0(VALU_DEP_1) | instskip(NEXT) | instid1(VALU_DEP_1)
	v_pk_add_f32 v[38:39], v[38:39], v[44:45] neg_lo:[0,1] neg_hi:[0,1]
	v_add_f32_e32 v28, v38, v39
	s_delay_alu instid0(VALU_DEP_1) | instskip(NEXT) | instid1(VALU_DEP_1)
	v_add_f32_e32 v32, v41, v28
	v_ldexp_f32 v37, v32, v30
	v_sub_f32_e32 v32, v32, v41
	s_delay_alu instid0(VALU_DEP_2) | instskip(NEXT) | instid1(VALU_DEP_1)
	v_rcp_f32_e32 v44, v37
	v_sub_f32_e32 v28, v28, v32
	s_delay_alu instid0(VALU_DEP_1) | instskip(NEXT) | instid1(TRANS32_DEP_1)
	v_ldexp_f32 v28, v28, v30
	v_mul_f32_e32 v38, v37, v44
	s_delay_alu instid0(VALU_DEP_1) | instskip(NEXT) | instid1(VALU_DEP_1)
	v_fma_f32 v40, v44, v37, -v38
	v_fmac_f32_e32 v40, v44, v28
	s_delay_alu instid0(VALU_DEP_1) | instskip(NEXT) | instid1(VALU_DEP_1)
	v_add_f32_e32 v30, v38, v40
	v_dual_sub_f32 v39, 1.0, v30 :: v_dual_mov_b32 v41, v30
	s_delay_alu instid0(VALU_DEP_1) | instskip(NEXT) | instid1(VALU_DEP_1)
	v_pk_add_f32 v[42:43], v[30:31], v[38:39] neg_lo:[0,1] neg_hi:[0,1]
	v_pk_add_f32 v[40:41], v[42:43], v[40:41] neg_lo:[0,1] neg_hi:[0,1]
	s_delay_alu instid0(VALU_DEP_1) | instskip(NEXT) | instid1(VALU_DEP_1)
	v_add_f32_e32 v30, v40, v41
	v_add_f32_e32 v41, v39, v30
	s_delay_alu instid0(VALU_DEP_1) | instskip(NEXT) | instid1(VALU_DEP_1)
	v_dual_mul_f32 v32, v44, v41 :: v_dual_sub_f32 v45, v39, v41
	v_dual_mul_f32 v42, v37, v32 :: v_dual_add_f32 v30, v30, v45
	s_delay_alu instid0(VALU_DEP_1) | instskip(NEXT) | instid1(VALU_DEP_1)
	v_fma_f32 v38, v32, v37, -v42
	v_fmac_f32_e32 v38, v32, v28
	s_delay_alu instid0(VALU_DEP_1) | instskip(NEXT) | instid1(VALU_DEP_1)
	v_add_f32_e32 v40, v42, v38
	v_dual_sub_f32 v43, v41, v40 :: v_dual_mov_b32 v39, v40
	s_delay_alu instid0(VALU_DEP_1) | instskip(NEXT) | instid1(VALU_DEP_1)
	v_pk_add_f32 v[40:41], v[40:41], v[42:43] neg_lo:[0,1] neg_hi:[0,1]
	v_pk_add_f32 v[38:39], v[40:41], v[38:39] neg_lo:[0,1] neg_hi:[0,1]
	s_delay_alu instid0(VALU_DEP_1) | instskip(NEXT) | instid1(VALU_DEP_1)
	v_add_f32_e32 v30, v30, v39
	v_dual_add_f32 v30, v38, v30 :: v_dual_add_f32 v38, v44, v32
	s_delay_alu instid0(VALU_DEP_1) | instskip(NEXT) | instid1(VALU_DEP_1)
	v_dual_sub_f32 v39, v38, v44 :: v_dual_add_f32 v30, v43, v30
	v_sub_f32_e32 v32, v32, v39
	s_delay_alu instid0(VALU_DEP_2) | instskip(NEXT) | instid1(VALU_DEP_1)
	v_mul_f32_e32 v30, v44, v30
	v_add_f32_e32 v30, v32, v30
	s_delay_alu instid0(VALU_DEP_1) | instskip(NEXT) | instid1(VALU_DEP_1)
	v_add_f32_e32 v32, v38, v30
	v_ldexp_f32 v39, v32, -2
	s_delay_alu instid0(VALU_DEP_1) | instskip(NEXT) | instid1(VALU_DEP_1)
	v_dual_sub_f32 v32, v32, v38 :: v_dual_sub_f32 v40, v37, v39
	v_sub_f32_e32 v30, v30, v32
	s_delay_alu instid0(VALU_DEP_2) | instskip(NEXT) | instid1(VALU_DEP_1)
	v_sub_f32_e32 v37, v37, v40
	v_sub_f32_e32 v32, v37, v39
	s_delay_alu instid0(VALU_DEP_1) | instskip(NEXT) | instid1(VALU_DEP_4)
	v_add_f32_e32 v28, v28, v32
	v_ldexp_f32 v30, v30, -2
	s_delay_alu instid0(VALU_DEP_1) | instskip(NEXT) | instid1(VALU_DEP_1)
	v_sub_f32_e32 v28, v28, v30
	v_add_f32_e32 v28, v40, v28
	s_delay_alu instid0(VALU_DEP_1) | instskip(SKIP_1) | instid1(VALU_DEP_1)
	v_cndmask_b32_e64 v28, 0x7f800000, v28, s1
	v_cmp_gt_f32_e64 s1, 0x39800000, |v36|
	v_cndmask_b32_e64 v28, v28, |v36|, s1
	s_delay_alu instid0(VALU_DEP_1) | instskip(SKIP_1) | instid1(VALU_DEP_2)
	v_bfi_b32 v28, 0x7fffffff, v28, v36
	v_add_nc_u64_e32 v[36:37], s[4:5], v[26:27]
	v_bfe_u32 v30, v28, 16, 1
	v_cmp_o_f32_e64 s1, v28, v28
	s_delay_alu instid0(VALU_DEP_2) | instskip(NEXT) | instid1(VALU_DEP_1)
	v_add3_u32 v30, v28, v30, 0x7fff
	v_lshrrev_b32_e32 v30, 16, v30
	s_delay_alu instid0(VALU_DEP_1)
	v_cndmask_b32_e64 v28, 0x7fc0, v30, s1
	global_store_b16 v[36:37], v28, off
.LBB122_19:                             ;   in Loop: Header=BB122_9 Depth=1
	s_wait_xcnt 0x0
	s_or_b32 exec_lo, exec_lo, s2
	v_add_f32_e64 v30, 0xbf317218, |v34|
	v_and_b32_e32 v28, 0x7fffffff, v34
	v_add_f32_e64 v38, 0xbf317218, |v35|
	v_cmp_nlt_f32_e64 s1, 0x42b2d4fc, |v34|
	s_delay_alu instid0(VALU_DEP_4) | instskip(NEXT) | instid1(VALU_DEP_1)
	v_sub_f32_e64 v37, v30, |v34|
	v_sub_f32_e32 v36, v37, v30
	s_delay_alu instid0(VALU_DEP_1) | instskip(NEXT) | instid1(VALU_DEP_1)
	v_pk_add_f32 v[36:37], v[28:29], v[36:37]
	v_sub_f32_e32 v28, v36, v37
	v_sub_f32_e64 v37, v38, |v35|
	s_delay_alu instid0(VALU_DEP_1) | instskip(NEXT) | instid1(VALU_DEP_3)
	v_sub_f32_e32 v36, v37, v38
	v_add_f32_e32 v32, 0x3102e308, v28
	v_and_b32_e32 v28, 0x7fffffff, v35
	s_delay_alu instid0(VALU_DEP_2) | instskip(NEXT) | instid1(VALU_DEP_2)
	v_add_f32_e32 v39, v30, v32
	v_pk_add_f32 v[36:37], v[28:29], v[36:37]
	s_delay_alu instid0(VALU_DEP_2) | instskip(NEXT) | instid1(VALU_DEP_1)
	v_sub_f32_e32 v30, v30, v39
	v_add_f32_e32 v28, v32, v30
	s_delay_alu instid0(VALU_DEP_3) | instskip(NEXT) | instid1(VALU_DEP_1)
	v_sub_f32_e32 v30, v36, v37
	v_add_f32_e32 v30, 0x3102e308, v30
	s_delay_alu instid0(VALU_DEP_1) | instskip(NEXT) | instid1(VALU_DEP_1)
	v_dual_mul_f32 v40, 0x3fb8aa3b, v39 :: v_dual_add_f32 v41, v38, v30
	v_rndne_f32_e32 v48, v40
	s_delay_alu instid0(VALU_DEP_1) | instskip(NEXT) | instid1(VALU_DEP_1)
	v_fmac_f32_e32 v39, 0xbf317200, v48
	v_dual_mul_f32 v32, 0x35bfbc00, v48 :: v_dual_add_f32 v37, v28, v39
	s_delay_alu instid0(VALU_DEP_1) | instskip(NEXT) | instid1(VALU_DEP_1)
	v_dual_sub_f32 v36, v37, v32 :: v_dual_sub_f32 v39, v39, v37
	v_dual_sub_f32 v37, v37, v36 :: v_dual_add_f32 v28, v28, v39
	v_mul_f32_e32 v39, 0x2ea39ef3, v48
	s_delay_alu instid0(VALU_DEP_2) | instskip(NEXT) | instid1(VALU_DEP_1)
	v_dual_sub_f32 v32, v37, v32 :: v_dual_sub_f32 v37, v38, v41
	v_dual_add_f32 v28, v28, v32 :: v_dual_add_f32 v30, v30, v37
	s_delay_alu instid0(VALU_DEP_1) | instskip(NEXT) | instid1(VALU_DEP_1)
	v_dual_mul_f32 v40, 0x3fb8aa3b, v41 :: v_dual_add_f32 v37, v36, v28
	v_rndne_f32_e32 v49, v40
	s_delay_alu instid0(VALU_DEP_1) | instskip(NEXT) | instid1(VALU_DEP_1)
	v_dual_mov_b32 v38, v37 :: v_dual_fmac_f32 v41, 0xbf317200, v49
	v_pk_add_f32 v[42:43], v[36:37], v[38:39] neg_lo:[0,1] neg_hi:[0,1]
	v_mul_f32_e32 v32, 0x35bfbc00, v49
	s_delay_alu instid0(VALU_DEP_2) | instskip(NEXT) | instid1(VALU_DEP_1)
	v_dual_add_f32 v44, v30, v41 :: v_dual_sub_f32 v37, v37, v43
	v_dual_add_f32 v28, v28, v42 :: v_dual_sub_f32 v36, v41, v44
	s_delay_alu instid0(VALU_DEP_3) | instskip(NEXT) | instid1(VALU_DEP_2)
	v_sub_f32_e32 v40, v44, v32
	v_add_f32_e32 v30, v30, v36
	s_delay_alu instid0(VALU_DEP_2) | instskip(NEXT) | instid1(VALU_DEP_1)
	v_dual_sub_f32 v38, v44, v40 :: v_dual_sub_f32 v36, v37, v39
	v_dual_mul_f32 v37, 0x2ea39ef3, v49 :: v_dual_sub_f32 v32, v38, v32
	s_delay_alu instid0(VALU_DEP_2) | instskip(NEXT) | instid1(VALU_DEP_2)
	v_add_f32_e32 v28, v28, v36
	v_add_f32_e32 v30, v30, v32
	s_delay_alu instid0(VALU_DEP_1) | instskip(NEXT) | instid1(VALU_DEP_1)
	v_dual_add_f32 v42, v43, v28 :: v_dual_add_f32 v41, v40, v30
	v_dual_sub_f32 v32, v43, v42 :: v_dual_mov_b32 v36, v41
	s_delay_alu instid0(VALU_DEP_1) | instskip(SKIP_1) | instid1(VALU_DEP_3)
	v_add_f32_e32 v28, v28, v32
	v_fmaak_f32 v32, s8, v42, 0x3c091de6
	v_pk_add_f32 v[38:39], v[40:41], v[36:37] neg_lo:[0,1] neg_hi:[0,1]
	s_delay_alu instid0(VALU_DEP_3) | instskip(NEXT) | instid1(VALU_DEP_1)
	v_dual_mul_f32 v36, v42, v42 :: v_dual_add_f32 v43, v28, v28
	v_dual_sub_f32 v40, v41, v39 :: v_dual_fma_f32 v41, v42, v42, -v36
	s_delay_alu instid0(VALU_DEP_1) | instskip(NEXT) | instid1(VALU_DEP_1)
	v_dual_fmaak_f32 v32, v42, v32, 0x3d2aadcc :: v_dual_sub_f32 v37, v40, v37
	v_dual_fmac_f32 v41, v42, v43 :: v_dual_fmaak_f32 v32, v42, v32, 0x3e2aaa47
	v_add_f32_e32 v30, v30, v38
	s_delay_alu instid0(VALU_DEP_1) | instskip(NEXT) | instid1(VALU_DEP_3)
	v_add_f32_e32 v30, v30, v37
	v_add_f32_e32 v37, v36, v41
	s_delay_alu instid0(VALU_DEP_1) | instskip(NEXT) | instid1(VALU_DEP_3)
	v_sub_f32_e32 v36, v37, v36
	v_dual_fmaak_f32 v32, v42, v32, 0x3efffffc :: v_dual_add_f32 v43, v39, v30
	s_delay_alu instid0(VALU_DEP_1) | instskip(NEXT) | instid1(VALU_DEP_2)
	v_dual_sub_f32 v36, v41, v36 :: v_dual_mul_f32 v38, v32, v37
	v_sub_f32_e32 v39, v39, v43
	s_delay_alu instid0(VALU_DEP_2) | instskip(NEXT) | instid1(VALU_DEP_2)
	v_dual_mul_f32 v40, v43, v43 :: v_dual_fma_f32 v37, v37, v32, -v38
	v_add_f32_e32 v30, v30, v39
	v_fmaak_f32 v39, s8, v43, 0x3c091de6
	s_delay_alu instid0(VALU_DEP_3) | instskip(NEXT) | instid1(VALU_DEP_2)
	v_dual_fmac_f32 v37, v36, v32 :: v_dual_fma_f32 v36, v43, v43, -v40
	v_dual_add_f32 v32, v30, v30 :: v_dual_fmaak_f32 v39, v43, v39, 0x3d2aadcc
	s_delay_alu instid0(VALU_DEP_1) | instskip(NEXT) | instid1(VALU_DEP_1)
	v_dual_fmac_f32 v36, v43, v32 :: v_dual_add_f32 v41, v38, v37
	v_dual_add_f32 v44, v40, v36 :: v_dual_fmaak_f32 v39, v43, v39, 0x3e2aaa47
	s_delay_alu instid0(VALU_DEP_2) | instskip(NEXT) | instid1(VALU_DEP_1)
	v_dual_add_f32 v32, v42, v41 :: v_dual_sub_f32 v38, v41, v38
	v_dual_fmaak_f32 v39, v43, v39, 0x3efffffc :: v_dual_sub_f32 v42, v32, v42
	s_delay_alu instid0(VALU_DEP_2) | instskip(NEXT) | instid1(VALU_DEP_2)
	v_dual_sub_f32 v37, v37, v38 :: v_dual_sub_f32 v38, v44, v40
	v_dual_mul_f32 v40, v39, v44 :: v_dual_sub_f32 v41, v41, v42
	s_delay_alu instid0(VALU_DEP_2) | instskip(NEXT) | instid1(VALU_DEP_3)
	v_add_f32_e32 v28, v28, v37
	v_sub_f32_e32 v37, v36, v38
	s_delay_alu instid0(VALU_DEP_3) | instskip(NEXT) | instid1(VALU_DEP_1)
	v_fma_f32 v42, v44, v39, -v40
	v_dual_add_f32 v36, v28, v41 :: v_dual_fmac_f32 v42, v37, v39
	s_delay_alu instid0(VALU_DEP_1) | instskip(NEXT) | instid1(VALU_DEP_1)
	v_add_f32_e32 v28, v40, v42
	v_sub_f32_e32 v37, v28, v40
	s_delay_alu instid0(VALU_DEP_1) | instskip(NEXT) | instid1(VALU_DEP_1)
	v_dual_add_f32 v38, v32, v36 :: v_dual_sub_f32 v37, v42, v37
	v_dual_add_f32 v39, 1.0, v38 :: v_dual_add_f32 v30, v30, v37
	s_delay_alu instid0(VALU_DEP_1) | instskip(SKIP_1) | instid1(VALU_DEP_1)
	v_pk_add_f32 v[40:41], v[38:39], v[32:33] neg_lo:[0,1] neg_hi:[0,1]
	v_dual_add_f32 v32, v43, v28 :: v_dual_mov_b32 v37, v38
	v_sub_f32_e32 v41, v32, v43
	v_mov_b64_e32 v[42:43], s[2:3]
	s_delay_alu instid0(VALU_DEP_2) | instskip(NEXT) | instid1(VALU_DEP_2)
	v_sub_f32_e32 v28, v28, v41
	v_pk_add_f32 v[46:47], v[38:39], v[42:43]
	v_cvt_i32_f32_e32 v38, v49
	s_delay_alu instid0(VALU_DEP_3) | instskip(SKIP_1) | instid1(VALU_DEP_2)
	v_add_f32_e32 v44, v30, v28
	v_cvt_i32_f32_e32 v30, v48
	v_dual_add_f32 v46, v32, v44 :: v_dual_mov_b32 v41, v47
	s_delay_alu instid0(VALU_DEP_1) | instskip(NEXT) | instid1(VALU_DEP_2)
	v_add_f32_e32 v47, 1.0, v46
	v_pk_add_f32 v[36:37], v[36:37], v[40:41] neg_lo:[0,1] neg_hi:[0,1]
	v_mov_b32_e32 v45, v46
	s_delay_alu instid0(VALU_DEP_3) | instskip(NEXT) | instid1(VALU_DEP_3)
	v_pk_add_f32 v[40:41], v[46:47], v[42:43]
	v_add_f32_e32 v28, v36, v37
	v_pk_add_f32 v[36:37], v[46:47], v[32:33] neg_lo:[0,1] neg_hi:[0,1]
	s_delay_alu instid0(VALU_DEP_2) | instskip(NEXT) | instid1(VALU_DEP_1)
	v_dual_mov_b32 v37, v41 :: v_dual_add_f32 v32, v39, v28
	v_pk_add_f32 v[36:37], v[44:45], v[36:37] neg_lo:[0,1] neg_hi:[0,1]
	s_delay_alu instid0(VALU_DEP_2) | instskip(NEXT) | instid1(VALU_DEP_1)
	v_ldexp_f32 v41, v32, v30
	v_rcp_f32_e32 v52, v41
	v_nop
	s_delay_alu instid0(TRANS32_DEP_1) | instskip(NEXT) | instid1(VALU_DEP_1)
	v_dual_add_f32 v37, v36, v37 :: v_dual_mul_f32 v36, v41, v52
	v_dual_sub_f32 v32, v32, v39 :: v_dual_add_f32 v43, v47, v37
	s_delay_alu instid0(VALU_DEP_1) | instskip(NEXT) | instid1(VALU_DEP_2)
	v_sub_f32_e32 v28, v28, v32
	v_ldexp_f32 v40, v43, v38
	s_delay_alu instid0(VALU_DEP_2) | instskip(SKIP_1) | instid1(VALU_DEP_3)
	v_ldexp_f32 v39, v28, v30
	v_dual_sub_f32 v30, v43, v47 :: v_dual_fma_f32 v42, v52, v41, -v36
	v_rcp_f32_e32 v28, v40
	s_delay_alu instid0(VALU_DEP_1) | instskip(NEXT) | instid1(VALU_DEP_1)
	v_dual_sub_f32 v32, v37, v30 :: v_dual_fmac_f32 v42, v52, v39
	v_ldexp_f32 v38, v32, v38
	s_delay_alu instid0(VALU_DEP_2)
	v_add_f32_e32 v30, v36, v42
	s_delay_alu instid0(TRANS32_DEP_1) | instid1(VALU_DEP_1)
	v_dual_mul_f32 v44, v40, v28 :: v_dual_mov_b32 v43, v30
	s_delay_alu instid0(VALU_DEP_1) | instskip(NEXT) | instid1(VALU_DEP_1)
	v_dual_fma_f32 v46, v28, v40, -v44 :: v_dual_sub_f32 v37, 1.0, v30
	v_fmac_f32_e32 v46, v28, v38
	s_delay_alu instid0(VALU_DEP_2) | instskip(NEXT) | instid1(VALU_DEP_2)
	v_pk_add_f32 v[48:49], v[30:31], v[36:37] neg_lo:[0,1] neg_hi:[0,1]
	v_add_f32_e32 v30, v44, v46
	s_delay_alu instid0(VALU_DEP_2) | instskip(NEXT) | instid1(VALU_DEP_2)
	v_pk_add_f32 v[42:43], v[48:49], v[42:43] neg_lo:[0,1] neg_hi:[0,1]
	v_dual_sub_f32 v45, 1.0, v30 :: v_dual_mov_b32 v47, v30
	s_delay_alu instid0(VALU_DEP_1) | instskip(NEXT) | instid1(VALU_DEP_3)
	v_pk_add_f32 v[50:51], v[30:31], v[44:45] neg_lo:[0,1] neg_hi:[0,1]
	v_add_f32_e32 v30, v42, v43
	s_delay_alu instid0(VALU_DEP_2) | instskip(NEXT) | instid1(VALU_DEP_1)
	v_pk_add_f32 v[46:47], v[50:51], v[46:47] neg_lo:[0,1] neg_hi:[0,1]
	v_add_f32_e32 v32, v46, v47
	s_delay_alu instid0(VALU_DEP_1) | instskip(NEXT) | instid1(VALU_DEP_1)
	v_add_f32_e32 v47, v45, v32
	v_dual_add_f32 v43, v37, v30 :: v_dual_mul_f32 v54, v28, v47
	s_delay_alu instid0(VALU_DEP_1) | instskip(NEXT) | instid1(VALU_DEP_1)
	v_dual_mul_f32 v53, v52, v43 :: v_dual_sub_f32 v55, v37, v43
	v_dual_mul_f32 v36, v40, v54 :: v_dual_mul_f32 v48, v41, v53
	s_delay_alu instid0(VALU_DEP_1) | instskip(NEXT) | instid1(VALU_DEP_1)
	v_fma_f32 v44, v54, v40, -v36
	v_fmac_f32_e32 v44, v54, v38
	s_delay_alu instid0(VALU_DEP_1) | instskip(NEXT) | instid1(VALU_DEP_1)
	v_dual_fma_f32 v50, v53, v41, -v48 :: v_dual_add_f32 v46, v36, v44
	v_dual_fmac_f32 v50, v53, v39 :: v_dual_sub_f32 v37, v47, v46
	s_delay_alu instid0(VALU_DEP_1) | instskip(NEXT) | instid1(VALU_DEP_1)
	v_add_f32_e32 v42, v48, v50
	v_dual_sub_f32 v49, v43, v42 :: v_dual_mov_b32 v51, v42
	s_delay_alu instid0(VALU_DEP_1) | instskip(SKIP_3) | instid1(VALU_DEP_4)
	v_pk_add_f32 v[42:43], v[42:43], v[48:49] neg_lo:[0,1] neg_hi:[0,1]
	v_dual_sub_f32 v48, v45, v47 :: v_dual_mov_b32 v45, v46
	v_pk_add_f32 v[46:47], v[46:47], v[36:37] neg_lo:[0,1] neg_hi:[0,1]
	v_add_f32_e32 v30, v30, v55
	v_pk_add_f32 v[42:43], v[42:43], v[50:51] neg_lo:[0,1] neg_hi:[0,1]
	s_delay_alu instid0(VALU_DEP_4) | instskip(NEXT) | instid1(VALU_DEP_4)
	v_add_f32_e32 v32, v32, v48
	v_pk_add_f32 v[44:45], v[46:47], v[44:45] neg_lo:[0,1] neg_hi:[0,1]
	s_delay_alu instid0(VALU_DEP_1) | instskip(NEXT) | instid1(VALU_DEP_1)
	v_dual_add_f32 v30, v30, v43 :: v_dual_add_f32 v32, v32, v45
	v_dual_add_f32 v45, v52, v53 :: v_dual_add_f32 v30, v42, v30
	v_add_f32_e32 v46, v28, v54
	s_delay_alu instid0(VALU_DEP_3) | instskip(NEXT) | instid1(VALU_DEP_3)
	v_add_f32_e32 v32, v44, v32
	v_sub_f32_e32 v36, v45, v52
	s_delay_alu instid0(VALU_DEP_3) | instskip(NEXT) | instid1(VALU_DEP_1)
	v_dual_add_f32 v30, v49, v30 :: v_dual_sub_f32 v42, v46, v28
	v_dual_sub_f32 v36, v53, v36 :: v_dual_mul_f32 v30, v52, v30
	s_delay_alu instid0(VALU_DEP_2) | instskip(NEXT) | instid1(VALU_DEP_2)
	v_dual_add_f32 v32, v37, v32 :: v_dual_sub_f32 v37, v54, v42
	v_add_f32_e32 v30, v36, v30
	s_delay_alu instid0(VALU_DEP_1) | instskip(NEXT) | instid1(VALU_DEP_1)
	v_dual_mul_f32 v28, v28, v32 :: v_dual_add_f32 v32, v45, v30
	v_add_f32_e32 v28, v37, v28
	s_delay_alu instid0(VALU_DEP_2) | instskip(NEXT) | instid1(VALU_DEP_2)
	v_ldexp_f32 v37, v32, -2
	v_dual_add_f32 v44, v46, v28 :: v_dual_sub_f32 v32, v32, v45
	s_delay_alu instid0(VALU_DEP_1) | instskip(NEXT) | instid1(VALU_DEP_2)
	v_ldexp_f32 v36, v44, -2
	v_dual_sub_f32 v44, v44, v46 :: v_dual_sub_f32 v30, v30, v32
	s_delay_alu instid0(VALU_DEP_2) | instskip(NEXT) | instid1(VALU_DEP_2)
	v_pk_add_f32 v[42:43], v[40:41], v[36:37] neg_lo:[0,1] neg_hi:[0,1]
	v_sub_f32_e32 v28, v28, v44
	s_delay_alu instid0(VALU_DEP_2) | instskip(NEXT) | instid1(VALU_DEP_1)
	v_pk_add_f32 v[40:41], v[40:41], v[42:43] neg_lo:[0,1] neg_hi:[0,1]
	v_pk_add_f32 v[36:37], v[40:41], v[36:37] neg_lo:[0,1] neg_hi:[0,1]
	v_ldexp_f32 v41, v30, -2
	s_delay_alu instid0(VALU_DEP_4) | instskip(NEXT) | instid1(VALU_DEP_3)
	v_ldexp_f32 v40, v28, -2
	v_pk_add_f32 v[36:37], v[38:39], v[36:37]
	s_delay_alu instid0(VALU_DEP_1) | instskip(NEXT) | instid1(VALU_DEP_1)
	v_pk_add_f32 v[36:37], v[36:37], v[40:41] neg_lo:[0,1] neg_hi:[0,1]
	v_pk_add_f32 v[36:37], v[42:43], v[36:37]
	s_delay_alu instid0(VALU_DEP_1) | instskip(SKIP_1) | instid1(VALU_DEP_1)
	v_cndmask_b32_e64 v28, 0x7f800000, v37, s1
	v_cmp_nlt_f32_e64 s1, 0x42b2d4fc, |v35|
	v_cndmask_b32_e64 v30, 0x7f800000, v36, s1
	v_cmp_gt_f32_e64 s1, 0x39800000, |v34|
	s_delay_alu instid0(VALU_DEP_1) | instskip(SKIP_1) | instid1(VALU_DEP_1)
	v_cndmask_b32_e64 v28, v28, |v34|, s1
	v_cmp_gt_f32_e64 s1, 0x39800000, |v35|
	v_cndmask_b32_e64 v32, v30, |v35|, s1
	s_delay_alu instid0(VALU_DEP_3) | instskip(NEXT) | instid1(VALU_DEP_2)
	v_bfi_b32 v30, 0x7fffffff, v28, v34
	v_bfi_b32 v28, 0x7fffffff, v32, v35
	s_delay_alu instid0(VALU_DEP_2) | instskip(NEXT) | instid1(VALU_DEP_2)
	v_cmp_u_f32_e64 s2, v30, v30
	v_cmp_u_f32_e64 s1, v28, v28
	s_and_saveexec_b32 s9, vcc_lo
	s_cbranch_execz .LBB122_21
; %bb.20:                               ;   in Loop: Header=BB122_9 Depth=1
	v_bfe_u32 v32, v30, 16, 1
	v_add_nc_u64_e32 v[34:35], s[4:5], v[18:19]
	s_delay_alu instid0(VALU_DEP_2) | instskip(NEXT) | instid1(VALU_DEP_1)
	v_add3_u32 v30, v30, v32, 0x7fff
	v_lshrrev_b32_e32 v30, 16, v30
	s_delay_alu instid0(VALU_DEP_1)
	v_cndmask_b32_e64 v30, v30, 0x7fc0, s2
	global_store_b16 v[34:35], v30, off
.LBB122_21:                             ;   in Loop: Header=BB122_9 Depth=1
	s_wait_xcnt 0x0
	s_or_b32 exec_lo, exec_lo, s9
	s_and_saveexec_b32 s2, s0
	s_cbranch_execz .LBB122_8
; %bb.22:                               ;   in Loop: Header=BB122_9 Depth=1
	v_bfe_u32 v30, v28, 16, 1
	v_add_nc_u64_e32 v[34:35], s[4:5], v[22:23]
	s_delay_alu instid0(VALU_DEP_2) | instskip(NEXT) | instid1(VALU_DEP_1)
	v_add3_u32 v28, v28, v30, 0x7fff
	v_lshrrev_b32_e32 v28, 16, v28
	s_delay_alu instid0(VALU_DEP_1)
	v_cndmask_b32_e64 v28, v28, 0x7fc0, s1
	global_store_b16 v[34:35], v28, off
	s_branch .LBB122_8
.LBB122_23:                             ;   in Loop: Header=BB122_9 Depth=1
	v_add_nc_u64_e32 v[38:39], s[4:5], v[20:21]
	global_load_u16 v28, v[38:39], off
	s_wait_loadcnt 0x0
	v_lshlrev_b32_e32 v35, 16, v28
	s_wait_xcnt 0x0
	s_or_b32 exec_lo, exec_lo, s9
	s_and_saveexec_b32 s9, s2
	s_cbranch_execz .LBB122_17
.LBB122_24:                             ;   in Loop: Header=BB122_9 Depth=1
	v_add_f32_e64 v30, 0xbf317218, |v37|
	v_and_b32_e32 v28, 0x7fffffff, v37
	s_delay_alu instid0(VALU_DEP_2) | instskip(NEXT) | instid1(VALU_DEP_1)
	v_sub_f32_e64 v39, v30, |v37|
	v_sub_f32_e32 v38, v39, v30
	s_delay_alu instid0(VALU_DEP_1) | instskip(NEXT) | instid1(VALU_DEP_1)
	v_pk_add_f32 v[38:39], v[28:29], v[38:39]
	v_sub_f32_e32 v28, v38, v39
	s_delay_alu instid0(VALU_DEP_1) | instskip(NEXT) | instid1(VALU_DEP_1)
	v_add_f32_e32 v28, 0x3102e308, v28
	v_add_f32_e32 v32, v30, v28
	s_delay_alu instid0(VALU_DEP_1) | instskip(NEXT) | instid1(VALU_DEP_1)
	v_sub_f32_e32 v30, v30, v32
	v_add_f32_e32 v28, v28, v30
	v_mul_f32_e32 v38, 0x3fb8aa3b, v32
	s_delay_alu instid0(VALU_DEP_1) | instskip(NEXT) | instid1(VALU_DEP_1)
	v_rndne_f32_e32 v46, v38
	v_fmac_f32_e32 v32, 0xbf317200, v46
	v_mul_f32_e32 v30, 0x35bfbc00, v46
	v_mul_f32_e32 v41, 0x2ea39ef3, v46
	s_delay_alu instid0(VALU_DEP_3) | instskip(NEXT) | instid1(VALU_DEP_1)
	v_add_f32_e32 v39, v28, v32
	v_dual_sub_f32 v38, v39, v30 :: v_dual_sub_f32 v32, v32, v39
	s_delay_alu instid0(VALU_DEP_1) | instskip(NEXT) | instid1(VALU_DEP_1)
	v_sub_f32_e32 v39, v39, v38
	v_dual_sub_f32 v30, v39, v30 :: v_dual_add_f32 v28, v28, v32
	s_delay_alu instid0(VALU_DEP_1) | instskip(NEXT) | instid1(VALU_DEP_1)
	v_add_f32_e32 v28, v28, v30
	v_add_f32_e32 v39, v38, v28
	s_delay_alu instid0(VALU_DEP_1) | instskip(NEXT) | instid1(VALU_DEP_1)
	v_mov_b32_e32 v40, v39
	v_pk_add_f32 v[42:43], v[38:39], v[40:41] neg_lo:[0,1] neg_hi:[0,1]
	s_delay_alu instid0(VALU_DEP_1) | instskip(NEXT) | instid1(VALU_DEP_1)
	v_dual_sub_f32 v30, v39, v43 :: v_dual_add_f32 v28, v28, v42
	v_sub_f32_e32 v30, v30, v41
	s_delay_alu instid0(VALU_DEP_1) | instskip(NEXT) | instid1(VALU_DEP_1)
	v_add_f32_e32 v28, v28, v30
	v_add_f32_e32 v30, v43, v28
	s_delay_alu instid0(VALU_DEP_1) | instskip(SKIP_2) | instid1(VALU_DEP_3)
	v_sub_f32_e32 v32, v43, v30
	v_mov_b64_e32 v[42:43], s[2:3]
	v_cmp_nlt_f32_e64 s2, 0x42b2d4fc, |v37|
	v_add_f32_e32 v28, v28, v32
	s_delay_alu instid0(VALU_DEP_1) | instskip(SKIP_1) | instid1(VALU_DEP_2)
	v_dual_add_f32 v40, v28, v28 :: v_dual_mul_f32 v38, v30, v30
	v_fmaak_f32 v32, s8, v30, 0x3c091de6
	v_fma_f32 v39, v30, v30, -v38
	s_delay_alu instid0(VALU_DEP_2) | instskip(NEXT) | instid1(VALU_DEP_2)
	v_fmaak_f32 v32, v30, v32, 0x3d2aadcc
	v_fmac_f32_e32 v39, v30, v40
	s_delay_alu instid0(VALU_DEP_2) | instskip(NEXT) | instid1(VALU_DEP_2)
	v_fmaak_f32 v32, v30, v32, 0x3e2aaa47
	v_add_f32_e32 v40, v38, v39
	s_delay_alu instid0(VALU_DEP_2) | instskip(NEXT) | instid1(VALU_DEP_2)
	v_fmaak_f32 v32, v30, v32, 0x3efffffc
	v_sub_f32_e32 v38, v40, v38
	s_delay_alu instid0(VALU_DEP_1) | instskip(NEXT) | instid1(VALU_DEP_1)
	v_dual_sub_f32 v38, v39, v38 :: v_dual_mul_f32 v41, v32, v40
	v_fma_f32 v39, v40, v32, -v41
	s_delay_alu instid0(VALU_DEP_1) | instskip(NEXT) | instid1(VALU_DEP_1)
	v_fmac_f32_e32 v39, v38, v32
	v_add_f32_e32 v38, v41, v39
	s_delay_alu instid0(VALU_DEP_1) | instskip(NEXT) | instid1(VALU_DEP_1)
	v_sub_f32_e32 v40, v38, v41
	v_sub_f32_e32 v39, v39, v40
	s_delay_alu instid0(VALU_DEP_1) | instskip(NEXT) | instid1(VALU_DEP_1)
	v_dual_add_f32 v28, v28, v39 :: v_dual_add_f32 v32, v30, v38
	v_sub_f32_e32 v30, v32, v30
	s_delay_alu instid0(VALU_DEP_1) | instskip(NEXT) | instid1(VALU_DEP_1)
	v_sub_f32_e32 v30, v38, v30
	v_add_f32_e32 v38, v28, v30
	v_cvt_i32_f32_e32 v30, v46
	s_delay_alu instid0(VALU_DEP_2) | instskip(NEXT) | instid1(VALU_DEP_1)
	v_add_f32_e32 v40, v32, v38
	v_dual_add_f32 v41, 1.0, v40 :: v_dual_mov_b32 v39, v40
	s_delay_alu instid0(VALU_DEP_1) | instskip(SKIP_1) | instid1(VALU_DEP_2)
	v_pk_add_f32 v[42:43], v[40:41], v[42:43]
	v_pk_add_f32 v[44:45], v[40:41], v[32:33] neg_lo:[0,1] neg_hi:[0,1]
	v_mov_b32_e32 v45, v43
	s_delay_alu instid0(VALU_DEP_1) | instskip(NEXT) | instid1(VALU_DEP_1)
	v_pk_add_f32 v[38:39], v[38:39], v[44:45] neg_lo:[0,1] neg_hi:[0,1]
	v_add_f32_e32 v28, v38, v39
	s_delay_alu instid0(VALU_DEP_1) | instskip(NEXT) | instid1(VALU_DEP_1)
	v_add_f32_e32 v32, v41, v28
	v_ldexp_f32 v44, v32, v30
	v_sub_f32_e32 v32, v32, v41
	s_delay_alu instid0(VALU_DEP_2) | instskip(NEXT) | instid1(VALU_DEP_1)
	v_rcp_f32_e32 v45, v44
	v_sub_f32_e32 v28, v28, v32
	s_delay_alu instid0(VALU_DEP_1) | instskip(NEXT) | instid1(TRANS32_DEP_1)
	v_ldexp_f32 v28, v28, v30
	v_mul_f32_e32 v38, v44, v45
	s_delay_alu instid0(VALU_DEP_1) | instskip(NEXT) | instid1(VALU_DEP_1)
	v_fma_f32 v40, v45, v44, -v38
	v_fmac_f32_e32 v40, v45, v28
	s_delay_alu instid0(VALU_DEP_1) | instskip(NEXT) | instid1(VALU_DEP_1)
	v_add_f32_e32 v30, v38, v40
	v_dual_sub_f32 v39, 1.0, v30 :: v_dual_mov_b32 v41, v30
	s_delay_alu instid0(VALU_DEP_1) | instskip(NEXT) | instid1(VALU_DEP_1)
	v_pk_add_f32 v[42:43], v[30:31], v[38:39] neg_lo:[0,1] neg_hi:[0,1]
	v_pk_add_f32 v[40:41], v[42:43], v[40:41] neg_lo:[0,1] neg_hi:[0,1]
	s_delay_alu instid0(VALU_DEP_1) | instskip(NEXT) | instid1(VALU_DEP_1)
	v_add_f32_e32 v30, v40, v41
	v_add_f32_e32 v41, v39, v30
	s_delay_alu instid0(VALU_DEP_1) | instskip(NEXT) | instid1(VALU_DEP_1)
	v_dual_mul_f32 v32, v45, v41 :: v_dual_sub_f32 v46, v39, v41
	v_mul_f32_e32 v42, v44, v32
	s_delay_alu instid0(VALU_DEP_1) | instskip(NEXT) | instid1(VALU_DEP_1)
	v_fma_f32 v38, v32, v44, -v42
	v_fmac_f32_e32 v38, v32, v28
	s_delay_alu instid0(VALU_DEP_1) | instskip(NEXT) | instid1(VALU_DEP_1)
	v_add_f32_e32 v40, v42, v38
	v_dual_add_f32 v30, v30, v46 :: v_dual_sub_f32 v43, v41, v40
	v_mov_b32_e32 v39, v40
	s_delay_alu instid0(VALU_DEP_2) | instskip(NEXT) | instid1(VALU_DEP_1)
	v_pk_add_f32 v[40:41], v[40:41], v[42:43] neg_lo:[0,1] neg_hi:[0,1]
	v_pk_add_f32 v[38:39], v[40:41], v[38:39] neg_lo:[0,1] neg_hi:[0,1]
	s_delay_alu instid0(VALU_DEP_1) | instskip(NEXT) | instid1(VALU_DEP_1)
	v_dual_add_f32 v30, v30, v39 :: v_dual_add_f32 v39, v45, v32
	v_add_f32_e32 v30, v38, v30
	s_delay_alu instid0(VALU_DEP_1) | instskip(NEXT) | instid1(VALU_DEP_1)
	v_add_f32_e32 v30, v43, v30
	v_dual_sub_f32 v38, v39, v45 :: v_dual_mul_f32 v30, v45, v30
	s_delay_alu instid0(VALU_DEP_1) | instskip(NEXT) | instid1(VALU_DEP_1)
	v_sub_f32_e32 v32, v32, v38
	v_add_f32_e32 v30, v32, v30
	s_delay_alu instid0(VALU_DEP_1) | instskip(NEXT) | instid1(VALU_DEP_1)
	v_add_f32_e32 v32, v39, v30
	v_ldexp_f32 v38, v32, -2
	v_sub_f32_e32 v32, v32, v39
	s_delay_alu instid0(VALU_DEP_1) | instskip(NEXT) | instid1(VALU_DEP_1)
	v_dual_sub_f32 v40, v44, v38 :: v_dual_sub_f32 v30, v30, v32
	v_sub_f32_e32 v41, v44, v40
	s_delay_alu instid0(VALU_DEP_2) | instskip(NEXT) | instid1(VALU_DEP_2)
	v_ldexp_f32 v30, v30, -2
	v_sub_f32_e32 v38, v41, v38
	s_delay_alu instid0(VALU_DEP_1) | instskip(SKIP_1) | instid1(VALU_DEP_2)
	v_add_f32_e32 v28, v28, v38
	v_add_nc_u64_e32 v[38:39], s[4:5], v[8:9]
	v_sub_f32_e32 v28, v28, v30
	s_delay_alu instid0(VALU_DEP_1) | instskip(NEXT) | instid1(VALU_DEP_1)
	v_add_f32_e32 v28, v40, v28
	v_cndmask_b32_e64 v28, 0x7f800000, v28, s2
	v_cmp_gt_f32_e64 s2, 0x39800000, |v37|
	s_delay_alu instid0(VALU_DEP_1) | instskip(NEXT) | instid1(VALU_DEP_1)
	v_cndmask_b32_e64 v28, v28, |v37|, s2
	v_bfi_b32 v28, 0x7fffffff, v28, v37
	s_delay_alu instid0(VALU_DEP_1) | instskip(SKIP_1) | instid1(VALU_DEP_2)
	v_bfe_u32 v30, v28, 16, 1
	v_cmp_o_f32_e64 s2, v28, v28
	v_add3_u32 v30, v28, v30, 0x7fff
	s_delay_alu instid0(VALU_DEP_1) | instskip(NEXT) | instid1(VALU_DEP_1)
	v_lshrrev_b32_e32 v30, 16, v30
	v_cndmask_b32_e64 v28, 0x7fc0, v30, s2
	global_store_b16 v[38:39], v28, off
	s_wait_xcnt 0x0
	s_or_b32 exec_lo, exec_lo, s9
	s_and_saveexec_b32 s2, s1
	s_cbranch_execnz .LBB122_18
	s_branch .LBB122_19
.LBB122_25:
	s_endpgm
	.section	.rodata,"a",@progbits
	.p2align	6, 0x0
	.amdhsa_kernel _ZN2at6native12_GLOBAL__N_125multi_tensor_apply_kernelINS1_18TensorListMetadataILi2EEENS1_14UnaryOpFunctorIN3c108BFloat16ELi2ELi1ELi1EEEJNS0_4SinhIfEEEEEvT_T0_DpT1_
		.amdhsa_group_segment_fixed_size 0
		.amdhsa_private_segment_fixed_size 0
		.amdhsa_kernarg_size 3408
		.amdhsa_user_sgpr_count 2
		.amdhsa_user_sgpr_dispatch_ptr 0
		.amdhsa_user_sgpr_queue_ptr 0
		.amdhsa_user_sgpr_kernarg_segment_ptr 1
		.amdhsa_user_sgpr_dispatch_id 0
		.amdhsa_user_sgpr_kernarg_preload_length 0
		.amdhsa_user_sgpr_kernarg_preload_offset 0
		.amdhsa_user_sgpr_private_segment_size 0
		.amdhsa_wavefront_size32 1
		.amdhsa_uses_dynamic_stack 0
		.amdhsa_enable_private_segment 0
		.amdhsa_system_sgpr_workgroup_id_x 1
		.amdhsa_system_sgpr_workgroup_id_y 0
		.amdhsa_system_sgpr_workgroup_id_z 0
		.amdhsa_system_sgpr_workgroup_info 0
		.amdhsa_system_vgpr_workitem_id 0
		.amdhsa_next_free_vgpr 56
		.amdhsa_next_free_sgpr 20
		.amdhsa_named_barrier_count 0
		.amdhsa_reserve_vcc 1
		.amdhsa_float_round_mode_32 0
		.amdhsa_float_round_mode_16_64 0
		.amdhsa_float_denorm_mode_32 3
		.amdhsa_float_denorm_mode_16_64 3
		.amdhsa_fp16_overflow 0
		.amdhsa_memory_ordered 1
		.amdhsa_forward_progress 1
		.amdhsa_inst_pref_size 62
		.amdhsa_round_robin_scheduling 0
		.amdhsa_exception_fp_ieee_invalid_op 0
		.amdhsa_exception_fp_denorm_src 0
		.amdhsa_exception_fp_ieee_div_zero 0
		.amdhsa_exception_fp_ieee_overflow 0
		.amdhsa_exception_fp_ieee_underflow 0
		.amdhsa_exception_fp_ieee_inexact 0
		.amdhsa_exception_int_div_zero 0
	.end_amdhsa_kernel
	.section	.text._ZN2at6native12_GLOBAL__N_125multi_tensor_apply_kernelINS1_18TensorListMetadataILi2EEENS1_14UnaryOpFunctorIN3c108BFloat16ELi2ELi1ELi1EEEJNS0_4SinhIfEEEEEvT_T0_DpT1_,"axG",@progbits,_ZN2at6native12_GLOBAL__N_125multi_tensor_apply_kernelINS1_18TensorListMetadataILi2EEENS1_14UnaryOpFunctorIN3c108BFloat16ELi2ELi1ELi1EEEJNS0_4SinhIfEEEEEvT_T0_DpT1_,comdat
.Lfunc_end122:
	.size	_ZN2at6native12_GLOBAL__N_125multi_tensor_apply_kernelINS1_18TensorListMetadataILi2EEENS1_14UnaryOpFunctorIN3c108BFloat16ELi2ELi1ELi1EEEJNS0_4SinhIfEEEEEvT_T0_DpT1_, .Lfunc_end122-_ZN2at6native12_GLOBAL__N_125multi_tensor_apply_kernelINS1_18TensorListMetadataILi2EEENS1_14UnaryOpFunctorIN3c108BFloat16ELi2ELi1ELi1EEEJNS0_4SinhIfEEEEEvT_T0_DpT1_
                                        ; -- End function
	.set _ZN2at6native12_GLOBAL__N_125multi_tensor_apply_kernelINS1_18TensorListMetadataILi2EEENS1_14UnaryOpFunctorIN3c108BFloat16ELi2ELi1ELi1EEEJNS0_4SinhIfEEEEEvT_T0_DpT1_.num_vgpr, 56
	.set _ZN2at6native12_GLOBAL__N_125multi_tensor_apply_kernelINS1_18TensorListMetadataILi2EEENS1_14UnaryOpFunctorIN3c108BFloat16ELi2ELi1ELi1EEEJNS0_4SinhIfEEEEEvT_T0_DpT1_.num_agpr, 0
	.set _ZN2at6native12_GLOBAL__N_125multi_tensor_apply_kernelINS1_18TensorListMetadataILi2EEENS1_14UnaryOpFunctorIN3c108BFloat16ELi2ELi1ELi1EEEJNS0_4SinhIfEEEEEvT_T0_DpT1_.numbered_sgpr, 20
	.set _ZN2at6native12_GLOBAL__N_125multi_tensor_apply_kernelINS1_18TensorListMetadataILi2EEENS1_14UnaryOpFunctorIN3c108BFloat16ELi2ELi1ELi1EEEJNS0_4SinhIfEEEEEvT_T0_DpT1_.num_named_barrier, 0
	.set _ZN2at6native12_GLOBAL__N_125multi_tensor_apply_kernelINS1_18TensorListMetadataILi2EEENS1_14UnaryOpFunctorIN3c108BFloat16ELi2ELi1ELi1EEEJNS0_4SinhIfEEEEEvT_T0_DpT1_.private_seg_size, 0
	.set _ZN2at6native12_GLOBAL__N_125multi_tensor_apply_kernelINS1_18TensorListMetadataILi2EEENS1_14UnaryOpFunctorIN3c108BFloat16ELi2ELi1ELi1EEEJNS0_4SinhIfEEEEEvT_T0_DpT1_.uses_vcc, 1
	.set _ZN2at6native12_GLOBAL__N_125multi_tensor_apply_kernelINS1_18TensorListMetadataILi2EEENS1_14UnaryOpFunctorIN3c108BFloat16ELi2ELi1ELi1EEEJNS0_4SinhIfEEEEEvT_T0_DpT1_.uses_flat_scratch, 0
	.set _ZN2at6native12_GLOBAL__N_125multi_tensor_apply_kernelINS1_18TensorListMetadataILi2EEENS1_14UnaryOpFunctorIN3c108BFloat16ELi2ELi1ELi1EEEJNS0_4SinhIfEEEEEvT_T0_DpT1_.has_dyn_sized_stack, 0
	.set _ZN2at6native12_GLOBAL__N_125multi_tensor_apply_kernelINS1_18TensorListMetadataILi2EEENS1_14UnaryOpFunctorIN3c108BFloat16ELi2ELi1ELi1EEEJNS0_4SinhIfEEEEEvT_T0_DpT1_.has_recursion, 0
	.set _ZN2at6native12_GLOBAL__N_125multi_tensor_apply_kernelINS1_18TensorListMetadataILi2EEENS1_14UnaryOpFunctorIN3c108BFloat16ELi2ELi1ELi1EEEJNS0_4SinhIfEEEEEvT_T0_DpT1_.has_indirect_call, 0
	.section	.AMDGPU.csdata,"",@progbits
; Kernel info:
; codeLenInByte = 7916
; TotalNumSgprs: 22
; NumVgprs: 56
; ScratchSize: 0
; MemoryBound: 0
; FloatMode: 240
; IeeeMode: 1
; LDSByteSize: 0 bytes/workgroup (compile time only)
; SGPRBlocks: 0
; VGPRBlocks: 3
; NumSGPRsForWavesPerEU: 22
; NumVGPRsForWavesPerEU: 56
; NamedBarCnt: 0
; Occupancy: 16
; WaveLimiterHint : 0
; COMPUTE_PGM_RSRC2:SCRATCH_EN: 0
; COMPUTE_PGM_RSRC2:USER_SGPR: 2
; COMPUTE_PGM_RSRC2:TRAP_HANDLER: 0
; COMPUTE_PGM_RSRC2:TGID_X_EN: 1
; COMPUTE_PGM_RSRC2:TGID_Y_EN: 0
; COMPUTE_PGM_RSRC2:TGID_Z_EN: 0
; COMPUTE_PGM_RSRC2:TIDIG_COMP_CNT: 0
	.section	.text._ZN2at6native12_GLOBAL__N_125multi_tensor_apply_kernelINS1_18TensorListMetadataILi1EEENS1_14UnaryOpFunctorIdLi1ELi1ELi0EEEJNS0_4SinhIdEEEEEvT_T0_DpT1_,"axG",@progbits,_ZN2at6native12_GLOBAL__N_125multi_tensor_apply_kernelINS1_18TensorListMetadataILi1EEENS1_14UnaryOpFunctorIdLi1ELi1ELi0EEEJNS0_4SinhIdEEEEEvT_T0_DpT1_,comdat
	.globl	_ZN2at6native12_GLOBAL__N_125multi_tensor_apply_kernelINS1_18TensorListMetadataILi1EEENS1_14UnaryOpFunctorIdLi1ELi1ELi0EEEJNS0_4SinhIdEEEEEvT_T0_DpT1_ ; -- Begin function _ZN2at6native12_GLOBAL__N_125multi_tensor_apply_kernelINS1_18TensorListMetadataILi1EEENS1_14UnaryOpFunctorIdLi1ELi1ELi0EEEJNS0_4SinhIdEEEEEvT_T0_DpT1_
	.p2align	8
	.type	_ZN2at6native12_GLOBAL__N_125multi_tensor_apply_kernelINS1_18TensorListMetadataILi1EEENS1_14UnaryOpFunctorIdLi1ELi1ELi0EEEJNS0_4SinhIdEEEEEvT_T0_DpT1_,@function
_ZN2at6native12_GLOBAL__N_125multi_tensor_apply_kernelINS1_18TensorListMetadataILi1EEENS1_14UnaryOpFunctorIdLi1ELi1ELi0EEEJNS0_4SinhIdEEEEEvT_T0_DpT1_: ; @_ZN2at6native12_GLOBAL__N_125multi_tensor_apply_kernelINS1_18TensorListMetadataILi1EEENS1_14UnaryOpFunctorIdLi1ELi1ELi0EEEJNS0_4SinhIdEEEEEvT_T0_DpT1_
; %bb.0:
	s_bfe_u32 s2, ttmp6, 0x4000c
	s_and_b32 s3, ttmp6, 15
	s_add_co_i32 s2, s2, 1
	s_getreg_b32 s4, hwreg(HW_REG_IB_STS2, 6, 4)
	s_mul_i32 s2, ttmp9, s2
	s_delay_alu instid0(SALU_CYCLE_1)
	s_add_co_i32 s3, s3, s2
	s_cmp_eq_u32 s4, 0
	s_cselect_b32 s2, ttmp9, s3
	s_mov_b32 s3, 0
	s_load_u8 s8, s[0:1], s2 offset:0x6e0
	s_add_nc_u64 s[4:5], s[0:1], s[2:3]
	s_mul_u64 s[6:7], s[2:3], 3
	s_delay_alu instid0(SALU_CYCLE_1)
	s_add_nc_u64 s[4:5], s[4:5], s[6:7]
	s_load_b32 s10, s[4:5], 0x820
	s_wait_kmcnt 0x0
	s_clause 0x1
	s_load_b64 s[6:7], s[0:1], s8 offset:0x0 scale_offset
	s_load_b64 s[12:13], s[0:1], s8 offset:0x370 scale_offset
	s_ashr_i32 s11, s10, 31
	s_wait_kmcnt 0x0
	s_and_b64 s[4:5], s[6:7], 31
	s_and_b32 s2, s12, 3
	s_lshl_b64 s[8:9], s[10:11], 19
	s_or_b64 s[2:3], s[4:5], s[2:3]
	s_lshl_b64 s[4:5], s[10:11], 16
	s_cmp_eq_u64 s[2:3], 0
	s_sub_nc_u64 s[10:11], s[12:13], s[4:5]
	s_cbranch_scc1 .LBB123_21
; %bb.1:
	v_cmp_lt_i64_e64 s2, s[10:11], 1
	s_and_b32 vcc_lo, exec_lo, s2
	s_cbranch_vccnz .LBB123_20
; %bb.2:
	s_load_b32 s4, s[0:1], 0xd3c
	v_min_i64 v[2:3], 0x10000, s[10:11]
	v_min_u64 v[4:5], 0x10000, s[10:11]
	v_dual_mov_b32 v1, 0 :: v_dual_lshlrev_b32 v10, 3, v0
	s_mov_b32 s23, 0
	s_add_nc_u64 s[2:3], s[6:7], s[8:9]
	s_mov_b32 s5, s23
	s_delay_alu instid0(VALU_DEP_1) | instskip(SKIP_3) | instid1(VALU_DEP_2)
	v_dual_mov_b32 v11, v1 :: v_dual_mov_b32 v17, v1
	s_mov_b32 s19, s23
	v_mov_b64_e32 v[6:7], 0x3e928af3fca7ab0c
	s_mov_b64 s[12:13], 0xbfe62e42fefa39ef
	v_add_nc_u64_e32 v[10:11], s[2:3], v[10:11]
	s_mov_b32 s15, s23
	s_mov_b32 s17, s23
	s_mov_b64 s[24:25], 0
                                        ; implicit-def: $vgpr18_vgpr19
                                        ; implicit-def: $vgpr18_vgpr19
	;; [unrolled: 1-line block ×8, first 2 shown]
	s_wait_kmcnt 0x0
	s_and_b32 s22, s4, 0xffff
	s_delay_alu instid0(SALU_CYCLE_1)
	v_add_nc_u64_e32 v[8:9], s[22:23], v[0:1]
	s_lshl_b32 s4, s22, 1
	s_mul_i32 s18, s22, 3
	v_add_nc_u64_e32 v[14:15], s[4:5], v[0:1]
	v_add_nc_u64_e32 v[12:13], s[18:19], v[0:1]
	s_lshl_b32 s14, s22, 2
	s_lshl_b32 s16, s22, 5
	v_lshlrev_b32_e32 v16, 3, v8
	s_mov_b64 s[18:19], 0x408633ce8fb9f87e
	s_mul_u64 s[20:21], s[22:23], 24
	s_lshl_b32 s22, s22, 4
	s_delay_alu instid0(VALU_DEP_1)
	v_add_nc_u64_e32 v[16:17], s[2:3], v[16:17]
	s_branch .LBB123_4
.LBB123_3:                              ;   in Loop: Header=BB123_4 Depth=1
	s_wait_xcnt 0x0
	s_or_b32 exec_lo, exec_lo, s2
	s_add_nc_u64 s[24:25], s[24:25], s[14:15]
	v_add_nc_u64_e32 v[10:11], s[16:17], v[10:11]
	v_cmp_lt_i64_e32 vcc_lo, s[24:25], v[2:3]
	v_add_nc_u64_e32 v[16:17], s[16:17], v[16:17]
	s_cbranch_vccz .LBB123_20
.LBB123_4:                              ; =>This Inner Loop Header: Depth=1
	s_wait_loadcnt 0x0
	v_add_nc_u64_e32 v[18:19], s[24:25], v[0:1]
	v_mov_b64_e32 v[26:27], 0
	v_mov_b64_e32 v[28:29], 0
	s_delay_alu instid0(VALU_DEP_3)
	v_cmp_lt_u64_e64 s4, v[18:19], v[4:5]
	s_and_saveexec_b32 s2, s4
	s_cbranch_execz .LBB123_6
; %bb.5:                                ;   in Loop: Header=BB123_4 Depth=1
	global_load_b64 v[28:29], v[10:11], off
.LBB123_6:                              ;   in Loop: Header=BB123_4 Depth=1
	s_wait_xcnt 0x0
	s_or_b32 exec_lo, exec_lo, s2
	v_add_nc_u64_e32 v[18:19], s[24:25], v[8:9]
	s_delay_alu instid0(VALU_DEP_1)
	v_cmp_lt_u64_e64 s3, v[18:19], v[4:5]
	s_and_saveexec_b32 s2, s3
	s_cbranch_execz .LBB123_8
; %bb.7:                                ;   in Loop: Header=BB123_4 Depth=1
	global_load_b64 v[26:27], v[16:17], off
.LBB123_8:                              ;   in Loop: Header=BB123_4 Depth=1
	s_wait_xcnt 0x0
	s_or_b32 exec_lo, exec_lo, s2
	v_add_nc_u64_e32 v[20:21], s[24:25], v[14:15]
	v_mov_b64_e32 v[18:19], 0
	v_add_nc_u64_e32 v[22:23], s[22:23], v[10:11]
	v_mov_b64_e32 v[24:25], 0
	s_delay_alu instid0(VALU_DEP_4)
	v_cmp_lt_u64_e64 s2, v[20:21], v[4:5]
	s_and_saveexec_b32 s5, s2
	s_cbranch_execz .LBB123_10
; %bb.9:                                ;   in Loop: Header=BB123_4 Depth=1
	global_load_b64 v[24:25], v[22:23], off
.LBB123_10:                             ;   in Loop: Header=BB123_4 Depth=1
	s_wait_xcnt 0x0
	s_or_b32 exec_lo, exec_lo, s5
	v_add_nc_u64_e32 v[20:21], s[24:25], v[12:13]
	s_delay_alu instid0(VALU_DEP_1)
	v_cmp_lt_u64_e32 vcc_lo, v[20:21], v[4:5]
	v_add_nc_u64_e32 v[20:21], s[20:21], v[10:11]
	s_and_saveexec_b32 s5, vcc_lo
	s_cbranch_execnz .LBB123_15
; %bb.11:                               ;   in Loop: Header=BB123_4 Depth=1
	s_or_b32 exec_lo, exec_lo, s5
	s_and_saveexec_b32 s5, s4
	s_cbranch_execnz .LBB123_16
.LBB123_12:                             ;   in Loop: Header=BB123_4 Depth=1
	s_or_b32 exec_lo, exec_lo, s5
	s_and_saveexec_b32 s4, s3
	s_cbranch_execnz .LBB123_17
.LBB123_13:                             ;   in Loop: Header=BB123_4 Depth=1
	s_or_b32 exec_lo, exec_lo, s4
	s_and_saveexec_b32 s3, s2
	s_cbranch_execnz .LBB123_18
.LBB123_14:                             ;   in Loop: Header=BB123_4 Depth=1
	s_or_b32 exec_lo, exec_lo, s3
	s_and_saveexec_b32 s2, vcc_lo
	s_cbranch_execz .LBB123_3
	s_branch .LBB123_19
.LBB123_15:                             ;   in Loop: Header=BB123_4 Depth=1
	global_load_b64 v[18:19], v[20:21], off
	s_wait_xcnt 0x0
	s_or_b32 exec_lo, exec_lo, s5
	s_and_saveexec_b32 s5, s4
	s_cbranch_execz .LBB123_12
.LBB123_16:                             ;   in Loop: Header=BB123_4 Depth=1
	s_wait_loadcnt 0x0
	v_add_f64_e64 v[30:31], |v[28:29]|, s[12:13]
	v_cmp_nge_f64_e64 s4, |v[28:29]|, s[18:19]
	s_delay_alu instid0(VALU_DEP_2) | instskip(NEXT) | instid1(VALU_DEP_1)
	v_add_f64_e64 v[32:33], v[30:31], -|v[28:29]|
	v_add_f64_e64 v[34:35], v[32:33], -v[30:31]
	v_add_f64_e32 v[32:33], 0x3fe62e42fefa39ef, v[32:33]
	s_delay_alu instid0(VALU_DEP_2) | instskip(NEXT) | instid1(VALU_DEP_1)
	v_add_f64_e64 v[34:35], |v[28:29]|, v[34:35]
	v_add_f64_e64 v[32:33], v[34:35], -v[32:33]
	s_delay_alu instid0(VALU_DEP_1) | instskip(NEXT) | instid1(VALU_DEP_1)
	v_add_f64_e32 v[32:33], 0xbc7abc9e3b39803f, v[32:33]
	v_add_f64_e32 v[34:35], v[30:31], v[32:33]
	s_delay_alu instid0(VALU_DEP_1) | instskip(SKIP_1) | instid1(VALU_DEP_2)
	v_mul_f64_e32 v[36:37], 0x3ff71547652b82fe, v[34:35]
	v_add_f64_e64 v[30:31], v[30:31], -v[34:35]
	v_rndne_f64_e32 v[36:37], v[36:37]
	s_delay_alu instid0(VALU_DEP_2) | instskip(NEXT) | instid1(VALU_DEP_2)
	v_add_f64_e32 v[30:31], v[32:33], v[30:31]
	v_fmac_f64_e32 v[34:35], 0xbfe62e42fefa3000, v[36:37]
	v_mul_f64_e32 v[32:33], 0xbd53de6af278e000, v[36:37]
	s_delay_alu instid0(VALU_DEP_2) | instskip(NEXT) | instid1(VALU_DEP_1)
	v_add_f64_e32 v[38:39], v[30:31], v[34:35]
	v_add_f64_e32 v[40:41], v[38:39], v[32:33]
	v_add_f64_e64 v[34:35], v[34:35], -v[38:39]
	s_delay_alu instid0(VALU_DEP_2) | instskip(NEXT) | instid1(VALU_DEP_2)
	v_add_f64_e64 v[38:39], v[38:39], -v[40:41]
	v_add_f64_e32 v[30:31], v[30:31], v[34:35]
	s_delay_alu instid0(VALU_DEP_2) | instskip(NEXT) | instid1(VALU_DEP_1)
	v_add_f64_e32 v[32:33], v[38:39], v[32:33]
	v_add_f64_e32 v[30:31], v[30:31], v[32:33]
	v_mul_f64_e32 v[32:33], 0xbac9cc01f97b57a0, v[36:37]
	s_delay_alu instid0(VALU_DEP_2) | instskip(NEXT) | instid1(VALU_DEP_1)
	v_add_f64_e32 v[34:35], v[40:41], v[30:31]
	v_add_f64_e32 v[38:39], v[34:35], v[32:33]
	v_add_f64_e64 v[40:41], v[40:41], -v[34:35]
	s_delay_alu instid0(VALU_DEP_2) | instskip(NEXT) | instid1(VALU_DEP_2)
	v_add_f64_e64 v[34:35], v[34:35], -v[38:39]
	v_add_f64_e32 v[30:31], v[30:31], v[40:41]
	s_delay_alu instid0(VALU_DEP_2) | instskip(NEXT) | instid1(VALU_DEP_1)
	v_add_f64_e32 v[32:33], v[34:35], v[32:33]
	v_add_f64_e32 v[30:31], v[30:31], v[32:33]
	s_delay_alu instid0(VALU_DEP_1) | instskip(NEXT) | instid1(VALU_DEP_1)
	v_add_f64_e32 v[32:33], v[38:39], v[30:31]
	v_add_f64_e64 v[34:35], v[38:39], -v[32:33]
	v_mul_f64_e32 v[38:39], v[32:33], v[32:33]
	s_delay_alu instid0(VALU_DEP_2) | instskip(NEXT) | instid1(VALU_DEP_2)
	v_add_f64_e32 v[30:31], v[30:31], v[34:35]
	v_fma_f64 v[34:35], v[32:33], v[32:33], -v[38:39]
	s_delay_alu instid0(VALU_DEP_2) | instskip(NEXT) | instid1(VALU_DEP_1)
	v_add_f64_e32 v[40:41], v[30:31], v[30:31]
	v_fmac_f64_e32 v[34:35], v[32:33], v[40:41]
	v_fmamk_f64 v[40:41], v[32:33], 0x3e5ade156a5dcb37, v[6:7]
	s_delay_alu instid0(VALU_DEP_1) | instskip(NEXT) | instid1(VALU_DEP_1)
	v_fmaak_f64 v[40:41], v[32:33], v[40:41], 0x3ec71dee623fde64
	v_fmaak_f64 v[40:41], v[32:33], v[40:41], 0x3efa01997c89e6b0
	s_delay_alu instid0(VALU_DEP_1) | instskip(NEXT) | instid1(VALU_DEP_1)
	v_fmaak_f64 v[40:41], v[32:33], v[40:41], 0x3f2a01a014761f6e
	v_fmaak_f64 v[40:41], v[32:33], v[40:41], 0x3f56c16c1852b7b0
	v_add_f64_e32 v[42:43], v[38:39], v[34:35]
	s_delay_alu instid0(VALU_DEP_2) | instskip(NEXT) | instid1(VALU_DEP_1)
	v_fmaak_f64 v[40:41], v[32:33], v[40:41], 0x3f81111111122322
	v_fmaak_f64 v[40:41], v[32:33], v[40:41], 0x3fa55555555502a1
	s_delay_alu instid0(VALU_DEP_1) | instskip(NEXT) | instid1(VALU_DEP_1)
	v_fmaak_f64 v[40:41], v[32:33], v[40:41], 0x3fc5555555555511
	v_fmaak_f64 v[40:41], v[32:33], v[40:41], 0x3fe000000000000b
	v_add_f64_e64 v[38:39], v[42:43], -v[38:39]
	s_delay_alu instid0(VALU_DEP_2) | instskip(NEXT) | instid1(VALU_DEP_2)
	v_mul_f64_e32 v[44:45], v[42:43], v[40:41]
	v_add_f64_e64 v[34:35], v[34:35], -v[38:39]
	s_delay_alu instid0(VALU_DEP_2) | instskip(NEXT) | instid1(VALU_DEP_1)
	v_fma_f64 v[38:39], v[42:43], v[40:41], -v[44:45]
	v_fmac_f64_e32 v[38:39], v[34:35], v[40:41]
	s_delay_alu instid0(VALU_DEP_1) | instskip(NEXT) | instid1(VALU_DEP_1)
	v_add_f64_e32 v[34:35], v[44:45], v[38:39]
	v_add_f64_e64 v[40:41], v[34:35], -v[44:45]
	v_add_f64_e32 v[42:43], v[32:33], v[34:35]
	s_delay_alu instid0(VALU_DEP_2) | instskip(NEXT) | instid1(VALU_DEP_2)
	v_add_f64_e64 v[38:39], v[38:39], -v[40:41]
	v_add_f64_e64 v[32:33], v[42:43], -v[32:33]
	s_delay_alu instid0(VALU_DEP_2) | instskip(NEXT) | instid1(VALU_DEP_2)
	v_add_f64_e32 v[30:31], v[30:31], v[38:39]
	v_add_f64_e64 v[32:33], v[34:35], -v[32:33]
	s_delay_alu instid0(VALU_DEP_1) | instskip(NEXT) | instid1(VALU_DEP_1)
	v_add_f64_e32 v[30:31], v[30:31], v[32:33]
	v_add_f64_e32 v[32:33], v[42:43], v[30:31]
	s_delay_alu instid0(VALU_DEP_1) | instskip(SKIP_2) | instid1(VALU_DEP_3)
	v_add_f64_e32 v[34:35], 1.0, v[32:33]
	v_add_f64_e64 v[38:39], v[32:33], -v[42:43]
	v_cvt_i32_f64_e32 v42, v[36:37]
	v_add_f64_e32 v[40:41], -1.0, v[34:35]
	s_delay_alu instid0(VALU_DEP_3) | instskip(NEXT) | instid1(VALU_DEP_2)
	v_add_f64_e64 v[30:31], v[30:31], -v[38:39]
	v_add_f64_e64 v[32:33], v[32:33], -v[40:41]
	s_delay_alu instid0(VALU_DEP_1) | instskip(NEXT) | instid1(VALU_DEP_1)
	v_add_f64_e32 v[30:31], v[30:31], v[32:33]
	v_add_f64_e32 v[32:33], v[34:35], v[30:31]
	s_delay_alu instid0(VALU_DEP_1) | instskip(SKIP_1) | instid1(VALU_DEP_2)
	v_ldexp_f64 v[36:37], v[32:33], v42
	v_add_f64_e64 v[32:33], v[32:33], -v[34:35]
	v_rcp_f64_e32 v[38:39], v[36:37]
	s_delay_alu instid0(VALU_DEP_1) | instskip(NEXT) | instid1(VALU_DEP_1)
	v_add_f64_e64 v[30:31], v[30:31], -v[32:33]
	v_ldexp_f64 v[30:31], v[30:31], v42
	s_delay_alu instid0(TRANS32_DEP_1) | instskip(NEXT) | instid1(VALU_DEP_1)
	v_fma_f64 v[40:41], -v[36:37], v[38:39], 1.0
	v_fmac_f64_e32 v[38:39], v[40:41], v[38:39]
	s_delay_alu instid0(VALU_DEP_1) | instskip(NEXT) | instid1(VALU_DEP_1)
	v_fma_f64 v[40:41], -v[36:37], v[38:39], 1.0
	v_fmac_f64_e32 v[38:39], v[40:41], v[38:39]
	s_delay_alu instid0(VALU_DEP_1) | instskip(NEXT) | instid1(VALU_DEP_1)
	v_mul_f64_e32 v[32:33], v[36:37], v[38:39]
	v_fma_f64 v[34:35], v[38:39], v[36:37], -v[32:33]
	s_delay_alu instid0(VALU_DEP_1) | instskip(NEXT) | instid1(VALU_DEP_1)
	v_fmac_f64_e32 v[34:35], v[38:39], v[30:31]
	v_add_f64_e32 v[40:41], v[32:33], v[34:35]
	s_delay_alu instid0(VALU_DEP_1) | instskip(SKIP_1) | instid1(VALU_DEP_2)
	v_add_f64_e64 v[42:43], -v[40:41], 1.0
	v_add_f64_e64 v[32:33], v[40:41], -v[32:33]
	v_add_f64_e64 v[44:45], -v[42:43], 1.0
	s_delay_alu instid0(VALU_DEP_2) | instskip(NEXT) | instid1(VALU_DEP_2)
	v_add_f64_e64 v[32:33], v[32:33], -v[34:35]
	v_add_f64_e64 v[34:35], v[44:45], -v[40:41]
	s_delay_alu instid0(VALU_DEP_1) | instskip(NEXT) | instid1(VALU_DEP_1)
	v_add_f64_e32 v[32:33], v[32:33], v[34:35]
	v_add_f64_e32 v[34:35], v[42:43], v[32:33]
	s_delay_alu instid0(VALU_DEP_1) | instskip(SKIP_1) | instid1(VALU_DEP_2)
	v_mul_f64_e32 v[40:41], v[38:39], v[34:35]
	v_add_f64_e64 v[42:43], v[42:43], -v[34:35]
	v_mul_f64_e32 v[44:45], v[36:37], v[40:41]
	s_delay_alu instid0(VALU_DEP_2) | instskip(NEXT) | instid1(VALU_DEP_2)
	v_add_f64_e32 v[32:33], v[32:33], v[42:43]
	v_fma_f64 v[46:47], v[40:41], v[36:37], -v[44:45]
	s_delay_alu instid0(VALU_DEP_1) | instskip(NEXT) | instid1(VALU_DEP_1)
	v_fmac_f64_e32 v[46:47], v[40:41], v[30:31]
	v_add_f64_e32 v[48:49], v[44:45], v[46:47]
	s_delay_alu instid0(VALU_DEP_1) | instskip(SKIP_1) | instid1(VALU_DEP_2)
	v_add_f64_e64 v[50:51], v[34:35], -v[48:49]
	v_add_f64_e64 v[42:43], v[48:49], -v[44:45]
	;; [unrolled: 1-line block ×3, first 2 shown]
	s_delay_alu instid0(VALU_DEP_2) | instskip(NEXT) | instid1(VALU_DEP_2)
	v_add_f64_e64 v[42:43], v[42:43], -v[46:47]
	v_add_f64_e64 v[34:35], v[34:35], -v[48:49]
	s_delay_alu instid0(VALU_DEP_1) | instskip(SKIP_1) | instid1(VALU_DEP_2)
	v_add_f64_e32 v[32:33], v[32:33], v[34:35]
	v_add_f64_e32 v[34:35], v[38:39], v[40:41]
	;; [unrolled: 1-line block ×3, first 2 shown]
	s_delay_alu instid0(VALU_DEP_2) | instskip(NEXT) | instid1(VALU_DEP_2)
	v_add_f64_e64 v[42:43], v[34:35], -v[38:39]
	v_add_f64_e32 v[32:33], v[50:51], v[32:33]
	s_delay_alu instid0(VALU_DEP_2) | instskip(NEXT) | instid1(VALU_DEP_2)
	v_add_f64_e64 v[40:41], v[40:41], -v[42:43]
	v_mul_f64_e32 v[32:33], v[38:39], v[32:33]
	s_delay_alu instid0(VALU_DEP_1) | instskip(NEXT) | instid1(VALU_DEP_1)
	v_add_f64_e32 v[32:33], v[40:41], v[32:33]
	v_add_f64_e32 v[38:39], v[34:35], v[32:33]
	s_delay_alu instid0(VALU_DEP_1) | instskip(SKIP_1) | instid1(VALU_DEP_2)
	v_ldexp_f64 v[40:41], v[38:39], -2
	v_add_f64_e64 v[34:35], v[38:39], -v[34:35]
	v_add_f64_e64 v[42:43], v[36:37], -v[40:41]
	s_delay_alu instid0(VALU_DEP_2) | instskip(NEXT) | instid1(VALU_DEP_2)
	v_add_f64_e64 v[32:33], v[32:33], -v[34:35]
	v_add_f64_e64 v[36:37], v[36:37], -v[42:43]
	s_delay_alu instid0(VALU_DEP_2) | instskip(NEXT) | instid1(VALU_DEP_2)
	v_ldexp_f64 v[32:33], v[32:33], -2
	v_add_f64_e64 v[34:35], v[36:37], -v[40:41]
	s_delay_alu instid0(VALU_DEP_1) | instskip(NEXT) | instid1(VALU_DEP_1)
	v_add_f64_e32 v[30:31], v[30:31], v[34:35]
	v_add_f64_e64 v[30:31], v[30:31], -v[32:33]
	v_and_b32_e32 v32, 0x7fffffff, v29
	s_delay_alu instid0(VALU_DEP_2) | instskip(NEXT) | instid1(VALU_DEP_1)
	v_add_f64_e32 v[30:31], v[42:43], v[30:31]
	v_cndmask_b32_e64 v31, 0x7ff00000, v31, s4
	s_delay_alu instid0(VALU_DEP_2) | instskip(SKIP_1) | instid1(VALU_DEP_1)
	v_cndmask_b32_e64 v30, 0, v30, s4
	v_cmp_gt_f64_e64 s4, 0x3e400000, |v[28:29]|
	v_cndmask_b32_e64 v28, v30, v28, s4
	s_delay_alu instid0(VALU_DEP_4) | instskip(NEXT) | instid1(VALU_DEP_1)
	v_cndmask_b32_e64 v30, v31, v32, s4
	v_bfi_b32 v29, 0x7fffffff, v30, v29
	global_store_b64 v[10:11], v[28:29], off
	s_wait_xcnt 0x0
	s_or_b32 exec_lo, exec_lo, s5
	s_and_saveexec_b32 s4, s3
	s_cbranch_execz .LBB123_13
.LBB123_17:                             ;   in Loop: Header=BB123_4 Depth=1
	s_wait_loadcnt 0x0
	v_add_f64_e64 v[28:29], |v[26:27]|, s[12:13]
	v_cmp_nge_f64_e64 s3, |v[26:27]|, s[18:19]
	s_delay_alu instid0(VALU_DEP_2) | instskip(NEXT) | instid1(VALU_DEP_1)
	v_add_f64_e64 v[30:31], v[28:29], -|v[26:27]|
	v_add_f64_e64 v[32:33], v[30:31], -v[28:29]
	v_add_f64_e32 v[30:31], 0x3fe62e42fefa39ef, v[30:31]
	s_delay_alu instid0(VALU_DEP_2) | instskip(NEXT) | instid1(VALU_DEP_1)
	v_add_f64_e64 v[32:33], |v[26:27]|, v[32:33]
	v_add_f64_e64 v[30:31], v[32:33], -v[30:31]
	s_delay_alu instid0(VALU_DEP_1) | instskip(NEXT) | instid1(VALU_DEP_1)
	v_add_f64_e32 v[30:31], 0xbc7abc9e3b39803f, v[30:31]
	v_add_f64_e32 v[32:33], v[28:29], v[30:31]
	s_delay_alu instid0(VALU_DEP_1) | instskip(SKIP_1) | instid1(VALU_DEP_2)
	v_mul_f64_e32 v[34:35], 0x3ff71547652b82fe, v[32:33]
	v_add_f64_e64 v[28:29], v[28:29], -v[32:33]
	v_rndne_f64_e32 v[34:35], v[34:35]
	s_delay_alu instid0(VALU_DEP_2) | instskip(NEXT) | instid1(VALU_DEP_2)
	v_add_f64_e32 v[28:29], v[30:31], v[28:29]
	v_fmac_f64_e32 v[32:33], 0xbfe62e42fefa3000, v[34:35]
	v_mul_f64_e32 v[30:31], 0xbd53de6af278e000, v[34:35]
	s_delay_alu instid0(VALU_DEP_2) | instskip(NEXT) | instid1(VALU_DEP_1)
	v_add_f64_e32 v[36:37], v[28:29], v[32:33]
	v_add_f64_e32 v[38:39], v[36:37], v[30:31]
	v_add_f64_e64 v[32:33], v[32:33], -v[36:37]
	s_delay_alu instid0(VALU_DEP_2) | instskip(NEXT) | instid1(VALU_DEP_2)
	v_add_f64_e64 v[36:37], v[36:37], -v[38:39]
	v_add_f64_e32 v[28:29], v[28:29], v[32:33]
	s_delay_alu instid0(VALU_DEP_2) | instskip(NEXT) | instid1(VALU_DEP_1)
	v_add_f64_e32 v[30:31], v[36:37], v[30:31]
	v_add_f64_e32 v[28:29], v[28:29], v[30:31]
	v_mul_f64_e32 v[30:31], 0xbac9cc01f97b57a0, v[34:35]
	s_delay_alu instid0(VALU_DEP_2) | instskip(NEXT) | instid1(VALU_DEP_1)
	v_add_f64_e32 v[32:33], v[38:39], v[28:29]
	v_add_f64_e32 v[36:37], v[32:33], v[30:31]
	v_add_f64_e64 v[38:39], v[38:39], -v[32:33]
	s_delay_alu instid0(VALU_DEP_2) | instskip(NEXT) | instid1(VALU_DEP_2)
	v_add_f64_e64 v[32:33], v[32:33], -v[36:37]
	v_add_f64_e32 v[28:29], v[28:29], v[38:39]
	s_delay_alu instid0(VALU_DEP_2) | instskip(NEXT) | instid1(VALU_DEP_1)
	v_add_f64_e32 v[30:31], v[32:33], v[30:31]
	v_add_f64_e32 v[28:29], v[28:29], v[30:31]
	s_delay_alu instid0(VALU_DEP_1) | instskip(NEXT) | instid1(VALU_DEP_1)
	v_add_f64_e32 v[30:31], v[36:37], v[28:29]
	v_add_f64_e64 v[32:33], v[36:37], -v[30:31]
	v_mul_f64_e32 v[36:37], v[30:31], v[30:31]
	s_delay_alu instid0(VALU_DEP_2) | instskip(NEXT) | instid1(VALU_DEP_2)
	v_add_f64_e32 v[28:29], v[28:29], v[32:33]
	v_fma_f64 v[32:33], v[30:31], v[30:31], -v[36:37]
	s_delay_alu instid0(VALU_DEP_2) | instskip(NEXT) | instid1(VALU_DEP_1)
	v_add_f64_e32 v[38:39], v[28:29], v[28:29]
	v_fmac_f64_e32 v[32:33], v[30:31], v[38:39]
	v_fmamk_f64 v[38:39], v[30:31], 0x3e5ade156a5dcb37, v[6:7]
	s_delay_alu instid0(VALU_DEP_1) | instskip(NEXT) | instid1(VALU_DEP_1)
	v_fmaak_f64 v[38:39], v[30:31], v[38:39], 0x3ec71dee623fde64
	v_fmaak_f64 v[38:39], v[30:31], v[38:39], 0x3efa01997c89e6b0
	s_delay_alu instid0(VALU_DEP_1) | instskip(NEXT) | instid1(VALU_DEP_1)
	v_fmaak_f64 v[38:39], v[30:31], v[38:39], 0x3f2a01a014761f6e
	v_fmaak_f64 v[38:39], v[30:31], v[38:39], 0x3f56c16c1852b7b0
	v_add_f64_e32 v[40:41], v[36:37], v[32:33]
	s_delay_alu instid0(VALU_DEP_2) | instskip(NEXT) | instid1(VALU_DEP_1)
	v_fmaak_f64 v[38:39], v[30:31], v[38:39], 0x3f81111111122322
	v_fmaak_f64 v[38:39], v[30:31], v[38:39], 0x3fa55555555502a1
	s_delay_alu instid0(VALU_DEP_1) | instskip(NEXT) | instid1(VALU_DEP_1)
	v_fmaak_f64 v[38:39], v[30:31], v[38:39], 0x3fc5555555555511
	v_fmaak_f64 v[38:39], v[30:31], v[38:39], 0x3fe000000000000b
	v_add_f64_e64 v[36:37], v[40:41], -v[36:37]
	s_delay_alu instid0(VALU_DEP_2) | instskip(NEXT) | instid1(VALU_DEP_2)
	v_mul_f64_e32 v[42:43], v[40:41], v[38:39]
	v_add_f64_e64 v[32:33], v[32:33], -v[36:37]
	s_delay_alu instid0(VALU_DEP_2) | instskip(NEXT) | instid1(VALU_DEP_1)
	v_fma_f64 v[36:37], v[40:41], v[38:39], -v[42:43]
	v_fmac_f64_e32 v[36:37], v[32:33], v[38:39]
	s_delay_alu instid0(VALU_DEP_1) | instskip(NEXT) | instid1(VALU_DEP_1)
	v_add_f64_e32 v[32:33], v[42:43], v[36:37]
	v_add_f64_e32 v[38:39], v[30:31], v[32:33]
	v_add_f64_e64 v[40:41], v[32:33], -v[42:43]
	s_delay_alu instid0(VALU_DEP_2) | instskip(NEXT) | instid1(VALU_DEP_2)
	v_add_f64_e64 v[30:31], v[38:39], -v[30:31]
	v_add_f64_e64 v[36:37], v[36:37], -v[40:41]
	v_cvt_i32_f64_e32 v40, v[34:35]
	s_delay_alu instid0(VALU_DEP_3) | instskip(NEXT) | instid1(VALU_DEP_3)
	v_add_f64_e64 v[30:31], v[32:33], -v[30:31]
	v_add_f64_e32 v[28:29], v[28:29], v[36:37]
	s_delay_alu instid0(VALU_DEP_1) | instskip(NEXT) | instid1(VALU_DEP_1)
	v_add_f64_e32 v[28:29], v[28:29], v[30:31]
	v_add_f64_e32 v[30:31], v[38:39], v[28:29]
	s_delay_alu instid0(VALU_DEP_1) | instskip(SKIP_1) | instid1(VALU_DEP_2)
	v_add_f64_e32 v[32:33], 1.0, v[30:31]
	v_add_f64_e64 v[36:37], v[30:31], -v[38:39]
	v_add_f64_e32 v[38:39], -1.0, v[32:33]
	s_delay_alu instid0(VALU_DEP_2) | instskip(NEXT) | instid1(VALU_DEP_2)
	v_add_f64_e64 v[28:29], v[28:29], -v[36:37]
	v_add_f64_e64 v[30:31], v[30:31], -v[38:39]
	s_delay_alu instid0(VALU_DEP_1) | instskip(NEXT) | instid1(VALU_DEP_1)
	v_add_f64_e32 v[28:29], v[28:29], v[30:31]
	v_add_f64_e32 v[30:31], v[32:33], v[28:29]
	s_delay_alu instid0(VALU_DEP_1) | instskip(SKIP_1) | instid1(VALU_DEP_2)
	v_ldexp_f64 v[34:35], v[30:31], v40
	v_add_f64_e64 v[30:31], v[30:31], -v[32:33]
	v_rcp_f64_e32 v[36:37], v[34:35]
	s_delay_alu instid0(VALU_DEP_1) | instskip(NEXT) | instid1(VALU_DEP_1)
	v_add_f64_e64 v[28:29], v[28:29], -v[30:31]
	v_ldexp_f64 v[28:29], v[28:29], v40
	s_delay_alu instid0(TRANS32_DEP_1) | instskip(NEXT) | instid1(VALU_DEP_1)
	v_fma_f64 v[38:39], -v[34:35], v[36:37], 1.0
	v_fmac_f64_e32 v[36:37], v[38:39], v[36:37]
	s_delay_alu instid0(VALU_DEP_1) | instskip(NEXT) | instid1(VALU_DEP_1)
	v_fma_f64 v[38:39], -v[34:35], v[36:37], 1.0
	v_fmac_f64_e32 v[36:37], v[38:39], v[36:37]
	s_delay_alu instid0(VALU_DEP_1) | instskip(NEXT) | instid1(VALU_DEP_1)
	v_mul_f64_e32 v[30:31], v[34:35], v[36:37]
	v_fma_f64 v[32:33], v[36:37], v[34:35], -v[30:31]
	s_delay_alu instid0(VALU_DEP_1) | instskip(NEXT) | instid1(VALU_DEP_1)
	v_fmac_f64_e32 v[32:33], v[36:37], v[28:29]
	v_add_f64_e32 v[38:39], v[30:31], v[32:33]
	s_delay_alu instid0(VALU_DEP_1) | instskip(SKIP_1) | instid1(VALU_DEP_2)
	v_add_f64_e64 v[40:41], -v[38:39], 1.0
	v_add_f64_e64 v[30:31], v[38:39], -v[30:31]
	v_add_f64_e64 v[42:43], -v[40:41], 1.0
	s_delay_alu instid0(VALU_DEP_2) | instskip(NEXT) | instid1(VALU_DEP_2)
	v_add_f64_e64 v[30:31], v[30:31], -v[32:33]
	v_add_f64_e64 v[32:33], v[42:43], -v[38:39]
	s_delay_alu instid0(VALU_DEP_1) | instskip(NEXT) | instid1(VALU_DEP_1)
	v_add_f64_e32 v[30:31], v[30:31], v[32:33]
	v_add_f64_e32 v[32:33], v[40:41], v[30:31]
	s_delay_alu instid0(VALU_DEP_1) | instskip(SKIP_1) | instid1(VALU_DEP_2)
	v_mul_f64_e32 v[38:39], v[36:37], v[32:33]
	v_add_f64_e64 v[40:41], v[40:41], -v[32:33]
	v_mul_f64_e32 v[42:43], v[34:35], v[38:39]
	s_delay_alu instid0(VALU_DEP_2) | instskip(NEXT) | instid1(VALU_DEP_2)
	v_add_f64_e32 v[30:31], v[30:31], v[40:41]
	v_fma_f64 v[44:45], v[38:39], v[34:35], -v[42:43]
	s_delay_alu instid0(VALU_DEP_1) | instskip(NEXT) | instid1(VALU_DEP_1)
	v_fmac_f64_e32 v[44:45], v[38:39], v[28:29]
	v_add_f64_e32 v[46:47], v[42:43], v[44:45]
	s_delay_alu instid0(VALU_DEP_1) | instskip(SKIP_1) | instid1(VALU_DEP_2)
	v_add_f64_e64 v[48:49], v[32:33], -v[46:47]
	v_add_f64_e64 v[40:41], v[46:47], -v[42:43]
	;; [unrolled: 1-line block ×3, first 2 shown]
	s_delay_alu instid0(VALU_DEP_2) | instskip(NEXT) | instid1(VALU_DEP_2)
	v_add_f64_e64 v[40:41], v[40:41], -v[44:45]
	v_add_f64_e64 v[32:33], v[32:33], -v[46:47]
	s_delay_alu instid0(VALU_DEP_1) | instskip(SKIP_1) | instid1(VALU_DEP_2)
	v_add_f64_e32 v[30:31], v[30:31], v[32:33]
	v_add_f64_e32 v[32:33], v[36:37], v[38:39]
	;; [unrolled: 1-line block ×3, first 2 shown]
	s_delay_alu instid0(VALU_DEP_2) | instskip(NEXT) | instid1(VALU_DEP_2)
	v_add_f64_e64 v[40:41], v[32:33], -v[36:37]
	v_add_f64_e32 v[30:31], v[48:49], v[30:31]
	s_delay_alu instid0(VALU_DEP_2) | instskip(NEXT) | instid1(VALU_DEP_2)
	v_add_f64_e64 v[38:39], v[38:39], -v[40:41]
	v_mul_f64_e32 v[30:31], v[36:37], v[30:31]
	s_delay_alu instid0(VALU_DEP_1) | instskip(NEXT) | instid1(VALU_DEP_1)
	v_add_f64_e32 v[30:31], v[38:39], v[30:31]
	v_add_f64_e32 v[36:37], v[32:33], v[30:31]
	s_delay_alu instid0(VALU_DEP_1) | instskip(SKIP_1) | instid1(VALU_DEP_2)
	v_ldexp_f64 v[38:39], v[36:37], -2
	v_add_f64_e64 v[32:33], v[36:37], -v[32:33]
	v_add_f64_e64 v[40:41], v[34:35], -v[38:39]
	s_delay_alu instid0(VALU_DEP_2) | instskip(NEXT) | instid1(VALU_DEP_2)
	v_add_f64_e64 v[30:31], v[30:31], -v[32:33]
	v_add_f64_e64 v[34:35], v[34:35], -v[40:41]
	s_delay_alu instid0(VALU_DEP_2) | instskip(NEXT) | instid1(VALU_DEP_2)
	v_ldexp_f64 v[30:31], v[30:31], -2
	v_add_f64_e64 v[32:33], v[34:35], -v[38:39]
	s_delay_alu instid0(VALU_DEP_1) | instskip(NEXT) | instid1(VALU_DEP_1)
	v_add_f64_e32 v[28:29], v[28:29], v[32:33]
	v_add_f64_e64 v[28:29], v[28:29], -v[30:31]
	v_and_b32_e32 v30, 0x7fffffff, v27
	s_delay_alu instid0(VALU_DEP_2) | instskip(NEXT) | instid1(VALU_DEP_1)
	v_add_f64_e32 v[28:29], v[40:41], v[28:29]
	v_cndmask_b32_e64 v29, 0x7ff00000, v29, s3
	s_delay_alu instid0(VALU_DEP_2) | instskip(SKIP_1) | instid1(VALU_DEP_1)
	v_cndmask_b32_e64 v28, 0, v28, s3
	v_cmp_gt_f64_e64 s3, 0x3e400000, |v[26:27]|
	v_cndmask_b32_e64 v26, v28, v26, s3
	s_delay_alu instid0(VALU_DEP_4) | instskip(NEXT) | instid1(VALU_DEP_1)
	v_cndmask_b32_e64 v28, v29, v30, s3
	v_bfi_b32 v27, 0x7fffffff, v28, v27
	global_store_b64 v[16:17], v[26:27], off
	s_wait_xcnt 0x0
	s_or_b32 exec_lo, exec_lo, s4
	s_and_saveexec_b32 s3, s2
	s_cbranch_execz .LBB123_14
.LBB123_18:                             ;   in Loop: Header=BB123_4 Depth=1
	s_wait_loadcnt 0x0
	v_add_f64_e64 v[26:27], |v[24:25]|, s[12:13]
	v_cmp_nge_f64_e64 s2, |v[24:25]|, s[18:19]
	s_delay_alu instid0(VALU_DEP_2) | instskip(NEXT) | instid1(VALU_DEP_1)
	v_add_f64_e64 v[28:29], v[26:27], -|v[24:25]|
	v_add_f64_e64 v[30:31], v[28:29], -v[26:27]
	v_add_f64_e32 v[28:29], 0x3fe62e42fefa39ef, v[28:29]
	s_delay_alu instid0(VALU_DEP_2) | instskip(NEXT) | instid1(VALU_DEP_1)
	v_add_f64_e64 v[30:31], |v[24:25]|, v[30:31]
	v_add_f64_e64 v[28:29], v[30:31], -v[28:29]
	s_delay_alu instid0(VALU_DEP_1) | instskip(NEXT) | instid1(VALU_DEP_1)
	v_add_f64_e32 v[28:29], 0xbc7abc9e3b39803f, v[28:29]
	v_add_f64_e32 v[30:31], v[26:27], v[28:29]
	s_delay_alu instid0(VALU_DEP_1) | instskip(SKIP_1) | instid1(VALU_DEP_2)
	v_mul_f64_e32 v[32:33], 0x3ff71547652b82fe, v[30:31]
	v_add_f64_e64 v[26:27], v[26:27], -v[30:31]
	v_rndne_f64_e32 v[32:33], v[32:33]
	s_delay_alu instid0(VALU_DEP_2) | instskip(NEXT) | instid1(VALU_DEP_2)
	v_add_f64_e32 v[26:27], v[28:29], v[26:27]
	v_fmac_f64_e32 v[30:31], 0xbfe62e42fefa3000, v[32:33]
	v_mul_f64_e32 v[28:29], 0xbd53de6af278e000, v[32:33]
	s_delay_alu instid0(VALU_DEP_2) | instskip(NEXT) | instid1(VALU_DEP_1)
	v_add_f64_e32 v[34:35], v[26:27], v[30:31]
	v_add_f64_e32 v[36:37], v[34:35], v[28:29]
	v_add_f64_e64 v[30:31], v[30:31], -v[34:35]
	s_delay_alu instid0(VALU_DEP_2) | instskip(NEXT) | instid1(VALU_DEP_2)
	v_add_f64_e64 v[34:35], v[34:35], -v[36:37]
	v_add_f64_e32 v[26:27], v[26:27], v[30:31]
	s_delay_alu instid0(VALU_DEP_2) | instskip(NEXT) | instid1(VALU_DEP_1)
	v_add_f64_e32 v[28:29], v[34:35], v[28:29]
	v_add_f64_e32 v[26:27], v[26:27], v[28:29]
	v_mul_f64_e32 v[28:29], 0xbac9cc01f97b57a0, v[32:33]
	s_delay_alu instid0(VALU_DEP_2) | instskip(NEXT) | instid1(VALU_DEP_1)
	v_add_f64_e32 v[30:31], v[36:37], v[26:27]
	v_add_f64_e32 v[34:35], v[30:31], v[28:29]
	v_add_f64_e64 v[36:37], v[36:37], -v[30:31]
	s_delay_alu instid0(VALU_DEP_2) | instskip(NEXT) | instid1(VALU_DEP_2)
	v_add_f64_e64 v[30:31], v[30:31], -v[34:35]
	v_add_f64_e32 v[26:27], v[26:27], v[36:37]
	s_delay_alu instid0(VALU_DEP_2) | instskip(NEXT) | instid1(VALU_DEP_1)
	v_add_f64_e32 v[28:29], v[30:31], v[28:29]
	v_add_f64_e32 v[26:27], v[26:27], v[28:29]
	s_delay_alu instid0(VALU_DEP_1) | instskip(NEXT) | instid1(VALU_DEP_1)
	v_add_f64_e32 v[28:29], v[34:35], v[26:27]
	v_add_f64_e64 v[30:31], v[34:35], -v[28:29]
	v_mul_f64_e32 v[34:35], v[28:29], v[28:29]
	s_delay_alu instid0(VALU_DEP_2) | instskip(NEXT) | instid1(VALU_DEP_2)
	v_add_f64_e32 v[26:27], v[26:27], v[30:31]
	v_fma_f64 v[30:31], v[28:29], v[28:29], -v[34:35]
	s_delay_alu instid0(VALU_DEP_2) | instskip(NEXT) | instid1(VALU_DEP_1)
	v_add_f64_e32 v[36:37], v[26:27], v[26:27]
	v_fmac_f64_e32 v[30:31], v[28:29], v[36:37]
	v_fmamk_f64 v[36:37], v[28:29], 0x3e5ade156a5dcb37, v[6:7]
	s_delay_alu instid0(VALU_DEP_1) | instskip(NEXT) | instid1(VALU_DEP_1)
	v_fmaak_f64 v[36:37], v[28:29], v[36:37], 0x3ec71dee623fde64
	v_fmaak_f64 v[36:37], v[28:29], v[36:37], 0x3efa01997c89e6b0
	s_delay_alu instid0(VALU_DEP_1) | instskip(NEXT) | instid1(VALU_DEP_1)
	v_fmaak_f64 v[36:37], v[28:29], v[36:37], 0x3f2a01a014761f6e
	v_fmaak_f64 v[36:37], v[28:29], v[36:37], 0x3f56c16c1852b7b0
	v_add_f64_e32 v[38:39], v[34:35], v[30:31]
	s_delay_alu instid0(VALU_DEP_2) | instskip(NEXT) | instid1(VALU_DEP_1)
	v_fmaak_f64 v[36:37], v[28:29], v[36:37], 0x3f81111111122322
	v_fmaak_f64 v[36:37], v[28:29], v[36:37], 0x3fa55555555502a1
	s_delay_alu instid0(VALU_DEP_1) | instskip(NEXT) | instid1(VALU_DEP_1)
	v_fmaak_f64 v[36:37], v[28:29], v[36:37], 0x3fc5555555555511
	v_fmaak_f64 v[36:37], v[28:29], v[36:37], 0x3fe000000000000b
	v_add_f64_e64 v[34:35], v[38:39], -v[34:35]
	s_delay_alu instid0(VALU_DEP_2) | instskip(NEXT) | instid1(VALU_DEP_2)
	v_mul_f64_e32 v[40:41], v[38:39], v[36:37]
	v_add_f64_e64 v[30:31], v[30:31], -v[34:35]
	s_delay_alu instid0(VALU_DEP_2) | instskip(NEXT) | instid1(VALU_DEP_1)
	v_fma_f64 v[34:35], v[38:39], v[36:37], -v[40:41]
	v_fmac_f64_e32 v[34:35], v[30:31], v[36:37]
	s_delay_alu instid0(VALU_DEP_1) | instskip(NEXT) | instid1(VALU_DEP_1)
	v_add_f64_e32 v[30:31], v[40:41], v[34:35]
	v_add_f64_e32 v[36:37], v[28:29], v[30:31]
	v_add_f64_e64 v[38:39], v[30:31], -v[40:41]
	s_delay_alu instid0(VALU_DEP_2) | instskip(NEXT) | instid1(VALU_DEP_2)
	v_add_f64_e64 v[28:29], v[36:37], -v[28:29]
	v_add_f64_e64 v[34:35], v[34:35], -v[38:39]
	v_cvt_i32_f64_e32 v38, v[32:33]
	s_delay_alu instid0(VALU_DEP_3) | instskip(NEXT) | instid1(VALU_DEP_3)
	v_add_f64_e64 v[28:29], v[30:31], -v[28:29]
	v_add_f64_e32 v[26:27], v[26:27], v[34:35]
	s_delay_alu instid0(VALU_DEP_1) | instskip(NEXT) | instid1(VALU_DEP_1)
	v_add_f64_e32 v[26:27], v[26:27], v[28:29]
	v_add_f64_e32 v[28:29], v[36:37], v[26:27]
	s_delay_alu instid0(VALU_DEP_1) | instskip(SKIP_1) | instid1(VALU_DEP_2)
	v_add_f64_e32 v[30:31], 1.0, v[28:29]
	v_add_f64_e64 v[34:35], v[28:29], -v[36:37]
	v_add_f64_e32 v[36:37], -1.0, v[30:31]
	s_delay_alu instid0(VALU_DEP_2) | instskip(NEXT) | instid1(VALU_DEP_2)
	v_add_f64_e64 v[26:27], v[26:27], -v[34:35]
	v_add_f64_e64 v[28:29], v[28:29], -v[36:37]
	s_delay_alu instid0(VALU_DEP_1) | instskip(NEXT) | instid1(VALU_DEP_1)
	v_add_f64_e32 v[26:27], v[26:27], v[28:29]
	v_add_f64_e32 v[28:29], v[30:31], v[26:27]
	s_delay_alu instid0(VALU_DEP_1) | instskip(SKIP_1) | instid1(VALU_DEP_2)
	v_ldexp_f64 v[32:33], v[28:29], v38
	v_add_f64_e64 v[28:29], v[28:29], -v[30:31]
	v_rcp_f64_e32 v[34:35], v[32:33]
	s_delay_alu instid0(VALU_DEP_1) | instskip(NEXT) | instid1(VALU_DEP_1)
	v_add_f64_e64 v[26:27], v[26:27], -v[28:29]
	v_ldexp_f64 v[26:27], v[26:27], v38
	s_delay_alu instid0(TRANS32_DEP_1) | instskip(NEXT) | instid1(VALU_DEP_1)
	v_fma_f64 v[36:37], -v[32:33], v[34:35], 1.0
	v_fmac_f64_e32 v[34:35], v[36:37], v[34:35]
	s_delay_alu instid0(VALU_DEP_1) | instskip(NEXT) | instid1(VALU_DEP_1)
	v_fma_f64 v[36:37], -v[32:33], v[34:35], 1.0
	v_fmac_f64_e32 v[34:35], v[36:37], v[34:35]
	s_delay_alu instid0(VALU_DEP_1) | instskip(NEXT) | instid1(VALU_DEP_1)
	v_mul_f64_e32 v[28:29], v[32:33], v[34:35]
	v_fma_f64 v[30:31], v[34:35], v[32:33], -v[28:29]
	s_delay_alu instid0(VALU_DEP_1) | instskip(NEXT) | instid1(VALU_DEP_1)
	v_fmac_f64_e32 v[30:31], v[34:35], v[26:27]
	v_add_f64_e32 v[36:37], v[28:29], v[30:31]
	s_delay_alu instid0(VALU_DEP_1) | instskip(SKIP_1) | instid1(VALU_DEP_2)
	v_add_f64_e64 v[38:39], -v[36:37], 1.0
	v_add_f64_e64 v[28:29], v[36:37], -v[28:29]
	v_add_f64_e64 v[40:41], -v[38:39], 1.0
	s_delay_alu instid0(VALU_DEP_2) | instskip(NEXT) | instid1(VALU_DEP_2)
	v_add_f64_e64 v[28:29], v[28:29], -v[30:31]
	v_add_f64_e64 v[30:31], v[40:41], -v[36:37]
	s_delay_alu instid0(VALU_DEP_1) | instskip(NEXT) | instid1(VALU_DEP_1)
	v_add_f64_e32 v[28:29], v[28:29], v[30:31]
	v_add_f64_e32 v[30:31], v[38:39], v[28:29]
	s_delay_alu instid0(VALU_DEP_1) | instskip(SKIP_1) | instid1(VALU_DEP_2)
	v_mul_f64_e32 v[36:37], v[34:35], v[30:31]
	v_add_f64_e64 v[38:39], v[38:39], -v[30:31]
	v_mul_f64_e32 v[40:41], v[32:33], v[36:37]
	s_delay_alu instid0(VALU_DEP_2) | instskip(NEXT) | instid1(VALU_DEP_2)
	v_add_f64_e32 v[28:29], v[28:29], v[38:39]
	v_fma_f64 v[42:43], v[36:37], v[32:33], -v[40:41]
	s_delay_alu instid0(VALU_DEP_1) | instskip(NEXT) | instid1(VALU_DEP_1)
	v_fmac_f64_e32 v[42:43], v[36:37], v[26:27]
	v_add_f64_e32 v[44:45], v[40:41], v[42:43]
	s_delay_alu instid0(VALU_DEP_1) | instskip(SKIP_1) | instid1(VALU_DEP_2)
	v_add_f64_e64 v[46:47], v[30:31], -v[44:45]
	v_add_f64_e64 v[38:39], v[44:45], -v[40:41]
	;; [unrolled: 1-line block ×3, first 2 shown]
	s_delay_alu instid0(VALU_DEP_2) | instskip(NEXT) | instid1(VALU_DEP_2)
	v_add_f64_e64 v[38:39], v[38:39], -v[42:43]
	v_add_f64_e64 v[30:31], v[30:31], -v[44:45]
	s_delay_alu instid0(VALU_DEP_1) | instskip(SKIP_1) | instid1(VALU_DEP_2)
	v_add_f64_e32 v[28:29], v[28:29], v[30:31]
	v_add_f64_e32 v[30:31], v[34:35], v[36:37]
	v_add_f64_e32 v[28:29], v[38:39], v[28:29]
	s_delay_alu instid0(VALU_DEP_2) | instskip(NEXT) | instid1(VALU_DEP_2)
	v_add_f64_e64 v[38:39], v[30:31], -v[34:35]
	v_add_f64_e32 v[28:29], v[46:47], v[28:29]
	s_delay_alu instid0(VALU_DEP_2) | instskip(NEXT) | instid1(VALU_DEP_2)
	v_add_f64_e64 v[36:37], v[36:37], -v[38:39]
	v_mul_f64_e32 v[28:29], v[34:35], v[28:29]
	s_delay_alu instid0(VALU_DEP_1) | instskip(NEXT) | instid1(VALU_DEP_1)
	v_add_f64_e32 v[28:29], v[36:37], v[28:29]
	v_add_f64_e32 v[34:35], v[30:31], v[28:29]
	s_delay_alu instid0(VALU_DEP_1) | instskip(SKIP_1) | instid1(VALU_DEP_2)
	v_ldexp_f64 v[36:37], v[34:35], -2
	v_add_f64_e64 v[30:31], v[34:35], -v[30:31]
	v_add_f64_e64 v[38:39], v[32:33], -v[36:37]
	s_delay_alu instid0(VALU_DEP_2) | instskip(NEXT) | instid1(VALU_DEP_2)
	v_add_f64_e64 v[28:29], v[28:29], -v[30:31]
	v_add_f64_e64 v[32:33], v[32:33], -v[38:39]
	s_delay_alu instid0(VALU_DEP_2) | instskip(NEXT) | instid1(VALU_DEP_2)
	v_ldexp_f64 v[28:29], v[28:29], -2
	v_add_f64_e64 v[30:31], v[32:33], -v[36:37]
	s_delay_alu instid0(VALU_DEP_1) | instskip(NEXT) | instid1(VALU_DEP_1)
	v_add_f64_e32 v[26:27], v[26:27], v[30:31]
	v_add_f64_e64 v[26:27], v[26:27], -v[28:29]
	v_and_b32_e32 v28, 0x7fffffff, v25
	s_delay_alu instid0(VALU_DEP_2) | instskip(NEXT) | instid1(VALU_DEP_1)
	v_add_f64_e32 v[26:27], v[38:39], v[26:27]
	v_cndmask_b32_e64 v27, 0x7ff00000, v27, s2
	s_delay_alu instid0(VALU_DEP_2) | instskip(SKIP_1) | instid1(VALU_DEP_1)
	v_cndmask_b32_e64 v26, 0, v26, s2
	v_cmp_gt_f64_e64 s2, 0x3e400000, |v[24:25]|
	v_cndmask_b32_e64 v24, v26, v24, s2
	s_delay_alu instid0(VALU_DEP_4) | instskip(NEXT) | instid1(VALU_DEP_1)
	v_cndmask_b32_e64 v26, v27, v28, s2
	v_bfi_b32 v25, 0x7fffffff, v26, v25
	global_store_b64 v[22:23], v[24:25], off
	s_wait_xcnt 0x0
	s_or_b32 exec_lo, exec_lo, s3
	s_and_saveexec_b32 s2, vcc_lo
	s_cbranch_execz .LBB123_3
.LBB123_19:                             ;   in Loop: Header=BB123_4 Depth=1
	s_wait_loadcnt 0x0
	v_add_f64_e64 v[22:23], |v[18:19]|, s[12:13]
	v_cmp_nge_f64_e64 vcc_lo, |v[18:19]|, s[18:19]
	s_delay_alu instid0(VALU_DEP_2) | instskip(NEXT) | instid1(VALU_DEP_1)
	v_add_f64_e64 v[24:25], v[22:23], -|v[18:19]|
	v_add_f64_e64 v[26:27], v[24:25], -v[22:23]
	v_add_f64_e32 v[24:25], 0x3fe62e42fefa39ef, v[24:25]
	s_delay_alu instid0(VALU_DEP_2) | instskip(NEXT) | instid1(VALU_DEP_1)
	v_add_f64_e64 v[26:27], |v[18:19]|, v[26:27]
	v_add_f64_e64 v[24:25], v[26:27], -v[24:25]
	s_delay_alu instid0(VALU_DEP_1) | instskip(NEXT) | instid1(VALU_DEP_1)
	v_add_f64_e32 v[24:25], 0xbc7abc9e3b39803f, v[24:25]
	v_add_f64_e32 v[26:27], v[22:23], v[24:25]
	s_delay_alu instid0(VALU_DEP_1) | instskip(SKIP_1) | instid1(VALU_DEP_2)
	v_mul_f64_e32 v[28:29], 0x3ff71547652b82fe, v[26:27]
	v_add_f64_e64 v[22:23], v[22:23], -v[26:27]
	v_rndne_f64_e32 v[28:29], v[28:29]
	s_delay_alu instid0(VALU_DEP_2) | instskip(NEXT) | instid1(VALU_DEP_2)
	v_add_f64_e32 v[22:23], v[24:25], v[22:23]
	v_fmac_f64_e32 v[26:27], 0xbfe62e42fefa3000, v[28:29]
	v_mul_f64_e32 v[24:25], 0xbd53de6af278e000, v[28:29]
	s_delay_alu instid0(VALU_DEP_2) | instskip(NEXT) | instid1(VALU_DEP_1)
	v_add_f64_e32 v[30:31], v[22:23], v[26:27]
	v_add_f64_e32 v[32:33], v[30:31], v[24:25]
	v_add_f64_e64 v[26:27], v[26:27], -v[30:31]
	s_delay_alu instid0(VALU_DEP_2) | instskip(NEXT) | instid1(VALU_DEP_2)
	v_add_f64_e64 v[30:31], v[30:31], -v[32:33]
	v_add_f64_e32 v[22:23], v[22:23], v[26:27]
	s_delay_alu instid0(VALU_DEP_2) | instskip(NEXT) | instid1(VALU_DEP_1)
	v_add_f64_e32 v[24:25], v[30:31], v[24:25]
	v_add_f64_e32 v[22:23], v[22:23], v[24:25]
	v_mul_f64_e32 v[24:25], 0xbac9cc01f97b57a0, v[28:29]
	s_delay_alu instid0(VALU_DEP_2) | instskip(NEXT) | instid1(VALU_DEP_1)
	v_add_f64_e32 v[26:27], v[32:33], v[22:23]
	v_add_f64_e32 v[30:31], v[26:27], v[24:25]
	v_add_f64_e64 v[32:33], v[32:33], -v[26:27]
	s_delay_alu instid0(VALU_DEP_2) | instskip(NEXT) | instid1(VALU_DEP_2)
	v_add_f64_e64 v[26:27], v[26:27], -v[30:31]
	v_add_f64_e32 v[22:23], v[22:23], v[32:33]
	s_delay_alu instid0(VALU_DEP_2) | instskip(NEXT) | instid1(VALU_DEP_1)
	v_add_f64_e32 v[24:25], v[26:27], v[24:25]
	v_add_f64_e32 v[22:23], v[22:23], v[24:25]
	s_delay_alu instid0(VALU_DEP_1) | instskip(NEXT) | instid1(VALU_DEP_1)
	v_add_f64_e32 v[24:25], v[30:31], v[22:23]
	v_add_f64_e64 v[26:27], v[30:31], -v[24:25]
	v_mul_f64_e32 v[30:31], v[24:25], v[24:25]
	s_delay_alu instid0(VALU_DEP_2) | instskip(NEXT) | instid1(VALU_DEP_2)
	v_add_f64_e32 v[22:23], v[22:23], v[26:27]
	v_fma_f64 v[26:27], v[24:25], v[24:25], -v[30:31]
	s_delay_alu instid0(VALU_DEP_2) | instskip(NEXT) | instid1(VALU_DEP_1)
	v_add_f64_e32 v[32:33], v[22:23], v[22:23]
	v_fmac_f64_e32 v[26:27], v[24:25], v[32:33]
	v_fmamk_f64 v[32:33], v[24:25], 0x3e5ade156a5dcb37, v[6:7]
	s_delay_alu instid0(VALU_DEP_1) | instskip(NEXT) | instid1(VALU_DEP_1)
	v_fmaak_f64 v[32:33], v[24:25], v[32:33], 0x3ec71dee623fde64
	v_fmaak_f64 v[32:33], v[24:25], v[32:33], 0x3efa01997c89e6b0
	s_delay_alu instid0(VALU_DEP_1) | instskip(NEXT) | instid1(VALU_DEP_1)
	v_fmaak_f64 v[32:33], v[24:25], v[32:33], 0x3f2a01a014761f6e
	v_fmaak_f64 v[32:33], v[24:25], v[32:33], 0x3f56c16c1852b7b0
	v_add_f64_e32 v[34:35], v[30:31], v[26:27]
	s_delay_alu instid0(VALU_DEP_2) | instskip(NEXT) | instid1(VALU_DEP_1)
	v_fmaak_f64 v[32:33], v[24:25], v[32:33], 0x3f81111111122322
	v_fmaak_f64 v[32:33], v[24:25], v[32:33], 0x3fa55555555502a1
	s_delay_alu instid0(VALU_DEP_1) | instskip(NEXT) | instid1(VALU_DEP_1)
	v_fmaak_f64 v[32:33], v[24:25], v[32:33], 0x3fc5555555555511
	v_fmaak_f64 v[32:33], v[24:25], v[32:33], 0x3fe000000000000b
	v_add_f64_e64 v[30:31], v[34:35], -v[30:31]
	s_delay_alu instid0(VALU_DEP_2) | instskip(NEXT) | instid1(VALU_DEP_2)
	v_mul_f64_e32 v[36:37], v[34:35], v[32:33]
	v_add_f64_e64 v[26:27], v[26:27], -v[30:31]
	s_delay_alu instid0(VALU_DEP_2) | instskip(NEXT) | instid1(VALU_DEP_1)
	v_fma_f64 v[30:31], v[34:35], v[32:33], -v[36:37]
	v_fmac_f64_e32 v[30:31], v[26:27], v[32:33]
	s_delay_alu instid0(VALU_DEP_1) | instskip(NEXT) | instid1(VALU_DEP_1)
	v_add_f64_e32 v[26:27], v[36:37], v[30:31]
	v_add_f64_e32 v[32:33], v[24:25], v[26:27]
	v_add_f64_e64 v[34:35], v[26:27], -v[36:37]
	s_delay_alu instid0(VALU_DEP_2) | instskip(NEXT) | instid1(VALU_DEP_2)
	v_add_f64_e64 v[24:25], v[32:33], -v[24:25]
	v_add_f64_e64 v[30:31], v[30:31], -v[34:35]
	v_cvt_i32_f64_e32 v34, v[28:29]
	s_delay_alu instid0(VALU_DEP_3) | instskip(NEXT) | instid1(VALU_DEP_3)
	v_add_f64_e64 v[24:25], v[26:27], -v[24:25]
	v_add_f64_e32 v[22:23], v[22:23], v[30:31]
	s_delay_alu instid0(VALU_DEP_1) | instskip(NEXT) | instid1(VALU_DEP_1)
	v_add_f64_e32 v[22:23], v[22:23], v[24:25]
	v_add_f64_e32 v[24:25], v[32:33], v[22:23]
	s_delay_alu instid0(VALU_DEP_1) | instskip(SKIP_1) | instid1(VALU_DEP_2)
	v_add_f64_e32 v[26:27], 1.0, v[24:25]
	v_add_f64_e64 v[30:31], v[24:25], -v[32:33]
	v_add_f64_e32 v[32:33], -1.0, v[26:27]
	s_delay_alu instid0(VALU_DEP_2) | instskip(NEXT) | instid1(VALU_DEP_2)
	v_add_f64_e64 v[22:23], v[22:23], -v[30:31]
	v_add_f64_e64 v[24:25], v[24:25], -v[32:33]
	s_delay_alu instid0(VALU_DEP_1) | instskip(NEXT) | instid1(VALU_DEP_1)
	v_add_f64_e32 v[22:23], v[22:23], v[24:25]
	v_add_f64_e32 v[24:25], v[26:27], v[22:23]
	s_delay_alu instid0(VALU_DEP_1) | instskip(SKIP_1) | instid1(VALU_DEP_2)
	v_ldexp_f64 v[28:29], v[24:25], v34
	v_add_f64_e64 v[24:25], v[24:25], -v[26:27]
	v_rcp_f64_e32 v[30:31], v[28:29]
	s_delay_alu instid0(VALU_DEP_1) | instskip(NEXT) | instid1(VALU_DEP_1)
	v_add_f64_e64 v[22:23], v[22:23], -v[24:25]
	v_ldexp_f64 v[22:23], v[22:23], v34
	s_delay_alu instid0(TRANS32_DEP_1) | instskip(NEXT) | instid1(VALU_DEP_1)
	v_fma_f64 v[32:33], -v[28:29], v[30:31], 1.0
	v_fmac_f64_e32 v[30:31], v[32:33], v[30:31]
	s_delay_alu instid0(VALU_DEP_1) | instskip(NEXT) | instid1(VALU_DEP_1)
	v_fma_f64 v[32:33], -v[28:29], v[30:31], 1.0
	v_fmac_f64_e32 v[30:31], v[32:33], v[30:31]
	s_delay_alu instid0(VALU_DEP_1) | instskip(NEXT) | instid1(VALU_DEP_1)
	v_mul_f64_e32 v[24:25], v[28:29], v[30:31]
	v_fma_f64 v[26:27], v[30:31], v[28:29], -v[24:25]
	s_delay_alu instid0(VALU_DEP_1) | instskip(NEXT) | instid1(VALU_DEP_1)
	v_fmac_f64_e32 v[26:27], v[30:31], v[22:23]
	v_add_f64_e32 v[32:33], v[24:25], v[26:27]
	s_delay_alu instid0(VALU_DEP_1) | instskip(SKIP_1) | instid1(VALU_DEP_2)
	v_add_f64_e64 v[34:35], -v[32:33], 1.0
	v_add_f64_e64 v[24:25], v[32:33], -v[24:25]
	v_add_f64_e64 v[36:37], -v[34:35], 1.0
	s_delay_alu instid0(VALU_DEP_2) | instskip(NEXT) | instid1(VALU_DEP_2)
	v_add_f64_e64 v[24:25], v[24:25], -v[26:27]
	v_add_f64_e64 v[26:27], v[36:37], -v[32:33]
	s_delay_alu instid0(VALU_DEP_1) | instskip(NEXT) | instid1(VALU_DEP_1)
	v_add_f64_e32 v[24:25], v[24:25], v[26:27]
	v_add_f64_e32 v[26:27], v[34:35], v[24:25]
	s_delay_alu instid0(VALU_DEP_1) | instskip(SKIP_1) | instid1(VALU_DEP_2)
	v_mul_f64_e32 v[32:33], v[30:31], v[26:27]
	v_add_f64_e64 v[34:35], v[34:35], -v[26:27]
	v_mul_f64_e32 v[36:37], v[28:29], v[32:33]
	s_delay_alu instid0(VALU_DEP_2) | instskip(NEXT) | instid1(VALU_DEP_2)
	v_add_f64_e32 v[24:25], v[24:25], v[34:35]
	v_fma_f64 v[38:39], v[32:33], v[28:29], -v[36:37]
	s_delay_alu instid0(VALU_DEP_1) | instskip(NEXT) | instid1(VALU_DEP_1)
	v_fmac_f64_e32 v[38:39], v[32:33], v[22:23]
	v_add_f64_e32 v[40:41], v[36:37], v[38:39]
	s_delay_alu instid0(VALU_DEP_1) | instskip(SKIP_1) | instid1(VALU_DEP_2)
	v_add_f64_e64 v[42:43], v[26:27], -v[40:41]
	v_add_f64_e64 v[34:35], v[40:41], -v[36:37]
	;; [unrolled: 1-line block ×3, first 2 shown]
	s_delay_alu instid0(VALU_DEP_2) | instskip(NEXT) | instid1(VALU_DEP_2)
	v_add_f64_e64 v[34:35], v[34:35], -v[38:39]
	v_add_f64_e64 v[26:27], v[26:27], -v[40:41]
	s_delay_alu instid0(VALU_DEP_1) | instskip(SKIP_1) | instid1(VALU_DEP_2)
	v_add_f64_e32 v[24:25], v[24:25], v[26:27]
	v_add_f64_e32 v[26:27], v[30:31], v[32:33]
	;; [unrolled: 1-line block ×3, first 2 shown]
	s_delay_alu instid0(VALU_DEP_2) | instskip(NEXT) | instid1(VALU_DEP_2)
	v_add_f64_e64 v[34:35], v[26:27], -v[30:31]
	v_add_f64_e32 v[24:25], v[42:43], v[24:25]
	s_delay_alu instid0(VALU_DEP_2) | instskip(NEXT) | instid1(VALU_DEP_2)
	v_add_f64_e64 v[32:33], v[32:33], -v[34:35]
	v_mul_f64_e32 v[24:25], v[30:31], v[24:25]
	s_delay_alu instid0(VALU_DEP_1) | instskip(NEXT) | instid1(VALU_DEP_1)
	v_add_f64_e32 v[24:25], v[32:33], v[24:25]
	v_add_f64_e32 v[30:31], v[26:27], v[24:25]
	s_delay_alu instid0(VALU_DEP_1) | instskip(SKIP_1) | instid1(VALU_DEP_2)
	v_ldexp_f64 v[32:33], v[30:31], -2
	v_add_f64_e64 v[26:27], v[30:31], -v[26:27]
	v_add_f64_e64 v[34:35], v[28:29], -v[32:33]
	s_delay_alu instid0(VALU_DEP_2) | instskip(NEXT) | instid1(VALU_DEP_2)
	v_add_f64_e64 v[24:25], v[24:25], -v[26:27]
	v_add_f64_e64 v[28:29], v[28:29], -v[34:35]
	s_delay_alu instid0(VALU_DEP_2) | instskip(NEXT) | instid1(VALU_DEP_2)
	v_ldexp_f64 v[24:25], v[24:25], -2
	v_add_f64_e64 v[26:27], v[28:29], -v[32:33]
	s_delay_alu instid0(VALU_DEP_1) | instskip(NEXT) | instid1(VALU_DEP_1)
	v_add_f64_e32 v[22:23], v[22:23], v[26:27]
	v_add_f64_e64 v[22:23], v[22:23], -v[24:25]
	v_and_b32_e32 v24, 0x7fffffff, v19
	s_delay_alu instid0(VALU_DEP_2) | instskip(NEXT) | instid1(VALU_DEP_1)
	v_add_f64_e32 v[22:23], v[34:35], v[22:23]
	v_cndmask_b32_e32 v23, 0x7ff00000, v23, vcc_lo
	s_delay_alu instid0(VALU_DEP_2) | instskip(SKIP_1) | instid1(VALU_DEP_1)
	v_cndmask_b32_e32 v22, 0, v22, vcc_lo
	v_cmp_gt_f64_e64 vcc_lo, 0x3e400000, |v[18:19]|
	v_dual_cndmask_b32 v18, v22, v18, vcc_lo :: v_dual_cndmask_b32 v22, v23, v24, vcc_lo
	s_delay_alu instid0(VALU_DEP_1)
	v_bfi_b32 v19, 0x7fffffff, v22, v19
	global_store_b64 v[20:21], v[18:19], off
	s_branch .LBB123_3
.LBB123_20:
	s_cbranch_execz .LBB123_22
	s_branch .LBB123_25
.LBB123_21:
.LBB123_22:
	v_min_i64 v[10:11], 0x10000, s[10:11]
	v_dual_mov_b32 v3, 0 :: v_dual_lshlrev_b32 v2, 2, v0
	s_mov_b32 s2, exec_lo
	s_delay_alu instid0(VALU_DEP_1)
	v_cmpx_lt_i64_e64 v[2:3], v[10:11]
	s_cbranch_execz .LBB123_25
; %bb.23:
	s_load_b32 s4, s[0:1], 0xd3c
	v_dual_mov_b32 v1, v3 :: v_dual_lshlrev_b32 v2, 5, v0
	s_wait_xcnt 0x0
	s_add_nc_u64 s[0:1], s[6:7], s[8:9]
	v_mov_b64_e32 v[12:13], 0x3e928af3fca7ab0c
	s_mov_b32 s5, 0
	v_add_nc_u64_e32 v[4:5], s[0:1], v[2:3]
	s_mov_b64 s[0:1], 0xbfe62e42fefa39ef
	s_mov_b64 s[2:3], 0x408633ce8fb9f87e
	s_mov_b32 s7, s5
	s_mov_b32 s8, s5
                                        ; implicit-def: $vgpr2_vgpr3
                                        ; implicit-def: $vgpr2_vgpr3
	;; [unrolled: 1-line block ×8, first 2 shown]
	s_delay_alu instid0(VALU_DEP_1) | instskip(SKIP_2) | instid1(SALU_CYCLE_1)
	v_add_nc_u64_e32 v[14:15], 16, v[4:5]
	s_wait_kmcnt 0x0
	s_and_b32 s4, s4, 0xffff
	s_lshl_b32 s6, s4, 5
.LBB123_24:                             ; =>This Inner Loop Header: Depth=1
	s_clause 0x1
	global_load_b128 v[2:5], v[14:15], off
	global_load_b128 v[6:9], v[14:15], off offset:-16
	v_add_nc_u64_e32 v[0:1], s[4:5], v[0:1]
	s_wait_loadcnt 0x0
	v_add_f64_e64 v[16:17], |v[6:7]|, s[0:1]
	v_cmp_nge_f64_e64 vcc_lo, |v[6:7]|, s[2:3]
	v_and_b32_e32 v36, 0x7fffffff, v7
	s_delay_alu instid0(VALU_DEP_3) | instskip(NEXT) | instid1(VALU_DEP_1)
	v_add_f64_e64 v[18:19], v[16:17], -|v[6:7]|
	v_add_f64_e64 v[20:21], v[18:19], -v[16:17]
	v_add_f64_e32 v[18:19], 0x3fe62e42fefa39ef, v[18:19]
	s_delay_alu instid0(VALU_DEP_2) | instskip(NEXT) | instid1(VALU_DEP_1)
	v_add_f64_e64 v[20:21], |v[6:7]|, v[20:21]
	v_add_f64_e64 v[18:19], v[20:21], -v[18:19]
	s_delay_alu instid0(VALU_DEP_1) | instskip(NEXT) | instid1(VALU_DEP_1)
	v_add_f64_e32 v[18:19], 0xbc7abc9e3b39803f, v[18:19]
	v_add_f64_e32 v[20:21], v[16:17], v[18:19]
	s_delay_alu instid0(VALU_DEP_1) | instskip(NEXT) | instid1(VALU_DEP_1)
	v_add_f64_e64 v[16:17], v[16:17], -v[20:21]
	v_add_f64_e32 v[16:17], v[18:19], v[16:17]
	v_mul_f64_e32 v[18:19], 0x3ff71547652b82fe, v[20:21]
	s_delay_alu instid0(VALU_DEP_1) | instskip(NEXT) | instid1(VALU_DEP_1)
	v_rndne_f64_e32 v[18:19], v[18:19]
	v_fmac_f64_e32 v[20:21], 0xbfe62e42fefa3000, v[18:19]
	s_delay_alu instid0(VALU_DEP_1) | instskip(NEXT) | instid1(VALU_DEP_1)
	v_add_f64_e32 v[22:23], v[16:17], v[20:21]
	v_add_f64_e64 v[20:21], v[20:21], -v[22:23]
	s_delay_alu instid0(VALU_DEP_1) | instskip(SKIP_1) | instid1(VALU_DEP_1)
	v_add_f64_e32 v[16:17], v[16:17], v[20:21]
	v_mul_f64_e32 v[20:21], 0x3d53de6af278e000, v[18:19]
	v_add_f64_e64 v[24:25], v[22:23], -v[20:21]
	s_delay_alu instid0(VALU_DEP_1) | instskip(NEXT) | instid1(VALU_DEP_1)
	v_add_f64_e64 v[22:23], v[22:23], -v[24:25]
	v_add_f64_e64 v[20:21], v[22:23], -v[20:21]
	s_delay_alu instid0(VALU_DEP_1) | instskip(NEXT) | instid1(VALU_DEP_1)
	v_add_f64_e32 v[16:17], v[16:17], v[20:21]
	v_add_f64_e32 v[20:21], v[24:25], v[16:17]
	s_delay_alu instid0(VALU_DEP_1) | instskip(NEXT) | instid1(VALU_DEP_1)
	v_add_f64_e64 v[22:23], v[24:25], -v[20:21]
	v_add_f64_e32 v[16:17], v[16:17], v[22:23]
	v_mul_f64_e32 v[22:23], 0x3ac9cc01f97b57a0, v[18:19]
	s_delay_alu instid0(VALU_DEP_1) | instskip(NEXT) | instid1(VALU_DEP_1)
	v_add_f64_e64 v[24:25], v[20:21], -v[22:23]
	v_add_f64_e64 v[20:21], v[20:21], -v[24:25]
	s_delay_alu instid0(VALU_DEP_1) | instskip(NEXT) | instid1(VALU_DEP_1)
	v_add_f64_e64 v[20:21], v[20:21], -v[22:23]
	v_add_f64_e32 v[16:17], v[16:17], v[20:21]
	s_delay_alu instid0(VALU_DEP_1) | instskip(NEXT) | instid1(VALU_DEP_1)
	v_add_f64_e32 v[20:21], v[24:25], v[16:17]
	v_add_f64_e64 v[22:23], v[24:25], -v[20:21]
	v_mul_f64_e32 v[24:25], v[20:21], v[20:21]
	s_delay_alu instid0(VALU_DEP_2) | instskip(NEXT) | instid1(VALU_DEP_2)
	v_add_f64_e32 v[16:17], v[16:17], v[22:23]
	v_fma_f64 v[26:27], v[20:21], v[20:21], -v[24:25]
	v_fmamk_f64 v[22:23], v[20:21], 0x3e5ade156a5dcb37, v[12:13]
	s_delay_alu instid0(VALU_DEP_1) | instskip(NEXT) | instid1(VALU_DEP_1)
	v_fmaak_f64 v[22:23], v[20:21], v[22:23], 0x3ec71dee623fde64
	v_fmaak_f64 v[22:23], v[20:21], v[22:23], 0x3efa01997c89e6b0
	s_delay_alu instid0(VALU_DEP_1) | instskip(NEXT) | instid1(VALU_DEP_1)
	v_fmaak_f64 v[22:23], v[20:21], v[22:23], 0x3f2a01a014761f6e
	v_fmaak_f64 v[22:23], v[20:21], v[22:23], 0x3f56c16c1852b7b0
	v_add_f64_e32 v[28:29], v[16:17], v[16:17]
	s_delay_alu instid0(VALU_DEP_2) | instskip(NEXT) | instid1(VALU_DEP_1)
	v_fmaak_f64 v[22:23], v[20:21], v[22:23], 0x3f81111111122322
	v_fmaak_f64 v[22:23], v[20:21], v[22:23], 0x3fa55555555502a1
	s_delay_alu instid0(VALU_DEP_1) | instskip(NEXT) | instid1(VALU_DEP_1)
	v_fmaak_f64 v[22:23], v[20:21], v[22:23], 0x3fc5555555555511
	v_fmaak_f64 v[22:23], v[20:21], v[22:23], 0x3fe000000000000b
	v_fmac_f64_e32 v[26:27], v[20:21], v[28:29]
	s_delay_alu instid0(VALU_DEP_1) | instskip(NEXT) | instid1(VALU_DEP_1)
	v_add_f64_e32 v[28:29], v[24:25], v[26:27]
	v_add_f64_e64 v[24:25], v[28:29], -v[24:25]
	s_delay_alu instid0(VALU_DEP_1) | instskip(SKIP_1) | instid1(VALU_DEP_1)
	v_add_f64_e64 v[24:25], v[26:27], -v[24:25]
	v_mul_f64_e32 v[26:27], v[28:29], v[22:23]
	v_fma_f64 v[28:29], v[28:29], v[22:23], -v[26:27]
	s_delay_alu instid0(VALU_DEP_1) | instskip(NEXT) | instid1(VALU_DEP_1)
	v_fmac_f64_e32 v[28:29], v[24:25], v[22:23]
	v_add_f64_e32 v[22:23], v[26:27], v[28:29]
	s_delay_alu instid0(VALU_DEP_1) | instskip(SKIP_1) | instid1(VALU_DEP_2)
	v_add_f64_e64 v[24:25], v[22:23], -v[26:27]
	v_add_f64_e32 v[26:27], v[20:21], v[22:23]
	v_add_f64_e64 v[24:25], v[28:29], -v[24:25]
	s_delay_alu instid0(VALU_DEP_2) | instskip(NEXT) | instid1(VALU_DEP_2)
	v_add_f64_e64 v[20:21], v[26:27], -v[20:21]
	v_add_f64_e32 v[16:17], v[16:17], v[24:25]
	s_delay_alu instid0(VALU_DEP_2) | instskip(NEXT) | instid1(VALU_DEP_1)
	v_add_f64_e64 v[20:21], v[22:23], -v[20:21]
	v_add_f64_e32 v[16:17], v[16:17], v[20:21]
	s_delay_alu instid0(VALU_DEP_1) | instskip(NEXT) | instid1(VALU_DEP_1)
	v_add_f64_e32 v[20:21], v[26:27], v[16:17]
	v_add_f64_e64 v[22:23], v[20:21], -v[26:27]
	s_delay_alu instid0(VALU_DEP_1) | instskip(SKIP_1) | instid1(VALU_DEP_1)
	v_add_f64_e64 v[16:17], v[16:17], -v[22:23]
	v_add_f64_e32 v[22:23], 1.0, v[20:21]
	v_add_f64_e32 v[24:25], -1.0, v[22:23]
	s_delay_alu instid0(VALU_DEP_1) | instskip(NEXT) | instid1(VALU_DEP_1)
	v_add_f64_e64 v[20:21], v[20:21], -v[24:25]
	v_add_f64_e32 v[16:17], v[16:17], v[20:21]
	s_delay_alu instid0(VALU_DEP_1) | instskip(NEXT) | instid1(VALU_DEP_1)
	v_add_f64_e32 v[20:21], v[22:23], v[16:17]
	v_add_f64_e64 v[22:23], v[20:21], -v[22:23]
	s_delay_alu instid0(VALU_DEP_1) | instskip(SKIP_1) | instid1(VALU_DEP_1)
	v_add_f64_e64 v[16:17], v[16:17], -v[22:23]
	v_cvt_i32_f64_e32 v22, v[18:19]
	v_ldexp_f64 v[18:19], v[20:21], v22
	s_delay_alu instid0(VALU_DEP_3) | instskip(NEXT) | instid1(VALU_DEP_2)
	v_ldexp_f64 v[16:17], v[16:17], v22
	v_rcp_f64_e32 v[20:21], v[18:19]
	v_nop
	s_delay_alu instid0(TRANS32_DEP_1) | instskip(NEXT) | instid1(VALU_DEP_1)
	v_fma_f64 v[22:23], -v[18:19], v[20:21], 1.0
	v_fmac_f64_e32 v[20:21], v[22:23], v[20:21]
	s_delay_alu instid0(VALU_DEP_1) | instskip(NEXT) | instid1(VALU_DEP_1)
	v_fma_f64 v[22:23], -v[18:19], v[20:21], 1.0
	v_fmac_f64_e32 v[20:21], v[22:23], v[20:21]
	s_delay_alu instid0(VALU_DEP_1) | instskip(NEXT) | instid1(VALU_DEP_1)
	v_mul_f64_e32 v[22:23], v[18:19], v[20:21]
	v_fma_f64 v[24:25], v[20:21], v[18:19], -v[22:23]
	s_delay_alu instid0(VALU_DEP_1) | instskip(NEXT) | instid1(VALU_DEP_1)
	v_fmac_f64_e32 v[24:25], v[20:21], v[16:17]
	v_add_f64_e32 v[26:27], v[22:23], v[24:25]
	s_delay_alu instid0(VALU_DEP_1) | instskip(SKIP_1) | instid1(VALU_DEP_2)
	v_add_f64_e64 v[28:29], -v[26:27], 1.0
	v_add_f64_e64 v[22:23], v[26:27], -v[22:23]
	v_add_f64_e64 v[30:31], -v[28:29], 1.0
	s_delay_alu instid0(VALU_DEP_2) | instskip(NEXT) | instid1(VALU_DEP_2)
	v_add_f64_e64 v[22:23], v[22:23], -v[24:25]
	v_add_f64_e64 v[26:27], v[30:31], -v[26:27]
	s_delay_alu instid0(VALU_DEP_1) | instskip(NEXT) | instid1(VALU_DEP_1)
	v_add_f64_e32 v[22:23], v[22:23], v[26:27]
	v_add_f64_e32 v[24:25], v[28:29], v[22:23]
	s_delay_alu instid0(VALU_DEP_1) | instskip(NEXT) | instid1(VALU_DEP_1)
	v_add_f64_e64 v[26:27], v[28:29], -v[24:25]
	v_add_f64_e32 v[22:23], v[22:23], v[26:27]
	v_mul_f64_e32 v[26:27], v[20:21], v[24:25]
	s_delay_alu instid0(VALU_DEP_1) | instskip(NEXT) | instid1(VALU_DEP_1)
	v_mul_f64_e32 v[28:29], v[18:19], v[26:27]
	v_fma_f64 v[30:31], v[26:27], v[18:19], -v[28:29]
	s_delay_alu instid0(VALU_DEP_1) | instskip(NEXT) | instid1(VALU_DEP_1)
	v_fmac_f64_e32 v[30:31], v[26:27], v[16:17]
	v_add_f64_e32 v[32:33], v[28:29], v[30:31]
	s_delay_alu instid0(VALU_DEP_1) | instskip(SKIP_1) | instid1(VALU_DEP_2)
	v_add_f64_e64 v[34:35], v[24:25], -v[32:33]
	v_add_f64_e64 v[28:29], v[32:33], -v[28:29]
	;; [unrolled: 1-line block ×3, first 2 shown]
	s_delay_alu instid0(VALU_DEP_1) | instskip(NEXT) | instid1(VALU_DEP_1)
	v_add_f64_e64 v[24:25], v[24:25], -v[32:33]
	v_add_f64_e32 v[22:23], v[22:23], v[24:25]
	s_delay_alu instid0(VALU_DEP_4) | instskip(NEXT) | instid1(VALU_DEP_1)
	v_add_f64_e64 v[24:25], v[28:29], -v[30:31]
	v_add_f64_e32 v[22:23], v[24:25], v[22:23]
	v_add_f64_e32 v[24:25], v[20:21], v[26:27]
	s_delay_alu instid0(VALU_DEP_2) | instskip(NEXT) | instid1(VALU_DEP_1)
	v_add_f64_e32 v[22:23], v[34:35], v[22:23]
	v_mul_f64_e32 v[22:23], v[20:21], v[22:23]
	s_delay_alu instid0(VALU_DEP_3) | instskip(NEXT) | instid1(VALU_DEP_1)
	v_add_f64_e64 v[20:21], v[24:25], -v[20:21]
	v_add_f64_e64 v[20:21], v[26:27], -v[20:21]
	s_delay_alu instid0(VALU_DEP_1) | instskip(NEXT) | instid1(VALU_DEP_1)
	v_add_f64_e32 v[20:21], v[20:21], v[22:23]
	v_add_f64_e32 v[22:23], v[24:25], v[20:21]
	s_delay_alu instid0(VALU_DEP_1) | instskip(SKIP_1) | instid1(VALU_DEP_2)
	v_add_f64_e64 v[24:25], v[22:23], -v[24:25]
	v_ldexp_f64 v[22:23], v[22:23], -2
	v_add_f64_e64 v[20:21], v[20:21], -v[24:25]
	s_delay_alu instid0(VALU_DEP_2) | instskip(NEXT) | instid1(VALU_DEP_2)
	v_add_f64_e64 v[24:25], v[18:19], -v[22:23]
	v_ldexp_f64 v[20:21], v[20:21], -2
	s_delay_alu instid0(VALU_DEP_2) | instskip(NEXT) | instid1(VALU_DEP_1)
	v_add_f64_e64 v[18:19], v[18:19], -v[24:25]
	v_add_f64_e64 v[18:19], v[18:19], -v[22:23]
	s_delay_alu instid0(VALU_DEP_1) | instskip(NEXT) | instid1(VALU_DEP_1)
	v_add_f64_e32 v[16:17], v[16:17], v[18:19]
	v_add_f64_e64 v[16:17], v[16:17], -v[20:21]
	s_delay_alu instid0(VALU_DEP_1) | instskip(NEXT) | instid1(VALU_DEP_1)
	v_add_f64_e32 v[16:17], v[24:25], v[16:17]
	v_cndmask_b32_e32 v17, 0x7ff00000, v17, vcc_lo
	s_delay_alu instid0(VALU_DEP_2) | instskip(SKIP_1) | instid1(VALU_DEP_1)
	v_cndmask_b32_e32 v16, 0, v16, vcc_lo
	v_cmp_gt_f64_e64 vcc_lo, 0x3e400000, |v[6:7]|
	v_dual_cndmask_b32 v6, v16, v6, vcc_lo :: v_dual_cndmask_b32 v16, v17, v36, vcc_lo
	v_cmp_nge_f64_e64 vcc_lo, |v[8:9]|, s[2:3]
	v_and_b32_e32 v36, 0x7fffffff, v9
	s_delay_alu instid0(VALU_DEP_3) | instskip(SKIP_1) | instid1(VALU_DEP_1)
	v_bfi_b32 v7, 0x7fffffff, v16, v7
	v_add_f64_e64 v[16:17], |v[8:9]|, s[0:1]
	v_add_f64_e64 v[18:19], v[16:17], -|v[8:9]|
	s_delay_alu instid0(VALU_DEP_1) | instskip(SKIP_1) | instid1(VALU_DEP_2)
	v_add_f64_e64 v[20:21], v[18:19], -v[16:17]
	v_add_f64_e32 v[18:19], 0x3fe62e42fefa39ef, v[18:19]
	v_add_f64_e64 v[20:21], |v[8:9]|, v[20:21]
	s_delay_alu instid0(VALU_DEP_1) | instskip(NEXT) | instid1(VALU_DEP_1)
	v_add_f64_e64 v[18:19], v[20:21], -v[18:19]
	v_add_f64_e32 v[18:19], 0xbc7abc9e3b39803f, v[18:19]
	s_delay_alu instid0(VALU_DEP_1) | instskip(NEXT) | instid1(VALU_DEP_1)
	v_add_f64_e32 v[20:21], v[16:17], v[18:19]
	v_add_f64_e64 v[16:17], v[16:17], -v[20:21]
	s_delay_alu instid0(VALU_DEP_1) | instskip(SKIP_1) | instid1(VALU_DEP_1)
	v_add_f64_e32 v[16:17], v[18:19], v[16:17]
	v_mul_f64_e32 v[18:19], 0x3ff71547652b82fe, v[20:21]
	v_rndne_f64_e32 v[18:19], v[18:19]
	s_delay_alu instid0(VALU_DEP_1) | instskip(NEXT) | instid1(VALU_DEP_1)
	v_fmac_f64_e32 v[20:21], 0xbfe62e42fefa3000, v[18:19]
	v_add_f64_e32 v[22:23], v[16:17], v[20:21]
	s_delay_alu instid0(VALU_DEP_1) | instskip(NEXT) | instid1(VALU_DEP_1)
	v_add_f64_e64 v[20:21], v[20:21], -v[22:23]
	v_add_f64_e32 v[16:17], v[16:17], v[20:21]
	v_mul_f64_e32 v[20:21], 0x3d53de6af278e000, v[18:19]
	s_delay_alu instid0(VALU_DEP_1) | instskip(NEXT) | instid1(VALU_DEP_1)
	v_add_f64_e64 v[24:25], v[22:23], -v[20:21]
	v_add_f64_e64 v[22:23], v[22:23], -v[24:25]
	s_delay_alu instid0(VALU_DEP_1) | instskip(NEXT) | instid1(VALU_DEP_1)
	v_add_f64_e64 v[20:21], v[22:23], -v[20:21]
	v_add_f64_e32 v[16:17], v[16:17], v[20:21]
	s_delay_alu instid0(VALU_DEP_1) | instskip(NEXT) | instid1(VALU_DEP_1)
	v_add_f64_e32 v[20:21], v[24:25], v[16:17]
	v_add_f64_e64 v[22:23], v[24:25], -v[20:21]
	s_delay_alu instid0(VALU_DEP_1) | instskip(SKIP_1) | instid1(VALU_DEP_1)
	v_add_f64_e32 v[16:17], v[16:17], v[22:23]
	v_mul_f64_e32 v[22:23], 0x3ac9cc01f97b57a0, v[18:19]
	v_add_f64_e64 v[24:25], v[20:21], -v[22:23]
	s_delay_alu instid0(VALU_DEP_1) | instskip(NEXT) | instid1(VALU_DEP_1)
	v_add_f64_e64 v[20:21], v[20:21], -v[24:25]
	v_add_f64_e64 v[20:21], v[20:21], -v[22:23]
	s_delay_alu instid0(VALU_DEP_1) | instskip(NEXT) | instid1(VALU_DEP_1)
	v_add_f64_e32 v[16:17], v[16:17], v[20:21]
	v_add_f64_e32 v[20:21], v[24:25], v[16:17]
	s_delay_alu instid0(VALU_DEP_1) | instskip(SKIP_1) | instid1(VALU_DEP_2)
	v_add_f64_e64 v[22:23], v[24:25], -v[20:21]
	v_mul_f64_e32 v[24:25], v[20:21], v[20:21]
	v_add_f64_e32 v[16:17], v[16:17], v[22:23]
	s_delay_alu instid0(VALU_DEP_2) | instskip(SKIP_1) | instid1(VALU_DEP_1)
	v_fma_f64 v[26:27], v[20:21], v[20:21], -v[24:25]
	v_fmamk_f64 v[22:23], v[20:21], 0x3e5ade156a5dcb37, v[12:13]
	v_fmaak_f64 v[22:23], v[20:21], v[22:23], 0x3ec71dee623fde64
	s_delay_alu instid0(VALU_DEP_1) | instskip(NEXT) | instid1(VALU_DEP_1)
	v_fmaak_f64 v[22:23], v[20:21], v[22:23], 0x3efa01997c89e6b0
	v_fmaak_f64 v[22:23], v[20:21], v[22:23], 0x3f2a01a014761f6e
	s_delay_alu instid0(VALU_DEP_1) | instskip(SKIP_1) | instid1(VALU_DEP_2)
	v_fmaak_f64 v[22:23], v[20:21], v[22:23], 0x3f56c16c1852b7b0
	v_add_f64_e32 v[28:29], v[16:17], v[16:17]
	v_fmaak_f64 v[22:23], v[20:21], v[22:23], 0x3f81111111122322
	s_delay_alu instid0(VALU_DEP_1) | instskip(NEXT) | instid1(VALU_DEP_1)
	v_fmaak_f64 v[22:23], v[20:21], v[22:23], 0x3fa55555555502a1
	v_fmaak_f64 v[22:23], v[20:21], v[22:23], 0x3fc5555555555511
	s_delay_alu instid0(VALU_DEP_1) | instskip(SKIP_1) | instid1(VALU_DEP_1)
	v_fmaak_f64 v[22:23], v[20:21], v[22:23], 0x3fe000000000000b
	v_fmac_f64_e32 v[26:27], v[20:21], v[28:29]
	v_add_f64_e32 v[28:29], v[24:25], v[26:27]
	s_delay_alu instid0(VALU_DEP_1) | instskip(NEXT) | instid1(VALU_DEP_1)
	v_add_f64_e64 v[24:25], v[28:29], -v[24:25]
	v_add_f64_e64 v[24:25], v[26:27], -v[24:25]
	v_mul_f64_e32 v[26:27], v[28:29], v[22:23]
	s_delay_alu instid0(VALU_DEP_1) | instskip(NEXT) | instid1(VALU_DEP_1)
	v_fma_f64 v[28:29], v[28:29], v[22:23], -v[26:27]
	v_fmac_f64_e32 v[28:29], v[24:25], v[22:23]
	s_delay_alu instid0(VALU_DEP_1) | instskip(NEXT) | instid1(VALU_DEP_1)
	v_add_f64_e32 v[22:23], v[26:27], v[28:29]
	v_add_f64_e64 v[24:25], v[22:23], -v[26:27]
	v_add_f64_e32 v[26:27], v[20:21], v[22:23]
	s_delay_alu instid0(VALU_DEP_2) | instskip(NEXT) | instid1(VALU_DEP_2)
	v_add_f64_e64 v[24:25], v[28:29], -v[24:25]
	v_add_f64_e64 v[20:21], v[26:27], -v[20:21]
	s_delay_alu instid0(VALU_DEP_2) | instskip(NEXT) | instid1(VALU_DEP_2)
	v_add_f64_e32 v[16:17], v[16:17], v[24:25]
	v_add_f64_e64 v[20:21], v[22:23], -v[20:21]
	s_delay_alu instid0(VALU_DEP_1) | instskip(NEXT) | instid1(VALU_DEP_1)
	v_add_f64_e32 v[16:17], v[16:17], v[20:21]
	v_add_f64_e32 v[20:21], v[26:27], v[16:17]
	s_delay_alu instid0(VALU_DEP_1) | instskip(NEXT) | instid1(VALU_DEP_1)
	v_add_f64_e64 v[22:23], v[20:21], -v[26:27]
	v_add_f64_e64 v[16:17], v[16:17], -v[22:23]
	v_add_f64_e32 v[22:23], 1.0, v[20:21]
	s_delay_alu instid0(VALU_DEP_1) | instskip(NEXT) | instid1(VALU_DEP_1)
	v_add_f64_e32 v[24:25], -1.0, v[22:23]
	v_add_f64_e64 v[20:21], v[20:21], -v[24:25]
	s_delay_alu instid0(VALU_DEP_1) | instskip(NEXT) | instid1(VALU_DEP_1)
	v_add_f64_e32 v[16:17], v[16:17], v[20:21]
	v_add_f64_e32 v[20:21], v[22:23], v[16:17]
	s_delay_alu instid0(VALU_DEP_1) | instskip(NEXT) | instid1(VALU_DEP_1)
	v_add_f64_e64 v[22:23], v[20:21], -v[22:23]
	v_add_f64_e64 v[16:17], v[16:17], -v[22:23]
	v_cvt_i32_f64_e32 v22, v[18:19]
	s_delay_alu instid0(VALU_DEP_1) | instskip(NEXT) | instid1(VALU_DEP_3)
	v_ldexp_f64 v[18:19], v[20:21], v22
	v_ldexp_f64 v[16:17], v[16:17], v22
	s_delay_alu instid0(VALU_DEP_2) | instskip(SKIP_1) | instid1(TRANS32_DEP_1)
	v_rcp_f64_e32 v[20:21], v[18:19]
	v_nop
	v_fma_f64 v[22:23], -v[18:19], v[20:21], 1.0
	s_delay_alu instid0(VALU_DEP_1) | instskip(NEXT) | instid1(VALU_DEP_1)
	v_fmac_f64_e32 v[20:21], v[22:23], v[20:21]
	v_fma_f64 v[22:23], -v[18:19], v[20:21], 1.0
	s_delay_alu instid0(VALU_DEP_1) | instskip(NEXT) | instid1(VALU_DEP_1)
	v_fmac_f64_e32 v[20:21], v[22:23], v[20:21]
	v_mul_f64_e32 v[22:23], v[18:19], v[20:21]
	s_delay_alu instid0(VALU_DEP_1) | instskip(NEXT) | instid1(VALU_DEP_1)
	v_fma_f64 v[24:25], v[20:21], v[18:19], -v[22:23]
	v_fmac_f64_e32 v[24:25], v[20:21], v[16:17]
	s_delay_alu instid0(VALU_DEP_1) | instskip(NEXT) | instid1(VALU_DEP_1)
	v_add_f64_e32 v[26:27], v[22:23], v[24:25]
	v_add_f64_e64 v[28:29], -v[26:27], 1.0
	v_add_f64_e64 v[22:23], v[26:27], -v[22:23]
	s_delay_alu instid0(VALU_DEP_2) | instskip(NEXT) | instid1(VALU_DEP_2)
	v_add_f64_e64 v[30:31], -v[28:29], 1.0
	v_add_f64_e64 v[22:23], v[22:23], -v[24:25]
	s_delay_alu instid0(VALU_DEP_2) | instskip(NEXT) | instid1(VALU_DEP_1)
	v_add_f64_e64 v[26:27], v[30:31], -v[26:27]
	v_add_f64_e32 v[22:23], v[22:23], v[26:27]
	s_delay_alu instid0(VALU_DEP_1) | instskip(NEXT) | instid1(VALU_DEP_1)
	v_add_f64_e32 v[24:25], v[28:29], v[22:23]
	v_add_f64_e64 v[26:27], v[28:29], -v[24:25]
	s_delay_alu instid0(VALU_DEP_1) | instskip(SKIP_1) | instid1(VALU_DEP_1)
	v_add_f64_e32 v[22:23], v[22:23], v[26:27]
	v_mul_f64_e32 v[26:27], v[20:21], v[24:25]
	v_mul_f64_e32 v[28:29], v[18:19], v[26:27]
	s_delay_alu instid0(VALU_DEP_1) | instskip(NEXT) | instid1(VALU_DEP_1)
	v_fma_f64 v[30:31], v[26:27], v[18:19], -v[28:29]
	v_fmac_f64_e32 v[30:31], v[26:27], v[16:17]
	s_delay_alu instid0(VALU_DEP_1) | instskip(NEXT) | instid1(VALU_DEP_1)
	v_add_f64_e32 v[32:33], v[28:29], v[30:31]
	v_add_f64_e64 v[34:35], v[24:25], -v[32:33]
	v_add_f64_e64 v[28:29], v[32:33], -v[28:29]
	s_delay_alu instid0(VALU_DEP_2) | instskip(NEXT) | instid1(VALU_DEP_1)
	v_add_f64_e64 v[24:25], v[24:25], -v[34:35]
	v_add_f64_e64 v[24:25], v[24:25], -v[32:33]
	s_delay_alu instid0(VALU_DEP_1) | instskip(NEXT) | instid1(VALU_DEP_4)
	v_add_f64_e32 v[22:23], v[22:23], v[24:25]
	v_add_f64_e64 v[24:25], v[28:29], -v[30:31]
	s_delay_alu instid0(VALU_DEP_1) | instskip(SKIP_1) | instid1(VALU_DEP_2)
	v_add_f64_e32 v[22:23], v[24:25], v[22:23]
	v_add_f64_e32 v[24:25], v[20:21], v[26:27]
	;; [unrolled: 1-line block ×3, first 2 shown]
	s_delay_alu instid0(VALU_DEP_1) | instskip(NEXT) | instid1(VALU_DEP_3)
	v_mul_f64_e32 v[22:23], v[20:21], v[22:23]
	v_add_f64_e64 v[20:21], v[24:25], -v[20:21]
	s_delay_alu instid0(VALU_DEP_1) | instskip(NEXT) | instid1(VALU_DEP_1)
	v_add_f64_e64 v[20:21], v[26:27], -v[20:21]
	v_add_f64_e32 v[20:21], v[20:21], v[22:23]
	s_delay_alu instid0(VALU_DEP_1) | instskip(NEXT) | instid1(VALU_DEP_1)
	v_add_f64_e32 v[22:23], v[24:25], v[20:21]
	v_add_f64_e64 v[24:25], v[22:23], -v[24:25]
	v_ldexp_f64 v[22:23], v[22:23], -2
	s_delay_alu instid0(VALU_DEP_2) | instskip(NEXT) | instid1(VALU_DEP_2)
	v_add_f64_e64 v[20:21], v[20:21], -v[24:25]
	v_add_f64_e64 v[24:25], v[18:19], -v[22:23]
	s_delay_alu instid0(VALU_DEP_2) | instskip(NEXT) | instid1(VALU_DEP_2)
	v_ldexp_f64 v[20:21], v[20:21], -2
	v_add_f64_e64 v[18:19], v[18:19], -v[24:25]
	s_delay_alu instid0(VALU_DEP_1) | instskip(NEXT) | instid1(VALU_DEP_1)
	v_add_f64_e64 v[18:19], v[18:19], -v[22:23]
	v_add_f64_e32 v[16:17], v[16:17], v[18:19]
	s_delay_alu instid0(VALU_DEP_1) | instskip(NEXT) | instid1(VALU_DEP_1)
	v_add_f64_e64 v[16:17], v[16:17], -v[20:21]
	v_add_f64_e32 v[16:17], v[24:25], v[16:17]
	s_delay_alu instid0(VALU_DEP_1) | instskip(NEXT) | instid1(VALU_DEP_2)
	v_cndmask_b32_e32 v17, 0x7ff00000, v17, vcc_lo
	v_cndmask_b32_e32 v16, 0, v16, vcc_lo
	v_cmp_gt_f64_e64 vcc_lo, 0x3e400000, |v[8:9]|
	s_delay_alu instid0(VALU_DEP_2) | instskip(NEXT) | instid1(VALU_DEP_4)
	v_cndmask_b32_e32 v8, v16, v8, vcc_lo
	v_cndmask_b32_e32 v16, v17, v36, vcc_lo
	v_cmp_nge_f64_e64 vcc_lo, |v[2:3]|, s[2:3]
	v_and_b32_e32 v36, 0x7fffffff, v3
	s_delay_alu instid0(VALU_DEP_3) | instskip(SKIP_1) | instid1(VALU_DEP_1)
	v_bfi_b32 v9, 0x7fffffff, v16, v9
	v_add_f64_e64 v[16:17], |v[2:3]|, s[0:1]
	v_add_f64_e64 v[18:19], v[16:17], -|v[2:3]|
	s_delay_alu instid0(VALU_DEP_1) | instskip(SKIP_1) | instid1(VALU_DEP_2)
	v_add_f64_e64 v[20:21], v[18:19], -v[16:17]
	v_add_f64_e32 v[18:19], 0x3fe62e42fefa39ef, v[18:19]
	v_add_f64_e64 v[20:21], |v[2:3]|, v[20:21]
	s_delay_alu instid0(VALU_DEP_1) | instskip(NEXT) | instid1(VALU_DEP_1)
	v_add_f64_e64 v[18:19], v[20:21], -v[18:19]
	v_add_f64_e32 v[18:19], 0xbc7abc9e3b39803f, v[18:19]
	s_delay_alu instid0(VALU_DEP_1) | instskip(NEXT) | instid1(VALU_DEP_1)
	v_add_f64_e32 v[20:21], v[16:17], v[18:19]
	v_add_f64_e64 v[16:17], v[16:17], -v[20:21]
	s_delay_alu instid0(VALU_DEP_1) | instskip(SKIP_1) | instid1(VALU_DEP_1)
	v_add_f64_e32 v[16:17], v[18:19], v[16:17]
	v_mul_f64_e32 v[18:19], 0x3ff71547652b82fe, v[20:21]
	v_rndne_f64_e32 v[18:19], v[18:19]
	s_delay_alu instid0(VALU_DEP_1) | instskip(NEXT) | instid1(VALU_DEP_1)
	v_fmac_f64_e32 v[20:21], 0xbfe62e42fefa3000, v[18:19]
	v_add_f64_e32 v[22:23], v[16:17], v[20:21]
	s_delay_alu instid0(VALU_DEP_1) | instskip(NEXT) | instid1(VALU_DEP_1)
	v_add_f64_e64 v[20:21], v[20:21], -v[22:23]
	v_add_f64_e32 v[16:17], v[16:17], v[20:21]
	v_mul_f64_e32 v[20:21], 0x3d53de6af278e000, v[18:19]
	s_delay_alu instid0(VALU_DEP_1) | instskip(NEXT) | instid1(VALU_DEP_1)
	v_add_f64_e64 v[24:25], v[22:23], -v[20:21]
	v_add_f64_e64 v[22:23], v[22:23], -v[24:25]
	s_delay_alu instid0(VALU_DEP_1) | instskip(NEXT) | instid1(VALU_DEP_1)
	v_add_f64_e64 v[20:21], v[22:23], -v[20:21]
	v_add_f64_e32 v[16:17], v[16:17], v[20:21]
	s_delay_alu instid0(VALU_DEP_1) | instskip(NEXT) | instid1(VALU_DEP_1)
	v_add_f64_e32 v[20:21], v[24:25], v[16:17]
	v_add_f64_e64 v[22:23], v[24:25], -v[20:21]
	s_delay_alu instid0(VALU_DEP_1) | instskip(SKIP_1) | instid1(VALU_DEP_1)
	v_add_f64_e32 v[16:17], v[16:17], v[22:23]
	v_mul_f64_e32 v[22:23], 0x3ac9cc01f97b57a0, v[18:19]
	v_add_f64_e64 v[24:25], v[20:21], -v[22:23]
	s_delay_alu instid0(VALU_DEP_1) | instskip(NEXT) | instid1(VALU_DEP_1)
	v_add_f64_e64 v[20:21], v[20:21], -v[24:25]
	v_add_f64_e64 v[20:21], v[20:21], -v[22:23]
	s_delay_alu instid0(VALU_DEP_1) | instskip(NEXT) | instid1(VALU_DEP_1)
	v_add_f64_e32 v[16:17], v[16:17], v[20:21]
	v_add_f64_e32 v[20:21], v[24:25], v[16:17]
	s_delay_alu instid0(VALU_DEP_1) | instskip(SKIP_1) | instid1(VALU_DEP_2)
	v_add_f64_e64 v[22:23], v[24:25], -v[20:21]
	v_mul_f64_e32 v[24:25], v[20:21], v[20:21]
	v_add_f64_e32 v[16:17], v[16:17], v[22:23]
	s_delay_alu instid0(VALU_DEP_2) | instskip(SKIP_1) | instid1(VALU_DEP_1)
	v_fma_f64 v[26:27], v[20:21], v[20:21], -v[24:25]
	v_fmamk_f64 v[22:23], v[20:21], 0x3e5ade156a5dcb37, v[12:13]
	v_fmaak_f64 v[22:23], v[20:21], v[22:23], 0x3ec71dee623fde64
	s_delay_alu instid0(VALU_DEP_1) | instskip(NEXT) | instid1(VALU_DEP_1)
	v_fmaak_f64 v[22:23], v[20:21], v[22:23], 0x3efa01997c89e6b0
	v_fmaak_f64 v[22:23], v[20:21], v[22:23], 0x3f2a01a014761f6e
	s_delay_alu instid0(VALU_DEP_1) | instskip(SKIP_1) | instid1(VALU_DEP_2)
	v_fmaak_f64 v[22:23], v[20:21], v[22:23], 0x3f56c16c1852b7b0
	v_add_f64_e32 v[28:29], v[16:17], v[16:17]
	v_fmaak_f64 v[22:23], v[20:21], v[22:23], 0x3f81111111122322
	s_delay_alu instid0(VALU_DEP_1) | instskip(NEXT) | instid1(VALU_DEP_1)
	v_fmaak_f64 v[22:23], v[20:21], v[22:23], 0x3fa55555555502a1
	v_fmaak_f64 v[22:23], v[20:21], v[22:23], 0x3fc5555555555511
	s_delay_alu instid0(VALU_DEP_1) | instskip(SKIP_1) | instid1(VALU_DEP_1)
	v_fmaak_f64 v[22:23], v[20:21], v[22:23], 0x3fe000000000000b
	v_fmac_f64_e32 v[26:27], v[20:21], v[28:29]
	v_add_f64_e32 v[28:29], v[24:25], v[26:27]
	s_delay_alu instid0(VALU_DEP_1) | instskip(NEXT) | instid1(VALU_DEP_1)
	v_add_f64_e64 v[24:25], v[28:29], -v[24:25]
	v_add_f64_e64 v[24:25], v[26:27], -v[24:25]
	v_mul_f64_e32 v[26:27], v[28:29], v[22:23]
	s_delay_alu instid0(VALU_DEP_1) | instskip(NEXT) | instid1(VALU_DEP_1)
	v_fma_f64 v[28:29], v[28:29], v[22:23], -v[26:27]
	v_fmac_f64_e32 v[28:29], v[24:25], v[22:23]
	s_delay_alu instid0(VALU_DEP_1) | instskip(NEXT) | instid1(VALU_DEP_1)
	v_add_f64_e32 v[22:23], v[26:27], v[28:29]
	v_add_f64_e64 v[24:25], v[22:23], -v[26:27]
	v_add_f64_e32 v[26:27], v[20:21], v[22:23]
	s_delay_alu instid0(VALU_DEP_2) | instskip(NEXT) | instid1(VALU_DEP_2)
	v_add_f64_e64 v[24:25], v[28:29], -v[24:25]
	v_add_f64_e64 v[20:21], v[26:27], -v[20:21]
	s_delay_alu instid0(VALU_DEP_2) | instskip(NEXT) | instid1(VALU_DEP_2)
	v_add_f64_e32 v[16:17], v[16:17], v[24:25]
	v_add_f64_e64 v[20:21], v[22:23], -v[20:21]
	s_delay_alu instid0(VALU_DEP_1) | instskip(NEXT) | instid1(VALU_DEP_1)
	v_add_f64_e32 v[16:17], v[16:17], v[20:21]
	v_add_f64_e32 v[20:21], v[26:27], v[16:17]
	s_delay_alu instid0(VALU_DEP_1) | instskip(NEXT) | instid1(VALU_DEP_1)
	v_add_f64_e64 v[22:23], v[20:21], -v[26:27]
	v_add_f64_e64 v[16:17], v[16:17], -v[22:23]
	v_add_f64_e32 v[22:23], 1.0, v[20:21]
	s_delay_alu instid0(VALU_DEP_1) | instskip(NEXT) | instid1(VALU_DEP_1)
	v_add_f64_e32 v[24:25], -1.0, v[22:23]
	v_add_f64_e64 v[20:21], v[20:21], -v[24:25]
	s_delay_alu instid0(VALU_DEP_1) | instskip(NEXT) | instid1(VALU_DEP_1)
	v_add_f64_e32 v[16:17], v[16:17], v[20:21]
	v_add_f64_e32 v[20:21], v[22:23], v[16:17]
	s_delay_alu instid0(VALU_DEP_1) | instskip(NEXT) | instid1(VALU_DEP_1)
	v_add_f64_e64 v[22:23], v[20:21], -v[22:23]
	v_add_f64_e64 v[16:17], v[16:17], -v[22:23]
	v_cvt_i32_f64_e32 v22, v[18:19]
	s_delay_alu instid0(VALU_DEP_1) | instskip(NEXT) | instid1(VALU_DEP_3)
	v_ldexp_f64 v[18:19], v[20:21], v22
	v_ldexp_f64 v[16:17], v[16:17], v22
	s_delay_alu instid0(VALU_DEP_2) | instskip(SKIP_1) | instid1(TRANS32_DEP_1)
	v_rcp_f64_e32 v[20:21], v[18:19]
	v_nop
	v_fma_f64 v[22:23], -v[18:19], v[20:21], 1.0
	s_delay_alu instid0(VALU_DEP_1) | instskip(NEXT) | instid1(VALU_DEP_1)
	v_fmac_f64_e32 v[20:21], v[22:23], v[20:21]
	v_fma_f64 v[22:23], -v[18:19], v[20:21], 1.0
	s_delay_alu instid0(VALU_DEP_1) | instskip(NEXT) | instid1(VALU_DEP_1)
	v_fmac_f64_e32 v[20:21], v[22:23], v[20:21]
	v_mul_f64_e32 v[22:23], v[18:19], v[20:21]
	s_delay_alu instid0(VALU_DEP_1) | instskip(NEXT) | instid1(VALU_DEP_1)
	v_fma_f64 v[24:25], v[20:21], v[18:19], -v[22:23]
	v_fmac_f64_e32 v[24:25], v[20:21], v[16:17]
	s_delay_alu instid0(VALU_DEP_1) | instskip(NEXT) | instid1(VALU_DEP_1)
	v_add_f64_e32 v[26:27], v[22:23], v[24:25]
	v_add_f64_e64 v[28:29], -v[26:27], 1.0
	v_add_f64_e64 v[22:23], v[26:27], -v[22:23]
	s_delay_alu instid0(VALU_DEP_2) | instskip(NEXT) | instid1(VALU_DEP_2)
	v_add_f64_e64 v[30:31], -v[28:29], 1.0
	v_add_f64_e64 v[22:23], v[22:23], -v[24:25]
	s_delay_alu instid0(VALU_DEP_2) | instskip(NEXT) | instid1(VALU_DEP_1)
	v_add_f64_e64 v[26:27], v[30:31], -v[26:27]
	v_add_f64_e32 v[22:23], v[22:23], v[26:27]
	s_delay_alu instid0(VALU_DEP_1) | instskip(NEXT) | instid1(VALU_DEP_1)
	v_add_f64_e32 v[24:25], v[28:29], v[22:23]
	v_add_f64_e64 v[26:27], v[28:29], -v[24:25]
	s_delay_alu instid0(VALU_DEP_1) | instskip(SKIP_1) | instid1(VALU_DEP_1)
	v_add_f64_e32 v[22:23], v[22:23], v[26:27]
	v_mul_f64_e32 v[26:27], v[20:21], v[24:25]
	v_mul_f64_e32 v[28:29], v[18:19], v[26:27]
	s_delay_alu instid0(VALU_DEP_1) | instskip(NEXT) | instid1(VALU_DEP_1)
	v_fma_f64 v[30:31], v[26:27], v[18:19], -v[28:29]
	v_fmac_f64_e32 v[30:31], v[26:27], v[16:17]
	s_delay_alu instid0(VALU_DEP_1) | instskip(NEXT) | instid1(VALU_DEP_1)
	v_add_f64_e32 v[32:33], v[28:29], v[30:31]
	v_add_f64_e64 v[34:35], v[24:25], -v[32:33]
	v_add_f64_e64 v[28:29], v[32:33], -v[28:29]
	s_delay_alu instid0(VALU_DEP_2) | instskip(NEXT) | instid1(VALU_DEP_1)
	v_add_f64_e64 v[24:25], v[24:25], -v[34:35]
	v_add_f64_e64 v[24:25], v[24:25], -v[32:33]
	s_delay_alu instid0(VALU_DEP_1) | instskip(NEXT) | instid1(VALU_DEP_4)
	v_add_f64_e32 v[22:23], v[22:23], v[24:25]
	v_add_f64_e64 v[24:25], v[28:29], -v[30:31]
	s_delay_alu instid0(VALU_DEP_1) | instskip(SKIP_1) | instid1(VALU_DEP_2)
	v_add_f64_e32 v[22:23], v[24:25], v[22:23]
	v_add_f64_e32 v[24:25], v[20:21], v[26:27]
	;; [unrolled: 1-line block ×3, first 2 shown]
	s_delay_alu instid0(VALU_DEP_1) | instskip(NEXT) | instid1(VALU_DEP_3)
	v_mul_f64_e32 v[22:23], v[20:21], v[22:23]
	v_add_f64_e64 v[20:21], v[24:25], -v[20:21]
	s_delay_alu instid0(VALU_DEP_1) | instskip(NEXT) | instid1(VALU_DEP_1)
	v_add_f64_e64 v[20:21], v[26:27], -v[20:21]
	v_add_f64_e32 v[20:21], v[20:21], v[22:23]
	s_delay_alu instid0(VALU_DEP_1) | instskip(NEXT) | instid1(VALU_DEP_1)
	v_add_f64_e32 v[22:23], v[24:25], v[20:21]
	v_add_f64_e64 v[24:25], v[22:23], -v[24:25]
	v_ldexp_f64 v[22:23], v[22:23], -2
	s_delay_alu instid0(VALU_DEP_2) | instskip(NEXT) | instid1(VALU_DEP_2)
	v_add_f64_e64 v[20:21], v[20:21], -v[24:25]
	v_add_f64_e64 v[24:25], v[18:19], -v[22:23]
	s_delay_alu instid0(VALU_DEP_2) | instskip(NEXT) | instid1(VALU_DEP_2)
	v_ldexp_f64 v[20:21], v[20:21], -2
	v_add_f64_e64 v[18:19], v[18:19], -v[24:25]
	s_delay_alu instid0(VALU_DEP_1) | instskip(NEXT) | instid1(VALU_DEP_1)
	v_add_f64_e64 v[18:19], v[18:19], -v[22:23]
	v_add_f64_e32 v[16:17], v[16:17], v[18:19]
	v_and_b32_e32 v18, 0x7fffffff, v5
	s_delay_alu instid0(VALU_DEP_2) | instskip(NEXT) | instid1(VALU_DEP_1)
	v_add_f64_e64 v[16:17], v[16:17], -v[20:21]
	v_add_f64_e32 v[16:17], v[24:25], v[16:17]
	s_delay_alu instid0(VALU_DEP_1) | instskip(NEXT) | instid1(VALU_DEP_2)
	v_cndmask_b32_e32 v17, 0x7ff00000, v17, vcc_lo
	v_cndmask_b32_e32 v16, 0, v16, vcc_lo
	v_cmp_gt_f64_e64 vcc_lo, 0x3e400000, |v[2:3]|
	s_delay_alu instid0(VALU_DEP_1) | instskip(SKIP_1) | instid1(VALU_DEP_2)
	v_dual_cndmask_b32 v2, v16, v2, vcc_lo :: v_dual_cndmask_b32 v16, v17, v36, vcc_lo
	v_cmp_nge_f64_e64 vcc_lo, |v[4:5]|, s[2:3]
	v_bfi_b32 v3, 0x7fffffff, v16, v3
	v_add_f64_e64 v[16:17], |v[4:5]|, s[0:1]
	s_delay_alu instid0(VALU_DEP_1) | instskip(NEXT) | instid1(VALU_DEP_1)
	v_add_f64_e64 v[20:21], v[16:17], -|v[4:5]|
	v_add_f64_e64 v[22:23], v[20:21], -v[16:17]
	v_add_f64_e32 v[20:21], 0x3fe62e42fefa39ef, v[20:21]
	s_delay_alu instid0(VALU_DEP_2) | instskip(NEXT) | instid1(VALU_DEP_1)
	v_add_f64_e64 v[22:23], |v[4:5]|, v[22:23]
	v_add_f64_e64 v[20:21], v[22:23], -v[20:21]
	s_delay_alu instid0(VALU_DEP_1) | instskip(NEXT) | instid1(VALU_DEP_1)
	v_add_f64_e32 v[20:21], 0xbc7abc9e3b39803f, v[20:21]
	v_add_f64_e32 v[22:23], v[16:17], v[20:21]
	s_delay_alu instid0(VALU_DEP_1) | instskip(NEXT) | instid1(VALU_DEP_1)
	v_add_f64_e64 v[16:17], v[16:17], -v[22:23]
	v_add_f64_e32 v[20:21], v[20:21], v[16:17]
	v_mul_f64_e32 v[16:17], 0x3ff71547652b82fe, v[22:23]
	s_delay_alu instid0(VALU_DEP_1) | instskip(NEXT) | instid1(VALU_DEP_1)
	v_rndne_f64_e32 v[16:17], v[16:17]
	v_fmac_f64_e32 v[22:23], 0xbfe62e42fefa3000, v[16:17]
	v_cvt_i32_f64_e32 v19, v[16:17]
	s_delay_alu instid0(VALU_DEP_2) | instskip(NEXT) | instid1(VALU_DEP_1)
	v_add_f64_e32 v[24:25], v[20:21], v[22:23]
	v_add_f64_e64 v[22:23], v[22:23], -v[24:25]
	s_delay_alu instid0(VALU_DEP_1) | instskip(SKIP_1) | instid1(VALU_DEP_1)
	v_add_f64_e32 v[20:21], v[20:21], v[22:23]
	v_mul_f64_e32 v[22:23], 0x3d53de6af278e000, v[16:17]
	v_add_f64_e64 v[26:27], v[24:25], -v[22:23]
	s_delay_alu instid0(VALU_DEP_1) | instskip(NEXT) | instid1(VALU_DEP_1)
	v_add_f64_e64 v[24:25], v[24:25], -v[26:27]
	v_add_f64_e64 v[22:23], v[24:25], -v[22:23]
	s_delay_alu instid0(VALU_DEP_1) | instskip(NEXT) | instid1(VALU_DEP_1)
	v_add_f64_e32 v[20:21], v[20:21], v[22:23]
	v_add_f64_e32 v[22:23], v[26:27], v[20:21]
	s_delay_alu instid0(VALU_DEP_1) | instskip(NEXT) | instid1(VALU_DEP_1)
	v_add_f64_e64 v[24:25], v[26:27], -v[22:23]
	v_add_f64_e32 v[20:21], v[20:21], v[24:25]
	v_mul_f64_e32 v[24:25], 0x3ac9cc01f97b57a0, v[16:17]
	s_delay_alu instid0(VALU_DEP_1) | instskip(NEXT) | instid1(VALU_DEP_1)
	v_add_f64_e64 v[26:27], v[22:23], -v[24:25]
	v_add_f64_e64 v[22:23], v[22:23], -v[26:27]
	s_delay_alu instid0(VALU_DEP_1) | instskip(NEXT) | instid1(VALU_DEP_1)
	v_add_f64_e64 v[22:23], v[22:23], -v[24:25]
	v_add_f64_e32 v[20:21], v[20:21], v[22:23]
	s_delay_alu instid0(VALU_DEP_1) | instskip(NEXT) | instid1(VALU_DEP_1)
	v_add_f64_e32 v[22:23], v[26:27], v[20:21]
	v_add_f64_e64 v[24:25], v[26:27], -v[22:23]
	v_mul_f64_e32 v[26:27], v[22:23], v[22:23]
	s_delay_alu instid0(VALU_DEP_2) | instskip(NEXT) | instid1(VALU_DEP_2)
	v_add_f64_e32 v[20:21], v[20:21], v[24:25]
	v_fma_f64 v[28:29], v[22:23], v[22:23], -v[26:27]
	v_fmamk_f64 v[24:25], v[22:23], 0x3e5ade156a5dcb37, v[12:13]
	s_delay_alu instid0(VALU_DEP_1) | instskip(NEXT) | instid1(VALU_DEP_1)
	v_fmaak_f64 v[24:25], v[22:23], v[24:25], 0x3ec71dee623fde64
	v_fmaak_f64 v[24:25], v[22:23], v[24:25], 0x3efa01997c89e6b0
	s_delay_alu instid0(VALU_DEP_1) | instskip(NEXT) | instid1(VALU_DEP_1)
	v_fmaak_f64 v[24:25], v[22:23], v[24:25], 0x3f2a01a014761f6e
	v_fmaak_f64 v[24:25], v[22:23], v[24:25], 0x3f56c16c1852b7b0
	v_add_f64_e32 v[30:31], v[20:21], v[20:21]
	s_delay_alu instid0(VALU_DEP_2) | instskip(NEXT) | instid1(VALU_DEP_1)
	v_fmaak_f64 v[24:25], v[22:23], v[24:25], 0x3f81111111122322
	v_fmaak_f64 v[24:25], v[22:23], v[24:25], 0x3fa55555555502a1
	s_delay_alu instid0(VALU_DEP_1) | instskip(NEXT) | instid1(VALU_DEP_1)
	v_fmaak_f64 v[24:25], v[22:23], v[24:25], 0x3fc5555555555511
	v_fmaak_f64 v[24:25], v[22:23], v[24:25], 0x3fe000000000000b
	v_fmac_f64_e32 v[28:29], v[22:23], v[30:31]
	s_delay_alu instid0(VALU_DEP_1) | instskip(NEXT) | instid1(VALU_DEP_1)
	v_add_f64_e32 v[30:31], v[26:27], v[28:29]
	v_add_f64_e64 v[26:27], v[30:31], -v[26:27]
	s_delay_alu instid0(VALU_DEP_1) | instskip(SKIP_1) | instid1(VALU_DEP_1)
	v_add_f64_e64 v[26:27], v[28:29], -v[26:27]
	v_mul_f64_e32 v[28:29], v[30:31], v[24:25]
	v_fma_f64 v[30:31], v[30:31], v[24:25], -v[28:29]
	s_delay_alu instid0(VALU_DEP_1) | instskip(NEXT) | instid1(VALU_DEP_1)
	v_fmac_f64_e32 v[30:31], v[26:27], v[24:25]
	v_add_f64_e32 v[24:25], v[28:29], v[30:31]
	s_delay_alu instid0(VALU_DEP_1) | instskip(SKIP_1) | instid1(VALU_DEP_2)
	v_add_f64_e64 v[26:27], v[24:25], -v[28:29]
	v_add_f64_e32 v[28:29], v[22:23], v[24:25]
	v_add_f64_e64 v[26:27], v[30:31], -v[26:27]
	s_delay_alu instid0(VALU_DEP_2) | instskip(NEXT) | instid1(VALU_DEP_2)
	v_add_f64_e64 v[22:23], v[28:29], -v[22:23]
	v_add_f64_e32 v[20:21], v[20:21], v[26:27]
	s_delay_alu instid0(VALU_DEP_2) | instskip(NEXT) | instid1(VALU_DEP_1)
	v_add_f64_e64 v[22:23], v[24:25], -v[22:23]
	v_add_f64_e32 v[20:21], v[20:21], v[22:23]
	s_delay_alu instid0(VALU_DEP_1) | instskip(NEXT) | instid1(VALU_DEP_1)
	v_add_f64_e32 v[22:23], v[28:29], v[20:21]
	v_add_f64_e64 v[24:25], v[22:23], -v[28:29]
	s_delay_alu instid0(VALU_DEP_1) | instskip(SKIP_1) | instid1(VALU_DEP_1)
	v_add_f64_e64 v[20:21], v[20:21], -v[24:25]
	v_add_f64_e32 v[24:25], 1.0, v[22:23]
	v_add_f64_e32 v[26:27], -1.0, v[24:25]
	s_delay_alu instid0(VALU_DEP_1) | instskip(NEXT) | instid1(VALU_DEP_1)
	v_add_f64_e64 v[22:23], v[22:23], -v[26:27]
	v_add_f64_e32 v[20:21], v[20:21], v[22:23]
	s_delay_alu instid0(VALU_DEP_1) | instskip(NEXT) | instid1(VALU_DEP_1)
	v_add_f64_e32 v[22:23], v[24:25], v[20:21]
	v_ldexp_f64 v[16:17], v[22:23], v19
	v_add_f64_e64 v[24:25], v[22:23], -v[24:25]
	s_delay_alu instid0(VALU_DEP_2) | instskip(NEXT) | instid1(VALU_DEP_1)
	v_rcp_f64_e32 v[22:23], v[16:17]
	v_add_f64_e64 v[20:21], v[20:21], -v[24:25]
	s_delay_alu instid0(VALU_DEP_1) | instskip(NEXT) | instid1(TRANS32_DEP_1)
	v_ldexp_f64 v[20:21], v[20:21], v19
	v_fma_f64 v[24:25], -v[16:17], v[22:23], 1.0
	s_delay_alu instid0(VALU_DEP_1) | instskip(NEXT) | instid1(VALU_DEP_1)
	v_fmac_f64_e32 v[22:23], v[24:25], v[22:23]
	v_fma_f64 v[24:25], -v[16:17], v[22:23], 1.0
	s_delay_alu instid0(VALU_DEP_1) | instskip(NEXT) | instid1(VALU_DEP_1)
	v_fmac_f64_e32 v[22:23], v[24:25], v[22:23]
	v_mul_f64_e32 v[24:25], v[16:17], v[22:23]
	s_delay_alu instid0(VALU_DEP_1) | instskip(NEXT) | instid1(VALU_DEP_1)
	v_fma_f64 v[26:27], v[22:23], v[16:17], -v[24:25]
	v_fmac_f64_e32 v[26:27], v[22:23], v[20:21]
	s_delay_alu instid0(VALU_DEP_1) | instskip(NEXT) | instid1(VALU_DEP_1)
	v_add_f64_e32 v[28:29], v[24:25], v[26:27]
	v_add_f64_e64 v[30:31], -v[28:29], 1.0
	v_add_f64_e64 v[24:25], v[28:29], -v[24:25]
	s_delay_alu instid0(VALU_DEP_2) | instskip(NEXT) | instid1(VALU_DEP_2)
	v_add_f64_e64 v[32:33], -v[30:31], 1.0
	v_add_f64_e64 v[24:25], v[24:25], -v[26:27]
	s_delay_alu instid0(VALU_DEP_2) | instskip(NEXT) | instid1(VALU_DEP_1)
	v_add_f64_e64 v[28:29], v[32:33], -v[28:29]
	v_add_f64_e32 v[24:25], v[24:25], v[28:29]
	s_delay_alu instid0(VALU_DEP_1) | instskip(NEXT) | instid1(VALU_DEP_1)
	v_add_f64_e32 v[26:27], v[30:31], v[24:25]
	v_add_f64_e64 v[28:29], v[30:31], -v[26:27]
	s_delay_alu instid0(VALU_DEP_1) | instskip(SKIP_1) | instid1(VALU_DEP_1)
	v_add_f64_e32 v[24:25], v[24:25], v[28:29]
	v_mul_f64_e32 v[28:29], v[22:23], v[26:27]
	v_mul_f64_e32 v[30:31], v[16:17], v[28:29]
	s_delay_alu instid0(VALU_DEP_1) | instskip(NEXT) | instid1(VALU_DEP_1)
	v_fma_f64 v[32:33], v[28:29], v[16:17], -v[30:31]
	v_fmac_f64_e32 v[32:33], v[28:29], v[20:21]
	s_delay_alu instid0(VALU_DEP_1) | instskip(NEXT) | instid1(VALU_DEP_1)
	v_add_f64_e32 v[34:35], v[30:31], v[32:33]
	v_add_f64_e64 v[36:37], v[26:27], -v[34:35]
	v_add_f64_e64 v[30:31], v[34:35], -v[30:31]
	s_delay_alu instid0(VALU_DEP_2) | instskip(NEXT) | instid1(VALU_DEP_1)
	v_add_f64_e64 v[26:27], v[26:27], -v[36:37]
	v_add_f64_e64 v[26:27], v[26:27], -v[34:35]
	s_delay_alu instid0(VALU_DEP_1) | instskip(NEXT) | instid1(VALU_DEP_4)
	v_add_f64_e32 v[24:25], v[24:25], v[26:27]
	v_add_f64_e64 v[26:27], v[30:31], -v[32:33]
	s_delay_alu instid0(VALU_DEP_1) | instskip(SKIP_1) | instid1(VALU_DEP_2)
	v_add_f64_e32 v[24:25], v[26:27], v[24:25]
	v_add_f64_e32 v[26:27], v[22:23], v[28:29]
	;; [unrolled: 1-line block ×3, first 2 shown]
	s_delay_alu instid0(VALU_DEP_1) | instskip(NEXT) | instid1(VALU_DEP_3)
	v_mul_f64_e32 v[24:25], v[22:23], v[24:25]
	v_add_f64_e64 v[22:23], v[26:27], -v[22:23]
	s_delay_alu instid0(VALU_DEP_1) | instskip(NEXT) | instid1(VALU_DEP_1)
	v_add_f64_e64 v[22:23], v[28:29], -v[22:23]
	v_add_f64_e32 v[22:23], v[22:23], v[24:25]
	s_delay_alu instid0(VALU_DEP_1) | instskip(NEXT) | instid1(VALU_DEP_1)
	v_add_f64_e32 v[24:25], v[26:27], v[22:23]
	v_add_f64_e64 v[26:27], v[24:25], -v[26:27]
	v_ldexp_f64 v[24:25], v[24:25], -2
	s_delay_alu instid0(VALU_DEP_2) | instskip(NEXT) | instid1(VALU_DEP_2)
	v_add_f64_e64 v[22:23], v[22:23], -v[26:27]
	v_add_f64_e64 v[26:27], v[16:17], -v[24:25]
	s_delay_alu instid0(VALU_DEP_2) | instskip(NEXT) | instid1(VALU_DEP_2)
	v_ldexp_f64 v[22:23], v[22:23], -2
	v_add_f64_e64 v[16:17], v[16:17], -v[26:27]
	s_delay_alu instid0(VALU_DEP_1) | instskip(NEXT) | instid1(VALU_DEP_1)
	v_add_f64_e64 v[16:17], v[16:17], -v[24:25]
	v_add_f64_e32 v[16:17], v[20:21], v[16:17]
	s_delay_alu instid0(VALU_DEP_1) | instskip(NEXT) | instid1(VALU_DEP_1)
	v_add_f64_e64 v[16:17], v[16:17], -v[22:23]
	v_add_f64_e32 v[16:17], v[26:27], v[16:17]
	s_delay_alu instid0(VALU_DEP_1) | instskip(NEXT) | instid1(VALU_DEP_2)
	v_cndmask_b32_e32 v17, 0x7ff00000, v17, vcc_lo
	v_cndmask_b32_e32 v16, 0, v16, vcc_lo
	v_cmp_gt_f64_e64 vcc_lo, 0x3e400000, |v[4:5]|
	s_delay_alu instid0(VALU_DEP_1) | instskip(NEXT) | instid1(VALU_DEP_1)
	v_dual_cndmask_b32 v4, v16, v4, vcc_lo :: v_dual_cndmask_b32 v16, v17, v18, vcc_lo
	v_bfi_b32 v5, 0x7fffffff, v16, v5
	s_clause 0x1
	global_store_b128 v[14:15], v[6:9], off offset:-16
	global_store_b128 v[14:15], v[2:5], off
	s_wait_xcnt 0x0
	v_lshlrev_b64_e32 v[2:3], 2, v[0:1]
	v_add_nc_u64_e32 v[14:15], s[6:7], v[14:15]
	s_delay_alu instid0(VALU_DEP_2) | instskip(SKIP_1) | instid1(SALU_CYCLE_1)
	v_cmp_ge_i64_e32 vcc_lo, v[2:3], v[10:11]
	s_or_b32 s8, vcc_lo, s8
	s_and_not1_b32 exec_lo, exec_lo, s8
	s_cbranch_execnz .LBB123_24
.LBB123_25:
	s_endpgm
	.section	.rodata,"a",@progbits
	.p2align	6, 0x0
	.amdhsa_kernel _ZN2at6native12_GLOBAL__N_125multi_tensor_apply_kernelINS1_18TensorListMetadataILi1EEENS1_14UnaryOpFunctorIdLi1ELi1ELi0EEEJNS0_4SinhIdEEEEEvT_T0_DpT1_
		.amdhsa_group_segment_fixed_size 0
		.amdhsa_private_segment_fixed_size 0
		.amdhsa_kernarg_size 3632
		.amdhsa_user_sgpr_count 2
		.amdhsa_user_sgpr_dispatch_ptr 0
		.amdhsa_user_sgpr_queue_ptr 0
		.amdhsa_user_sgpr_kernarg_segment_ptr 1
		.amdhsa_user_sgpr_dispatch_id 0
		.amdhsa_user_sgpr_kernarg_preload_length 0
		.amdhsa_user_sgpr_kernarg_preload_offset 0
		.amdhsa_user_sgpr_private_segment_size 0
		.amdhsa_wavefront_size32 1
		.amdhsa_uses_dynamic_stack 0
		.amdhsa_enable_private_segment 0
		.amdhsa_system_sgpr_workgroup_id_x 1
		.amdhsa_system_sgpr_workgroup_id_y 0
		.amdhsa_system_sgpr_workgroup_id_z 0
		.amdhsa_system_sgpr_workgroup_info 0
		.amdhsa_system_vgpr_workitem_id 0
		.amdhsa_next_free_vgpr 52
		.amdhsa_next_free_sgpr 26
		.amdhsa_named_barrier_count 0
		.amdhsa_reserve_vcc 1
		.amdhsa_float_round_mode_32 0
		.amdhsa_float_round_mode_16_64 0
		.amdhsa_float_denorm_mode_32 3
		.amdhsa_float_denorm_mode_16_64 3
		.amdhsa_fp16_overflow 0
		.amdhsa_memory_ordered 1
		.amdhsa_forward_progress 1
		.amdhsa_inst_pref_size 76
		.amdhsa_round_robin_scheduling 0
		.amdhsa_exception_fp_ieee_invalid_op 0
		.amdhsa_exception_fp_denorm_src 0
		.amdhsa_exception_fp_ieee_div_zero 0
		.amdhsa_exception_fp_ieee_overflow 0
		.amdhsa_exception_fp_ieee_underflow 0
		.amdhsa_exception_fp_ieee_inexact 0
		.amdhsa_exception_int_div_zero 0
	.end_amdhsa_kernel
	.section	.text._ZN2at6native12_GLOBAL__N_125multi_tensor_apply_kernelINS1_18TensorListMetadataILi1EEENS1_14UnaryOpFunctorIdLi1ELi1ELi0EEEJNS0_4SinhIdEEEEEvT_T0_DpT1_,"axG",@progbits,_ZN2at6native12_GLOBAL__N_125multi_tensor_apply_kernelINS1_18TensorListMetadataILi1EEENS1_14UnaryOpFunctorIdLi1ELi1ELi0EEEJNS0_4SinhIdEEEEEvT_T0_DpT1_,comdat
.Lfunc_end123:
	.size	_ZN2at6native12_GLOBAL__N_125multi_tensor_apply_kernelINS1_18TensorListMetadataILi1EEENS1_14UnaryOpFunctorIdLi1ELi1ELi0EEEJNS0_4SinhIdEEEEEvT_T0_DpT1_, .Lfunc_end123-_ZN2at6native12_GLOBAL__N_125multi_tensor_apply_kernelINS1_18TensorListMetadataILi1EEENS1_14UnaryOpFunctorIdLi1ELi1ELi0EEEJNS0_4SinhIdEEEEEvT_T0_DpT1_
                                        ; -- End function
	.set _ZN2at6native12_GLOBAL__N_125multi_tensor_apply_kernelINS1_18TensorListMetadataILi1EEENS1_14UnaryOpFunctorIdLi1ELi1ELi0EEEJNS0_4SinhIdEEEEEvT_T0_DpT1_.num_vgpr, 52
	.set _ZN2at6native12_GLOBAL__N_125multi_tensor_apply_kernelINS1_18TensorListMetadataILi1EEENS1_14UnaryOpFunctorIdLi1ELi1ELi0EEEJNS0_4SinhIdEEEEEvT_T0_DpT1_.num_agpr, 0
	.set _ZN2at6native12_GLOBAL__N_125multi_tensor_apply_kernelINS1_18TensorListMetadataILi1EEENS1_14UnaryOpFunctorIdLi1ELi1ELi0EEEJNS0_4SinhIdEEEEEvT_T0_DpT1_.numbered_sgpr, 26
	.set _ZN2at6native12_GLOBAL__N_125multi_tensor_apply_kernelINS1_18TensorListMetadataILi1EEENS1_14UnaryOpFunctorIdLi1ELi1ELi0EEEJNS0_4SinhIdEEEEEvT_T0_DpT1_.num_named_barrier, 0
	.set _ZN2at6native12_GLOBAL__N_125multi_tensor_apply_kernelINS1_18TensorListMetadataILi1EEENS1_14UnaryOpFunctorIdLi1ELi1ELi0EEEJNS0_4SinhIdEEEEEvT_T0_DpT1_.private_seg_size, 0
	.set _ZN2at6native12_GLOBAL__N_125multi_tensor_apply_kernelINS1_18TensorListMetadataILi1EEENS1_14UnaryOpFunctorIdLi1ELi1ELi0EEEJNS0_4SinhIdEEEEEvT_T0_DpT1_.uses_vcc, 1
	.set _ZN2at6native12_GLOBAL__N_125multi_tensor_apply_kernelINS1_18TensorListMetadataILi1EEENS1_14UnaryOpFunctorIdLi1ELi1ELi0EEEJNS0_4SinhIdEEEEEvT_T0_DpT1_.uses_flat_scratch, 0
	.set _ZN2at6native12_GLOBAL__N_125multi_tensor_apply_kernelINS1_18TensorListMetadataILi1EEENS1_14UnaryOpFunctorIdLi1ELi1ELi0EEEJNS0_4SinhIdEEEEEvT_T0_DpT1_.has_dyn_sized_stack, 0
	.set _ZN2at6native12_GLOBAL__N_125multi_tensor_apply_kernelINS1_18TensorListMetadataILi1EEENS1_14UnaryOpFunctorIdLi1ELi1ELi0EEEJNS0_4SinhIdEEEEEvT_T0_DpT1_.has_recursion, 0
	.set _ZN2at6native12_GLOBAL__N_125multi_tensor_apply_kernelINS1_18TensorListMetadataILi1EEENS1_14UnaryOpFunctorIdLi1ELi1ELi0EEEJNS0_4SinhIdEEEEEvT_T0_DpT1_.has_indirect_call, 0
	.section	.AMDGPU.csdata,"",@progbits
; Kernel info:
; codeLenInByte = 9692
; TotalNumSgprs: 28
; NumVgprs: 52
; ScratchSize: 0
; MemoryBound: 0
; FloatMode: 240
; IeeeMode: 1
; LDSByteSize: 0 bytes/workgroup (compile time only)
; SGPRBlocks: 0
; VGPRBlocks: 3
; NumSGPRsForWavesPerEU: 28
; NumVGPRsForWavesPerEU: 52
; NamedBarCnt: 0
; Occupancy: 16
; WaveLimiterHint : 0
; COMPUTE_PGM_RSRC2:SCRATCH_EN: 0
; COMPUTE_PGM_RSRC2:USER_SGPR: 2
; COMPUTE_PGM_RSRC2:TRAP_HANDLER: 0
; COMPUTE_PGM_RSRC2:TGID_X_EN: 1
; COMPUTE_PGM_RSRC2:TGID_Y_EN: 0
; COMPUTE_PGM_RSRC2:TGID_Z_EN: 0
; COMPUTE_PGM_RSRC2:TIDIG_COMP_CNT: 0
	.section	.text._ZN2at6native12_GLOBAL__N_125multi_tensor_apply_kernelINS1_18TensorListMetadataILi1EEENS1_14UnaryOpFunctorIfLi1ELi1ELi0EEEJNS0_4SinhIfEEEEEvT_T0_DpT1_,"axG",@progbits,_ZN2at6native12_GLOBAL__N_125multi_tensor_apply_kernelINS1_18TensorListMetadataILi1EEENS1_14UnaryOpFunctorIfLi1ELi1ELi0EEEJNS0_4SinhIfEEEEEvT_T0_DpT1_,comdat
	.globl	_ZN2at6native12_GLOBAL__N_125multi_tensor_apply_kernelINS1_18TensorListMetadataILi1EEENS1_14UnaryOpFunctorIfLi1ELi1ELi0EEEJNS0_4SinhIfEEEEEvT_T0_DpT1_ ; -- Begin function _ZN2at6native12_GLOBAL__N_125multi_tensor_apply_kernelINS1_18TensorListMetadataILi1EEENS1_14UnaryOpFunctorIfLi1ELi1ELi0EEEJNS0_4SinhIfEEEEEvT_T0_DpT1_
	.p2align	8
	.type	_ZN2at6native12_GLOBAL__N_125multi_tensor_apply_kernelINS1_18TensorListMetadataILi1EEENS1_14UnaryOpFunctorIfLi1ELi1ELi0EEEJNS0_4SinhIfEEEEEvT_T0_DpT1_,@function
_ZN2at6native12_GLOBAL__N_125multi_tensor_apply_kernelINS1_18TensorListMetadataILi1EEENS1_14UnaryOpFunctorIfLi1ELi1ELi0EEEJNS0_4SinhIfEEEEEvT_T0_DpT1_: ; @_ZN2at6native12_GLOBAL__N_125multi_tensor_apply_kernelINS1_18TensorListMetadataILi1EEENS1_14UnaryOpFunctorIfLi1ELi1ELi0EEEJNS0_4SinhIfEEEEEvT_T0_DpT1_
; %bb.0:
	s_bfe_u32 s2, ttmp6, 0x4000c
	s_and_b32 s3, ttmp6, 15
	s_add_co_i32 s2, s2, 1
	s_getreg_b32 s4, hwreg(HW_REG_IB_STS2, 6, 4)
	s_mul_i32 s2, ttmp9, s2
	s_delay_alu instid0(SALU_CYCLE_1)
	s_add_co_i32 s3, s3, s2
	s_cmp_eq_u32 s4, 0
	s_cselect_b32 s2, ttmp9, s3
	s_mov_b32 s3, 0
	s_load_u8 s8, s[0:1], s2 offset:0x6e0
	s_add_nc_u64 s[4:5], s[0:1], s[2:3]
	s_mul_u64 s[6:7], s[2:3], 3
	s_delay_alu instid0(SALU_CYCLE_1)
	s_add_nc_u64 s[4:5], s[4:5], s[6:7]
	s_load_b32 s10, s[4:5], 0x820
	s_wait_kmcnt 0x0
	s_clause 0x1
	s_load_b64 s[6:7], s[0:1], s8 offset:0x0 scale_offset
	s_load_b64 s[12:13], s[0:1], s8 offset:0x370 scale_offset
	s_ashr_i32 s11, s10, 31
	s_wait_kmcnt 0x0
	s_and_b64 s[4:5], s[6:7], 15
	s_and_b32 s2, s12, 3
	s_lshl_b64 s[8:9], s[10:11], 18
	s_or_b64 s[2:3], s[4:5], s[2:3]
	s_lshl_b64 s[4:5], s[10:11], 16
	s_cmp_eq_u64 s[2:3], 0
	s_sub_nc_u64 s[10:11], s[12:13], s[4:5]
	s_cbranch_scc1 .LBB124_21
; %bb.1:
	v_cmp_lt_i64_e64 s2, s[10:11], 1
	s_and_b32 vcc_lo, exec_lo, s2
	s_cbranch_vccnz .LBB124_20
; %bb.2:
	s_load_b32 s2, s[0:1], 0xd3c
	v_min_i64 v[2:3], 0x10000, s[10:11]
	v_min_u64 v[4:5], 0x10000, s[10:11]
	v_dual_mov_b32 v1, 0 :: v_dual_lshlrev_b32 v8, 2, v0
	s_mov_b32 s3, 0
	s_add_nc_u64 s[4:5], s[6:7], s[8:9]
	s_mov_b32 s21, s3
	s_delay_alu instid0(VALU_DEP_1) | instskip(SKIP_2) | instid1(VALU_DEP_2)
	v_dual_mov_b32 v9, v1 :: v_dual_mov_b32 v15, v1
	s_mov_b32 s23, s3
	v_dual_mov_b32 v19, 1.0 :: v_dual_mov_b32 v21, -1.0
	v_add_nc_u64_e32 v[8:9], s[4:5], v[8:9]
	s_mov_b32 s13, s3
	s_mov_b32 s15, s3
	;; [unrolled: 1-line block ×3, first 2 shown]
	v_mov_b32_e32 v17, 0x3f317218
	s_wait_kmcnt 0x0
	s_and_b32 s2, s2, 0xffff
	s_delay_alu instid0(SALU_CYCLE_1)
	v_add_nc_u64_e32 v[6:7], s[2:3], v[0:1]
	s_lshl_b32 s20, s2, 1
	s_mul_i32 s22, s2, 3
	v_add_nc_u64_e32 v[12:13], s[20:21], v[0:1]
	v_add_nc_u64_e32 v[10:11], s[22:23], v[0:1]
	s_lshl_b32 s12, s2, 2
	s_lshl_b32 s14, s2, 4
	v_lshlrev_b32_e32 v14, 2, v6
	s_mul_u64 s[18:19], s[2:3], 12
	s_lshl_b32 s16, s2, 3
	s_mov_b64 s[20:21], 0
	s_mov_b32 s22, 0x3ab42872
	v_add_nc_u64_e32 v[14:15], s[4:5], v[14:15]
	s_mov_b32 s5, -1.0
	s_branch .LBB124_4
.LBB124_3:                              ;   in Loop: Header=BB124_4 Depth=1
	s_wait_xcnt 0x0
	s_or_b32 exec_lo, exec_lo, s2
	s_add_nc_u64 s[20:21], s[20:21], s[12:13]
	v_add_nc_u64_e32 v[8:9], s[14:15], v[8:9]
	v_cmp_lt_i64_e32 vcc_lo, s[20:21], v[2:3]
	v_add_nc_u64_e32 v[14:15], s[14:15], v[14:15]
	s_cbranch_vccz .LBB124_20
.LBB124_4:                              ; =>This Inner Loop Header: Depth=1
	v_add_nc_u64_e32 v[22:23], s[20:21], v[0:1]
	s_wait_loadcnt 0x0
	v_mov_b32_e32 v29, 0
	s_delay_alu instid0(VALU_DEP_2)
	v_cmp_lt_u64_e64 s4, v[22:23], v[4:5]
	s_and_saveexec_b32 s2, s4
	s_cbranch_execz .LBB124_6
; %bb.5:                                ;   in Loop: Header=BB124_4 Depth=1
	global_load_b32 v29, v[8:9], off
.LBB124_6:                              ;   in Loop: Header=BB124_4 Depth=1
	s_wait_xcnt 0x0
	s_or_b32 exec_lo, exec_lo, s2
	v_add_nc_u64_e32 v[22:23], s[20:21], v[6:7]
	v_dual_mov_b32 v27, 0 :: v_dual_mov_b32 v28, 0
	s_delay_alu instid0(VALU_DEP_2)
	v_cmp_lt_u64_e64 s3, v[22:23], v[4:5]
	s_and_saveexec_b32 s2, s3
	s_cbranch_execz .LBB124_8
; %bb.7:                                ;   in Loop: Header=BB124_4 Depth=1
	global_load_b32 v28, v[14:15], off
.LBB124_8:                              ;   in Loop: Header=BB124_4 Depth=1
	s_wait_xcnt 0x0
	s_or_b32 exec_lo, exec_lo, s2
	v_add_nc_u64_e32 v[22:23], s[20:21], v[12:13]
	v_add_nc_u64_e32 v[24:25], s[16:17], v[8:9]
	s_delay_alu instid0(VALU_DEP_2)
	v_cmp_lt_u64_e64 s2, v[22:23], v[4:5]
	s_and_saveexec_b32 s23, s2
	s_cbranch_execz .LBB124_10
; %bb.9:                                ;   in Loop: Header=BB124_4 Depth=1
	global_load_b32 v27, v[24:25], off
.LBB124_10:                             ;   in Loop: Header=BB124_4 Depth=1
	s_wait_xcnt 0x0
	s_or_b32 exec_lo, exec_lo, s23
	v_add_nc_u64_e32 v[22:23], s[20:21], v[10:11]
	v_mov_b32_e32 v26, 0
	s_delay_alu instid0(VALU_DEP_2)
	v_cmp_lt_u64_e32 vcc_lo, v[22:23], v[4:5]
	v_add_nc_u64_e32 v[22:23], s[18:19], v[8:9]
	s_and_saveexec_b32 s23, vcc_lo
	s_cbranch_execnz .LBB124_15
; %bb.11:                               ;   in Loop: Header=BB124_4 Depth=1
	s_or_b32 exec_lo, exec_lo, s23
	s_and_saveexec_b32 s23, s4
	s_cbranch_execnz .LBB124_16
.LBB124_12:                             ;   in Loop: Header=BB124_4 Depth=1
	s_or_b32 exec_lo, exec_lo, s23
	s_and_saveexec_b32 s4, s3
	s_cbranch_execnz .LBB124_17
.LBB124_13:                             ;   in Loop: Header=BB124_4 Depth=1
	s_or_b32 exec_lo, exec_lo, s4
	s_and_saveexec_b32 s3, s2
	s_cbranch_execnz .LBB124_18
.LBB124_14:                             ;   in Loop: Header=BB124_4 Depth=1
	s_or_b32 exec_lo, exec_lo, s3
	s_and_saveexec_b32 s2, vcc_lo
	s_cbranch_execz .LBB124_3
	s_branch .LBB124_19
.LBB124_15:                             ;   in Loop: Header=BB124_4 Depth=1
	global_load_b32 v26, v[22:23], off
	s_wait_xcnt 0x0
	s_or_b32 exec_lo, exec_lo, s23
	s_and_saveexec_b32 s23, s4
	s_cbranch_execz .LBB124_12
.LBB124_16:                             ;   in Loop: Header=BB124_4 Depth=1
	s_wait_loadcnt 0x0
	v_add_f32_e64 v18, 0xbf317218, |v29|
	v_and_b32_e32 v16, 0x7fffffff, v29
	s_delay_alu instid0(VALU_DEP_2) | instskip(NEXT) | instid1(VALU_DEP_1)
	v_sub_f32_e64 v31, v18, |v29|
	v_sub_f32_e32 v30, v31, v18
	s_delay_alu instid0(VALU_DEP_1) | instskip(NEXT) | instid1(VALU_DEP_1)
	v_pk_add_f32 v[30:31], v[16:17], v[30:31]
	v_sub_f32_e32 v16, v30, v31
	s_delay_alu instid0(VALU_DEP_1) | instskip(NEXT) | instid1(VALU_DEP_1)
	v_add_f32_e32 v16, 0x3102e308, v16
	v_add_f32_e32 v20, v18, v16
	s_delay_alu instid0(VALU_DEP_1) | instskip(NEXT) | instid1(VALU_DEP_1)
	v_sub_f32_e32 v18, v18, v20
	v_add_f32_e32 v16, v16, v18
	v_mul_f32_e32 v30, 0x3fb8aa3b, v20
	s_delay_alu instid0(VALU_DEP_1) | instskip(NEXT) | instid1(VALU_DEP_1)
	v_rndne_f32_e32 v38, v30
	v_fmac_f32_e32 v20, 0xbf317200, v38
	v_mul_f32_e32 v18, 0x35bfbc00, v38
	v_mul_f32_e32 v33, 0x2ea39ef3, v38
	s_delay_alu instid0(VALU_DEP_3) | instskip(NEXT) | instid1(VALU_DEP_1)
	v_add_f32_e32 v31, v16, v20
	v_dual_sub_f32 v30, v31, v18 :: v_dual_sub_f32 v20, v20, v31
	s_delay_alu instid0(VALU_DEP_1) | instskip(NEXT) | instid1(VALU_DEP_1)
	v_sub_f32_e32 v31, v31, v30
	v_dual_sub_f32 v18, v31, v18 :: v_dual_add_f32 v16, v16, v20
	s_delay_alu instid0(VALU_DEP_1) | instskip(NEXT) | instid1(VALU_DEP_1)
	v_add_f32_e32 v16, v16, v18
	v_add_f32_e32 v31, v30, v16
	s_delay_alu instid0(VALU_DEP_1) | instskip(NEXT) | instid1(VALU_DEP_1)
	v_mov_b32_e32 v32, v31
	v_pk_add_f32 v[34:35], v[30:31], v[32:33] neg_lo:[0,1] neg_hi:[0,1]
	s_delay_alu instid0(VALU_DEP_1) | instskip(NEXT) | instid1(VALU_DEP_1)
	v_dual_sub_f32 v18, v31, v35 :: v_dual_add_f32 v16, v16, v34
	v_sub_f32_e32 v18, v18, v33
	s_delay_alu instid0(VALU_DEP_1) | instskip(NEXT) | instid1(VALU_DEP_1)
	v_add_f32_e32 v16, v16, v18
	v_add_f32_e32 v18, v35, v16
	s_delay_alu instid0(VALU_DEP_1) | instskip(SKIP_2) | instid1(VALU_DEP_3)
	v_sub_f32_e32 v20, v35, v18
	v_mov_b64_e32 v[34:35], s[4:5]
	v_cmp_nlt_f32_e64 s4, 0x42b2d4fc, |v29|
	v_add_f32_e32 v16, v16, v20
	s_delay_alu instid0(VALU_DEP_1) | instskip(SKIP_1) | instid1(VALU_DEP_2)
	v_dual_add_f32 v32, v16, v16 :: v_dual_mul_f32 v30, v18, v18
	v_fmaak_f32 v20, s22, v18, 0x3c091de6
	v_fma_f32 v31, v18, v18, -v30
	s_delay_alu instid0(VALU_DEP_2) | instskip(NEXT) | instid1(VALU_DEP_2)
	v_fmaak_f32 v20, v18, v20, 0x3d2aadcc
	v_fmac_f32_e32 v31, v18, v32
	s_delay_alu instid0(VALU_DEP_2) | instskip(NEXT) | instid1(VALU_DEP_2)
	v_fmaak_f32 v20, v18, v20, 0x3e2aaa47
	v_add_f32_e32 v32, v30, v31
	s_delay_alu instid0(VALU_DEP_2) | instskip(NEXT) | instid1(VALU_DEP_2)
	v_fmaak_f32 v20, v18, v20, 0x3efffffc
	v_sub_f32_e32 v30, v32, v30
	s_delay_alu instid0(VALU_DEP_1) | instskip(NEXT) | instid1(VALU_DEP_1)
	v_dual_sub_f32 v30, v31, v30 :: v_dual_mul_f32 v33, v20, v32
	v_fma_f32 v31, v32, v20, -v33
	s_delay_alu instid0(VALU_DEP_1) | instskip(NEXT) | instid1(VALU_DEP_1)
	v_fmac_f32_e32 v31, v30, v20
	v_add_f32_e32 v30, v33, v31
	s_delay_alu instid0(VALU_DEP_1) | instskip(NEXT) | instid1(VALU_DEP_1)
	v_sub_f32_e32 v32, v30, v33
	v_sub_f32_e32 v31, v31, v32
	s_delay_alu instid0(VALU_DEP_1) | instskip(NEXT) | instid1(VALU_DEP_1)
	v_dual_add_f32 v16, v16, v31 :: v_dual_add_f32 v20, v18, v30
	v_sub_f32_e32 v18, v20, v18
	s_delay_alu instid0(VALU_DEP_1) | instskip(NEXT) | instid1(VALU_DEP_1)
	v_sub_f32_e32 v18, v30, v18
	v_add_f32_e32 v30, v16, v18
	v_cvt_i32_f32_e32 v18, v38
	s_delay_alu instid0(VALU_DEP_2) | instskip(NEXT) | instid1(VALU_DEP_1)
	v_add_f32_e32 v32, v20, v30
	v_dual_add_f32 v33, 1.0, v32 :: v_dual_mov_b32 v31, v32
	s_delay_alu instid0(VALU_DEP_1) | instskip(SKIP_1) | instid1(VALU_DEP_2)
	v_pk_add_f32 v[34:35], v[32:33], v[34:35]
	v_pk_add_f32 v[36:37], v[32:33], v[20:21] neg_lo:[0,1] neg_hi:[0,1]
	v_mov_b32_e32 v37, v35
	s_delay_alu instid0(VALU_DEP_1) | instskip(NEXT) | instid1(VALU_DEP_1)
	v_pk_add_f32 v[30:31], v[30:31], v[36:37] neg_lo:[0,1] neg_hi:[0,1]
	v_add_f32_e32 v16, v30, v31
	s_delay_alu instid0(VALU_DEP_1) | instskip(NEXT) | instid1(VALU_DEP_1)
	v_add_f32_e32 v20, v33, v16
	v_ldexp_f32 v36, v20, v18
	v_sub_f32_e32 v20, v20, v33
	s_delay_alu instid0(VALU_DEP_2) | instskip(NEXT) | instid1(VALU_DEP_1)
	v_rcp_f32_e32 v37, v36
	v_sub_f32_e32 v16, v16, v20
	s_delay_alu instid0(VALU_DEP_1) | instskip(NEXT) | instid1(TRANS32_DEP_1)
	v_ldexp_f32 v16, v16, v18
	v_mul_f32_e32 v30, v36, v37
	s_delay_alu instid0(VALU_DEP_1) | instskip(NEXT) | instid1(VALU_DEP_1)
	v_fma_f32 v32, v37, v36, -v30
	v_fmac_f32_e32 v32, v37, v16
	s_delay_alu instid0(VALU_DEP_1) | instskip(NEXT) | instid1(VALU_DEP_1)
	v_add_f32_e32 v18, v30, v32
	v_dual_sub_f32 v31, 1.0, v18 :: v_dual_mov_b32 v33, v18
	s_delay_alu instid0(VALU_DEP_1) | instskip(NEXT) | instid1(VALU_DEP_1)
	v_pk_add_f32 v[34:35], v[18:19], v[30:31] neg_lo:[0,1] neg_hi:[0,1]
	v_pk_add_f32 v[32:33], v[34:35], v[32:33] neg_lo:[0,1] neg_hi:[0,1]
	s_delay_alu instid0(VALU_DEP_1) | instskip(NEXT) | instid1(VALU_DEP_1)
	v_add_f32_e32 v18, v32, v33
	v_add_f32_e32 v33, v31, v18
	s_delay_alu instid0(VALU_DEP_1) | instskip(NEXT) | instid1(VALU_DEP_1)
	v_dual_mul_f32 v20, v37, v33 :: v_dual_sub_f32 v38, v31, v33
	v_mul_f32_e32 v34, v36, v20
	s_delay_alu instid0(VALU_DEP_1) | instskip(NEXT) | instid1(VALU_DEP_1)
	v_fma_f32 v30, v20, v36, -v34
	v_fmac_f32_e32 v30, v20, v16
	s_delay_alu instid0(VALU_DEP_1) | instskip(NEXT) | instid1(VALU_DEP_1)
	v_add_f32_e32 v32, v34, v30
	v_dual_add_f32 v18, v18, v38 :: v_dual_sub_f32 v35, v33, v32
	v_mov_b32_e32 v31, v32
	s_delay_alu instid0(VALU_DEP_2) | instskip(NEXT) | instid1(VALU_DEP_1)
	v_pk_add_f32 v[32:33], v[32:33], v[34:35] neg_lo:[0,1] neg_hi:[0,1]
	v_pk_add_f32 v[30:31], v[32:33], v[30:31] neg_lo:[0,1] neg_hi:[0,1]
	s_delay_alu instid0(VALU_DEP_1) | instskip(NEXT) | instid1(VALU_DEP_1)
	v_dual_add_f32 v18, v18, v31 :: v_dual_add_f32 v31, v37, v20
	v_add_f32_e32 v18, v30, v18
	s_delay_alu instid0(VALU_DEP_1) | instskip(NEXT) | instid1(VALU_DEP_1)
	v_add_f32_e32 v18, v35, v18
	v_dual_sub_f32 v30, v31, v37 :: v_dual_mul_f32 v18, v37, v18
	s_delay_alu instid0(VALU_DEP_1) | instskip(NEXT) | instid1(VALU_DEP_1)
	v_sub_f32_e32 v20, v20, v30
	v_add_f32_e32 v18, v20, v18
	s_delay_alu instid0(VALU_DEP_1) | instskip(NEXT) | instid1(VALU_DEP_1)
	v_add_f32_e32 v20, v31, v18
	v_ldexp_f32 v30, v20, -2
	v_sub_f32_e32 v20, v20, v31
	s_delay_alu instid0(VALU_DEP_1) | instskip(NEXT) | instid1(VALU_DEP_1)
	v_dual_sub_f32 v32, v36, v30 :: v_dual_sub_f32 v18, v18, v20
	v_sub_f32_e32 v33, v36, v32
	s_delay_alu instid0(VALU_DEP_2) | instskip(NEXT) | instid1(VALU_DEP_2)
	v_ldexp_f32 v18, v18, -2
	v_sub_f32_e32 v30, v33, v30
	s_delay_alu instid0(VALU_DEP_1) | instskip(NEXT) | instid1(VALU_DEP_1)
	v_add_f32_e32 v16, v16, v30
	v_sub_f32_e32 v16, v16, v18
	s_delay_alu instid0(VALU_DEP_1) | instskip(NEXT) | instid1(VALU_DEP_1)
	v_add_f32_e32 v16, v32, v16
	v_cndmask_b32_e64 v16, 0x7f800000, v16, s4
	v_cmp_gt_f32_e64 s4, 0x39800000, |v29|
	s_delay_alu instid0(VALU_DEP_1) | instskip(NEXT) | instid1(VALU_DEP_1)
	v_cndmask_b32_e64 v16, v16, |v29|, s4
	v_bfi_b32 v16, 0x7fffffff, v16, v29
	global_store_b32 v[8:9], v16, off
	s_wait_xcnt 0x0
	s_or_b32 exec_lo, exec_lo, s23
	s_and_saveexec_b32 s4, s3
	s_cbranch_execz .LBB124_13
.LBB124_17:                             ;   in Loop: Header=BB124_4 Depth=1
	s_wait_loadcnt 0x0
	v_add_f32_e64 v16, 0xbf317218, |v28|
	v_cmp_nlt_f32_e64 s3, 0x42b2d4fc, |v28|
	s_delay_alu instid0(VALU_DEP_2) | instskip(NEXT) | instid1(VALU_DEP_1)
	v_sub_f32_e64 v18, v16, |v28|
	v_sub_f32_e32 v20, v18, v16
	v_add_f32_e32 v18, 0x3f317218, v18
	s_delay_alu instid0(VALU_DEP_2) | instskip(NEXT) | instid1(VALU_DEP_1)
	v_add_f32_e64 v20, |v28|, v20
	v_sub_f32_e32 v18, v20, v18
	s_delay_alu instid0(VALU_DEP_1) | instskip(NEXT) | instid1(VALU_DEP_1)
	v_add_f32_e32 v18, 0x3102e308, v18
	v_add_f32_e32 v20, v16, v18
	s_delay_alu instid0(VALU_DEP_1) | instskip(NEXT) | instid1(VALU_DEP_1)
	v_dual_mul_f32 v29, 0x3fb8aa3b, v20 :: v_dual_sub_f32 v16, v16, v20
	v_rndne_f32_e32 v29, v29
	s_delay_alu instid0(VALU_DEP_2) | instskip(NEXT) | instid1(VALU_DEP_2)
	v_add_f32_e32 v16, v18, v16
	v_fmac_f32_e32 v20, 0xbf317200, v29
	v_mul_f32_e32 v18, 0x35bfbc00, v29
	s_delay_alu instid0(VALU_DEP_2) | instskip(NEXT) | instid1(VALU_DEP_1)
	v_add_f32_e32 v30, v16, v20
	v_sub_f32_e32 v20, v20, v30
	s_delay_alu instid0(VALU_DEP_1) | instskip(NEXT) | instid1(VALU_DEP_1)
	v_dual_add_f32 v16, v16, v20 :: v_dual_sub_f32 v31, v30, v18
	v_sub_f32_e32 v30, v30, v31
	s_delay_alu instid0(VALU_DEP_1) | instskip(NEXT) | instid1(VALU_DEP_1)
	v_sub_f32_e32 v18, v30, v18
	v_add_f32_e32 v16, v16, v18
	v_mul_f32_e32 v18, 0x2ea39ef3, v29
	s_delay_alu instid0(VALU_DEP_2) | instskip(NEXT) | instid1(VALU_DEP_1)
	v_add_f32_e32 v20, v31, v16
	v_dual_sub_f32 v30, v20, v18 :: v_dual_sub_f32 v31, v31, v20
	s_delay_alu instid0(VALU_DEP_1) | instskip(NEXT) | instid1(VALU_DEP_2)
	v_sub_f32_e32 v20, v20, v30
	v_add_f32_e32 v16, v16, v31
	s_delay_alu instid0(VALU_DEP_2) | instskip(NEXT) | instid1(VALU_DEP_1)
	v_sub_f32_e32 v18, v20, v18
	v_add_f32_e32 v16, v16, v18
	s_delay_alu instid0(VALU_DEP_1) | instskip(NEXT) | instid1(VALU_DEP_1)
	v_add_f32_e32 v18, v30, v16
	v_sub_f32_e32 v20, v30, v18
	v_mul_f32_e32 v30, v18, v18
	s_delay_alu instid0(VALU_DEP_1) | instskip(SKIP_1) | instid1(VALU_DEP_2)
	v_dual_fma_f32 v31, v18, v18, -v30 :: v_dual_add_f32 v16, v16, v20
	v_fmaak_f32 v20, s22, v18, 0x3c091de6
	v_add_f32_e32 v32, v16, v16
	s_delay_alu instid0(VALU_DEP_2) | instskip(NEXT) | instid1(VALU_DEP_2)
	v_fmaak_f32 v20, v18, v20, 0x3d2aadcc
	v_fmac_f32_e32 v31, v18, v32
	s_delay_alu instid0(VALU_DEP_2) | instskip(NEXT) | instid1(VALU_DEP_2)
	v_fmaak_f32 v20, v18, v20, 0x3e2aaa47
	v_add_f32_e32 v32, v30, v31
	s_delay_alu instid0(VALU_DEP_2) | instskip(NEXT) | instid1(VALU_DEP_1)
	v_fmaak_f32 v20, v18, v20, 0x3efffffc
	v_mul_f32_e32 v33, v20, v32
	v_sub_f32_e32 v30, v32, v30
	s_delay_alu instid0(VALU_DEP_1) | instskip(NEXT) | instid1(VALU_DEP_1)
	v_dual_sub_f32 v30, v31, v30 :: v_dual_fma_f32 v31, v32, v20, -v33
	v_fmac_f32_e32 v31, v30, v20
	s_delay_alu instid0(VALU_DEP_1) | instskip(NEXT) | instid1(VALU_DEP_1)
	v_add_f32_e32 v20, v33, v31
	v_dual_add_f32 v30, v18, v20 :: v_dual_sub_f32 v32, v20, v33
	s_delay_alu instid0(VALU_DEP_1) | instskip(NEXT) | instid1(VALU_DEP_1)
	v_dual_sub_f32 v31, v31, v32 :: v_dual_sub_f32 v18, v30, v18
	v_add_f32_e32 v16, v16, v31
	s_delay_alu instid0(VALU_DEP_2) | instskip(NEXT) | instid1(VALU_DEP_1)
	v_sub_f32_e32 v18, v20, v18
	v_add_f32_e32 v16, v16, v18
	s_delay_alu instid0(VALU_DEP_1) | instskip(NEXT) | instid1(VALU_DEP_1)
	v_add_f32_e32 v18, v30, v16
	v_add_f32_e32 v20, 1.0, v18
	s_delay_alu instid0(VALU_DEP_1) | instskip(NEXT) | instid1(VALU_DEP_1)
	v_dual_add_f32 v31, -1.0, v20 :: v_dual_sub_f32 v30, v18, v30
	v_dual_sub_f32 v16, v16, v30 :: v_dual_sub_f32 v18, v18, v31
	s_delay_alu instid0(VALU_DEP_1) | instskip(SKIP_1) | instid1(VALU_DEP_2)
	v_add_f32_e32 v16, v16, v18
	v_cvt_i32_f32_e32 v18, v29
	v_add_f32_e32 v29, v20, v16
	s_delay_alu instid0(VALU_DEP_1) | instskip(SKIP_1) | instid1(VALU_DEP_2)
	v_ldexp_f32 v30, v29, v18
	v_sub_f32_e32 v20, v29, v20
	v_rcp_f32_e32 v31, v30
	s_delay_alu instid0(VALU_DEP_1) | instskip(NEXT) | instid1(VALU_DEP_1)
	v_sub_f32_e32 v16, v16, v20
	v_ldexp_f32 v16, v16, v18
	s_delay_alu instid0(TRANS32_DEP_1) | instskip(NEXT) | instid1(VALU_DEP_1)
	v_mul_f32_e32 v20, v30, v31
	v_fma_f32 v18, v31, v30, -v20
	s_delay_alu instid0(VALU_DEP_1) | instskip(NEXT) | instid1(VALU_DEP_1)
	v_fmac_f32_e32 v18, v31, v16
	v_add_f32_e32 v29, v20, v18
	s_delay_alu instid0(VALU_DEP_1) | instskip(NEXT) | instid1(VALU_DEP_1)
	v_dual_sub_f32 v32, 1.0, v29 :: v_dual_sub_f32 v20, v29, v20
	v_dual_sub_f32 v33, 1.0, v32 :: v_dual_sub_f32 v18, v20, v18
	s_delay_alu instid0(VALU_DEP_1) | instskip(NEXT) | instid1(VALU_DEP_1)
	v_sub_f32_e32 v20, v33, v29
	v_add_f32_e32 v18, v18, v20
	s_delay_alu instid0(VALU_DEP_1) | instskip(NEXT) | instid1(VALU_DEP_1)
	v_add_f32_e32 v20, v32, v18
	v_mul_f32_e32 v29, v31, v20
	s_delay_alu instid0(VALU_DEP_1) | instskip(NEXT) | instid1(VALU_DEP_1)
	v_mul_f32_e32 v33, v30, v29
	v_fma_f32 v34, v29, v30, -v33
	s_delay_alu instid0(VALU_DEP_1) | instskip(NEXT) | instid1(VALU_DEP_1)
	v_fmac_f32_e32 v34, v29, v16
	v_dual_sub_f32 v32, v32, v20 :: v_dual_add_f32 v35, v33, v34
	s_delay_alu instid0(VALU_DEP_1) | instskip(NEXT) | instid1(VALU_DEP_1)
	v_dual_add_f32 v18, v18, v32 :: v_dual_sub_f32 v36, v20, v35
	v_dual_sub_f32 v32, v35, v33 :: v_dual_sub_f32 v20, v20, v36
	s_delay_alu instid0(VALU_DEP_1) | instskip(NEXT) | instid1(VALU_DEP_2)
	v_sub_f32_e32 v32, v32, v34
	v_sub_f32_e32 v20, v20, v35
	s_delay_alu instid0(VALU_DEP_1) | instskip(NEXT) | instid1(VALU_DEP_1)
	v_dual_add_f32 v18, v18, v20 :: v_dual_add_f32 v20, v31, v29
	v_add_f32_e32 v18, v32, v18
	s_delay_alu instid0(VALU_DEP_2) | instskip(NEXT) | instid1(VALU_DEP_1)
	v_sub_f32_e32 v32, v20, v31
	v_dual_sub_f32 v29, v29, v32 :: v_dual_add_f32 v18, v36, v18
	s_delay_alu instid0(VALU_DEP_1) | instskip(NEXT) | instid1(VALU_DEP_1)
	v_mul_f32_e32 v18, v31, v18
	v_add_f32_e32 v18, v29, v18
	s_delay_alu instid0(VALU_DEP_1) | instskip(NEXT) | instid1(VALU_DEP_1)
	v_add_f32_e32 v29, v20, v18
	v_sub_f32_e32 v20, v29, v20
	s_delay_alu instid0(VALU_DEP_1) | instskip(SKIP_1) | instid1(VALU_DEP_2)
	v_sub_f32_e32 v18, v18, v20
	v_ldexp_f32 v31, v29, -2
	v_ldexp_f32 v18, v18, -2
	s_delay_alu instid0(VALU_DEP_2) | instskip(NEXT) | instid1(VALU_DEP_1)
	v_sub_f32_e32 v32, v30, v31
	v_sub_f32_e32 v29, v30, v32
	s_delay_alu instid0(VALU_DEP_1) | instskip(NEXT) | instid1(VALU_DEP_1)
	v_sub_f32_e32 v20, v29, v31
	v_add_f32_e32 v16, v16, v20
	s_delay_alu instid0(VALU_DEP_1) | instskip(NEXT) | instid1(VALU_DEP_1)
	v_sub_f32_e32 v16, v16, v18
	v_add_f32_e32 v16, v32, v16
	s_delay_alu instid0(VALU_DEP_1) | instskip(SKIP_1) | instid1(VALU_DEP_1)
	v_cndmask_b32_e64 v16, 0x7f800000, v16, s3
	v_cmp_gt_f32_e64 s3, 0x39800000, |v28|
	v_cndmask_b32_e64 v16, v16, |v28|, s3
	s_delay_alu instid0(VALU_DEP_1)
	v_bfi_b32 v16, 0x7fffffff, v16, v28
	global_store_b32 v[14:15], v16, off
	s_wait_xcnt 0x0
	s_or_b32 exec_lo, exec_lo, s4
	s_and_saveexec_b32 s3, s2
	s_cbranch_execz .LBB124_14
.LBB124_18:                             ;   in Loop: Header=BB124_4 Depth=1
	s_wait_loadcnt 0x0
	v_add_f32_e64 v16, 0xbf317218, |v27|
	v_cmp_nlt_f32_e64 s2, 0x42b2d4fc, |v27|
	s_delay_alu instid0(VALU_DEP_2) | instskip(NEXT) | instid1(VALU_DEP_1)
	v_sub_f32_e64 v18, v16, |v27|
	v_sub_f32_e32 v20, v18, v16
	v_add_f32_e32 v18, 0x3f317218, v18
	s_delay_alu instid0(VALU_DEP_2) | instskip(NEXT) | instid1(VALU_DEP_1)
	v_add_f32_e64 v20, |v27|, v20
	v_sub_f32_e32 v18, v20, v18
	s_delay_alu instid0(VALU_DEP_1) | instskip(NEXT) | instid1(VALU_DEP_1)
	v_add_f32_e32 v18, 0x3102e308, v18
	v_add_f32_e32 v20, v16, v18
	s_delay_alu instid0(VALU_DEP_1) | instskip(SKIP_1) | instid1(VALU_DEP_2)
	v_mul_f32_e32 v28, 0x3fb8aa3b, v20
	v_sub_f32_e32 v16, v16, v20
	v_rndne_f32_e32 v28, v28
	s_delay_alu instid0(VALU_DEP_2) | instskip(NEXT) | instid1(VALU_DEP_2)
	v_add_f32_e32 v16, v18, v16
	v_fmac_f32_e32 v20, 0xbf317200, v28
	v_mul_f32_e32 v18, 0x35bfbc00, v28
	s_delay_alu instid0(VALU_DEP_2) | instskip(NEXT) | instid1(VALU_DEP_1)
	v_add_f32_e32 v29, v16, v20
	v_dual_sub_f32 v30, v29, v18 :: v_dual_sub_f32 v20, v20, v29
	s_delay_alu instid0(VALU_DEP_1) | instskip(NEXT) | instid1(VALU_DEP_1)
	v_dual_sub_f32 v29, v29, v30 :: v_dual_add_f32 v16, v16, v20
	v_sub_f32_e32 v18, v29, v18
	s_delay_alu instid0(VALU_DEP_1) | instskip(SKIP_1) | instid1(VALU_DEP_2)
	v_add_f32_e32 v16, v16, v18
	v_mul_f32_e32 v18, 0x2ea39ef3, v28
	v_add_f32_e32 v20, v30, v16
	s_delay_alu instid0(VALU_DEP_1) | instskip(NEXT) | instid1(VALU_DEP_1)
	v_sub_f32_e32 v30, v30, v20
	v_add_f32_e32 v16, v16, v30
	s_delay_alu instid0(VALU_DEP_4) | instskip(NEXT) | instid1(VALU_DEP_1)
	v_sub_f32_e32 v29, v20, v18
	v_sub_f32_e32 v20, v20, v29
	s_delay_alu instid0(VALU_DEP_1) | instskip(NEXT) | instid1(VALU_DEP_1)
	v_sub_f32_e32 v18, v20, v18
	v_add_f32_e32 v16, v16, v18
	s_delay_alu instid0(VALU_DEP_1) | instskip(NEXT) | instid1(VALU_DEP_1)
	v_add_f32_e32 v18, v29, v16
	v_dual_sub_f32 v20, v29, v18 :: v_dual_mul_f32 v29, v18, v18
	s_delay_alu instid0(VALU_DEP_1) | instskip(NEXT) | instid1(VALU_DEP_1)
	v_dual_fma_f32 v30, v18, v18, -v29 :: v_dual_add_f32 v16, v16, v20
	v_add_f32_e32 v31, v16, v16
	s_delay_alu instid0(VALU_DEP_1) | instskip(NEXT) | instid1(VALU_DEP_1)
	v_fmac_f32_e32 v30, v18, v31
	v_add_f32_e32 v31, v29, v30
	s_delay_alu instid0(VALU_DEP_1) | instskip(NEXT) | instid1(VALU_DEP_1)
	v_dual_sub_f32 v29, v31, v29 :: v_dual_fmaak_f32 v20, s22, v18, 0x3c091de6
	v_sub_f32_e32 v29, v30, v29
	s_delay_alu instid0(VALU_DEP_2) | instskip(NEXT) | instid1(VALU_DEP_1)
	v_fmaak_f32 v20, v18, v20, 0x3d2aadcc
	v_fmaak_f32 v20, v18, v20, 0x3e2aaa47
	s_delay_alu instid0(VALU_DEP_1) | instskip(NEXT) | instid1(VALU_DEP_1)
	v_fmaak_f32 v20, v18, v20, 0x3efffffc
	v_mul_f32_e32 v32, v20, v31
	s_delay_alu instid0(VALU_DEP_1) | instskip(NEXT) | instid1(VALU_DEP_1)
	v_fma_f32 v30, v31, v20, -v32
	v_fmac_f32_e32 v30, v29, v20
	s_delay_alu instid0(VALU_DEP_1) | instskip(NEXT) | instid1(VALU_DEP_1)
	v_add_f32_e32 v20, v32, v30
	v_sub_f32_e32 v31, v20, v32
	s_delay_alu instid0(VALU_DEP_1) | instskip(NEXT) | instid1(VALU_DEP_1)
	v_sub_f32_e32 v30, v30, v31
	v_dual_add_f32 v29, v18, v20 :: v_dual_add_f32 v16, v16, v30
	s_delay_alu instid0(VALU_DEP_1) | instskip(NEXT) | instid1(VALU_DEP_1)
	v_sub_f32_e32 v18, v29, v18
	v_sub_f32_e32 v18, v20, v18
	s_delay_alu instid0(VALU_DEP_1) | instskip(NEXT) | instid1(VALU_DEP_1)
	v_add_f32_e32 v16, v16, v18
	v_add_f32_e32 v18, v29, v16
	s_delay_alu instid0(VALU_DEP_1) | instskip(NEXT) | instid1(VALU_DEP_1)
	v_dual_add_f32 v20, 1.0, v18 :: v_dual_sub_f32 v29, v18, v29
	v_dual_add_f32 v30, -1.0, v20 :: v_dual_sub_f32 v16, v16, v29
	s_delay_alu instid0(VALU_DEP_1) | instskip(NEXT) | instid1(VALU_DEP_1)
	v_sub_f32_e32 v18, v18, v30
	v_add_f32_e32 v16, v16, v18
	v_cvt_i32_f32_e32 v18, v28
	s_delay_alu instid0(VALU_DEP_2) | instskip(NEXT) | instid1(VALU_DEP_1)
	v_add_f32_e32 v28, v20, v16
	v_ldexp_f32 v29, v28, v18
	v_sub_f32_e32 v20, v28, v20
	s_delay_alu instid0(VALU_DEP_2) | instskip(NEXT) | instid1(VALU_DEP_1)
	v_rcp_f32_e32 v30, v29
	v_sub_f32_e32 v16, v16, v20
	s_delay_alu instid0(VALU_DEP_1) | instskip(NEXT) | instid1(TRANS32_DEP_1)
	v_ldexp_f32 v16, v16, v18
	v_mul_f32_e32 v20, v29, v30
	s_delay_alu instid0(VALU_DEP_1) | instskip(NEXT) | instid1(VALU_DEP_1)
	v_fma_f32 v18, v30, v29, -v20
	v_fmac_f32_e32 v18, v30, v16
	s_delay_alu instid0(VALU_DEP_1) | instskip(NEXT) | instid1(VALU_DEP_1)
	v_add_f32_e32 v28, v20, v18
	v_sub_f32_e32 v20, v28, v20
	s_delay_alu instid0(VALU_DEP_1) | instskip(NEXT) | instid1(VALU_DEP_1)
	v_dual_sub_f32 v18, v20, v18 :: v_dual_sub_f32 v31, 1.0, v28
	v_sub_f32_e32 v32, 1.0, v31
	s_delay_alu instid0(VALU_DEP_1) | instskip(NEXT) | instid1(VALU_DEP_1)
	v_sub_f32_e32 v20, v32, v28
	v_add_f32_e32 v18, v18, v20
	s_delay_alu instid0(VALU_DEP_1) | instskip(NEXT) | instid1(VALU_DEP_1)
	v_add_f32_e32 v20, v31, v18
	v_mul_f32_e32 v28, v30, v20
	s_delay_alu instid0(VALU_DEP_1) | instskip(NEXT) | instid1(VALU_DEP_1)
	v_mul_f32_e32 v32, v29, v28
	v_dual_sub_f32 v31, v31, v20 :: v_dual_fma_f32 v33, v28, v29, -v32
	s_delay_alu instid0(VALU_DEP_1) | instskip(NEXT) | instid1(VALU_DEP_1)
	v_dual_add_f32 v18, v18, v31 :: v_dual_fmac_f32 v33, v28, v16
	v_add_f32_e32 v34, v32, v33
	s_delay_alu instid0(VALU_DEP_1) | instskip(NEXT) | instid1(VALU_DEP_1)
	v_dual_sub_f32 v35, v20, v34 :: v_dual_sub_f32 v31, v34, v32
	v_dual_sub_f32 v20, v20, v35 :: v_dual_sub_f32 v31, v31, v33
	s_delay_alu instid0(VALU_DEP_1) | instskip(NEXT) | instid1(VALU_DEP_1)
	v_sub_f32_e32 v20, v20, v34
	v_add_f32_e32 v18, v18, v20
	s_delay_alu instid0(VALU_DEP_1) | instskip(NEXT) | instid1(VALU_DEP_1)
	v_dual_add_f32 v18, v31, v18 :: v_dual_add_f32 v20, v30, v28
	v_add_f32_e32 v18, v35, v18
	s_delay_alu instid0(VALU_DEP_2) | instskip(NEXT) | instid1(VALU_DEP_1)
	v_sub_f32_e32 v31, v20, v30
	v_dual_mul_f32 v18, v30, v18 :: v_dual_sub_f32 v28, v28, v31
	s_delay_alu instid0(VALU_DEP_1) | instskip(NEXT) | instid1(VALU_DEP_1)
	v_add_f32_e32 v18, v28, v18
	v_add_f32_e32 v28, v20, v18
	s_delay_alu instid0(VALU_DEP_1) | instskip(NEXT) | instid1(VALU_DEP_1)
	v_sub_f32_e32 v20, v28, v20
	v_sub_f32_e32 v18, v18, v20
	v_ldexp_f32 v30, v28, -2
	s_delay_alu instid0(VALU_DEP_2) | instskip(NEXT) | instid1(VALU_DEP_2)
	v_ldexp_f32 v18, v18, -2
	v_sub_f32_e32 v31, v29, v30
	s_delay_alu instid0(VALU_DEP_1) | instskip(NEXT) | instid1(VALU_DEP_1)
	v_sub_f32_e32 v28, v29, v31
	v_sub_f32_e32 v20, v28, v30
	s_delay_alu instid0(VALU_DEP_1) | instskip(NEXT) | instid1(VALU_DEP_1)
	v_add_f32_e32 v16, v16, v20
	v_sub_f32_e32 v16, v16, v18
	s_delay_alu instid0(VALU_DEP_1) | instskip(NEXT) | instid1(VALU_DEP_1)
	v_add_f32_e32 v16, v31, v16
	v_cndmask_b32_e64 v16, 0x7f800000, v16, s2
	v_cmp_gt_f32_e64 s2, 0x39800000, |v27|
	s_delay_alu instid0(VALU_DEP_1) | instskip(NEXT) | instid1(VALU_DEP_1)
	v_cndmask_b32_e64 v16, v16, |v27|, s2
	v_bfi_b32 v16, 0x7fffffff, v16, v27
	global_store_b32 v[24:25], v16, off
	s_wait_xcnt 0x0
	s_or_b32 exec_lo, exec_lo, s3
	s_and_saveexec_b32 s2, vcc_lo
	s_cbranch_execz .LBB124_3
.LBB124_19:                             ;   in Loop: Header=BB124_4 Depth=1
	s_wait_loadcnt 0x0
	v_add_f32_e64 v16, 0xbf317218, |v26|
	v_cmp_nlt_f32_e64 vcc_lo, 0x42b2d4fc, |v26|
	v_cmp_gt_f32_e64 s3, 0x39800000, |v26|
	s_delay_alu instid0(VALU_DEP_3) | instskip(NEXT) | instid1(VALU_DEP_1)
	v_sub_f32_e64 v18, v16, |v26|
	v_sub_f32_e32 v20, v18, v16
	v_add_f32_e32 v18, 0x3f317218, v18
	s_delay_alu instid0(VALU_DEP_2) | instskip(NEXT) | instid1(VALU_DEP_1)
	v_add_f32_e64 v20, |v26|, v20
	v_sub_f32_e32 v18, v20, v18
	s_delay_alu instid0(VALU_DEP_1) | instskip(NEXT) | instid1(VALU_DEP_1)
	v_add_f32_e32 v18, 0x3102e308, v18
	v_add_f32_e32 v20, v16, v18
	s_delay_alu instid0(VALU_DEP_1) | instskip(SKIP_1) | instid1(VALU_DEP_2)
	v_mul_f32_e32 v24, 0x3fb8aa3b, v20
	v_sub_f32_e32 v16, v16, v20
	v_rndne_f32_e32 v24, v24
	s_delay_alu instid0(VALU_DEP_2) | instskip(NEXT) | instid1(VALU_DEP_2)
	v_add_f32_e32 v16, v18, v16
	v_fmac_f32_e32 v20, 0xbf317200, v24
	v_mul_f32_e32 v18, 0x35bfbc00, v24
	s_delay_alu instid0(VALU_DEP_2) | instskip(NEXT) | instid1(VALU_DEP_1)
	v_add_f32_e32 v25, v16, v20
	v_dual_sub_f32 v27, v25, v18 :: v_dual_sub_f32 v20, v20, v25
	s_delay_alu instid0(VALU_DEP_1) | instskip(NEXT) | instid1(VALU_DEP_1)
	v_dual_sub_f32 v25, v25, v27 :: v_dual_add_f32 v16, v16, v20
	v_sub_f32_e32 v18, v25, v18
	s_delay_alu instid0(VALU_DEP_1) | instskip(SKIP_1) | instid1(VALU_DEP_2)
	v_add_f32_e32 v16, v16, v18
	v_mul_f32_e32 v18, 0x2ea39ef3, v24
	v_add_f32_e32 v20, v27, v16
	s_delay_alu instid0(VALU_DEP_1) | instskip(NEXT) | instid1(VALU_DEP_1)
	v_sub_f32_e32 v27, v27, v20
	v_add_f32_e32 v16, v16, v27
	s_delay_alu instid0(VALU_DEP_4) | instskip(NEXT) | instid1(VALU_DEP_1)
	v_sub_f32_e32 v25, v20, v18
	v_sub_f32_e32 v20, v20, v25
	s_delay_alu instid0(VALU_DEP_1) | instskip(NEXT) | instid1(VALU_DEP_1)
	v_sub_f32_e32 v18, v20, v18
	v_add_f32_e32 v16, v16, v18
	s_delay_alu instid0(VALU_DEP_1) | instskip(NEXT) | instid1(VALU_DEP_1)
	v_add_f32_e32 v18, v25, v16
	v_dual_sub_f32 v20, v25, v18 :: v_dual_mul_f32 v25, v18, v18
	s_delay_alu instid0(VALU_DEP_1) | instskip(NEXT) | instid1(VALU_DEP_1)
	v_dual_fma_f32 v27, v18, v18, -v25 :: v_dual_add_f32 v16, v16, v20
	v_add_f32_e32 v28, v16, v16
	s_delay_alu instid0(VALU_DEP_1) | instskip(NEXT) | instid1(VALU_DEP_1)
	v_dual_fmaak_f32 v20, s22, v18, 0x3c091de6 :: v_dual_fmac_f32 v27, v18, v28
	v_fmaak_f32 v20, v18, v20, 0x3d2aadcc
	s_delay_alu instid0(VALU_DEP_2) | instskip(NEXT) | instid1(VALU_DEP_1)
	v_add_f32_e32 v28, v25, v27
	v_dual_fmaak_f32 v20, v18, v20, 0x3e2aaa47 :: v_dual_sub_f32 v25, v28, v25
	s_delay_alu instid0(VALU_DEP_1) | instskip(NEXT) | instid1(VALU_DEP_1)
	v_dual_fmaak_f32 v20, v18, v20, 0x3efffffc :: v_dual_sub_f32 v25, v27, v25
	v_mul_f32_e32 v29, v20, v28
	s_delay_alu instid0(VALU_DEP_1) | instskip(NEXT) | instid1(VALU_DEP_1)
	v_fma_f32 v27, v28, v20, -v29
	v_fmac_f32_e32 v27, v25, v20
	s_delay_alu instid0(VALU_DEP_1) | instskip(NEXT) | instid1(VALU_DEP_1)
	v_add_f32_e32 v20, v29, v27
	v_add_f32_e32 v25, v18, v20
	s_delay_alu instid0(VALU_DEP_1) | instskip(NEXT) | instid1(VALU_DEP_1)
	v_dual_sub_f32 v18, v25, v18 :: v_dual_sub_f32 v28, v20, v29
	v_dual_sub_f32 v18, v20, v18 :: v_dual_sub_f32 v27, v27, v28
	s_delay_alu instid0(VALU_DEP_1) | instskip(NEXT) | instid1(VALU_DEP_1)
	v_add_f32_e32 v16, v16, v27
	v_add_f32_e32 v16, v16, v18
	s_delay_alu instid0(VALU_DEP_1) | instskip(NEXT) | instid1(VALU_DEP_1)
	v_add_f32_e32 v18, v25, v16
	v_sub_f32_e32 v25, v18, v25
	s_delay_alu instid0(VALU_DEP_1) | instskip(NEXT) | instid1(VALU_DEP_1)
	v_dual_sub_f32 v16, v16, v25 :: v_dual_add_f32 v20, 1.0, v18
	v_add_f32_e32 v27, -1.0, v20
	s_delay_alu instid0(VALU_DEP_1) | instskip(NEXT) | instid1(VALU_DEP_1)
	v_sub_f32_e32 v18, v18, v27
	v_add_f32_e32 v16, v16, v18
	v_cvt_i32_f32_e32 v18, v24
	s_delay_alu instid0(VALU_DEP_2) | instskip(NEXT) | instid1(VALU_DEP_1)
	v_add_f32_e32 v24, v20, v16
	v_ldexp_f32 v25, v24, v18
	v_sub_f32_e32 v20, v24, v20
	s_delay_alu instid0(VALU_DEP_2) | instskip(SKIP_1) | instid1(TRANS32_DEP_1)
	v_rcp_f32_e32 v27, v25
	v_nop
	v_dual_sub_f32 v16, v16, v20 :: v_dual_mul_f32 v20, v25, v27
	s_delay_alu instid0(VALU_DEP_1) | instskip(NEXT) | instid1(VALU_DEP_2)
	v_ldexp_f32 v16, v16, v18
	v_fma_f32 v18, v27, v25, -v20
	s_delay_alu instid0(VALU_DEP_1) | instskip(NEXT) | instid1(VALU_DEP_1)
	v_fmac_f32_e32 v18, v27, v16
	v_add_f32_e32 v24, v20, v18
	s_delay_alu instid0(VALU_DEP_1) | instskip(NEXT) | instid1(VALU_DEP_1)
	v_sub_f32_e32 v28, 1.0, v24
	v_sub_f32_e32 v29, 1.0, v28
	v_sub_f32_e32 v20, v24, v20
	s_delay_alu instid0(VALU_DEP_1) | instskip(NEXT) | instid1(VALU_DEP_1)
	v_dual_sub_f32 v18, v20, v18 :: v_dual_sub_f32 v20, v29, v24
	v_add_f32_e32 v18, v18, v20
	s_delay_alu instid0(VALU_DEP_1) | instskip(NEXT) | instid1(VALU_DEP_1)
	v_add_f32_e32 v20, v28, v18
	v_mul_f32_e32 v24, v27, v20
	s_delay_alu instid0(VALU_DEP_1) | instskip(SKIP_1) | instid1(VALU_DEP_2)
	v_mul_f32_e32 v29, v25, v24
	v_sub_f32_e32 v28, v28, v20
	v_fma_f32 v30, v24, v25, -v29
	s_delay_alu instid0(VALU_DEP_1) | instskip(NEXT) | instid1(VALU_DEP_1)
	v_fmac_f32_e32 v30, v24, v16
	v_add_f32_e32 v31, v29, v30
	s_delay_alu instid0(VALU_DEP_1) | instskip(NEXT) | instid1(VALU_DEP_1)
	v_sub_f32_e32 v32, v20, v31
	v_sub_f32_e32 v20, v20, v32
	v_dual_add_f32 v18, v18, v28 :: v_dual_sub_f32 v28, v31, v29
	s_delay_alu instid0(VALU_DEP_2) | instskip(NEXT) | instid1(VALU_DEP_1)
	v_sub_f32_e32 v20, v20, v31
	v_dual_sub_f32 v28, v28, v30 :: v_dual_add_f32 v18, v18, v20
	s_delay_alu instid0(VALU_DEP_1) | instskip(NEXT) | instid1(VALU_DEP_1)
	v_dual_add_f32 v20, v27, v24 :: v_dual_add_f32 v18, v28, v18
	v_sub_f32_e32 v28, v20, v27
	s_delay_alu instid0(VALU_DEP_2) | instskip(NEXT) | instid1(VALU_DEP_1)
	v_add_f32_e32 v18, v32, v18
	v_dual_sub_f32 v24, v24, v28 :: v_dual_mul_f32 v18, v27, v18
	s_delay_alu instid0(VALU_DEP_1) | instskip(NEXT) | instid1(VALU_DEP_1)
	v_add_f32_e32 v18, v24, v18
	v_add_f32_e32 v24, v20, v18
	s_delay_alu instid0(VALU_DEP_1) | instskip(NEXT) | instid1(VALU_DEP_1)
	v_ldexp_f32 v27, v24, -2
	v_dual_sub_f32 v20, v24, v20 :: v_dual_sub_f32 v28, v25, v27
	s_delay_alu instid0(VALU_DEP_1) | instskip(NEXT) | instid1(VALU_DEP_1)
	v_sub_f32_e32 v24, v25, v28
	v_dual_sub_f32 v18, v18, v20 :: v_dual_sub_f32 v20, v24, v27
	s_delay_alu instid0(VALU_DEP_1) | instskip(NEXT) | instid1(VALU_DEP_2)
	v_ldexp_f32 v18, v18, -2
	v_add_f32_e32 v16, v16, v20
	s_delay_alu instid0(VALU_DEP_1) | instskip(NEXT) | instid1(VALU_DEP_1)
	v_sub_f32_e32 v16, v16, v18
	v_add_f32_e32 v16, v28, v16
	s_delay_alu instid0(VALU_DEP_1) | instskip(NEXT) | instid1(VALU_DEP_1)
	v_cndmask_b32_e32 v16, 0x7f800000, v16, vcc_lo
	v_cndmask_b32_e64 v16, v16, |v26|, s3
	s_delay_alu instid0(VALU_DEP_1)
	v_bfi_b32 v16, 0x7fffffff, v16, v26
	global_store_b32 v[22:23], v16, off
	s_branch .LBB124_3
.LBB124_20:
	s_cbranch_execz .LBB124_22
	s_branch .LBB124_25
.LBB124_21:
.LBB124_22:
	v_min_i64 v[6:7], 0x10000, s[10:11]
	v_dual_mov_b32 v3, 0 :: v_dual_lshlrev_b32 v2, 2, v0
	s_mov_b32 s2, exec_lo
	s_delay_alu instid0(VALU_DEP_1)
	v_cmpx_lt_i64_e64 v[2:3], v[6:7]
	s_cbranch_execz .LBB124_25
; %bb.23:
	s_load_b32 s2, s[0:1], 0xd3c
	v_dual_mov_b32 v1, v3 :: v_dual_lshlrev_b32 v2, 4, v0
	s_wait_xcnt 0x0
	s_add_nc_u64 s[0:1], s[6:7], s[8:9]
	s_mov_b32 s3, -1.0
	v_mov_b32_e32 v9, 0x3f317218
	v_add_nc_u64_e32 v[2:3], s[0:1], v[2:3]
	v_dual_mov_b32 v11, -1.0 :: v_dual_mov_b32 v13, 1.0
	s_mov_b32 s1, 0
	s_mov_b32 s4, 0x3ab42872
	;; [unrolled: 1-line block ×3, first 2 shown]
	s_delay_alu instid0(VALU_DEP_2)
	v_add_nc_u64_e32 v[14:15], 8, v[2:3]
	s_wait_kmcnt 0x0
	v_mov_b64_e32 v[16:17], s[2:3]
	s_and_b32 s0, s2, 0xffff
	s_mov_b32 s3, s1
	s_lshl_b32 s2, s0, 4
.LBB124_24:                             ; =>This Inner Loop Header: Depth=1
	global_load_b128 v[2:5], v[14:15], off offset:-8
	v_add_nc_u64_e32 v[0:1], s[0:1], v[0:1]
	s_wait_loadcnt 0x0
	v_add_f32_e64 v10, 0xbf317218, |v2|
	v_and_b32_e32 v8, 0x7fffffff, v2
	v_add_f32_e64 v12, 0xbf317218, |v3|
	v_add_f32_e64 v24, 0xbf317218, |v4|
	;; [unrolled: 1-line block ×3, first 2 shown]
	v_sub_f32_e64 v19, v10, |v2|
	v_cmp_nlt_f32_e64 vcc_lo, 0x42b2d4fc, |v2|
	v_cmp_gt_f32_e64 s6, 0x39800000, |v2|
	s_delay_alu instid0(VALU_DEP_4) | instskip(NEXT) | instid1(VALU_DEP_4)
	v_sub_f32_e64 v23, v25, |v5|
	v_sub_f32_e32 v18, v19, v10
	s_delay_alu instid0(VALU_DEP_1) | instskip(SKIP_2) | instid1(VALU_DEP_3)
	v_pk_add_f32 v[20:21], v[8:9], v[18:19]
	v_sub_f32_e64 v19, v12, |v3|
	v_and_b32_e32 v8, 0x7fffffff, v3
	v_sub_f32_e32 v20, v20, v21
	v_sub_f32_e64 v21, v24, |v4|
	s_delay_alu instid0(VALU_DEP_2) | instskip(NEXT) | instid1(VALU_DEP_1)
	v_add_f32_e32 v26, 0x3102e308, v20
	v_dual_sub_f32 v18, v19, v12 :: v_dual_add_f32 v27, v10, v26
	s_delay_alu instid0(VALU_DEP_1) | instskip(NEXT) | instid1(VALU_DEP_4)
	v_pk_add_f32 v[18:19], v[8:9], v[18:19]
	v_sub_f32_e32 v20, v21, v24
	v_and_b32_e32 v8, 0x7fffffff, v4
	s_delay_alu instid0(VALU_DEP_4) | instskip(NEXT) | instid1(VALU_DEP_4)
	v_dual_sub_f32 v22, v23, v25 :: v_dual_mul_f32 v29, 0x3fb8aa3b, v27
	v_sub_f32_e32 v28, v18, v19
	v_sub_f32_e32 v10, v10, v27
	s_delay_alu instid0(VALU_DEP_4) | instskip(SKIP_2) | instid1(VALU_DEP_3)
	v_pk_add_f32 v[18:19], v[8:9], v[20:21]
	v_and_b32_e32 v8, 0x7fffffff, v5
	v_rndne_f32_e32 v32, v29
	v_dual_add_f32 v21, 0x3102e308, v28 :: v_dual_sub_f32 v20, v18, v19
	s_delay_alu instid0(VALU_DEP_3) | instskip(NEXT) | instid1(VALU_DEP_2)
	v_pk_add_f32 v[18:19], v[8:9], v[22:23]
	v_dual_fmac_f32 v27, 0xbf317200, v32 :: v_dual_add_f32 v8, v12, v21
	s_delay_alu instid0(VALU_DEP_3) | instskip(NEXT) | instid1(VALU_DEP_3)
	v_add_f32_e32 v22, 0x3102e308, v20
	v_dual_sub_f32 v18, v18, v19 :: v_dual_mul_f32 v19, 0x2ea39ef3, v32
	s_delay_alu instid0(VALU_DEP_3) | instskip(NEXT) | instid1(VALU_DEP_3)
	v_sub_f32_e32 v12, v12, v8
	v_add_f32_e32 v30, v24, v22
	v_mul_f32_e32 v28, 0x3fb8aa3b, v8
	s_delay_alu instid0(VALU_DEP_2) | instskip(SKIP_2) | instid1(VALU_DEP_3)
	v_dual_add_f32 v12, v21, v12 :: v_dual_sub_f32 v21, v24, v30
	v_dual_add_f32 v10, v26, v10 :: v_dual_mul_f32 v23, 0x35bfbc00, v32
	v_cvt_i32_f32_e32 v32, v32
	v_add_f32_e32 v22, v22, v21
	s_delay_alu instid0(VALU_DEP_3) | instskip(NEXT) | instid1(VALU_DEP_1)
	v_add_f32_e32 v26, v10, v27
	v_dual_sub_f32 v20, v26, v23 :: v_dual_sub_f32 v24, v27, v26
	v_mul_f32_e32 v27, 0x3fb8aa3b, v30
	v_rndne_f32_e32 v33, v28
	s_delay_alu instid0(VALU_DEP_3) | instskip(NEXT) | instid1(VALU_DEP_4)
	v_sub_f32_e32 v26, v26, v20
	v_add_f32_e32 v10, v10, v24
	s_delay_alu instid0(VALU_DEP_4) | instskip(NEXT) | instid1(VALU_DEP_3)
	v_rndne_f32_e32 v36, v27
	v_dual_mul_f32 v35, 0x35bfbc00, v33 :: v_dual_sub_f32 v24, v26, v23
	v_mul_f32_e32 v23, 0x2ea39ef3, v33
	s_delay_alu instid0(VALU_DEP_3) | instskip(SKIP_1) | instid1(VALU_DEP_4)
	v_fmac_f32_e32 v30, 0xbf317200, v36
	v_fmac_f32_e32 v8, 0xbf317200, v33
	v_add_f32_e32 v10, v10, v24
	s_delay_alu instid0(VALU_DEP_3) | instskip(NEXT) | instid1(VALU_DEP_3)
	v_add_f32_e32 v39, v22, v30
	v_dual_add_f32 v18, 0x3102e308, v18 :: v_dual_add_f32 v27, v12, v8
	s_delay_alu instid0(VALU_DEP_3) | instskip(NEXT) | instid1(VALU_DEP_2)
	v_add_f32_e32 v21, v20, v10
	v_dual_mul_f32 v37, 0x35bfbc00, v36 :: v_dual_add_f32 v34, v25, v18
	s_delay_alu instid0(VALU_DEP_1) | instskip(SKIP_2) | instid1(VALU_DEP_3)
	v_dual_sub_f32 v8, v8, v27 :: v_dual_sub_f32 v24, v25, v34
	v_mul_f32_e32 v26, 0x3fb8aa3b, v34
	v_mul_f32_e32 v25, 0x2ea39ef3, v36
	v_dual_add_f32 v24, v18, v24 :: v_dual_mov_b32 v18, v21
	s_delay_alu instid0(VALU_DEP_1) | instskip(SKIP_1) | instid1(VALU_DEP_2)
	v_pk_add_f32 v[28:29], v[20:21], v[18:19] neg_lo:[0,1] neg_hi:[0,1]
	v_dual_add_f32 v8, v12, v8 :: v_dual_sub_f32 v18, v39, v37
	v_dual_sub_f32 v12, v21, v29 :: v_dual_sub_f32 v21, v30, v39
	v_rndne_f32_e32 v38, v26
	s_delay_alu instid0(VALU_DEP_4) | instskip(NEXT) | instid1(VALU_DEP_2)
	v_dual_sub_f32 v26, v27, v35 :: v_dual_add_f32 v10, v10, v28
	v_dual_add_f32 v21, v22, v21 :: v_dual_fmac_f32 v34, 0xbf317200, v38
	s_delay_alu instid0(VALU_DEP_2) | instskip(SKIP_1) | instid1(VALU_DEP_2)
	v_sub_f32_e32 v20, v27, v26
	v_mul_f32_e32 v31, 0x2ea39ef3, v38
	v_dual_sub_f32 v27, v39, v18 :: v_dual_sub_f32 v20, v20, v35
	s_delay_alu instid0(VALU_DEP_1) | instskip(SKIP_2) | instid1(VALU_DEP_1)
	v_add_f32_e32 v8, v8, v20
	v_mul_f32_e32 v40, 0x35bfbc00, v38
	v_sub_f32_e32 v12, v12, v19
	v_dual_add_f32 v19, v24, v34 :: v_dual_add_f32 v10, v10, v12
	s_delay_alu instid0(VALU_DEP_4) | instskip(NEXT) | instid1(VALU_DEP_2)
	v_dual_sub_f32 v12, v27, v37 :: v_dual_add_f32 v27, v26, v8
	v_sub_f32_e32 v20, v19, v40
	s_delay_alu instid0(VALU_DEP_2) | instskip(NEXT) | instid1(VALU_DEP_2)
	v_dual_add_f32 v12, v21, v12 :: v_dual_sub_f32 v28, v34, v19
	v_dual_add_f32 v34, v29, v10 :: v_dual_sub_f32 v19, v19, v20
	s_delay_alu instid0(VALU_DEP_2) | instskip(NEXT) | instid1(VALU_DEP_2)
	v_dual_mov_b32 v22, v27 :: v_dual_add_f32 v21, v24, v28
	v_dual_sub_f32 v24, v29, v34 :: v_dual_sub_f32 v30, v19, v40
	s_delay_alu instid0(VALU_DEP_2) | instskip(SKIP_2) | instid1(VALU_DEP_4)
	v_pk_add_f32 v[28:29], v[26:27], v[22:23] neg_lo:[0,1] neg_hi:[0,1]
	v_mul_f32_e32 v26, v34, v34
	v_add_f32_e32 v19, v18, v12
	v_dual_add_f32 v35, v10, v24 :: v_dual_add_f32 v37, v21, v30
	s_delay_alu instid0(VALU_DEP_4) | instskip(NEXT) | instid1(VALU_DEP_2)
	v_dual_fmaak_f32 v10, s4, v34, 0x3c091de6 :: v_dual_sub_f32 v21, v27, v29
	v_dual_fma_f32 v27, v34, v34, -v26 :: v_dual_add_f32 v22, v35, v35
	v_add_f32_e32 v8, v8, v28
	s_delay_alu instid0(VALU_DEP_3) | instskip(NEXT) | instid1(VALU_DEP_4)
	v_fmaak_f32 v10, v34, v10, 0x3d2aadcc
	v_dual_mov_b32 v24, v19 :: v_dual_sub_f32 v28, v21, v23
	s_delay_alu instid0(VALU_DEP_4) | instskip(NEXT) | instid1(VALU_DEP_2)
	v_dual_fmac_f32 v27, v34, v22 :: v_dual_add_f32 v21, v20, v37
	v_pk_add_f32 v[22:23], v[18:19], v[24:25] neg_lo:[0,1] neg_hi:[0,1]
	s_delay_alu instid0(VALU_DEP_3) | instskip(SKIP_1) | instid1(VALU_DEP_4)
	v_add_f32_e32 v8, v8, v28
	v_fmaak_f32 v10, v34, v10, 0x3e2aaa47
	v_dual_add_f32 v24, v26, v27 :: v_dual_mov_b32 v30, v21
	s_delay_alu instid0(VALU_DEP_3) | instskip(SKIP_1) | instid1(VALU_DEP_3)
	v_dual_sub_f32 v28, v19, v23 :: v_dual_add_f32 v39, v29, v8
	v_add_f32_e32 v12, v12, v22
	v_sub_f32_e32 v26, v24, v26
	s_delay_alu instid0(VALU_DEP_3) | instskip(SKIP_1) | instid1(VALU_DEP_3)
	v_dual_fmaak_f32 v10, v34, v10, 0x3efffffc :: v_dual_sub_f32 v25, v28, v25
	v_pk_add_f32 v[18:19], v[20:21], v[30:31] neg_lo:[0,1] neg_hi:[0,1]
	v_dual_sub_f32 v20, v29, v39 :: v_dual_sub_f32 v22, v27, v26
	s_delay_alu instid0(VALU_DEP_3) | instskip(NEXT) | instid1(VALU_DEP_3)
	v_dual_mul_f32 v40, v10, v24 :: v_dual_mul_f32 v26, v39, v39
	v_add_f32_e32 v18, v37, v18
	s_delay_alu instid0(VALU_DEP_2) | instskip(NEXT) | instid1(VALU_DEP_4)
	v_fma_f32 v24, v24, v10, -v40
	v_dual_add_f32 v8, v8, v20 :: v_dual_sub_f32 v21, v21, v19
	s_delay_alu instid0(VALU_DEP_2) | instskip(SKIP_1) | instid1(VALU_DEP_3)
	v_fmac_f32_e32 v24, v22, v10
	v_fmaak_f32 v20, s4, v39, 0x3c091de6
	v_dual_fma_f32 v22, v39, v39, -v26 :: v_dual_add_f32 v10, v8, v8
	v_add_f32_e32 v12, v12, v25
	s_delay_alu instid0(VALU_DEP_4) | instskip(NEXT) | instid1(VALU_DEP_4)
	v_add_f32_e32 v27, v40, v24
	v_dual_fmaak_f32 v20, v39, v20, 0x3d2aadcc :: v_dual_sub_f32 v21, v21, v31
	s_delay_alu instid0(VALU_DEP_2) | instskip(SKIP_1) | instid1(VALU_DEP_3)
	v_dual_fmac_f32 v22, v39, v10 :: v_dual_add_f32 v10, v34, v27
	v_sub_f32_e32 v25, v27, v40
	v_fmaak_f32 v20, v39, v20, 0x3e2aaa47
	s_delay_alu instid0(VALU_DEP_3) | instskip(NEXT) | instid1(VALU_DEP_3)
	v_add_f32_e32 v28, v26, v22
	v_dual_sub_f32 v29, v10, v34 :: v_dual_sub_f32 v24, v24, v25
	s_delay_alu instid0(VALU_DEP_3) | instskip(NEXT) | instid1(VALU_DEP_3)
	v_fmaak_f32 v20, v39, v20, 0x3efffffc
	v_dual_add_f32 v25, v23, v12 :: v_dual_sub_f32 v26, v28, v26
	s_delay_alu instid0(VALU_DEP_3) | instskip(NEXT) | instid1(VALU_DEP_4)
	v_sub_f32_e32 v27, v27, v29
	v_dual_add_f32 v24, v35, v24 :: v_dual_add_f32 v29, v18, v21
	s_delay_alu instid0(VALU_DEP_3) | instskip(NEXT) | instid1(VALU_DEP_4)
	v_dual_mul_f32 v30, v20, v28 :: v_dual_sub_f32 v21, v23, v25
	v_dual_sub_f32 v22, v22, v26 :: v_dual_fmaak_f32 v23, s4, v25, 0x3c091de6
	s_delay_alu instid0(VALU_DEP_2) | instskip(NEXT) | instid1(VALU_DEP_4)
	v_dual_add_f32 v34, v19, v29 :: v_dual_fma_f32 v26, v28, v20, -v30
	v_dual_add_f32 v18, v24, v27 :: v_dual_mul_f32 v24, v25, v25
	s_delay_alu instid0(VALU_DEP_2) | instskip(NEXT) | instid1(VALU_DEP_3)
	v_dual_add_f32 v12, v12, v21 :: v_dual_sub_f32 v19, v19, v34
	v_fmac_f32_e32 v26, v22, v20
	s_delay_alu instid0(VALU_DEP_3) | instskip(NEXT) | instid1(VALU_DEP_3)
	v_add_f32_e32 v20, v10, v18
	v_dual_fmaak_f32 v22, v25, v23, 0x3d2aadcc :: v_dual_add_f32 v23, v12, v12
	s_delay_alu instid0(VALU_DEP_3) | instskip(NEXT) | instid1(VALU_DEP_3)
	v_dual_fma_f32 v27, v25, v25, -v24 :: v_dual_add_f32 v28, v30, v26
	v_add_f32_e32 v21, 1.0, v20
	s_delay_alu instid0(VALU_DEP_3) | instskip(NEXT) | instid1(VALU_DEP_3)
	v_fmaak_f32 v31, v25, v22, 0x3e2aaa47
	v_dual_fmac_f32 v27, v25, v23 :: v_dual_sub_f32 v30, v28, v30
	s_delay_alu instid0(VALU_DEP_3) | instskip(SKIP_1) | instid1(VALU_DEP_3)
	v_pk_add_f32 v[22:23], v[20:21], v[10:11] neg_lo:[0,1] neg_hi:[0,1]
	v_dual_add_f32 v10, v39, v28 :: v_dual_fmaak_f32 v23, s4, v34, 0x3c091de6
	v_dual_add_f32 v35, v24, v27 :: v_dual_sub_f32 v26, v26, v30
	v_fmaak_f32 v31, v25, v31, 0x3efffffc
	s_delay_alu instid0(VALU_DEP_2) | instskip(NEXT) | instid1(VALU_DEP_2)
	v_dual_sub_f32 v30, v10, v39 :: v_dual_sub_f32 v24, v35, v24
	v_dual_add_f32 v8, v8, v26 :: v_dual_mul_f32 v37, v31, v35
	s_delay_alu instid0(VALU_DEP_2) | instskip(SKIP_1) | instid1(VALU_DEP_4)
	v_sub_f32_e32 v26, v28, v30
	v_dual_mul_f32 v30, v34, v34 :: v_dual_add_f32 v39, v29, v19
	v_sub_f32_e32 v19, v27, v24
	s_delay_alu instid0(VALU_DEP_3) | instskip(NEXT) | instid1(VALU_DEP_3)
	v_dual_fma_f32 v35, v35, v31, -v37 :: v_dual_add_f32 v24, v8, v26
	v_dual_fma_f32 v8, v34, v34, -v30 :: v_dual_add_f32 v27, v39, v39
	s_delay_alu instid0(VALU_DEP_2) | instskip(NEXT) | instid1(VALU_DEP_1)
	v_dual_add_f32 v26, v10, v24 :: v_dual_fmac_f32 v35, v19, v31
	v_dual_fmac_f32 v8, v34, v27 :: v_dual_add_f32 v27, 1.0, v26
	s_delay_alu instid0(VALU_DEP_1) | instskip(NEXT) | instid1(VALU_DEP_2)
	v_add_f32_e32 v40, v30, v8
	v_pk_add_f32 v[28:29], v[26:27], v[10:11] neg_lo:[0,1] neg_hi:[0,1]
	s_delay_alu instid0(VALU_DEP_2) | instskip(SKIP_2) | instid1(VALU_DEP_2)
	v_sub_f32_e32 v29, v40, v30
	v_fmaak_f32 v23, v34, v23, 0x3d2aadcc
	v_pk_add_f32 v[30:31], v[20:21], v[16:17]
	v_dual_sub_f32 v8, v8, v29 :: v_dual_fmaak_f32 v19, v34, v23, 0x3e2aaa47
	v_add_f32_e32 v23, v37, v35
	s_delay_alu instid0(VALU_DEP_1) | instskip(NEXT) | instid1(VALU_DEP_3)
	v_add_f32_e32 v10, v25, v23
	v_fmaak_f32 v41, v34, v19, 0x3efffffc
	s_delay_alu instid0(VALU_DEP_2) | instskip(SKIP_1) | instid1(VALU_DEP_2)
	v_sub_f32_e32 v25, v10, v25
	v_sub_f32_e32 v19, v23, v37
	v_sub_f32_e32 v25, v23, v25
	s_delay_alu instid0(VALU_DEP_2) | instskip(NEXT) | instid1(VALU_DEP_1)
	v_sub_f32_e32 v19, v35, v19
	v_dual_mov_b32 v23, v31 :: v_dual_add_f32 v12, v12, v19
	v_dual_mul_f32 v37, v41, v40 :: v_dual_mov_b32 v19, v20
	s_delay_alu instid0(VALU_DEP_1) | instskip(NEXT) | instid1(VALU_DEP_2)
	v_fma_f32 v29, v40, v41, -v37
	v_pk_add_f32 v[18:19], v[18:19], v[22:23] neg_lo:[0,1] neg_hi:[0,1]
	s_delay_alu instid0(VALU_DEP_1) | instskip(NEXT) | instid1(VALU_DEP_1)
	v_dual_add_f32 v20, v12, v25 :: v_dual_add_f32 v12, v18, v19
	v_dual_fmac_f32 v29, v8, v41 :: v_dual_add_f32 v22, v10, v20
	s_delay_alu instid0(VALU_DEP_2) | instskip(NEXT) | instid1(VALU_DEP_2)
	v_add_f32_e32 v25, v21, v12
	v_dual_add_f32 v8, v37, v29 :: v_dual_add_f32 v23, 1.0, v22
	s_delay_alu instid0(VALU_DEP_2) | instskip(NEXT) | instid1(VALU_DEP_2)
	v_sub_f32_e32 v21, v25, v21
	v_sub_f32_e32 v18, v8, v37
	s_delay_alu instid0(VALU_DEP_3) | instskip(SKIP_2) | instid1(VALU_DEP_4)
	v_pk_add_f32 v[30:31], v[22:23], v[10:11] neg_lo:[0,1] neg_hi:[0,1]
	v_add_f32_e32 v10, v34, v8
	v_cvt_i32_f32_e32 v37, v33
	v_sub_f32_e32 v35, v29, v18
	v_pk_add_f32 v[18:19], v[26:27], v[16:17]
	v_ldexp_f32 v18, v25, v32
	v_dual_mov_b32 v25, v26 :: v_dual_sub_f32 v12, v12, v21
	s_delay_alu instid0(VALU_DEP_4) | instskip(NEXT) | instid1(VALU_DEP_4)
	v_add_f32_e32 v31, v39, v35
	v_dual_mov_b32 v29, v19 :: v_dual_sub_f32 v19, v10, v34
	s_delay_alu instid0(VALU_DEP_4) | instskip(SKIP_1) | instid1(VALU_DEP_2)
	v_rcp_f32_e32 v48, v18
	v_cvt_i32_f32_e32 v39, v36
	v_pk_add_f32 v[24:25], v[24:25], v[28:29] neg_lo:[0,1] neg_hi:[0,1]
	s_delay_alu instid0(VALU_DEP_3)
	v_sub_f32_e32 v8, v8, v19
	v_ldexp_f32 v28, v12, v32
	v_pk_add_f32 v[32:33], v[22:23], v[16:17]
	s_delay_alu instid0(TRANS32_DEP_1) | instid1(VALU_DEP_4)
	v_dual_mul_f32 v26, v18, v48 :: v_dual_add_f32 v25, v24, v25
	s_delay_alu instid0(VALU_DEP_2) | instskip(NEXT) | instid1(VALU_DEP_2)
	v_dual_add_f32 v24, v31, v8 :: v_dual_mov_b32 v31, v33
	v_dual_fma_f32 v32, v48, v18, -v26 :: v_dual_add_f32 v8, v27, v25
	s_delay_alu instid0(VALU_DEP_2) | instskip(NEXT) | instid1(VALU_DEP_2)
	v_add_f32_e32 v34, v10, v24
	v_dual_mov_b32 v21, v22 :: v_dual_fmac_f32 v32, v48, v28
	s_delay_alu instid0(VALU_DEP_3) | instskip(NEXT) | instid1(VALU_DEP_3)
	v_ldexp_f32 v19, v8, v37
	v_dual_add_f32 v35, 1.0, v34 :: v_dual_sub_f32 v8, v8, v27
	s_delay_alu instid0(VALU_DEP_3) | instskip(NEXT) | instid1(VALU_DEP_4)
	v_pk_add_f32 v[20:21], v[20:21], v[30:31] neg_lo:[0,1] neg_hi:[0,1]
	v_add_f32_e32 v12, v26, v32
	s_delay_alu instid0(VALU_DEP_4) | instskip(NEXT) | instid1(VALU_DEP_3)
	v_rcp_f32_e32 v49, v19
	v_pk_add_f32 v[30:31], v[34:35], v[16:17]
	v_dual_sub_f32 v8, v25, v8 :: v_dual_mov_b32 v25, v34
	v_add_f32_e32 v40, v20, v21
	v_pk_add_f32 v[20:21], v[34:35], v[10:11] neg_lo:[0,1] neg_hi:[0,1]
	s_delay_alu instid0(VALU_DEP_4) | instskip(NEXT) | instid1(TRANS32_DEP_1)
	v_dual_mov_b32 v21, v31 :: v_dual_sub_f32 v27, 1.0, v12
	v_dual_mul_f32 v22, v19, v49 :: v_dual_mov_b32 v33, v12
	s_delay_alu instid0(VALU_DEP_4) | instskip(NEXT) | instid1(VALU_DEP_3)
	v_add_f32_e32 v10, v23, v40
	v_pk_add_f32 v[20:21], v[24:25], v[20:21] neg_lo:[0,1] neg_hi:[0,1]
	v_ldexp_f32 v29, v8, v37
	s_delay_alu instid0(VALU_DEP_4) | instskip(SKIP_3) | instid1(VALU_DEP_4)
	v_fma_f32 v24, v49, v19, -v22
	v_pk_add_f32 v[36:37], v[12:13], v[26:27] neg_lo:[0,1] neg_hi:[0,1]
	v_ldexp_f32 v30, v10, v39
	v_dual_add_f32 v8, v20, v21 :: v_dual_sub_f32 v10, v10, v23
	v_fmac_f32_e32 v24, v49, v29
	v_cvt_i32_f32_e32 v34, v38
	s_delay_alu instid0(VALU_DEP_4) | instskip(NEXT) | instid1(VALU_DEP_3)
	v_rcp_f32_e32 v50, v30
	v_add_f32_e32 v25, v35, v8
	v_pk_add_f32 v[20:21], v[36:37], v[32:33] neg_lo:[0,1] neg_hi:[0,1]
	v_dual_add_f32 v12, v22, v24 :: v_dual_sub_f32 v10, v40, v10
	s_delay_alu instid0(VALU_DEP_3)
	v_ldexp_f32 v31, v25, v34
	s_delay_alu instid0(TRANS32_DEP_1) | instid1(VALU_DEP_3)
	v_dual_mul_f32 v26, v30, v50 :: v_dual_add_f32 v41, v20, v21
	s_delay_alu instid0(VALU_DEP_3) | instskip(NEXT) | instid1(VALU_DEP_4)
	v_ldexp_f32 v20, v10, v39
	v_sub_f32_e32 v23, 1.0, v12
	s_delay_alu instid0(VALU_DEP_4) | instskip(NEXT) | instid1(VALU_DEP_3)
	v_rcp_f32_e32 v10, v31
	v_dual_fma_f32 v32, v50, v30, -v26 :: v_dual_sub_f32 v21, v25, v35
	v_dual_add_f32 v35, v27, v41 :: v_dual_mov_b32 v25, v12
	s_delay_alu instid0(VALU_DEP_3) | instskip(NEXT) | instid1(VALU_DEP_3)
	v_pk_add_f32 v[36:37], v[12:13], v[22:23] neg_lo:[0,1] neg_hi:[0,1]
	v_dual_fmac_f32 v32, v50, v20 :: v_dual_sub_f32 v8, v8, v21
	s_delay_alu instid0(TRANS32_DEP_1) | instid1(VALU_DEP_3)
	v_dual_mul_f32 v38, v31, v10 :: v_dual_mul_f32 v42, v48, v35
	s_delay_alu instid0(VALU_DEP_3) | instskip(NEXT) | instid1(VALU_DEP_3)
	v_pk_add_f32 v[24:25], v[36:37], v[24:25] neg_lo:[0,1] neg_hi:[0,1]
	v_add_f32_e32 v12, v26, v32
	s_delay_alu instid0(VALU_DEP_4) | instskip(NEXT) | instid1(VALU_DEP_4)
	v_ldexp_f32 v21, v8, v34
	v_fma_f32 v36, v10, v31, -v38
	v_dual_mul_f32 v40, v18, v42 :: v_dual_sub_f32 v22, v27, v35
	s_delay_alu instid0(VALU_DEP_4) | instskip(NEXT) | instid1(VALU_DEP_3)
	v_dual_add_f32 v8, v24, v25 :: v_dual_sub_f32 v27, 1.0, v12
	v_fmac_f32_e32 v36, v10, v21
	s_delay_alu instid0(VALU_DEP_3) | instskip(NEXT) | instid1(VALU_DEP_3)
	v_dual_fma_f32 v24, v42, v18, -v40 :: v_dual_mov_b32 v33, v12
	v_add_f32_e32 v43, v23, v8
	s_delay_alu instid0(VALU_DEP_4) | instskip(NEXT) | instid1(VALU_DEP_4)
	v_pk_add_f32 v[44:45], v[12:13], v[26:27] neg_lo:[0,1] neg_hi:[0,1]
	v_add_f32_e32 v12, v38, v36
	s_delay_alu instid0(VALU_DEP_4) | instskip(NEXT) | instid1(VALU_DEP_4)
	v_dual_fmac_f32 v24, v42, v28 :: v_dual_add_f32 v26, v41, v22
	v_mul_f32_e32 v51, v49, v43
	s_delay_alu instid0(VALU_DEP_4) | instskip(NEXT) | instid1(VALU_DEP_4)
	v_pk_add_f32 v[32:33], v[44:45], v[32:33] neg_lo:[0,1] neg_hi:[0,1]
	v_sub_f32_e32 v39, 1.0, v12
	s_delay_alu instid0(VALU_DEP_3) | instskip(SKIP_1) | instid1(VALU_DEP_3)
	v_dual_add_f32 v34, v40, v24 :: v_dual_mul_f32 v22, v19, v51
	v_mov_b32_e32 v37, v12
	v_pk_add_f32 v[46:47], v[12:13], v[38:39] neg_lo:[0,1] neg_hi:[0,1]
	s_delay_alu instid0(VALU_DEP_3) | instskip(SKIP_2) | instid1(VALU_DEP_4)
	v_sub_f32_e32 v41, v35, v34
	v_dual_add_f32 v52, v48, v42 :: v_dual_mov_b32 v25, v34
	v_dual_fma_f32 v44, v51, v19, -v22 :: v_dual_add_f32 v12, v32, v33
	v_pk_add_f32 v[36:37], v[46:47], v[36:37] neg_lo:[0,1] neg_hi:[0,1]
	s_delay_alu instid0(VALU_DEP_4) | instskip(NEXT) | instid1(VALU_DEP_3)
	v_pk_add_f32 v[34:35], v[34:35], v[40:41] neg_lo:[0,1] neg_hi:[0,1]
	v_dual_sub_f32 v32, v52, v48 :: v_dual_fmac_f32 v44, v51, v29
	s_delay_alu instid0(VALU_DEP_3) | instskip(NEXT) | instid1(VALU_DEP_3)
	v_dual_add_f32 v33, v27, v12 :: v_dual_add_f32 v46, v36, v37
	v_pk_add_f32 v[24:25], v[34:35], v[24:25] neg_lo:[0,1] neg_hi:[0,1]
	s_delay_alu instid0(VALU_DEP_3) | instskip(NEXT) | instid1(VALU_DEP_4)
	v_sub_f32_e32 v47, v42, v32
	v_dual_add_f32 v42, v22, v44 :: v_dual_sub_f32 v32, v23, v43
	s_delay_alu instid0(VALU_DEP_3) | instskip(NEXT) | instid1(VALU_DEP_2)
	v_dual_add_f32 v35, v39, v46 :: v_dual_add_f32 v25, v26, v25
	v_dual_sub_f32 v23, v43, v42 :: v_dual_add_f32 v8, v8, v32
	s_delay_alu instid0(VALU_DEP_2) | instskip(SKIP_2) | instid1(VALU_DEP_4)
	v_dual_mul_f32 v54, v10, v35 :: v_dual_add_f32 v25, v24, v25
	v_mul_f32_e32 v53, v50, v33
	v_mov_b32_e32 v45, v42
	v_pk_add_f32 v[36:37], v[42:43], v[22:23] neg_lo:[0,1] neg_hi:[0,1]
	s_delay_alu instid0(VALU_DEP_4) | instskip(NEXT) | instid1(VALU_DEP_4)
	v_dual_mul_f32 v26, v31, v54 :: v_dual_add_f32 v42, v49, v51
	v_mul_f32_e32 v24, v30, v53
	v_add_f32_e32 v22, v41, v25
	s_delay_alu instid0(VALU_DEP_4) | instskip(NEXT) | instid1(VALU_DEP_4)
	v_pk_add_f32 v[36:37], v[36:37], v[44:45] neg_lo:[0,1] neg_hi:[0,1]
	v_fma_f32 v38, v54, v31, -v26
	s_delay_alu instid0(VALU_DEP_4) | instskip(NEXT) | instid1(VALU_DEP_2)
	v_dual_sub_f32 v43, v42, v49 :: v_dual_fma_f32 v40, v53, v30, -v24
	v_dual_mul_f32 v22, v48, v22 :: v_dual_fmac_f32 v38, v54, v21
	s_delay_alu instid0(VALU_DEP_2) | instskip(NEXT) | instid1(VALU_DEP_1)
	v_fmac_f32_e32 v40, v53, v20
	v_dual_add_f32 v32, v24, v40 :: v_dual_add_f32 v34, v26, v38
	s_delay_alu instid0(VALU_DEP_1) | instskip(NEXT) | instid1(VALU_DEP_2)
	v_dual_sub_f32 v44, v27, v33 :: v_dual_mov_b32 v41, v32
	v_dual_sub_f32 v25, v33, v32 :: v_dual_sub_f32 v27, v35, v34
	s_delay_alu instid0(VALU_DEP_2) | instskip(NEXT) | instid1(VALU_DEP_2)
	v_add_f32_e32 v12, v12, v44
	v_pk_add_f32 v[32:33], v[32:33], v[24:25] neg_lo:[0,1] neg_hi:[0,1]
	v_dual_sub_f32 v24, v39, v35 :: v_dual_mov_b32 v39, v34
	s_delay_alu instid0(VALU_DEP_4) | instskip(SKIP_1) | instid1(VALU_DEP_4)
	v_pk_add_f32 v[34:35], v[34:35], v[26:27] neg_lo:[0,1] neg_hi:[0,1]
	v_add_f32_e32 v8, v8, v37
	v_pk_add_f32 v[32:33], v[32:33], v[40:41] neg_lo:[0,1] neg_hi:[0,1]
	s_delay_alu instid0(VALU_DEP_4) | instskip(NEXT) | instid1(VALU_DEP_4)
	v_dual_add_f32 v24, v46, v24 :: v_dual_sub_f32 v26, v51, v43
	v_pk_add_f32 v[34:35], v[34:35], v[38:39] neg_lo:[0,1] neg_hi:[0,1]
	s_delay_alu instid0(VALU_DEP_4) | instskip(NEXT) | instid1(VALU_DEP_4)
	v_dual_add_f32 v8, v36, v8 :: v_dual_add_f32 v36, v47, v22
	v_add_f32_e32 v12, v12, v33
	s_delay_alu instid0(VALU_DEP_3) | instskip(NEXT) | instid1(VALU_DEP_3)
	v_dual_add_f32 v33, v50, v53 :: v_dual_add_f32 v22, v24, v35
	v_dual_add_f32 v8, v23, v8 :: v_dual_add_f32 v37, v10, v54
	s_delay_alu instid0(VALU_DEP_2) | instskip(NEXT) | instid1(VALU_DEP_1)
	v_dual_add_f32 v12, v32, v12 :: v_dual_add_f32 v22, v34, v22
	v_dual_mul_f32 v8, v49, v8 :: v_dual_add_f32 v22, v27, v22
	s_delay_alu instid0(VALU_DEP_1) | instskip(NEXT) | instid1(VALU_DEP_3)
	v_dual_sub_f32 v23, v33, v50 :: v_dual_add_f32 v8, v26, v8
	v_add_f32_e32 v12, v25, v12
	v_sub_f32_e32 v24, v37, v10
	s_delay_alu instid0(VALU_DEP_4) | instskip(NEXT) | instid1(VALU_DEP_3)
	v_mul_f32_e32 v10, v10, v22
	v_dual_mul_f32 v12, v50, v12 :: v_dual_sub_f32 v23, v53, v23
	s_delay_alu instid0(VALU_DEP_3) | instskip(NEXT) | instid1(VALU_DEP_1)
	v_sub_f32_e32 v24, v54, v24
	v_dual_add_f32 v32, v42, v8 :: v_dual_add_f32 v10, v24, v10
	s_delay_alu instid0(VALU_DEP_1) | instskip(NEXT) | instid1(VALU_DEP_1)
	v_dual_add_f32 v25, v52, v36 :: v_dual_add_f32 v39, v37, v10
	v_ldexp_f32 v22, v25, -2
	v_sub_f32_e32 v26, v25, v52
	v_add_f32_e32 v12, v23, v12
	v_ldexp_f32 v23, v32, -2
	v_ldexp_f32 v27, v39, -2
	s_delay_alu instid0(VALU_DEP_4) | instskip(NEXT) | instid1(VALU_DEP_4)
	v_dual_sub_f32 v37, v39, v37 :: v_dual_sub_f32 v34, v36, v26
	v_add_f32_e32 v38, v33, v12
	s_delay_alu instid0(VALU_DEP_4) | instskip(NEXT) | instid1(VALU_DEP_3)
	v_pk_add_f32 v[24:25], v[18:19], v[22:23] neg_lo:[0,1] neg_hi:[0,1]
	v_dual_sub_f32 v36, v32, v42 :: v_dual_sub_f32 v10, v10, v37
	s_delay_alu instid0(VALU_DEP_4) | instskip(NEXT) | instid1(VALU_DEP_4)
	v_ldexp_f32 v32, v34, -2
	v_ldexp_f32 v26, v38, -2
	s_delay_alu instid0(VALU_DEP_4) | instskip(NEXT) | instid1(VALU_DEP_4)
	v_pk_add_f32 v[18:19], v[18:19], v[24:25] neg_lo:[0,1] neg_hi:[0,1]
	v_dual_sub_f32 v8, v8, v36 :: v_dual_sub_f32 v36, v38, v33
	s_delay_alu instid0(VALU_DEP_3) | instskip(NEXT) | instid1(VALU_DEP_3)
	v_pk_add_f32 v[34:35], v[30:31], v[26:27] neg_lo:[0,1] neg_hi:[0,1]
	v_pk_add_f32 v[18:19], v[18:19], v[22:23] neg_lo:[0,1] neg_hi:[0,1]
	s_delay_alu instid0(VALU_DEP_3) | instskip(NEXT) | instid1(VALU_DEP_4)
	v_ldexp_f32 v33, v8, -2
	v_sub_f32_e32 v8, v12, v36
	s_delay_alu instid0(VALU_DEP_4) | instskip(NEXT) | instid1(VALU_DEP_4)
	v_pk_add_f32 v[22:23], v[30:31], v[34:35] neg_lo:[0,1] neg_hi:[0,1]
	v_pk_add_f32 v[18:19], v[28:29], v[18:19]
	s_delay_alu instid0(VALU_DEP_2) | instskip(NEXT) | instid1(VALU_DEP_2)
	v_pk_add_f32 v[22:23], v[22:23], v[26:27] neg_lo:[0,1] neg_hi:[0,1]
	v_pk_add_f32 v[18:19], v[18:19], v[32:33] neg_lo:[0,1] neg_hi:[0,1]
	v_ldexp_f32 v26, v8, -2
	v_ldexp_f32 v27, v10, -2
	s_delay_alu instid0(VALU_DEP_4) | instskip(NEXT) | instid1(VALU_DEP_4)
	v_pk_add_f32 v[20:21], v[20:21], v[22:23]
	v_pk_add_f32 v[18:19], v[24:25], v[18:19]
	s_delay_alu instid0(VALU_DEP_2) | instskip(NEXT) | instid1(VALU_DEP_2)
	v_pk_add_f32 v[20:21], v[20:21], v[26:27] neg_lo:[0,1] neg_hi:[0,1]
	v_cndmask_b32_e32 v8, 0x7f800000, v18, vcc_lo
	v_cmp_nlt_f32_e64 vcc_lo, 0x42b2d4fc, |v3|
	s_delay_alu instid0(VALU_DEP_3) | instskip(NEXT) | instid1(VALU_DEP_3)
	v_pk_add_f32 v[20:21], v[34:35], v[20:21]
	v_cndmask_b32_e64 v8, v8, |v2|, s6
	v_cndmask_b32_e32 v10, 0x7f800000, v19, vcc_lo
	v_cmp_nlt_f32_e64 vcc_lo, 0x42b2d4fc, |v5|
	v_cmp_gt_f32_e64 s6, 0x39800000, |v3|
	s_delay_alu instid0(VALU_DEP_4) | instskip(SKIP_2) | instid1(VALU_DEP_4)
	v_bfi_b32 v2, 0x7fffffff, v8, v2
	v_cndmask_b32_e32 v12, 0x7f800000, v21, vcc_lo
	v_cmp_nlt_f32_e64 vcc_lo, 0x42b2d4fc, |v4|
	v_cndmask_b32_e64 v10, v10, |v3|, s6
	v_cmp_gt_f32_e64 s6, 0x39800000, |v5|
	v_cndmask_b32_e32 v18, 0x7f800000, v20, vcc_lo
	s_delay_alu instid0(VALU_DEP_3) | instskip(NEXT) | instid1(VALU_DEP_3)
	v_bfi_b32 v3, 0x7fffffff, v10, v3
	v_cndmask_b32_e64 v12, v12, |v5|, s6
	v_cmp_gt_f32_e64 s6, 0x39800000, |v4|
	s_delay_alu instid0(VALU_DEP_2) | instskip(NEXT) | instid1(VALU_DEP_2)
	v_bfi_b32 v5, 0x7fffffff, v12, v5
	v_cndmask_b32_e64 v20, v18, |v4|, s6
	v_lshlrev_b64_e32 v[18:19], 2, v[0:1]
	s_delay_alu instid0(VALU_DEP_2) | instskip(NEXT) | instid1(VALU_DEP_2)
	v_bfi_b32 v4, 0x7fffffff, v20, v4
	v_cmp_ge_i64_e32 vcc_lo, v[18:19], v[6:7]
	global_store_b128 v[14:15], v[2:5], off offset:-8
	s_wait_xcnt 0x0
	v_add_nc_u64_e32 v[14:15], s[2:3], v[14:15]
	s_or_b32 s5, vcc_lo, s5
	s_delay_alu instid0(SALU_CYCLE_1)
	s_and_not1_b32 exec_lo, exec_lo, s5
	s_cbranch_execnz .LBB124_24
.LBB124_25:
	s_endpgm
	.section	.rodata,"a",@progbits
	.p2align	6, 0x0
	.amdhsa_kernel _ZN2at6native12_GLOBAL__N_125multi_tensor_apply_kernelINS1_18TensorListMetadataILi1EEENS1_14UnaryOpFunctorIfLi1ELi1ELi0EEEJNS0_4SinhIfEEEEEvT_T0_DpT1_
		.amdhsa_group_segment_fixed_size 0
		.amdhsa_private_segment_fixed_size 0
		.amdhsa_kernarg_size 3632
		.amdhsa_user_sgpr_count 2
		.amdhsa_user_sgpr_dispatch_ptr 0
		.amdhsa_user_sgpr_queue_ptr 0
		.amdhsa_user_sgpr_kernarg_segment_ptr 1
		.amdhsa_user_sgpr_dispatch_id 0
		.amdhsa_user_sgpr_kernarg_preload_length 0
		.amdhsa_user_sgpr_kernarg_preload_offset 0
		.amdhsa_user_sgpr_private_segment_size 0
		.amdhsa_wavefront_size32 1
		.amdhsa_uses_dynamic_stack 0
		.amdhsa_enable_private_segment 0
		.amdhsa_system_sgpr_workgroup_id_x 1
		.amdhsa_system_sgpr_workgroup_id_y 0
		.amdhsa_system_sgpr_workgroup_id_z 0
		.amdhsa_system_sgpr_workgroup_info 0
		.amdhsa_system_vgpr_workitem_id 0
		.amdhsa_next_free_vgpr 55
		.amdhsa_next_free_sgpr 24
		.amdhsa_named_barrier_count 0
		.amdhsa_reserve_vcc 1
		.amdhsa_float_round_mode_32 0
		.amdhsa_float_round_mode_16_64 0
		.amdhsa_float_denorm_mode_32 3
		.amdhsa_float_denorm_mode_16_64 3
		.amdhsa_fp16_overflow 0
		.amdhsa_memory_ordered 1
		.amdhsa_forward_progress 1
		.amdhsa_inst_pref_size 57
		.amdhsa_round_robin_scheduling 0
		.amdhsa_exception_fp_ieee_invalid_op 0
		.amdhsa_exception_fp_denorm_src 0
		.amdhsa_exception_fp_ieee_div_zero 0
		.amdhsa_exception_fp_ieee_overflow 0
		.amdhsa_exception_fp_ieee_underflow 0
		.amdhsa_exception_fp_ieee_inexact 0
		.amdhsa_exception_int_div_zero 0
	.end_amdhsa_kernel
	.section	.text._ZN2at6native12_GLOBAL__N_125multi_tensor_apply_kernelINS1_18TensorListMetadataILi1EEENS1_14UnaryOpFunctorIfLi1ELi1ELi0EEEJNS0_4SinhIfEEEEEvT_T0_DpT1_,"axG",@progbits,_ZN2at6native12_GLOBAL__N_125multi_tensor_apply_kernelINS1_18TensorListMetadataILi1EEENS1_14UnaryOpFunctorIfLi1ELi1ELi0EEEJNS0_4SinhIfEEEEEvT_T0_DpT1_,comdat
.Lfunc_end124:
	.size	_ZN2at6native12_GLOBAL__N_125multi_tensor_apply_kernelINS1_18TensorListMetadataILi1EEENS1_14UnaryOpFunctorIfLi1ELi1ELi0EEEJNS0_4SinhIfEEEEEvT_T0_DpT1_, .Lfunc_end124-_ZN2at6native12_GLOBAL__N_125multi_tensor_apply_kernelINS1_18TensorListMetadataILi1EEENS1_14UnaryOpFunctorIfLi1ELi1ELi0EEEJNS0_4SinhIfEEEEEvT_T0_DpT1_
                                        ; -- End function
	.set _ZN2at6native12_GLOBAL__N_125multi_tensor_apply_kernelINS1_18TensorListMetadataILi1EEENS1_14UnaryOpFunctorIfLi1ELi1ELi0EEEJNS0_4SinhIfEEEEEvT_T0_DpT1_.num_vgpr, 55
	.set _ZN2at6native12_GLOBAL__N_125multi_tensor_apply_kernelINS1_18TensorListMetadataILi1EEENS1_14UnaryOpFunctorIfLi1ELi1ELi0EEEJNS0_4SinhIfEEEEEvT_T0_DpT1_.num_agpr, 0
	.set _ZN2at6native12_GLOBAL__N_125multi_tensor_apply_kernelINS1_18TensorListMetadataILi1EEENS1_14UnaryOpFunctorIfLi1ELi1ELi0EEEJNS0_4SinhIfEEEEEvT_T0_DpT1_.numbered_sgpr, 24
	.set _ZN2at6native12_GLOBAL__N_125multi_tensor_apply_kernelINS1_18TensorListMetadataILi1EEENS1_14UnaryOpFunctorIfLi1ELi1ELi0EEEJNS0_4SinhIfEEEEEvT_T0_DpT1_.num_named_barrier, 0
	.set _ZN2at6native12_GLOBAL__N_125multi_tensor_apply_kernelINS1_18TensorListMetadataILi1EEENS1_14UnaryOpFunctorIfLi1ELi1ELi0EEEJNS0_4SinhIfEEEEEvT_T0_DpT1_.private_seg_size, 0
	.set _ZN2at6native12_GLOBAL__N_125multi_tensor_apply_kernelINS1_18TensorListMetadataILi1EEENS1_14UnaryOpFunctorIfLi1ELi1ELi0EEEJNS0_4SinhIfEEEEEvT_T0_DpT1_.uses_vcc, 1
	.set _ZN2at6native12_GLOBAL__N_125multi_tensor_apply_kernelINS1_18TensorListMetadataILi1EEENS1_14UnaryOpFunctorIfLi1ELi1ELi0EEEJNS0_4SinhIfEEEEEvT_T0_DpT1_.uses_flat_scratch, 0
	.set _ZN2at6native12_GLOBAL__N_125multi_tensor_apply_kernelINS1_18TensorListMetadataILi1EEENS1_14UnaryOpFunctorIfLi1ELi1ELi0EEEJNS0_4SinhIfEEEEEvT_T0_DpT1_.has_dyn_sized_stack, 0
	.set _ZN2at6native12_GLOBAL__N_125multi_tensor_apply_kernelINS1_18TensorListMetadataILi1EEENS1_14UnaryOpFunctorIfLi1ELi1ELi0EEEJNS0_4SinhIfEEEEEvT_T0_DpT1_.has_recursion, 0
	.set _ZN2at6native12_GLOBAL__N_125multi_tensor_apply_kernelINS1_18TensorListMetadataILi1EEENS1_14UnaryOpFunctorIfLi1ELi1ELi0EEEJNS0_4SinhIfEEEEEvT_T0_DpT1_.has_indirect_call, 0
	.section	.AMDGPU.csdata,"",@progbits
; Kernel info:
; codeLenInByte = 7256
; TotalNumSgprs: 26
; NumVgprs: 55
; ScratchSize: 0
; MemoryBound: 0
; FloatMode: 240
; IeeeMode: 1
; LDSByteSize: 0 bytes/workgroup (compile time only)
; SGPRBlocks: 0
; VGPRBlocks: 3
; NumSGPRsForWavesPerEU: 26
; NumVGPRsForWavesPerEU: 55
; NamedBarCnt: 0
; Occupancy: 16
; WaveLimiterHint : 0
; COMPUTE_PGM_RSRC2:SCRATCH_EN: 0
; COMPUTE_PGM_RSRC2:USER_SGPR: 2
; COMPUTE_PGM_RSRC2:TRAP_HANDLER: 0
; COMPUTE_PGM_RSRC2:TGID_X_EN: 1
; COMPUTE_PGM_RSRC2:TGID_Y_EN: 0
; COMPUTE_PGM_RSRC2:TGID_Z_EN: 0
; COMPUTE_PGM_RSRC2:TIDIG_COMP_CNT: 0
	.section	.text._ZN2at6native12_GLOBAL__N_125multi_tensor_apply_kernelINS1_18TensorListMetadataILi1EEENS1_14UnaryOpFunctorIN3c107complexIdEELi1ELi1ELi0EEEJNS0_4SinhIS8_EEEEEvT_T0_DpT1_,"axG",@progbits,_ZN2at6native12_GLOBAL__N_125multi_tensor_apply_kernelINS1_18TensorListMetadataILi1EEENS1_14UnaryOpFunctorIN3c107complexIdEELi1ELi1ELi0EEEJNS0_4SinhIS8_EEEEEvT_T0_DpT1_,comdat
	.globl	_ZN2at6native12_GLOBAL__N_125multi_tensor_apply_kernelINS1_18TensorListMetadataILi1EEENS1_14UnaryOpFunctorIN3c107complexIdEELi1ELi1ELi0EEEJNS0_4SinhIS8_EEEEEvT_T0_DpT1_ ; -- Begin function _ZN2at6native12_GLOBAL__N_125multi_tensor_apply_kernelINS1_18TensorListMetadataILi1EEENS1_14UnaryOpFunctorIN3c107complexIdEELi1ELi1ELi0EEEJNS0_4SinhIS8_EEEEEvT_T0_DpT1_
	.p2align	8
	.type	_ZN2at6native12_GLOBAL__N_125multi_tensor_apply_kernelINS1_18TensorListMetadataILi1EEENS1_14UnaryOpFunctorIN3c107complexIdEELi1ELi1ELi0EEEJNS0_4SinhIS8_EEEEEvT_T0_DpT1_,@function
_ZN2at6native12_GLOBAL__N_125multi_tensor_apply_kernelINS1_18TensorListMetadataILi1EEENS1_14UnaryOpFunctorIN3c107complexIdEELi1ELi1ELi0EEEJNS0_4SinhIS8_EEEEEvT_T0_DpT1_: ; @_ZN2at6native12_GLOBAL__N_125multi_tensor_apply_kernelINS1_18TensorListMetadataILi1EEENS1_14UnaryOpFunctorIN3c107complexIdEELi1ELi1ELi0EEEJNS0_4SinhIS8_EEEEEvT_T0_DpT1_
; %bb.0:
	s_mov_b64 s[10:11], s[0:1]
	s_bfe_u32 s0, ttmp6, 0x4000c
	s_and_b32 s1, ttmp6, 15
	s_add_co_i32 s0, s0, 1
	s_getreg_b32 s2, hwreg(HW_REG_IB_STS2, 6, 4)
	s_mul_i32 s0, ttmp9, s0
	v_mov_b32_e32 v60, v0
	s_add_co_i32 s1, s1, s0
	s_cmp_eq_u32 s2, 0
	s_mov_b32 s32, 0
	s_cselect_b32 s0, ttmp9, s1
	s_mov_b32 s1, 0
	s_load_u8 s8, s[10:11], s0 offset:0x6e0
	s_add_nc_u64 s[2:3], s[10:11], s[0:1]
	s_mul_u64 s[4:5], s[0:1], 3
	s_delay_alu instid0(SALU_CYCLE_1)
	s_add_nc_u64 s[2:3], s[2:3], s[4:5]
	s_load_b32 s4, s[2:3], 0x820
	s_wait_kmcnt 0x0
	s_clause 0x1
	s_load_b64 s[16:17], s[10:11], s8 offset:0x0 scale_offset
	s_load_b64 s[6:7], s[10:11], s8 offset:0x370 scale_offset
	s_ashr_i32 s5, s4, 31
	s_delay_alu instid0(SALU_CYCLE_1) | instskip(SKIP_3) | instid1(SALU_CYCLE_1)
	s_lshl_b64 s[18:19], s[4:5], 20
	s_wait_kmcnt 0x0
	s_and_b32 s0, s6, 3
	s_add_nc_u64 s[22:23], s[16:17], s[18:19]
	s_and_b64 s[2:3], s[22:23], 63
	s_delay_alu instid0(SALU_CYCLE_1)
	s_or_b64 s[0:1], s[2:3], s[0:1]
	s_lshl_b64 s[2:3], s[4:5], 16
	s_cmp_eq_u64 s[0:1], 0
	s_sub_nc_u64 s[20:21], s[6:7], s[2:3]
	s_cbranch_scc1 .LBB125_21
; %bb.1:
	v_cmp_lt_i64_e64 s0, s[20:21], 1
	s_and_b32 vcc_lo, exec_lo, s0
	s_cbranch_vccnz .LBB125_20
; %bb.2:
	s_load_b32 s0, s[10:11], 0xd3c
	v_min_i64 v[62:63], 0x10000, s[20:21]
	v_min_u64 v[72:73], 0x10000, s[20:21]
	v_dual_mov_b32 v61, 0 :: v_dual_lshlrev_b32 v74, 4, v60
	s_mov_b32 s1, 0
	s_mov_b64 s[34:35], 0
	s_mov_b32 s3, s1
	s_delay_alu instid0(VALU_DEP_1)
	v_dual_mov_b32 v75, v61 :: v_dual_mov_b32 v87, v61
	s_mov_b32 s5, s1
	s_mov_b32 s25, s1
	;; [unrolled: 1-line block ×3, first 2 shown]
	s_get_pc_i64 s[28:29]
	s_add_nc_u64 s[28:29], s[28:29], _ZN6thrust23THRUST_200600_302600_NS6detail7complex5csinhERKNS0_7complexIdEE@rel64+4
	s_wait_kmcnt 0x0
	s_and_b32 s0, s0, 0xffff
	s_delay_alu instid0(SALU_CYCLE_1)
	v_mad_nc_u64_u32 v[78:79], s0, 48, v[74:75]
	s_lshl_b32 s2, s0, 1
	s_mul_i32 s4, s0, 3
	s_lshl_b32 s24, s0, 2
	s_lshl_b32 s26, s0, 6
	v_add_nc_u64_e32 v[76:77], s[0:1], v[60:61]
	s_lshl_b32 s0, s0, 5
	v_add_nc_u64_e32 v[88:89], s[4:5], v[60:61]
	v_add_nc_u64_e32 v[84:85], s[0:1], v[74:75]
	;; [unrolled: 1-line block ×3, first 2 shown]
	s_delay_alu instid0(VALU_DEP_4) | instskip(NEXT) | instid1(VALU_DEP_3)
	v_dual_lshlrev_b32 v86, 4, v76 :: v_dual_bitop2_b32 v78, 8, v78 bitop3:0x54
	v_or_b32_e32 v84, 8, v84
	s_branch .LBB125_4
.LBB125_3:                              ;   in Loop: Header=BB125_4 Depth=1
	s_wait_xcnt 0x0
	s_or_b32 exec_lo, exec_lo, s13
	s_add_nc_u64 s[34:35], s[34:35], s[24:25]
	s_add_nc_u64 s[22:23], s[22:23], s[26:27]
	v_cmp_lt_i64_e32 vcc_lo, s[34:35], v[62:63]
	s_cbranch_vccz .LBB125_20
.LBB125_4:                              ; =>This Inner Loop Header: Depth=1
	s_wait_loadcnt 0x0
	v_add_nc_u64_e32 v[0:1], s[34:35], v[60:61]
	v_mov_b64_e32 v[46:47], 0
	v_add_nc_u64_e32 v[98:99], s[22:23], v[74:75]
	v_mov_b64_e32 v[2:3], 0
	s_delay_alu instid0(VALU_DEP_4)
	v_cmp_lt_u64_e32 vcc_lo, v[0:1], v[72:73]
	v_mov_b64_e32 v[0:1], 0
	s_and_saveexec_b32 s0, vcc_lo
	s_cbranch_execz .LBB125_6
; %bb.5:                                ;   in Loop: Header=BB125_4 Depth=1
	global_load_b128 v[0:3], v[98:99], off
.LBB125_6:                              ;   in Loop: Header=BB125_4 Depth=1
	s_wait_xcnt 0x0
	s_or_b32 exec_lo, exec_lo, s0
	v_add_nc_u64_e32 v[4:5], s[34:35], v[76:77]
	v_add_nc_u64_e32 v[96:97], s[22:23], v[86:87]
	v_mov_b64_e32 v[44:45], 0
	s_delay_alu instid0(VALU_DEP_3)
	v_cmp_lt_u64_e64 s14, v[4:5], v[72:73]
	s_and_saveexec_b32 s0, s14
	s_cbranch_execz .LBB125_8
; %bb.7:                                ;   in Loop: Header=BB125_4 Depth=1
	global_load_b128 v[44:47], v[96:97], off
.LBB125_8:                              ;   in Loop: Header=BB125_4 Depth=1
	s_wait_xcnt 0x0
	s_or_b32 exec_lo, exec_lo, s0
	v_add_nc_u64_e32 v[4:5], s[34:35], v[90:91]
	v_mov_b64_e32 v[42:43], 0
	v_add_nc_u64_e32 v[94:95], s[22:23], v[84:85]
	v_mov_b64_e32 v[58:59], 0
	v_mov_b64_e32 v[56:57], 0
	v_cmp_lt_u64_e64 s13, v[4:5], v[72:73]
	s_and_saveexec_b32 s0, s13
	s_cbranch_execz .LBB125_10
; %bb.9:                                ;   in Loop: Header=BB125_4 Depth=1
	global_load_b128 v[56:59], v[94:95], off offset:-8
.LBB125_10:                             ;   in Loop: Header=BB125_4 Depth=1
	s_wait_xcnt 0x0
	s_or_b32 exec_lo, exec_lo, s0
	v_add_nc_u64_e32 v[4:5], s[34:35], v[88:89]
	v_add_nc_u64_e32 v[92:93], s[22:23], v[78:79]
	v_mov_b64_e32 v[40:41], 0
	s_delay_alu instid0(VALU_DEP_3)
	v_cmp_lt_u64_e64 s12, v[4:5], v[72:73]
	s_and_saveexec_b32 s0, s12
	s_cbranch_execnz .LBB125_15
; %bb.11:                               ;   in Loop: Header=BB125_4 Depth=1
	s_or_b32 exec_lo, exec_lo, s0
	s_and_saveexec_b32 s15, vcc_lo
	s_cbranch_execnz .LBB125_16
.LBB125_12:                             ;   in Loop: Header=BB125_4 Depth=1
	s_or_b32 exec_lo, exec_lo, s15
	s_and_saveexec_b32 s15, s14
	s_cbranch_execnz .LBB125_17
.LBB125_13:                             ;   in Loop: Header=BB125_4 Depth=1
	s_or_b32 exec_lo, exec_lo, s15
	s_and_saveexec_b32 s14, s13
	s_cbranch_execnz .LBB125_18
.LBB125_14:                             ;   in Loop: Header=BB125_4 Depth=1
	s_or_b32 exec_lo, exec_lo, s14
	s_and_saveexec_b32 s13, s12
	s_cbranch_execz .LBB125_3
	s_branch .LBB125_19
.LBB125_15:                             ;   in Loop: Header=BB125_4 Depth=1
	global_load_b128 v[40:43], v[92:93], off offset:-8
	s_wait_xcnt 0x0
	s_or_b32 exec_lo, exec_lo, s0
	s_and_saveexec_b32 s15, vcc_lo
	s_cbranch_execz .LBB125_12
.LBB125_16:                             ;   in Loop: Header=BB125_4 Depth=1
	s_swap_pc_i64 s[30:31], s[28:29]
	global_store_b128 v[98:99], v[0:3], off
	s_wait_xcnt 0x0
	s_or_b32 exec_lo, exec_lo, s15
	s_and_saveexec_b32 s15, s14
	s_cbranch_execz .LBB125_13
.LBB125_17:                             ;   in Loop: Header=BB125_4 Depth=1
	s_wait_loadcnt 0x0
	v_dual_mov_b32 v0, v44 :: v_dual_mov_b32 v1, v45
	v_dual_mov_b32 v2, v46 :: v_dual_mov_b32 v3, v47
	s_swap_pc_i64 s[30:31], s[28:29]
	global_store_b128 v[96:97], v[0:3], off
	s_wait_xcnt 0x0
	s_or_b32 exec_lo, exec_lo, s15
	s_and_saveexec_b32 s14, s13
	s_cbranch_execz .LBB125_14
.LBB125_18:                             ;   in Loop: Header=BB125_4 Depth=1
	s_wait_loadcnt 0x0
	v_dual_mov_b32 v0, v56 :: v_dual_mov_b32 v1, v57
	v_dual_mov_b32 v2, v58 :: v_dual_mov_b32 v3, v59
	s_swap_pc_i64 s[30:31], s[28:29]
	global_store_b128 v[94:95], v[0:3], off offset:-8
	s_wait_xcnt 0x0
	s_or_b32 exec_lo, exec_lo, s14
	s_and_saveexec_b32 s13, s12
	s_cbranch_execz .LBB125_3
.LBB125_19:                             ;   in Loop: Header=BB125_4 Depth=1
	s_wait_loadcnt 0x0
	v_dual_mov_b32 v0, v40 :: v_dual_mov_b32 v1, v41
	v_dual_mov_b32 v2, v42 :: v_dual_mov_b32 v3, v43
	s_swap_pc_i64 s[30:31], s[28:29]
	global_store_b128 v[92:93], v[0:3], off offset:-8
	s_branch .LBB125_3
.LBB125_20:
	s_cbranch_execz .LBB125_22
	s_branch .LBB125_25
.LBB125_21:
.LBB125_22:
	v_min_i64 v[62:63], 0x10000, s[20:21]
	s_wait_loadcnt 0x0
	v_dual_mov_b32 v1, 0 :: v_dual_lshlrev_b32 v0, 2, v60
	s_mov_b32 s0, exec_lo
	s_delay_alu instid0(VALU_DEP_1)
	v_cmpx_lt_i64_e64 v[0:1], v[62:63]
	s_cbranch_execz .LBB125_25
; %bb.23:
	s_load_b32 s2, s[10:11], 0xd3c
	v_dual_mov_b32 v61, v1 :: v_dual_lshlrev_b32 v0, 6, v60
	s_add_nc_u64 s[0:1], s[16:17], s[18:19]
	s_wait_xcnt 0x0
	s_mov_b32 s11, 0
	s_get_pc_i64 s[12:13]
	s_add_nc_u64 s[12:13], s[12:13], _ZN6thrust23THRUST_200600_302600_NS6detail7complex5csinhERKNS0_7complexIdEE@rel64+4
	v_add_nc_u64_e32 v[76:77], s[0:1], v[0:1]
	s_mov_b32 s15, s11
	s_mov_b32 s16, s11
	s_wait_kmcnt 0x0
	s_and_b32 s10, s2, 0xffff
	s_delay_alu instid0(SALU_CYCLE_1)
	s_lshl_b32 s14, s10, 6
.LBB125_24:                             ; =>This Inner Loop Header: Depth=1
	s_clause 0x3
	global_load_b128 v[0:3], v[76:77], off
	global_load_b128 v[40:43], v[76:77], off offset:16
	global_load_b128 v[44:47], v[76:77], off offset:48
	global_load_b128 v[56:59], v[76:77], off offset:32
	s_swap_pc_i64 s[30:31], s[12:13]
	v_dual_mov_b32 v72, v0 :: v_dual_mov_b32 v73, v1
	v_dual_mov_b32 v74, v2 :: v_dual_mov_b32 v75, v3
	;; [unrolled: 1-line block ×4, first 2 shown]
	s_swap_pc_i64 s[30:31], s[12:13]
	s_delay_alu instid0(VALU_DEP_2) | instskip(NEXT) | instid1(VALU_DEP_2)
	v_dual_mov_b32 v40, v0 :: v_dual_mov_b32 v41, v1
	v_dual_mov_b32 v42, v2 :: v_dual_mov_b32 v43, v3
	;; [unrolled: 1-line block ×4, first 2 shown]
	s_swap_pc_i64 s[30:31], s[12:13]
	s_delay_alu instid0(VALU_DEP_2) | instskip(NEXT) | instid1(VALU_DEP_2)
	v_dual_mov_b32 v56, v0 :: v_dual_mov_b32 v57, v1
	v_dual_mov_b32 v58, v2 :: v_dual_mov_b32 v59, v3
	;; [unrolled: 1-line block ×4, first 2 shown]
	s_swap_pc_i64 s[30:31], s[12:13]
	v_add_nc_u64_e32 v[60:61], s[10:11], v[60:61]
	s_clause 0x3
	global_store_b128 v[76:77], v[72:75], off
	global_store_b128 v[76:77], v[40:43], off offset:16
	global_store_b128 v[76:77], v[56:59], off offset:32
	;; [unrolled: 1-line block ×3, first 2 shown]
	s_wait_xcnt 0x0
	v_add_nc_u64_e32 v[76:77], s[14:15], v[76:77]
	v_lshlrev_b64_e32 v[4:5], 2, v[60:61]
	s_delay_alu instid0(VALU_DEP_1) | instskip(SKIP_1) | instid1(SALU_CYCLE_1)
	v_cmp_ge_i64_e32 vcc_lo, v[4:5], v[62:63]
	s_or_b32 s16, vcc_lo, s16
	s_and_not1_b32 exec_lo, exec_lo, s16
	s_cbranch_execnz .LBB125_24
.LBB125_25:
	s_endpgm
	.section	.rodata,"a",@progbits
	.p2align	6, 0x0
	.amdhsa_kernel _ZN2at6native12_GLOBAL__N_125multi_tensor_apply_kernelINS1_18TensorListMetadataILi1EEENS1_14UnaryOpFunctorIN3c107complexIdEELi1ELi1ELi0EEEJNS0_4SinhIS8_EEEEEvT_T0_DpT1_
		.amdhsa_group_segment_fixed_size 0
		.amdhsa_private_segment_fixed_size 0
		.amdhsa_kernarg_size 3632
		.amdhsa_user_sgpr_count 2
		.amdhsa_user_sgpr_dispatch_ptr 0
		.amdhsa_user_sgpr_queue_ptr 0
		.amdhsa_user_sgpr_kernarg_segment_ptr 1
		.amdhsa_user_sgpr_dispatch_id 0
		.amdhsa_user_sgpr_kernarg_preload_length 0
		.amdhsa_user_sgpr_kernarg_preload_offset 0
		.amdhsa_user_sgpr_private_segment_size 0
		.amdhsa_wavefront_size32 1
		.amdhsa_uses_dynamic_stack 0
		.amdhsa_enable_private_segment 0
		.amdhsa_system_sgpr_workgroup_id_x 1
		.amdhsa_system_sgpr_workgroup_id_y 0
		.amdhsa_system_sgpr_workgroup_id_z 0
		.amdhsa_system_sgpr_workgroup_info 0
		.amdhsa_system_vgpr_workitem_id 0
		.amdhsa_next_free_vgpr 100
		.amdhsa_next_free_sgpr 36
		.amdhsa_named_barrier_count 0
		.amdhsa_reserve_vcc 1
		.amdhsa_float_round_mode_32 0
		.amdhsa_float_round_mode_16_64 0
		.amdhsa_float_denorm_mode_32 3
		.amdhsa_float_denorm_mode_16_64 3
		.amdhsa_fp16_overflow 0
		.amdhsa_memory_ordered 1
		.amdhsa_forward_progress 1
		.amdhsa_inst_pref_size 10
		.amdhsa_round_robin_scheduling 0
		.amdhsa_exception_fp_ieee_invalid_op 0
		.amdhsa_exception_fp_denorm_src 0
		.amdhsa_exception_fp_ieee_div_zero 0
		.amdhsa_exception_fp_ieee_overflow 0
		.amdhsa_exception_fp_ieee_underflow 0
		.amdhsa_exception_fp_ieee_inexact 0
		.amdhsa_exception_int_div_zero 0
	.end_amdhsa_kernel
	.section	.text._ZN2at6native12_GLOBAL__N_125multi_tensor_apply_kernelINS1_18TensorListMetadataILi1EEENS1_14UnaryOpFunctorIN3c107complexIdEELi1ELi1ELi0EEEJNS0_4SinhIS8_EEEEEvT_T0_DpT1_,"axG",@progbits,_ZN2at6native12_GLOBAL__N_125multi_tensor_apply_kernelINS1_18TensorListMetadataILi1EEENS1_14UnaryOpFunctorIN3c107complexIdEELi1ELi1ELi0EEEJNS0_4SinhIS8_EEEEEvT_T0_DpT1_,comdat
.Lfunc_end125:
	.size	_ZN2at6native12_GLOBAL__N_125multi_tensor_apply_kernelINS1_18TensorListMetadataILi1EEENS1_14UnaryOpFunctorIN3c107complexIdEELi1ELi1ELi0EEEJNS0_4SinhIS8_EEEEEvT_T0_DpT1_, .Lfunc_end125-_ZN2at6native12_GLOBAL__N_125multi_tensor_apply_kernelINS1_18TensorListMetadataILi1EEENS1_14UnaryOpFunctorIN3c107complexIdEELi1ELi1ELi0EEEJNS0_4SinhIS8_EEEEEvT_T0_DpT1_
                                        ; -- End function
	.set _ZN2at6native12_GLOBAL__N_125multi_tensor_apply_kernelINS1_18TensorListMetadataILi1EEENS1_14UnaryOpFunctorIN3c107complexIdEELi1ELi1ELi0EEEJNS0_4SinhIS8_EEEEEvT_T0_DpT1_.num_vgpr, max(100, .L_ZN6thrust23THRUST_200600_302600_NS6detail7complex5csinhERKNS0_7complexIdEE.num_vgpr)
	.set _ZN2at6native12_GLOBAL__N_125multi_tensor_apply_kernelINS1_18TensorListMetadataILi1EEENS1_14UnaryOpFunctorIN3c107complexIdEELi1ELi1ELi0EEEJNS0_4SinhIS8_EEEEEvT_T0_DpT1_.num_agpr, max(0, .L_ZN6thrust23THRUST_200600_302600_NS6detail7complex5csinhERKNS0_7complexIdEE.num_agpr)
	.set _ZN2at6native12_GLOBAL__N_125multi_tensor_apply_kernelINS1_18TensorListMetadataILi1EEENS1_14UnaryOpFunctorIN3c107complexIdEELi1ELi1ELi0EEEJNS0_4SinhIS8_EEEEEvT_T0_DpT1_.numbered_sgpr, max(36, .L_ZN6thrust23THRUST_200600_302600_NS6detail7complex5csinhERKNS0_7complexIdEE.numbered_sgpr)
	.set _ZN2at6native12_GLOBAL__N_125multi_tensor_apply_kernelINS1_18TensorListMetadataILi1EEENS1_14UnaryOpFunctorIN3c107complexIdEELi1ELi1ELi0EEEJNS0_4SinhIS8_EEEEEvT_T0_DpT1_.num_named_barrier, max(0, .L_ZN6thrust23THRUST_200600_302600_NS6detail7complex5csinhERKNS0_7complexIdEE.num_named_barrier)
	.set _ZN2at6native12_GLOBAL__N_125multi_tensor_apply_kernelINS1_18TensorListMetadataILi1EEENS1_14UnaryOpFunctorIN3c107complexIdEELi1ELi1ELi0EEEJNS0_4SinhIS8_EEEEEvT_T0_DpT1_.private_seg_size, 0+max(.L_ZN6thrust23THRUST_200600_302600_NS6detail7complex5csinhERKNS0_7complexIdEE.private_seg_size)
	.set _ZN2at6native12_GLOBAL__N_125multi_tensor_apply_kernelINS1_18TensorListMetadataILi1EEENS1_14UnaryOpFunctorIN3c107complexIdEELi1ELi1ELi0EEEJNS0_4SinhIS8_EEEEEvT_T0_DpT1_.uses_vcc, or(1, .L_ZN6thrust23THRUST_200600_302600_NS6detail7complex5csinhERKNS0_7complexIdEE.uses_vcc)
	.set _ZN2at6native12_GLOBAL__N_125multi_tensor_apply_kernelINS1_18TensorListMetadataILi1EEENS1_14UnaryOpFunctorIN3c107complexIdEELi1ELi1ELi0EEEJNS0_4SinhIS8_EEEEEvT_T0_DpT1_.uses_flat_scratch, or(0, .L_ZN6thrust23THRUST_200600_302600_NS6detail7complex5csinhERKNS0_7complexIdEE.uses_flat_scratch)
	.set _ZN2at6native12_GLOBAL__N_125multi_tensor_apply_kernelINS1_18TensorListMetadataILi1EEENS1_14UnaryOpFunctorIN3c107complexIdEELi1ELi1ELi0EEEJNS0_4SinhIS8_EEEEEvT_T0_DpT1_.has_dyn_sized_stack, or(0, .L_ZN6thrust23THRUST_200600_302600_NS6detail7complex5csinhERKNS0_7complexIdEE.has_dyn_sized_stack)
	.set _ZN2at6native12_GLOBAL__N_125multi_tensor_apply_kernelINS1_18TensorListMetadataILi1EEENS1_14UnaryOpFunctorIN3c107complexIdEELi1ELi1ELi0EEEJNS0_4SinhIS8_EEEEEvT_T0_DpT1_.has_recursion, or(0, .L_ZN6thrust23THRUST_200600_302600_NS6detail7complex5csinhERKNS0_7complexIdEE.has_recursion)
	.set _ZN2at6native12_GLOBAL__N_125multi_tensor_apply_kernelINS1_18TensorListMetadataILi1EEENS1_14UnaryOpFunctorIN3c107complexIdEELi1ELi1ELi0EEEJNS0_4SinhIS8_EEEEEvT_T0_DpT1_.has_indirect_call, or(0, .L_ZN6thrust23THRUST_200600_302600_NS6detail7complex5csinhERKNS0_7complexIdEE.has_indirect_call)
	.section	.AMDGPU.csdata,"",@progbits
; Kernel info:
; codeLenInByte = 1228
; TotalNumSgprs: 38
; NumVgprs: 100
; ScratchSize: 0
; MemoryBound: 1
; FloatMode: 240
; IeeeMode: 1
; LDSByteSize: 0 bytes/workgroup (compile time only)
; SGPRBlocks: 0
; VGPRBlocks: 6
; NumSGPRsForWavesPerEU: 38
; NumVGPRsForWavesPerEU: 100
; NamedBarCnt: 0
; Occupancy: 9
; WaveLimiterHint : 0
; COMPUTE_PGM_RSRC2:SCRATCH_EN: 0
; COMPUTE_PGM_RSRC2:USER_SGPR: 2
; COMPUTE_PGM_RSRC2:TRAP_HANDLER: 0
; COMPUTE_PGM_RSRC2:TGID_X_EN: 1
; COMPUTE_PGM_RSRC2:TGID_Y_EN: 0
; COMPUTE_PGM_RSRC2:TGID_Z_EN: 0
; COMPUTE_PGM_RSRC2:TIDIG_COMP_CNT: 0
	.section	.text._ZN2at6native12_GLOBAL__N_125multi_tensor_apply_kernelINS1_18TensorListMetadataILi1EEENS1_14UnaryOpFunctorIN3c107complexIfEELi1ELi1ELi0EEEJNS0_4SinhIS8_EEEEEvT_T0_DpT1_,"axG",@progbits,_ZN2at6native12_GLOBAL__N_125multi_tensor_apply_kernelINS1_18TensorListMetadataILi1EEENS1_14UnaryOpFunctorIN3c107complexIfEELi1ELi1ELi0EEEJNS0_4SinhIS8_EEEEEvT_T0_DpT1_,comdat
	.globl	_ZN2at6native12_GLOBAL__N_125multi_tensor_apply_kernelINS1_18TensorListMetadataILi1EEENS1_14UnaryOpFunctorIN3c107complexIfEELi1ELi1ELi0EEEJNS0_4SinhIS8_EEEEEvT_T0_DpT1_ ; -- Begin function _ZN2at6native12_GLOBAL__N_125multi_tensor_apply_kernelINS1_18TensorListMetadataILi1EEENS1_14UnaryOpFunctorIN3c107complexIfEELi1ELi1ELi0EEEJNS0_4SinhIS8_EEEEEvT_T0_DpT1_
	.p2align	8
	.type	_ZN2at6native12_GLOBAL__N_125multi_tensor_apply_kernelINS1_18TensorListMetadataILi1EEENS1_14UnaryOpFunctorIN3c107complexIfEELi1ELi1ELi0EEEJNS0_4SinhIS8_EEEEEvT_T0_DpT1_,@function
_ZN2at6native12_GLOBAL__N_125multi_tensor_apply_kernelINS1_18TensorListMetadataILi1EEENS1_14UnaryOpFunctorIN3c107complexIfEELi1ELi1ELi0EEEJNS0_4SinhIS8_EEEEEvT_T0_DpT1_: ; @_ZN2at6native12_GLOBAL__N_125multi_tensor_apply_kernelINS1_18TensorListMetadataILi1EEENS1_14UnaryOpFunctorIN3c107complexIfEELi1ELi1ELi0EEEJNS0_4SinhIS8_EEEEEvT_T0_DpT1_
; %bb.0:
	s_mov_b64 s[10:11], s[0:1]
	s_bfe_u32 s0, ttmp6, 0x4000c
	s_and_b32 s1, ttmp6, 15
	s_add_co_i32 s0, s0, 1
	s_getreg_b32 s2, hwreg(HW_REG_IB_STS2, 6, 4)
	s_mul_i32 s0, ttmp9, s0
	v_mov_b32_e32 v22, v0
	s_add_co_i32 s1, s1, s0
	s_cmp_eq_u32 s2, 0
	s_mov_b32 s32, 0
	s_cselect_b32 s0, ttmp9, s1
	s_mov_b32 s1, 0
	s_load_u8 s8, s[10:11], s0 offset:0x6e0
	s_add_nc_u64 s[2:3], s[10:11], s[0:1]
	s_mul_u64 s[4:5], s[0:1], 3
	s_delay_alu instid0(SALU_CYCLE_1)
	s_add_nc_u64 s[2:3], s[2:3], s[4:5]
	s_load_b32 s4, s[2:3], 0x820
	s_wait_kmcnt 0x0
	s_clause 0x1
	s_load_b64 s[16:17], s[10:11], s8 offset:0x0 scale_offset
	s_load_b64 s[6:7], s[10:11], s8 offset:0x370 scale_offset
	s_ashr_i32 s5, s4, 31
	s_delay_alu instid0(SALU_CYCLE_1) | instskip(SKIP_3) | instid1(SALU_CYCLE_1)
	s_lshl_b64 s[18:19], s[4:5], 19
	s_wait_kmcnt 0x0
	s_and_b32 s0, s6, 3
	s_add_nc_u64 s[22:23], s[16:17], s[18:19]
	s_and_b64 s[2:3], s[22:23], 31
	s_delay_alu instid0(SALU_CYCLE_1)
	s_or_b64 s[0:1], s[2:3], s[0:1]
	s_lshl_b64 s[2:3], s[4:5], 16
	s_cmp_eq_u64 s[0:1], 0
	s_sub_nc_u64 s[20:21], s[6:7], s[2:3]
	s_cbranch_scc1 .LBB126_21
; %bb.1:
	v_cmp_lt_i64_e64 s0, s[20:21], 1
	s_and_b32 vcc_lo, exec_lo, s0
	s_cbranch_vccnz .LBB126_20
; %bb.2:
	s_load_b32 s0, s[10:11], 0xd3c
	v_min_i64 v[30:31], 0x10000, s[20:21]
	v_min_u64 v[32:33], 0x10000, s[20:21]
	v_dual_mov_b32 v23, 0 :: v_dual_lshlrev_b32 v34, 3, v22
	s_mov_b32 s29, 0
	s_mov_b64 s[34:35], 0
	s_mov_b32 s1, s29
	s_delay_alu instid0(VALU_DEP_1)
	v_dual_mov_b32 v35, v23 :: v_dual_mov_b32 v37, v23
	s_mov_b32 s3, s29
	s_mov_b32 s5, s29
	;; [unrolled: 1-line block ×3, first 2 shown]
	s_get_pc_i64 s[26:27]
	s_add_nc_u64 s[26:27], s[26:27], _ZN6thrust23THRUST_200600_302600_NS6detail7complex6csinhfERKNS0_7complexIfEE@rel64+4
	s_wait_kmcnt 0x0
	s_and_b32 s28, s0, 0xffff
	s_delay_alu instid0(SALU_CYCLE_1)
	v_add_nc_u64_e32 v[38:39], s[28:29], v[22:23]
	v_mad_nc_u64_u32 v[40:41], s28, 24, v[34:35]
	s_lshl_b32 s0, s28, 1
	s_mul_i32 s2, s28, 3
	s_lshl_b32 s4, s28, 4
	v_add_nc_u64_e32 v[42:43], s[2:3], v[22:23]
	v_add_nc_u64_e32 v[44:45], s[4:5], v[34:35]
	;; [unrolled: 1-line block ×3, first 2 shown]
	v_lshlrev_b32_e32 v36, 3, v38
	s_lshl_b32 s24, s28, 2
	s_lshl_b32 s28, s28, 5
	s_branch .LBB126_4
.LBB126_3:                              ;   in Loop: Header=BB126_4 Depth=1
	s_wait_xcnt 0x0
	s_or_b32 exec_lo, exec_lo, s12
	s_add_nc_u64 s[34:35], s[34:35], s[24:25]
	s_add_nc_u64 s[22:23], s[22:23], s[28:29]
	v_cmp_lt_i64_e32 vcc_lo, s[34:35], v[30:31]
	s_cbranch_vccz .LBB126_20
.LBB126_4:                              ; =>This Inner Loop Header: Depth=1
	s_wait_loadcnt 0x0
	v_add_nc_u64_e32 v[0:1], s[34:35], v[22:23]
	v_add_nc_u64_e32 v[48:49], s[22:23], v[34:35]
	s_delay_alu instid0(VALU_DEP_2)
	v_cmp_lt_u64_e32 vcc_lo, v[0:1], v[32:33]
	v_dual_mov_b32 v0, 0 :: v_dual_mov_b32 v1, 0
	s_and_saveexec_b32 s0, vcc_lo
	s_cbranch_execz .LBB126_6
; %bb.5:                                ;   in Loop: Header=BB126_4 Depth=1
	global_load_b64 v[0:1], v[48:49], off
.LBB126_6:                              ;   in Loop: Header=BB126_4 Depth=1
	s_wait_xcnt 0x0
	s_or_b32 exec_lo, exec_lo, s0
	v_add_nc_u64_e32 v[2:3], s[34:35], v[38:39]
	v_add_nc_u64_e32 v[52:53], s[22:23], v[36:37]
	v_dual_mov_b32 v24, 0 :: v_dual_mov_b32 v26, 0
	v_mov_b32_e32 v27, 0
	s_delay_alu instid0(VALU_DEP_4)
	v_cmp_lt_u64_e64 s12, v[2:3], v[32:33]
	s_and_saveexec_b32 s0, s12
	s_cbranch_execz .LBB126_8
; %bb.7:                                ;   in Loop: Header=BB126_4 Depth=1
	global_load_b64 v[26:27], v[52:53], off
.LBB126_8:                              ;   in Loop: Header=BB126_4 Depth=1
	s_wait_xcnt 0x0
	s_or_b32 exec_lo, exec_lo, s0
	v_add_nc_u64_e32 v[2:3], s[34:35], v[46:47]
	v_add_nc_u64_e32 v[50:51], s[22:23], v[44:45]
	v_mov_b32_e32 v25, 0
	s_delay_alu instid0(VALU_DEP_3)
	v_cmp_lt_u64_e64 s13, v[2:3], v[32:33]
	s_and_saveexec_b32 s0, s13
	s_cbranch_execz .LBB126_10
; %bb.9:                                ;   in Loop: Header=BB126_4 Depth=1
	global_load_b64 v[24:25], v[50:51], off
.LBB126_10:                             ;   in Loop: Header=BB126_4 Depth=1
	s_wait_xcnt 0x0
	s_or_b32 exec_lo, exec_lo, s0
	v_add_nc_u64_e32 v[2:3], s[34:35], v[42:43]
	v_add_nc_u64_e32 v[54:55], s[22:23], v[40:41]
	v_dual_mov_b32 v28, 0 :: v_dual_mov_b32 v29, 0
	s_delay_alu instid0(VALU_DEP_3)
	v_cmp_lt_u64_e64 s14, v[2:3], v[32:33]
	s_and_saveexec_b32 s0, s14
	s_cbranch_execnz .LBB126_15
; %bb.11:                               ;   in Loop: Header=BB126_4 Depth=1
	s_or_b32 exec_lo, exec_lo, s0
	s_and_saveexec_b32 s15, vcc_lo
	s_cbranch_execnz .LBB126_16
.LBB126_12:                             ;   in Loop: Header=BB126_4 Depth=1
	s_or_b32 exec_lo, exec_lo, s15
	s_and_saveexec_b32 s15, s12
	s_cbranch_execnz .LBB126_17
.LBB126_13:                             ;   in Loop: Header=BB126_4 Depth=1
	s_or_b32 exec_lo, exec_lo, s15
	s_and_saveexec_b32 s12, s13
	s_cbranch_execnz .LBB126_18
.LBB126_14:                             ;   in Loop: Header=BB126_4 Depth=1
	s_or_b32 exec_lo, exec_lo, s12
	s_and_saveexec_b32 s12, s14
	s_cbranch_execz .LBB126_3
	s_branch .LBB126_19
.LBB126_15:                             ;   in Loop: Header=BB126_4 Depth=1
	global_load_b64 v[28:29], v[54:55], off
	s_wait_xcnt 0x0
	s_or_b32 exec_lo, exec_lo, s0
	s_and_saveexec_b32 s15, vcc_lo
	s_cbranch_execz .LBB126_12
.LBB126_16:                             ;   in Loop: Header=BB126_4 Depth=1
	s_swap_pc_i64 s[30:31], s[26:27]
	global_store_b64 v[48:49], v[0:1], off
	s_wait_xcnt 0x0
	s_or_b32 exec_lo, exec_lo, s15
	s_and_saveexec_b32 s15, s12
	s_cbranch_execz .LBB126_13
.LBB126_17:                             ;   in Loop: Header=BB126_4 Depth=1
	s_wait_loadcnt 0x0
	v_dual_mov_b32 v0, v26 :: v_dual_mov_b32 v1, v27
	s_swap_pc_i64 s[30:31], s[26:27]
	global_store_b64 v[52:53], v[0:1], off
	s_wait_xcnt 0x0
	s_or_b32 exec_lo, exec_lo, s15
	s_and_saveexec_b32 s12, s13
	s_cbranch_execz .LBB126_14
.LBB126_18:                             ;   in Loop: Header=BB126_4 Depth=1
	s_wait_loadcnt 0x0
	v_dual_mov_b32 v0, v24 :: v_dual_mov_b32 v1, v25
	s_swap_pc_i64 s[30:31], s[26:27]
	global_store_b64 v[50:51], v[0:1], off
	s_wait_xcnt 0x0
	s_or_b32 exec_lo, exec_lo, s12
	s_and_saveexec_b32 s12, s14
	s_cbranch_execz .LBB126_3
.LBB126_19:                             ;   in Loop: Header=BB126_4 Depth=1
	s_wait_loadcnt 0x0
	v_dual_mov_b32 v0, v28 :: v_dual_mov_b32 v1, v29
	s_swap_pc_i64 s[30:31], s[26:27]
	global_store_b64 v[54:55], v[0:1], off
	s_branch .LBB126_3
.LBB126_20:
	s_cbranch_execz .LBB126_22
	s_branch .LBB126_25
.LBB126_21:
.LBB126_22:
	v_min_i64 v[32:33], 0x10000, s[20:21]
	s_wait_loadcnt 0x0
	v_dual_mov_b32 v1, 0 :: v_dual_lshlrev_b32 v0, 2, v22
	s_mov_b32 s0, exec_lo
	s_delay_alu instid0(VALU_DEP_1)
	v_cmpx_lt_i64_e64 v[0:1], v[32:33]
	s_cbranch_execz .LBB126_25
; %bb.23:
	s_load_b32 s2, s[10:11], 0xd3c
	v_dual_mov_b32 v23, v1 :: v_dual_lshlrev_b32 v0, 5, v22
	s_add_nc_u64 s[0:1], s[16:17], s[18:19]
	s_wait_xcnt 0x0
	s_mov_b32 s11, 0
	s_get_pc_i64 s[12:13]
	s_add_nc_u64 s[12:13], s[12:13], _ZN6thrust23THRUST_200600_302600_NS6detail7complex6csinhfERKNS0_7complexIfEE@rel64+4
	v_add_nc_u64_e32 v[34:35], s[0:1], v[0:1]
	s_mov_b32 s15, s11
	s_mov_b32 s16, s11
	s_wait_kmcnt 0x0
	s_and_b32 s10, s2, 0xffff
	s_delay_alu instid0(SALU_CYCLE_1)
	s_lshl_b32 s14, s10, 5
.LBB126_24:                             ; =>This Inner Loop Header: Depth=1
	s_clause 0x1
	global_load_b128 v[24:27], v[34:35], off
	global_load_b128 v[28:31], v[34:35], off offset:16
	s_wait_loadcnt 0x1
	v_dual_mov_b32 v0, v24 :: v_dual_mov_b32 v1, v25
	s_swap_pc_i64 s[30:31], s[12:13]
	s_delay_alu instid0(VALU_DEP_1) | instskip(SKIP_2) | instid1(VALU_DEP_1)
	v_dual_mov_b32 v24, v0 :: v_dual_mov_b32 v25, v1
	v_dual_mov_b32 v0, v26 :: v_dual_mov_b32 v1, v27
	s_swap_pc_i64 s[30:31], s[12:13]
	v_dual_mov_b32 v26, v0 :: v_dual_mov_b32 v27, v1
	v_dual_mov_b32 v0, v28 :: v_dual_mov_b32 v1, v29
	s_swap_pc_i64 s[30:31], s[12:13]
	s_delay_alu instid0(VALU_DEP_1) | instskip(SKIP_3) | instid1(VALU_DEP_2)
	v_dual_mov_b32 v28, v0 :: v_dual_mov_b32 v29, v1
	v_dual_mov_b32 v0, v30 :: v_dual_mov_b32 v1, v31
	s_swap_pc_i64 s[30:31], s[12:13]
	v_add_nc_u64_e32 v[22:23], s[10:11], v[22:23]
	v_dual_mov_b32 v30, v0 :: v_dual_mov_b32 v31, v1
	s_clause 0x1
	global_store_b128 v[34:35], v[24:27], off
	global_store_b128 v[34:35], v[28:31], off offset:16
	v_lshlrev_b64_e32 v[0:1], 2, v[22:23]
	s_wait_xcnt 0x0
	v_add_nc_u64_e32 v[34:35], s[14:15], v[34:35]
	s_delay_alu instid0(VALU_DEP_2) | instskip(SKIP_1) | instid1(SALU_CYCLE_1)
	v_cmp_ge_i64_e32 vcc_lo, v[0:1], v[32:33]
	s_or_b32 s16, vcc_lo, s16
	s_and_not1_b32 exec_lo, exec_lo, s16
	s_cbranch_execnz .LBB126_24
.LBB126_25:
	s_endpgm
	.section	.rodata,"a",@progbits
	.p2align	6, 0x0
	.amdhsa_kernel _ZN2at6native12_GLOBAL__N_125multi_tensor_apply_kernelINS1_18TensorListMetadataILi1EEENS1_14UnaryOpFunctorIN3c107complexIfEELi1ELi1ELi0EEEJNS0_4SinhIS8_EEEEEvT_T0_DpT1_
		.amdhsa_group_segment_fixed_size 0
		.amdhsa_private_segment_fixed_size 0
		.amdhsa_kernarg_size 3632
		.amdhsa_user_sgpr_count 2
		.amdhsa_user_sgpr_dispatch_ptr 0
		.amdhsa_user_sgpr_queue_ptr 0
		.amdhsa_user_sgpr_kernarg_segment_ptr 1
		.amdhsa_user_sgpr_dispatch_id 0
		.amdhsa_user_sgpr_kernarg_preload_length 0
		.amdhsa_user_sgpr_kernarg_preload_offset 0
		.amdhsa_user_sgpr_private_segment_size 0
		.amdhsa_wavefront_size32 1
		.amdhsa_uses_dynamic_stack 0
		.amdhsa_enable_private_segment 0
		.amdhsa_system_sgpr_workgroup_id_x 1
		.amdhsa_system_sgpr_workgroup_id_y 0
		.amdhsa_system_sgpr_workgroup_id_z 0
		.amdhsa_system_sgpr_workgroup_info 0
		.amdhsa_system_vgpr_workitem_id 0
		.amdhsa_next_free_vgpr 56
		.amdhsa_next_free_sgpr 36
		.amdhsa_named_barrier_count 0
		.amdhsa_reserve_vcc 1
		.amdhsa_float_round_mode_32 0
		.amdhsa_float_round_mode_16_64 0
		.amdhsa_float_denorm_mode_32 3
		.amdhsa_float_denorm_mode_16_64 3
		.amdhsa_fp16_overflow 0
		.amdhsa_memory_ordered 1
		.amdhsa_forward_progress 1
		.amdhsa_inst_pref_size 9
		.amdhsa_round_robin_scheduling 0
		.amdhsa_exception_fp_ieee_invalid_op 0
		.amdhsa_exception_fp_denorm_src 0
		.amdhsa_exception_fp_ieee_div_zero 0
		.amdhsa_exception_fp_ieee_overflow 0
		.amdhsa_exception_fp_ieee_underflow 0
		.amdhsa_exception_fp_ieee_inexact 0
		.amdhsa_exception_int_div_zero 0
	.end_amdhsa_kernel
	.section	.text._ZN2at6native12_GLOBAL__N_125multi_tensor_apply_kernelINS1_18TensorListMetadataILi1EEENS1_14UnaryOpFunctorIN3c107complexIfEELi1ELi1ELi0EEEJNS0_4SinhIS8_EEEEEvT_T0_DpT1_,"axG",@progbits,_ZN2at6native12_GLOBAL__N_125multi_tensor_apply_kernelINS1_18TensorListMetadataILi1EEENS1_14UnaryOpFunctorIN3c107complexIfEELi1ELi1ELi0EEEJNS0_4SinhIS8_EEEEEvT_T0_DpT1_,comdat
.Lfunc_end126:
	.size	_ZN2at6native12_GLOBAL__N_125multi_tensor_apply_kernelINS1_18TensorListMetadataILi1EEENS1_14UnaryOpFunctorIN3c107complexIfEELi1ELi1ELi0EEEJNS0_4SinhIS8_EEEEEvT_T0_DpT1_, .Lfunc_end126-_ZN2at6native12_GLOBAL__N_125multi_tensor_apply_kernelINS1_18TensorListMetadataILi1EEENS1_14UnaryOpFunctorIN3c107complexIfEELi1ELi1ELi0EEEJNS0_4SinhIS8_EEEEEvT_T0_DpT1_
                                        ; -- End function
	.set _ZN2at6native12_GLOBAL__N_125multi_tensor_apply_kernelINS1_18TensorListMetadataILi1EEENS1_14UnaryOpFunctorIN3c107complexIfEELi1ELi1ELi0EEEJNS0_4SinhIS8_EEEEEvT_T0_DpT1_.num_vgpr, max(56, .L_ZN6thrust23THRUST_200600_302600_NS6detail7complex6csinhfERKNS0_7complexIfEE.num_vgpr)
	.set _ZN2at6native12_GLOBAL__N_125multi_tensor_apply_kernelINS1_18TensorListMetadataILi1EEENS1_14UnaryOpFunctorIN3c107complexIfEELi1ELi1ELi0EEEJNS0_4SinhIS8_EEEEEvT_T0_DpT1_.num_agpr, max(0, .L_ZN6thrust23THRUST_200600_302600_NS6detail7complex6csinhfERKNS0_7complexIfEE.num_agpr)
	.set _ZN2at6native12_GLOBAL__N_125multi_tensor_apply_kernelINS1_18TensorListMetadataILi1EEENS1_14UnaryOpFunctorIN3c107complexIfEELi1ELi1ELi0EEEJNS0_4SinhIS8_EEEEEvT_T0_DpT1_.numbered_sgpr, max(36, .L_ZN6thrust23THRUST_200600_302600_NS6detail7complex6csinhfERKNS0_7complexIfEE.numbered_sgpr)
	.set _ZN2at6native12_GLOBAL__N_125multi_tensor_apply_kernelINS1_18TensorListMetadataILi1EEENS1_14UnaryOpFunctorIN3c107complexIfEELi1ELi1ELi0EEEJNS0_4SinhIS8_EEEEEvT_T0_DpT1_.num_named_barrier, max(0, .L_ZN6thrust23THRUST_200600_302600_NS6detail7complex6csinhfERKNS0_7complexIfEE.num_named_barrier)
	.set _ZN2at6native12_GLOBAL__N_125multi_tensor_apply_kernelINS1_18TensorListMetadataILi1EEENS1_14UnaryOpFunctorIN3c107complexIfEELi1ELi1ELi0EEEJNS0_4SinhIS8_EEEEEvT_T0_DpT1_.private_seg_size, 0+max(.L_ZN6thrust23THRUST_200600_302600_NS6detail7complex6csinhfERKNS0_7complexIfEE.private_seg_size)
	.set _ZN2at6native12_GLOBAL__N_125multi_tensor_apply_kernelINS1_18TensorListMetadataILi1EEENS1_14UnaryOpFunctorIN3c107complexIfEELi1ELi1ELi0EEEJNS0_4SinhIS8_EEEEEvT_T0_DpT1_.uses_vcc, or(1, .L_ZN6thrust23THRUST_200600_302600_NS6detail7complex6csinhfERKNS0_7complexIfEE.uses_vcc)
	.set _ZN2at6native12_GLOBAL__N_125multi_tensor_apply_kernelINS1_18TensorListMetadataILi1EEENS1_14UnaryOpFunctorIN3c107complexIfEELi1ELi1ELi0EEEJNS0_4SinhIS8_EEEEEvT_T0_DpT1_.uses_flat_scratch, or(0, .L_ZN6thrust23THRUST_200600_302600_NS6detail7complex6csinhfERKNS0_7complexIfEE.uses_flat_scratch)
	.set _ZN2at6native12_GLOBAL__N_125multi_tensor_apply_kernelINS1_18TensorListMetadataILi1EEENS1_14UnaryOpFunctorIN3c107complexIfEELi1ELi1ELi0EEEJNS0_4SinhIS8_EEEEEvT_T0_DpT1_.has_dyn_sized_stack, or(0, .L_ZN6thrust23THRUST_200600_302600_NS6detail7complex6csinhfERKNS0_7complexIfEE.has_dyn_sized_stack)
	.set _ZN2at6native12_GLOBAL__N_125multi_tensor_apply_kernelINS1_18TensorListMetadataILi1EEENS1_14UnaryOpFunctorIN3c107complexIfEELi1ELi1ELi0EEEJNS0_4SinhIS8_EEEEEvT_T0_DpT1_.has_recursion, or(0, .L_ZN6thrust23THRUST_200600_302600_NS6detail7complex6csinhfERKNS0_7complexIfEE.has_recursion)
	.set _ZN2at6native12_GLOBAL__N_125multi_tensor_apply_kernelINS1_18TensorListMetadataILi1EEENS1_14UnaryOpFunctorIN3c107complexIfEELi1ELi1ELi0EEEJNS0_4SinhIS8_EEEEEvT_T0_DpT1_.has_indirect_call, or(0, .L_ZN6thrust23THRUST_200600_302600_NS6detail7complex6csinhfERKNS0_7complexIfEE.has_indirect_call)
	.section	.AMDGPU.csdata,"",@progbits
; Kernel info:
; codeLenInByte = 1120
; TotalNumSgprs: 38
; NumVgprs: 56
; ScratchSize: 0
; MemoryBound: 0
; FloatMode: 240
; IeeeMode: 1
; LDSByteSize: 0 bytes/workgroup (compile time only)
; SGPRBlocks: 0
; VGPRBlocks: 3
; NumSGPRsForWavesPerEU: 38
; NumVGPRsForWavesPerEU: 56
; NamedBarCnt: 0
; Occupancy: 16
; WaveLimiterHint : 0
; COMPUTE_PGM_RSRC2:SCRATCH_EN: 0
; COMPUTE_PGM_RSRC2:USER_SGPR: 2
; COMPUTE_PGM_RSRC2:TRAP_HANDLER: 0
; COMPUTE_PGM_RSRC2:TGID_X_EN: 1
; COMPUTE_PGM_RSRC2:TGID_Y_EN: 0
; COMPUTE_PGM_RSRC2:TGID_Z_EN: 0
; COMPUTE_PGM_RSRC2:TIDIG_COMP_CNT: 0
	.section	.text._ZN2at6native12_GLOBAL__N_125multi_tensor_apply_kernelINS1_18TensorListMetadataILi1EEENS1_14UnaryOpFunctorIN3c104HalfELi1ELi1ELi0EEEJNS0_4SinhIfEEEEEvT_T0_DpT1_,"axG",@progbits,_ZN2at6native12_GLOBAL__N_125multi_tensor_apply_kernelINS1_18TensorListMetadataILi1EEENS1_14UnaryOpFunctorIN3c104HalfELi1ELi1ELi0EEEJNS0_4SinhIfEEEEEvT_T0_DpT1_,comdat
	.globl	_ZN2at6native12_GLOBAL__N_125multi_tensor_apply_kernelINS1_18TensorListMetadataILi1EEENS1_14UnaryOpFunctorIN3c104HalfELi1ELi1ELi0EEEJNS0_4SinhIfEEEEEvT_T0_DpT1_ ; -- Begin function _ZN2at6native12_GLOBAL__N_125multi_tensor_apply_kernelINS1_18TensorListMetadataILi1EEENS1_14UnaryOpFunctorIN3c104HalfELi1ELi1ELi0EEEJNS0_4SinhIfEEEEEvT_T0_DpT1_
	.p2align	8
	.type	_ZN2at6native12_GLOBAL__N_125multi_tensor_apply_kernelINS1_18TensorListMetadataILi1EEENS1_14UnaryOpFunctorIN3c104HalfELi1ELi1ELi0EEEJNS0_4SinhIfEEEEEvT_T0_DpT1_,@function
_ZN2at6native12_GLOBAL__N_125multi_tensor_apply_kernelINS1_18TensorListMetadataILi1EEENS1_14UnaryOpFunctorIN3c104HalfELi1ELi1ELi0EEEJNS0_4SinhIfEEEEEvT_T0_DpT1_: ; @_ZN2at6native12_GLOBAL__N_125multi_tensor_apply_kernelINS1_18TensorListMetadataILi1EEENS1_14UnaryOpFunctorIN3c104HalfELi1ELi1ELi0EEEJNS0_4SinhIfEEEEEvT_T0_DpT1_
; %bb.0:
	s_bfe_u32 s2, ttmp6, 0x4000c
	s_and_b32 s3, ttmp6, 15
	s_add_co_i32 s2, s2, 1
	s_getreg_b32 s4, hwreg(HW_REG_IB_STS2, 6, 4)
	s_mul_i32 s2, ttmp9, s2
	s_delay_alu instid0(SALU_CYCLE_1)
	s_add_co_i32 s3, s3, s2
	s_cmp_eq_u32 s4, 0
	s_cselect_b32 s2, ttmp9, s3
	s_mov_b32 s3, 0
	s_load_u8 s8, s[0:1], s2 offset:0x6e0
	s_add_nc_u64 s[4:5], s[0:1], s[2:3]
	s_mul_u64 s[6:7], s[2:3], 3
	s_delay_alu instid0(SALU_CYCLE_1)
	s_add_nc_u64 s[4:5], s[4:5], s[6:7]
	s_load_b32 s10, s[4:5], 0x820
	s_wait_kmcnt 0x0
	s_clause 0x1
	s_load_b64 s[6:7], s[0:1], s8 offset:0x0 scale_offset
	s_load_b64 s[12:13], s[0:1], s8 offset:0x370 scale_offset
	s_ashr_i32 s11, s10, 31
	s_wait_kmcnt 0x0
	s_and_b64 s[4:5], s[6:7], 7
	s_and_b32 s2, s12, 3
	s_lshl_b64 s[8:9], s[10:11], 17
	s_or_b64 s[2:3], s[4:5], s[2:3]
	s_lshl_b64 s[4:5], s[10:11], 16
	s_cmp_eq_u64 s[2:3], 0
	s_sub_nc_u64 s[10:11], s[12:13], s[4:5]
	s_cbranch_scc1 .LBB127_21
; %bb.1:
	v_cmp_lt_i64_e64 s2, s[10:11], 1
	s_and_b32 vcc_lo, exec_lo, s2
	s_cbranch_vccnz .LBB127_20
; %bb.2:
	s_load_b32 s2, s[0:1], 0xd3c
	v_min_i64 v[2:3], 0x10000, s[10:11]
	v_min_u64 v[4:5], 0x10000, s[10:11]
	v_dual_mov_b32 v1, 0 :: v_dual_lshlrev_b32 v8, 1, v0
	s_mov_b32 s3, 0
	s_add_nc_u64 s[4:5], s[6:7], s[8:9]
	s_mov_b32 s19, s3
	s_delay_alu instid0(VALU_DEP_1) | instskip(SKIP_2) | instid1(VALU_DEP_2)
	v_dual_mov_b32 v9, v1 :: v_dual_mov_b32 v15, v1
	s_mov_b32 s21, s3
	v_dual_mov_b32 v19, 1.0 :: v_dual_mov_b32 v21, -1.0
	v_add_nc_u64_e32 v[8:9], s[4:5], v[8:9]
	s_mov_b32 s13, s3
	s_mov_b32 s15, s3
	v_mov_b32_e32 v17, 0x3f317218
	s_wait_kmcnt 0x0
	s_and_b32 s2, s2, 0xffff
	s_delay_alu instid0(SALU_CYCLE_1)
	v_add_nc_u64_e32 v[6:7], s[2:3], v[0:1]
	s_lshl_b32 s18, s2, 1
	s_mul_i32 s20, s2, 3
	v_add_nc_u64_e32 v[12:13], s[18:19], v[0:1]
	v_add_nc_u64_e32 v[10:11], s[20:21], v[0:1]
	s_lshl_b32 s12, s2, 2
	s_lshl_b32 s14, s2, 3
	v_lshlrev_b32_e32 v14, 1, v6
	s_mul_u64 s[16:17], s[2:3], 6
	s_mov_b64 s[18:19], 0
	s_mov_b32 s20, 0x3ab42872
	s_delay_alu instid0(VALU_DEP_1)
	v_add_nc_u64_e32 v[14:15], s[4:5], v[14:15]
	s_mov_b32 s5, -1.0
	s_branch .LBB127_4
.LBB127_3:                              ;   in Loop: Header=BB127_4 Depth=1
	s_wait_xcnt 0x0
	s_or_b32 exec_lo, exec_lo, s2
	s_add_nc_u64 s[18:19], s[18:19], s[12:13]
	v_add_nc_u64_e32 v[8:9], s[14:15], v[8:9]
	v_cmp_lt_i64_e32 vcc_lo, s[18:19], v[2:3]
	v_add_nc_u64_e32 v[14:15], s[14:15], v[14:15]
	s_cbranch_vccz .LBB127_20
.LBB127_4:                              ; =>This Inner Loop Header: Depth=1
	v_add_nc_u64_e32 v[22:23], s[18:19], v[0:1]
	v_mov_b32_e32 v29, 0
	s_delay_alu instid0(VALU_DEP_2)
	v_cmp_lt_u64_e64 s4, v[22:23], v[4:5]
	s_and_saveexec_b32 s2, s4
	s_cbranch_execz .LBB127_6
; %bb.5:                                ;   in Loop: Header=BB127_4 Depth=1
	global_load_u16 v16, v[8:9], off
	s_wait_loadcnt 0x0
	v_cvt_f32_f16_e32 v29, v16
.LBB127_6:                              ;   in Loop: Header=BB127_4 Depth=1
	s_wait_xcnt 0x0
	s_or_b32 exec_lo, exec_lo, s2
	v_add_nc_u64_e32 v[22:23], s[18:19], v[6:7]
	v_dual_mov_b32 v27, 0 :: v_dual_mov_b32 v28, 0
	s_delay_alu instid0(VALU_DEP_2)
	v_cmp_lt_u64_e64 s3, v[22:23], v[4:5]
	s_and_saveexec_b32 s2, s3
	s_cbranch_execz .LBB127_8
; %bb.7:                                ;   in Loop: Header=BB127_4 Depth=1
	global_load_u16 v16, v[14:15], off
	s_wait_loadcnt 0x0
	v_cvt_f32_f16_e32 v28, v16
.LBB127_8:                              ;   in Loop: Header=BB127_4 Depth=1
	s_wait_xcnt 0x0
	s_or_b32 exec_lo, exec_lo, s2
	v_add_nc_u64_e32 v[22:23], s[18:19], v[12:13]
	v_add_nc_u64_e32 v[24:25], s[12:13], v[8:9]
	s_delay_alu instid0(VALU_DEP_2)
	v_cmp_lt_u64_e64 s2, v[22:23], v[4:5]
	s_and_saveexec_b32 s21, s2
	s_cbranch_execz .LBB127_10
; %bb.9:                                ;   in Loop: Header=BB127_4 Depth=1
	global_load_u16 v16, v[24:25], off
	s_wait_loadcnt 0x0
	v_cvt_f32_f16_e32 v27, v16
.LBB127_10:                             ;   in Loop: Header=BB127_4 Depth=1
	s_wait_xcnt 0x0
	s_or_b32 exec_lo, exec_lo, s21
	v_add_nc_u64_e32 v[22:23], s[18:19], v[10:11]
	v_mov_b32_e32 v26, 0
	s_delay_alu instid0(VALU_DEP_2)
	v_cmp_lt_u64_e32 vcc_lo, v[22:23], v[4:5]
	v_add_nc_u64_e32 v[22:23], s[16:17], v[8:9]
	s_and_saveexec_b32 s21, vcc_lo
	s_cbranch_execnz .LBB127_15
; %bb.11:                               ;   in Loop: Header=BB127_4 Depth=1
	s_or_b32 exec_lo, exec_lo, s21
	s_and_saveexec_b32 s21, s4
	s_cbranch_execnz .LBB127_16
.LBB127_12:                             ;   in Loop: Header=BB127_4 Depth=1
	s_or_b32 exec_lo, exec_lo, s21
	s_and_saveexec_b32 s4, s3
	s_cbranch_execnz .LBB127_17
.LBB127_13:                             ;   in Loop: Header=BB127_4 Depth=1
	s_or_b32 exec_lo, exec_lo, s4
	s_and_saveexec_b32 s3, s2
	s_cbranch_execnz .LBB127_18
.LBB127_14:                             ;   in Loop: Header=BB127_4 Depth=1
	s_or_b32 exec_lo, exec_lo, s3
	s_and_saveexec_b32 s2, vcc_lo
	s_cbranch_execz .LBB127_3
	s_branch .LBB127_19
.LBB127_15:                             ;   in Loop: Header=BB127_4 Depth=1
	global_load_u16 v16, v[22:23], off
	s_wait_loadcnt 0x0
	v_cvt_f32_f16_e32 v26, v16
	s_wait_xcnt 0x0
	s_or_b32 exec_lo, exec_lo, s21
	s_and_saveexec_b32 s21, s4
	s_cbranch_execz .LBB127_12
.LBB127_16:                             ;   in Loop: Header=BB127_4 Depth=1
	v_add_f32_e64 v18, 0xbf317218, |v29|
	v_and_b32_e32 v16, 0x7fffffff, v29
	s_delay_alu instid0(VALU_DEP_2) | instskip(NEXT) | instid1(VALU_DEP_1)
	v_sub_f32_e64 v31, v18, |v29|
	v_sub_f32_e32 v30, v31, v18
	s_delay_alu instid0(VALU_DEP_1) | instskip(NEXT) | instid1(VALU_DEP_1)
	v_pk_add_f32 v[30:31], v[16:17], v[30:31]
	v_sub_f32_e32 v16, v30, v31
	s_delay_alu instid0(VALU_DEP_1) | instskip(NEXT) | instid1(VALU_DEP_1)
	v_add_f32_e32 v16, 0x3102e308, v16
	v_add_f32_e32 v20, v18, v16
	s_delay_alu instid0(VALU_DEP_1) | instskip(NEXT) | instid1(VALU_DEP_1)
	v_sub_f32_e32 v18, v18, v20
	v_add_f32_e32 v16, v16, v18
	v_mul_f32_e32 v30, 0x3fb8aa3b, v20
	s_delay_alu instid0(VALU_DEP_1) | instskip(NEXT) | instid1(VALU_DEP_1)
	v_rndne_f32_e32 v38, v30
	v_fmac_f32_e32 v20, 0xbf317200, v38
	v_mul_f32_e32 v18, 0x35bfbc00, v38
	v_mul_f32_e32 v33, 0x2ea39ef3, v38
	s_delay_alu instid0(VALU_DEP_3) | instskip(NEXT) | instid1(VALU_DEP_1)
	v_add_f32_e32 v31, v16, v20
	v_dual_sub_f32 v30, v31, v18 :: v_dual_sub_f32 v20, v20, v31
	s_delay_alu instid0(VALU_DEP_1) | instskip(NEXT) | instid1(VALU_DEP_1)
	v_sub_f32_e32 v31, v31, v30
	v_dual_sub_f32 v18, v31, v18 :: v_dual_add_f32 v16, v16, v20
	s_delay_alu instid0(VALU_DEP_1) | instskip(NEXT) | instid1(VALU_DEP_1)
	v_add_f32_e32 v16, v16, v18
	v_add_f32_e32 v31, v30, v16
	s_delay_alu instid0(VALU_DEP_1) | instskip(NEXT) | instid1(VALU_DEP_1)
	v_mov_b32_e32 v32, v31
	v_pk_add_f32 v[34:35], v[30:31], v[32:33] neg_lo:[0,1] neg_hi:[0,1]
	s_delay_alu instid0(VALU_DEP_1) | instskip(NEXT) | instid1(VALU_DEP_1)
	v_dual_sub_f32 v18, v31, v35 :: v_dual_add_f32 v16, v16, v34
	v_sub_f32_e32 v18, v18, v33
	s_delay_alu instid0(VALU_DEP_1) | instskip(NEXT) | instid1(VALU_DEP_1)
	v_add_f32_e32 v16, v16, v18
	v_add_f32_e32 v18, v35, v16
	s_delay_alu instid0(VALU_DEP_1) | instskip(SKIP_2) | instid1(VALU_DEP_3)
	v_sub_f32_e32 v20, v35, v18
	v_mov_b64_e32 v[34:35], s[4:5]
	v_cmp_nlt_f32_e64 s4, 0x42b2d4fc, |v29|
	v_add_f32_e32 v16, v16, v20
	s_delay_alu instid0(VALU_DEP_1) | instskip(SKIP_1) | instid1(VALU_DEP_2)
	v_dual_add_f32 v32, v16, v16 :: v_dual_mul_f32 v30, v18, v18
	v_fmaak_f32 v20, s20, v18, 0x3c091de6
	v_fma_f32 v31, v18, v18, -v30
	s_delay_alu instid0(VALU_DEP_2) | instskip(NEXT) | instid1(VALU_DEP_2)
	v_fmaak_f32 v20, v18, v20, 0x3d2aadcc
	v_fmac_f32_e32 v31, v18, v32
	s_delay_alu instid0(VALU_DEP_2) | instskip(NEXT) | instid1(VALU_DEP_2)
	v_fmaak_f32 v20, v18, v20, 0x3e2aaa47
	v_add_f32_e32 v32, v30, v31
	s_delay_alu instid0(VALU_DEP_2) | instskip(NEXT) | instid1(VALU_DEP_2)
	v_fmaak_f32 v20, v18, v20, 0x3efffffc
	v_sub_f32_e32 v30, v32, v30
	s_delay_alu instid0(VALU_DEP_1) | instskip(NEXT) | instid1(VALU_DEP_1)
	v_dual_sub_f32 v30, v31, v30 :: v_dual_mul_f32 v33, v20, v32
	v_fma_f32 v31, v32, v20, -v33
	s_delay_alu instid0(VALU_DEP_1) | instskip(NEXT) | instid1(VALU_DEP_1)
	v_fmac_f32_e32 v31, v30, v20
	v_add_f32_e32 v30, v33, v31
	s_delay_alu instid0(VALU_DEP_1) | instskip(NEXT) | instid1(VALU_DEP_1)
	v_sub_f32_e32 v32, v30, v33
	v_sub_f32_e32 v31, v31, v32
	s_delay_alu instid0(VALU_DEP_1) | instskip(NEXT) | instid1(VALU_DEP_1)
	v_dual_add_f32 v16, v16, v31 :: v_dual_add_f32 v20, v18, v30
	v_sub_f32_e32 v18, v20, v18
	s_delay_alu instid0(VALU_DEP_1) | instskip(NEXT) | instid1(VALU_DEP_1)
	v_sub_f32_e32 v18, v30, v18
	v_add_f32_e32 v30, v16, v18
	v_cvt_i32_f32_e32 v18, v38
	s_delay_alu instid0(VALU_DEP_2) | instskip(NEXT) | instid1(VALU_DEP_1)
	v_add_f32_e32 v32, v20, v30
	v_dual_add_f32 v33, 1.0, v32 :: v_dual_mov_b32 v31, v32
	s_delay_alu instid0(VALU_DEP_1) | instskip(SKIP_1) | instid1(VALU_DEP_2)
	v_pk_add_f32 v[34:35], v[32:33], v[34:35]
	v_pk_add_f32 v[36:37], v[32:33], v[20:21] neg_lo:[0,1] neg_hi:[0,1]
	v_mov_b32_e32 v37, v35
	s_delay_alu instid0(VALU_DEP_1) | instskip(NEXT) | instid1(VALU_DEP_1)
	v_pk_add_f32 v[30:31], v[30:31], v[36:37] neg_lo:[0,1] neg_hi:[0,1]
	v_add_f32_e32 v16, v30, v31
	s_delay_alu instid0(VALU_DEP_1) | instskip(NEXT) | instid1(VALU_DEP_1)
	v_add_f32_e32 v20, v33, v16
	v_ldexp_f32 v36, v20, v18
	v_sub_f32_e32 v20, v20, v33
	s_delay_alu instid0(VALU_DEP_2) | instskip(NEXT) | instid1(VALU_DEP_1)
	v_rcp_f32_e32 v37, v36
	v_sub_f32_e32 v16, v16, v20
	s_delay_alu instid0(VALU_DEP_1) | instskip(NEXT) | instid1(TRANS32_DEP_1)
	v_ldexp_f32 v16, v16, v18
	v_mul_f32_e32 v30, v36, v37
	s_delay_alu instid0(VALU_DEP_1) | instskip(NEXT) | instid1(VALU_DEP_1)
	v_fma_f32 v32, v37, v36, -v30
	v_fmac_f32_e32 v32, v37, v16
	s_delay_alu instid0(VALU_DEP_1) | instskip(NEXT) | instid1(VALU_DEP_1)
	v_add_f32_e32 v18, v30, v32
	v_dual_sub_f32 v31, 1.0, v18 :: v_dual_mov_b32 v33, v18
	s_delay_alu instid0(VALU_DEP_1) | instskip(NEXT) | instid1(VALU_DEP_1)
	v_pk_add_f32 v[34:35], v[18:19], v[30:31] neg_lo:[0,1] neg_hi:[0,1]
	v_pk_add_f32 v[32:33], v[34:35], v[32:33] neg_lo:[0,1] neg_hi:[0,1]
	s_delay_alu instid0(VALU_DEP_1) | instskip(NEXT) | instid1(VALU_DEP_1)
	v_add_f32_e32 v18, v32, v33
	v_add_f32_e32 v33, v31, v18
	s_delay_alu instid0(VALU_DEP_1) | instskip(NEXT) | instid1(VALU_DEP_1)
	v_dual_mul_f32 v20, v37, v33 :: v_dual_sub_f32 v38, v31, v33
	v_mul_f32_e32 v34, v36, v20
	s_delay_alu instid0(VALU_DEP_1) | instskip(NEXT) | instid1(VALU_DEP_1)
	v_fma_f32 v30, v20, v36, -v34
	v_fmac_f32_e32 v30, v20, v16
	s_delay_alu instid0(VALU_DEP_1) | instskip(NEXT) | instid1(VALU_DEP_1)
	v_add_f32_e32 v32, v34, v30
	v_dual_add_f32 v18, v18, v38 :: v_dual_sub_f32 v35, v33, v32
	v_mov_b32_e32 v31, v32
	s_delay_alu instid0(VALU_DEP_2) | instskip(NEXT) | instid1(VALU_DEP_1)
	v_pk_add_f32 v[32:33], v[32:33], v[34:35] neg_lo:[0,1] neg_hi:[0,1]
	v_pk_add_f32 v[30:31], v[32:33], v[30:31] neg_lo:[0,1] neg_hi:[0,1]
	s_delay_alu instid0(VALU_DEP_1) | instskip(NEXT) | instid1(VALU_DEP_1)
	v_dual_add_f32 v18, v18, v31 :: v_dual_add_f32 v31, v37, v20
	v_add_f32_e32 v18, v30, v18
	s_delay_alu instid0(VALU_DEP_1) | instskip(NEXT) | instid1(VALU_DEP_1)
	v_add_f32_e32 v18, v35, v18
	v_dual_sub_f32 v30, v31, v37 :: v_dual_mul_f32 v18, v37, v18
	s_delay_alu instid0(VALU_DEP_1) | instskip(NEXT) | instid1(VALU_DEP_1)
	v_sub_f32_e32 v20, v20, v30
	v_add_f32_e32 v18, v20, v18
	s_delay_alu instid0(VALU_DEP_1) | instskip(NEXT) | instid1(VALU_DEP_1)
	v_add_f32_e32 v20, v31, v18
	v_ldexp_f32 v30, v20, -2
	v_sub_f32_e32 v20, v20, v31
	s_delay_alu instid0(VALU_DEP_1) | instskip(NEXT) | instid1(VALU_DEP_1)
	v_dual_sub_f32 v32, v36, v30 :: v_dual_sub_f32 v18, v18, v20
	v_sub_f32_e32 v31, v36, v32
	s_delay_alu instid0(VALU_DEP_2) | instskip(NEXT) | instid1(VALU_DEP_2)
	v_ldexp_f32 v18, v18, -2
	v_sub_f32_e32 v20, v31, v30
	s_delay_alu instid0(VALU_DEP_1) | instskip(NEXT) | instid1(VALU_DEP_1)
	v_add_f32_e32 v16, v16, v20
	v_dual_sub_f32 v16, v16, v18 :: v_dual_lshrrev_b32 v18, 16, v29
	s_delay_alu instid0(VALU_DEP_1) | instskip(NEXT) | instid1(VALU_DEP_1)
	v_add_f32_e32 v16, v32, v16
	v_cndmask_b32_e64 v16, 0x7f800000, v16, s4
	v_cmp_gt_f32_e64 s4, 0x39800000, |v29|
	s_delay_alu instid0(VALU_DEP_1) | instskip(NEXT) | instid1(VALU_DEP_1)
	v_cndmask_b32_e64 v16, v16, |v29|, s4
	v_cvt_f16_f32_e32 v16, v16
	s_delay_alu instid0(VALU_DEP_1)
	v_bfi_b32 v16, 0x7fff, v16, v18
	global_store_b16 v[8:9], v16, off
	s_wait_xcnt 0x0
	s_or_b32 exec_lo, exec_lo, s21
	s_and_saveexec_b32 s4, s3
	s_cbranch_execz .LBB127_13
.LBB127_17:                             ;   in Loop: Header=BB127_4 Depth=1
	v_add_f32_e64 v16, 0xbf317218, |v28|
	v_cmp_nlt_f32_e64 s3, 0x42b2d4fc, |v28|
	s_delay_alu instid0(VALU_DEP_2) | instskip(NEXT) | instid1(VALU_DEP_1)
	v_sub_f32_e64 v18, v16, |v28|
	v_sub_f32_e32 v20, v18, v16
	v_add_f32_e32 v18, 0x3f317218, v18
	s_delay_alu instid0(VALU_DEP_2) | instskip(NEXT) | instid1(VALU_DEP_1)
	v_add_f32_e64 v20, |v28|, v20
	v_sub_f32_e32 v18, v20, v18
	s_delay_alu instid0(VALU_DEP_1) | instskip(NEXT) | instid1(VALU_DEP_1)
	v_add_f32_e32 v18, 0x3102e308, v18
	v_add_f32_e32 v20, v16, v18
	s_delay_alu instid0(VALU_DEP_1) | instskip(NEXT) | instid1(VALU_DEP_1)
	v_dual_mul_f32 v29, 0x3fb8aa3b, v20 :: v_dual_sub_f32 v16, v16, v20
	v_rndne_f32_e32 v29, v29
	s_delay_alu instid0(VALU_DEP_2) | instskip(NEXT) | instid1(VALU_DEP_2)
	v_add_f32_e32 v16, v18, v16
	v_fmac_f32_e32 v20, 0xbf317200, v29
	v_mul_f32_e32 v18, 0x35bfbc00, v29
	s_delay_alu instid0(VALU_DEP_2) | instskip(NEXT) | instid1(VALU_DEP_1)
	v_add_f32_e32 v30, v16, v20
	v_sub_f32_e32 v20, v20, v30
	s_delay_alu instid0(VALU_DEP_1) | instskip(NEXT) | instid1(VALU_DEP_1)
	v_dual_add_f32 v16, v16, v20 :: v_dual_sub_f32 v31, v30, v18
	v_sub_f32_e32 v30, v30, v31
	s_delay_alu instid0(VALU_DEP_1) | instskip(NEXT) | instid1(VALU_DEP_1)
	v_sub_f32_e32 v18, v30, v18
	v_add_f32_e32 v16, v16, v18
	v_mul_f32_e32 v18, 0x2ea39ef3, v29
	s_delay_alu instid0(VALU_DEP_2) | instskip(NEXT) | instid1(VALU_DEP_1)
	v_add_f32_e32 v20, v31, v16
	v_dual_sub_f32 v30, v20, v18 :: v_dual_sub_f32 v31, v31, v20
	s_delay_alu instid0(VALU_DEP_1) | instskip(NEXT) | instid1(VALU_DEP_2)
	v_sub_f32_e32 v20, v20, v30
	v_add_f32_e32 v16, v16, v31
	s_delay_alu instid0(VALU_DEP_2) | instskip(NEXT) | instid1(VALU_DEP_1)
	v_sub_f32_e32 v18, v20, v18
	v_add_f32_e32 v16, v16, v18
	s_delay_alu instid0(VALU_DEP_1) | instskip(NEXT) | instid1(VALU_DEP_1)
	v_add_f32_e32 v18, v30, v16
	v_sub_f32_e32 v20, v30, v18
	v_mul_f32_e32 v30, v18, v18
	s_delay_alu instid0(VALU_DEP_1) | instskip(SKIP_1) | instid1(VALU_DEP_2)
	v_dual_fma_f32 v31, v18, v18, -v30 :: v_dual_add_f32 v16, v16, v20
	v_fmaak_f32 v20, s20, v18, 0x3c091de6
	v_add_f32_e32 v32, v16, v16
	s_delay_alu instid0(VALU_DEP_2) | instskip(NEXT) | instid1(VALU_DEP_2)
	v_fmaak_f32 v20, v18, v20, 0x3d2aadcc
	v_fmac_f32_e32 v31, v18, v32
	s_delay_alu instid0(VALU_DEP_2) | instskip(NEXT) | instid1(VALU_DEP_2)
	v_fmaak_f32 v20, v18, v20, 0x3e2aaa47
	v_add_f32_e32 v32, v30, v31
	s_delay_alu instid0(VALU_DEP_2) | instskip(NEXT) | instid1(VALU_DEP_1)
	v_fmaak_f32 v20, v18, v20, 0x3efffffc
	v_mul_f32_e32 v33, v20, v32
	v_sub_f32_e32 v30, v32, v30
	s_delay_alu instid0(VALU_DEP_1) | instskip(NEXT) | instid1(VALU_DEP_1)
	v_dual_sub_f32 v30, v31, v30 :: v_dual_fma_f32 v31, v32, v20, -v33
	v_fmac_f32_e32 v31, v30, v20
	s_delay_alu instid0(VALU_DEP_1) | instskip(NEXT) | instid1(VALU_DEP_1)
	v_add_f32_e32 v20, v33, v31
	v_dual_add_f32 v30, v18, v20 :: v_dual_sub_f32 v32, v20, v33
	s_delay_alu instid0(VALU_DEP_1) | instskip(NEXT) | instid1(VALU_DEP_1)
	v_dual_sub_f32 v31, v31, v32 :: v_dual_sub_f32 v18, v30, v18
	v_add_f32_e32 v16, v16, v31
	s_delay_alu instid0(VALU_DEP_2) | instskip(NEXT) | instid1(VALU_DEP_1)
	v_sub_f32_e32 v18, v20, v18
	v_add_f32_e32 v16, v16, v18
	s_delay_alu instid0(VALU_DEP_1) | instskip(NEXT) | instid1(VALU_DEP_1)
	v_add_f32_e32 v18, v30, v16
	v_add_f32_e32 v20, 1.0, v18
	s_delay_alu instid0(VALU_DEP_1) | instskip(NEXT) | instid1(VALU_DEP_1)
	v_dual_add_f32 v31, -1.0, v20 :: v_dual_sub_f32 v30, v18, v30
	v_dual_sub_f32 v16, v16, v30 :: v_dual_sub_f32 v18, v18, v31
	s_delay_alu instid0(VALU_DEP_1) | instskip(SKIP_1) | instid1(VALU_DEP_2)
	v_add_f32_e32 v16, v16, v18
	v_cvt_i32_f32_e32 v18, v29
	v_add_f32_e32 v29, v20, v16
	s_delay_alu instid0(VALU_DEP_1) | instskip(SKIP_1) | instid1(VALU_DEP_2)
	v_ldexp_f32 v30, v29, v18
	v_sub_f32_e32 v20, v29, v20
	v_rcp_f32_e32 v31, v30
	s_delay_alu instid0(VALU_DEP_1) | instskip(NEXT) | instid1(VALU_DEP_1)
	v_sub_f32_e32 v16, v16, v20
	v_ldexp_f32 v16, v16, v18
	s_delay_alu instid0(TRANS32_DEP_1) | instskip(NEXT) | instid1(VALU_DEP_1)
	v_mul_f32_e32 v20, v30, v31
	v_fma_f32 v18, v31, v30, -v20
	s_delay_alu instid0(VALU_DEP_1) | instskip(NEXT) | instid1(VALU_DEP_1)
	v_fmac_f32_e32 v18, v31, v16
	v_add_f32_e32 v29, v20, v18
	s_delay_alu instid0(VALU_DEP_1) | instskip(NEXT) | instid1(VALU_DEP_1)
	v_dual_sub_f32 v32, 1.0, v29 :: v_dual_sub_f32 v20, v29, v20
	v_dual_sub_f32 v33, 1.0, v32 :: v_dual_sub_f32 v18, v20, v18
	s_delay_alu instid0(VALU_DEP_1) | instskip(NEXT) | instid1(VALU_DEP_1)
	v_sub_f32_e32 v20, v33, v29
	v_add_f32_e32 v18, v18, v20
	s_delay_alu instid0(VALU_DEP_1) | instskip(NEXT) | instid1(VALU_DEP_1)
	v_add_f32_e32 v20, v32, v18
	v_mul_f32_e32 v29, v31, v20
	s_delay_alu instid0(VALU_DEP_1) | instskip(NEXT) | instid1(VALU_DEP_1)
	v_mul_f32_e32 v33, v30, v29
	v_fma_f32 v34, v29, v30, -v33
	s_delay_alu instid0(VALU_DEP_1) | instskip(NEXT) | instid1(VALU_DEP_1)
	v_fmac_f32_e32 v34, v29, v16
	v_dual_sub_f32 v32, v32, v20 :: v_dual_add_f32 v35, v33, v34
	s_delay_alu instid0(VALU_DEP_1) | instskip(NEXT) | instid1(VALU_DEP_1)
	v_dual_add_f32 v18, v18, v32 :: v_dual_sub_f32 v36, v20, v35
	v_dual_sub_f32 v32, v35, v33 :: v_dual_sub_f32 v20, v20, v36
	s_delay_alu instid0(VALU_DEP_1) | instskip(NEXT) | instid1(VALU_DEP_2)
	v_sub_f32_e32 v32, v32, v34
	v_sub_f32_e32 v20, v20, v35
	s_delay_alu instid0(VALU_DEP_1) | instskip(NEXT) | instid1(VALU_DEP_1)
	v_dual_add_f32 v18, v18, v20 :: v_dual_add_f32 v20, v31, v29
	v_add_f32_e32 v18, v32, v18
	s_delay_alu instid0(VALU_DEP_1) | instskip(NEXT) | instid1(VALU_DEP_1)
	v_add_f32_e32 v18, v36, v18
	v_dual_sub_f32 v32, v20, v31 :: v_dual_mul_f32 v18, v31, v18
	s_delay_alu instid0(VALU_DEP_1) | instskip(NEXT) | instid1(VALU_DEP_1)
	v_sub_f32_e32 v29, v29, v32
	v_add_f32_e32 v18, v29, v18
	s_delay_alu instid0(VALU_DEP_1) | instskip(NEXT) | instid1(VALU_DEP_1)
	v_add_f32_e32 v29, v20, v18
	v_ldexp_f32 v31, v29, -2
	s_delay_alu instid0(VALU_DEP_1) | instskip(NEXT) | instid1(VALU_DEP_1)
	v_dual_sub_f32 v20, v29, v20 :: v_dual_sub_f32 v32, v30, v31
	v_sub_f32_e32 v29, v30, v32
	s_delay_alu instid0(VALU_DEP_2) | instskip(NEXT) | instid1(VALU_DEP_1)
	v_sub_f32_e32 v18, v18, v20
	v_ldexp_f32 v18, v18, -2
	s_delay_alu instid0(VALU_DEP_3) | instskip(NEXT) | instid1(VALU_DEP_1)
	v_sub_f32_e32 v20, v29, v31
	v_add_f32_e32 v16, v16, v20
	s_delay_alu instid0(VALU_DEP_1) | instskip(NEXT) | instid1(VALU_DEP_1)
	v_dual_sub_f32 v16, v16, v18 :: v_dual_lshrrev_b32 v18, 16, v28
	v_add_f32_e32 v16, v32, v16
	s_delay_alu instid0(VALU_DEP_1) | instskip(SKIP_1) | instid1(VALU_DEP_1)
	v_cndmask_b32_e64 v16, 0x7f800000, v16, s3
	v_cmp_gt_f32_e64 s3, 0x39800000, |v28|
	v_cndmask_b32_e64 v16, v16, |v28|, s3
	s_delay_alu instid0(VALU_DEP_1) | instskip(NEXT) | instid1(VALU_DEP_1)
	v_cvt_f16_f32_e32 v16, v16
	v_bfi_b32 v16, 0x7fff, v16, v18
	global_store_b16 v[14:15], v16, off
	s_wait_xcnt 0x0
	s_or_b32 exec_lo, exec_lo, s4
	s_and_saveexec_b32 s3, s2
	s_cbranch_execz .LBB127_14
.LBB127_18:                             ;   in Loop: Header=BB127_4 Depth=1
	v_add_f32_e64 v16, 0xbf317218, |v27|
	v_cmp_nlt_f32_e64 s2, 0x42b2d4fc, |v27|
	s_delay_alu instid0(VALU_DEP_2) | instskip(NEXT) | instid1(VALU_DEP_1)
	v_sub_f32_e64 v18, v16, |v27|
	v_sub_f32_e32 v20, v18, v16
	v_add_f32_e32 v18, 0x3f317218, v18
	s_delay_alu instid0(VALU_DEP_2) | instskip(NEXT) | instid1(VALU_DEP_1)
	v_add_f32_e64 v20, |v27|, v20
	v_sub_f32_e32 v18, v20, v18
	s_delay_alu instid0(VALU_DEP_1) | instskip(NEXT) | instid1(VALU_DEP_1)
	v_add_f32_e32 v18, 0x3102e308, v18
	v_add_f32_e32 v20, v16, v18
	s_delay_alu instid0(VALU_DEP_1) | instskip(SKIP_1) | instid1(VALU_DEP_2)
	v_mul_f32_e32 v28, 0x3fb8aa3b, v20
	v_sub_f32_e32 v16, v16, v20
	v_rndne_f32_e32 v28, v28
	s_delay_alu instid0(VALU_DEP_2) | instskip(NEXT) | instid1(VALU_DEP_2)
	v_add_f32_e32 v16, v18, v16
	v_fmac_f32_e32 v20, 0xbf317200, v28
	v_mul_f32_e32 v18, 0x35bfbc00, v28
	s_delay_alu instid0(VALU_DEP_2) | instskip(NEXT) | instid1(VALU_DEP_1)
	v_add_f32_e32 v29, v16, v20
	v_dual_sub_f32 v30, v29, v18 :: v_dual_sub_f32 v20, v20, v29
	s_delay_alu instid0(VALU_DEP_1) | instskip(NEXT) | instid1(VALU_DEP_1)
	v_dual_sub_f32 v29, v29, v30 :: v_dual_add_f32 v16, v16, v20
	v_sub_f32_e32 v18, v29, v18
	s_delay_alu instid0(VALU_DEP_1) | instskip(SKIP_1) | instid1(VALU_DEP_2)
	v_add_f32_e32 v16, v16, v18
	v_mul_f32_e32 v18, 0x2ea39ef3, v28
	v_add_f32_e32 v20, v30, v16
	s_delay_alu instid0(VALU_DEP_1) | instskip(NEXT) | instid1(VALU_DEP_1)
	v_sub_f32_e32 v30, v30, v20
	v_add_f32_e32 v16, v16, v30
	s_delay_alu instid0(VALU_DEP_4) | instskip(NEXT) | instid1(VALU_DEP_1)
	v_sub_f32_e32 v29, v20, v18
	v_sub_f32_e32 v20, v20, v29
	s_delay_alu instid0(VALU_DEP_1) | instskip(NEXT) | instid1(VALU_DEP_1)
	v_sub_f32_e32 v18, v20, v18
	v_add_f32_e32 v16, v16, v18
	s_delay_alu instid0(VALU_DEP_1) | instskip(NEXT) | instid1(VALU_DEP_1)
	v_add_f32_e32 v18, v29, v16
	v_dual_sub_f32 v20, v29, v18 :: v_dual_mul_f32 v29, v18, v18
	s_delay_alu instid0(VALU_DEP_1) | instskip(NEXT) | instid1(VALU_DEP_1)
	v_dual_fma_f32 v30, v18, v18, -v29 :: v_dual_add_f32 v16, v16, v20
	v_add_f32_e32 v31, v16, v16
	s_delay_alu instid0(VALU_DEP_1) | instskip(NEXT) | instid1(VALU_DEP_1)
	v_fmac_f32_e32 v30, v18, v31
	v_add_f32_e32 v31, v29, v30
	s_delay_alu instid0(VALU_DEP_1) | instskip(NEXT) | instid1(VALU_DEP_1)
	v_dual_sub_f32 v29, v31, v29 :: v_dual_fmaak_f32 v20, s20, v18, 0x3c091de6
	v_sub_f32_e32 v29, v30, v29
	s_delay_alu instid0(VALU_DEP_2) | instskip(NEXT) | instid1(VALU_DEP_1)
	v_fmaak_f32 v20, v18, v20, 0x3d2aadcc
	v_fmaak_f32 v20, v18, v20, 0x3e2aaa47
	s_delay_alu instid0(VALU_DEP_1) | instskip(NEXT) | instid1(VALU_DEP_1)
	v_fmaak_f32 v20, v18, v20, 0x3efffffc
	v_mul_f32_e32 v32, v20, v31
	s_delay_alu instid0(VALU_DEP_1) | instskip(NEXT) | instid1(VALU_DEP_1)
	v_fma_f32 v30, v31, v20, -v32
	v_fmac_f32_e32 v30, v29, v20
	s_delay_alu instid0(VALU_DEP_1) | instskip(NEXT) | instid1(VALU_DEP_1)
	v_add_f32_e32 v20, v32, v30
	v_sub_f32_e32 v31, v20, v32
	s_delay_alu instid0(VALU_DEP_1) | instskip(NEXT) | instid1(VALU_DEP_1)
	v_sub_f32_e32 v30, v30, v31
	v_dual_add_f32 v29, v18, v20 :: v_dual_add_f32 v16, v16, v30
	s_delay_alu instid0(VALU_DEP_1) | instskip(NEXT) | instid1(VALU_DEP_1)
	v_sub_f32_e32 v18, v29, v18
	v_sub_f32_e32 v18, v20, v18
	s_delay_alu instid0(VALU_DEP_1) | instskip(NEXT) | instid1(VALU_DEP_1)
	v_add_f32_e32 v16, v16, v18
	v_add_f32_e32 v18, v29, v16
	s_delay_alu instid0(VALU_DEP_1) | instskip(NEXT) | instid1(VALU_DEP_1)
	v_dual_add_f32 v20, 1.0, v18 :: v_dual_sub_f32 v29, v18, v29
	v_dual_add_f32 v30, -1.0, v20 :: v_dual_sub_f32 v16, v16, v29
	s_delay_alu instid0(VALU_DEP_1) | instskip(NEXT) | instid1(VALU_DEP_1)
	v_sub_f32_e32 v18, v18, v30
	v_add_f32_e32 v16, v16, v18
	v_cvt_i32_f32_e32 v18, v28
	s_delay_alu instid0(VALU_DEP_2) | instskip(NEXT) | instid1(VALU_DEP_1)
	v_add_f32_e32 v28, v20, v16
	v_ldexp_f32 v29, v28, v18
	v_sub_f32_e32 v20, v28, v20
	s_delay_alu instid0(VALU_DEP_2) | instskip(NEXT) | instid1(VALU_DEP_1)
	v_rcp_f32_e32 v30, v29
	v_sub_f32_e32 v16, v16, v20
	s_delay_alu instid0(VALU_DEP_1) | instskip(NEXT) | instid1(TRANS32_DEP_1)
	v_ldexp_f32 v16, v16, v18
	v_mul_f32_e32 v20, v29, v30
	s_delay_alu instid0(VALU_DEP_1) | instskip(NEXT) | instid1(VALU_DEP_1)
	v_fma_f32 v18, v30, v29, -v20
	v_fmac_f32_e32 v18, v30, v16
	s_delay_alu instid0(VALU_DEP_1) | instskip(NEXT) | instid1(VALU_DEP_1)
	v_add_f32_e32 v28, v20, v18
	v_sub_f32_e32 v20, v28, v20
	s_delay_alu instid0(VALU_DEP_1) | instskip(NEXT) | instid1(VALU_DEP_1)
	v_dual_sub_f32 v18, v20, v18 :: v_dual_sub_f32 v31, 1.0, v28
	v_sub_f32_e32 v32, 1.0, v31
	s_delay_alu instid0(VALU_DEP_1) | instskip(NEXT) | instid1(VALU_DEP_1)
	v_sub_f32_e32 v20, v32, v28
	v_add_f32_e32 v18, v18, v20
	s_delay_alu instid0(VALU_DEP_1) | instskip(NEXT) | instid1(VALU_DEP_1)
	v_add_f32_e32 v20, v31, v18
	v_mul_f32_e32 v28, v30, v20
	s_delay_alu instid0(VALU_DEP_1) | instskip(NEXT) | instid1(VALU_DEP_1)
	v_mul_f32_e32 v32, v29, v28
	v_dual_sub_f32 v31, v31, v20 :: v_dual_fma_f32 v33, v28, v29, -v32
	s_delay_alu instid0(VALU_DEP_1) | instskip(NEXT) | instid1(VALU_DEP_1)
	v_dual_add_f32 v18, v18, v31 :: v_dual_fmac_f32 v33, v28, v16
	v_add_f32_e32 v34, v32, v33
	s_delay_alu instid0(VALU_DEP_1) | instskip(NEXT) | instid1(VALU_DEP_1)
	v_dual_sub_f32 v35, v20, v34 :: v_dual_sub_f32 v31, v34, v32
	v_dual_sub_f32 v20, v20, v35 :: v_dual_sub_f32 v31, v31, v33
	s_delay_alu instid0(VALU_DEP_1) | instskip(NEXT) | instid1(VALU_DEP_1)
	v_sub_f32_e32 v20, v20, v34
	v_add_f32_e32 v18, v18, v20
	s_delay_alu instid0(VALU_DEP_1) | instskip(NEXT) | instid1(VALU_DEP_1)
	v_dual_add_f32 v18, v31, v18 :: v_dual_add_f32 v20, v30, v28
	v_add_f32_e32 v18, v35, v18
	s_delay_alu instid0(VALU_DEP_2) | instskip(NEXT) | instid1(VALU_DEP_1)
	v_sub_f32_e32 v31, v20, v30
	v_dual_mul_f32 v18, v30, v18 :: v_dual_sub_f32 v28, v28, v31
	s_delay_alu instid0(VALU_DEP_1) | instskip(NEXT) | instid1(VALU_DEP_1)
	v_add_f32_e32 v18, v28, v18
	v_add_f32_e32 v28, v20, v18
	s_delay_alu instid0(VALU_DEP_1) | instskip(NEXT) | instid1(VALU_DEP_1)
	v_sub_f32_e32 v20, v28, v20
	v_sub_f32_e32 v18, v18, v20
	v_ldexp_f32 v30, v28, -2
	s_delay_alu instid0(VALU_DEP_2) | instskip(NEXT) | instid1(VALU_DEP_2)
	v_ldexp_f32 v18, v18, -2
	v_sub_f32_e32 v31, v29, v30
	s_delay_alu instid0(VALU_DEP_1) | instskip(NEXT) | instid1(VALU_DEP_1)
	v_sub_f32_e32 v28, v29, v31
	v_sub_f32_e32 v20, v28, v30
	s_delay_alu instid0(VALU_DEP_1) | instskip(NEXT) | instid1(VALU_DEP_1)
	v_add_f32_e32 v16, v16, v20
	v_dual_sub_f32 v16, v16, v18 :: v_dual_lshrrev_b32 v18, 16, v27
	s_delay_alu instid0(VALU_DEP_1) | instskip(NEXT) | instid1(VALU_DEP_1)
	v_add_f32_e32 v16, v31, v16
	v_cndmask_b32_e64 v16, 0x7f800000, v16, s2
	v_cmp_gt_f32_e64 s2, 0x39800000, |v27|
	s_delay_alu instid0(VALU_DEP_1) | instskip(NEXT) | instid1(VALU_DEP_1)
	v_cndmask_b32_e64 v16, v16, |v27|, s2
	v_cvt_f16_f32_e32 v16, v16
	s_delay_alu instid0(VALU_DEP_1)
	v_bfi_b32 v16, 0x7fff, v16, v18
	global_store_b16 v[24:25], v16, off
	s_wait_xcnt 0x0
	s_or_b32 exec_lo, exec_lo, s3
	s_and_saveexec_b32 s2, vcc_lo
	s_cbranch_execz .LBB127_3
.LBB127_19:                             ;   in Loop: Header=BB127_4 Depth=1
	v_add_f32_e64 v16, 0xbf317218, |v26|
	v_cmp_nlt_f32_e64 vcc_lo, 0x42b2d4fc, |v26|
	v_cmp_gt_f32_e64 s3, 0x39800000, |v26|
	s_delay_alu instid0(VALU_DEP_3) | instskip(NEXT) | instid1(VALU_DEP_1)
	v_sub_f32_e64 v18, v16, |v26|
	v_sub_f32_e32 v20, v18, v16
	v_add_f32_e32 v18, 0x3f317218, v18
	s_delay_alu instid0(VALU_DEP_2) | instskip(NEXT) | instid1(VALU_DEP_1)
	v_add_f32_e64 v20, |v26|, v20
	v_sub_f32_e32 v18, v20, v18
	s_delay_alu instid0(VALU_DEP_1) | instskip(NEXT) | instid1(VALU_DEP_1)
	v_add_f32_e32 v18, 0x3102e308, v18
	v_add_f32_e32 v20, v16, v18
	s_delay_alu instid0(VALU_DEP_1) | instskip(SKIP_1) | instid1(VALU_DEP_2)
	v_mul_f32_e32 v24, 0x3fb8aa3b, v20
	v_sub_f32_e32 v16, v16, v20
	v_rndne_f32_e32 v24, v24
	s_delay_alu instid0(VALU_DEP_2) | instskip(NEXT) | instid1(VALU_DEP_2)
	v_add_f32_e32 v16, v18, v16
	v_fmac_f32_e32 v20, 0xbf317200, v24
	v_mul_f32_e32 v18, 0x35bfbc00, v24
	s_delay_alu instid0(VALU_DEP_2) | instskip(NEXT) | instid1(VALU_DEP_1)
	v_add_f32_e32 v25, v16, v20
	v_dual_sub_f32 v27, v25, v18 :: v_dual_sub_f32 v20, v20, v25
	s_delay_alu instid0(VALU_DEP_1) | instskip(NEXT) | instid1(VALU_DEP_1)
	v_dual_sub_f32 v25, v25, v27 :: v_dual_add_f32 v16, v16, v20
	v_sub_f32_e32 v18, v25, v18
	s_delay_alu instid0(VALU_DEP_1) | instskip(SKIP_1) | instid1(VALU_DEP_2)
	v_add_f32_e32 v16, v16, v18
	v_mul_f32_e32 v18, 0x2ea39ef3, v24
	v_add_f32_e32 v20, v27, v16
	s_delay_alu instid0(VALU_DEP_1) | instskip(NEXT) | instid1(VALU_DEP_1)
	v_sub_f32_e32 v27, v27, v20
	v_add_f32_e32 v16, v16, v27
	s_delay_alu instid0(VALU_DEP_4) | instskip(NEXT) | instid1(VALU_DEP_1)
	v_sub_f32_e32 v25, v20, v18
	v_sub_f32_e32 v20, v20, v25
	s_delay_alu instid0(VALU_DEP_1) | instskip(NEXT) | instid1(VALU_DEP_1)
	v_sub_f32_e32 v18, v20, v18
	v_add_f32_e32 v16, v16, v18
	s_delay_alu instid0(VALU_DEP_1) | instskip(NEXT) | instid1(VALU_DEP_1)
	v_add_f32_e32 v18, v25, v16
	v_dual_sub_f32 v20, v25, v18 :: v_dual_mul_f32 v25, v18, v18
	s_delay_alu instid0(VALU_DEP_1) | instskip(NEXT) | instid1(VALU_DEP_1)
	v_dual_fma_f32 v27, v18, v18, -v25 :: v_dual_add_f32 v16, v16, v20
	v_add_f32_e32 v28, v16, v16
	s_delay_alu instid0(VALU_DEP_1) | instskip(NEXT) | instid1(VALU_DEP_1)
	v_dual_fmaak_f32 v20, s20, v18, 0x3c091de6 :: v_dual_fmac_f32 v27, v18, v28
	v_fmaak_f32 v20, v18, v20, 0x3d2aadcc
	s_delay_alu instid0(VALU_DEP_2) | instskip(NEXT) | instid1(VALU_DEP_1)
	v_add_f32_e32 v28, v25, v27
	v_dual_fmaak_f32 v20, v18, v20, 0x3e2aaa47 :: v_dual_sub_f32 v25, v28, v25
	s_delay_alu instid0(VALU_DEP_1) | instskip(NEXT) | instid1(VALU_DEP_1)
	v_dual_fmaak_f32 v20, v18, v20, 0x3efffffc :: v_dual_sub_f32 v25, v27, v25
	v_mul_f32_e32 v29, v20, v28
	s_delay_alu instid0(VALU_DEP_1) | instskip(NEXT) | instid1(VALU_DEP_1)
	v_fma_f32 v27, v28, v20, -v29
	v_fmac_f32_e32 v27, v25, v20
	s_delay_alu instid0(VALU_DEP_1) | instskip(NEXT) | instid1(VALU_DEP_1)
	v_add_f32_e32 v20, v29, v27
	v_add_f32_e32 v25, v18, v20
	s_delay_alu instid0(VALU_DEP_1) | instskip(NEXT) | instid1(VALU_DEP_1)
	v_dual_sub_f32 v18, v25, v18 :: v_dual_sub_f32 v28, v20, v29
	v_dual_sub_f32 v18, v20, v18 :: v_dual_sub_f32 v27, v27, v28
	s_delay_alu instid0(VALU_DEP_1) | instskip(NEXT) | instid1(VALU_DEP_1)
	v_add_f32_e32 v16, v16, v27
	v_add_f32_e32 v16, v16, v18
	s_delay_alu instid0(VALU_DEP_1) | instskip(NEXT) | instid1(VALU_DEP_1)
	v_add_f32_e32 v18, v25, v16
	v_sub_f32_e32 v25, v18, v25
	s_delay_alu instid0(VALU_DEP_1) | instskip(NEXT) | instid1(VALU_DEP_1)
	v_dual_sub_f32 v16, v16, v25 :: v_dual_add_f32 v20, 1.0, v18
	v_add_f32_e32 v27, -1.0, v20
	s_delay_alu instid0(VALU_DEP_1) | instskip(NEXT) | instid1(VALU_DEP_1)
	v_sub_f32_e32 v18, v18, v27
	v_add_f32_e32 v16, v16, v18
	v_cvt_i32_f32_e32 v18, v24
	s_delay_alu instid0(VALU_DEP_2) | instskip(NEXT) | instid1(VALU_DEP_1)
	v_add_f32_e32 v24, v20, v16
	v_ldexp_f32 v25, v24, v18
	v_sub_f32_e32 v20, v24, v20
	s_delay_alu instid0(VALU_DEP_2) | instskip(SKIP_1) | instid1(TRANS32_DEP_1)
	v_rcp_f32_e32 v27, v25
	v_nop
	v_dual_sub_f32 v16, v16, v20 :: v_dual_mul_f32 v20, v25, v27
	s_delay_alu instid0(VALU_DEP_1) | instskip(NEXT) | instid1(VALU_DEP_2)
	v_ldexp_f32 v16, v16, v18
	v_fma_f32 v18, v27, v25, -v20
	s_delay_alu instid0(VALU_DEP_1) | instskip(NEXT) | instid1(VALU_DEP_1)
	v_fmac_f32_e32 v18, v27, v16
	v_add_f32_e32 v24, v20, v18
	s_delay_alu instid0(VALU_DEP_1) | instskip(NEXT) | instid1(VALU_DEP_1)
	v_sub_f32_e32 v28, 1.0, v24
	v_sub_f32_e32 v29, 1.0, v28
	v_sub_f32_e32 v20, v24, v20
	s_delay_alu instid0(VALU_DEP_1) | instskip(NEXT) | instid1(VALU_DEP_1)
	v_dual_sub_f32 v18, v20, v18 :: v_dual_sub_f32 v20, v29, v24
	v_add_f32_e32 v18, v18, v20
	s_delay_alu instid0(VALU_DEP_1) | instskip(NEXT) | instid1(VALU_DEP_1)
	v_add_f32_e32 v20, v28, v18
	v_mul_f32_e32 v24, v27, v20
	s_delay_alu instid0(VALU_DEP_1) | instskip(SKIP_1) | instid1(VALU_DEP_2)
	v_mul_f32_e32 v29, v25, v24
	v_sub_f32_e32 v28, v28, v20
	v_fma_f32 v30, v24, v25, -v29
	s_delay_alu instid0(VALU_DEP_1) | instskip(NEXT) | instid1(VALU_DEP_1)
	v_fmac_f32_e32 v30, v24, v16
	v_add_f32_e32 v31, v29, v30
	s_delay_alu instid0(VALU_DEP_1) | instskip(NEXT) | instid1(VALU_DEP_1)
	v_sub_f32_e32 v32, v20, v31
	v_sub_f32_e32 v20, v20, v32
	v_dual_add_f32 v18, v18, v28 :: v_dual_sub_f32 v28, v31, v29
	s_delay_alu instid0(VALU_DEP_2) | instskip(NEXT) | instid1(VALU_DEP_1)
	v_sub_f32_e32 v20, v20, v31
	v_dual_sub_f32 v28, v28, v30 :: v_dual_add_f32 v18, v18, v20
	s_delay_alu instid0(VALU_DEP_1) | instskip(NEXT) | instid1(VALU_DEP_1)
	v_dual_add_f32 v20, v27, v24 :: v_dual_add_f32 v18, v28, v18
	v_sub_f32_e32 v28, v20, v27
	s_delay_alu instid0(VALU_DEP_2) | instskip(NEXT) | instid1(VALU_DEP_1)
	v_add_f32_e32 v18, v32, v18
	v_dual_sub_f32 v24, v24, v28 :: v_dual_mul_f32 v18, v27, v18
	s_delay_alu instid0(VALU_DEP_1) | instskip(NEXT) | instid1(VALU_DEP_1)
	v_add_f32_e32 v18, v24, v18
	v_add_f32_e32 v24, v20, v18
	s_delay_alu instid0(VALU_DEP_1) | instskip(NEXT) | instid1(VALU_DEP_1)
	v_ldexp_f32 v27, v24, -2
	v_dual_sub_f32 v20, v24, v20 :: v_dual_sub_f32 v28, v25, v27
	s_delay_alu instid0(VALU_DEP_1) | instskip(NEXT) | instid1(VALU_DEP_1)
	v_sub_f32_e32 v24, v25, v28
	v_dual_sub_f32 v18, v18, v20 :: v_dual_sub_f32 v20, v24, v27
	s_delay_alu instid0(VALU_DEP_1) | instskip(NEXT) | instid1(VALU_DEP_2)
	v_ldexp_f32 v18, v18, -2
	v_add_f32_e32 v16, v16, v20
	s_delay_alu instid0(VALU_DEP_1) | instskip(NEXT) | instid1(VALU_DEP_1)
	v_sub_f32_e32 v16, v16, v18
	v_dual_lshrrev_b32 v18, 16, v26 :: v_dual_add_f32 v16, v28, v16
	s_delay_alu instid0(VALU_DEP_1) | instskip(NEXT) | instid1(VALU_DEP_1)
	v_cndmask_b32_e32 v16, 0x7f800000, v16, vcc_lo
	v_cndmask_b32_e64 v16, v16, |v26|, s3
	s_delay_alu instid0(VALU_DEP_1) | instskip(NEXT) | instid1(VALU_DEP_1)
	v_cvt_f16_f32_e32 v16, v16
	v_bfi_b32 v16, 0x7fff, v16, v18
	global_store_b16 v[22:23], v16, off
	s_branch .LBB127_3
.LBB127_20:
	s_cbranch_execz .LBB127_22
	s_branch .LBB127_25
.LBB127_21:
.LBB127_22:
	v_min_i64 v[2:3], 0x10000, s[10:11]
	v_dual_mov_b32 v11, 0 :: v_dual_lshlrev_b32 v10, 2, v0
	s_mov_b32 s2, exec_lo
	s_delay_alu instid0(VALU_DEP_1)
	v_cmpx_lt_i64_e64 v[10:11], v[2:3]
	s_cbranch_execz .LBB127_25
; %bb.23:
	s_load_b32 s0, s[0:1], 0xd3c
	v_dual_mov_b32 v1, v11 :: v_dual_lshlrev_b32 v10, 3, v0
	s_add_nc_u64 s[2:3], s[6:7], s[8:9]
	s_mov_b32 s4, 0x3ab42872
	s_mov_b32 s5, -1.0
	v_mov_b32_e32 v5, 0x3f317218
	v_add_nc_u64_e32 v[10:11], s[2:3], v[10:11]
	v_mov_b64_e32 v[12:13], s[4:5]
	v_dual_mov_b32 v7, -1.0 :: v_dual_mov_b32 v9, 1.0
	s_wait_xcnt 0x0
	s_mov_b32 s1, 0
	s_delay_alu instid0(SALU_CYCLE_1) | instskip(SKIP_3) | instid1(SALU_CYCLE_1)
	s_mov_b32 s3, s1
	s_mov_b32 s5, s1
	s_wait_kmcnt 0x0
	s_and_b32 s0, s0, 0xffff
	s_lshl_b32 s2, s0, 3
.LBB127_24:                             ; =>This Inner Loop Header: Depth=1
	global_load_b64 v[14:15], v[10:11], off
	v_dual_mov_b32 v17, v5 :: v_dual_mov_b32 v27, v5
	v_add_nc_u64_e32 v[0:1], s[0:1], v[0:1]
	v_mov_b32_e32 v29, v5
	s_wait_loadcnt 0x0
	v_cvt_f32_f16_e32 v20, v14
	v_dual_lshrrev_b32 v23, 16, v14 :: v_dual_lshrrev_b32 v24, 16, v15
	v_cvt_f32_f16_e32 v21, v15
	s_delay_alu instid0(VALU_DEP_3) | instskip(SKIP_1) | instid1(VALU_DEP_4)
	v_add_f32_e64 v6, 0xbf317218, |v20|
	v_and_b32_e32 v4, 0x7fffffff, v20
	v_cvt_f32_f16_e32 v22, v23
	s_delay_alu instid0(VALU_DEP_4)
	v_add_f32_e64 v8, 0xbf317218, |v21|
	v_and_b32_e32 v26, 0x7fffffff, v21
	v_sub_f32_e64 v19, v6, |v20|
	v_cmp_nlt_f32_e64 vcc_lo, 0x42b2d4fc, |v20|
	v_add_f32_e64 v25, 0xbf317218, |v22|
	v_sub_f32_e64 v31, v8, |v21|
	v_and_b32_e32 v16, 0x7fffffff, v22
	v_sub_f32_e32 v18, v19, v6
	v_cmp_gt_f32_e64 s6, 0x39800000, |v20|
	s_delay_alu instid0(VALU_DEP_4) | instskip(NEXT) | instid1(VALU_DEP_3)
	v_sub_f32_e32 v30, v31, v8
	v_pk_add_f32 v[18:19], v[4:5], v[18:19]
	v_cvt_f32_f16_e32 v4, v24
	s_delay_alu instid0(VALU_DEP_3) | instskip(NEXT) | instid1(VALU_DEP_3)
	v_pk_add_f32 v[26:27], v[26:27], v[30:31]
	v_sub_f32_e32 v18, v18, v19
	v_sub_f32_e64 v19, v25, |v22|
	s_delay_alu instid0(VALU_DEP_4) | instskip(SKIP_1) | instid1(VALU_DEP_3)
	v_add_f32_e64 v34, 0xbf317218, |v4|
	v_and_b32_e32 v28, 0x7fffffff, v4
	v_dual_add_f32 v35, 0x3102e308, v18 :: v_dual_sub_f32 v18, v19, v25
	s_delay_alu instid0(VALU_DEP_3) | instskip(NEXT) | instid1(VALU_DEP_2)
	v_sub_f32_e64 v33, v34, |v4|
	v_add_f32_e32 v30, v6, v35
	s_delay_alu instid0(VALU_DEP_3) | instskip(NEXT) | instid1(VALU_DEP_3)
	v_pk_add_f32 v[16:17], v[16:17], v[18:19]
	v_dual_sub_f32 v32, v33, v34 :: v_dual_sub_f32 v26, v26, v27
	s_delay_alu instid0(VALU_DEP_2) | instskip(NEXT) | instid1(VALU_DEP_2)
	v_dual_mul_f32 v27, 0x3fb8aa3b, v30 :: v_dual_sub_f32 v16, v16, v17
	v_pk_add_f32 v[18:19], v[28:29], v[32:33]
	s_delay_alu instid0(VALU_DEP_3) | instskip(SKIP_1) | instid1(VALU_DEP_4)
	v_add_f32_e32 v17, 0x3102e308, v26
	v_sub_f32_e32 v6, v6, v30
	v_rndne_f32_e32 v26, v27
	s_delay_alu instid0(VALU_DEP_4) | instskip(NEXT) | instid1(VALU_DEP_3)
	v_dual_add_f32 v27, 0x3102e308, v16 :: v_dual_sub_f32 v18, v18, v19
	v_dual_add_f32 v28, v8, v17 :: v_dual_add_f32 v6, v35, v6
	s_delay_alu instid0(VALU_DEP_3) | instskip(NEXT) | instid1(VALU_DEP_3)
	v_mul_f32_e32 v29, 0x35bfbc00, v26
	v_dual_add_f32 v31, v25, v27 :: v_dual_fmac_f32 v30, 0xbf317200, v26
	s_delay_alu instid0(VALU_DEP_4) | instskip(NEXT) | instid1(VALU_DEP_4)
	v_add_f32_e32 v18, 0x3102e308, v18
	v_sub_f32_e32 v8, v8, v28
	s_delay_alu instid0(VALU_DEP_3) | instskip(NEXT) | instid1(VALU_DEP_4)
	v_dual_mul_f32 v32, 0x3fb8aa3b, v28 :: v_dual_sub_f32 v25, v25, v31
	v_add_f32_e32 v19, v6, v30
	s_delay_alu instid0(VALU_DEP_4) | instskip(NEXT) | instid1(VALU_DEP_4)
	v_add_f32_e32 v35, v34, v18
	v_dual_mul_f32 v33, 0x3fb8aa3b, v31 :: v_dual_add_f32 v8, v17, v8
	s_delay_alu instid0(VALU_DEP_4) | instskip(NEXT) | instid1(VALU_DEP_4)
	v_rndne_f32_e32 v42, v32
	v_dual_sub_f32 v16, v19, v29 :: v_dual_sub_f32 v30, v30, v19
	v_cvt_i32_f32_e32 v36, v26
	s_delay_alu instid0(VALU_DEP_4) | instskip(NEXT) | instid1(VALU_DEP_3)
	v_rndne_f32_e32 v37, v33
	v_dual_sub_f32 v17, v34, v35 :: v_dual_sub_f32 v32, v19, v16
	v_mul_f32_e32 v19, 0x2ea39ef3, v26
	s_delay_alu instid0(VALU_DEP_3) | instskip(SKIP_1) | instid1(VALU_DEP_4)
	v_dual_add_f32 v6, v6, v30 :: v_dual_fmac_f32 v31, 0xbf317200, v37
	v_dual_mul_f32 v34, 0x3fb8aa3b, v35 :: v_dual_add_f32 v25, v27, v25
	v_sub_f32_e32 v26, v32, v29
	v_fmac_f32_e32 v28, 0xbf317200, v42
	v_mul_f32_e32 v27, 0x2ea39ef3, v42
	v_mul_f32_e32 v29, 0x2ea39ef3, v37
	v_rndne_f32_e32 v43, v34
	v_add_f32_e32 v6, v6, v26
	v_add_f32_e32 v26, v18, v17
	v_dual_mul_f32 v34, 0x35bfbc00, v37 :: v_dual_add_f32 v39, v25, v31
	s_delay_alu instid0(VALU_DEP_4) | instskip(NEXT) | instid1(VALU_DEP_4)
	v_fmac_f32_e32 v35, 0xbf317200, v43
	v_add_f32_e32 v17, v16, v6
	v_add_f32_e32 v40, v8, v28
	v_dual_mul_f32 v38, 0x35bfbc00, v42 :: v_dual_mul_f32 v41, 0x35bfbc00, v43
	s_delay_alu instid0(VALU_DEP_3) | instskip(NEXT) | instid1(VALU_DEP_3)
	v_dual_sub_f32 v30, v39, v34 :: v_dual_mov_b32 v18, v17
	v_sub_f32_e32 v28, v28, v40
	s_delay_alu instid0(VALU_DEP_2) | instskip(SKIP_1) | instid1(VALU_DEP_4)
	v_pk_add_f32 v[32:33], v[16:17], v[18:19] neg_lo:[0,1] neg_hi:[0,1]
	v_sub_f32_e32 v18, v31, v39
	v_sub_f32_e32 v31, v39, v30
	v_dual_sub_f32 v16, v40, v38 :: v_dual_add_f32 v39, v26, v35
	s_delay_alu instid0(VALU_DEP_4) | instskip(NEXT) | instid1(VALU_DEP_4)
	v_dual_sub_f32 v17, v17, v33 :: v_dual_add_f32 v8, v8, v28
	v_add_f32_e32 v25, v25, v18
	s_delay_alu instid0(VALU_DEP_4) | instskip(NEXT) | instid1(VALU_DEP_3)
	v_dual_sub_f32 v28, v31, v34 :: v_dual_add_f32 v6, v6, v32
	v_dual_sub_f32 v17, v17, v19 :: v_dual_sub_f32 v19, v40, v16
	s_delay_alu instid0(VALU_DEP_2) | instskip(NEXT) | instid1(VALU_DEP_2)
	v_dual_sub_f32 v18, v39, v41 :: v_dual_add_f32 v25, v25, v28
	v_dual_sub_f32 v28, v35, v39 :: v_dual_add_f32 v6, v6, v17
	s_delay_alu instid0(VALU_DEP_3) | instskip(NEXT) | instid1(VALU_DEP_3)
	v_sub_f32_e32 v17, v19, v38
	v_dual_sub_f32 v19, v39, v18 :: v_dual_add_f32 v31, v30, v25
	s_delay_alu instid0(VALU_DEP_3) | instskip(NEXT) | instid1(VALU_DEP_3)
	v_dual_add_f32 v26, v26, v28 :: v_dual_add_f32 v38, v33, v6
	v_add_f32_e32 v8, v8, v17
	s_delay_alu instid0(VALU_DEP_3) | instskip(NEXT) | instid1(VALU_DEP_4)
	v_sub_f32_e32 v19, v19, v41
	v_dual_mov_b32 v28, v31 :: v_dual_mul_f32 v35, 0x2ea39ef3, v43
	s_delay_alu instid0(VALU_DEP_3) | instskip(NEXT) | instid1(VALU_DEP_3)
	v_dual_sub_f32 v34, v33, v38 :: v_dual_add_f32 v17, v16, v8
	v_add_f32_e32 v39, v26, v19
	s_delay_alu instid0(VALU_DEP_3) | instskip(SKIP_1) | instid1(VALU_DEP_4)
	v_pk_add_f32 v[32:33], v[30:31], v[28:29] neg_lo:[0,1] neg_hi:[0,1]
	v_mul_f32_e32 v30, v38, v38
	v_add_f32_e32 v40, v6, v34
	s_delay_alu instid0(VALU_DEP_4) | instskip(NEXT) | instid1(VALU_DEP_4)
	v_dual_fmaak_f32 v6, s4, v38, 0x3c091de6 :: v_dual_add_f32 v19, v18, v39
	v_dual_mov_b32 v26, v17 :: v_dual_sub_f32 v28, v31, v33
	s_delay_alu instid0(VALU_DEP_3) | instskip(NEXT) | instid1(VALU_DEP_3)
	v_dual_fma_f32 v31, v38, v38, -v30 :: v_dual_add_f32 v34, v40, v40
	v_dual_fmaak_f32 v6, v38, v6, 0x3d2aadcc :: v_dual_add_f32 v25, v25, v32
	s_delay_alu instid0(VALU_DEP_3) | instskip(NEXT) | instid1(VALU_DEP_4)
	v_sub_f32_e32 v32, v28, v29
	v_pk_add_f32 v[28:29], v[16:17], v[26:27] neg_lo:[0,1] neg_hi:[0,1]
	s_delay_alu instid0(VALU_DEP_4) | instskip(NEXT) | instid1(VALU_DEP_4)
	v_fmac_f32_e32 v31, v38, v34
	v_fmaak_f32 v6, v38, v6, 0x3e2aaa47
	s_delay_alu instid0(VALU_DEP_4) | instskip(NEXT) | instid1(VALU_DEP_4)
	v_dual_mov_b32 v34, v19 :: v_dual_add_f32 v25, v25, v32
	v_dual_sub_f32 v32, v17, v29 :: v_dual_add_f32 v8, v8, v28
	s_delay_alu instid0(VALU_DEP_4) | instskip(NEXT) | instid1(VALU_DEP_3)
	v_add_f32_e32 v26, v30, v31
	v_pk_add_f32 v[16:17], v[18:19], v[34:35] neg_lo:[0,1] neg_hi:[0,1]
	s_delay_alu instid0(VALU_DEP_2) | instskip(SKIP_1) | instid1(VALU_DEP_2)
	v_dual_add_f32 v28, v33, v25 :: v_dual_sub_f32 v30, v26, v30
	v_fmaak_f32 v6, v38, v6, 0x3efffffc
	v_dual_sub_f32 v18, v32, v27 :: v_dual_sub_f32 v27, v33, v28
	s_delay_alu instid0(VALU_DEP_4) | instskip(NEXT) | instid1(VALU_DEP_4)
	v_sub_f32_e32 v19, v19, v17
	v_sub_f32_e32 v30, v31, v30
	s_delay_alu instid0(VALU_DEP_4) | instskip(NEXT) | instid1(VALU_DEP_3)
	v_dual_mul_f32 v41, v6, v26 :: v_dual_mul_f32 v31, v28, v28
	v_dual_add_f32 v8, v8, v18 :: v_dual_sub_f32 v18, v19, v35
	s_delay_alu instid0(VALU_DEP_2) | instskip(NEXT) | instid1(VALU_DEP_1)
	v_dual_fma_f32 v26, v26, v6, -v41 :: v_dual_add_f32 v25, v25, v27
	v_dual_fmaak_f32 v27, s4, v28, 0x3c091de6 :: v_dual_fmac_f32 v26, v30, v6
	s_delay_alu instid0(VALU_DEP_2) | instskip(NEXT) | instid1(VALU_DEP_2)
	v_dual_fma_f32 v30, v28, v28, -v31 :: v_dual_add_f32 v6, v25, v25
	v_dual_add_f32 v16, v39, v16 :: v_dual_fmaak_f32 v27, v28, v27, 0x3d2aadcc
	s_delay_alu instid0(VALU_DEP_3) | instskip(NEXT) | instid1(VALU_DEP_2)
	v_add_f32_e32 v32, v41, v26
	v_dual_fmac_f32 v30, v28, v6 :: v_dual_fmaak_f32 v19, v28, v27, 0x3e2aaa47
	s_delay_alu instid0(VALU_DEP_2) | instskip(NEXT) | instid1(VALU_DEP_2)
	v_dual_add_f32 v6, v38, v32 :: v_dual_sub_f32 v27, v32, v41
	v_dual_add_f32 v33, v29, v8 :: v_dual_add_f32 v34, v31, v30
	s_delay_alu instid0(VALU_DEP_2) | instskip(NEXT) | instid1(VALU_DEP_3)
	v_sub_f32_e32 v35, v6, v38
	v_dual_sub_f32 v26, v26, v27 :: v_dual_add_f32 v38, v16, v18
	s_delay_alu instid0(VALU_DEP_3) | instskip(SKIP_1) | instid1(VALU_DEP_4)
	v_sub_f32_e32 v16, v34, v31
	v_fmaak_f32 v19, v28, v19, 0x3efffffc
	v_dual_sub_f32 v29, v29, v33 :: v_dual_sub_f32 v18, v32, v35
	s_delay_alu instid0(VALU_DEP_3) | instskip(NEXT) | instid1(VALU_DEP_3)
	v_dual_fmaak_f32 v31, s4, v33, 0x3c091de6 :: v_dual_sub_f32 v30, v30, v16
	v_mul_f32_e32 v27, v19, v34
	v_add_f32_e32 v26, v40, v26
	s_delay_alu instid0(VALU_DEP_4) | instskip(NEXT) | instid1(VALU_DEP_3)
	v_dual_add_f32 v8, v8, v29 :: v_dual_add_f32 v35, v17, v38
	v_fma_f32 v32, v34, v19, -v27
	s_delay_alu instid0(VALU_DEP_3) | instskip(NEXT) | instid1(VALU_DEP_3)
	v_dual_add_f32 v16, v26, v18 :: v_dual_mul_f32 v34, v33, v33
	v_sub_f32_e32 v17, v17, v35
	s_delay_alu instid0(VALU_DEP_3) | instskip(NEXT) | instid1(VALU_DEP_3)
	v_fmac_f32_e32 v32, v30, v19
	v_dual_add_f32 v18, v6, v16 :: v_dual_fma_f32 v29, v33, v33, -v34
	v_add_f32_e32 v26, v8, v8
	s_delay_alu instid0(VALU_DEP_3) | instskip(NEXT) | instid1(VALU_DEP_3)
	v_dual_fmaak_f32 v30, v33, v31, 0x3d2aadcc :: v_dual_add_f32 v31, v27, v32
	v_dual_add_f32 v19, 1.0, v18 :: v_dual_add_f32 v38, v38, v17
	s_delay_alu instid0(VALU_DEP_2) | instskip(NEXT) | instid1(VALU_DEP_2)
	v_dual_fmac_f32 v29, v33, v26 :: v_dual_sub_f32 v39, v31, v27
	v_pk_add_f32 v[26:27], v[18:19], v[6:7] neg_lo:[0,1] neg_hi:[0,1]
	s_delay_alu instid0(VALU_DEP_2) | instskip(SKIP_1) | instid1(VALU_DEP_2)
	v_dual_fmaak_f32 v30, v33, v30, 0x3e2aaa47 :: v_dual_add_f32 v27, v34, v29
	v_add_f32_e32 v6, v28, v31
	v_dual_sub_f32 v32, v32, v39 :: v_dual_sub_f32 v34, v27, v34
	s_delay_alu instid0(VALU_DEP_2) | instskip(NEXT) | instid1(VALU_DEP_4)
	v_dual_mul_f32 v40, v35, v35 :: v_dual_sub_f32 v28, v6, v28
	v_fmaak_f32 v30, v33, v30, 0x3efffffc
	s_delay_alu instid0(VALU_DEP_3) | instskip(NEXT) | instid1(VALU_DEP_3)
	v_add_f32_e32 v17, v25, v32
	v_dual_sub_f32 v29, v29, v34 :: v_dual_fma_f32 v34, v35, v35, -v40
	s_delay_alu instid0(VALU_DEP_3) | instskip(NEXT) | instid1(VALU_DEP_1)
	v_dual_sub_f32 v25, v31, v28 :: v_dual_mul_f32 v39, v30, v27
	v_fma_f32 v32, v27, v30, -v39
	s_delay_alu instid0(VALU_DEP_2) | instskip(SKIP_1) | instid1(VALU_DEP_2)
	v_dual_fmaak_f32 v27, s4, v35, 0x3c091de6 :: v_dual_add_f32 v28, v17, v25
	v_add_f32_e32 v17, v38, v38
	v_dual_fmac_f32 v32, v29, v30 :: v_dual_fmaak_f32 v25, v35, v27, 0x3d2aadcc
	v_pk_add_f32 v[30:31], v[18:19], v[12:13]
	s_delay_alu instid0(VALU_DEP_3) | instskip(NEXT) | instid1(VALU_DEP_3)
	v_dual_add_f32 v30, v6, v28 :: v_dual_fmac_f32 v34, v35, v17
	v_dual_add_f32 v29, v39, v32 :: v_dual_mov_b32 v17, v18
	s_delay_alu instid0(VALU_DEP_2) | instskip(NEXT) | instid1(VALU_DEP_3)
	v_dual_mov_b32 v27, v31 :: v_dual_add_f32 v31, 1.0, v30
	v_dual_fmaak_f32 v18, v35, v25, 0x3e2aaa47 :: v_dual_add_f32 v25, v40, v34
	s_delay_alu instid0(VALU_DEP_2) | instskip(NEXT) | instid1(VALU_DEP_4)
	v_pk_add_f32 v[16:17], v[16:17], v[26:27] neg_lo:[0,1] neg_hi:[0,1]
	v_sub_f32_e32 v39, v29, v39
	s_delay_alu instid0(VALU_DEP_4) | instskip(NEXT) | instid1(VALU_DEP_4)
	v_pk_add_f32 v[26:27], v[30:31], v[6:7] neg_lo:[0,1] neg_hi:[0,1]
	v_dual_add_f32 v6, v33, v29 :: v_dual_fmaak_f32 v27, v35, v18, 0x3efffffc
	s_delay_alu instid0(VALU_DEP_4) | instskip(NEXT) | instid1(VALU_DEP_2)
	v_dual_sub_f32 v18, v25, v40 :: v_dual_add_f32 v40, v16, v17
	v_dual_sub_f32 v16, v32, v39 :: v_dual_sub_f32 v17, v6, v33
	s_delay_alu instid0(VALU_DEP_2) | instskip(NEXT) | instid1(VALU_DEP_3)
	v_dual_mul_f32 v39, v27, v25 :: v_dual_sub_f32 v32, v34, v18
	v_add_f32_e32 v33, v19, v40
	s_delay_alu instid0(VALU_DEP_3) | instskip(NEXT) | instid1(VALU_DEP_3)
	v_dual_add_f32 v8, v8, v16 :: v_dual_sub_f32 v16, v29, v17
	v_fma_f32 v25, v25, v27, -v39
	s_delay_alu instid0(VALU_DEP_3) | instskip(NEXT) | instid1(VALU_DEP_3)
	v_ldexp_f32 v44, v33, v36
	v_add_f32_e32 v18, v8, v16
	s_delay_alu instid0(VALU_DEP_3) | instskip(SKIP_1) | instid1(VALU_DEP_4)
	v_fmac_f32_e32 v25, v32, v27
	v_pk_add_f32 v[16:17], v[30:31], v[12:13]
	v_rcp_f32_e32 v45, v44
	s_delay_alu instid0(VALU_DEP_3) | instskip(NEXT) | instid1(VALU_DEP_3)
	v_dual_add_f32 v32, v6, v18 :: v_dual_sub_f32 v8, v33, v19
	v_dual_add_f32 v19, v39, v25 :: v_dual_mov_b32 v29, v30
	s_delay_alu instid0(VALU_DEP_2) | instskip(NEXT) | instid1(VALU_DEP_2)
	v_dual_mov_b32 v27, v17 :: v_dual_add_f32 v33, 1.0, v32
	v_dual_sub_f32 v8, v40, v8 :: v_dual_sub_f32 v17, v19, v39
	s_delay_alu instid0(TRANS32_DEP_1) | instskip(NEXT) | instid1(VALU_DEP_3)
	v_mul_f32_e32 v34, v44, v45
	v_pk_add_f32 v[26:27], v[28:29], v[26:27] neg_lo:[0,1] neg_hi:[0,1]
	s_delay_alu instid0(VALU_DEP_4) | instskip(SKIP_2) | instid1(VALU_DEP_4)
	v_pk_add_f32 v[28:29], v[32:33], v[6:7] neg_lo:[0,1] neg_hi:[0,1]
	v_add_f32_e32 v6, v35, v19
	v_ldexp_f32 v16, v8, v36
	v_dual_fma_f32 v36, v45, v44, -v34 :: v_dual_add_f32 v27, v26, v27
	s_delay_alu instid0(VALU_DEP_3) | instskip(SKIP_1) | instid1(VALU_DEP_3)
	v_dual_sub_f32 v8, v25, v17 :: v_dual_sub_f32 v17, v6, v35
	v_cvt_i32_f32_e32 v25, v37
	v_dual_fmac_f32 v36, v45, v16 :: v_dual_add_f32 v46, v31, v27
	s_delay_alu instid0(VALU_DEP_3) | instskip(SKIP_1) | instid1(VALU_DEP_3)
	v_dual_add_f32 v26, v38, v8 :: v_dual_sub_f32 v17, v19, v17
	v_pk_add_f32 v[38:39], v[32:33], v[12:13]
	v_dual_add_f32 v8, v34, v36 :: v_dual_mov_b32 v19, v32
	s_delay_alu instid0(VALU_DEP_4) | instskip(NEXT) | instid1(VALU_DEP_3)
	v_ldexp_f32 v47, v46, v25
	v_dual_add_f32 v26, v26, v17 :: v_dual_mov_b32 v29, v39
	s_delay_alu instid0(VALU_DEP_3) | instskip(NEXT) | instid1(VALU_DEP_3)
	v_dual_sub_f32 v35, 1.0, v8 :: v_dual_mov_b32 v37, v8
	v_rcp_f32_e32 v48, v47
	s_delay_alu instid0(VALU_DEP_2) | instskip(NEXT) | instid1(VALU_DEP_3)
	v_add_f32_e32 v30, v6, v26
	v_pk_add_f32 v[18:19], v[18:19], v[28:29] neg_lo:[0,1] neg_hi:[0,1]
	s_delay_alu instid0(VALU_DEP_3) | instskip(SKIP_2) | instid1(TRANS32_DEP_1)
	v_pk_add_f32 v[40:41], v[8:9], v[34:35] neg_lo:[0,1] neg_hi:[0,1]
	v_sub_f32_e32 v8, v46, v31
	v_cvt_i32_f32_e32 v32, v42
	v_dual_add_f32 v31, 1.0, v30 :: v_dual_mul_f32 v28, v47, v48
	v_add_f32_e32 v34, v18, v19
	v_pk_add_f32 v[36:37], v[40:41], v[36:37] neg_lo:[0,1] neg_hi:[0,1]
	v_sub_f32_e32 v8, v27, v8
	s_delay_alu instid0(VALU_DEP_4) | instskip(SKIP_1) | instid1(VALU_DEP_4)
	v_pk_add_f32 v[38:39], v[30:31], v[12:13]
	v_pk_add_f32 v[18:19], v[30:31], v[6:7] neg_lo:[0,1] neg_hi:[0,1]
	v_dual_mov_b32 v27, v30 :: v_dual_add_f32 v29, v36, v37
	v_dual_add_f32 v6, v33, v34 :: v_dual_fma_f32 v30, v48, v47, -v28
	s_delay_alu instid0(VALU_DEP_4) | instskip(SKIP_2) | instid1(VALU_DEP_4)
	v_mov_b32_e32 v19, v39
	v_ldexp_f32 v17, v8, v25
	v_cvt_i32_f32_e32 v25, v43
	v_ldexp_f32 v46, v6, v32
	s_delay_alu instid0(VALU_DEP_4) | instskip(SKIP_1) | instid1(VALU_DEP_3)
	v_pk_add_f32 v[18:19], v[26:27], v[18:19] neg_lo:[0,1] neg_hi:[0,1]
	v_add_f32_e32 v37, v35, v29
	v_rcp_f32_e32 v49, v46
	s_delay_alu instid0(VALU_DEP_2) | instskip(NEXT) | instid1(VALU_DEP_2)
	v_dual_add_f32 v19, v18, v19 :: v_dual_fmac_f32 v30, v48, v17
	v_dual_mul_f32 v43, v45, v37 :: v_dual_sub_f32 v26, v35, v37
	s_delay_alu instid0(VALU_DEP_2) | instskip(NEXT) | instid1(VALU_DEP_3)
	v_dual_add_f32 v27, v31, v19 :: v_dual_sub_f32 v6, v6, v33
	v_add_f32_e32 v8, v28, v30
	s_delay_alu instid0(VALU_DEP_3) | instskip(NEXT) | instid1(VALU_DEP_3)
	v_dual_mul_f32 v18, v44, v43 :: v_dual_add_f32 v50, v29, v26
	v_ldexp_f32 v51, v27, v25
	s_delay_alu instid0(VALU_DEP_4) | instskip(NEXT) | instid1(VALU_DEP_4)
	v_dual_sub_f32 v6, v34, v6 :: v_dual_add_f32 v52, v45, v43
	v_dual_mul_f32 v26, v46, v49 :: v_dual_sub_f32 v29, 1.0, v8
	v_sub_f32_e32 v27, v27, v31
	s_delay_alu instid0(VALU_DEP_3) | instskip(SKIP_1) | instid1(VALU_DEP_3)
	v_ldexp_f32 v32, v6, v32
	v_rcp_f32_e32 v6, v51
	v_dual_fma_f32 v34, v49, v46, -v26 :: v_dual_mov_b32 v31, v8
	v_fma_f32 v38, v43, v44, -v18
	v_pk_add_f32 v[40:41], v[8:9], v[28:29] neg_lo:[0,1] neg_hi:[0,1]
	s_delay_alu instid0(VALU_DEP_3) | instskip(NEXT) | instid1(VALU_DEP_3)
	v_dual_sub_f32 v19, v19, v27 :: v_dual_fmac_f32 v34, v49, v32
	v_fmac_f32_e32 v38, v43, v16
	s_delay_alu instid0(VALU_DEP_3) | instskip(SKIP_1) | instid1(VALU_DEP_4)
	v_pk_add_f32 v[30:31], v[40:41], v[30:31] neg_lo:[0,1] neg_hi:[0,1]
	v_mul_f32_e32 v42, v51, v6
	v_add_f32_e32 v8, v26, v34
	v_ldexp_f32 v33, v19, v25
	v_add_f32_e32 v36, v18, v38
	v_add_f32_e32 v25, v30, v31
	v_dual_fma_f32 v28, v6, v51, -v42 :: v_dual_sub_f32 v30, v52, v45
	v_sub_f32_e32 v27, 1.0, v8
	s_delay_alu instid0(VALU_DEP_4) | instskip(NEXT) | instid1(VALU_DEP_4)
	v_sub_f32_e32 v19, v37, v36
	v_dual_add_f32 v31, v29, v25 :: v_dual_mov_b32 v35, v8
	s_delay_alu instid0(VALU_DEP_4) | instskip(NEXT) | instid1(VALU_DEP_4)
	v_fmac_f32_e32 v28, v6, v33
	v_pk_add_f32 v[40:41], v[8:9], v[26:27] neg_lo:[0,1] neg_hi:[0,1]
	v_mov_b32_e32 v39, v36
	s_delay_alu instid0(VALU_DEP_4) | instskip(NEXT) | instid1(VALU_DEP_4)
	v_dual_mul_f32 v26, v48, v31 :: v_dual_sub_f32 v53, v43, v30
	v_add_f32_e32 v8, v42, v28
	v_pk_add_f32 v[36:37], v[36:37], v[18:19] neg_lo:[0,1] neg_hi:[0,1]
	s_delay_alu instid0(VALU_DEP_3) | instskip(SKIP_1) | instid1(VALU_DEP_4)
	v_dual_sub_f32 v30, v29, v31 :: v_dual_mul_f32 v18, v47, v26
	v_pk_add_f32 v[34:35], v[40:41], v[34:35] neg_lo:[0,1] neg_hi:[0,1]
	v_sub_f32_e32 v43, 1.0, v8
	s_delay_alu instid0(VALU_DEP_4) | instskip(NEXT) | instid1(VALU_DEP_4)
	v_pk_add_f32 v[36:37], v[36:37], v[38:39] neg_lo:[0,1] neg_hi:[0,1]
	v_dual_mov_b32 v29, v8 :: v_dual_fma_f32 v40, v26, v47, -v18
	s_delay_alu instid0(VALU_DEP_3) | instskip(NEXT) | instid1(VALU_DEP_3)
	v_pk_add_f32 v[38:39], v[8:9], v[42:43] neg_lo:[0,1] neg_hi:[0,1]
	v_dual_add_f32 v8, v25, v30 :: v_dual_add_f32 v25, v50, v37
	v_dual_add_f32 v42, v48, v26 :: v_dual_add_f32 v50, v34, v35
	s_delay_alu instid0(VALU_DEP_3) | instskip(NEXT) | instid1(VALU_DEP_3)
	v_pk_add_f32 v[28:29], v[38:39], v[28:29] neg_lo:[0,1] neg_hi:[0,1]
	v_add_f32_e32 v25, v36, v25
	v_fmac_f32_e32 v40, v26, v17
	s_delay_alu instid0(VALU_DEP_3) | instskip(NEXT) | instid1(VALU_DEP_2)
	v_dual_add_f32 v54, v28, v29 :: v_dual_sub_f32 v28, v42, v48
	v_dual_add_f32 v29, v27, v50 :: v_dual_add_f32 v30, v18, v40
	s_delay_alu instid0(VALU_DEP_4) | instskip(NEXT) | instid1(VALU_DEP_3)
	v_add_f32_e32 v25, v19, v25
	v_dual_add_f32 v35, v43, v54 :: v_dual_sub_f32 v55, v26, v28
	s_delay_alu instid0(VALU_DEP_3) | instskip(NEXT) | instid1(VALU_DEP_2)
	v_dual_mul_f32 v56, v49, v29 :: v_dual_sub_f32 v19, v31, v30
	v_dual_mul_f32 v25, v45, v25 :: v_dual_mul_f32 v45, v6, v35
	v_mov_b32_e32 v41, v30
	s_delay_alu instid0(VALU_DEP_3) | instskip(NEXT) | instid1(VALU_DEP_4)
	v_mul_f32_e32 v26, v46, v56
	v_pk_add_f32 v[30:31], v[30:31], v[18:19] neg_lo:[0,1] neg_hi:[0,1]
	s_delay_alu instid0(VALU_DEP_4) | instskip(SKIP_1) | instid1(VALU_DEP_4)
	v_add_f32_e32 v18, v53, v25
	v_mul_f32_e32 v36, v51, v45
	v_dual_sub_f32 v25, v27, v29 :: v_dual_fma_f32 v38, v56, v46, -v26
	s_delay_alu instid0(VALU_DEP_4) | instskip(NEXT) | instid1(VALU_DEP_2)
	v_pk_add_f32 v[30:31], v[30:31], v[40:41] neg_lo:[0,1] neg_hi:[0,1]
	v_dual_sub_f32 v43, v43, v35 :: v_dual_add_f32 v25, v50, v25
	s_delay_alu instid0(VALU_DEP_3) | instskip(NEXT) | instid1(VALU_DEP_3)
	v_dual_fmac_f32 v38, v56, v32 :: v_dual_fma_f32 v40, v45, v51, -v36
	v_add_f32_e32 v8, v8, v31
	v_add_f32_e32 v31, v52, v18
	s_delay_alu instid0(VALU_DEP_3) | instskip(NEXT) | instid1(VALU_DEP_1)
	v_dual_add_f32 v28, v26, v38 :: v_dual_fmac_f32 v40, v45, v33
	v_dual_sub_f32 v27, v29, v28 :: v_dual_mov_b32 v39, v28
	s_delay_alu instid0(VALU_DEP_2) | instskip(NEXT) | instid1(VALU_DEP_2)
	v_add_f32_e32 v34, v36, v40
	v_pk_add_f32 v[28:29], v[28:29], v[26:27] neg_lo:[0,1] neg_hi:[0,1]
	s_delay_alu instid0(VALU_DEP_2) | instskip(SKIP_1) | instid1(VALU_DEP_3)
	v_dual_add_f32 v26, v54, v43 :: v_dual_sub_f32 v37, v35, v34
	v_mov_b32_e32 v41, v34
	v_pk_add_f32 v[28:29], v[28:29], v[38:39] neg_lo:[0,1] neg_hi:[0,1]
	v_add_f32_e32 v8, v30, v8
	s_delay_alu instid0(VALU_DEP_4) | instskip(NEXT) | instid1(VALU_DEP_2)
	v_pk_add_f32 v[34:35], v[34:35], v[36:37] neg_lo:[0,1] neg_hi:[0,1]
	v_dual_add_f32 v25, v25, v29 :: v_dual_add_f32 v8, v19, v8
	s_delay_alu instid0(VALU_DEP_2) | instskip(SKIP_1) | instid1(VALU_DEP_3)
	v_pk_add_f32 v[34:35], v[34:35], v[40:41] neg_lo:[0,1] neg_hi:[0,1]
	v_add_f32_e32 v30, v49, v56
	v_dual_sub_f32 v29, v31, v52 :: v_dual_add_f32 v19, v28, v25
	v_add_f32_e32 v25, v6, v45
	s_delay_alu instid0(VALU_DEP_4) | instskip(NEXT) | instid1(VALU_DEP_3)
	v_dual_add_f32 v26, v26, v35 :: v_dual_mul_f32 v8, v48, v8
	v_dual_sub_f32 v28, v30, v49 :: v_dual_add_f32 v19, v27, v19
	s_delay_alu instid0(VALU_DEP_3) | instskip(NEXT) | instid1(VALU_DEP_3)
	v_sub_f32_e32 v27, v25, v6
	v_dual_add_f32 v26, v34, v26 :: v_dual_add_f32 v8, v55, v8
	s_delay_alu instid0(VALU_DEP_3) | instskip(SKIP_1) | instid1(VALU_DEP_4)
	v_sub_f32_e32 v28, v56, v28
	v_ldexp_f32 v31, v31, -2
	v_sub_f32_e32 v27, v45, v27
	s_delay_alu instid0(VALU_DEP_4) | instskip(NEXT) | instid1(VALU_DEP_1)
	v_add_f32_e32 v26, v37, v26
	v_dual_mul_f32 v19, v49, v19 :: v_dual_mul_f32 v6, v6, v26
	s_delay_alu instid0(VALU_DEP_1) | instskip(SKIP_1) | instid1(VALU_DEP_3)
	v_dual_add_f32 v26, v42, v8 :: v_dual_add_f32 v34, v28, v19
	v_dual_sub_f32 v19, v18, v29 :: v_dual_sub_f32 v18, v44, v31
	v_add_f32_e32 v6, v27, v6
	s_delay_alu instid0(VALU_DEP_3) | instskip(NEXT) | instid1(VALU_DEP_4)
	v_ldexp_f32 v29, v26, -2
	v_add_f32_e32 v35, v30, v34
	s_delay_alu instid0(VALU_DEP_4) | instskip(NEXT) | instid1(VALU_DEP_3)
	v_ldexp_f32 v36, v19, -2
	v_dual_sub_f32 v19, v47, v29 :: v_dual_add_f32 v37, v25, v6
	s_delay_alu instid0(VALU_DEP_3) | instskip(NEXT) | instid1(VALU_DEP_2)
	v_ldexp_f32 v38, v35, -2
	v_dual_sub_f32 v40, v47, v19 :: v_dual_sub_f32 v27, v44, v18
	s_delay_alu instid0(VALU_DEP_3) | instskip(SKIP_1) | instid1(VALU_DEP_3)
	v_dual_sub_f32 v25, v37, v25 :: v_dual_sub_f32 v26, v26, v42
	v_ldexp_f32 v39, v37, -2
	v_dual_sub_f32 v29, v40, v29 :: v_dual_sub_f32 v28, v27, v31
	s_delay_alu instid0(VALU_DEP_3) | instskip(NEXT) | instid1(VALU_DEP_3)
	v_dual_sub_f32 v30, v35, v30 :: v_dual_sub_f32 v6, v6, v25
	v_dual_sub_f32 v8, v8, v26 :: v_dual_sub_f32 v27, v51, v39
	v_sub_f32_e32 v26, v46, v38
	s_delay_alu instid0(VALU_DEP_4) | instskip(NEXT) | instid1(VALU_DEP_4)
	v_pk_add_f32 v[16:17], v[16:17], v[28:29]
	v_ldexp_f32 v6, v6, -2
	s_delay_alu instid0(VALU_DEP_4) | instskip(NEXT) | instid1(VALU_DEP_4)
	v_ldexp_f32 v8, v8, -2
	v_dual_sub_f32 v37, v51, v27 :: v_dual_sub_f32 v31, v46, v26
	s_delay_alu instid0(VALU_DEP_4) | instskip(NEXT) | instid1(VALU_DEP_3)
	v_dual_sub_f32 v25, v34, v30 :: v_dual_sub_f32 v16, v16, v36
	v_sub_f32_e32 v17, v17, v8
	s_delay_alu instid0(VALU_DEP_3) | instskip(NEXT) | instid1(VALU_DEP_3)
	v_dual_sub_f32 v29, v37, v39 :: v_dual_sub_f32 v28, v31, v38
	v_ldexp_f32 v8, v25, -2
	v_lshlrev_b32_e32 v25, 16, v14
	s_delay_alu instid0(VALU_DEP_3) | instskip(SKIP_2) | instid1(VALU_DEP_3)
	v_pk_add_f32 v[28:29], v[32:33], v[28:29]
	v_lshlrev_b32_e32 v30, 16, v15
	v_pk_add_f32 v[14:15], v[18:19], v[16:17]
	v_dual_sub_f32 v17, v29, v6 :: v_dual_sub_f32 v16, v28, v8
	v_lshlrev_b32_e32 v6, 16, v23
	s_delay_alu instid0(VALU_DEP_3) | instskip(SKIP_3) | instid1(VALU_DEP_4)
	v_cndmask_b32_e32 v14, 0x7f800000, v14, vcc_lo
	v_cmp_nlt_f32_e64 vcc_lo, 0x42b2d4fc, |v22|
	v_lshlrev_b32_e32 v8, 16, v24
	v_pk_add_f32 v[16:17], v[26:27], v[16:17]
	v_cndmask_b32_e64 v14, v14, |v20|, s6
	v_cndmask_b32_e32 v15, 0x7f800000, v15, vcc_lo
	v_cmp_nlt_f32_e64 vcc_lo, 0x42b2d4fc, |v4|
	v_cmp_gt_f32_e64 s6, 0x39800000, |v22|
	v_cndmask_b32_e32 v17, 0x7f800000, v17, vcc_lo
	v_cmp_nlt_f32_e64 vcc_lo, 0x42b2d4fc, |v21|
	s_delay_alu instid0(VALU_DEP_3) | instskip(SKIP_2) | instid1(VALU_DEP_3)
	v_cndmask_b32_e64 v15, v15, |v22|, s6
	v_cmp_gt_f32_e64 s6, 0x39800000, |v4|
	v_cndmask_b32_e32 v16, 0x7f800000, v16, vcc_lo
	v_bfi_b32 v6, 0x7fffffff, v15, v6
	s_delay_alu instid0(VALU_DEP_3) | instskip(SKIP_3) | instid1(VALU_DEP_4)
	v_cndmask_b32_e64 v4, v17, |v4|, s6
	v_cmp_gt_f32_e64 s6, 0x39800000, |v21|
	v_bfi_b32 v17, 0x7fffffff, v14, v25
	v_lshlrev_b64_e32 v[14:15], 2, v[0:1]
	v_bfi_b32 v4, 0x7fffffff, v4, v8
	s_delay_alu instid0(VALU_DEP_4) | instskip(NEXT) | instid1(VALU_DEP_3)
	v_cndmask_b32_e64 v16, v16, |v21|, s6
	v_cmp_ge_i64_e32 vcc_lo, v[14:15], v[2:3]
	s_delay_alu instid0(VALU_DEP_2) | instskip(SKIP_1) | instid1(VALU_DEP_2)
	v_bfi_b32 v8, 0x7fffffff, v16, v30
	v_cvt_pk_f16_f32 v16, v17, v6
	v_cvt_pk_f16_f32 v17, v8, v4
	s_or_b32 s5, vcc_lo, s5
	global_store_b64 v[10:11], v[16:17], off
	s_wait_xcnt 0x0
	v_add_nc_u64_e32 v[10:11], s[2:3], v[10:11]
	s_and_not1_b32 exec_lo, exec_lo, s5
	s_cbranch_execnz .LBB127_24
.LBB127_25:
	s_endpgm
	.section	.rodata,"a",@progbits
	.p2align	6, 0x0
	.amdhsa_kernel _ZN2at6native12_GLOBAL__N_125multi_tensor_apply_kernelINS1_18TensorListMetadataILi1EEENS1_14UnaryOpFunctorIN3c104HalfELi1ELi1ELi0EEEJNS0_4SinhIfEEEEEvT_T0_DpT1_
		.amdhsa_group_segment_fixed_size 0
		.amdhsa_private_segment_fixed_size 0
		.amdhsa_kernarg_size 3632
		.amdhsa_user_sgpr_count 2
		.amdhsa_user_sgpr_dispatch_ptr 0
		.amdhsa_user_sgpr_queue_ptr 0
		.amdhsa_user_sgpr_kernarg_segment_ptr 1
		.amdhsa_user_sgpr_dispatch_id 0
		.amdhsa_user_sgpr_kernarg_preload_length 0
		.amdhsa_user_sgpr_kernarg_preload_offset 0
		.amdhsa_user_sgpr_private_segment_size 0
		.amdhsa_wavefront_size32 1
		.amdhsa_uses_dynamic_stack 0
		.amdhsa_enable_private_segment 0
		.amdhsa_system_sgpr_workgroup_id_x 1
		.amdhsa_system_sgpr_workgroup_id_y 0
		.amdhsa_system_sgpr_workgroup_id_z 0
		.amdhsa_system_sgpr_workgroup_info 0
		.amdhsa_system_vgpr_workitem_id 0
		.amdhsa_next_free_vgpr 57
		.amdhsa_next_free_sgpr 22
		.amdhsa_named_barrier_count 0
		.amdhsa_reserve_vcc 1
		.amdhsa_float_round_mode_32 0
		.amdhsa_float_round_mode_16_64 0
		.amdhsa_float_denorm_mode_32 3
		.amdhsa_float_denorm_mode_16_64 3
		.amdhsa_fp16_overflow 0
		.amdhsa_memory_ordered 1
		.amdhsa_forward_progress 1
		.amdhsa_inst_pref_size 58
		.amdhsa_round_robin_scheduling 0
		.amdhsa_exception_fp_ieee_invalid_op 0
		.amdhsa_exception_fp_denorm_src 0
		.amdhsa_exception_fp_ieee_div_zero 0
		.amdhsa_exception_fp_ieee_overflow 0
		.amdhsa_exception_fp_ieee_underflow 0
		.amdhsa_exception_fp_ieee_inexact 0
		.amdhsa_exception_int_div_zero 0
	.end_amdhsa_kernel
	.section	.text._ZN2at6native12_GLOBAL__N_125multi_tensor_apply_kernelINS1_18TensorListMetadataILi1EEENS1_14UnaryOpFunctorIN3c104HalfELi1ELi1ELi0EEEJNS0_4SinhIfEEEEEvT_T0_DpT1_,"axG",@progbits,_ZN2at6native12_GLOBAL__N_125multi_tensor_apply_kernelINS1_18TensorListMetadataILi1EEENS1_14UnaryOpFunctorIN3c104HalfELi1ELi1ELi0EEEJNS0_4SinhIfEEEEEvT_T0_DpT1_,comdat
.Lfunc_end127:
	.size	_ZN2at6native12_GLOBAL__N_125multi_tensor_apply_kernelINS1_18TensorListMetadataILi1EEENS1_14UnaryOpFunctorIN3c104HalfELi1ELi1ELi0EEEJNS0_4SinhIfEEEEEvT_T0_DpT1_, .Lfunc_end127-_ZN2at6native12_GLOBAL__N_125multi_tensor_apply_kernelINS1_18TensorListMetadataILi1EEENS1_14UnaryOpFunctorIN3c104HalfELi1ELi1ELi0EEEJNS0_4SinhIfEEEEEvT_T0_DpT1_
                                        ; -- End function
	.set _ZN2at6native12_GLOBAL__N_125multi_tensor_apply_kernelINS1_18TensorListMetadataILi1EEENS1_14UnaryOpFunctorIN3c104HalfELi1ELi1ELi0EEEJNS0_4SinhIfEEEEEvT_T0_DpT1_.num_vgpr, 57
	.set _ZN2at6native12_GLOBAL__N_125multi_tensor_apply_kernelINS1_18TensorListMetadataILi1EEENS1_14UnaryOpFunctorIN3c104HalfELi1ELi1ELi0EEEJNS0_4SinhIfEEEEEvT_T0_DpT1_.num_agpr, 0
	.set _ZN2at6native12_GLOBAL__N_125multi_tensor_apply_kernelINS1_18TensorListMetadataILi1EEENS1_14UnaryOpFunctorIN3c104HalfELi1ELi1ELi0EEEJNS0_4SinhIfEEEEEvT_T0_DpT1_.numbered_sgpr, 22
	.set _ZN2at6native12_GLOBAL__N_125multi_tensor_apply_kernelINS1_18TensorListMetadataILi1EEENS1_14UnaryOpFunctorIN3c104HalfELi1ELi1ELi0EEEJNS0_4SinhIfEEEEEvT_T0_DpT1_.num_named_barrier, 0
	.set _ZN2at6native12_GLOBAL__N_125multi_tensor_apply_kernelINS1_18TensorListMetadataILi1EEENS1_14UnaryOpFunctorIN3c104HalfELi1ELi1ELi0EEEJNS0_4SinhIfEEEEEvT_T0_DpT1_.private_seg_size, 0
	.set _ZN2at6native12_GLOBAL__N_125multi_tensor_apply_kernelINS1_18TensorListMetadataILi1EEENS1_14UnaryOpFunctorIN3c104HalfELi1ELi1ELi0EEEJNS0_4SinhIfEEEEEvT_T0_DpT1_.uses_vcc, 1
	.set _ZN2at6native12_GLOBAL__N_125multi_tensor_apply_kernelINS1_18TensorListMetadataILi1EEENS1_14UnaryOpFunctorIN3c104HalfELi1ELi1ELi0EEEJNS0_4SinhIfEEEEEvT_T0_DpT1_.uses_flat_scratch, 0
	.set _ZN2at6native12_GLOBAL__N_125multi_tensor_apply_kernelINS1_18TensorListMetadataILi1EEENS1_14UnaryOpFunctorIN3c104HalfELi1ELi1ELi0EEEJNS0_4SinhIfEEEEEvT_T0_DpT1_.has_dyn_sized_stack, 0
	.set _ZN2at6native12_GLOBAL__N_125multi_tensor_apply_kernelINS1_18TensorListMetadataILi1EEENS1_14UnaryOpFunctorIN3c104HalfELi1ELi1ELi0EEEJNS0_4SinhIfEEEEEvT_T0_DpT1_.has_recursion, 0
	.set _ZN2at6native12_GLOBAL__N_125multi_tensor_apply_kernelINS1_18TensorListMetadataILi1EEENS1_14UnaryOpFunctorIN3c104HalfELi1ELi1ELi0EEEJNS0_4SinhIfEEEEEvT_T0_DpT1_.has_indirect_call, 0
	.section	.AMDGPU.csdata,"",@progbits
; Kernel info:
; codeLenInByte = 7412
; TotalNumSgprs: 24
; NumVgprs: 57
; ScratchSize: 0
; MemoryBound: 0
; FloatMode: 240
; IeeeMode: 1
; LDSByteSize: 0 bytes/workgroup (compile time only)
; SGPRBlocks: 0
; VGPRBlocks: 3
; NumSGPRsForWavesPerEU: 24
; NumVGPRsForWavesPerEU: 57
; NamedBarCnt: 0
; Occupancy: 16
; WaveLimiterHint : 0
; COMPUTE_PGM_RSRC2:SCRATCH_EN: 0
; COMPUTE_PGM_RSRC2:USER_SGPR: 2
; COMPUTE_PGM_RSRC2:TRAP_HANDLER: 0
; COMPUTE_PGM_RSRC2:TGID_X_EN: 1
; COMPUTE_PGM_RSRC2:TGID_Y_EN: 0
; COMPUTE_PGM_RSRC2:TGID_Z_EN: 0
; COMPUTE_PGM_RSRC2:TIDIG_COMP_CNT: 0
	.section	.text._ZN2at6native12_GLOBAL__N_125multi_tensor_apply_kernelINS1_18TensorListMetadataILi1EEENS1_14UnaryOpFunctorIN3c108BFloat16ELi1ELi1ELi0EEEJNS0_4SinhIfEEEEEvT_T0_DpT1_,"axG",@progbits,_ZN2at6native12_GLOBAL__N_125multi_tensor_apply_kernelINS1_18TensorListMetadataILi1EEENS1_14UnaryOpFunctorIN3c108BFloat16ELi1ELi1ELi0EEEJNS0_4SinhIfEEEEEvT_T0_DpT1_,comdat
	.globl	_ZN2at6native12_GLOBAL__N_125multi_tensor_apply_kernelINS1_18TensorListMetadataILi1EEENS1_14UnaryOpFunctorIN3c108BFloat16ELi1ELi1ELi0EEEJNS0_4SinhIfEEEEEvT_T0_DpT1_ ; -- Begin function _ZN2at6native12_GLOBAL__N_125multi_tensor_apply_kernelINS1_18TensorListMetadataILi1EEENS1_14UnaryOpFunctorIN3c108BFloat16ELi1ELi1ELi0EEEJNS0_4SinhIfEEEEEvT_T0_DpT1_
	.p2align	8
	.type	_ZN2at6native12_GLOBAL__N_125multi_tensor_apply_kernelINS1_18TensorListMetadataILi1EEENS1_14UnaryOpFunctorIN3c108BFloat16ELi1ELi1ELi0EEEJNS0_4SinhIfEEEEEvT_T0_DpT1_,@function
_ZN2at6native12_GLOBAL__N_125multi_tensor_apply_kernelINS1_18TensorListMetadataILi1EEENS1_14UnaryOpFunctorIN3c108BFloat16ELi1ELi1ELi0EEEJNS0_4SinhIfEEEEEvT_T0_DpT1_: ; @_ZN2at6native12_GLOBAL__N_125multi_tensor_apply_kernelINS1_18TensorListMetadataILi1EEENS1_14UnaryOpFunctorIN3c108BFloat16ELi1ELi1ELi0EEEJNS0_4SinhIfEEEEEvT_T0_DpT1_
; %bb.0:
	s_bfe_u32 s2, ttmp6, 0x4000c
	s_and_b32 s3, ttmp6, 15
	s_add_co_i32 s2, s2, 1
	s_getreg_b32 s4, hwreg(HW_REG_IB_STS2, 6, 4)
	s_mul_i32 s2, ttmp9, s2
	s_delay_alu instid0(SALU_CYCLE_1)
	s_add_co_i32 s3, s3, s2
	s_cmp_eq_u32 s4, 0
	s_cselect_b32 s2, ttmp9, s3
	s_mov_b32 s3, 0
	s_load_u8 s8, s[0:1], s2 offset:0x6e0
	s_add_nc_u64 s[4:5], s[0:1], s[2:3]
	s_mul_u64 s[6:7], s[2:3], 3
	s_delay_alu instid0(SALU_CYCLE_1)
	s_add_nc_u64 s[4:5], s[4:5], s[6:7]
	s_load_b32 s10, s[4:5], 0x820
	s_wait_kmcnt 0x0
	s_clause 0x1
	s_load_b64 s[6:7], s[0:1], s8 offset:0x0 scale_offset
	s_load_b64 s[12:13], s[0:1], s8 offset:0x370 scale_offset
	s_ashr_i32 s11, s10, 31
	s_wait_kmcnt 0x0
	s_and_b64 s[4:5], s[6:7], 7
	s_and_b32 s2, s12, 3
	s_lshl_b64 s[8:9], s[10:11], 17
	s_or_b64 s[2:3], s[4:5], s[2:3]
	s_lshl_b64 s[4:5], s[10:11], 16
	s_cmp_eq_u64 s[2:3], 0
	s_sub_nc_u64 s[10:11], s[12:13], s[4:5]
	s_cbranch_scc1 .LBB128_21
; %bb.1:
	v_cmp_lt_i64_e64 s2, s[10:11], 1
	s_and_b32 vcc_lo, exec_lo, s2
	s_cbranch_vccnz .LBB128_20
; %bb.2:
	s_load_b32 s2, s[0:1], 0xd3c
	v_min_i64 v[2:3], 0x10000, s[10:11]
	v_min_u64 v[4:5], 0x10000, s[10:11]
	v_dual_mov_b32 v1, 0 :: v_dual_lshlrev_b32 v8, 1, v0
	s_mov_b32 s3, 0
	s_add_nc_u64 s[4:5], s[6:7], s[8:9]
	s_mov_b32 s19, s3
	s_delay_alu instid0(VALU_DEP_1) | instskip(SKIP_2) | instid1(VALU_DEP_2)
	v_dual_mov_b32 v9, v1 :: v_dual_mov_b32 v15, v1
	s_mov_b32 s21, s3
	v_dual_mov_b32 v19, 1.0 :: v_dual_mov_b32 v21, -1.0
	v_add_nc_u64_e32 v[8:9], s[4:5], v[8:9]
	s_mov_b32 s13, s3
	s_mov_b32 s15, s3
	v_mov_b32_e32 v17, 0x3f317218
	s_wait_kmcnt 0x0
	s_and_b32 s2, s2, 0xffff
	s_delay_alu instid0(SALU_CYCLE_1)
	v_add_nc_u64_e32 v[6:7], s[2:3], v[0:1]
	s_lshl_b32 s18, s2, 1
	s_mul_i32 s20, s2, 3
	v_add_nc_u64_e32 v[12:13], s[18:19], v[0:1]
	v_add_nc_u64_e32 v[10:11], s[20:21], v[0:1]
	s_lshl_b32 s12, s2, 2
	s_lshl_b32 s14, s2, 3
	v_lshlrev_b32_e32 v14, 1, v6
	s_mul_u64 s[16:17], s[2:3], 6
	s_mov_b64 s[18:19], 0
	s_mov_b32 s20, 0x3ab42872
	s_delay_alu instid0(VALU_DEP_1)
	v_add_nc_u64_e32 v[14:15], s[4:5], v[14:15]
	s_mov_b32 s5, -1.0
	s_branch .LBB128_4
.LBB128_3:                              ;   in Loop: Header=BB128_4 Depth=1
	s_wait_xcnt 0x0
	s_or_b32 exec_lo, exec_lo, s4
	s_add_nc_u64 s[18:19], s[18:19], s[12:13]
	v_add_nc_u64_e32 v[8:9], s[14:15], v[8:9]
	v_cmp_lt_i64_e32 vcc_lo, s[18:19], v[2:3]
	v_add_nc_u64_e32 v[14:15], s[14:15], v[14:15]
	s_cbranch_vccz .LBB128_20
.LBB128_4:                              ; =>This Inner Loop Header: Depth=1
	v_add_nc_u64_e32 v[22:23], s[18:19], v[0:1]
	v_mov_b32_e32 v29, 0
	s_delay_alu instid0(VALU_DEP_2)
	v_cmp_lt_u64_e64 s4, v[22:23], v[4:5]
	s_and_saveexec_b32 s2, s4
	s_cbranch_execz .LBB128_6
; %bb.5:                                ;   in Loop: Header=BB128_4 Depth=1
	global_load_u16 v16, v[8:9], off
	s_wait_loadcnt 0x0
	v_lshlrev_b32_e32 v29, 16, v16
.LBB128_6:                              ;   in Loop: Header=BB128_4 Depth=1
	s_wait_xcnt 0x0
	s_or_b32 exec_lo, exec_lo, s2
	v_add_nc_u64_e32 v[22:23], s[18:19], v[6:7]
	v_dual_mov_b32 v26, 0 :: v_dual_mov_b32 v28, 0
	s_delay_alu instid0(VALU_DEP_2)
	v_cmp_lt_u64_e64 s3, v[22:23], v[4:5]
	s_and_saveexec_b32 s2, s3
	s_cbranch_execz .LBB128_8
; %bb.7:                                ;   in Loop: Header=BB128_4 Depth=1
	global_load_u16 v16, v[14:15], off
	s_wait_loadcnt 0x0
	v_lshlrev_b32_e32 v28, 16, v16
.LBB128_8:                              ;   in Loop: Header=BB128_4 Depth=1
	s_wait_xcnt 0x0
	s_or_b32 exec_lo, exec_lo, s2
	v_add_nc_u64_e32 v[22:23], s[18:19], v[12:13]
	s_delay_alu instid0(VALU_DEP_1)
	v_cmp_lt_u64_e32 vcc_lo, v[22:23], v[4:5]
	v_add_nc_u64_e32 v[22:23], s[12:13], v[8:9]
	s_and_saveexec_b32 s2, vcc_lo
	s_cbranch_execz .LBB128_10
; %bb.9:                                ;   in Loop: Header=BB128_4 Depth=1
	global_load_u16 v16, v[22:23], off
	s_wait_loadcnt 0x0
	v_lshlrev_b32_e32 v26, 16, v16
.LBB128_10:                             ;   in Loop: Header=BB128_4 Depth=1
	s_wait_xcnt 0x0
	s_or_b32 exec_lo, exec_lo, s2
	v_add_nc_u64_e32 v[24:25], s[18:19], v[10:11]
	v_mov_b32_e32 v27, 0
	s_delay_alu instid0(VALU_DEP_2)
	v_cmp_lt_u64_e64 s2, v[24:25], v[4:5]
	v_add_nc_u64_e32 v[24:25], s[16:17], v[8:9]
	s_and_saveexec_b32 s21, s2
	s_cbranch_execnz .LBB128_18
; %bb.11:                               ;   in Loop: Header=BB128_4 Depth=1
	s_or_b32 exec_lo, exec_lo, s21
	s_and_saveexec_b32 s21, s4
	s_cbranch_execnz .LBB128_19
.LBB128_12:                             ;   in Loop: Header=BB128_4 Depth=1
	s_or_b32 exec_lo, exec_lo, s21
	s_and_saveexec_b32 s4, s3
	s_cbranch_execz .LBB128_14
.LBB128_13:                             ;   in Loop: Header=BB128_4 Depth=1
	v_add_f32_e64 v18, 0xbf317218, |v28|
	v_and_b32_e32 v16, 0x7fffffff, v28
	v_cmp_nlt_f32_e64 s3, 0x42b2d4fc, |v28|
	s_delay_alu instid0(VALU_DEP_3) | instskip(NEXT) | instid1(VALU_DEP_1)
	v_sub_f32_e64 v31, v18, |v28|
	v_sub_f32_e32 v30, v31, v18
	s_delay_alu instid0(VALU_DEP_1) | instskip(NEXT) | instid1(VALU_DEP_1)
	v_pk_add_f32 v[30:31], v[16:17], v[30:31]
	v_sub_f32_e32 v16, v30, v31
	s_delay_alu instid0(VALU_DEP_1) | instskip(NEXT) | instid1(VALU_DEP_1)
	v_add_f32_e32 v16, 0x3102e308, v16
	v_add_f32_e32 v20, v18, v16
	s_delay_alu instid0(VALU_DEP_1) | instskip(NEXT) | instid1(VALU_DEP_1)
	v_dual_mul_f32 v29, 0x3fb8aa3b, v20 :: v_dual_sub_f32 v18, v18, v20
	v_rndne_f32_e32 v29, v29
	s_delay_alu instid0(VALU_DEP_2) | instskip(NEXT) | instid1(VALU_DEP_2)
	v_add_f32_e32 v16, v16, v18
	v_fmac_f32_e32 v20, 0xbf317200, v29
	v_mul_f32_e32 v18, 0x35bfbc00, v29
	v_mul_f32_e32 v33, 0x2ea39ef3, v29
	s_delay_alu instid0(VALU_DEP_3) | instskip(NEXT) | instid1(VALU_DEP_1)
	v_add_f32_e32 v31, v16, v20
	v_dual_sub_f32 v30, v31, v18 :: v_dual_sub_f32 v20, v20, v31
	s_delay_alu instid0(VALU_DEP_1) | instskip(NEXT) | instid1(VALU_DEP_1)
	v_sub_f32_e32 v31, v31, v30
	v_dual_sub_f32 v18, v31, v18 :: v_dual_add_f32 v16, v16, v20
	s_delay_alu instid0(VALU_DEP_1) | instskip(NEXT) | instid1(VALU_DEP_1)
	v_add_f32_e32 v16, v16, v18
	v_add_f32_e32 v31, v30, v16
	s_delay_alu instid0(VALU_DEP_1) | instskip(NEXT) | instid1(VALU_DEP_1)
	v_mov_b32_e32 v32, v31
	v_pk_add_f32 v[34:35], v[30:31], v[32:33] neg_lo:[0,1] neg_hi:[0,1]
	s_delay_alu instid0(VALU_DEP_1) | instskip(NEXT) | instid1(VALU_DEP_1)
	v_dual_sub_f32 v18, v31, v35 :: v_dual_add_f32 v16, v16, v34
	v_sub_f32_e32 v18, v18, v33
	s_delay_alu instid0(VALU_DEP_1) | instskip(NEXT) | instid1(VALU_DEP_1)
	v_add_f32_e32 v16, v16, v18
	v_add_f32_e32 v18, v35, v16
	s_delay_alu instid0(VALU_DEP_1) | instskip(SKIP_1) | instid1(VALU_DEP_2)
	v_sub_f32_e32 v20, v35, v18
	v_mov_b64_e32 v[34:35], s[4:5]
	v_add_f32_e32 v16, v16, v20
	s_delay_alu instid0(VALU_DEP_1) | instskip(SKIP_1) | instid1(VALU_DEP_2)
	v_dual_add_f32 v32, v16, v16 :: v_dual_mul_f32 v30, v18, v18
	v_fmaak_f32 v20, s20, v18, 0x3c091de6
	v_fma_f32 v31, v18, v18, -v30
	s_delay_alu instid0(VALU_DEP_2) | instskip(NEXT) | instid1(VALU_DEP_2)
	v_fmaak_f32 v20, v18, v20, 0x3d2aadcc
	v_fmac_f32_e32 v31, v18, v32
	s_delay_alu instid0(VALU_DEP_2) | instskip(NEXT) | instid1(VALU_DEP_2)
	v_fmaak_f32 v20, v18, v20, 0x3e2aaa47
	v_add_f32_e32 v32, v30, v31
	s_delay_alu instid0(VALU_DEP_2) | instskip(NEXT) | instid1(VALU_DEP_2)
	v_fmaak_f32 v20, v18, v20, 0x3efffffc
	v_sub_f32_e32 v30, v32, v30
	s_delay_alu instid0(VALU_DEP_1) | instskip(NEXT) | instid1(VALU_DEP_1)
	v_dual_sub_f32 v30, v31, v30 :: v_dual_mul_f32 v33, v20, v32
	v_fma_f32 v31, v32, v20, -v33
	s_delay_alu instid0(VALU_DEP_1) | instskip(NEXT) | instid1(VALU_DEP_1)
	v_fmac_f32_e32 v31, v30, v20
	v_add_f32_e32 v30, v33, v31
	s_delay_alu instid0(VALU_DEP_1) | instskip(NEXT) | instid1(VALU_DEP_1)
	v_sub_f32_e32 v32, v30, v33
	v_sub_f32_e32 v31, v31, v32
	s_delay_alu instid0(VALU_DEP_1) | instskip(NEXT) | instid1(VALU_DEP_1)
	v_dual_add_f32 v16, v16, v31 :: v_dual_add_f32 v20, v18, v30
	v_sub_f32_e32 v18, v20, v18
	s_delay_alu instid0(VALU_DEP_1) | instskip(NEXT) | instid1(VALU_DEP_1)
	v_sub_f32_e32 v18, v30, v18
	v_add_f32_e32 v30, v16, v18
	v_cvt_i32_f32_e32 v18, v29
	s_delay_alu instid0(VALU_DEP_2) | instskip(NEXT) | instid1(VALU_DEP_1)
	v_add_f32_e32 v32, v20, v30
	v_dual_add_f32 v33, 1.0, v32 :: v_dual_mov_b32 v31, v32
	s_delay_alu instid0(VALU_DEP_1) | instskip(SKIP_1) | instid1(VALU_DEP_2)
	v_pk_add_f32 v[34:35], v[32:33], v[34:35]
	v_pk_add_f32 v[36:37], v[32:33], v[20:21] neg_lo:[0,1] neg_hi:[0,1]
	v_mov_b32_e32 v37, v35
	s_delay_alu instid0(VALU_DEP_1) | instskip(NEXT) | instid1(VALU_DEP_1)
	v_pk_add_f32 v[30:31], v[30:31], v[36:37] neg_lo:[0,1] neg_hi:[0,1]
	v_add_f32_e32 v16, v30, v31
	s_delay_alu instid0(VALU_DEP_1) | instskip(NEXT) | instid1(VALU_DEP_1)
	v_add_f32_e32 v20, v33, v16
	v_ldexp_f32 v29, v20, v18
	v_sub_f32_e32 v20, v20, v33
	s_delay_alu instid0(VALU_DEP_2) | instskip(NEXT) | instid1(VALU_DEP_1)
	v_rcp_f32_e32 v36, v29
	v_sub_f32_e32 v16, v16, v20
	s_delay_alu instid0(VALU_DEP_1) | instskip(NEXT) | instid1(TRANS32_DEP_1)
	v_ldexp_f32 v16, v16, v18
	v_mul_f32_e32 v30, v29, v36
	s_delay_alu instid0(VALU_DEP_1) | instskip(NEXT) | instid1(VALU_DEP_1)
	v_fma_f32 v32, v36, v29, -v30
	v_fmac_f32_e32 v32, v36, v16
	s_delay_alu instid0(VALU_DEP_1) | instskip(NEXT) | instid1(VALU_DEP_1)
	v_add_f32_e32 v18, v30, v32
	v_dual_sub_f32 v31, 1.0, v18 :: v_dual_mov_b32 v33, v18
	s_delay_alu instid0(VALU_DEP_1) | instskip(NEXT) | instid1(VALU_DEP_1)
	v_pk_add_f32 v[34:35], v[18:19], v[30:31] neg_lo:[0,1] neg_hi:[0,1]
	v_pk_add_f32 v[32:33], v[34:35], v[32:33] neg_lo:[0,1] neg_hi:[0,1]
	s_delay_alu instid0(VALU_DEP_1) | instskip(NEXT) | instid1(VALU_DEP_1)
	v_add_f32_e32 v18, v32, v33
	v_add_f32_e32 v33, v31, v18
	s_delay_alu instid0(VALU_DEP_1) | instskip(NEXT) | instid1(VALU_DEP_1)
	v_dual_mul_f32 v20, v36, v33 :: v_dual_sub_f32 v37, v31, v33
	v_dual_mul_f32 v34, v29, v20 :: v_dual_add_f32 v18, v18, v37
	s_delay_alu instid0(VALU_DEP_1) | instskip(NEXT) | instid1(VALU_DEP_1)
	v_fma_f32 v30, v20, v29, -v34
	v_fmac_f32_e32 v30, v20, v16
	s_delay_alu instid0(VALU_DEP_1) | instskip(NEXT) | instid1(VALU_DEP_1)
	v_add_f32_e32 v32, v34, v30
	v_dual_sub_f32 v35, v33, v32 :: v_dual_mov_b32 v31, v32
	s_delay_alu instid0(VALU_DEP_1) | instskip(NEXT) | instid1(VALU_DEP_1)
	v_pk_add_f32 v[32:33], v[32:33], v[34:35] neg_lo:[0,1] neg_hi:[0,1]
	v_pk_add_f32 v[30:31], v[32:33], v[30:31] neg_lo:[0,1] neg_hi:[0,1]
	s_delay_alu instid0(VALU_DEP_1) | instskip(NEXT) | instid1(VALU_DEP_1)
	v_add_f32_e32 v18, v18, v31
	v_dual_add_f32 v18, v30, v18 :: v_dual_add_f32 v30, v36, v20
	s_delay_alu instid0(VALU_DEP_1) | instskip(NEXT) | instid1(VALU_DEP_1)
	v_dual_sub_f32 v31, v30, v36 :: v_dual_add_f32 v18, v35, v18
	v_sub_f32_e32 v20, v20, v31
	s_delay_alu instid0(VALU_DEP_2) | instskip(NEXT) | instid1(VALU_DEP_1)
	v_mul_f32_e32 v18, v36, v18
	v_add_f32_e32 v18, v20, v18
	s_delay_alu instid0(VALU_DEP_1) | instskip(NEXT) | instid1(VALU_DEP_1)
	v_add_f32_e32 v20, v30, v18
	v_ldexp_f32 v31, v20, -2
	s_delay_alu instid0(VALU_DEP_1) | instskip(NEXT) | instid1(VALU_DEP_1)
	v_dual_sub_f32 v20, v20, v30 :: v_dual_sub_f32 v32, v29, v31
	v_sub_f32_e32 v18, v18, v20
	s_delay_alu instid0(VALU_DEP_2) | instskip(NEXT) | instid1(VALU_DEP_1)
	v_sub_f32_e32 v29, v29, v32
	v_sub_f32_e32 v20, v29, v31
	s_delay_alu instid0(VALU_DEP_1) | instskip(NEXT) | instid1(VALU_DEP_4)
	v_add_f32_e32 v16, v16, v20
	v_ldexp_f32 v18, v18, -2
	s_delay_alu instid0(VALU_DEP_1) | instskip(NEXT) | instid1(VALU_DEP_1)
	v_sub_f32_e32 v16, v16, v18
	v_add_f32_e32 v16, v32, v16
	s_delay_alu instid0(VALU_DEP_1) | instskip(SKIP_1) | instid1(VALU_DEP_1)
	v_cndmask_b32_e64 v16, 0x7f800000, v16, s3
	v_cmp_gt_f32_e64 s3, 0x39800000, |v28|
	v_cndmask_b32_e64 v16, v16, |v28|, s3
	s_delay_alu instid0(VALU_DEP_1) | instskip(NEXT) | instid1(VALU_DEP_1)
	v_bfi_b32 v16, 0x7fffffff, v16, v28
	v_bfe_u32 v18, v16, 16, 1
	v_cmp_o_f32_e64 s3, v16, v16
	s_delay_alu instid0(VALU_DEP_2) | instskip(NEXT) | instid1(VALU_DEP_1)
	v_add3_u32 v18, v16, v18, 0x7fff
	v_lshrrev_b32_e32 v18, 16, v18
	s_delay_alu instid0(VALU_DEP_1)
	v_cndmask_b32_e64 v16, 0x7fc0, v18, s3
	global_store_b16 v[14:15], v16, off
.LBB128_14:                             ;   in Loop: Header=BB128_4 Depth=1
	s_wait_xcnt 0x0
	s_or_b32 exec_lo, exec_lo, s4
	v_add_f32_e64 v18, 0xbf317218, |v26|
	v_and_b32_e32 v16, 0x7fffffff, v26
	v_add_f32_e64 v30, 0xbf317218, |v27|
	v_cmp_nlt_f32_e64 s3, 0x42b2d4fc, |v26|
	s_delay_alu instid0(VALU_DEP_4) | instskip(NEXT) | instid1(VALU_DEP_1)
	v_sub_f32_e64 v29, v18, |v26|
	v_sub_f32_e32 v28, v29, v18
	s_delay_alu instid0(VALU_DEP_1) | instskip(NEXT) | instid1(VALU_DEP_1)
	v_pk_add_f32 v[28:29], v[16:17], v[28:29]
	v_sub_f32_e32 v16, v28, v29
	v_sub_f32_e64 v29, v30, |v27|
	s_delay_alu instid0(VALU_DEP_1) | instskip(NEXT) | instid1(VALU_DEP_3)
	v_sub_f32_e32 v28, v29, v30
	v_add_f32_e32 v20, 0x3102e308, v16
	v_and_b32_e32 v16, 0x7fffffff, v27
	s_delay_alu instid0(VALU_DEP_2) | instskip(NEXT) | instid1(VALU_DEP_2)
	v_add_f32_e32 v31, v18, v20
	v_pk_add_f32 v[28:29], v[16:17], v[28:29]
	s_delay_alu instid0(VALU_DEP_2) | instskip(NEXT) | instid1(VALU_DEP_1)
	v_sub_f32_e32 v18, v18, v31
	v_add_f32_e32 v16, v20, v18
	s_delay_alu instid0(VALU_DEP_3) | instskip(NEXT) | instid1(VALU_DEP_1)
	v_sub_f32_e32 v18, v28, v29
	v_add_f32_e32 v18, 0x3102e308, v18
	s_delay_alu instid0(VALU_DEP_1) | instskip(NEXT) | instid1(VALU_DEP_1)
	v_dual_mul_f32 v32, 0x3fb8aa3b, v31 :: v_dual_add_f32 v33, v30, v18
	v_rndne_f32_e32 v40, v32
	s_delay_alu instid0(VALU_DEP_1) | instskip(NEXT) | instid1(VALU_DEP_1)
	v_fmac_f32_e32 v31, 0xbf317200, v40
	v_dual_mul_f32 v20, 0x35bfbc00, v40 :: v_dual_add_f32 v29, v16, v31
	s_delay_alu instid0(VALU_DEP_1) | instskip(NEXT) | instid1(VALU_DEP_1)
	v_dual_sub_f32 v28, v29, v20 :: v_dual_sub_f32 v31, v31, v29
	v_dual_sub_f32 v29, v29, v28 :: v_dual_add_f32 v16, v16, v31
	v_mul_f32_e32 v31, 0x2ea39ef3, v40
	s_delay_alu instid0(VALU_DEP_2) | instskip(NEXT) | instid1(VALU_DEP_1)
	v_dual_sub_f32 v20, v29, v20 :: v_dual_sub_f32 v29, v30, v33
	v_dual_add_f32 v16, v16, v20 :: v_dual_add_f32 v18, v18, v29
	s_delay_alu instid0(VALU_DEP_1) | instskip(NEXT) | instid1(VALU_DEP_1)
	v_dual_mul_f32 v32, 0x3fb8aa3b, v33 :: v_dual_add_f32 v29, v28, v16
	v_rndne_f32_e32 v41, v32
	s_delay_alu instid0(VALU_DEP_1) | instskip(NEXT) | instid1(VALU_DEP_1)
	v_dual_mov_b32 v30, v29 :: v_dual_fmac_f32 v33, 0xbf317200, v41
	v_pk_add_f32 v[34:35], v[28:29], v[30:31] neg_lo:[0,1] neg_hi:[0,1]
	v_mul_f32_e32 v20, 0x35bfbc00, v41
	s_delay_alu instid0(VALU_DEP_2) | instskip(NEXT) | instid1(VALU_DEP_1)
	v_dual_add_f32 v36, v18, v33 :: v_dual_sub_f32 v29, v29, v35
	v_dual_add_f32 v16, v16, v34 :: v_dual_sub_f32 v28, v33, v36
	s_delay_alu instid0(VALU_DEP_3) | instskip(NEXT) | instid1(VALU_DEP_2)
	v_sub_f32_e32 v32, v36, v20
	v_add_f32_e32 v18, v18, v28
	s_delay_alu instid0(VALU_DEP_2) | instskip(NEXT) | instid1(VALU_DEP_1)
	v_dual_sub_f32 v30, v36, v32 :: v_dual_sub_f32 v28, v29, v31
	v_dual_mul_f32 v29, 0x2ea39ef3, v41 :: v_dual_sub_f32 v20, v30, v20
	s_delay_alu instid0(VALU_DEP_2) | instskip(NEXT) | instid1(VALU_DEP_2)
	v_add_f32_e32 v16, v16, v28
	v_add_f32_e32 v18, v18, v20
	s_delay_alu instid0(VALU_DEP_1) | instskip(NEXT) | instid1(VALU_DEP_1)
	v_dual_add_f32 v34, v35, v16 :: v_dual_add_f32 v33, v32, v18
	v_dual_sub_f32 v20, v35, v34 :: v_dual_mov_b32 v28, v33
	s_delay_alu instid0(VALU_DEP_1) | instskip(SKIP_1) | instid1(VALU_DEP_3)
	v_add_f32_e32 v16, v16, v20
	v_fmaak_f32 v20, s20, v34, 0x3c091de6
	v_pk_add_f32 v[30:31], v[32:33], v[28:29] neg_lo:[0,1] neg_hi:[0,1]
	s_delay_alu instid0(VALU_DEP_3) | instskip(NEXT) | instid1(VALU_DEP_1)
	v_dual_mul_f32 v28, v34, v34 :: v_dual_add_f32 v35, v16, v16
	v_dual_sub_f32 v32, v33, v31 :: v_dual_fma_f32 v33, v34, v34, -v28
	s_delay_alu instid0(VALU_DEP_1) | instskip(NEXT) | instid1(VALU_DEP_1)
	v_dual_fmaak_f32 v20, v34, v20, 0x3d2aadcc :: v_dual_sub_f32 v29, v32, v29
	v_dual_fmac_f32 v33, v34, v35 :: v_dual_fmaak_f32 v20, v34, v20, 0x3e2aaa47
	v_add_f32_e32 v18, v18, v30
	s_delay_alu instid0(VALU_DEP_1) | instskip(NEXT) | instid1(VALU_DEP_3)
	v_add_f32_e32 v18, v18, v29
	v_add_f32_e32 v29, v28, v33
	s_delay_alu instid0(VALU_DEP_1) | instskip(NEXT) | instid1(VALU_DEP_3)
	v_sub_f32_e32 v28, v29, v28
	v_dual_fmaak_f32 v20, v34, v20, 0x3efffffc :: v_dual_add_f32 v35, v31, v18
	s_delay_alu instid0(VALU_DEP_1) | instskip(NEXT) | instid1(VALU_DEP_2)
	v_dual_sub_f32 v28, v33, v28 :: v_dual_mul_f32 v30, v20, v29
	v_sub_f32_e32 v31, v31, v35
	s_delay_alu instid0(VALU_DEP_2) | instskip(NEXT) | instid1(VALU_DEP_2)
	v_dual_mul_f32 v32, v35, v35 :: v_dual_fma_f32 v29, v29, v20, -v30
	v_add_f32_e32 v18, v18, v31
	v_fmaak_f32 v31, s20, v35, 0x3c091de6
	s_delay_alu instid0(VALU_DEP_3) | instskip(NEXT) | instid1(VALU_DEP_2)
	v_dual_fmac_f32 v29, v28, v20 :: v_dual_fma_f32 v28, v35, v35, -v32
	v_dual_add_f32 v20, v18, v18 :: v_dual_fmaak_f32 v31, v35, v31, 0x3d2aadcc
	s_delay_alu instid0(VALU_DEP_1) | instskip(NEXT) | instid1(VALU_DEP_1)
	v_dual_fmac_f32 v28, v35, v20 :: v_dual_add_f32 v33, v30, v29
	v_dual_add_f32 v36, v32, v28 :: v_dual_fmaak_f32 v31, v35, v31, 0x3e2aaa47
	s_delay_alu instid0(VALU_DEP_2) | instskip(NEXT) | instid1(VALU_DEP_1)
	v_dual_add_f32 v20, v34, v33 :: v_dual_sub_f32 v30, v33, v30
	v_dual_fmaak_f32 v31, v35, v31, 0x3efffffc :: v_dual_sub_f32 v34, v20, v34
	s_delay_alu instid0(VALU_DEP_2) | instskip(NEXT) | instid1(VALU_DEP_2)
	v_dual_sub_f32 v29, v29, v30 :: v_dual_sub_f32 v30, v36, v32
	v_dual_mul_f32 v32, v31, v36 :: v_dual_sub_f32 v33, v33, v34
	s_delay_alu instid0(VALU_DEP_2) | instskip(NEXT) | instid1(VALU_DEP_3)
	v_add_f32_e32 v16, v16, v29
	v_sub_f32_e32 v29, v28, v30
	s_delay_alu instid0(VALU_DEP_3) | instskip(NEXT) | instid1(VALU_DEP_1)
	v_fma_f32 v34, v36, v31, -v32
	v_dual_add_f32 v28, v16, v33 :: v_dual_fmac_f32 v34, v29, v31
	s_delay_alu instid0(VALU_DEP_1) | instskip(NEXT) | instid1(VALU_DEP_1)
	v_add_f32_e32 v16, v32, v34
	v_sub_f32_e32 v29, v16, v32
	s_delay_alu instid0(VALU_DEP_1) | instskip(NEXT) | instid1(VALU_DEP_1)
	v_dual_add_f32 v30, v20, v28 :: v_dual_sub_f32 v29, v34, v29
	v_dual_add_f32 v31, 1.0, v30 :: v_dual_add_f32 v18, v18, v29
	s_delay_alu instid0(VALU_DEP_1) | instskip(SKIP_1) | instid1(VALU_DEP_1)
	v_pk_add_f32 v[32:33], v[30:31], v[20:21] neg_lo:[0,1] neg_hi:[0,1]
	v_dual_add_f32 v20, v35, v16 :: v_dual_mov_b32 v29, v30
	v_sub_f32_e32 v33, v20, v35
	v_mov_b64_e32 v[34:35], s[4:5]
	s_delay_alu instid0(VALU_DEP_2) | instskip(NEXT) | instid1(VALU_DEP_2)
	v_sub_f32_e32 v16, v16, v33
	v_pk_add_f32 v[38:39], v[30:31], v[34:35]
	v_cvt_i32_f32_e32 v30, v41
	s_delay_alu instid0(VALU_DEP_3) | instskip(SKIP_1) | instid1(VALU_DEP_2)
	v_add_f32_e32 v36, v18, v16
	v_cvt_i32_f32_e32 v18, v40
	v_dual_add_f32 v38, v20, v36 :: v_dual_mov_b32 v33, v39
	s_delay_alu instid0(VALU_DEP_1) | instskip(NEXT) | instid1(VALU_DEP_2)
	v_add_f32_e32 v39, 1.0, v38
	v_pk_add_f32 v[28:29], v[28:29], v[32:33] neg_lo:[0,1] neg_hi:[0,1]
	v_mov_b32_e32 v37, v38
	s_delay_alu instid0(VALU_DEP_3) | instskip(NEXT) | instid1(VALU_DEP_3)
	v_pk_add_f32 v[32:33], v[38:39], v[34:35]
	v_add_f32_e32 v16, v28, v29
	v_pk_add_f32 v[28:29], v[38:39], v[20:21] neg_lo:[0,1] neg_hi:[0,1]
	s_delay_alu instid0(VALU_DEP_2) | instskip(NEXT) | instid1(VALU_DEP_1)
	v_dual_mov_b32 v29, v33 :: v_dual_add_f32 v20, v31, v16
	v_pk_add_f32 v[28:29], v[36:37], v[28:29] neg_lo:[0,1] neg_hi:[0,1]
	s_delay_alu instid0(VALU_DEP_2) | instskip(NEXT) | instid1(VALU_DEP_1)
	v_ldexp_f32 v33, v20, v18
	v_rcp_f32_e32 v44, v33
	v_nop
	s_delay_alu instid0(TRANS32_DEP_1) | instskip(NEXT) | instid1(VALU_DEP_1)
	v_dual_add_f32 v29, v28, v29 :: v_dual_mul_f32 v28, v33, v44
	v_dual_sub_f32 v20, v20, v31 :: v_dual_add_f32 v35, v39, v29
	s_delay_alu instid0(VALU_DEP_1) | instskip(NEXT) | instid1(VALU_DEP_2)
	v_sub_f32_e32 v16, v16, v20
	v_ldexp_f32 v32, v35, v30
	s_delay_alu instid0(VALU_DEP_2) | instskip(SKIP_1) | instid1(VALU_DEP_3)
	v_ldexp_f32 v31, v16, v18
	v_dual_sub_f32 v18, v35, v39 :: v_dual_fma_f32 v34, v44, v33, -v28
	v_rcp_f32_e32 v16, v32
	s_delay_alu instid0(VALU_DEP_1) | instskip(NEXT) | instid1(VALU_DEP_1)
	v_dual_sub_f32 v20, v29, v18 :: v_dual_fmac_f32 v34, v44, v31
	v_ldexp_f32 v30, v20, v30
	s_delay_alu instid0(VALU_DEP_2)
	v_add_f32_e32 v18, v28, v34
	s_delay_alu instid0(TRANS32_DEP_1) | instid1(VALU_DEP_1)
	v_dual_mul_f32 v36, v32, v16 :: v_dual_mov_b32 v35, v18
	s_delay_alu instid0(VALU_DEP_1) | instskip(NEXT) | instid1(VALU_DEP_1)
	v_dual_fma_f32 v38, v16, v32, -v36 :: v_dual_sub_f32 v29, 1.0, v18
	v_fmac_f32_e32 v38, v16, v30
	s_delay_alu instid0(VALU_DEP_2) | instskip(NEXT) | instid1(VALU_DEP_2)
	v_pk_add_f32 v[40:41], v[18:19], v[28:29] neg_lo:[0,1] neg_hi:[0,1]
	v_add_f32_e32 v18, v36, v38
	s_delay_alu instid0(VALU_DEP_2) | instskip(NEXT) | instid1(VALU_DEP_2)
	v_pk_add_f32 v[34:35], v[40:41], v[34:35] neg_lo:[0,1] neg_hi:[0,1]
	v_dual_sub_f32 v37, 1.0, v18 :: v_dual_mov_b32 v39, v18
	s_delay_alu instid0(VALU_DEP_1) | instskip(NEXT) | instid1(VALU_DEP_3)
	v_pk_add_f32 v[42:43], v[18:19], v[36:37] neg_lo:[0,1] neg_hi:[0,1]
	v_add_f32_e32 v18, v34, v35
	s_delay_alu instid0(VALU_DEP_2) | instskip(NEXT) | instid1(VALU_DEP_1)
	v_pk_add_f32 v[38:39], v[42:43], v[38:39] neg_lo:[0,1] neg_hi:[0,1]
	v_add_f32_e32 v20, v38, v39
	s_delay_alu instid0(VALU_DEP_1) | instskip(NEXT) | instid1(VALU_DEP_1)
	v_add_f32_e32 v39, v37, v20
	v_dual_add_f32 v35, v29, v18 :: v_dual_mul_f32 v46, v16, v39
	s_delay_alu instid0(VALU_DEP_1) | instskip(NEXT) | instid1(VALU_DEP_1)
	v_dual_mul_f32 v45, v44, v35 :: v_dual_sub_f32 v47, v29, v35
	v_dual_mul_f32 v28, v32, v46 :: v_dual_mul_f32 v40, v33, v45
	s_delay_alu instid0(VALU_DEP_1) | instskip(NEXT) | instid1(VALU_DEP_1)
	v_fma_f32 v36, v46, v32, -v28
	v_fmac_f32_e32 v36, v46, v30
	s_delay_alu instid0(VALU_DEP_1) | instskip(NEXT) | instid1(VALU_DEP_1)
	v_dual_fma_f32 v42, v45, v33, -v40 :: v_dual_add_f32 v38, v28, v36
	v_dual_fmac_f32 v42, v45, v31 :: v_dual_sub_f32 v29, v39, v38
	s_delay_alu instid0(VALU_DEP_1) | instskip(NEXT) | instid1(VALU_DEP_1)
	v_add_f32_e32 v34, v40, v42
	v_dual_sub_f32 v41, v35, v34 :: v_dual_mov_b32 v43, v34
	s_delay_alu instid0(VALU_DEP_1) | instskip(SKIP_3) | instid1(VALU_DEP_4)
	v_pk_add_f32 v[34:35], v[34:35], v[40:41] neg_lo:[0,1] neg_hi:[0,1]
	v_dual_sub_f32 v40, v37, v39 :: v_dual_mov_b32 v37, v38
	v_pk_add_f32 v[38:39], v[38:39], v[28:29] neg_lo:[0,1] neg_hi:[0,1]
	v_add_f32_e32 v18, v18, v47
	v_pk_add_f32 v[34:35], v[34:35], v[42:43] neg_lo:[0,1] neg_hi:[0,1]
	s_delay_alu instid0(VALU_DEP_4) | instskip(NEXT) | instid1(VALU_DEP_4)
	v_add_f32_e32 v20, v20, v40
	v_pk_add_f32 v[36:37], v[38:39], v[36:37] neg_lo:[0,1] neg_hi:[0,1]
	s_delay_alu instid0(VALU_DEP_1) | instskip(NEXT) | instid1(VALU_DEP_1)
	v_dual_add_f32 v18, v18, v35 :: v_dual_add_f32 v20, v20, v37
	v_dual_add_f32 v37, v44, v45 :: v_dual_add_f32 v18, v34, v18
	v_add_f32_e32 v38, v16, v46
	s_delay_alu instid0(VALU_DEP_3) | instskip(NEXT) | instid1(VALU_DEP_3)
	v_add_f32_e32 v20, v36, v20
	v_sub_f32_e32 v28, v37, v44
	s_delay_alu instid0(VALU_DEP_3) | instskip(NEXT) | instid1(VALU_DEP_1)
	v_dual_add_f32 v18, v41, v18 :: v_dual_sub_f32 v34, v38, v16
	v_dual_sub_f32 v28, v45, v28 :: v_dual_mul_f32 v18, v44, v18
	s_delay_alu instid0(VALU_DEP_2) | instskip(NEXT) | instid1(VALU_DEP_2)
	v_dual_add_f32 v20, v29, v20 :: v_dual_sub_f32 v29, v46, v34
	v_add_f32_e32 v18, v28, v18
	s_delay_alu instid0(VALU_DEP_1) | instskip(NEXT) | instid1(VALU_DEP_1)
	v_dual_mul_f32 v16, v16, v20 :: v_dual_add_f32 v20, v37, v18
	v_add_f32_e32 v16, v29, v16
	s_delay_alu instid0(VALU_DEP_2) | instskip(NEXT) | instid1(VALU_DEP_2)
	v_ldexp_f32 v29, v20, -2
	v_dual_add_f32 v36, v38, v16 :: v_dual_sub_f32 v20, v20, v37
	s_delay_alu instid0(VALU_DEP_1) | instskip(NEXT) | instid1(VALU_DEP_2)
	v_ldexp_f32 v28, v36, -2
	v_dual_sub_f32 v36, v36, v38 :: v_dual_sub_f32 v18, v18, v20
	s_delay_alu instid0(VALU_DEP_2) | instskip(NEXT) | instid1(VALU_DEP_2)
	v_pk_add_f32 v[34:35], v[32:33], v[28:29] neg_lo:[0,1] neg_hi:[0,1]
	v_sub_f32_e32 v16, v16, v36
	s_delay_alu instid0(VALU_DEP_2) | instskip(NEXT) | instid1(VALU_DEP_1)
	v_pk_add_f32 v[32:33], v[32:33], v[34:35] neg_lo:[0,1] neg_hi:[0,1]
	v_pk_add_f32 v[28:29], v[32:33], v[28:29] neg_lo:[0,1] neg_hi:[0,1]
	v_ldexp_f32 v33, v18, -2
	s_delay_alu instid0(VALU_DEP_4) | instskip(NEXT) | instid1(VALU_DEP_3)
	v_ldexp_f32 v32, v16, -2
	v_pk_add_f32 v[28:29], v[30:31], v[28:29]
	s_delay_alu instid0(VALU_DEP_1) | instskip(NEXT) | instid1(VALU_DEP_1)
	v_pk_add_f32 v[28:29], v[28:29], v[32:33] neg_lo:[0,1] neg_hi:[0,1]
	v_pk_add_f32 v[28:29], v[34:35], v[28:29]
	s_delay_alu instid0(VALU_DEP_1) | instskip(SKIP_1) | instid1(VALU_DEP_1)
	v_cndmask_b32_e64 v16, 0x7f800000, v29, s3
	v_cmp_nlt_f32_e64 s3, 0x42b2d4fc, |v27|
	v_cndmask_b32_e64 v18, 0x7f800000, v28, s3
	v_cmp_gt_f32_e64 s3, 0x39800000, |v26|
	s_delay_alu instid0(VALU_DEP_1) | instskip(SKIP_1) | instid1(VALU_DEP_1)
	v_cndmask_b32_e64 v16, v16, |v26|, s3
	v_cmp_gt_f32_e64 s3, 0x39800000, |v27|
	v_cndmask_b32_e64 v20, v18, |v27|, s3
	s_delay_alu instid0(VALU_DEP_3) | instskip(NEXT) | instid1(VALU_DEP_2)
	v_bfi_b32 v18, 0x7fffffff, v16, v26
	v_bfi_b32 v16, 0x7fffffff, v20, v27
	s_delay_alu instid0(VALU_DEP_2) | instskip(NEXT) | instid1(VALU_DEP_2)
	v_cmp_u_f32_e64 s4, v18, v18
	v_cmp_u_f32_e64 s3, v16, v16
	s_and_saveexec_b32 s21, vcc_lo
	s_cbranch_execz .LBB128_16
; %bb.15:                               ;   in Loop: Header=BB128_4 Depth=1
	v_bfe_u32 v20, v18, 16, 1
	s_delay_alu instid0(VALU_DEP_1) | instskip(NEXT) | instid1(VALU_DEP_1)
	v_add3_u32 v18, v18, v20, 0x7fff
	v_lshrrev_b32_e32 v18, 16, v18
	s_delay_alu instid0(VALU_DEP_1)
	v_cndmask_b32_e64 v18, v18, 0x7fc0, s4
	global_store_b16 v[22:23], v18, off
.LBB128_16:                             ;   in Loop: Header=BB128_4 Depth=1
	s_wait_xcnt 0x0
	s_or_b32 exec_lo, exec_lo, s21
	s_and_saveexec_b32 s4, s2
	s_cbranch_execz .LBB128_3
; %bb.17:                               ;   in Loop: Header=BB128_4 Depth=1
	v_bfe_u32 v18, v16, 16, 1
	s_delay_alu instid0(VALU_DEP_1) | instskip(NEXT) | instid1(VALU_DEP_1)
	v_add3_u32 v16, v16, v18, 0x7fff
	v_lshrrev_b32_e32 v16, 16, v16
	s_delay_alu instid0(VALU_DEP_1)
	v_cndmask_b32_e64 v16, v16, 0x7fc0, s3
	global_store_b16 v[24:25], v16, off
	s_branch .LBB128_3
.LBB128_18:                             ;   in Loop: Header=BB128_4 Depth=1
	global_load_u16 v16, v[24:25], off
	s_wait_loadcnt 0x0
	v_lshlrev_b32_e32 v27, 16, v16
	s_wait_xcnt 0x0
	s_or_b32 exec_lo, exec_lo, s21
	s_and_saveexec_b32 s21, s4
	s_cbranch_execz .LBB128_12
.LBB128_19:                             ;   in Loop: Header=BB128_4 Depth=1
	v_add_f32_e64 v18, 0xbf317218, |v29|
	v_and_b32_e32 v16, 0x7fffffff, v29
	s_delay_alu instid0(VALU_DEP_2) | instskip(NEXT) | instid1(VALU_DEP_1)
	v_sub_f32_e64 v31, v18, |v29|
	v_sub_f32_e32 v30, v31, v18
	s_delay_alu instid0(VALU_DEP_1) | instskip(NEXT) | instid1(VALU_DEP_1)
	v_pk_add_f32 v[30:31], v[16:17], v[30:31]
	v_sub_f32_e32 v16, v30, v31
	s_delay_alu instid0(VALU_DEP_1) | instskip(NEXT) | instid1(VALU_DEP_1)
	v_add_f32_e32 v16, 0x3102e308, v16
	v_add_f32_e32 v20, v18, v16
	s_delay_alu instid0(VALU_DEP_1) | instskip(NEXT) | instid1(VALU_DEP_1)
	v_sub_f32_e32 v18, v18, v20
	v_add_f32_e32 v16, v16, v18
	v_mul_f32_e32 v30, 0x3fb8aa3b, v20
	s_delay_alu instid0(VALU_DEP_1) | instskip(NEXT) | instid1(VALU_DEP_1)
	v_rndne_f32_e32 v38, v30
	v_fmac_f32_e32 v20, 0xbf317200, v38
	v_mul_f32_e32 v18, 0x35bfbc00, v38
	v_mul_f32_e32 v33, 0x2ea39ef3, v38
	s_delay_alu instid0(VALU_DEP_3) | instskip(NEXT) | instid1(VALU_DEP_1)
	v_add_f32_e32 v31, v16, v20
	v_dual_sub_f32 v30, v31, v18 :: v_dual_sub_f32 v20, v20, v31
	s_delay_alu instid0(VALU_DEP_1) | instskip(NEXT) | instid1(VALU_DEP_1)
	v_sub_f32_e32 v31, v31, v30
	v_dual_sub_f32 v18, v31, v18 :: v_dual_add_f32 v16, v16, v20
	s_delay_alu instid0(VALU_DEP_1) | instskip(NEXT) | instid1(VALU_DEP_1)
	v_add_f32_e32 v16, v16, v18
	v_add_f32_e32 v31, v30, v16
	s_delay_alu instid0(VALU_DEP_1) | instskip(NEXT) | instid1(VALU_DEP_1)
	v_mov_b32_e32 v32, v31
	v_pk_add_f32 v[34:35], v[30:31], v[32:33] neg_lo:[0,1] neg_hi:[0,1]
	s_delay_alu instid0(VALU_DEP_1) | instskip(NEXT) | instid1(VALU_DEP_1)
	v_dual_sub_f32 v18, v31, v35 :: v_dual_add_f32 v16, v16, v34
	v_sub_f32_e32 v18, v18, v33
	s_delay_alu instid0(VALU_DEP_1) | instskip(NEXT) | instid1(VALU_DEP_1)
	v_add_f32_e32 v16, v16, v18
	v_add_f32_e32 v18, v35, v16
	s_delay_alu instid0(VALU_DEP_1) | instskip(SKIP_2) | instid1(VALU_DEP_3)
	v_sub_f32_e32 v20, v35, v18
	v_mov_b64_e32 v[34:35], s[4:5]
	v_cmp_nlt_f32_e64 s4, 0x42b2d4fc, |v29|
	v_add_f32_e32 v16, v16, v20
	s_delay_alu instid0(VALU_DEP_1) | instskip(SKIP_1) | instid1(VALU_DEP_2)
	v_dual_add_f32 v32, v16, v16 :: v_dual_mul_f32 v30, v18, v18
	v_fmaak_f32 v20, s20, v18, 0x3c091de6
	v_fma_f32 v31, v18, v18, -v30
	s_delay_alu instid0(VALU_DEP_2) | instskip(NEXT) | instid1(VALU_DEP_2)
	v_fmaak_f32 v20, v18, v20, 0x3d2aadcc
	v_fmac_f32_e32 v31, v18, v32
	s_delay_alu instid0(VALU_DEP_2) | instskip(NEXT) | instid1(VALU_DEP_2)
	v_fmaak_f32 v20, v18, v20, 0x3e2aaa47
	v_add_f32_e32 v32, v30, v31
	s_delay_alu instid0(VALU_DEP_2) | instskip(NEXT) | instid1(VALU_DEP_2)
	v_fmaak_f32 v20, v18, v20, 0x3efffffc
	v_sub_f32_e32 v30, v32, v30
	s_delay_alu instid0(VALU_DEP_1) | instskip(NEXT) | instid1(VALU_DEP_1)
	v_dual_sub_f32 v30, v31, v30 :: v_dual_mul_f32 v33, v20, v32
	v_fma_f32 v31, v32, v20, -v33
	s_delay_alu instid0(VALU_DEP_1) | instskip(NEXT) | instid1(VALU_DEP_1)
	v_fmac_f32_e32 v31, v30, v20
	v_add_f32_e32 v30, v33, v31
	s_delay_alu instid0(VALU_DEP_1) | instskip(NEXT) | instid1(VALU_DEP_1)
	v_sub_f32_e32 v32, v30, v33
	v_sub_f32_e32 v31, v31, v32
	s_delay_alu instid0(VALU_DEP_1) | instskip(NEXT) | instid1(VALU_DEP_1)
	v_dual_add_f32 v16, v16, v31 :: v_dual_add_f32 v20, v18, v30
	v_sub_f32_e32 v18, v20, v18
	s_delay_alu instid0(VALU_DEP_1) | instskip(NEXT) | instid1(VALU_DEP_1)
	v_sub_f32_e32 v18, v30, v18
	v_add_f32_e32 v30, v16, v18
	v_cvt_i32_f32_e32 v18, v38
	s_delay_alu instid0(VALU_DEP_2) | instskip(NEXT) | instid1(VALU_DEP_1)
	v_add_f32_e32 v32, v20, v30
	v_dual_add_f32 v33, 1.0, v32 :: v_dual_mov_b32 v31, v32
	s_delay_alu instid0(VALU_DEP_1) | instskip(SKIP_1) | instid1(VALU_DEP_2)
	v_pk_add_f32 v[34:35], v[32:33], v[34:35]
	v_pk_add_f32 v[36:37], v[32:33], v[20:21] neg_lo:[0,1] neg_hi:[0,1]
	v_mov_b32_e32 v37, v35
	s_delay_alu instid0(VALU_DEP_1) | instskip(NEXT) | instid1(VALU_DEP_1)
	v_pk_add_f32 v[30:31], v[30:31], v[36:37] neg_lo:[0,1] neg_hi:[0,1]
	v_add_f32_e32 v16, v30, v31
	s_delay_alu instid0(VALU_DEP_1) | instskip(NEXT) | instid1(VALU_DEP_1)
	v_add_f32_e32 v20, v33, v16
	v_ldexp_f32 v36, v20, v18
	v_sub_f32_e32 v20, v20, v33
	s_delay_alu instid0(VALU_DEP_2) | instskip(NEXT) | instid1(VALU_DEP_1)
	v_rcp_f32_e32 v37, v36
	v_sub_f32_e32 v16, v16, v20
	s_delay_alu instid0(VALU_DEP_1) | instskip(NEXT) | instid1(TRANS32_DEP_1)
	v_ldexp_f32 v16, v16, v18
	v_mul_f32_e32 v30, v36, v37
	s_delay_alu instid0(VALU_DEP_1) | instskip(NEXT) | instid1(VALU_DEP_1)
	v_fma_f32 v32, v37, v36, -v30
	v_fmac_f32_e32 v32, v37, v16
	s_delay_alu instid0(VALU_DEP_1) | instskip(NEXT) | instid1(VALU_DEP_1)
	v_add_f32_e32 v18, v30, v32
	v_dual_sub_f32 v31, 1.0, v18 :: v_dual_mov_b32 v33, v18
	s_delay_alu instid0(VALU_DEP_1) | instskip(NEXT) | instid1(VALU_DEP_1)
	v_pk_add_f32 v[34:35], v[18:19], v[30:31] neg_lo:[0,1] neg_hi:[0,1]
	v_pk_add_f32 v[32:33], v[34:35], v[32:33] neg_lo:[0,1] neg_hi:[0,1]
	s_delay_alu instid0(VALU_DEP_1) | instskip(NEXT) | instid1(VALU_DEP_1)
	v_add_f32_e32 v18, v32, v33
	v_add_f32_e32 v33, v31, v18
	s_delay_alu instid0(VALU_DEP_1) | instskip(NEXT) | instid1(VALU_DEP_1)
	v_dual_mul_f32 v20, v37, v33 :: v_dual_sub_f32 v38, v31, v33
	v_mul_f32_e32 v34, v36, v20
	s_delay_alu instid0(VALU_DEP_1) | instskip(NEXT) | instid1(VALU_DEP_1)
	v_fma_f32 v30, v20, v36, -v34
	v_fmac_f32_e32 v30, v20, v16
	s_delay_alu instid0(VALU_DEP_1) | instskip(NEXT) | instid1(VALU_DEP_1)
	v_add_f32_e32 v32, v34, v30
	v_dual_add_f32 v18, v18, v38 :: v_dual_sub_f32 v35, v33, v32
	v_mov_b32_e32 v31, v32
	s_delay_alu instid0(VALU_DEP_2) | instskip(NEXT) | instid1(VALU_DEP_1)
	v_pk_add_f32 v[32:33], v[32:33], v[34:35] neg_lo:[0,1] neg_hi:[0,1]
	v_pk_add_f32 v[30:31], v[32:33], v[30:31] neg_lo:[0,1] neg_hi:[0,1]
	s_delay_alu instid0(VALU_DEP_1) | instskip(NEXT) | instid1(VALU_DEP_1)
	v_dual_add_f32 v18, v18, v31 :: v_dual_add_f32 v31, v37, v20
	v_add_f32_e32 v18, v30, v18
	s_delay_alu instid0(VALU_DEP_1) | instskip(NEXT) | instid1(VALU_DEP_1)
	v_add_f32_e32 v18, v35, v18
	v_dual_sub_f32 v30, v31, v37 :: v_dual_mul_f32 v18, v37, v18
	s_delay_alu instid0(VALU_DEP_1) | instskip(NEXT) | instid1(VALU_DEP_1)
	v_sub_f32_e32 v20, v20, v30
	v_add_f32_e32 v18, v20, v18
	s_delay_alu instid0(VALU_DEP_1) | instskip(NEXT) | instid1(VALU_DEP_1)
	v_add_f32_e32 v20, v31, v18
	v_ldexp_f32 v30, v20, -2
	v_sub_f32_e32 v20, v20, v31
	s_delay_alu instid0(VALU_DEP_1) | instskip(NEXT) | instid1(VALU_DEP_1)
	v_dual_sub_f32 v32, v36, v30 :: v_dual_sub_f32 v18, v18, v20
	v_sub_f32_e32 v33, v36, v32
	s_delay_alu instid0(VALU_DEP_2) | instskip(NEXT) | instid1(VALU_DEP_2)
	v_ldexp_f32 v18, v18, -2
	v_sub_f32_e32 v30, v33, v30
	s_delay_alu instid0(VALU_DEP_1) | instskip(NEXT) | instid1(VALU_DEP_1)
	v_add_f32_e32 v16, v16, v30
	v_sub_f32_e32 v16, v16, v18
	s_delay_alu instid0(VALU_DEP_1) | instskip(NEXT) | instid1(VALU_DEP_1)
	v_add_f32_e32 v16, v32, v16
	v_cndmask_b32_e64 v16, 0x7f800000, v16, s4
	v_cmp_gt_f32_e64 s4, 0x39800000, |v29|
	s_delay_alu instid0(VALU_DEP_1) | instskip(NEXT) | instid1(VALU_DEP_1)
	v_cndmask_b32_e64 v16, v16, |v29|, s4
	v_bfi_b32 v16, 0x7fffffff, v16, v29
	s_delay_alu instid0(VALU_DEP_1) | instskip(SKIP_1) | instid1(VALU_DEP_2)
	v_bfe_u32 v18, v16, 16, 1
	v_cmp_o_f32_e64 s4, v16, v16
	v_add3_u32 v18, v16, v18, 0x7fff
	s_delay_alu instid0(VALU_DEP_1) | instskip(NEXT) | instid1(VALU_DEP_1)
	v_lshrrev_b32_e32 v18, 16, v18
	v_cndmask_b32_e64 v16, 0x7fc0, v18, s4
	global_store_b16 v[8:9], v16, off
	s_wait_xcnt 0x0
	s_or_b32 exec_lo, exec_lo, s21
	s_and_saveexec_b32 s4, s3
	s_cbranch_execnz .LBB128_13
	s_branch .LBB128_14
.LBB128_20:
	s_cbranch_execz .LBB128_22
	s_branch .LBB128_25
.LBB128_21:
.LBB128_22:
	v_min_i64 v[2:3], 0x10000, s[10:11]
	v_dual_mov_b32 v11, 0 :: v_dual_lshlrev_b32 v10, 2, v0
	s_mov_b32 s2, exec_lo
	s_delay_alu instid0(VALU_DEP_1)
	v_cmpx_lt_i64_e64 v[10:11], v[2:3]
	s_cbranch_execz .LBB128_25
; %bb.23:
	s_load_b32 s0, s[0:1], 0xd3c
	v_dual_mov_b32 v1, v11 :: v_dual_lshlrev_b32 v10, 3, v0
	s_add_nc_u64 s[2:3], s[6:7], s[8:9]
	s_mov_b32 s4, 0x3ab42872
	s_mov_b32 s5, -1.0
	v_mov_b32_e32 v5, 0x3f317218
	v_add_nc_u64_e32 v[10:11], s[2:3], v[10:11]
	v_mov_b64_e32 v[12:13], s[4:5]
	v_dual_mov_b32 v7, -1.0 :: v_dual_mov_b32 v9, 1.0
	s_wait_xcnt 0x0
	s_mov_b32 s1, 0
	s_delay_alu instid0(SALU_CYCLE_1) | instskip(SKIP_3) | instid1(SALU_CYCLE_1)
	s_mov_b32 s3, s1
	s_mov_b32 s5, s1
	s_wait_kmcnt 0x0
	s_and_b32 s0, s0, 0xffff
	s_lshl_b32 s2, s0, 3
.LBB128_24:                             ; =>This Inner Loop Header: Depth=1
	global_load_b64 v[14:15], v[10:11], off
	v_add_nc_u64_e32 v[0:1], s[0:1], v[0:1]
	s_wait_loadcnt 0x0
	v_lshlrev_b32_e32 v18, 16, v14
	v_and_b32_e32 v19, 0xffff0000, v14
	v_alignbit_b32 v8, v15, v14, 16
	v_and_b32_e32 v15, 0xffff0000, v15
	s_delay_alu instid0(VALU_DEP_4)
	v_add_f32_e64 v6, 0xbf317218, |v18|
	v_and_b32_e32 v4, 0x7fffffff, v18
	v_add_f32_e64 v24, 0xbf317218, |v19|
	v_and_b32_e32 v14, 0xffff0000, v8
	v_add_f32_e64 v25, 0xbf317218, |v15|
	v_sub_f32_e64 v17, v6, |v18|
	v_cmp_nlt_f32_e64 vcc_lo, 0x42b2d4fc, |v19|
	v_sub_f32_e64 v21, v24, |v19|
	v_add_f32_e64 v8, 0xbf317218, |v14|
	v_sub_f32_e64 v23, v25, |v15|
	v_sub_f32_e32 v16, v17, v6
	v_cmp_gt_f32_e64 s6, 0x39800000, |v19|
	s_delay_alu instid0(VALU_DEP_3) | instskip(NEXT) | instid1(VALU_DEP_3)
	v_sub_f32_e32 v22, v23, v25
	v_pk_add_f32 v[16:17], v[4:5], v[16:17]
	v_and_b32_e32 v4, 0x7fffffff, v19
	s_delay_alu instid0(VALU_DEP_2) | instskip(SKIP_1) | instid1(VALU_DEP_2)
	v_sub_f32_e32 v16, v16, v17
	v_sub_f32_e64 v17, v8, |v14|
	v_add_f32_e32 v26, 0x3102e308, v16
	v_sub_f32_e32 v20, v21, v24
	s_delay_alu instid0(VALU_DEP_2) | instskip(NEXT) | instid1(VALU_DEP_2)
	v_dual_sub_f32 v16, v17, v8 :: v_dual_add_f32 v27, v6, v26
	v_pk_add_f32 v[20:21], v[4:5], v[20:21]
	v_and_b32_e32 v4, 0x7fffffff, v14
	s_delay_alu instid0(VALU_DEP_2) | instskip(SKIP_1) | instid1(VALU_DEP_3)
	v_dual_sub_f32 v6, v6, v27 :: v_dual_sub_f32 v20, v20, v21
	v_mul_f32_e32 v21, 0x3fb8aa3b, v27
	v_pk_add_f32 v[16:17], v[4:5], v[16:17]
	v_and_b32_e32 v4, 0x7fffffff, v15
	s_delay_alu instid0(VALU_DEP_4) | instskip(NEXT) | instid1(VALU_DEP_4)
	v_add_f32_e32 v28, 0x3102e308, v20
	v_rndne_f32_e32 v32, v21
	s_delay_alu instid0(VALU_DEP_4) | instskip(NEXT) | instid1(VALU_DEP_4)
	v_sub_f32_e32 v20, v16, v17
	v_pk_add_f32 v[16:17], v[4:5], v[22:23]
	s_delay_alu instid0(VALU_DEP_1) | instskip(NEXT) | instid1(VALU_DEP_1)
	v_dual_fmac_f32 v27, 0xbf317200, v32 :: v_dual_sub_f32 v16, v16, v17
	v_add_f32_e32 v16, 0x3102e308, v16
	s_delay_alu instid0(VALU_DEP_1) | instskip(SKIP_2) | instid1(VALU_DEP_2)
	v_dual_add_f32 v33, v25, v16 :: v_dual_add_f32 v6, v26, v6
	v_add_f32_e32 v21, 0x3102e308, v20
	v_add_f32_e32 v4, v24, v28
	v_dual_mul_f32 v23, 0x35bfbc00, v32 :: v_dual_add_f32 v30, v8, v21
	s_delay_alu instid0(VALU_DEP_2) | instskip(SKIP_1) | instid1(VALU_DEP_3)
	v_dual_sub_f32 v22, v24, v4 :: v_dual_add_f32 v24, v6, v27
	v_mul_f32_e32 v26, 0x3fb8aa3b, v4
	v_sub_f32_e32 v8, v8, v30
	s_delay_alu instid0(VALU_DEP_3) | instskip(NEXT) | instid1(VALU_DEP_3)
	v_sub_f32_e32 v20, v24, v23
	v_rndne_f32_e32 v34, v26
	v_dual_sub_f32 v26, v27, v24 :: v_dual_mul_f32 v27, 0x3fb8aa3b, v30
	s_delay_alu instid0(VALU_DEP_4) | instskip(NEXT) | instid1(VALU_DEP_3)
	v_add_f32_e32 v8, v21, v8
	v_dual_sub_f32 v24, v24, v20 :: v_dual_mul_f32 v35, 0x35bfbc00, v34
	s_delay_alu instid0(VALU_DEP_3) | instskip(NEXT) | instid1(VALU_DEP_4)
	v_add_f32_e32 v6, v6, v26
	v_rndne_f32_e32 v36, v27
	v_dual_mul_f32 v17, 0x2ea39ef3, v32 :: v_dual_add_f32 v22, v28, v22
	s_delay_alu instid0(VALU_DEP_4) | instskip(SKIP_1) | instid1(VALU_DEP_2)
	v_dual_sub_f32 v24, v24, v23 :: v_dual_mul_f32 v23, 0x2ea39ef3, v34
	v_cvt_i32_f32_e32 v32, v32
	v_dual_add_f32 v6, v6, v24 :: v_dual_sub_f32 v24, v25, v33
	s_delay_alu instid0(VALU_DEP_1) | instskip(SKIP_1) | instid1(VALU_DEP_2)
	v_add_f32_e32 v21, v20, v6
	v_mul_f32_e32 v37, 0x35bfbc00, v36
	v_dual_add_f32 v24, v16, v24 :: v_dual_mov_b32 v16, v21
	s_delay_alu instid0(VALU_DEP_1) | instskip(NEXT) | instid1(VALU_DEP_1)
	v_pk_add_f32 v[28:29], v[20:21], v[16:17] neg_lo:[0,1] neg_hi:[0,1]
	v_dual_fmac_f32 v4, 0xbf317200, v34 :: v_dual_sub_f32 v21, v21, v29
	s_delay_alu instid0(VALU_DEP_1) | instskip(SKIP_1) | instid1(VALU_DEP_3)
	v_dual_mul_f32 v26, 0x3fb8aa3b, v33 :: v_dual_add_f32 v27, v22, v4
	v_mul_f32_e32 v25, 0x2ea39ef3, v36
	v_dual_add_f32 v6, v6, v28 :: v_dual_sub_f32 v17, v21, v17
	s_delay_alu instid0(VALU_DEP_3) | instskip(SKIP_2) | instid1(VALU_DEP_4)
	v_rndne_f32_e32 v38, v26
	v_fmac_f32_e32 v30, 0xbf317200, v36
	v_sub_f32_e32 v26, v27, v35
	v_dual_sub_f32 v4, v4, v27 :: v_dual_add_f32 v6, v6, v17
	s_delay_alu instid0(VALU_DEP_4) | instskip(NEXT) | instid1(VALU_DEP_4)
	v_fmac_f32_e32 v33, 0xbf317200, v38
	v_add_f32_e32 v39, v8, v30
	s_delay_alu instid0(VALU_DEP_4) | instskip(SKIP_2) | instid1(VALU_DEP_4)
	v_sub_f32_e32 v20, v27, v26
	v_mul_f32_e32 v40, 0x35bfbc00, v38
	v_dual_add_f32 v4, v22, v4 :: v_dual_mul_f32 v31, 0x2ea39ef3, v38
	v_dual_sub_f32 v22, v30, v39 :: v_dual_sub_f32 v16, v39, v37
	s_delay_alu instid0(VALU_DEP_4) | instskip(NEXT) | instid1(VALU_DEP_2)
	v_sub_f32_e32 v20, v20, v35
	v_dual_add_f32 v21, v24, v33 :: v_dual_sub_f32 v27, v39, v16
	s_delay_alu instid0(VALU_DEP_2) | instskip(NEXT) | instid1(VALU_DEP_2)
	v_add_f32_e32 v4, v4, v20
	v_dual_add_f32 v8, v8, v22 :: v_dual_sub_f32 v20, v21, v40
	s_delay_alu instid0(VALU_DEP_2) | instskip(SKIP_1) | instid1(VALU_DEP_2)
	v_dual_sub_f32 v17, v27, v37 :: v_dual_add_f32 v27, v26, v4
	v_sub_f32_e32 v28, v33, v21
	v_dual_add_f32 v33, v29, v6 :: v_dual_add_f32 v8, v8, v17
	s_delay_alu instid0(VALU_DEP_2) | instskip(NEXT) | instid1(VALU_DEP_2)
	v_dual_mov_b32 v22, v27 :: v_dual_add_f32 v24, v24, v28
	v_sub_f32_e32 v30, v29, v33
	v_sub_f32_e32 v21, v21, v20
	s_delay_alu instid0(VALU_DEP_4) | instskip(NEXT) | instid1(VALU_DEP_4)
	v_add_f32_e32 v17, v16, v8
	v_pk_add_f32 v[28:29], v[26:27], v[22:23] neg_lo:[0,1] neg_hi:[0,1]
	s_delay_alu instid0(VALU_DEP_4) | instskip(NEXT) | instid1(VALU_DEP_4)
	v_dual_mul_f32 v26, v33, v33 :: v_dual_add_f32 v35, v6, v30
	v_dual_sub_f32 v21, v21, v40 :: v_dual_fmaak_f32 v6, s4, v33, 0x3c091de6
	s_delay_alu instid0(VALU_DEP_2) | instskip(NEXT) | instid1(VALU_DEP_2)
	v_dual_add_f32 v4, v4, v28 :: v_dual_add_f32 v22, v35, v35
	v_add_f32_e32 v37, v24, v21
	s_delay_alu instid0(VALU_DEP_3) | instskip(SKIP_2) | instid1(VALU_DEP_3)
	v_dual_sub_f32 v21, v27, v29 :: v_dual_fmaak_f32 v6, v33, v6, 0x3d2aadcc
	v_fma_f32 v27, v33, v33, -v26
	v_mov_b32_e32 v24, v17
	v_dual_sub_f32 v28, v21, v23 :: v_dual_add_f32 v21, v20, v37
	s_delay_alu instid0(VALU_DEP_1) | instskip(NEXT) | instid1(VALU_DEP_2)
	v_mov_b32_e32 v30, v21
	v_dual_fmac_f32 v27, v33, v22 :: v_dual_add_f32 v4, v4, v28
	s_delay_alu instid0(VALU_DEP_4) | instskip(NEXT) | instid1(VALU_DEP_2)
	v_pk_add_f32 v[22:23], v[16:17], v[24:25] neg_lo:[0,1] neg_hi:[0,1]
	v_dual_add_f32 v24, v26, v27 :: v_dual_add_f32 v39, v29, v4
	s_delay_alu instid0(VALU_DEP_2) | instskip(SKIP_1) | instid1(VALU_DEP_3)
	v_dual_sub_f32 v28, v17, v23 :: v_dual_add_f32 v8, v8, v22
	v_pk_add_f32 v[16:17], v[20:21], v[30:31] neg_lo:[0,1] neg_hi:[0,1]
	v_sub_f32_e32 v26, v24, v26
	s_delay_alu instid0(VALU_DEP_3) | instskip(SKIP_1) | instid1(VALU_DEP_3)
	v_dual_fmaak_f32 v6, v33, v6, 0x3e2aaa47 :: v_dual_sub_f32 v25, v28, v25
	v_sub_f32_e32 v20, v29, v39
	v_dual_sub_f32 v21, v21, v17 :: v_dual_sub_f32 v22, v27, v26
	s_delay_alu instid0(VALU_DEP_3) | instskip(SKIP_1) | instid1(VALU_DEP_3)
	v_fmaak_f32 v6, v33, v6, 0x3efffffc
	v_dual_mul_f32 v26, v39, v39 :: v_dual_add_f32 v16, v37, v16
	v_dual_add_f32 v8, v8, v25 :: v_dual_sub_f32 v21, v21, v31
	s_delay_alu instid0(VALU_DEP_3) | instskip(NEXT) | instid1(VALU_DEP_1)
	v_mul_f32_e32 v40, v6, v24
	v_fma_f32 v24, v24, v6, -v40
	v_add_f32_e32 v4, v4, v20
	v_fmaak_f32 v20, s4, v39, 0x3c091de6
	s_delay_alu instid0(VALU_DEP_3) | instskip(NEXT) | instid1(VALU_DEP_3)
	v_dual_fmac_f32 v24, v22, v6 :: v_dual_fma_f32 v22, v39, v39, -v26
	v_add_f32_e32 v6, v4, v4
	s_delay_alu instid0(VALU_DEP_3) | instskip(NEXT) | instid1(VALU_DEP_2)
	v_fmaak_f32 v20, v39, v20, 0x3d2aadcc
	v_dual_add_f32 v27, v40, v24 :: v_dual_fmac_f32 v22, v39, v6
	s_delay_alu instid0(VALU_DEP_1) | instskip(NEXT) | instid1(VALU_DEP_3)
	v_add_f32_e32 v6, v33, v27
	v_fmaak_f32 v20, v39, v20, 0x3e2aaa47
	s_delay_alu instid0(VALU_DEP_3) | instskip(NEXT) | instid1(VALU_DEP_2)
	v_dual_sub_f32 v25, v27, v40 :: v_dual_add_f32 v28, v26, v22
	v_dual_sub_f32 v29, v6, v33 :: v_dual_fmaak_f32 v20, v39, v20, 0x3efffffc
	s_delay_alu instid0(VALU_DEP_2) | instskip(NEXT) | instid1(VALU_DEP_2)
	v_dual_sub_f32 v24, v24, v25 :: v_dual_add_f32 v25, v23, v8
	v_dual_sub_f32 v26, v28, v26 :: v_dual_sub_f32 v27, v27, v29
	v_add_f32_e32 v29, v16, v21
	s_delay_alu instid0(VALU_DEP_3) | instskip(NEXT) | instid1(VALU_DEP_3)
	v_dual_mul_f32 v30, v20, v28 :: v_dual_sub_f32 v21, v23, v25
	v_dual_add_f32 v24, v35, v24 :: v_dual_sub_f32 v22, v22, v26
	v_fmaak_f32 v23, s4, v25, 0x3c091de6
	s_delay_alu instid0(VALU_DEP_3) | instskip(NEXT) | instid1(VALU_DEP_3)
	v_fma_f32 v26, v28, v20, -v30
	v_dual_add_f32 v16, v24, v27 :: v_dual_mul_f32 v24, v25, v25
	s_delay_alu instid0(VALU_DEP_2) | instskip(NEXT) | instid1(VALU_DEP_4)
	v_dual_add_f32 v8, v8, v21 :: v_dual_fmac_f32 v26, v22, v20
	v_fmaak_f32 v22, v25, v23, 0x3d2aadcc
	s_delay_alu instid0(VALU_DEP_3) | instskip(NEXT) | instid1(VALU_DEP_3)
	v_dual_add_f32 v20, v6, v16 :: v_dual_fma_f32 v27, v25, v25, -v24
	v_dual_add_f32 v23, v8, v8 :: v_dual_add_f32 v28, v30, v26
	s_delay_alu instid0(VALU_DEP_2) | instskip(NEXT) | instid1(VALU_DEP_4)
	v_dual_add_f32 v21, 1.0, v20 :: v_dual_add_f32 v35, v17, v29
	v_fmaak_f32 v31, v25, v22, 0x3e2aaa47
	s_delay_alu instid0(VALU_DEP_3) | instskip(NEXT) | instid1(VALU_DEP_3)
	v_dual_sub_f32 v30, v28, v30 :: v_dual_fmac_f32 v27, v25, v23
	v_pk_add_f32 v[22:23], v[20:21], v[6:7] neg_lo:[0,1] neg_hi:[0,1]
	s_delay_alu instid0(VALU_DEP_4) | instskip(NEXT) | instid1(VALU_DEP_3)
	v_dual_add_f32 v6, v39, v28 :: v_dual_sub_f32 v17, v17, v35
	v_dual_sub_f32 v26, v26, v30 :: v_dual_add_f32 v33, v24, v27
	s_delay_alu instid0(VALU_DEP_1) | instskip(NEXT) | instid1(VALU_DEP_3)
	v_dual_fmaak_f32 v31, v25, v31, 0x3efffffc :: v_dual_add_f32 v4, v4, v26
	v_dual_sub_f32 v30, v6, v39 :: v_dual_add_f32 v39, v29, v17
	s_delay_alu instid0(VALU_DEP_3) | instskip(NEXT) | instid1(VALU_DEP_2)
	v_dual_fmaak_f32 v23, s4, v35, 0x3c091de6 :: v_dual_sub_f32 v24, v33, v24
	v_dual_mul_f32 v37, v31, v33 :: v_dual_sub_f32 v26, v28, v30
	v_mul_f32_e32 v30, v35, v35
	s_delay_alu instid0(VALU_DEP_2) | instskip(NEXT) | instid1(VALU_DEP_2)
	v_dual_sub_f32 v17, v27, v24 :: v_dual_fma_f32 v33, v33, v31, -v37
	v_dual_add_f32 v24, v4, v26 :: v_dual_fma_f32 v4, v35, v35, -v30
	s_delay_alu instid0(VALU_DEP_1) | instskip(NEXT) | instid1(VALU_DEP_3)
	v_dual_fmaak_f32 v23, v35, v23, 0x3d2aadcc :: v_dual_add_f32 v26, v6, v24
	v_fmac_f32_e32 v33, v17, v31
	v_add_f32_e32 v27, v39, v39
	s_delay_alu instid0(VALU_DEP_3) | instskip(NEXT) | instid1(VALU_DEP_2)
	v_fmaak_f32 v17, v35, v23, 0x3e2aaa47
	v_dual_add_f32 v23, v37, v33 :: v_dual_fmac_f32 v4, v35, v27
	v_add_f32_e32 v27, 1.0, v26
	s_delay_alu instid0(VALU_DEP_1) | instskip(NEXT) | instid1(VALU_DEP_3)
	v_pk_add_f32 v[28:29], v[26:27], v[6:7] neg_lo:[0,1] neg_hi:[0,1]
	v_dual_add_f32 v6, v25, v23 :: v_dual_fmaak_f32 v41, v35, v17, 0x3efffffc
	s_delay_alu instid0(VALU_DEP_4) | instskip(NEXT) | instid1(VALU_DEP_1)
	v_dual_add_f32 v40, v30, v4 :: v_dual_sub_f32 v17, v23, v37
	v_dual_sub_f32 v25, v6, v25 :: v_dual_mul_f32 v37, v41, v40
	v_sub_f32_e32 v29, v40, v30
	v_pk_add_f32 v[30:31], v[20:21], v[12:13]
	s_delay_alu instid0(VALU_DEP_4) | instskip(NEXT) | instid1(VALU_DEP_4)
	v_sub_f32_e32 v17, v33, v17
	v_sub_f32_e32 v25, v23, v25
	s_delay_alu instid0(VALU_DEP_2) | instskip(SKIP_1) | instid1(VALU_DEP_2)
	v_dual_mov_b32 v23, v31 :: v_dual_add_f32 v8, v8, v17
	v_mov_b32_e32 v17, v20
	v_add_f32_e32 v20, v8, v25
	v_sub_f32_e32 v4, v4, v29
	s_delay_alu instid0(VALU_DEP_3) | instskip(NEXT) | instid1(VALU_DEP_3)
	v_pk_add_f32 v[16:17], v[16:17], v[22:23] neg_lo:[0,1] neg_hi:[0,1]
	v_dual_add_f32 v22, v6, v20 :: v_dual_fma_f32 v29, v40, v41, -v37
	s_delay_alu instid0(VALU_DEP_2) | instskip(SKIP_1) | instid1(VALU_DEP_3)
	v_add_f32_e32 v8, v16, v17
	v_cvt_i32_f32_e32 v40, v34
	v_dual_add_f32 v23, 1.0, v22 :: v_dual_fmac_f32 v29, v4, v41
	s_delay_alu instid0(VALU_DEP_3) | instskip(NEXT) | instid1(VALU_DEP_2)
	v_add_f32_e32 v25, v21, v8
	v_pk_add_f32 v[30:31], v[22:23], v[6:7] neg_lo:[0,1] neg_hi:[0,1]
	s_delay_alu instid0(VALU_DEP_3) | instskip(NEXT) | instid1(VALU_DEP_3)
	v_add_f32_e32 v4, v37, v29
	v_ldexp_f32 v33, v25, v32
	v_dual_sub_f32 v21, v25, v21 :: v_dual_mov_b32 v25, v26
	s_delay_alu instid0(VALU_DEP_3) | instskip(NEXT) | instid1(VALU_DEP_3)
	v_dual_add_f32 v6, v35, v4 :: v_dual_sub_f32 v16, v4, v37
	v_rcp_f32_e32 v48, v33
	s_delay_alu instid0(VALU_DEP_1) | instskip(SKIP_1) | instid1(VALU_DEP_3)
	v_sub_f32_e32 v37, v29, v16
	v_pk_add_f32 v[16:17], v[26:27], v[12:13]
	v_sub_f32_e32 v26, v6, v35
	v_pk_add_f32 v[34:35], v[22:23], v[12:13]
	s_delay_alu instid0(VALU_DEP_3) | instskip(NEXT) | instid1(VALU_DEP_3)
	v_dual_add_f32 v31, v39, v37 :: v_dual_mov_b32 v29, v17
	v_sub_f32_e32 v4, v4, v26
	v_cvt_i32_f32_e32 v39, v36
	s_delay_alu instid0(VALU_DEP_3) | instskip(SKIP_1) | instid1(VALU_DEP_2)
	v_pk_add_f32 v[16:17], v[24:25], v[28:29] neg_lo:[0,1] neg_hi:[0,1]
	v_dual_mul_f32 v24, v33, v48 :: v_dual_sub_f32 v8, v8, v21
	v_dual_mov_b32 v21, v22 :: v_dual_add_f32 v17, v16, v17
	v_add_f32_e32 v16, v31, v4
	s_delay_alu instid0(VALU_DEP_3) | instskip(NEXT) | instid1(VALU_DEP_4)
	v_ldexp_f32 v29, v8, v32
	v_dual_fma_f32 v26, v48, v33, -v24 :: v_dual_mov_b32 v31, v35
	s_delay_alu instid0(VALU_DEP_3) | instskip(NEXT) | instid1(VALU_DEP_2)
	v_dual_add_f32 v34, v6, v16 :: v_dual_add_f32 v4, v27, v17
	v_fmac_f32_e32 v26, v48, v29
	s_delay_alu instid0(VALU_DEP_3) | instskip(NEXT) | instid1(VALU_DEP_3)
	v_pk_add_f32 v[20:21], v[20:21], v[30:31] neg_lo:[0,1] neg_hi:[0,1]
	v_add_f32_e32 v35, 1.0, v34
	s_delay_alu instid0(VALU_DEP_4) | instskip(SKIP_2) | instid1(VALU_DEP_4)
	v_ldexp_f32 v32, v4, v40
	v_sub_f32_e32 v4, v4, v27
	v_add_f32_e32 v8, v24, v26
	v_pk_add_f32 v[30:31], v[34:35], v[12:13]
	s_delay_alu instid0(VALU_DEP_4)
	v_rcp_f32_e32 v49, v32
	v_add_f32_e32 v30, v20, v21
	v_pk_add_f32 v[20:21], v[34:35], v[6:7] neg_lo:[0,1] neg_hi:[0,1]
	v_dual_sub_f32 v4, v17, v4 :: v_dual_mov_b32 v17, v34
	v_mov_b32_e32 v21, v31
	s_delay_alu instid0(TRANS32_DEP_1) | instid1(VALU_DEP_4)
	v_dual_add_f32 v6, v23, v30 :: v_dual_mul_f32 v22, v32, v49
	v_dual_sub_f32 v25, 1.0, v8 :: v_dual_mov_b32 v27, v8
	s_delay_alu instid0(VALU_DEP_3) | instskip(SKIP_1) | instid1(VALU_DEP_4)
	v_pk_add_f32 v[16:17], v[16:17], v[20:21] neg_lo:[0,1] neg_hi:[0,1]
	v_ldexp_f32 v28, v4, v40
	v_fma_f32 v20, v49, v32, -v22
	v_ldexp_f32 v31, v6, v39
	v_pk_add_f32 v[36:37], v[8:9], v[24:25] neg_lo:[0,1] neg_hi:[0,1]
	v_dual_add_f32 v4, v16, v17 :: v_dual_sub_f32 v6, v6, v23
	s_delay_alu instid0(VALU_DEP_4) | instskip(NEXT) | instid1(VALU_DEP_4)
	v_fmac_f32_e32 v20, v49, v28
	v_rcp_f32_e32 v50, v31
	v_cvt_i32_f32_e32 v34, v38
	s_delay_alu instid0(VALU_DEP_3) | instskip(SKIP_1) | instid1(TRANS32_DEP_1)
	v_dual_add_f32 v21, v35, v4 :: v_dual_sub_f32 v6, v30, v6
	v_pk_add_f32 v[16:17], v[36:37], v[26:27] neg_lo:[0,1] neg_hi:[0,1]
	v_dual_add_f32 v8, v22, v20 :: v_dual_mul_f32 v24, v31, v50
	s_delay_alu instid0(VALU_DEP_3) | instskip(NEXT) | instid1(VALU_DEP_2)
	v_ldexp_f32 v30, v21, v34
	v_dual_add_f32 v41, v16, v17 :: v_dual_sub_f32 v23, 1.0, v8
	v_ldexp_f32 v17, v6, v39
	s_delay_alu instid0(VALU_DEP_4) | instskip(NEXT) | instid1(VALU_DEP_4)
	v_fma_f32 v26, v50, v31, -v24
	v_rcp_f32_e32 v6, v30
	v_dual_sub_f32 v16, v21, v35 :: v_dual_mov_b32 v21, v8
	v_add_f32_e32 v35, v25, v41
	v_pk_add_f32 v[36:37], v[8:9], v[22:23] neg_lo:[0,1] neg_hi:[0,1]
	s_delay_alu instid0(VALU_DEP_3)
	v_dual_fmac_f32 v26, v50, v17 :: v_dual_sub_f32 v4, v4, v16
	s_delay_alu instid0(TRANS32_DEP_1) | instid1(VALU_DEP_3)
	v_dual_mul_f32 v38, v30, v6 :: v_dual_mul_f32 v42, v48, v35
	s_delay_alu instid0(VALU_DEP_3) | instskip(NEXT) | instid1(VALU_DEP_3)
	v_pk_add_f32 v[20:21], v[36:37], v[20:21] neg_lo:[0,1] neg_hi:[0,1]
	v_add_f32_e32 v8, v24, v26
	s_delay_alu instid0(VALU_DEP_4) | instskip(NEXT) | instid1(VALU_DEP_4)
	v_ldexp_f32 v16, v4, v34
	v_fma_f32 v36, v6, v30, -v38
	s_delay_alu instid0(VALU_DEP_4) | instskip(NEXT) | instid1(VALU_DEP_4)
	v_dual_mul_f32 v40, v33, v42 :: v_dual_add_f32 v4, v20, v21
	v_dual_sub_f32 v21, v25, v35 :: v_dual_sub_f32 v25, 1.0, v8
	s_delay_alu instid0(VALU_DEP_3) | instskip(NEXT) | instid1(VALU_DEP_3)
	v_dual_fmac_f32 v36, v6, v16 :: v_dual_mov_b32 v27, v8
	v_dual_fma_f32 v20, v42, v33, -v40 :: v_dual_add_f32 v43, v23, v4
	s_delay_alu instid0(VALU_DEP_3) | instskip(NEXT) | instid1(VALU_DEP_2)
	v_pk_add_f32 v[44:45], v[8:9], v[24:25] neg_lo:[0,1] neg_hi:[0,1]
	v_dual_add_f32 v8, v38, v36 :: v_dual_mul_f32 v51, v49, v43
	s_delay_alu instid0(VALU_DEP_1) | instskip(SKIP_1) | instid1(VALU_DEP_4)
	v_dual_fmac_f32 v20, v42, v29 :: v_dual_sub_f32 v39, 1.0, v8
	v_add_f32_e32 v24, v41, v21
	v_pk_add_f32 v[26:27], v[44:45], v[26:27] neg_lo:[0,1] neg_hi:[0,1]
	s_delay_alu instid0(VALU_DEP_3) | instskip(SKIP_2) | instid1(VALU_DEP_3)
	v_add_f32_e32 v34, v40, v20
	v_mul_f32_e32 v22, v32, v51
	v_pk_add_f32 v[46:47], v[8:9], v[38:39] neg_lo:[0,1] neg_hi:[0,1]
	v_dual_add_f32 v52, v48, v42 :: v_dual_mov_b32 v21, v34
	v_dual_sub_f32 v41, v35, v34 :: v_dual_mov_b32 v37, v8
	s_delay_alu instid0(VALU_DEP_4) | instskip(NEXT) | instid1(VALU_DEP_3)
	v_dual_fma_f32 v44, v51, v32, -v22 :: v_dual_add_f32 v8, v26, v27
	v_sub_f32_e32 v26, v52, v48
	s_delay_alu instid0(VALU_DEP_3) | instskip(NEXT) | instid1(VALU_DEP_4)
	v_pk_add_f32 v[34:35], v[34:35], v[40:41] neg_lo:[0,1] neg_hi:[0,1]
	v_pk_add_f32 v[36:37], v[46:47], v[36:37] neg_lo:[0,1] neg_hi:[0,1]
	s_delay_alu instid0(VALU_DEP_4) | instskip(NEXT) | instid1(VALU_DEP_4)
	v_fmac_f32_e32 v44, v51, v28
	v_dual_add_f32 v27, v25, v8 :: v_dual_sub_f32 v47, v42, v26
	s_delay_alu instid0(VALU_DEP_4) | instskip(NEXT) | instid1(VALU_DEP_3)
	v_pk_add_f32 v[20:21], v[34:35], v[20:21] neg_lo:[0,1] neg_hi:[0,1]
	v_dual_add_f32 v46, v36, v37 :: v_dual_add_f32 v42, v22, v44
	s_delay_alu instid0(VALU_DEP_2) | instskip(NEXT) | instid1(VALU_DEP_2)
	v_dual_mul_f32 v53, v50, v27 :: v_dual_add_f32 v21, v24, v21
	v_add_f32_e32 v35, v39, v46
	v_sub_f32_e32 v34, v23, v43
	s_delay_alu instid0(VALU_DEP_4) | instskip(NEXT) | instid1(VALU_DEP_3)
	v_dual_sub_f32 v23, v43, v42 :: v_dual_mov_b32 v45, v42
	v_dual_add_f32 v21, v20, v21 :: v_dual_mul_f32 v54, v6, v35
	v_mul_f32_e32 v20, v31, v53
	s_delay_alu instid0(VALU_DEP_3) | instskip(SKIP_1) | instid1(VALU_DEP_4)
	v_pk_add_f32 v[36:37], v[42:43], v[22:23] neg_lo:[0,1] neg_hi:[0,1]
	v_add_f32_e32 v42, v49, v51
	v_dual_add_f32 v21, v41, v21 :: v_dual_mul_f32 v24, v30, v54
	s_delay_alu instid0(VALU_DEP_4) | instskip(NEXT) | instid1(VALU_DEP_4)
	v_fma_f32 v40, v53, v31, -v20
	v_pk_add_f32 v[36:37], v[36:37], v[44:45] neg_lo:[0,1] neg_hi:[0,1]
	s_delay_alu instid0(VALU_DEP_4) | instskip(NEXT) | instid1(VALU_DEP_4)
	v_sub_f32_e32 v22, v42, v49
	v_dual_mul_f32 v21, v48, v21 :: v_dual_fma_f32 v38, v54, v30, -v24
	s_delay_alu instid0(VALU_DEP_4) | instskip(NEXT) | instid1(VALU_DEP_2)
	v_dual_fmac_f32 v40, v53, v17 :: v_dual_add_f32 v4, v4, v34
	v_dual_sub_f32 v44, v25, v27 :: v_dual_add_f32 v43, v47, v21
	s_delay_alu instid0(VALU_DEP_3) | instskip(NEXT) | instid1(VALU_DEP_3)
	v_fmac_f32_e32 v38, v54, v16
	v_add_f32_e32 v26, v20, v40
	s_delay_alu instid0(VALU_DEP_4) | instskip(NEXT) | instid1(VALU_DEP_4)
	v_add_f32_e32 v4, v4, v37
	v_dual_add_f32 v8, v8, v44 :: v_dual_sub_f32 v22, v51, v22
	s_delay_alu instid0(VALU_DEP_4) | instskip(NEXT) | instid1(VALU_DEP_4)
	v_add_f32_e32 v34, v24, v38
	v_dual_sub_f32 v21, v27, v26 :: v_dual_mov_b32 v41, v26
	s_delay_alu instid0(VALU_DEP_2) | instskip(NEXT) | instid1(VALU_DEP_2)
	v_dual_add_f32 v4, v36, v4 :: v_dual_sub_f32 v25, v35, v34
	v_pk_add_f32 v[26:27], v[26:27], v[20:21] neg_lo:[0,1] neg_hi:[0,1]
	v_dual_sub_f32 v20, v39, v35 :: v_dual_mov_b32 v39, v34
	s_delay_alu instid0(VALU_DEP_3) | instskip(NEXT) | instid1(VALU_DEP_3)
	v_pk_add_f32 v[34:35], v[34:35], v[24:25] neg_lo:[0,1] neg_hi:[0,1]
	v_pk_add_f32 v[26:27], v[26:27], v[40:41] neg_lo:[0,1] neg_hi:[0,1]
	s_delay_alu instid0(VALU_DEP_3) | instskip(NEXT) | instid1(VALU_DEP_3)
	v_dual_add_f32 v20, v46, v20 :: v_dual_add_f32 v24, v52, v43
	v_pk_add_f32 v[34:35], v[34:35], v[38:39] neg_lo:[0,1] neg_hi:[0,1]
	s_delay_alu instid0(VALU_DEP_3) | instskip(NEXT) | instid1(VALU_DEP_2)
	v_add_f32_e32 v8, v8, v27
	v_dual_add_f32 v20, v20, v35 :: v_dual_add_f32 v35, v50, v53
	v_add_f32_e32 v4, v23, v4
	s_delay_alu instid0(VALU_DEP_3) | instskip(NEXT) | instid1(VALU_DEP_3)
	v_add_f32_e32 v8, v26, v8
	v_dual_sub_f32 v26, v24, v52 :: v_dual_sub_f32 v23, v35, v50
	s_delay_alu instid0(VALU_DEP_3) | instskip(NEXT) | instid1(VALU_DEP_3)
	v_dual_mul_f32 v4, v49, v4 :: v_dual_add_f32 v36, v6, v54
	v_add_f32_e32 v8, v21, v8
	s_delay_alu instid0(VALU_DEP_3) | instskip(NEXT) | instid1(VALU_DEP_3)
	v_dual_add_f32 v20, v34, v20 :: v_dual_sub_f32 v23, v53, v23
	v_dual_add_f32 v4, v22, v4 :: v_dual_sub_f32 v22, v36, v6
	v_ldexp_f32 v21, v24, -2
	s_delay_alu instid0(VALU_DEP_2) | instskip(NEXT) | instid1(VALU_DEP_1)
	v_dual_add_f32 v20, v25, v20 :: v_dual_sub_f32 v22, v54, v22
	v_mul_f32_e32 v6, v6, v20
	s_delay_alu instid0(VALU_DEP_1) | instskip(NEXT) | instid1(VALU_DEP_1)
	v_add_f32_e32 v6, v22, v6
	v_dual_add_f32 v25, v42, v4 :: v_dual_add_f32 v37, v36, v6
	s_delay_alu instid0(VALU_DEP_1) | instskip(SKIP_1) | instid1(VALU_DEP_2)
	v_dual_mul_f32 v8, v50, v8 :: v_dual_sub_f32 v38, v25, v42
	v_ldexp_f32 v20, v25, -2
	v_dual_add_f32 v8, v23, v8 :: v_dual_sub_f32 v4, v4, v38
	s_delay_alu instid0(VALU_DEP_2) | instskip(NEXT) | instid1(VALU_DEP_2)
	v_pk_add_f32 v[22:23], v[32:33], v[20:21] neg_lo:[0,1] neg_hi:[0,1]
	v_add_f32_e32 v34, v35, v8
	s_delay_alu instid0(VALU_DEP_2) | instskip(NEXT) | instid1(VALU_DEP_2)
	v_pk_add_f32 v[24:25], v[32:33], v[22:23] neg_lo:[0,1] neg_hi:[0,1]
	v_ldexp_f32 v27, v34, -2
	s_delay_alu instid0(VALU_DEP_2) | instskip(SKIP_3) | instid1(VALU_DEP_4)
	v_pk_add_f32 v[20:21], v[24:25], v[20:21] neg_lo:[0,1] neg_hi:[0,1]
	v_ldexp_f32 v24, v4, -2
	v_dual_sub_f32 v4, v34, v35 :: v_dual_sub_f32 v32, v43, v26
	v_ldexp_f32 v26, v37, -2
	v_pk_add_f32 v[20:21], v[28:29], v[20:21]
	v_sub_f32_e32 v34, v37, v36
	s_delay_alu instid0(VALU_DEP_4) | instskip(SKIP_2) | instid1(VALU_DEP_4)
	v_sub_f32_e32 v4, v8, v4
	v_ldexp_f32 v25, v32, -2
	v_pk_add_f32 v[32:33], v[30:31], v[26:27] neg_lo:[0,1] neg_hi:[0,1]
	v_sub_f32_e32 v6, v6, v34
	s_delay_alu instid0(VALU_DEP_3) | instskip(NEXT) | instid1(VALU_DEP_3)
	v_pk_add_f32 v[20:21], v[20:21], v[24:25] neg_lo:[0,1] neg_hi:[0,1]
	v_pk_add_f32 v[28:29], v[30:31], v[32:33] neg_lo:[0,1] neg_hi:[0,1]
	s_delay_alu instid0(VALU_DEP_2) | instskip(NEXT) | instid1(VALU_DEP_2)
	v_pk_add_f32 v[20:21], v[22:23], v[20:21]
	v_pk_add_f32 v[24:25], v[28:29], v[26:27] neg_lo:[0,1] neg_hi:[0,1]
	v_ldexp_f32 v23, v4, -2
	v_ldexp_f32 v22, v6, -2
	s_delay_alu instid0(VALU_DEP_4) | instskip(NEXT) | instid1(VALU_DEP_4)
	v_cndmask_b32_e32 v4, 0x7f800000, v20, vcc_lo
	v_pk_add_f32 v[16:17], v[16:17], v[24:25]
	v_cmp_nlt_f32_e64 vcc_lo, 0x42b2d4fc, |v18|
	s_delay_alu instid0(VALU_DEP_3) | instskip(NEXT) | instid1(VALU_DEP_3)
	v_cndmask_b32_e64 v4, v4, |v19|, s6
	v_pk_add_f32 v[16:17], v[16:17], v[22:23] neg_lo:[0,1] neg_hi:[0,1]
	v_cndmask_b32_e32 v6, 0x7f800000, v21, vcc_lo
	v_cmp_gt_f32_e64 s6, 0x39800000, |v18|
	v_cmp_nlt_f32_e64 vcc_lo, 0x42b2d4fc, |v15|
	v_bfi_b32 v4, 0x7fffffff, v4, v19
	v_pk_add_f32 v[16:17], v[32:33], v[16:17]
	s_delay_alu instid0(VALU_DEP_4) | instskip(SKIP_1) | instid1(VALU_DEP_3)
	v_cndmask_b32_e64 v6, v6, |v18|, s6
	v_cmp_gt_f32_e64 s6, 0x39800000, |v15|
	v_cndmask_b32_e32 v8, 0x7f800000, v16, vcc_lo
	v_cmp_nlt_f32_e64 vcc_lo, 0x42b2d4fc, |v14|
	s_delay_alu instid0(VALU_DEP_4) | instskip(NEXT) | instid1(VALU_DEP_3)
	v_bfi_b32 v6, 0x7fffffff, v6, v18
	v_cndmask_b32_e64 v8, v8, |v15|, s6
	v_cndmask_b32_e32 v16, 0x7f800000, v17, vcc_lo
	v_bfe_u32 v17, v4, 16, 1
	v_cmp_gt_f32_e64 s6, 0x39800000, |v14|
	v_bfe_u32 v18, v6, 16, 1
	v_bfi_b32 v8, 0x7fffffff, v8, v15
	v_cmp_o_f32_e32 vcc_lo, v4, v4
	v_add3_u32 v17, v4, v17, 0x7fff
	v_cndmask_b32_e64 v16, v16, |v14|, s6
	v_add3_u32 v15, v6, v18, 0x7fff
	s_delay_alu instid0(VALU_DEP_2) | instskip(NEXT) | instid1(VALU_DEP_4)
	v_bfi_b32 v14, 0x7fffffff, v16, v14
	v_and_b32_e32 v16, 0xffff0000, v17
	v_bfe_u32 v17, v8, 16, 1
	s_delay_alu instid0(VALU_DEP_4) | instskip(NEXT) | instid1(VALU_DEP_4)
	v_lshrrev_b32_e32 v15, 16, v15
	v_bfe_u32 v18, v14, 16, 1
	s_delay_alu instid0(VALU_DEP_4) | instskip(NEXT) | instid1(VALU_DEP_4)
	v_cndmask_b32_e32 v4, 0x7fc00000, v16, vcc_lo
	v_add3_u32 v16, v8, v17, 0x7fff
	v_cmp_o_f32_e32 vcc_lo, v6, v6
	s_delay_alu instid0(VALU_DEP_4) | instskip(SKIP_1) | instid1(VALU_DEP_4)
	v_add3_u32 v17, v14, v18, 0x7fff
	v_cndmask_b32_e32 v6, 0x7fc0, v15, vcc_lo
	v_and_b32_e32 v15, 0xffff0000, v16
	v_cmp_o_f32_e32 vcc_lo, v8, v8
	s_delay_alu instid0(VALU_DEP_3) | instskip(NEXT) | instid1(VALU_DEP_3)
	v_dual_lshrrev_b32 v16, 16, v17 :: v_dual_bitop2_b32 v4, v6, v4 bitop3:0x54
	v_cndmask_b32_e32 v6, 0x7fc00000, v15, vcc_lo
	v_cmp_o_f32_e32 vcc_lo, v14, v14
	v_lshlrev_b64_e32 v[14:15], 2, v[0:1]
	s_delay_alu instid0(VALU_DEP_4) | instskip(SKIP_1) | instid1(VALU_DEP_3)
	v_cndmask_b32_e32 v8, 0x7fc0, v16, vcc_lo
	v_or3_b32 v16, v4, 0, 0
	v_cmp_ge_i64_e32 vcc_lo, v[14:15], v[2:3]
	s_delay_alu instid0(VALU_DEP_3) | instskip(SKIP_4) | instid1(SALU_CYCLE_1)
	v_or3_b32 v17, 0, v8, v6
	global_store_b64 v[10:11], v[16:17], off
	s_wait_xcnt 0x0
	v_add_nc_u64_e32 v[10:11], s[2:3], v[10:11]
	s_or_b32 s5, vcc_lo, s5
	s_and_not1_b32 exec_lo, exec_lo, s5
	s_cbranch_execnz .LBB128_24
.LBB128_25:
	s_endpgm
	.section	.rodata,"a",@progbits
	.p2align	6, 0x0
	.amdhsa_kernel _ZN2at6native12_GLOBAL__N_125multi_tensor_apply_kernelINS1_18TensorListMetadataILi1EEENS1_14UnaryOpFunctorIN3c108BFloat16ELi1ELi1ELi0EEEJNS0_4SinhIfEEEEEvT_T0_DpT1_
		.amdhsa_group_segment_fixed_size 0
		.amdhsa_private_segment_fixed_size 0
		.amdhsa_kernarg_size 3632
		.amdhsa_user_sgpr_count 2
		.amdhsa_user_sgpr_dispatch_ptr 0
		.amdhsa_user_sgpr_queue_ptr 0
		.amdhsa_user_sgpr_kernarg_segment_ptr 1
		.amdhsa_user_sgpr_dispatch_id 0
		.amdhsa_user_sgpr_kernarg_preload_length 0
		.amdhsa_user_sgpr_kernarg_preload_offset 0
		.amdhsa_user_sgpr_private_segment_size 0
		.amdhsa_wavefront_size32 1
		.amdhsa_uses_dynamic_stack 0
		.amdhsa_enable_private_segment 0
		.amdhsa_system_sgpr_workgroup_id_x 1
		.amdhsa_system_sgpr_workgroup_id_y 0
		.amdhsa_system_sgpr_workgroup_id_z 0
		.amdhsa_system_sgpr_workgroup_info 0
		.amdhsa_system_vgpr_workitem_id 0
		.amdhsa_next_free_vgpr 55
		.amdhsa_next_free_sgpr 22
		.amdhsa_named_barrier_count 0
		.amdhsa_reserve_vcc 1
		.amdhsa_float_round_mode_32 0
		.amdhsa_float_round_mode_16_64 0
		.amdhsa_float_denorm_mode_32 3
		.amdhsa_float_denorm_mode_16_64 3
		.amdhsa_fp16_overflow 0
		.amdhsa_memory_ordered 1
		.amdhsa_forward_progress 1
		.amdhsa_inst_pref_size 61
		.amdhsa_round_robin_scheduling 0
		.amdhsa_exception_fp_ieee_invalid_op 0
		.amdhsa_exception_fp_denorm_src 0
		.amdhsa_exception_fp_ieee_div_zero 0
		.amdhsa_exception_fp_ieee_overflow 0
		.amdhsa_exception_fp_ieee_underflow 0
		.amdhsa_exception_fp_ieee_inexact 0
		.amdhsa_exception_int_div_zero 0
	.end_amdhsa_kernel
	.section	.text._ZN2at6native12_GLOBAL__N_125multi_tensor_apply_kernelINS1_18TensorListMetadataILi1EEENS1_14UnaryOpFunctorIN3c108BFloat16ELi1ELi1ELi0EEEJNS0_4SinhIfEEEEEvT_T0_DpT1_,"axG",@progbits,_ZN2at6native12_GLOBAL__N_125multi_tensor_apply_kernelINS1_18TensorListMetadataILi1EEENS1_14UnaryOpFunctorIN3c108BFloat16ELi1ELi1ELi0EEEJNS0_4SinhIfEEEEEvT_T0_DpT1_,comdat
.Lfunc_end128:
	.size	_ZN2at6native12_GLOBAL__N_125multi_tensor_apply_kernelINS1_18TensorListMetadataILi1EEENS1_14UnaryOpFunctorIN3c108BFloat16ELi1ELi1ELi0EEEJNS0_4SinhIfEEEEEvT_T0_DpT1_, .Lfunc_end128-_ZN2at6native12_GLOBAL__N_125multi_tensor_apply_kernelINS1_18TensorListMetadataILi1EEENS1_14UnaryOpFunctorIN3c108BFloat16ELi1ELi1ELi0EEEJNS0_4SinhIfEEEEEvT_T0_DpT1_
                                        ; -- End function
	.set _ZN2at6native12_GLOBAL__N_125multi_tensor_apply_kernelINS1_18TensorListMetadataILi1EEENS1_14UnaryOpFunctorIN3c108BFloat16ELi1ELi1ELi0EEEJNS0_4SinhIfEEEEEvT_T0_DpT1_.num_vgpr, 55
	.set _ZN2at6native12_GLOBAL__N_125multi_tensor_apply_kernelINS1_18TensorListMetadataILi1EEENS1_14UnaryOpFunctorIN3c108BFloat16ELi1ELi1ELi0EEEJNS0_4SinhIfEEEEEvT_T0_DpT1_.num_agpr, 0
	.set _ZN2at6native12_GLOBAL__N_125multi_tensor_apply_kernelINS1_18TensorListMetadataILi1EEENS1_14UnaryOpFunctorIN3c108BFloat16ELi1ELi1ELi0EEEJNS0_4SinhIfEEEEEvT_T0_DpT1_.numbered_sgpr, 22
	.set _ZN2at6native12_GLOBAL__N_125multi_tensor_apply_kernelINS1_18TensorListMetadataILi1EEENS1_14UnaryOpFunctorIN3c108BFloat16ELi1ELi1ELi0EEEJNS0_4SinhIfEEEEEvT_T0_DpT1_.num_named_barrier, 0
	.set _ZN2at6native12_GLOBAL__N_125multi_tensor_apply_kernelINS1_18TensorListMetadataILi1EEENS1_14UnaryOpFunctorIN3c108BFloat16ELi1ELi1ELi0EEEJNS0_4SinhIfEEEEEvT_T0_DpT1_.private_seg_size, 0
	.set _ZN2at6native12_GLOBAL__N_125multi_tensor_apply_kernelINS1_18TensorListMetadataILi1EEENS1_14UnaryOpFunctorIN3c108BFloat16ELi1ELi1ELi0EEEJNS0_4SinhIfEEEEEvT_T0_DpT1_.uses_vcc, 1
	.set _ZN2at6native12_GLOBAL__N_125multi_tensor_apply_kernelINS1_18TensorListMetadataILi1EEENS1_14UnaryOpFunctorIN3c108BFloat16ELi1ELi1ELi0EEEJNS0_4SinhIfEEEEEvT_T0_DpT1_.uses_flat_scratch, 0
	.set _ZN2at6native12_GLOBAL__N_125multi_tensor_apply_kernelINS1_18TensorListMetadataILi1EEENS1_14UnaryOpFunctorIN3c108BFloat16ELi1ELi1ELi0EEEJNS0_4SinhIfEEEEEvT_T0_DpT1_.has_dyn_sized_stack, 0
	.set _ZN2at6native12_GLOBAL__N_125multi_tensor_apply_kernelINS1_18TensorListMetadataILi1EEENS1_14UnaryOpFunctorIN3c108BFloat16ELi1ELi1ELi0EEEJNS0_4SinhIfEEEEEvT_T0_DpT1_.has_recursion, 0
	.set _ZN2at6native12_GLOBAL__N_125multi_tensor_apply_kernelINS1_18TensorListMetadataILi1EEENS1_14UnaryOpFunctorIN3c108BFloat16ELi1ELi1ELi0EEEJNS0_4SinhIfEEEEEvT_T0_DpT1_.has_indirect_call, 0
	.section	.AMDGPU.csdata,"",@progbits
; Kernel info:
; codeLenInByte = 7752
; TotalNumSgprs: 24
; NumVgprs: 55
; ScratchSize: 0
; MemoryBound: 0
; FloatMode: 240
; IeeeMode: 1
; LDSByteSize: 0 bytes/workgroup (compile time only)
; SGPRBlocks: 0
; VGPRBlocks: 3
; NumSGPRsForWavesPerEU: 24
; NumVGPRsForWavesPerEU: 55
; NamedBarCnt: 0
; Occupancy: 16
; WaveLimiterHint : 0
; COMPUTE_PGM_RSRC2:SCRATCH_EN: 0
; COMPUTE_PGM_RSRC2:USER_SGPR: 2
; COMPUTE_PGM_RSRC2:TRAP_HANDLER: 0
; COMPUTE_PGM_RSRC2:TGID_X_EN: 1
; COMPUTE_PGM_RSRC2:TGID_Y_EN: 0
; COMPUTE_PGM_RSRC2:TGID_Z_EN: 0
; COMPUTE_PGM_RSRC2:TIDIG_COMP_CNT: 0
	.section	.text._ZN2at6native12_GLOBAL__N_125multi_tensor_apply_kernelINS1_18TensorListMetadataILi2EEENS1_14UnaryOpFunctorIdLi2ELi1ELi1EEEJNS0_3ExpIdEEEEEvT_T0_DpT1_,"axG",@progbits,_ZN2at6native12_GLOBAL__N_125multi_tensor_apply_kernelINS1_18TensorListMetadataILi2EEENS1_14UnaryOpFunctorIdLi2ELi1ELi1EEEJNS0_3ExpIdEEEEEvT_T0_DpT1_,comdat
	.globl	_ZN2at6native12_GLOBAL__N_125multi_tensor_apply_kernelINS1_18TensorListMetadataILi2EEENS1_14UnaryOpFunctorIdLi2ELi1ELi1EEEJNS0_3ExpIdEEEEEvT_T0_DpT1_ ; -- Begin function _ZN2at6native12_GLOBAL__N_125multi_tensor_apply_kernelINS1_18TensorListMetadataILi2EEENS1_14UnaryOpFunctorIdLi2ELi1ELi1EEEJNS0_3ExpIdEEEEEvT_T0_DpT1_
	.p2align	8
	.type	_ZN2at6native12_GLOBAL__N_125multi_tensor_apply_kernelINS1_18TensorListMetadataILi2EEENS1_14UnaryOpFunctorIdLi2ELi1ELi1EEEJNS0_3ExpIdEEEEEvT_T0_DpT1_,@function
_ZN2at6native12_GLOBAL__N_125multi_tensor_apply_kernelINS1_18TensorListMetadataILi2EEENS1_14UnaryOpFunctorIdLi2ELi1ELi1EEEJNS0_3ExpIdEEEEEvT_T0_DpT1_: ; @_ZN2at6native12_GLOBAL__N_125multi_tensor_apply_kernelINS1_18TensorListMetadataILi2EEENS1_14UnaryOpFunctorIdLi2ELi1ELi1EEEJNS0_3ExpIdEEEEEvT_T0_DpT1_
; %bb.0:
	s_bfe_u32 s2, ttmp6, 0x4000c
	s_and_b32 s3, ttmp6, 15
	s_add_co_i32 s2, s2, 1
	s_getreg_b32 s4, hwreg(HW_REG_IB_STS2, 6, 4)
	s_mul_i32 s2, ttmp9, s2
	s_delay_alu instid0(SALU_CYCLE_1)
	s_add_co_i32 s3, s3, s2
	s_cmp_eq_u32 s4, 0
	s_cselect_b32 s2, ttmp9, s3
	s_mov_b32 s3, 0
	s_load_u8 s10, s[0:1], s2 offset:0x600
	s_add_nc_u64 s[4:5], s[0:1], s[2:3]
	s_mul_u64 s[6:7], s[2:3], 3
	s_delay_alu instid0(SALU_CYCLE_1)
	s_add_nc_u64 s[4:5], s[4:5], s[6:7]
	s_load_b32 s6, s[4:5], 0x740
	s_wait_kmcnt 0x0
	s_clause 0x2
	s_load_b64 s[12:13], s[0:1], s10 offset:0x0 scale_offset
	s_load_b64 s[14:15], s[0:1], s10 offset:0x200 scale_offset
	s_load_b64 s[8:9], s[0:1], s10 offset:0x400 scale_offset
	s_mov_b32 s5, s3
	s_ashr_i32 s7, s6, 31
	s_wait_xcnt 0x0
	s_lshl_b64 s[10:11], s[6:7], 19
	s_wait_kmcnt 0x0
	s_and_b64 s[18:19], s[14:15], 31
	s_add_nc_u64 s[16:17], s[12:13], s[10:11]
	s_and_b32 s4, s8, 3
	s_and_b32 s2, s16, 31
	s_or_b64 s[4:5], s[18:19], s[4:5]
	s_lshl_b64 s[6:7], s[6:7], 16
	s_or_b64 s[2:3], s[4:5], s[2:3]
	s_sub_nc_u64 s[16:17], s[8:9], s[6:7]
	s_cmp_eq_u64 s[2:3], 0
	s_mov_b32 s2, -1
	s_cbranch_scc0 .LBB129_5
; %bb.1:
	v_min_i64 v[2:3], 0x10000, s[16:17]
	v_dual_mov_b32 v7, 0 :: v_dual_lshlrev_b32 v6, 2, v0
	s_mov_b32 s22, exec_lo
	s_delay_alu instid0(VALU_DEP_1)
	v_cmpx_lt_i64_e64 v[6:7], v[2:3]
	s_cbranch_execz .LBB129_4
; %bb.2:
	s_load_b32 s2, s[0:1], 0xc5c
	v_dual_mov_b32 v1, v7 :: v_dual_lshlrev_b32 v6, 5, v0
	v_mov_b64_e32 v[4:5], 0x3e928af3fca7ab0c
	s_mov_b32 s19, 0
                                        ; implicit-def: $vgpr10_vgpr11
                                        ; implicit-def: $vgpr10_vgpr11
	;; [unrolled: 1-line block ×8, first 2 shown]
	s_delay_alu instid0(VALU_DEP_2) | instskip(NEXT) | instid1(VALU_DEP_3)
	v_add_nc_u64_e32 v[6:7], s[10:11], v[6:7]
	v_mov_b64_e32 v[8:9], v[0:1]
	s_mov_b32 s21, s19
	s_mov_b32 s23, s19
	s_wait_kmcnt 0x0
	s_and_b32 s18, s2, 0xffff
	s_delay_alu instid0(SALU_CYCLE_1)
	s_lshl_b32 s20, s18, 5
.LBB129_3:                              ; =>This Inner Loop Header: Depth=1
	v_add_nc_u64_e32 v[18:19], s[12:13], v[6:7]
	v_add_nc_u64_e32 v[8:9], s[18:19], v[8:9]
	s_clause 0x1
	global_load_b128 v[10:13], v[18:19], off
	global_load_b128 v[14:17], v[18:19], off offset:16
	s_wait_loadcnt 0x1
	s_wait_xcnt 0x0
	v_mul_f64_e32 v[18:19], 0x3ff71547652b82fe, v[10:11]
	s_wait_loadcnt 0x0
	v_mul_f64_e32 v[22:23], 0x3ff71547652b82fe, v[14:15]
	v_mul_f64_e32 v[24:25], 0x3ff71547652b82fe, v[16:17]
	;; [unrolled: 1-line block ×3, first 2 shown]
	v_cmp_nlt_f64_e64 s2, 0x40900000, v[14:15]
	v_cmp_nlt_f64_e64 s3, 0x40900000, v[16:17]
	v_cmp_nlt_f64_e32 vcc_lo, 0x40900000, v[12:13]
	v_cmp_nlt_f64_e64 s4, 0x40900000, v[10:11]
	v_cmp_ngt_f64_e64 s5, 0xc090cc00, v[10:11]
	v_cmp_ngt_f64_e64 s6, 0xc090cc00, v[12:13]
	;; [unrolled: 1-line block ×4, first 2 shown]
	v_rndne_f64_e32 v[18:19], v[18:19]
	v_rndne_f64_e32 v[22:23], v[22:23]
	;; [unrolled: 1-line block ×4, first 2 shown]
	s_delay_alu instid0(VALU_DEP_4) | instskip(NEXT) | instid1(VALU_DEP_4)
	v_fmamk_f64 v[26:27], v[18:19], 0xbfe62e42fefa39ef, v[10:11]
	v_fmamk_f64 v[30:31], v[22:23], 0xbfe62e42fefa39ef, v[14:15]
	s_delay_alu instid0(VALU_DEP_4) | instskip(NEXT) | instid1(VALU_DEP_4)
	v_fmamk_f64 v[32:33], v[24:25], 0xbfe62e42fefa39ef, v[16:17]
	v_fmamk_f64 v[28:29], v[20:21], 0xbfe62e42fefa39ef, v[12:13]
	v_cvt_i32_f64_e32 v43, v[22:23]
	v_cvt_i32_f64_e32 v44, v[24:25]
	;; [unrolled: 1-line block ×3, first 2 shown]
	v_fmac_f64_e32 v[26:27], 0xbc7abc9e3b39803f, v[18:19]
	v_fmac_f64_e32 v[30:31], 0xbc7abc9e3b39803f, v[22:23]
	;; [unrolled: 1-line block ×4, first 2 shown]
	v_cvt_i32_f64_e32 v42, v[20:21]
	v_lshlrev_b64_e32 v[10:11], 2, v[8:9]
	s_delay_alu instid0(VALU_DEP_1) | instskip(SKIP_4) | instid1(VALU_DEP_4)
	v_cmp_ge_i64_e64 s9, v[10:11], v[2:3]
	v_fmamk_f64 v[34:35], v[26:27], 0x3e5ade156a5dcb37, v[4:5]
	v_fmamk_f64 v[38:39], v[30:31], 0x3e5ade156a5dcb37, v[4:5]
	;; [unrolled: 1-line block ×4, first 2 shown]
	v_fmaak_f64 v[34:35], v[26:27], v[34:35], 0x3ec71dee623fde64
	s_delay_alu instid0(VALU_DEP_4) | instskip(NEXT) | instid1(VALU_DEP_4)
	v_fmaak_f64 v[38:39], v[30:31], v[38:39], 0x3ec71dee623fde64
	v_fmaak_f64 v[40:41], v[32:33], v[40:41], 0x3ec71dee623fde64
	s_delay_alu instid0(VALU_DEP_4) | instskip(NEXT) | instid1(VALU_DEP_4)
	v_fmaak_f64 v[36:37], v[28:29], v[36:37], 0x3ec71dee623fde64
	;; [unrolled: 3-line block ×16, first 2 shown]
	v_fma_f64 v[34:35], v[26:27], v[34:35], 1.0
	s_delay_alu instid0(VALU_DEP_4) | instskip(NEXT) | instid1(VALU_DEP_4)
	v_fma_f64 v[38:39], v[30:31], v[38:39], 1.0
	v_fma_f64 v[40:41], v[32:33], v[40:41], 1.0
	s_delay_alu instid0(VALU_DEP_4) | instskip(NEXT) | instid1(VALU_DEP_4)
	v_fma_f64 v[36:37], v[28:29], v[36:37], 1.0
	;; [unrolled: 3-line block ×3, first 2 shown]
	v_fma_f64 v[24:25], v[32:33], v[40:41], 1.0
	s_delay_alu instid0(VALU_DEP_4)
	v_fma_f64 v[20:21], v[28:29], v[36:37], 1.0
	v_add_nc_u64_e32 v[26:27], s[14:15], v[6:7]
	v_add_nc_u64_e32 v[6:7], s[20:21], v[6:7]
	v_ldexp_f64 v[18:19], v[18:19], v1
	v_ldexp_f64 v[22:23], v[22:23], v43
	;; [unrolled: 1-line block ×4, first 2 shown]
	s_delay_alu instid0(VALU_DEP_4) | instskip(NEXT) | instid1(VALU_DEP_4)
	v_cndmask_b32_e64 v1, 0x7ff00000, v19, s4
	v_cndmask_b32_e64 v12, 0x7ff00000, v23, s2
	s_delay_alu instid0(VALU_DEP_4) | instskip(NEXT) | instid1(VALU_DEP_4)
	v_cndmask_b32_e64 v14, 0x7ff00000, v25, s3
	v_cndmask_b32_e32 v19, 0x7ff00000, v21, vcc_lo
	s_and_b32 s4, s5, s4
	s_and_b32 vcc_lo, s6, vcc_lo
	s_delay_alu instid0(VALU_DEP_2)
	v_dual_cndmask_b32 v15, 0, v12, s7 :: v_dual_cndmask_b32 v17, 0, v14, s8
	v_dual_cndmask_b32 v10, 0, v18, s4 :: v_dual_cndmask_b32 v12, 0, v20, vcc_lo
	s_and_b32 vcc_lo, s7, s2
	v_dual_cndmask_b32 v11, 0, v1, s5 :: v_dual_cndmask_b32 v13, 0, v19, s6
	v_cndmask_b32_e32 v14, 0, v22, vcc_lo
	s_and_b32 vcc_lo, s8, s3
	s_or_b32 s23, s9, s23
	v_cndmask_b32_e32 v16, 0, v24, vcc_lo
	s_clause 0x1
	global_store_b128 v[26:27], v[10:13], off
	global_store_b128 v[26:27], v[14:17], off offset:16
	s_wait_xcnt 0x0
	s_and_not1_b32 exec_lo, exec_lo, s23
	s_cbranch_execnz .LBB129_3
.LBB129_4:
	s_or_b32 exec_lo, exec_lo, s22
	s_mov_b32 s2, 0
.LBB129_5:
	s_delay_alu instid0(SALU_CYCLE_1)
	s_and_not1_b32 vcc_lo, exec_lo, s2
	s_cbranch_vccnz .LBB129_25
; %bb.6:
	v_cmp_lt_i64_e64 s2, s[16:17], 1
	s_and_b32 vcc_lo, exec_lo, s2
	s_cbranch_vccnz .LBB129_25
; %bb.7:
	s_load_b32 s0, s[0:1], 0xc5c
	v_min_i64 v[2:3], 0x10000, s[16:17]
	v_min_u64 v[4:5], 0x10000, s[16:17]
	v_dual_mov_b32 v1, 0 :: v_dual_lshlrev_b32 v10, 3, v0
	s_mov_b32 s7, 0
	v_mov_b64_e32 v[28:29], 0x3e928af3fca7ab0c
	s_mov_b32 s5, s7
	s_delay_alu instid0(VALU_DEP_2)
	v_dual_mov_b32 v11, v1 :: v_dual_mov_b32 v27, v1
	s_wait_xcnt 0x0
	s_mov_b32 s1, s7
	s_mov_b32 s3, s7
	s_mov_b64 s[8:9], 0
	v_add_nc_u64_e32 v[6:7], s[12:13], v[10:11]
                                        ; implicit-def: $vgpr30_vgpr31
                                        ; implicit-def: $vgpr30_vgpr31
	;; [unrolled: 1-line block ×8, first 2 shown]
	s_wait_kmcnt 0x0
	s_and_b32 s6, s0, 0xffff
	s_delay_alu instid0(SALU_CYCLE_1)
	v_add_nc_u64_e32 v[8:9], s[6:7], v[0:1]
	v_mad_nc_u64_u32 v[22:23], s6, 24, v[10:11]
	s_lshl_b32 s4, s6, 4
	s_mul_i32 s2, s6, 3
	v_add_nc_u64_e32 v[18:19], s[4:5], v[10:11]
	s_lshl_b32 s0, s6, 1
	v_add_nc_u64_e32 v[10:11], s[14:15], v[10:11]
	v_lshlrev_b32_e32 v26, 3, v8
	v_add_nc_u64_e32 v[12:13], s[2:3], v[0:1]
	v_add_nc_u64_e32 v[14:15], s[0:1], v[0:1]
	s_lshl_b32 s4, s6, 2
	v_add_nc_u64_e32 v[16:17], s[12:13], v[18:19]
	v_add_nc_u64_e32 v[18:19], s[14:15], v[18:19]
	;; [unrolled: 1-line block ×6, first 2 shown]
	s_lshl_b32 s6, s6, 5
	s_branch .LBB129_9
.LBB129_8:                              ;   in Loop: Header=BB129_9 Depth=1
	s_wait_xcnt 0x0
	s_or_b32 exec_lo, exec_lo, s1
	s_add_nc_u64 s[8:9], s[8:9], s[4:5]
	v_add_nc_u64_e32 v[6:7], s[6:7], v[6:7]
	v_cmp_ge_i64_e32 vcc_lo, s[8:9], v[2:3]
	v_add_nc_u64_e32 v[10:11], s[6:7], v[10:11]
	v_add_nc_u64_e32 v[20:21], s[6:7], v[20:21]
	;; [unrolled: 1-line block ×7, first 2 shown]
	s_cbranch_vccnz .LBB129_25
.LBB129_9:                              ; =>This Inner Loop Header: Depth=1
	s_wait_loadcnt 0x0
	v_add_nc_u64_e32 v[30:31], s[8:9], v[0:1]
	v_mov_b64_e32 v[34:35], 0
	v_mov_b64_e32 v[36:37], 0
	s_delay_alu instid0(VALU_DEP_3)
	v_cmp_lt_u64_e64 s2, v[30:31], v[4:5]
	s_and_saveexec_b32 s0, s2
	s_cbranch_execz .LBB129_11
; %bb.10:                               ;   in Loop: Header=BB129_9 Depth=1
	v_add_nc_u64_e32 v[30:31], s[10:11], v[6:7]
	global_load_b64 v[36:37], v[30:31], off
.LBB129_11:                             ;   in Loop: Header=BB129_9 Depth=1
	s_wait_xcnt 0x0
	s_or_b32 exec_lo, exec_lo, s0
	v_add_nc_u64_e32 v[30:31], s[8:9], v[8:9]
	s_delay_alu instid0(VALU_DEP_1)
	v_cmp_lt_u64_e64 s1, v[30:31], v[4:5]
	s_and_saveexec_b32 s0, s1
	s_cbranch_execz .LBB129_13
; %bb.12:                               ;   in Loop: Header=BB129_9 Depth=1
	v_add_nc_u64_e32 v[30:31], s[10:11], v[24:25]
	global_load_b64 v[34:35], v[30:31], off
.LBB129_13:                             ;   in Loop: Header=BB129_9 Depth=1
	s_wait_xcnt 0x0
	s_or_b32 exec_lo, exec_lo, s0
	v_add_nc_u64_e32 v[32:33], s[8:9], v[14:15]
	v_mov_b64_e32 v[30:31], 0
	s_delay_alu instid0(VALU_DEP_2)
	v_cmp_lt_u64_e64 s0, v[32:33], v[4:5]
	v_mov_b64_e32 v[32:33], 0
	s_and_saveexec_b32 s3, s0
	s_cbranch_execz .LBB129_15
; %bb.14:                               ;   in Loop: Header=BB129_9 Depth=1
	v_add_nc_u64_e32 v[32:33], s[10:11], v[16:17]
	global_load_b64 v[32:33], v[32:33], off
.LBB129_15:                             ;   in Loop: Header=BB129_9 Depth=1
	s_wait_xcnt 0x0
	s_or_b32 exec_lo, exec_lo, s3
	v_add_nc_u64_e32 v[38:39], s[8:9], v[12:13]
	s_delay_alu instid0(VALU_DEP_1)
	v_cmp_lt_u64_e32 vcc_lo, v[38:39], v[4:5]
	s_and_saveexec_b32 s3, vcc_lo
	s_cbranch_execnz .LBB129_20
; %bb.16:                               ;   in Loop: Header=BB129_9 Depth=1
	s_or_b32 exec_lo, exec_lo, s3
	s_and_saveexec_b32 s12, s2
	s_cbranch_execnz .LBB129_21
.LBB129_17:                             ;   in Loop: Header=BB129_9 Depth=1
	s_or_b32 exec_lo, exec_lo, s12
	s_and_saveexec_b32 s3, s1
	s_cbranch_execnz .LBB129_22
.LBB129_18:                             ;   in Loop: Header=BB129_9 Depth=1
	s_or_b32 exec_lo, exec_lo, s3
	s_and_saveexec_b32 s2, s0
	s_cbranch_execnz .LBB129_23
.LBB129_19:                             ;   in Loop: Header=BB129_9 Depth=1
	s_or_b32 exec_lo, exec_lo, s2
	s_and_saveexec_b32 s1, vcc_lo
	s_cbranch_execz .LBB129_8
	s_branch .LBB129_24
.LBB129_20:                             ;   in Loop: Header=BB129_9 Depth=1
	v_add_nc_u64_e32 v[30:31], s[10:11], v[20:21]
	global_load_b64 v[30:31], v[30:31], off
	s_wait_xcnt 0x0
	s_or_b32 exec_lo, exec_lo, s3
	s_and_saveexec_b32 s12, s2
	s_cbranch_execz .LBB129_17
.LBB129_21:                             ;   in Loop: Header=BB129_9 Depth=1
	s_wait_loadcnt 0x0
	v_mul_f64_e32 v[38:39], 0x3ff71547652b82fe, v[36:37]
	v_cmp_nlt_f64_e64 s2, 0x40900000, v[36:37]
	v_cmp_ngt_f64_e64 s3, 0xc090cc00, v[36:37]
	s_delay_alu instid0(VALU_DEP_3) | instskip(NEXT) | instid1(VALU_DEP_1)
	v_rndne_f64_e32 v[38:39], v[38:39]
	v_fmamk_f64 v[40:41], v[38:39], 0xbfe62e42fefa39ef, v[36:37]
	v_cvt_i32_f64_e32 v44, v[38:39]
	v_add_nc_u64_e32 v[36:37], s[10:11], v[10:11]
	s_delay_alu instid0(VALU_DEP_3) | instskip(NEXT) | instid1(VALU_DEP_1)
	v_fmac_f64_e32 v[40:41], 0xbc7abc9e3b39803f, v[38:39]
	v_fmamk_f64 v[42:43], v[40:41], 0x3e5ade156a5dcb37, v[28:29]
	s_delay_alu instid0(VALU_DEP_1) | instskip(NEXT) | instid1(VALU_DEP_1)
	v_fmaak_f64 v[42:43], v[40:41], v[42:43], 0x3ec71dee623fde64
	v_fmaak_f64 v[42:43], v[40:41], v[42:43], 0x3efa01997c89e6b0
	s_delay_alu instid0(VALU_DEP_1) | instskip(NEXT) | instid1(VALU_DEP_1)
	v_fmaak_f64 v[42:43], v[40:41], v[42:43], 0x3f2a01a014761f6e
	v_fmaak_f64 v[42:43], v[40:41], v[42:43], 0x3f56c16c1852b7b0
	;; [unrolled: 3-line block ×4, first 2 shown]
	s_delay_alu instid0(VALU_DEP_1) | instskip(NEXT) | instid1(VALU_DEP_1)
	v_fma_f64 v[42:43], v[40:41], v[42:43], 1.0
	v_fma_f64 v[38:39], v[40:41], v[42:43], 1.0
	s_delay_alu instid0(VALU_DEP_1) | instskip(NEXT) | instid1(VALU_DEP_1)
	v_ldexp_f64 v[38:39], v[38:39], v44
	v_cndmask_b32_e64 v39, 0x7ff00000, v39, s2
	s_and_b32 s2, s3, s2
	s_delay_alu instid0(VALU_DEP_1) | instid1(SALU_CYCLE_1)
	v_dual_cndmask_b32 v38, 0, v38, s2 :: v_dual_cndmask_b32 v39, 0, v39, s3
	global_store_b64 v[36:37], v[38:39], off
	s_wait_xcnt 0x0
	s_or_b32 exec_lo, exec_lo, s12
	s_and_saveexec_b32 s3, s1
	s_cbranch_execz .LBB129_18
.LBB129_22:                             ;   in Loop: Header=BB129_9 Depth=1
	s_wait_loadcnt 0x0
	v_mul_f64_e32 v[36:37], 0x3ff71547652b82fe, v[34:35]
	v_cmp_nlt_f64_e64 s1, 0x40900000, v[34:35]
	v_cmp_ngt_f64_e64 s2, 0xc090cc00, v[34:35]
	s_delay_alu instid0(VALU_DEP_3) | instskip(NEXT) | instid1(VALU_DEP_1)
	v_rndne_f64_e32 v[36:37], v[36:37]
	v_fmamk_f64 v[38:39], v[36:37], 0xbfe62e42fefa39ef, v[34:35]
	v_cvt_i32_f64_e32 v42, v[36:37]
	v_add_nc_u64_e32 v[34:35], s[10:11], v[26:27]
	s_delay_alu instid0(VALU_DEP_3) | instskip(NEXT) | instid1(VALU_DEP_1)
	v_fmac_f64_e32 v[38:39], 0xbc7abc9e3b39803f, v[36:37]
	v_fmamk_f64 v[40:41], v[38:39], 0x3e5ade156a5dcb37, v[28:29]
	s_delay_alu instid0(VALU_DEP_1) | instskip(NEXT) | instid1(VALU_DEP_1)
	v_fmaak_f64 v[40:41], v[38:39], v[40:41], 0x3ec71dee623fde64
	v_fmaak_f64 v[40:41], v[38:39], v[40:41], 0x3efa01997c89e6b0
	s_delay_alu instid0(VALU_DEP_1) | instskip(NEXT) | instid1(VALU_DEP_1)
	v_fmaak_f64 v[40:41], v[38:39], v[40:41], 0x3f2a01a014761f6e
	v_fmaak_f64 v[40:41], v[38:39], v[40:41], 0x3f56c16c1852b7b0
	;; [unrolled: 3-line block ×4, first 2 shown]
	s_delay_alu instid0(VALU_DEP_1) | instskip(NEXT) | instid1(VALU_DEP_1)
	v_fma_f64 v[40:41], v[38:39], v[40:41], 1.0
	v_fma_f64 v[36:37], v[38:39], v[40:41], 1.0
	s_delay_alu instid0(VALU_DEP_1) | instskip(NEXT) | instid1(VALU_DEP_1)
	v_ldexp_f64 v[36:37], v[36:37], v42
	v_cndmask_b32_e64 v37, 0x7ff00000, v37, s1
	s_and_b32 s1, s2, s1
	s_delay_alu instid0(VALU_DEP_1) | instid1(SALU_CYCLE_1)
	v_dual_cndmask_b32 v36, 0, v36, s1 :: v_dual_cndmask_b32 v37, 0, v37, s2
	global_store_b64 v[34:35], v[36:37], off
	s_wait_xcnt 0x0
	s_or_b32 exec_lo, exec_lo, s3
	s_and_saveexec_b32 s2, s0
	s_cbranch_execz .LBB129_19
.LBB129_23:                             ;   in Loop: Header=BB129_9 Depth=1
	s_wait_loadcnt 0x0
	v_mul_f64_e32 v[34:35], 0x3ff71547652b82fe, v[32:33]
	v_cmp_nlt_f64_e64 s0, 0x40900000, v[32:33]
	v_cmp_ngt_f64_e64 s1, 0xc090cc00, v[32:33]
	s_delay_alu instid0(VALU_DEP_3) | instskip(NEXT) | instid1(VALU_DEP_1)
	v_rndne_f64_e32 v[34:35], v[34:35]
	v_fmamk_f64 v[36:37], v[34:35], 0xbfe62e42fefa39ef, v[32:33]
	v_cvt_i32_f64_e32 v40, v[34:35]
	v_add_nc_u64_e32 v[32:33], s[10:11], v[18:19]
	s_delay_alu instid0(VALU_DEP_3) | instskip(NEXT) | instid1(VALU_DEP_1)
	v_fmac_f64_e32 v[36:37], 0xbc7abc9e3b39803f, v[34:35]
	v_fmamk_f64 v[38:39], v[36:37], 0x3e5ade156a5dcb37, v[28:29]
	s_delay_alu instid0(VALU_DEP_1) | instskip(NEXT) | instid1(VALU_DEP_1)
	v_fmaak_f64 v[38:39], v[36:37], v[38:39], 0x3ec71dee623fde64
	v_fmaak_f64 v[38:39], v[36:37], v[38:39], 0x3efa01997c89e6b0
	s_delay_alu instid0(VALU_DEP_1) | instskip(NEXT) | instid1(VALU_DEP_1)
	v_fmaak_f64 v[38:39], v[36:37], v[38:39], 0x3f2a01a014761f6e
	v_fmaak_f64 v[38:39], v[36:37], v[38:39], 0x3f56c16c1852b7b0
	;; [unrolled: 3-line block ×4, first 2 shown]
	s_delay_alu instid0(VALU_DEP_1) | instskip(NEXT) | instid1(VALU_DEP_1)
	v_fma_f64 v[38:39], v[36:37], v[38:39], 1.0
	v_fma_f64 v[34:35], v[36:37], v[38:39], 1.0
	s_delay_alu instid0(VALU_DEP_1) | instskip(NEXT) | instid1(VALU_DEP_1)
	v_ldexp_f64 v[34:35], v[34:35], v40
	v_cndmask_b32_e64 v35, 0x7ff00000, v35, s0
	s_and_b32 s0, s1, s0
	s_delay_alu instid0(VALU_DEP_1) | instid1(SALU_CYCLE_1)
	v_dual_cndmask_b32 v34, 0, v34, s0 :: v_dual_cndmask_b32 v35, 0, v35, s1
	global_store_b64 v[32:33], v[34:35], off
	s_wait_xcnt 0x0
	s_or_b32 exec_lo, exec_lo, s2
	s_and_saveexec_b32 s1, vcc_lo
	s_cbranch_execz .LBB129_8
.LBB129_24:                             ;   in Loop: Header=BB129_9 Depth=1
	s_wait_loadcnt 0x0
	v_mul_f64_e32 v[32:33], 0x3ff71547652b82fe, v[30:31]
	v_cmp_nlt_f64_e32 vcc_lo, 0x40900000, v[30:31]
	v_cmp_ngt_f64_e64 s0, 0xc090cc00, v[30:31]
	s_delay_alu instid0(VALU_DEP_3) | instskip(NEXT) | instid1(VALU_DEP_1)
	v_rndne_f64_e32 v[32:33], v[32:33]
	v_fmamk_f64 v[34:35], v[32:33], 0xbfe62e42fefa39ef, v[30:31]
	v_cvt_i32_f64_e32 v38, v[32:33]
	v_add_nc_u64_e32 v[30:31], s[10:11], v[22:23]
	s_delay_alu instid0(VALU_DEP_3) | instskip(NEXT) | instid1(VALU_DEP_1)
	v_fmac_f64_e32 v[34:35], 0xbc7abc9e3b39803f, v[32:33]
	v_fmamk_f64 v[36:37], v[34:35], 0x3e5ade156a5dcb37, v[28:29]
	s_delay_alu instid0(VALU_DEP_1) | instskip(NEXT) | instid1(VALU_DEP_1)
	v_fmaak_f64 v[36:37], v[34:35], v[36:37], 0x3ec71dee623fde64
	v_fmaak_f64 v[36:37], v[34:35], v[36:37], 0x3efa01997c89e6b0
	s_delay_alu instid0(VALU_DEP_1) | instskip(NEXT) | instid1(VALU_DEP_1)
	v_fmaak_f64 v[36:37], v[34:35], v[36:37], 0x3f2a01a014761f6e
	v_fmaak_f64 v[36:37], v[34:35], v[36:37], 0x3f56c16c1852b7b0
	;; [unrolled: 3-line block ×4, first 2 shown]
	s_delay_alu instid0(VALU_DEP_1) | instskip(NEXT) | instid1(VALU_DEP_1)
	v_fma_f64 v[36:37], v[34:35], v[36:37], 1.0
	v_fma_f64 v[32:33], v[34:35], v[36:37], 1.0
	s_delay_alu instid0(VALU_DEP_1) | instskip(NEXT) | instid1(VALU_DEP_1)
	v_ldexp_f64 v[32:33], v[32:33], v38
	v_cndmask_b32_e32 v33, 0x7ff00000, v33, vcc_lo
	s_and_b32 vcc_lo, s0, vcc_lo
	s_delay_alu instid0(VALU_DEP_1) | instid1(SALU_CYCLE_1)
	v_dual_cndmask_b32 v32, 0, v32, vcc_lo :: v_dual_cndmask_b32 v33, 0, v33, s0
	global_store_b64 v[30:31], v[32:33], off
	s_branch .LBB129_8
.LBB129_25:
	s_endpgm
	.section	.rodata,"a",@progbits
	.p2align	6, 0x0
	.amdhsa_kernel _ZN2at6native12_GLOBAL__N_125multi_tensor_apply_kernelINS1_18TensorListMetadataILi2EEENS1_14UnaryOpFunctorIdLi2ELi1ELi1EEEJNS0_3ExpIdEEEEEvT_T0_DpT1_
		.amdhsa_group_segment_fixed_size 0
		.amdhsa_private_segment_fixed_size 0
		.amdhsa_kernarg_size 3408
		.amdhsa_user_sgpr_count 2
		.amdhsa_user_sgpr_dispatch_ptr 0
		.amdhsa_user_sgpr_queue_ptr 0
		.amdhsa_user_sgpr_kernarg_segment_ptr 1
		.amdhsa_user_sgpr_dispatch_id 0
		.amdhsa_user_sgpr_kernarg_preload_length 0
		.amdhsa_user_sgpr_kernarg_preload_offset 0
		.amdhsa_user_sgpr_private_segment_size 0
		.amdhsa_wavefront_size32 1
		.amdhsa_uses_dynamic_stack 0
		.amdhsa_enable_private_segment 0
		.amdhsa_system_sgpr_workgroup_id_x 1
		.amdhsa_system_sgpr_workgroup_id_y 0
		.amdhsa_system_sgpr_workgroup_id_z 0
		.amdhsa_system_sgpr_workgroup_info 0
		.amdhsa_system_vgpr_workitem_id 0
		.amdhsa_next_free_vgpr 45
		.amdhsa_next_free_sgpr 24
		.amdhsa_named_barrier_count 0
		.amdhsa_reserve_vcc 1
		.amdhsa_float_round_mode_32 0
		.amdhsa_float_round_mode_16_64 0
		.amdhsa_float_denorm_mode_32 3
		.amdhsa_float_denorm_mode_16_64 3
		.amdhsa_fp16_overflow 0
		.amdhsa_memory_ordered 1
		.amdhsa_forward_progress 1
		.amdhsa_inst_pref_size 25
		.amdhsa_round_robin_scheduling 0
		.amdhsa_exception_fp_ieee_invalid_op 0
		.amdhsa_exception_fp_denorm_src 0
		.amdhsa_exception_fp_ieee_div_zero 0
		.amdhsa_exception_fp_ieee_overflow 0
		.amdhsa_exception_fp_ieee_underflow 0
		.amdhsa_exception_fp_ieee_inexact 0
		.amdhsa_exception_int_div_zero 0
	.end_amdhsa_kernel
	.section	.text._ZN2at6native12_GLOBAL__N_125multi_tensor_apply_kernelINS1_18TensorListMetadataILi2EEENS1_14UnaryOpFunctorIdLi2ELi1ELi1EEEJNS0_3ExpIdEEEEEvT_T0_DpT1_,"axG",@progbits,_ZN2at6native12_GLOBAL__N_125multi_tensor_apply_kernelINS1_18TensorListMetadataILi2EEENS1_14UnaryOpFunctorIdLi2ELi1ELi1EEEJNS0_3ExpIdEEEEEvT_T0_DpT1_,comdat
.Lfunc_end129:
	.size	_ZN2at6native12_GLOBAL__N_125multi_tensor_apply_kernelINS1_18TensorListMetadataILi2EEENS1_14UnaryOpFunctorIdLi2ELi1ELi1EEEJNS0_3ExpIdEEEEEvT_T0_DpT1_, .Lfunc_end129-_ZN2at6native12_GLOBAL__N_125multi_tensor_apply_kernelINS1_18TensorListMetadataILi2EEENS1_14UnaryOpFunctorIdLi2ELi1ELi1EEEJNS0_3ExpIdEEEEEvT_T0_DpT1_
                                        ; -- End function
	.set _ZN2at6native12_GLOBAL__N_125multi_tensor_apply_kernelINS1_18TensorListMetadataILi2EEENS1_14UnaryOpFunctorIdLi2ELi1ELi1EEEJNS0_3ExpIdEEEEEvT_T0_DpT1_.num_vgpr, 45
	.set _ZN2at6native12_GLOBAL__N_125multi_tensor_apply_kernelINS1_18TensorListMetadataILi2EEENS1_14UnaryOpFunctorIdLi2ELi1ELi1EEEJNS0_3ExpIdEEEEEvT_T0_DpT1_.num_agpr, 0
	.set _ZN2at6native12_GLOBAL__N_125multi_tensor_apply_kernelINS1_18TensorListMetadataILi2EEENS1_14UnaryOpFunctorIdLi2ELi1ELi1EEEJNS0_3ExpIdEEEEEvT_T0_DpT1_.numbered_sgpr, 24
	.set _ZN2at6native12_GLOBAL__N_125multi_tensor_apply_kernelINS1_18TensorListMetadataILi2EEENS1_14UnaryOpFunctorIdLi2ELi1ELi1EEEJNS0_3ExpIdEEEEEvT_T0_DpT1_.num_named_barrier, 0
	.set _ZN2at6native12_GLOBAL__N_125multi_tensor_apply_kernelINS1_18TensorListMetadataILi2EEENS1_14UnaryOpFunctorIdLi2ELi1ELi1EEEJNS0_3ExpIdEEEEEvT_T0_DpT1_.private_seg_size, 0
	.set _ZN2at6native12_GLOBAL__N_125multi_tensor_apply_kernelINS1_18TensorListMetadataILi2EEENS1_14UnaryOpFunctorIdLi2ELi1ELi1EEEJNS0_3ExpIdEEEEEvT_T0_DpT1_.uses_vcc, 1
	.set _ZN2at6native12_GLOBAL__N_125multi_tensor_apply_kernelINS1_18TensorListMetadataILi2EEENS1_14UnaryOpFunctorIdLi2ELi1ELi1EEEJNS0_3ExpIdEEEEEvT_T0_DpT1_.uses_flat_scratch, 0
	.set _ZN2at6native12_GLOBAL__N_125multi_tensor_apply_kernelINS1_18TensorListMetadataILi2EEENS1_14UnaryOpFunctorIdLi2ELi1ELi1EEEJNS0_3ExpIdEEEEEvT_T0_DpT1_.has_dyn_sized_stack, 0
	.set _ZN2at6native12_GLOBAL__N_125multi_tensor_apply_kernelINS1_18TensorListMetadataILi2EEENS1_14UnaryOpFunctorIdLi2ELi1ELi1EEEJNS0_3ExpIdEEEEEvT_T0_DpT1_.has_recursion, 0
	.set _ZN2at6native12_GLOBAL__N_125multi_tensor_apply_kernelINS1_18TensorListMetadataILi2EEENS1_14UnaryOpFunctorIdLi2ELi1ELi1EEEJNS0_3ExpIdEEEEEvT_T0_DpT1_.has_indirect_call, 0
	.section	.AMDGPU.csdata,"",@progbits
; Kernel info:
; codeLenInByte = 3132
; TotalNumSgprs: 26
; NumVgprs: 45
; ScratchSize: 0
; MemoryBound: 0
; FloatMode: 240
; IeeeMode: 1
; LDSByteSize: 0 bytes/workgroup (compile time only)
; SGPRBlocks: 0
; VGPRBlocks: 2
; NumSGPRsForWavesPerEU: 26
; NumVGPRsForWavesPerEU: 45
; NamedBarCnt: 0
; Occupancy: 16
; WaveLimiterHint : 0
; COMPUTE_PGM_RSRC2:SCRATCH_EN: 0
; COMPUTE_PGM_RSRC2:USER_SGPR: 2
; COMPUTE_PGM_RSRC2:TRAP_HANDLER: 0
; COMPUTE_PGM_RSRC2:TGID_X_EN: 1
; COMPUTE_PGM_RSRC2:TGID_Y_EN: 0
; COMPUTE_PGM_RSRC2:TGID_Z_EN: 0
; COMPUTE_PGM_RSRC2:TIDIG_COMP_CNT: 0
	.section	.text._ZN2at6native12_GLOBAL__N_125multi_tensor_apply_kernelINS1_18TensorListMetadataILi2EEENS1_14UnaryOpFunctorIfLi2ELi1ELi1EEEJNS0_3ExpIfEEEEEvT_T0_DpT1_,"axG",@progbits,_ZN2at6native12_GLOBAL__N_125multi_tensor_apply_kernelINS1_18TensorListMetadataILi2EEENS1_14UnaryOpFunctorIfLi2ELi1ELi1EEEJNS0_3ExpIfEEEEEvT_T0_DpT1_,comdat
	.globl	_ZN2at6native12_GLOBAL__N_125multi_tensor_apply_kernelINS1_18TensorListMetadataILi2EEENS1_14UnaryOpFunctorIfLi2ELi1ELi1EEEJNS0_3ExpIfEEEEEvT_T0_DpT1_ ; -- Begin function _ZN2at6native12_GLOBAL__N_125multi_tensor_apply_kernelINS1_18TensorListMetadataILi2EEENS1_14UnaryOpFunctorIfLi2ELi1ELi1EEEJNS0_3ExpIfEEEEEvT_T0_DpT1_
	.p2align	8
	.type	_ZN2at6native12_GLOBAL__N_125multi_tensor_apply_kernelINS1_18TensorListMetadataILi2EEENS1_14UnaryOpFunctorIfLi2ELi1ELi1EEEJNS0_3ExpIfEEEEEvT_T0_DpT1_,@function
_ZN2at6native12_GLOBAL__N_125multi_tensor_apply_kernelINS1_18TensorListMetadataILi2EEENS1_14UnaryOpFunctorIfLi2ELi1ELi1EEEJNS0_3ExpIfEEEEEvT_T0_DpT1_: ; @_ZN2at6native12_GLOBAL__N_125multi_tensor_apply_kernelINS1_18TensorListMetadataILi2EEENS1_14UnaryOpFunctorIfLi2ELi1ELi1EEEJNS0_3ExpIfEEEEEvT_T0_DpT1_
; %bb.0:
	s_bfe_u32 s2, ttmp6, 0x4000c
	s_and_b32 s3, ttmp6, 15
	s_add_co_i32 s2, s2, 1
	s_getreg_b32 s4, hwreg(HW_REG_IB_STS2, 6, 4)
	s_mul_i32 s2, ttmp9, s2
	s_delay_alu instid0(SALU_CYCLE_1)
	s_add_co_i32 s3, s3, s2
	s_cmp_eq_u32 s4, 0
	s_cselect_b32 s2, ttmp9, s3
	s_mov_b32 s3, 0
	s_load_u8 s13, s[0:1], s2 offset:0x600
	s_add_nc_u64 s[4:5], s[0:1], s[2:3]
	s_mul_u64 s[6:7], s[2:3], 3
	s_delay_alu instid0(SALU_CYCLE_1)
	s_add_nc_u64 s[4:5], s[4:5], s[6:7]
	s_load_b32 s12, s[4:5], 0x740
	s_wait_kmcnt 0x0
	s_clause 0x2
	s_load_b64 s[8:9], s[0:1], s13 offset:0x0 scale_offset
	s_load_b64 s[10:11], s[0:1], s13 offset:0x200 scale_offset
	;; [unrolled: 1-line block ×3, first 2 shown]
	s_mov_b32 s5, s3
	s_wait_xcnt 0x0
	s_ashr_i32 s13, s12, 31
	s_delay_alu instid0(SALU_CYCLE_1)
	s_lshl_b64 s[6:7], s[12:13], 18
	s_wait_kmcnt 0x0
	s_and_b64 s[18:19], s[10:11], 15
	s_add_nc_u64 s[16:17], s[8:9], s[6:7]
	s_and_b32 s4, s14, 3
	s_and_b32 s2, s16, 15
	s_or_b64 s[4:5], s[18:19], s[4:5]
	s_lshl_b64 s[12:13], s[12:13], 16
	s_or_b64 s[2:3], s[4:5], s[2:3]
	s_sub_nc_u64 s[12:13], s[14:15], s[12:13]
	s_cmp_eq_u64 s[2:3], 0
	s_mov_b32 s2, -1
	s_cbranch_scc0 .LBB130_5
; %bb.1:
	v_min_i64 v[2:3], 0x10000, s[12:13]
	v_dual_mov_b32 v5, 0 :: v_dual_lshlrev_b32 v4, 2, v0
	s_mov_b32 s18, exec_lo
	s_delay_alu instid0(VALU_DEP_1)
	v_cmpx_lt_i64_e64 v[4:5], v[2:3]
	s_cbranch_execz .LBB130_4
; %bb.2:
	s_load_b32 s2, s[0:1], 0xc5c
	v_dual_mov_b32 v1, v5 :: v_dual_lshlrev_b32 v4, 4, v0
	s_mov_b32 s15, 0
	s_delay_alu instid0(SALU_CYCLE_1) | instskip(NEXT) | instid1(VALU_DEP_1)
	s_mov_b32 s17, s15
	v_add_nc_u64_e32 v[4:5], s[6:7], v[4:5]
	s_delay_alu instid0(VALU_DEP_2) | instskip(SKIP_3) | instid1(SALU_CYCLE_1)
	v_mov_b64_e32 v[6:7], v[0:1]
	s_mov_b32 s19, s15
	s_wait_kmcnt 0x0
	s_and_b32 s14, s2, 0xffff
	s_lshl_b32 s16, s14, 4
.LBB130_3:                              ; =>This Inner Loop Header: Depth=1
	s_delay_alu instid0(VALU_DEP_2) | instskip(NEXT) | instid1(VALU_DEP_2)
	v_add_nc_u64_e32 v[8:9], s[8:9], v[4:5]
	v_add_nc_u64_e32 v[6:7], s[14:15], v[6:7]
	;; [unrolled: 1-line block ×4, first 2 shown]
	global_load_b128 v[8:11], v[8:9], off
	v_lshlrev_b64_e32 v[14:15], 2, v[6:7]
	s_delay_alu instid0(VALU_DEP_1)
	v_cmp_ge_i64_e32 vcc_lo, v[14:15], v[2:3]
	s_or_b32 s19, vcc_lo, s19
	s_wait_loadcnt 0x0
	v_dual_mul_f32 v1, 0x3fb8aa3b, v8 :: v_dual_mul_f32 v14, 0x3fb8aa3b, v9
	v_dual_mul_f32 v15, 0x3fb8aa3b, v10 :: v_dual_mul_f32 v16, 0x3fb8aa3b, v11
	v_cmp_ngt_f32_e64 s2, 0xc2ce8ed0, v9
	s_delay_alu instid0(VALU_DEP_3) | instskip(NEXT) | instid1(VALU_DEP_4)
	v_rndne_f32_e32 v18, v1
	v_fma_f32 v19, 0x3fb8aa3b, v9, -v14
	v_rndne_f32_e32 v20, v14
	v_fma_f32 v17, 0x3fb8aa3b, v8, -v1
	v_rndne_f32_e32 v24, v16
	v_sub_f32_e32 v1, v1, v18
	s_delay_alu instid0(VALU_DEP_4) | instskip(SKIP_1) | instid1(VALU_DEP_4)
	v_dual_fmac_f32 v19, 0x32a5705f, v9 :: v_dual_sub_f32 v14, v14, v20
	v_fma_f32 v23, 0x3fb8aa3b, v11, -v16
	v_sub_f32_e32 v16, v16, v24
	v_fmac_f32_e32 v17, 0x32a5705f, v8
	v_fma_f32 v21, 0x3fb8aa3b, v10, -v15
	v_add_f32_e32 v14, v14, v19
	v_rndne_f32_e32 v22, v15
	v_cvt_i32_f32_e32 v20, v20
	v_fmac_f32_e32 v23, 0x32a5705f, v11
	v_fmac_f32_e32 v21, 0x32a5705f, v10
	v_exp_f32_e32 v14, v14
	v_dual_sub_f32 v15, v15, v22 :: v_dual_add_f32 v1, v1, v17
	s_delay_alu instid0(VALU_DEP_3) | instskip(SKIP_3) | instid1(TRANS32_DEP_1)
	v_add_f32_e32 v16, v16, v23
	v_cvt_i32_f32_e32 v18, v18
	v_cvt_i32_f32_e32 v22, v22
	v_cvt_i32_f32_e32 v24, v24
	v_ldexp_f32 v14, v14, v20
	v_add_f32_e32 v15, v15, v21
	v_exp_f32_e32 v1, v1
	v_exp_f32_e32 v16, v16
	v_cmp_ngt_f32_e64 s3, 0xc2ce8ed0, v10
	v_cndmask_b32_e64 v14, 0, v14, s2
	v_exp_f32_e32 v15, v15
	v_cmp_ngt_f32_e64 s4, 0xc2ce8ed0, v11
	v_cmp_ngt_f32_e64 s5, 0xc2ce8ed0, v8
	v_ldexp_f32 v1, v1, v18
	v_ldexp_f32 v16, v16, v24
	v_cmp_nlt_f32_e64 s2, 0x42b17218, v9
	s_delay_alu instid0(TRANS32_DEP_1) | instskip(NEXT) | instid1(VALU_DEP_3)
	v_ldexp_f32 v15, v15, v22
	v_dual_cndmask_b32 v1, 0, v1, s5 :: v_dual_cndmask_b32 v16, 0, v16, s4
	v_cmp_nlt_f32_e64 s4, 0x42b17218, v11
	v_cmp_nlt_f32_e64 s5, 0x42b17218, v8
	s_delay_alu instid0(VALU_DEP_4)
	v_cndmask_b32_e64 v15, 0, v15, s3
	v_cmp_nlt_f32_e64 s3, 0x42b17218, v10
	s_wait_xcnt 0x0
	v_cndmask_b32_e64 v9, 0x7f800000, v14, s2
	v_cndmask_b32_e64 v11, 0x7f800000, v16, s4
	;; [unrolled: 1-line block ×4, first 2 shown]
	global_store_b128 v[12:13], v[8:11], off
	s_wait_xcnt 0x0
	s_and_not1_b32 exec_lo, exec_lo, s19
	s_cbranch_execnz .LBB130_3
.LBB130_4:
	s_or_b32 exec_lo, exec_lo, s18
	s_mov_b32 s2, 0
.LBB130_5:
	s_delay_alu instid0(SALU_CYCLE_1)
	s_and_not1_b32 vcc_lo, exec_lo, s2
	s_cbranch_vccnz .LBB130_25
; %bb.6:
	v_cmp_lt_i64_e64 s2, s[12:13], 1
	s_and_b32 vcc_lo, exec_lo, s2
	s_cbranch_vccnz .LBB130_25
; %bb.7:
	s_load_b32 s0, s[0:1], 0xc5c
	v_min_i64 v[2:3], 0x10000, s[12:13]
	v_min_u64 v[4:5], 0x10000, s[12:13]
	v_dual_mov_b32 v1, 0 :: v_dual_lshlrev_b32 v10, 2, v0
	s_wait_xcnt 0x0
	s_mov_b32 s1, 0
	s_delay_alu instid0(SALU_CYCLE_1) | instskip(NEXT) | instid1(VALU_DEP_1)
	s_mov_b32 s13, s1
	v_dual_mov_b32 v11, v1 :: v_dual_mov_b32 v27, v1
	s_mov_b32 s3, s1
	s_mov_b32 s5, s1
	s_delay_alu instid0(VALU_DEP_1) | instskip(SKIP_2) | instid1(SALU_CYCLE_1)
	v_add_nc_u64_e32 v[6:7], s[8:9], v[10:11]
	s_wait_kmcnt 0x0
	s_and_b32 s0, s0, 0xffff
	v_add_nc_u64_e32 v[8:9], s[0:1], v[0:1]
	v_mad_nc_u64_u32 v[22:23], s0, 12, v[10:11]
	s_lshl_b32 s12, s0, 3
	s_mul_i32 s4, s0, 3
	v_add_nc_u64_e32 v[18:19], s[12:13], v[10:11]
	s_lshl_b32 s2, s0, 1
	v_add_nc_u64_e32 v[10:11], s[10:11], v[10:11]
	v_lshlrev_b32_e32 v26, 2, v8
	v_add_nc_u64_e32 v[12:13], s[4:5], v[0:1]
	v_add_nc_u64_e32 v[14:15], s[2:3], v[0:1]
	s_lshl_b32 s4, s0, 2
	v_add_nc_u64_e32 v[16:17], s[8:9], v[18:19]
	v_add_nc_u64_e32 v[18:19], s[10:11], v[18:19]
	;; [unrolled: 1-line block ×6, first 2 shown]
	s_lshl_b32 s8, s0, 4
	s_mov_b32 s9, s1
	s_mov_b64 s[10:11], 0
	s_branch .LBB130_9
.LBB130_8:                              ;   in Loop: Header=BB130_9 Depth=1
	s_wait_xcnt 0x0
	s_or_b32 exec_lo, exec_lo, s0
	s_add_nc_u64 s[10:11], s[10:11], s[4:5]
	v_add_nc_u64_e32 v[6:7], s[8:9], v[6:7]
	v_cmp_ge_i64_e32 vcc_lo, s[10:11], v[2:3]
	v_add_nc_u64_e32 v[10:11], s[8:9], v[10:11]
	v_add_nc_u64_e32 v[20:21], s[8:9], v[20:21]
	;; [unrolled: 1-line block ×7, first 2 shown]
	s_cbranch_vccnz .LBB130_25
.LBB130_9:                              ; =>This Inner Loop Header: Depth=1
	v_add_nc_u64_e32 v[28:29], s[10:11], v[0:1]
	s_delay_alu instid0(VALU_DEP_1)
	v_cmp_lt_u64_e32 vcc_lo, v[28:29], v[4:5]
	v_dual_mov_b32 v28, 1.0 :: v_dual_mov_b32 v29, 1.0
	s_and_saveexec_b32 s1, vcc_lo
	s_cbranch_execz .LBB130_11
; %bb.10:                               ;   in Loop: Header=BB130_9 Depth=1
	v_add_nc_u64_e32 v[30:31], s[6:7], v[6:7]
	global_load_b32 v29, v[30:31], off
	s_wait_loadcnt 0x0
	v_mul_f32_e32 v30, 0x3fb8aa3b, v29
	v_cmp_ngt_f32_e64 s0, 0xc2ce8ed0, v29
	s_delay_alu instid0(VALU_DEP_2) | instskip(SKIP_1) | instid1(VALU_DEP_1)
	v_fma_f32 v31, 0x3fb8aa3b, v29, -v30
	v_rndne_f32_e32 v32, v30
	v_dual_fmac_f32 v31, 0x32a5705f, v29 :: v_dual_sub_f32 v30, v30, v32
	s_delay_alu instid0(VALU_DEP_1) | instskip(SKIP_1) | instid1(VALU_DEP_2)
	v_add_f32_e32 v30, v30, v31
	v_cvt_i32_f32_e32 v31, v32
	v_exp_f32_e32 v30, v30
	v_nop
	s_delay_alu instid0(TRANS32_DEP_1) | instskip(NEXT) | instid1(VALU_DEP_1)
	v_ldexp_f32 v30, v30, v31
	v_cndmask_b32_e64 v30, 0, v30, s0
	v_cmp_nlt_f32_e64 s0, 0x42b17218, v29
	s_delay_alu instid0(VALU_DEP_1)
	v_cndmask_b32_e64 v29, 0x7f800000, v30, s0
.LBB130_11:                             ;   in Loop: Header=BB130_9 Depth=1
	s_or_b32 exec_lo, exec_lo, s1
	v_add_nc_u64_e32 v[30:31], s[10:11], v[8:9]
	s_delay_alu instid0(VALU_DEP_1)
	v_cmp_lt_u64_e64 s0, v[30:31], v[4:5]
	s_and_saveexec_b32 s2, s0
	s_cbranch_execz .LBB130_13
; %bb.12:                               ;   in Loop: Header=BB130_9 Depth=1
	v_add_nc_u64_e32 v[30:31], s[6:7], v[24:25]
	global_load_b32 v28, v[30:31], off
	s_wait_loadcnt 0x0
	v_mul_f32_e32 v30, 0x3fb8aa3b, v28
	v_cmp_ngt_f32_e64 s1, 0xc2ce8ed0, v28
	s_delay_alu instid0(VALU_DEP_2) | instskip(SKIP_1) | instid1(VALU_DEP_2)
	v_fma_f32 v31, 0x3fb8aa3b, v28, -v30
	v_rndne_f32_e32 v32, v30
	v_fmac_f32_e32 v31, 0x32a5705f, v28
	s_delay_alu instid0(VALU_DEP_2) | instskip(NEXT) | instid1(VALU_DEP_1)
	v_sub_f32_e32 v30, v30, v32
	v_add_f32_e32 v30, v30, v31
	v_cvt_i32_f32_e32 v31, v32
	s_delay_alu instid0(VALU_DEP_2) | instskip(SKIP_1) | instid1(TRANS32_DEP_1)
	v_exp_f32_e32 v30, v30
	v_nop
	v_ldexp_f32 v30, v30, v31
	s_delay_alu instid0(VALU_DEP_1) | instskip(SKIP_1) | instid1(VALU_DEP_1)
	v_cndmask_b32_e64 v30, 0, v30, s1
	v_cmp_nlt_f32_e64 s1, 0x42b17218, v28
	v_cndmask_b32_e64 v28, 0x7f800000, v30, s1
.LBB130_13:                             ;   in Loop: Header=BB130_9 Depth=1
	s_or_b32 exec_lo, exec_lo, s2
	v_add_nc_u64_e32 v[30:31], s[10:11], v[14:15]
	s_delay_alu instid0(VALU_DEP_1)
	v_cmp_lt_u64_e64 s1, v[30:31], v[4:5]
	v_dual_mov_b32 v30, 1.0 :: v_dual_mov_b32 v31, 1.0
	s_and_saveexec_b32 s3, s1
	s_cbranch_execz .LBB130_15
; %bb.14:                               ;   in Loop: Header=BB130_9 Depth=1
	v_add_nc_u64_e32 v[32:33], s[6:7], v[16:17]
	global_load_b32 v31, v[32:33], off
	s_wait_loadcnt 0x0
	v_mul_f32_e32 v32, 0x3fb8aa3b, v31
	v_cmp_ngt_f32_e64 s2, 0xc2ce8ed0, v31
	s_delay_alu instid0(VALU_DEP_2) | instskip(SKIP_1) | instid1(VALU_DEP_1)
	v_fma_f32 v33, 0x3fb8aa3b, v31, -v32
	v_rndne_f32_e32 v34, v32
	v_dual_fmac_f32 v33, 0x32a5705f, v31 :: v_dual_sub_f32 v32, v32, v34
	s_delay_alu instid0(VALU_DEP_1) | instskip(SKIP_1) | instid1(VALU_DEP_2)
	v_add_f32_e32 v32, v32, v33
	v_cvt_i32_f32_e32 v33, v34
	v_exp_f32_e32 v32, v32
	v_nop
	s_delay_alu instid0(TRANS32_DEP_1) | instskip(NEXT) | instid1(VALU_DEP_1)
	v_ldexp_f32 v32, v32, v33
	v_cndmask_b32_e64 v32, 0, v32, s2
	v_cmp_nlt_f32_e64 s2, 0x42b17218, v31
	s_delay_alu instid0(VALU_DEP_1)
	v_cndmask_b32_e64 v31, 0x7f800000, v32, s2
.LBB130_15:                             ;   in Loop: Header=BB130_9 Depth=1
	s_or_b32 exec_lo, exec_lo, s3
	v_add_nc_u64_e32 v[32:33], s[10:11], v[12:13]
	s_delay_alu instid0(VALU_DEP_1)
	v_cmp_lt_u64_e64 s2, v[32:33], v[4:5]
	s_and_saveexec_b32 s12, s2
	s_cbranch_execnz .LBB130_20
; %bb.16:                               ;   in Loop: Header=BB130_9 Depth=1
	s_or_b32 exec_lo, exec_lo, s12
	s_and_saveexec_b32 s3, vcc_lo
	s_cbranch_execnz .LBB130_21
.LBB130_17:                             ;   in Loop: Header=BB130_9 Depth=1
	s_or_b32 exec_lo, exec_lo, s3
	s_and_saveexec_b32 s3, s0
	s_cbranch_execnz .LBB130_22
.LBB130_18:                             ;   in Loop: Header=BB130_9 Depth=1
	s_or_b32 exec_lo, exec_lo, s3
	s_and_saveexec_b32 s0, s1
	s_cbranch_execnz .LBB130_23
.LBB130_19:                             ;   in Loop: Header=BB130_9 Depth=1
	s_or_b32 exec_lo, exec_lo, s0
	s_and_saveexec_b32 s0, s2
	s_cbranch_execz .LBB130_8
	s_branch .LBB130_24
.LBB130_20:                             ;   in Loop: Header=BB130_9 Depth=1
	v_add_nc_u64_e32 v[32:33], s[6:7], v[20:21]
	global_load_b32 v30, v[32:33], off
	s_wait_loadcnt 0x0
	v_mul_f32_e32 v32, 0x3fb8aa3b, v30
	v_cmp_ngt_f32_e64 s3, 0xc2ce8ed0, v30
	s_delay_alu instid0(VALU_DEP_2) | instskip(SKIP_1) | instid1(VALU_DEP_2)
	v_fma_f32 v33, 0x3fb8aa3b, v30, -v32
	v_rndne_f32_e32 v34, v32
	v_fmac_f32_e32 v33, 0x32a5705f, v30
	s_delay_alu instid0(VALU_DEP_2) | instskip(NEXT) | instid1(VALU_DEP_1)
	v_sub_f32_e32 v32, v32, v34
	v_add_f32_e32 v32, v32, v33
	v_cvt_i32_f32_e32 v33, v34
	s_delay_alu instid0(VALU_DEP_2) | instskip(SKIP_1) | instid1(TRANS32_DEP_1)
	v_exp_f32_e32 v32, v32
	v_nop
	v_ldexp_f32 v32, v32, v33
	s_delay_alu instid0(VALU_DEP_1) | instskip(SKIP_1) | instid1(VALU_DEP_1)
	v_cndmask_b32_e64 v32, 0, v32, s3
	v_cmp_nlt_f32_e64 s3, 0x42b17218, v30
	v_cndmask_b32_e64 v30, 0x7f800000, v32, s3
	s_or_b32 exec_lo, exec_lo, s12
	s_and_saveexec_b32 s3, vcc_lo
	s_cbranch_execz .LBB130_17
.LBB130_21:                             ;   in Loop: Header=BB130_9 Depth=1
	v_add_nc_u64_e32 v[32:33], s[6:7], v[10:11]
	global_store_b32 v[32:33], v29, off
	s_wait_xcnt 0x0
	s_or_b32 exec_lo, exec_lo, s3
	s_and_saveexec_b32 s3, s0
	s_cbranch_execz .LBB130_18
.LBB130_22:                             ;   in Loop: Header=BB130_9 Depth=1
	v_add_nc_u64_e32 v[32:33], s[6:7], v[26:27]
	global_store_b32 v[32:33], v28, off
	s_wait_xcnt 0x0
	s_or_b32 exec_lo, exec_lo, s3
	s_and_saveexec_b32 s0, s1
	s_cbranch_execz .LBB130_19
.LBB130_23:                             ;   in Loop: Header=BB130_9 Depth=1
	v_add_nc_u64_e32 v[28:29], s[6:7], v[18:19]
	global_store_b32 v[28:29], v31, off
	s_wait_xcnt 0x0
	s_or_b32 exec_lo, exec_lo, s0
	s_and_saveexec_b32 s0, s2
	s_cbranch_execz .LBB130_8
.LBB130_24:                             ;   in Loop: Header=BB130_9 Depth=1
	v_add_nc_u64_e32 v[28:29], s[6:7], v[22:23]
	global_store_b32 v[28:29], v30, off
	s_branch .LBB130_8
.LBB130_25:
	s_endpgm
	.section	.rodata,"a",@progbits
	.p2align	6, 0x0
	.amdhsa_kernel _ZN2at6native12_GLOBAL__N_125multi_tensor_apply_kernelINS1_18TensorListMetadataILi2EEENS1_14UnaryOpFunctorIfLi2ELi1ELi1EEEJNS0_3ExpIfEEEEEvT_T0_DpT1_
		.amdhsa_group_segment_fixed_size 0
		.amdhsa_private_segment_fixed_size 0
		.amdhsa_kernarg_size 3408
		.amdhsa_user_sgpr_count 2
		.amdhsa_user_sgpr_dispatch_ptr 0
		.amdhsa_user_sgpr_queue_ptr 0
		.amdhsa_user_sgpr_kernarg_segment_ptr 1
		.amdhsa_user_sgpr_dispatch_id 0
		.amdhsa_user_sgpr_kernarg_preload_length 0
		.amdhsa_user_sgpr_kernarg_preload_offset 0
		.amdhsa_user_sgpr_private_segment_size 0
		.amdhsa_wavefront_size32 1
		.amdhsa_uses_dynamic_stack 0
		.amdhsa_enable_private_segment 0
		.amdhsa_system_sgpr_workgroup_id_x 1
		.amdhsa_system_sgpr_workgroup_id_y 0
		.amdhsa_system_sgpr_workgroup_id_z 0
		.amdhsa_system_sgpr_workgroup_info 0
		.amdhsa_system_vgpr_workitem_id 0
		.amdhsa_next_free_vgpr 35
		.amdhsa_next_free_sgpr 20
		.amdhsa_named_barrier_count 0
		.amdhsa_reserve_vcc 1
		.amdhsa_float_round_mode_32 0
		.amdhsa_float_round_mode_16_64 0
		.amdhsa_float_denorm_mode_32 3
		.amdhsa_float_denorm_mode_16_64 3
		.amdhsa_fp16_overflow 0
		.amdhsa_memory_ordered 1
		.amdhsa_forward_progress 1
		.amdhsa_inst_pref_size 15
		.amdhsa_round_robin_scheduling 0
		.amdhsa_exception_fp_ieee_invalid_op 0
		.amdhsa_exception_fp_denorm_src 0
		.amdhsa_exception_fp_ieee_div_zero 0
		.amdhsa_exception_fp_ieee_overflow 0
		.amdhsa_exception_fp_ieee_underflow 0
		.amdhsa_exception_fp_ieee_inexact 0
		.amdhsa_exception_int_div_zero 0
	.end_amdhsa_kernel
	.section	.text._ZN2at6native12_GLOBAL__N_125multi_tensor_apply_kernelINS1_18TensorListMetadataILi2EEENS1_14UnaryOpFunctorIfLi2ELi1ELi1EEEJNS0_3ExpIfEEEEEvT_T0_DpT1_,"axG",@progbits,_ZN2at6native12_GLOBAL__N_125multi_tensor_apply_kernelINS1_18TensorListMetadataILi2EEENS1_14UnaryOpFunctorIfLi2ELi1ELi1EEEJNS0_3ExpIfEEEEEvT_T0_DpT1_,comdat
.Lfunc_end130:
	.size	_ZN2at6native12_GLOBAL__N_125multi_tensor_apply_kernelINS1_18TensorListMetadataILi2EEENS1_14UnaryOpFunctorIfLi2ELi1ELi1EEEJNS0_3ExpIfEEEEEvT_T0_DpT1_, .Lfunc_end130-_ZN2at6native12_GLOBAL__N_125multi_tensor_apply_kernelINS1_18TensorListMetadataILi2EEENS1_14UnaryOpFunctorIfLi2ELi1ELi1EEEJNS0_3ExpIfEEEEEvT_T0_DpT1_
                                        ; -- End function
	.set _ZN2at6native12_GLOBAL__N_125multi_tensor_apply_kernelINS1_18TensorListMetadataILi2EEENS1_14UnaryOpFunctorIfLi2ELi1ELi1EEEJNS0_3ExpIfEEEEEvT_T0_DpT1_.num_vgpr, 35
	.set _ZN2at6native12_GLOBAL__N_125multi_tensor_apply_kernelINS1_18TensorListMetadataILi2EEENS1_14UnaryOpFunctorIfLi2ELi1ELi1EEEJNS0_3ExpIfEEEEEvT_T0_DpT1_.num_agpr, 0
	.set _ZN2at6native12_GLOBAL__N_125multi_tensor_apply_kernelINS1_18TensorListMetadataILi2EEENS1_14UnaryOpFunctorIfLi2ELi1ELi1EEEJNS0_3ExpIfEEEEEvT_T0_DpT1_.numbered_sgpr, 20
	.set _ZN2at6native12_GLOBAL__N_125multi_tensor_apply_kernelINS1_18TensorListMetadataILi2EEENS1_14UnaryOpFunctorIfLi2ELi1ELi1EEEJNS0_3ExpIfEEEEEvT_T0_DpT1_.num_named_barrier, 0
	.set _ZN2at6native12_GLOBAL__N_125multi_tensor_apply_kernelINS1_18TensorListMetadataILi2EEENS1_14UnaryOpFunctorIfLi2ELi1ELi1EEEJNS0_3ExpIfEEEEEvT_T0_DpT1_.private_seg_size, 0
	.set _ZN2at6native12_GLOBAL__N_125multi_tensor_apply_kernelINS1_18TensorListMetadataILi2EEENS1_14UnaryOpFunctorIfLi2ELi1ELi1EEEJNS0_3ExpIfEEEEEvT_T0_DpT1_.uses_vcc, 1
	.set _ZN2at6native12_GLOBAL__N_125multi_tensor_apply_kernelINS1_18TensorListMetadataILi2EEENS1_14UnaryOpFunctorIfLi2ELi1ELi1EEEJNS0_3ExpIfEEEEEvT_T0_DpT1_.uses_flat_scratch, 0
	.set _ZN2at6native12_GLOBAL__N_125multi_tensor_apply_kernelINS1_18TensorListMetadataILi2EEENS1_14UnaryOpFunctorIfLi2ELi1ELi1EEEJNS0_3ExpIfEEEEEvT_T0_DpT1_.has_dyn_sized_stack, 0
	.set _ZN2at6native12_GLOBAL__N_125multi_tensor_apply_kernelINS1_18TensorListMetadataILi2EEENS1_14UnaryOpFunctorIfLi2ELi1ELi1EEEJNS0_3ExpIfEEEEEvT_T0_DpT1_.has_recursion, 0
	.set _ZN2at6native12_GLOBAL__N_125multi_tensor_apply_kernelINS1_18TensorListMetadataILi2EEENS1_14UnaryOpFunctorIfLi2ELi1ELi1EEEJNS0_3ExpIfEEEEEvT_T0_DpT1_.has_indirect_call, 0
	.section	.AMDGPU.csdata,"",@progbits
; Kernel info:
; codeLenInByte = 1904
; TotalNumSgprs: 22
; NumVgprs: 35
; ScratchSize: 0
; MemoryBound: 0
; FloatMode: 240
; IeeeMode: 1
; LDSByteSize: 0 bytes/workgroup (compile time only)
; SGPRBlocks: 0
; VGPRBlocks: 2
; NumSGPRsForWavesPerEU: 22
; NumVGPRsForWavesPerEU: 35
; NamedBarCnt: 0
; Occupancy: 16
; WaveLimiterHint : 0
; COMPUTE_PGM_RSRC2:SCRATCH_EN: 0
; COMPUTE_PGM_RSRC2:USER_SGPR: 2
; COMPUTE_PGM_RSRC2:TRAP_HANDLER: 0
; COMPUTE_PGM_RSRC2:TGID_X_EN: 1
; COMPUTE_PGM_RSRC2:TGID_Y_EN: 0
; COMPUTE_PGM_RSRC2:TGID_Z_EN: 0
; COMPUTE_PGM_RSRC2:TIDIG_COMP_CNT: 0
	.section	.text._ZN2at6native12_GLOBAL__N_125multi_tensor_apply_kernelINS1_18TensorListMetadataILi2EEENS1_14UnaryOpFunctorIN3c107complexIdEELi2ELi1ELi1EEEJNS0_3ExpIS8_EEEEEvT_T0_DpT1_,"axG",@progbits,_ZN2at6native12_GLOBAL__N_125multi_tensor_apply_kernelINS1_18TensorListMetadataILi2EEENS1_14UnaryOpFunctorIN3c107complexIdEELi2ELi1ELi1EEEJNS0_3ExpIS8_EEEEEvT_T0_DpT1_,comdat
	.globl	_ZN2at6native12_GLOBAL__N_125multi_tensor_apply_kernelINS1_18TensorListMetadataILi2EEENS1_14UnaryOpFunctorIN3c107complexIdEELi2ELi1ELi1EEEJNS0_3ExpIS8_EEEEEvT_T0_DpT1_ ; -- Begin function _ZN2at6native12_GLOBAL__N_125multi_tensor_apply_kernelINS1_18TensorListMetadataILi2EEENS1_14UnaryOpFunctorIN3c107complexIdEELi2ELi1ELi1EEEJNS0_3ExpIS8_EEEEEvT_T0_DpT1_
	.p2align	8
	.type	_ZN2at6native12_GLOBAL__N_125multi_tensor_apply_kernelINS1_18TensorListMetadataILi2EEENS1_14UnaryOpFunctorIN3c107complexIdEELi2ELi1ELi1EEEJNS0_3ExpIS8_EEEEEvT_T0_DpT1_,@function
_ZN2at6native12_GLOBAL__N_125multi_tensor_apply_kernelINS1_18TensorListMetadataILi2EEENS1_14UnaryOpFunctorIN3c107complexIdEELi2ELi1ELi1EEEJNS0_3ExpIS8_EEEEEvT_T0_DpT1_: ; @_ZN2at6native12_GLOBAL__N_125multi_tensor_apply_kernelINS1_18TensorListMetadataILi2EEENS1_14UnaryOpFunctorIN3c107complexIdEELi2ELi1ELi1EEEJNS0_3ExpIS8_EEEEEvT_T0_DpT1_
; %bb.0:
	s_bfe_u32 s2, ttmp6, 0x4000c
	s_and_b32 s3, ttmp6, 15
	s_add_co_i32 s2, s2, 1
	s_getreg_b32 s4, hwreg(HW_REG_IB_STS2, 6, 4)
	s_mul_i32 s2, ttmp9, s2
	s_delay_alu instid0(SALU_CYCLE_1)
	s_add_co_i32 s3, s3, s2
	s_cmp_eq_u32 s4, 0
	s_cselect_b32 s2, ttmp9, s3
	s_mov_b32 s3, 0
	s_load_u8 s14, s[0:1], s2 offset:0x600
	s_add_nc_u64 s[4:5], s[0:1], s[2:3]
	s_mul_u64 s[6:7], s[2:3], 3
	s_delay_alu instid0(SALU_CYCLE_1)
	s_add_nc_u64 s[4:5], s[4:5], s[6:7]
	s_load_b32 s6, s[4:5], 0x740
	s_wait_kmcnt 0x0
	s_clause 0x2
	s_load_b64 s[8:9], s[0:1], s14 offset:0x0 scale_offset
	s_load_b64 s[10:11], s[0:1], s14 offset:0x200 scale_offset
	;; [unrolled: 1-line block ×3, first 2 shown]
	s_ashr_i32 s7, s6, 31
	s_delay_alu instid0(SALU_CYCLE_1)
	s_lshl_b64 s[4:5], s[6:7], 20
	s_lshl_b64 s[6:7], s[6:7], 16
	s_wait_kmcnt 0x0
	s_add_nc_u64 s[10:11], s[10:11], s[4:5]
	s_add_nc_u64 s[8:9], s[8:9], s[4:5]
	s_and_b32 s4, s12, 3
	s_and_b64 s[14:15], s[10:11], 63
	s_mov_b32 s5, s3
	s_and_b32 s2, s8, 63
	s_or_b64 s[4:5], s[14:15], s[4:5]
	s_sub_nc_u64 s[6:7], s[12:13], s[6:7]
	s_or_b64 s[2:3], s[4:5], s[2:3]
	s_delay_alu instid0(SALU_CYCLE_1)
	s_cmp_eq_u64 s[2:3], 0
	s_mov_b32 s2, -1
	s_cbranch_scc0 .LBB131_181
; %bb.1:
	v_min_i64 v[22:23], 0x10000, s[6:7]
	v_dual_mov_b32 v24, 0 :: v_dual_lshlrev_b32 v2, 2, v0
	s_mov_b32 s26, exec_lo
	s_delay_alu instid0(VALU_DEP_1) | instskip(NEXT) | instid1(VALU_DEP_1)
	v_mov_b32_e32 v3, v24
	v_cmpx_lt_i64_e64 v[2:3], v[22:23]
	s_cbranch_execz .LBB131_180
; %bb.2:
	s_load_b32 s2, s[0:1], 0xc5c
	v_dual_mov_b32 v1, v24 :: v_dual_lshlrev_b32 v26, 6, v0
	v_mov_b64_e32 v[28:29], 0x3e928af3fca7ab0c
	v_mov_b64_e32 v[30:31], 0x3e21eeb69037ab78
	;; [unrolled: 1-line block ×3, first 2 shown]
	s_delay_alu instid0(VALU_DEP_4)
	v_mov_b64_e32 v[34:35], v[0:1]
	v_mov_b32_e32 v27, v24
	s_mov_b32 s13, 0
	s_mov_b64 s[14:15], 0x3ff921fb54442d18
	s_mov_b64 s[16:17], 0x3fe45f306dc9c883
	;; [unrolled: 1-line block ×3, first 2 shown]
	s_mov_b32 s27, 0xfffff
	s_mov_b64 s[20:21], s[8:9]
	s_mov_b32 s23, s13
	s_mov_b32 s28, s13
	s_mov_b64 s[24:25], s[10:11]
                                        ; implicit-def: $vgpr2_vgpr3
                                        ; implicit-def: $vgpr2_vgpr3
	;; [unrolled: 1-line block ×15, first 2 shown]
	s_wait_kmcnt 0x0
	s_and_b32 s12, s2, 0xffff
	s_delay_alu instid0(SALU_CYCLE_1)
	s_lshl_b32 s22, s12, 6
	s_branch .LBB131_4
.LBB131_3:                              ;   in Loop: Header=BB131_4 Depth=1
	s_or_b32 exec_lo, exec_lo, s3
	v_add_nc_u64_e32 v[34:35], s[12:13], v[34:35]
	v_add_nc_u64_e32 v[4:5], s[24:25], v[26:27]
	s_add_nc_u64 s[24:25], s[24:25], s[22:23]
	s_add_nc_u64 s[20:21], s[20:21], s[22:23]
	s_clause 0x1
	global_store_b128 v[4:5], v[6:9], off
	global_store_b128 v[4:5], v[14:17], off offset:16
	v_lshlrev_b64_e32 v[2:3], 2, v[34:35]
	s_clause 0x1
	global_store_b128 v[4:5], v[18:21], off offset:32
	global_store_b128 v[4:5], v[10:13], off offset:48
	v_cmp_ge_i64_e32 vcc_lo, v[2:3], v[22:23]
	s_or_b32 s28, vcc_lo, s28
	s_wait_xcnt 0x0
	s_and_not1_b32 exec_lo, exec_lo, s28
	s_cbranch_execz .LBB131_180
.LBB131_4:                              ; =>This Inner Loop Header: Depth=1
	v_add_nc_u64_e32 v[6:7], s[20:21], v[26:27]
	s_mov_b32 s2, exec_lo
	s_clause 0x3
	global_load_b128 v[14:17], v[6:7], off
	global_load_b128 v[18:21], v[6:7], off offset:16
	global_load_b128 v[2:5], v[6:7], off offset:48
	;; [unrolled: 1-line block ×3, first 2 shown]
                                        ; implicit-def: $vgpr8_vgpr9
	s_wait_loadcnt 0x3
	s_wait_xcnt 0x0
	v_and_b32_e32 v6, 0x7fffffff, v17
	s_delay_alu instid0(VALU_DEP_1) | instskip(NEXT) | instid1(VALU_DEP_1)
	v_or_b32_e32 v1, v6, v16
	v_cmpx_ne_u32_e32 0, v1
	s_xor_b32 s29, exec_lo, s2
	s_cbranch_execz .LBB131_46
; %bb.5:                                ;   in Loop: Header=BB131_4 Depth=1
	v_and_b32_e32 v1, 0x7fffffff, v15
	s_delay_alu instid0(VALU_DEP_1) | instskip(NEXT) | instid1(VALU_DEP_1)
	v_or_b32_e32 v7, v1, v14
	v_cmp_ne_u32_e32 vcc_lo, 0, v7
                                        ; implicit-def: $vgpr8_vgpr9
	s_and_saveexec_b32 s2, vcc_lo
	s_delay_alu instid0(SALU_CYCLE_1)
	s_xor_b32 s30, exec_lo, s2
	s_cbranch_execz .LBB131_35
; %bb.6:                                ;   in Loop: Header=BB131_4 Depth=1
	v_cmp_gt_u32_e32 vcc_lo, 0x7ff00000, v6
                                        ; implicit-def: $vgpr8_vgpr9
	s_and_saveexec_b32 s2, vcc_lo
	s_delay_alu instid0(SALU_CYCLE_1)
	s_xor_b32 s31, exec_lo, s2
	s_cbranch_execz .LBB131_28
; %bb.7:                                ;   in Loop: Header=BB131_4 Depth=1
	v_add_nc_u32_e32 v1, 0xbf79d1be, v15
                                        ; implicit-def: $vgpr8_vgpr9
	s_mov_b32 s2, exec_lo
	s_delay_alu instid0(VALU_DEP_1)
	v_cmpx_lt_u32_e32 0x108aa2, v1
	s_xor_b32 s33, exec_lo, s2
	s_cbranch_execz .LBB131_17
; %bb.8:                                ;   in Loop: Header=BB131_4 Depth=1
	v_cmp_ngt_f64_e64 s2, 0x41d00000, |v[16:17]|
                                        ; implicit-def: $vgpr1
                                        ; implicit-def: $vgpr6_vgpr7
                                        ; implicit-def: $vgpr8_vgpr9
	s_and_saveexec_b32 s3, s2
	s_delay_alu instid0(SALU_CYCLE_1)
	s_xor_b32 s3, exec_lo, s3
	s_cbranch_execz .LBB131_10
; %bb.9:                                ;   in Loop: Header=BB131_4 Depth=1
	v_ldexp_f64 v[6:7], |v[16:17]|, 0xffffff80
	v_cmp_le_f64_e64 vcc_lo, 0x7b000000, |v[16:17]|
	v_trig_preop_f64 v[8:9], |v[16:17]|, 0
	v_and_b32_e32 v1, 0x7fffffff, v17
	v_trig_preop_f64 v[36:37], |v[16:17]|, 1
	v_trig_preop_f64 v[46:47], |v[16:17]|, 2
	s_delay_alu instid0(VALU_DEP_3) | instskip(NEXT) | instid1(VALU_DEP_1)
	v_dual_cndmask_b32 v7, v1, v7 :: v_dual_cndmask_b32 v6, v16, v6
	v_mul_f64_e32 v[38:39], v[8:9], v[6:7]
	s_delay_alu instid0(VALU_DEP_4) | instskip(NEXT) | instid1(VALU_DEP_4)
	v_mul_f64_e32 v[40:41], v[36:37], v[6:7]
	v_mul_f64_e32 v[52:53], v[46:47], v[6:7]
	s_delay_alu instid0(VALU_DEP_3) | instskip(NEXT) | instid1(VALU_DEP_3)
	v_fma_f64 v[8:9], v[8:9], v[6:7], -v[38:39]
	v_fma_f64 v[36:37], v[36:37], v[6:7], -v[40:41]
	s_delay_alu instid0(VALU_DEP_3) | instskip(NEXT) | instid1(VALU_DEP_3)
	v_fma_f64 v[6:7], v[46:47], v[6:7], -v[52:53]
	v_add_f64_e32 v[42:43], v[40:41], v[8:9]
	s_delay_alu instid0(VALU_DEP_1) | instskip(SKIP_1) | instid1(VALU_DEP_2)
	v_add_f64_e64 v[44:45], v[42:43], -v[40:41]
	v_add_f64_e32 v[50:51], v[38:39], v[42:43]
	v_add_f64_e64 v[48:49], v[42:43], -v[44:45]
	v_add_f64_e64 v[8:9], v[8:9], -v[44:45]
	s_delay_alu instid0(VALU_DEP_3) | instskip(NEXT) | instid1(VALU_DEP_3)
	v_ldexp_f64 v[44:45], v[50:51], -2
	v_add_f64_e64 v[40:41], v[40:41], -v[48:49]
	v_add_f64_e32 v[48:49], v[52:53], v[36:37]
	s_delay_alu instid0(VALU_DEP_3) | instskip(NEXT) | instid1(VALU_DEP_3)
	v_cmp_neq_f64_e64 vcc_lo, 0x7ff00000, |v[44:45]|
	v_add_f64_e32 v[8:9], v[8:9], v[40:41]
	v_fract_f64_e32 v[40:41], v[44:45]
	s_delay_alu instid0(VALU_DEP_1) | instskip(NEXT) | instid1(VALU_DEP_1)
	v_ldexp_f64 v[40:41], v[40:41], 2
	v_dual_add_f64 v[38:39], v[50:51], -v[38:39] :: v_dual_cndmask_b32 v41, 0, v41, vcc_lo
	s_delay_alu instid0(VALU_DEP_1) | instskip(SKIP_1) | instid1(VALU_DEP_1)
	v_dual_add_f64 v[38:39], v[42:43], -v[38:39] :: v_dual_cndmask_b32 v40, 0, v40, vcc_lo
	v_add_f64_e32 v[42:43], v[48:49], v[8:9]
	v_add_f64_e32 v[44:45], v[38:39], v[42:43]
	v_add_f64_e64 v[54:55], v[42:43], -v[48:49]
	s_delay_alu instid0(VALU_DEP_2) | instskip(NEXT) | instid1(VALU_DEP_2)
	v_add_f64_e32 v[50:51], v[44:45], v[40:41]
	v_add_f64_e64 v[60:61], v[42:43], -v[54:55]
	v_add_f64_e64 v[8:9], v[8:9], -v[54:55]
	;; [unrolled: 1-line block ×3, first 2 shown]
	s_delay_alu instid0(VALU_DEP_4) | instskip(SKIP_1) | instid1(VALU_DEP_3)
	v_cmp_gt_f64_e32 vcc_lo, 0, v[50:51]
	v_add_f64_e64 v[50:51], v[48:49], -v[52:53]
	v_add_f64_e64 v[38:39], v[42:43], -v[38:39]
	v_cndmask_b32_e64 v25, 0, 0x40100000, vcc_lo
	s_delay_alu instid0(VALU_DEP_3) | instskip(SKIP_2) | instid1(VALU_DEP_4)
	v_add_f64_e64 v[58:59], v[48:49], -v[50:51]
	v_add_f64_e64 v[36:37], v[36:37], -v[50:51]
	;; [unrolled: 1-line block ×3, first 2 shown]
	v_add_f64_e32 v[40:41], v[40:41], v[24:25]
	s_delay_alu instid0(VALU_DEP_4) | instskip(NEXT) | instid1(VALU_DEP_3)
	v_add_f64_e64 v[50:51], v[52:53], -v[58:59]
	v_add_f64_e32 v[8:9], v[8:9], v[48:49]
	s_delay_alu instid0(VALU_DEP_3) | instskip(NEXT) | instid1(VALU_DEP_3)
	v_add_f64_e32 v[56:57], v[44:45], v[40:41]
	v_add_f64_e32 v[36:37], v[36:37], v[50:51]
	s_delay_alu instid0(VALU_DEP_2) | instskip(NEXT) | instid1(VALU_DEP_2)
	v_cvt_i32_f64_e32 v1, v[56:57]
	v_add_f64_e32 v[8:9], v[36:37], v[8:9]
	s_delay_alu instid0(VALU_DEP_2) | instskip(NEXT) | instid1(VALU_DEP_2)
	v_cvt_f64_i32_e32 v[54:55], v1
	v_add_f64_e32 v[6:7], v[6:7], v[8:9]
	s_delay_alu instid0(VALU_DEP_2) | instskip(NEXT) | instid1(VALU_DEP_2)
	v_add_f64_e64 v[40:41], v[40:41], -v[54:55]
	v_add_f64_e32 v[6:7], v[38:39], v[6:7]
	s_delay_alu instid0(VALU_DEP_2) | instskip(NEXT) | instid1(VALU_DEP_1)
	v_add_f64_e32 v[36:37], v[44:45], v[40:41]
	v_add_f64_e64 v[8:9], v[36:37], -v[40:41]
	v_cmp_le_f64_e32 vcc_lo, 0.5, v[36:37]
	s_delay_alu instid0(VALU_DEP_2) | instskip(SKIP_2) | instid1(VALU_DEP_3)
	v_add_f64_e64 v[8:9], v[44:45], -v[8:9]
	v_cndmask_b32_e64 v25, 0, 0x3ff00000, vcc_lo
	v_add_co_ci_u32_e64 v1, null, 0, v1, vcc_lo
	v_add_f64_e32 v[6:7], v[6:7], v[8:9]
	s_delay_alu instid0(VALU_DEP_3) | instskip(NEXT) | instid1(VALU_DEP_1)
	v_add_f64_e64 v[8:9], v[36:37], -v[24:25]
	v_add_f64_e32 v[36:37], v[8:9], v[6:7]
	s_delay_alu instid0(VALU_DEP_1) | instskip(SKIP_1) | instid1(VALU_DEP_2)
	v_mul_f64_e32 v[38:39], 0x3ff921fb54442d18, v[36:37]
	v_add_f64_e64 v[8:9], v[36:37], -v[8:9]
	v_fma_f64 v[40:41], v[36:37], s[14:15], -v[38:39]
	s_delay_alu instid0(VALU_DEP_2) | instskip(NEXT) | instid1(VALU_DEP_2)
	v_add_f64_e64 v[6:7], v[6:7], -v[8:9]
	v_fmac_f64_e32 v[40:41], 0x3c91a62633145c07, v[36:37]
	s_delay_alu instid0(VALU_DEP_1) | instskip(NEXT) | instid1(VALU_DEP_1)
	v_fmac_f64_e32 v[40:41], 0x3ff921fb54442d18, v[6:7]
	v_add_f64_e32 v[6:7], v[38:39], v[40:41]
	s_delay_alu instid0(VALU_DEP_1) | instskip(NEXT) | instid1(VALU_DEP_1)
	v_add_f64_e64 v[8:9], v[6:7], -v[38:39]
	v_add_f64_e64 v[8:9], v[40:41], -v[8:9]
	s_and_not1_saveexec_b32 s3, s3
	s_cbranch_execz .LBB131_12
	s_branch .LBB131_11
.LBB131_10:                             ;   in Loop: Header=BB131_4 Depth=1
	s_and_not1_saveexec_b32 s3, s3
	s_cbranch_execz .LBB131_12
.LBB131_11:                             ;   in Loop: Header=BB131_4 Depth=1
	v_mul_f64_e64 v[6:7], |v[16:17]|, s[16:17]
	s_delay_alu instid0(VALU_DEP_1) | instskip(NEXT) | instid1(VALU_DEP_1)
	v_rndne_f64_e32 v[36:37], v[6:7]
	v_fma_f64 v[6:7], v[36:37], s[18:19], |v[16:17]|
	v_mul_f64_e32 v[8:9], 0xbc91a62633145c00, v[36:37]
	v_cvt_i32_f64_e32 v1, v[36:37]
	s_delay_alu instid0(VALU_DEP_3) | instskip(NEXT) | instid1(VALU_DEP_3)
	v_fmamk_f64 v[42:43], v[36:37], 0xbc91a62633145c00, v[6:7]
	v_add_f64_e32 v[38:39], v[6:7], v[8:9]
	s_delay_alu instid0(VALU_DEP_1) | instskip(NEXT) | instid1(VALU_DEP_3)
	v_add_f64_e64 v[40:41], v[6:7], -v[38:39]
	v_add_f64_e64 v[6:7], v[38:39], -v[42:43]
	s_delay_alu instid0(VALU_DEP_2) | instskip(SKIP_1) | instid1(VALU_DEP_2)
	v_add_f64_e32 v[38:39], v[40:41], v[8:9]
	v_fmamk_f64 v[8:9], v[36:37], 0x3c91a62633145c00, v[8:9]
	v_add_f64_e32 v[6:7], v[6:7], v[38:39]
	s_delay_alu instid0(VALU_DEP_1) | instskip(NEXT) | instid1(VALU_DEP_1)
	v_add_f64_e64 v[8:9], v[6:7], -v[8:9]
	v_fmac_f64_e32 v[8:9], 0xb97b839a252049c0, v[36:37]
	s_delay_alu instid0(VALU_DEP_1) | instskip(NEXT) | instid1(VALU_DEP_1)
	v_add_f64_e32 v[6:7], v[42:43], v[8:9]
	v_add_f64_e64 v[38:39], v[6:7], -v[42:43]
	s_delay_alu instid0(VALU_DEP_1)
	v_add_f64_e64 v[8:9], v[8:9], -v[38:39]
.LBB131_12:                             ;   in Loop: Header=BB131_4 Depth=1
	s_or_b32 exec_lo, exec_lo, s3
                                        ; implicit-def: $vgpr40
                                        ; implicit-def: $vgpr36_vgpr37
                                        ; implicit-def: $vgpr38_vgpr39
	s_and_saveexec_b32 s3, s2
	s_delay_alu instid0(SALU_CYCLE_1)
	s_xor_b32 s2, exec_lo, s3
	s_cbranch_execz .LBB131_14
; %bb.13:                               ;   in Loop: Header=BB131_4 Depth=1
	v_ldexp_f64 v[36:37], |v[16:17]|, 0xffffff80
	v_cmp_le_f64_e64 vcc_lo, 0x7b000000, |v[16:17]|
	v_trig_preop_f64 v[38:39], |v[16:17]|, 0
	v_and_b32_e32 v25, 0x7fffffff, v17
	v_trig_preop_f64 v[40:41], |v[16:17]|, 1
	v_trig_preop_f64 v[50:51], |v[16:17]|, 2
	s_delay_alu instid0(VALU_DEP_3) | instskip(NEXT) | instid1(VALU_DEP_1)
	v_dual_cndmask_b32 v37, v25, v37 :: v_dual_cndmask_b32 v36, v16, v36
	v_mul_f64_e32 v[42:43], v[38:39], v[36:37]
	s_delay_alu instid0(VALU_DEP_4) | instskip(NEXT) | instid1(VALU_DEP_4)
	v_mul_f64_e32 v[44:45], v[40:41], v[36:37]
	v_mul_f64_e32 v[56:57], v[50:51], v[36:37]
	s_delay_alu instid0(VALU_DEP_3) | instskip(NEXT) | instid1(VALU_DEP_3)
	v_fma_f64 v[38:39], v[38:39], v[36:37], -v[42:43]
	v_fma_f64 v[40:41], v[40:41], v[36:37], -v[44:45]
	s_delay_alu instid0(VALU_DEP_3) | instskip(NEXT) | instid1(VALU_DEP_3)
	v_fma_f64 v[36:37], v[50:51], v[36:37], -v[56:57]
	v_add_f64_e32 v[46:47], v[44:45], v[38:39]
	s_delay_alu instid0(VALU_DEP_1) | instskip(SKIP_1) | instid1(VALU_DEP_2)
	v_add_f64_e64 v[48:49], v[46:47], -v[44:45]
	v_add_f64_e32 v[54:55], v[42:43], v[46:47]
	v_add_f64_e64 v[52:53], v[46:47], -v[48:49]
	v_add_f64_e64 v[38:39], v[38:39], -v[48:49]
	s_delay_alu instid0(VALU_DEP_3) | instskip(NEXT) | instid1(VALU_DEP_3)
	v_ldexp_f64 v[48:49], v[54:55], -2
	v_add_f64_e64 v[44:45], v[44:45], -v[52:53]
	v_add_f64_e32 v[52:53], v[56:57], v[40:41]
	s_delay_alu instid0(VALU_DEP_3) | instskip(NEXT) | instid1(VALU_DEP_3)
	v_cmp_neq_f64_e64 vcc_lo, 0x7ff00000, |v[48:49]|
	v_add_f64_e32 v[38:39], v[38:39], v[44:45]
	v_fract_f64_e32 v[44:45], v[48:49]
	s_delay_alu instid0(VALU_DEP_1) | instskip(NEXT) | instid1(VALU_DEP_1)
	v_ldexp_f64 v[44:45], v[44:45], 2
	v_dual_add_f64 v[42:43], v[54:55], -v[42:43] :: v_dual_cndmask_b32 v44, 0, v44, vcc_lo
	s_delay_alu instid0(VALU_DEP_1) | instskip(SKIP_1) | instid1(VALU_DEP_1)
	v_dual_add_f64 v[42:43], v[46:47], -v[42:43] :: v_dual_cndmask_b32 v45, 0, v45, vcc_lo
	v_add_f64_e32 v[46:47], v[52:53], v[38:39]
	v_add_f64_e32 v[48:49], v[42:43], v[46:47]
	v_add_f64_e64 v[58:59], v[46:47], -v[52:53]
	s_delay_alu instid0(VALU_DEP_2) | instskip(NEXT) | instid1(VALU_DEP_2)
	v_add_f64_e32 v[54:55], v[48:49], v[44:45]
	v_add_f64_e64 v[64:65], v[46:47], -v[58:59]
	v_add_f64_e64 v[38:39], v[38:39], -v[58:59]
	;; [unrolled: 1-line block ×3, first 2 shown]
	s_delay_alu instid0(VALU_DEP_4) | instskip(SKIP_2) | instid1(VALU_DEP_2)
	v_cmp_gt_f64_e32 vcc_lo, 0, v[54:55]
	v_add_f64_e64 v[54:55], v[52:53], -v[56:57]
	v_cndmask_b32_e64 v25, 0, 0x40100000, vcc_lo
	v_add_f64_e64 v[62:63], v[52:53], -v[54:55]
	v_add_f64_e64 v[40:41], v[40:41], -v[54:55]
	;; [unrolled: 1-line block ×3, first 2 shown]
	s_delay_alu instid0(VALU_DEP_4) | instskip(NEXT) | instid1(VALU_DEP_4)
	v_add_f64_e32 v[44:45], v[44:45], v[24:25]
	v_add_f64_e64 v[54:55], v[56:57], -v[62:63]
	s_delay_alu instid0(VALU_DEP_3) | instskip(NEXT) | instid1(VALU_DEP_3)
	v_add_f64_e32 v[38:39], v[38:39], v[52:53]
	v_add_f64_e32 v[60:61], v[48:49], v[44:45]
	s_delay_alu instid0(VALU_DEP_3) | instskip(NEXT) | instid1(VALU_DEP_2)
	v_add_f64_e32 v[40:41], v[40:41], v[54:55]
	v_cvt_i32_f64_e32 v25, v[60:61]
	s_delay_alu instid0(VALU_DEP_2) | instskip(SKIP_1) | instid1(VALU_DEP_3)
	v_add_f64_e32 v[38:39], v[40:41], v[38:39]
	v_add_f64_e64 v[40:41], v[46:47], -v[42:43]
	v_cvt_f64_i32_e32 v[58:59], v25
	s_delay_alu instid0(VALU_DEP_3) | instskip(NEXT) | instid1(VALU_DEP_2)
	v_add_f64_e32 v[36:37], v[36:37], v[38:39]
	v_add_f64_e64 v[44:45], v[44:45], -v[58:59]
	s_delay_alu instid0(VALU_DEP_2) | instskip(NEXT) | instid1(VALU_DEP_2)
	v_add_f64_e32 v[36:37], v[40:41], v[36:37]
	v_add_f64_e32 v[50:51], v[48:49], v[44:45]
	s_delay_alu instid0(VALU_DEP_1) | instskip(SKIP_1) | instid1(VALU_DEP_2)
	v_add_f64_e64 v[38:39], v[50:51], -v[44:45]
	v_cmp_le_f64_e32 vcc_lo, 0.5, v[50:51]
	v_add_f64_e64 v[38:39], v[48:49], -v[38:39]
	v_add_co_ci_u32_e64 v40, null, 0, v25, vcc_lo
	v_cndmask_b32_e64 v25, 0, 0x3ff00000, vcc_lo
	s_delay_alu instid0(VALU_DEP_3) | instskip(NEXT) | instid1(VALU_DEP_2)
	v_add_f64_e32 v[36:37], v[36:37], v[38:39]
	v_add_f64_e64 v[38:39], v[50:51], -v[24:25]
	s_delay_alu instid0(VALU_DEP_1) | instskip(NEXT) | instid1(VALU_DEP_1)
	v_add_f64_e32 v[42:43], v[38:39], v[36:37]
	v_mul_f64_e32 v[44:45], 0x3ff921fb54442d18, v[42:43]
	v_add_f64_e64 v[38:39], v[42:43], -v[38:39]
	s_delay_alu instid0(VALU_DEP_2) | instskip(NEXT) | instid1(VALU_DEP_2)
	v_fma_f64 v[46:47], v[42:43], s[14:15], -v[44:45]
	v_add_f64_e64 v[36:37], v[36:37], -v[38:39]
	s_delay_alu instid0(VALU_DEP_2) | instskip(NEXT) | instid1(VALU_DEP_1)
	v_fmac_f64_e32 v[46:47], 0x3c91a62633145c07, v[42:43]
	v_fmac_f64_e32 v[46:47], 0x3ff921fb54442d18, v[36:37]
	s_delay_alu instid0(VALU_DEP_1) | instskip(NEXT) | instid1(VALU_DEP_1)
	v_add_f64_e32 v[36:37], v[44:45], v[46:47]
	v_add_f64_e64 v[38:39], v[36:37], -v[44:45]
	s_delay_alu instid0(VALU_DEP_1)
	v_add_f64_e64 v[38:39], v[46:47], -v[38:39]
	s_and_not1_saveexec_b32 s2, s2
	s_cbranch_execnz .LBB131_15
	s_branch .LBB131_16
.LBB131_14:                             ;   in Loop: Header=BB131_4 Depth=1
	s_and_not1_saveexec_b32 s2, s2
	s_cbranch_execz .LBB131_16
.LBB131_15:                             ;   in Loop: Header=BB131_4 Depth=1
	v_mul_f64_e64 v[36:37], |v[16:17]|, s[16:17]
	s_delay_alu instid0(VALU_DEP_1) | instskip(NEXT) | instid1(VALU_DEP_1)
	v_rndne_f64_e32 v[40:41], v[36:37]
	v_fma_f64 v[36:37], v[40:41], s[18:19], |v[16:17]|
	v_mul_f64_e32 v[38:39], 0xbc91a62633145c00, v[40:41]
	s_delay_alu instid0(VALU_DEP_2) | instskip(NEXT) | instid1(VALU_DEP_2)
	v_fmamk_f64 v[46:47], v[40:41], 0xbc91a62633145c00, v[36:37]
	v_add_f64_e32 v[42:43], v[36:37], v[38:39]
	s_delay_alu instid0(VALU_DEP_1) | instskip(NEXT) | instid1(VALU_DEP_3)
	v_add_f64_e64 v[44:45], v[36:37], -v[42:43]
	v_add_f64_e64 v[36:37], v[42:43], -v[46:47]
	s_delay_alu instid0(VALU_DEP_2) | instskip(SKIP_1) | instid1(VALU_DEP_2)
	v_add_f64_e32 v[42:43], v[44:45], v[38:39]
	v_fmamk_f64 v[38:39], v[40:41], 0x3c91a62633145c00, v[38:39]
	v_add_f64_e32 v[36:37], v[36:37], v[42:43]
	s_delay_alu instid0(VALU_DEP_1) | instskip(NEXT) | instid1(VALU_DEP_1)
	v_add_f64_e64 v[38:39], v[36:37], -v[38:39]
	v_fmac_f64_e32 v[38:39], 0xb97b839a252049c0, v[40:41]
	v_cvt_i32_f64_e32 v40, v[40:41]
	s_delay_alu instid0(VALU_DEP_2) | instskip(NEXT) | instid1(VALU_DEP_1)
	v_add_f64_e32 v[36:37], v[46:47], v[38:39]
	v_add_f64_e64 v[42:43], v[36:37], -v[46:47]
	s_delay_alu instid0(VALU_DEP_1)
	v_add_f64_e64 v[38:39], v[38:39], -v[42:43]
.LBB131_16:                             ;   in Loop: Header=BB131_4 Depth=1
	s_or_b32 exec_lo, exec_lo, s2
	v_mul_f64_e32 v[42:43], 0x3ff71547652b82fe, v[14:15]
	v_mul_f64_e32 v[44:45], v[6:7], v[6:7]
	v_cmp_class_f64_e64 s2, v[16:17], 0x1f8
	v_mul_f64_e32 v[46:47], v[36:37], v[36:37]
	v_cmp_nlt_f64_e64 s3, 0x40900000, v[14:15]
	v_cmp_ngt_f64_e64 s4, 0xc090cc00, v[14:15]
	v_rndne_f64_e32 v[42:43], v[42:43]
	v_mul_f64_e32 v[48:49], 0.5, v[44:45]
	v_mul_f64_e64 v[70:71], v[36:37], -v[46:47]
	v_fmamk_f64 v[74:75], v[46:47], 0x3de5e0b2f9a43bb8, v[32:33]
	s_delay_alu instid0(VALU_DEP_4) | instskip(NEXT) | instid1(VALU_DEP_4)
	v_fmamk_f64 v[52:53], v[42:43], 0xbfe62e42fefa39ef, v[14:15]
	v_add_f64_e64 v[54:55], -v[48:49], 1.0
	v_cvt_i32_f64_e32 v25, v[42:43]
	v_dual_lshlrev_b32 v15, 30, v40 :: v_dual_bitop2_b32 v14, 1, v40 bitop3:0x40
	s_delay_alu instid0(VALU_DEP_4) | instskip(NEXT) | instid1(VALU_DEP_2)
	v_fmac_f64_e32 v[52:53], 0xbc7abc9e3b39803f, v[42:43]
	v_cmp_eq_u32_e64 s5, 0, v14
	v_add_f64_e64 v[62:63], -v[54:55], 1.0
	s_delay_alu instid0(VALU_DEP_3) | instskip(NEXT) | instid1(VALU_DEP_1)
	v_fmamk_f64 v[66:67], v[52:53], 0x3e5ade156a5dcb37, v[28:29]
	v_fmaak_f64 v[66:67], v[52:53], v[66:67], 0x3ec71dee623fde64
	s_delay_alu instid0(VALU_DEP_1) | instskip(NEXT) | instid1(VALU_DEP_1)
	v_fmaak_f64 v[66:67], v[52:53], v[66:67], 0x3efa01997c89e6b0
	v_fmaak_f64 v[66:67], v[52:53], v[66:67], 0x3f2a01a014761f6e
	v_add_f64_e64 v[48:49], v[62:63], -v[48:49]
	s_delay_alu instid0(VALU_DEP_2) | instskip(NEXT) | instid1(VALU_DEP_1)
	v_fmaak_f64 v[62:63], v[52:53], v[66:67], 0x3f56c16c1852b7b0
	v_fmaak_f64 v[62:63], v[52:53], v[62:63], 0x3f81111111122322
	s_delay_alu instid0(VALU_DEP_1) | instskip(NEXT) | instid1(VALU_DEP_1)
	v_fmaak_f64 v[62:63], v[52:53], v[62:63], 0x3fa55555555502a1
	v_fmaak_f64 v[62:63], v[52:53], v[62:63], 0x3fc5555555555511
	s_delay_alu instid0(VALU_DEP_1) | instskip(NEXT) | instid1(VALU_DEP_1)
	v_fmaak_f64 v[62:63], v[52:53], v[62:63], 0x3fe000000000000b
	v_fma_f64 v[62:63], v[52:53], v[62:63], 1.0
	s_delay_alu instid0(VALU_DEP_1) | instskip(NEXT) | instid1(VALU_DEP_1)
	v_fma_f64 v[42:43], v[52:53], v[62:63], 1.0
	v_ldexp_f64 v[42:43], v[42:43], v25
	v_mul_f64_e32 v[58:59], 0.5, v[8:9]
	v_and_b32_e32 v25, 1, v1
	v_mul_f64_e64 v[60:61], v[6:7], -v[44:45]
	v_fmamk_f64 v[64:65], v[44:45], 0x3de5e0b2f9a43bb8, v[32:33]
	v_mul_f64_e32 v[66:67], v[44:45], v[44:45]
	v_lshlrev_b32_e32 v1, 30, v1
	v_cmp_eq_u32_e32 vcc_lo, 0, v25
	s_delay_alu instid0(VALU_DEP_4) | instskip(NEXT) | instid1(VALU_DEP_1)
	v_fmaak_f64 v[64:65], v[44:45], v[64:65], 0x3ec71de3796cde01
	v_fmaak_f64 v[64:65], v[44:45], v[64:65], 0xbf2a01a019e83e5c
	s_delay_alu instid0(VALU_DEP_1) | instskip(NEXT) | instid1(VALU_DEP_1)
	v_fmaak_f64 v[64:65], v[44:45], v[64:65], 0x3f81111111110bb3
	v_fmac_f64_e32 v[58:59], v[60:61], v[64:65]
	v_fmaak_f64 v[64:65], v[46:47], v[74:75], 0x3ec71de3796cde01
	s_delay_alu instid0(VALU_DEP_1) | instskip(NEXT) | instid1(VALU_DEP_1)
	v_fmaak_f64 v[64:65], v[46:47], v[64:65], 0xbf2a01a019e83e5c
	v_fmaak_f64 v[64:65], v[46:47], v[64:65], 0x3f81111111110bb3
	s_delay_alu instid0(VALU_DEP_4) | instskip(SKIP_1) | instid1(VALU_DEP_2)
	v_fma_f64 v[58:59], v[44:45], v[58:59], -v[8:9]
	v_fma_f64 v[8:9], v[6:7], -v[8:9], v[48:49]
	v_fmac_f64_e32 v[58:59], 0xbfc5555555555555, v[60:61]
	s_delay_alu instid0(VALU_DEP_1) | instskip(SKIP_1) | instid1(VALU_DEP_2)
	v_add_f64_e64 v[6:7], v[6:7], -v[58:59]
	v_mul_f64_e32 v[68:69], 0.5, v[38:39]
	v_xor_b32_e32 v7, 0x80000000, v7
	s_delay_alu instid0(VALU_DEP_2) | instskip(SKIP_1) | instid1(VALU_DEP_1)
	v_fmac_f64_e32 v[68:69], v[70:71], v[64:65]
	v_fmamk_f64 v[64:65], v[44:45], 0xbda907db46cc5e42, v[30:31]
	v_fmaak_f64 v[48:49], v[44:45], v[64:65], 0xbe927e4fa17f65f6
	s_delay_alu instid0(VALU_DEP_1) | instskip(NEXT) | instid1(VALU_DEP_1)
	v_fmaak_f64 v[48:49], v[44:45], v[48:49], 0x3efa01a019f4ec90
	v_fmaak_f64 v[48:49], v[44:45], v[48:49], 0xbf56c16c16c16967
	s_delay_alu instid0(VALU_DEP_1) | instskip(NEXT) | instid1(VALU_DEP_1)
	v_fmaak_f64 v[44:45], v[44:45], v[48:49], 0x3fa5555555555555
	v_fmac_f64_e32 v[8:9], v[66:67], v[44:45]
	s_delay_alu instid0(VALU_DEP_1) | instskip(NEXT) | instid1(VALU_DEP_1)
	v_add_f64_e32 v[8:9], v[54:55], v[8:9]
	v_cndmask_b32_e32 v6, v6, v8, vcc_lo
	v_cndmask_b32_e64 v8, 0x7ff00000, v43, s3
	s_delay_alu instid0(VALU_DEP_3) | instskip(SKIP_1) | instid1(VALU_DEP_3)
	v_cndmask_b32_e32 v7, v7, v9, vcc_lo
	s_and_b32 vcc_lo, s4, s3
	v_dual_cndmask_b32 v6, 0, v6, s2 :: v_dual_bitop2_b32 v9, v15, v17 bitop3:0x14
	v_mul_f64_e32 v[50:51], 0.5, v[46:47]
	v_mul_f64_e32 v[64:65], v[46:47], v[46:47]
	v_fma_f64 v[48:49], v[46:47], v[68:69], -v[38:39]
	v_bitop3_b32 v1, v7, v1, 0x80000000 bitop3:0x78
	s_delay_alu instid0(VALU_DEP_1) | instskip(SKIP_1) | instid1(VALU_DEP_4)
	v_cndmask_b32_e64 v7, 0x7ff80000, v1, s2
	v_add_f64_e64 v[56:57], -v[50:51], 1.0
	v_fmac_f64_e32 v[48:49], 0xbfc5555555555555, v[70:71]
	s_delay_alu instid0(VALU_DEP_2) | instskip(NEXT) | instid1(VALU_DEP_1)
	v_add_f64_e64 v[72:73], -v[56:57], 1.0
	v_add_f64_e64 v[50:51], v[72:73], -v[50:51]
	v_fmamk_f64 v[72:73], v[46:47], 0xbda907db46cc5e42, v[30:31]
	s_delay_alu instid0(VALU_DEP_2) | instskip(NEXT) | instid1(VALU_DEP_2)
	v_fma_f64 v[38:39], v[36:37], -v[38:39], v[50:51]
	v_fmaak_f64 v[50:51], v[46:47], v[72:73], 0xbe927e4fa17f65f6
	v_add_f64_e64 v[36:37], v[36:37], -v[48:49]
	s_delay_alu instid0(VALU_DEP_2) | instskip(NEXT) | instid1(VALU_DEP_1)
	v_fmaak_f64 v[44:45], v[46:47], v[50:51], 0x3efa01a019f4ec90
	v_fmaak_f64 v[44:45], v[46:47], v[44:45], 0xbf56c16c16c16967
	s_delay_alu instid0(VALU_DEP_1) | instskip(NEXT) | instid1(VALU_DEP_1)
	v_fmaak_f64 v[44:45], v[46:47], v[44:45], 0x3fa5555555555555
	v_fmac_f64_e32 v[38:39], v[64:65], v[44:45]
	s_delay_alu instid0(VALU_DEP_1) | instskip(NEXT) | instid1(VALU_DEP_1)
	v_add_f64_e32 v[38:39], v[56:57], v[38:39]
	v_dual_cndmask_b32 v14, v38, v36, s5 :: v_dual_cndmask_b32 v15, v39, v37, s5
	s_delay_alu instid0(VALU_DEP_1) | instskip(NEXT) | instid1(VALU_DEP_2)
	v_cndmask_b32_e64 v14, 0, v14, s2
	v_bitop3_b32 v15, v15, v9, 0x80000000 bitop3:0x78
	v_dual_cndmask_b32 v9, 0, v8, s4 :: v_dual_cndmask_b32 v8, 0, v42, vcc_lo
	s_delay_alu instid0(VALU_DEP_2) | instskip(NEXT) | instid1(VALU_DEP_2)
	v_cndmask_b32_e64 v15, 0x7ff80000, v15, s2
	v_mul_f64_e32 v[6:7], v[8:9], v[6:7]
	s_delay_alu instid0(VALU_DEP_2)
	v_mul_f64_e32 v[8:9], v[8:9], v[14:15]
                                        ; implicit-def: $vgpr16_vgpr17
.LBB131_17:                             ;   in Loop: Header=BB131_4 Depth=1
	s_and_not1_saveexec_b32 s33, s33
	s_cbranch_execz .LBB131_20
; %bb.18:                               ;   in Loop: Header=BB131_4 Depth=1
	v_cmp_ngt_f64_e64 s2, 0x41d00000, |v[16:17]|
                                        ; implicit-def: $vgpr1
                                        ; implicit-def: $vgpr6_vgpr7
                                        ; implicit-def: $vgpr8_vgpr9
	s_and_saveexec_b32 s3, s2
	s_delay_alu instid0(SALU_CYCLE_1)
	s_xor_b32 s3, exec_lo, s3
	s_cbranch_execz .LBB131_21
; %bb.19:                               ;   in Loop: Header=BB131_4 Depth=1
	v_ldexp_f64 v[6:7], |v[16:17]|, 0xffffff80
	v_cmp_le_f64_e64 vcc_lo, 0x7b000000, |v[16:17]|
	v_trig_preop_f64 v[8:9], |v[16:17]|, 0
	v_and_b32_e32 v1, 0x7fffffff, v17
	v_trig_preop_f64 v[36:37], |v[16:17]|, 1
	v_trig_preop_f64 v[46:47], |v[16:17]|, 2
	s_delay_alu instid0(VALU_DEP_3) | instskip(NEXT) | instid1(VALU_DEP_1)
	v_dual_cndmask_b32 v7, v1, v7 :: v_dual_cndmask_b32 v6, v16, v6
	v_mul_f64_e32 v[38:39], v[8:9], v[6:7]
	s_delay_alu instid0(VALU_DEP_4) | instskip(NEXT) | instid1(VALU_DEP_4)
	v_mul_f64_e32 v[40:41], v[36:37], v[6:7]
	v_mul_f64_e32 v[52:53], v[46:47], v[6:7]
	s_delay_alu instid0(VALU_DEP_3) | instskip(NEXT) | instid1(VALU_DEP_3)
	v_fma_f64 v[8:9], v[8:9], v[6:7], -v[38:39]
	v_fma_f64 v[36:37], v[36:37], v[6:7], -v[40:41]
	s_delay_alu instid0(VALU_DEP_3) | instskip(NEXT) | instid1(VALU_DEP_3)
	v_fma_f64 v[6:7], v[46:47], v[6:7], -v[52:53]
	v_add_f64_e32 v[42:43], v[40:41], v[8:9]
	s_delay_alu instid0(VALU_DEP_1) | instskip(SKIP_1) | instid1(VALU_DEP_2)
	v_add_f64_e64 v[44:45], v[42:43], -v[40:41]
	v_add_f64_e32 v[50:51], v[38:39], v[42:43]
	v_add_f64_e64 v[48:49], v[42:43], -v[44:45]
	v_add_f64_e64 v[8:9], v[8:9], -v[44:45]
	s_delay_alu instid0(VALU_DEP_3) | instskip(NEXT) | instid1(VALU_DEP_3)
	v_ldexp_f64 v[44:45], v[50:51], -2
	v_add_f64_e64 v[40:41], v[40:41], -v[48:49]
	v_add_f64_e32 v[48:49], v[52:53], v[36:37]
	s_delay_alu instid0(VALU_DEP_3) | instskip(NEXT) | instid1(VALU_DEP_3)
	v_cmp_neq_f64_e64 vcc_lo, 0x7ff00000, |v[44:45]|
	v_add_f64_e32 v[8:9], v[8:9], v[40:41]
	v_fract_f64_e32 v[40:41], v[44:45]
	s_delay_alu instid0(VALU_DEP_1) | instskip(NEXT) | instid1(VALU_DEP_1)
	v_ldexp_f64 v[40:41], v[40:41], 2
	v_dual_add_f64 v[38:39], v[50:51], -v[38:39] :: v_dual_cndmask_b32 v41, 0, v41, vcc_lo
	s_delay_alu instid0(VALU_DEP_1) | instskip(SKIP_1) | instid1(VALU_DEP_1)
	v_dual_add_f64 v[38:39], v[42:43], -v[38:39] :: v_dual_cndmask_b32 v40, 0, v40, vcc_lo
	v_add_f64_e32 v[42:43], v[48:49], v[8:9]
	v_add_f64_e32 v[44:45], v[38:39], v[42:43]
	v_add_f64_e64 v[54:55], v[42:43], -v[48:49]
	s_delay_alu instid0(VALU_DEP_2) | instskip(NEXT) | instid1(VALU_DEP_2)
	v_add_f64_e32 v[50:51], v[44:45], v[40:41]
	v_add_f64_e64 v[60:61], v[42:43], -v[54:55]
	v_add_f64_e64 v[8:9], v[8:9], -v[54:55]
	;; [unrolled: 1-line block ×3, first 2 shown]
	s_delay_alu instid0(VALU_DEP_4) | instskip(SKIP_1) | instid1(VALU_DEP_3)
	v_cmp_gt_f64_e32 vcc_lo, 0, v[50:51]
	v_add_f64_e64 v[50:51], v[48:49], -v[52:53]
	v_add_f64_e64 v[38:39], v[42:43], -v[38:39]
	v_cndmask_b32_e64 v25, 0, 0x40100000, vcc_lo
	s_delay_alu instid0(VALU_DEP_3) | instskip(SKIP_2) | instid1(VALU_DEP_4)
	v_add_f64_e64 v[58:59], v[48:49], -v[50:51]
	v_add_f64_e64 v[36:37], v[36:37], -v[50:51]
	;; [unrolled: 1-line block ×3, first 2 shown]
	v_add_f64_e32 v[40:41], v[40:41], v[24:25]
	s_delay_alu instid0(VALU_DEP_4) | instskip(NEXT) | instid1(VALU_DEP_3)
	v_add_f64_e64 v[50:51], v[52:53], -v[58:59]
	v_add_f64_e32 v[8:9], v[8:9], v[48:49]
	s_delay_alu instid0(VALU_DEP_3) | instskip(NEXT) | instid1(VALU_DEP_3)
	v_add_f64_e32 v[56:57], v[44:45], v[40:41]
	v_add_f64_e32 v[36:37], v[36:37], v[50:51]
	s_delay_alu instid0(VALU_DEP_2) | instskip(NEXT) | instid1(VALU_DEP_2)
	v_cvt_i32_f64_e32 v1, v[56:57]
	v_add_f64_e32 v[8:9], v[36:37], v[8:9]
	s_delay_alu instid0(VALU_DEP_2) | instskip(NEXT) | instid1(VALU_DEP_2)
	v_cvt_f64_i32_e32 v[54:55], v1
	v_add_f64_e32 v[6:7], v[6:7], v[8:9]
	s_delay_alu instid0(VALU_DEP_2) | instskip(NEXT) | instid1(VALU_DEP_2)
	v_add_f64_e64 v[40:41], v[40:41], -v[54:55]
	v_add_f64_e32 v[6:7], v[38:39], v[6:7]
	s_delay_alu instid0(VALU_DEP_2) | instskip(NEXT) | instid1(VALU_DEP_1)
	v_add_f64_e32 v[36:37], v[44:45], v[40:41]
	v_add_f64_e64 v[8:9], v[36:37], -v[40:41]
	v_cmp_le_f64_e32 vcc_lo, 0.5, v[36:37]
	s_delay_alu instid0(VALU_DEP_2) | instskip(SKIP_2) | instid1(VALU_DEP_3)
	v_add_f64_e64 v[8:9], v[44:45], -v[8:9]
	v_cndmask_b32_e64 v25, 0, 0x3ff00000, vcc_lo
	v_add_co_ci_u32_e64 v1, null, 0, v1, vcc_lo
	v_add_f64_e32 v[6:7], v[6:7], v[8:9]
	s_delay_alu instid0(VALU_DEP_3) | instskip(NEXT) | instid1(VALU_DEP_1)
	v_add_f64_e64 v[8:9], v[36:37], -v[24:25]
	v_add_f64_e32 v[36:37], v[8:9], v[6:7]
	s_delay_alu instid0(VALU_DEP_1) | instskip(SKIP_1) | instid1(VALU_DEP_2)
	v_mul_f64_e32 v[38:39], 0x3ff921fb54442d18, v[36:37]
	v_add_f64_e64 v[8:9], v[36:37], -v[8:9]
	v_fma_f64 v[40:41], v[36:37], s[14:15], -v[38:39]
	s_delay_alu instid0(VALU_DEP_2) | instskip(NEXT) | instid1(VALU_DEP_2)
	v_add_f64_e64 v[6:7], v[6:7], -v[8:9]
	v_fmac_f64_e32 v[40:41], 0x3c91a62633145c07, v[36:37]
	s_delay_alu instid0(VALU_DEP_1) | instskip(NEXT) | instid1(VALU_DEP_1)
	v_fmac_f64_e32 v[40:41], 0x3ff921fb54442d18, v[6:7]
	v_add_f64_e32 v[6:7], v[38:39], v[40:41]
	s_delay_alu instid0(VALU_DEP_1) | instskip(NEXT) | instid1(VALU_DEP_1)
	v_add_f64_e64 v[8:9], v[6:7], -v[38:39]
	v_add_f64_e64 v[8:9], v[40:41], -v[8:9]
	s_and_not1_saveexec_b32 s3, s3
	s_cbranch_execz .LBB131_23
	s_branch .LBB131_22
.LBB131_20:                             ;   in Loop: Header=BB131_4 Depth=1
	s_or_b32 exec_lo, exec_lo, s33
                                        ; implicit-def: $vgpr14_vgpr15
                                        ; implicit-def: $vgpr1
	s_and_not1_saveexec_b32 s3, s31
	s_cbranch_execnz .LBB131_29
	s_branch .LBB131_34
.LBB131_21:                             ;   in Loop: Header=BB131_4 Depth=1
	s_and_not1_saveexec_b32 s3, s3
	s_cbranch_execz .LBB131_23
.LBB131_22:                             ;   in Loop: Header=BB131_4 Depth=1
	v_mul_f64_e64 v[6:7], |v[16:17]|, s[16:17]
	s_delay_alu instid0(VALU_DEP_1) | instskip(NEXT) | instid1(VALU_DEP_1)
	v_rndne_f64_e32 v[36:37], v[6:7]
	v_fma_f64 v[6:7], v[36:37], s[18:19], |v[16:17]|
	v_mul_f64_e32 v[8:9], 0xbc91a62633145c00, v[36:37]
	v_cvt_i32_f64_e32 v1, v[36:37]
	s_delay_alu instid0(VALU_DEP_3) | instskip(NEXT) | instid1(VALU_DEP_3)
	v_fmamk_f64 v[42:43], v[36:37], 0xbc91a62633145c00, v[6:7]
	v_add_f64_e32 v[38:39], v[6:7], v[8:9]
	s_delay_alu instid0(VALU_DEP_1) | instskip(NEXT) | instid1(VALU_DEP_3)
	v_add_f64_e64 v[40:41], v[6:7], -v[38:39]
	v_add_f64_e64 v[6:7], v[38:39], -v[42:43]
	s_delay_alu instid0(VALU_DEP_2) | instskip(SKIP_1) | instid1(VALU_DEP_2)
	v_add_f64_e32 v[38:39], v[40:41], v[8:9]
	v_fmamk_f64 v[8:9], v[36:37], 0x3c91a62633145c00, v[8:9]
	v_add_f64_e32 v[6:7], v[6:7], v[38:39]
	s_delay_alu instid0(VALU_DEP_1) | instskip(NEXT) | instid1(VALU_DEP_1)
	v_add_f64_e64 v[8:9], v[6:7], -v[8:9]
	v_fmac_f64_e32 v[8:9], 0xb97b839a252049c0, v[36:37]
	s_delay_alu instid0(VALU_DEP_1) | instskip(NEXT) | instid1(VALU_DEP_1)
	v_add_f64_e32 v[6:7], v[42:43], v[8:9]
	v_add_f64_e64 v[38:39], v[6:7], -v[42:43]
	s_delay_alu instid0(VALU_DEP_1)
	v_add_f64_e64 v[8:9], v[8:9], -v[38:39]
.LBB131_23:                             ;   in Loop: Header=BB131_4 Depth=1
	s_or_b32 exec_lo, exec_lo, s3
                                        ; implicit-def: $vgpr40
                                        ; implicit-def: $vgpr36_vgpr37
                                        ; implicit-def: $vgpr38_vgpr39
	s_and_saveexec_b32 s3, s2
	s_delay_alu instid0(SALU_CYCLE_1)
	s_xor_b32 s2, exec_lo, s3
	s_cbranch_execz .LBB131_25
; %bb.24:                               ;   in Loop: Header=BB131_4 Depth=1
	v_ldexp_f64 v[36:37], |v[16:17]|, 0xffffff80
	v_cmp_le_f64_e64 vcc_lo, 0x7b000000, |v[16:17]|
	v_trig_preop_f64 v[38:39], |v[16:17]|, 0
	v_and_b32_e32 v25, 0x7fffffff, v17
	v_trig_preop_f64 v[40:41], |v[16:17]|, 1
	v_trig_preop_f64 v[50:51], |v[16:17]|, 2
	s_delay_alu instid0(VALU_DEP_3) | instskip(NEXT) | instid1(VALU_DEP_1)
	v_dual_cndmask_b32 v37, v25, v37 :: v_dual_cndmask_b32 v36, v16, v36
	v_mul_f64_e32 v[42:43], v[38:39], v[36:37]
	s_delay_alu instid0(VALU_DEP_4) | instskip(NEXT) | instid1(VALU_DEP_4)
	v_mul_f64_e32 v[44:45], v[40:41], v[36:37]
	v_mul_f64_e32 v[56:57], v[50:51], v[36:37]
	s_delay_alu instid0(VALU_DEP_3) | instskip(NEXT) | instid1(VALU_DEP_3)
	v_fma_f64 v[38:39], v[38:39], v[36:37], -v[42:43]
	v_fma_f64 v[40:41], v[40:41], v[36:37], -v[44:45]
	s_delay_alu instid0(VALU_DEP_3) | instskip(NEXT) | instid1(VALU_DEP_3)
	v_fma_f64 v[36:37], v[50:51], v[36:37], -v[56:57]
	v_add_f64_e32 v[46:47], v[44:45], v[38:39]
	s_delay_alu instid0(VALU_DEP_1) | instskip(SKIP_1) | instid1(VALU_DEP_2)
	v_add_f64_e64 v[48:49], v[46:47], -v[44:45]
	v_add_f64_e32 v[54:55], v[42:43], v[46:47]
	v_add_f64_e64 v[52:53], v[46:47], -v[48:49]
	v_add_f64_e64 v[38:39], v[38:39], -v[48:49]
	s_delay_alu instid0(VALU_DEP_3) | instskip(NEXT) | instid1(VALU_DEP_3)
	v_ldexp_f64 v[48:49], v[54:55], -2
	v_add_f64_e64 v[44:45], v[44:45], -v[52:53]
	v_add_f64_e32 v[52:53], v[56:57], v[40:41]
	s_delay_alu instid0(VALU_DEP_3) | instskip(NEXT) | instid1(VALU_DEP_3)
	v_cmp_neq_f64_e64 vcc_lo, 0x7ff00000, |v[48:49]|
	v_add_f64_e32 v[38:39], v[38:39], v[44:45]
	v_fract_f64_e32 v[44:45], v[48:49]
	s_delay_alu instid0(VALU_DEP_1) | instskip(NEXT) | instid1(VALU_DEP_1)
	v_ldexp_f64 v[44:45], v[44:45], 2
	v_dual_add_f64 v[42:43], v[54:55], -v[42:43] :: v_dual_cndmask_b32 v44, 0, v44, vcc_lo
	s_delay_alu instid0(VALU_DEP_1) | instskip(SKIP_1) | instid1(VALU_DEP_1)
	v_dual_add_f64 v[42:43], v[46:47], -v[42:43] :: v_dual_cndmask_b32 v45, 0, v45, vcc_lo
	v_add_f64_e32 v[46:47], v[52:53], v[38:39]
	v_add_f64_e32 v[48:49], v[42:43], v[46:47]
	v_add_f64_e64 v[58:59], v[46:47], -v[52:53]
	s_delay_alu instid0(VALU_DEP_2) | instskip(NEXT) | instid1(VALU_DEP_2)
	v_add_f64_e32 v[54:55], v[48:49], v[44:45]
	v_add_f64_e64 v[64:65], v[46:47], -v[58:59]
	v_add_f64_e64 v[38:39], v[38:39], -v[58:59]
	v_add_f64_e64 v[42:43], v[48:49], -v[42:43]
	s_delay_alu instid0(VALU_DEP_4) | instskip(SKIP_2) | instid1(VALU_DEP_2)
	v_cmp_gt_f64_e32 vcc_lo, 0, v[54:55]
	v_add_f64_e64 v[54:55], v[52:53], -v[56:57]
	v_cndmask_b32_e64 v25, 0, 0x40100000, vcc_lo
	v_add_f64_e64 v[62:63], v[52:53], -v[54:55]
	v_add_f64_e64 v[40:41], v[40:41], -v[54:55]
	;; [unrolled: 1-line block ×3, first 2 shown]
	s_delay_alu instid0(VALU_DEP_4) | instskip(NEXT) | instid1(VALU_DEP_4)
	v_add_f64_e32 v[44:45], v[44:45], v[24:25]
	v_add_f64_e64 v[54:55], v[56:57], -v[62:63]
	s_delay_alu instid0(VALU_DEP_3) | instskip(NEXT) | instid1(VALU_DEP_3)
	v_add_f64_e32 v[38:39], v[38:39], v[52:53]
	v_add_f64_e32 v[60:61], v[48:49], v[44:45]
	s_delay_alu instid0(VALU_DEP_3) | instskip(NEXT) | instid1(VALU_DEP_2)
	v_add_f64_e32 v[40:41], v[40:41], v[54:55]
	v_cvt_i32_f64_e32 v25, v[60:61]
	s_delay_alu instid0(VALU_DEP_2) | instskip(SKIP_1) | instid1(VALU_DEP_3)
	v_add_f64_e32 v[38:39], v[40:41], v[38:39]
	v_add_f64_e64 v[40:41], v[46:47], -v[42:43]
	v_cvt_f64_i32_e32 v[58:59], v25
	s_delay_alu instid0(VALU_DEP_3) | instskip(NEXT) | instid1(VALU_DEP_2)
	v_add_f64_e32 v[36:37], v[36:37], v[38:39]
	v_add_f64_e64 v[44:45], v[44:45], -v[58:59]
	s_delay_alu instid0(VALU_DEP_2) | instskip(NEXT) | instid1(VALU_DEP_2)
	v_add_f64_e32 v[36:37], v[40:41], v[36:37]
	v_add_f64_e32 v[50:51], v[48:49], v[44:45]
	s_delay_alu instid0(VALU_DEP_1) | instskip(SKIP_1) | instid1(VALU_DEP_2)
	v_add_f64_e64 v[38:39], v[50:51], -v[44:45]
	v_cmp_le_f64_e32 vcc_lo, 0.5, v[50:51]
	v_add_f64_e64 v[38:39], v[48:49], -v[38:39]
	v_add_co_ci_u32_e64 v40, null, 0, v25, vcc_lo
	v_cndmask_b32_e64 v25, 0, 0x3ff00000, vcc_lo
	s_delay_alu instid0(VALU_DEP_3) | instskip(NEXT) | instid1(VALU_DEP_2)
	v_add_f64_e32 v[36:37], v[36:37], v[38:39]
	v_add_f64_e64 v[38:39], v[50:51], -v[24:25]
	s_delay_alu instid0(VALU_DEP_1) | instskip(NEXT) | instid1(VALU_DEP_1)
	v_add_f64_e32 v[42:43], v[38:39], v[36:37]
	v_mul_f64_e32 v[44:45], 0x3ff921fb54442d18, v[42:43]
	v_add_f64_e64 v[38:39], v[42:43], -v[38:39]
	s_delay_alu instid0(VALU_DEP_2) | instskip(NEXT) | instid1(VALU_DEP_2)
	v_fma_f64 v[46:47], v[42:43], s[14:15], -v[44:45]
	v_add_f64_e64 v[36:37], v[36:37], -v[38:39]
	s_delay_alu instid0(VALU_DEP_2) | instskip(NEXT) | instid1(VALU_DEP_1)
	v_fmac_f64_e32 v[46:47], 0x3c91a62633145c07, v[42:43]
	v_fmac_f64_e32 v[46:47], 0x3ff921fb54442d18, v[36:37]
	s_delay_alu instid0(VALU_DEP_1) | instskip(NEXT) | instid1(VALU_DEP_1)
	v_add_f64_e32 v[36:37], v[44:45], v[46:47]
	v_add_f64_e64 v[38:39], v[36:37], -v[44:45]
	s_delay_alu instid0(VALU_DEP_1)
	v_add_f64_e64 v[38:39], v[46:47], -v[38:39]
	s_and_not1_saveexec_b32 s2, s2
	s_cbranch_execnz .LBB131_26
	s_branch .LBB131_27
.LBB131_25:                             ;   in Loop: Header=BB131_4 Depth=1
	s_and_not1_saveexec_b32 s2, s2
	s_cbranch_execz .LBB131_27
.LBB131_26:                             ;   in Loop: Header=BB131_4 Depth=1
	v_mul_f64_e64 v[36:37], |v[16:17]|, s[16:17]
	s_delay_alu instid0(VALU_DEP_1) | instskip(NEXT) | instid1(VALU_DEP_1)
	v_rndne_f64_e32 v[40:41], v[36:37]
	v_fma_f64 v[36:37], v[40:41], s[18:19], |v[16:17]|
	v_mul_f64_e32 v[38:39], 0xbc91a62633145c00, v[40:41]
	s_delay_alu instid0(VALU_DEP_2) | instskip(NEXT) | instid1(VALU_DEP_2)
	v_fmamk_f64 v[46:47], v[40:41], 0xbc91a62633145c00, v[36:37]
	v_add_f64_e32 v[42:43], v[36:37], v[38:39]
	s_delay_alu instid0(VALU_DEP_1) | instskip(NEXT) | instid1(VALU_DEP_3)
	v_add_f64_e64 v[44:45], v[36:37], -v[42:43]
	v_add_f64_e64 v[36:37], v[42:43], -v[46:47]
	s_delay_alu instid0(VALU_DEP_2) | instskip(SKIP_1) | instid1(VALU_DEP_2)
	v_add_f64_e32 v[42:43], v[44:45], v[38:39]
	v_fmamk_f64 v[38:39], v[40:41], 0x3c91a62633145c00, v[38:39]
	v_add_f64_e32 v[36:37], v[36:37], v[42:43]
	s_delay_alu instid0(VALU_DEP_1) | instskip(NEXT) | instid1(VALU_DEP_1)
	v_add_f64_e64 v[38:39], v[36:37], -v[38:39]
	v_fmac_f64_e32 v[38:39], 0xb97b839a252049c0, v[40:41]
	v_cvt_i32_f64_e32 v40, v[40:41]
	s_delay_alu instid0(VALU_DEP_2) | instskip(NEXT) | instid1(VALU_DEP_1)
	v_add_f64_e32 v[36:37], v[46:47], v[38:39]
	v_add_f64_e64 v[42:43], v[36:37], -v[46:47]
	s_delay_alu instid0(VALU_DEP_1)
	v_add_f64_e64 v[38:39], v[38:39], -v[42:43]
.LBB131_27:                             ;   in Loop: Header=BB131_4 Depth=1
	s_or_b32 exec_lo, exec_lo, s2
	v_add_f64_e32 v[14:15], 0xc0937be319ba0da4, v[14:15]
	v_mul_f64_e32 v[44:45], v[6:7], v[6:7]
	v_cmp_class_f64_e64 s2, v[16:17], 0x1f8
	v_mul_f64_e32 v[46:47], v[36:37], v[36:37]
	s_delay_alu instid0(VALU_DEP_4) | instskip(NEXT) | instid1(VALU_DEP_4)
	v_mul_f64_e32 v[42:43], 0x3ff71547652b82fe, v[14:15]
	v_mul_f64_e32 v[48:49], 0.5, v[44:45]
	v_cmp_nlt_f64_e64 s3, 0x40900000, v[14:15]
	s_delay_alu instid0(VALU_DEP_4) | instskip(SKIP_4) | instid1(VALU_DEP_2)
	v_mul_f64_e64 v[70:71], v[36:37], -v[46:47]
	v_fmamk_f64 v[74:75], v[46:47], 0x3de5e0b2f9a43bb8, v[32:33]
	v_cmp_ngt_f64_e64 s4, 0xc090cc00, v[14:15]
	v_rndne_f64_e32 v[42:43], v[42:43]
	v_add_f64_e64 v[54:55], -v[48:49], 1.0
	v_fmamk_f64 v[52:53], v[42:43], 0xbfe62e42fefa39ef, v[14:15]
	s_delay_alu instid0(VALU_DEP_2) | instskip(SKIP_2) | instid1(VALU_DEP_4)
	v_add_f64_e64 v[62:63], -v[54:55], 1.0
	v_cvt_i32_f64_e32 v25, v[42:43]
	v_dual_lshlrev_b32 v15, 30, v40 :: v_dual_bitop2_b32 v14, 1, v40 bitop3:0x40
	v_fmac_f64_e32 v[52:53], 0xbc7abc9e3b39803f, v[42:43]
	s_delay_alu instid0(VALU_DEP_2) | instskip(SKIP_1) | instid1(VALU_DEP_3)
	v_cmp_eq_u32_e64 s5, 0, v14
	v_add_f64_e64 v[48:49], v[62:63], -v[48:49]
	v_fmamk_f64 v[66:67], v[52:53], 0x3e5ade156a5dcb37, v[28:29]
	s_delay_alu instid0(VALU_DEP_1) | instskip(NEXT) | instid1(VALU_DEP_1)
	v_fmaak_f64 v[66:67], v[52:53], v[66:67], 0x3ec71dee623fde64
	v_fmaak_f64 v[66:67], v[52:53], v[66:67], 0x3efa01997c89e6b0
	s_delay_alu instid0(VALU_DEP_1) | instskip(NEXT) | instid1(VALU_DEP_1)
	v_fmaak_f64 v[66:67], v[52:53], v[66:67], 0x3f2a01a014761f6e
	v_fmaak_f64 v[62:63], v[52:53], v[66:67], 0x3f56c16c1852b7b0
	;; [unrolled: 3-line block ×4, first 2 shown]
	s_delay_alu instid0(VALU_DEP_1) | instskip(NEXT) | instid1(VALU_DEP_1)
	v_fma_f64 v[62:63], v[52:53], v[62:63], 1.0
	v_fma_f64 v[42:43], v[52:53], v[62:63], 1.0
	s_delay_alu instid0(VALU_DEP_1)
	v_ldexp_f64 v[42:43], v[42:43], v25
	v_mul_f64_e32 v[58:59], 0.5, v[8:9]
	v_and_b32_e32 v25, 1, v1
	v_mul_f64_e64 v[60:61], v[6:7], -v[44:45]
	v_fmamk_f64 v[64:65], v[44:45], 0x3de5e0b2f9a43bb8, v[32:33]
	v_mul_f64_e32 v[66:67], v[44:45], v[44:45]
	v_lshlrev_b32_e32 v1, 30, v1
	v_cmp_eq_u32_e32 vcc_lo, 0, v25
	s_delay_alu instid0(VALU_DEP_4) | instskip(NEXT) | instid1(VALU_DEP_1)
	v_fmaak_f64 v[64:65], v[44:45], v[64:65], 0x3ec71de3796cde01
	v_fmaak_f64 v[64:65], v[44:45], v[64:65], 0xbf2a01a019e83e5c
	s_delay_alu instid0(VALU_DEP_1) | instskip(NEXT) | instid1(VALU_DEP_1)
	v_fmaak_f64 v[64:65], v[44:45], v[64:65], 0x3f81111111110bb3
	v_fmac_f64_e32 v[58:59], v[60:61], v[64:65]
	v_fmaak_f64 v[64:65], v[46:47], v[74:75], 0x3ec71de3796cde01
	s_delay_alu instid0(VALU_DEP_1) | instskip(NEXT) | instid1(VALU_DEP_1)
	v_fmaak_f64 v[64:65], v[46:47], v[64:65], 0xbf2a01a019e83e5c
	v_fmaak_f64 v[64:65], v[46:47], v[64:65], 0x3f81111111110bb3
	s_delay_alu instid0(VALU_DEP_4) | instskip(SKIP_1) | instid1(VALU_DEP_2)
	v_fma_f64 v[58:59], v[44:45], v[58:59], -v[8:9]
	v_fma_f64 v[8:9], v[6:7], -v[8:9], v[48:49]
	v_fmac_f64_e32 v[58:59], 0xbfc5555555555555, v[60:61]
	s_delay_alu instid0(VALU_DEP_1) | instskip(SKIP_1) | instid1(VALU_DEP_2)
	v_add_f64_e64 v[6:7], v[6:7], -v[58:59]
	v_mul_f64_e32 v[68:69], 0.5, v[38:39]
	v_xor_b32_e32 v7, 0x80000000, v7
	s_delay_alu instid0(VALU_DEP_2) | instskip(SKIP_1) | instid1(VALU_DEP_1)
	v_fmac_f64_e32 v[68:69], v[70:71], v[64:65]
	v_fmamk_f64 v[64:65], v[44:45], 0xbda907db46cc5e42, v[30:31]
	v_fmaak_f64 v[48:49], v[44:45], v[64:65], 0xbe927e4fa17f65f6
	s_delay_alu instid0(VALU_DEP_1) | instskip(NEXT) | instid1(VALU_DEP_1)
	v_fmaak_f64 v[48:49], v[44:45], v[48:49], 0x3efa01a019f4ec90
	v_fmaak_f64 v[48:49], v[44:45], v[48:49], 0xbf56c16c16c16967
	s_delay_alu instid0(VALU_DEP_1) | instskip(NEXT) | instid1(VALU_DEP_1)
	v_fmaak_f64 v[44:45], v[44:45], v[48:49], 0x3fa5555555555555
	v_fmac_f64_e32 v[8:9], v[66:67], v[44:45]
	s_delay_alu instid0(VALU_DEP_1) | instskip(NEXT) | instid1(VALU_DEP_1)
	v_add_f64_e32 v[8:9], v[54:55], v[8:9]
	v_cndmask_b32_e32 v6, v6, v8, vcc_lo
	v_cndmask_b32_e64 v8, 0x7ff00000, v43, s3
	s_delay_alu instid0(VALU_DEP_3) | instskip(SKIP_1) | instid1(VALU_DEP_3)
	v_cndmask_b32_e32 v7, v7, v9, vcc_lo
	s_and_b32 vcc_lo, s4, s3
	v_dual_cndmask_b32 v6, 0, v6, s2 :: v_dual_bitop2_b32 v9, v15, v17 bitop3:0x14
	v_mul_f64_e32 v[50:51], 0.5, v[46:47]
	v_dual_mul_f64 v[64:65], v[46:47], v[46:47] :: v_dual_cndmask_b32 v16, 0, v8, s4
	v_fma_f64 v[48:49], v[46:47], v[68:69], -v[38:39]
	v_bitop3_b32 v1, v7, v1, 0x80000000 bitop3:0x78
	s_delay_alu instid0(VALU_DEP_1) | instskip(NEXT) | instid1(VALU_DEP_4)
	v_cndmask_b32_e64 v7, 0x7ff80000, v1, s2
	v_lshrrev_b32_e32 v1, 20, v16
	s_delay_alu instid0(VALU_DEP_1) | instskip(SKIP_2) | instid1(VALU_DEP_2)
	v_add_nc_u32_e32 v1, 0xffffff09, v1
	v_add_f64_e64 v[56:57], -v[50:51], 1.0
	v_fmac_f64_e32 v[48:49], 0xbfc5555555555555, v[70:71]
	v_add_f64_e64 v[72:73], -v[56:57], 1.0
	s_delay_alu instid0(VALU_DEP_1) | instskip(SKIP_1) | instid1(VALU_DEP_2)
	v_add_f64_e64 v[50:51], v[72:73], -v[50:51]
	v_fmamk_f64 v[72:73], v[46:47], 0xbda907db46cc5e42, v[30:31]
	v_fma_f64 v[38:39], v[36:37], -v[38:39], v[50:51]
	s_delay_alu instid0(VALU_DEP_2) | instskip(SKIP_1) | instid1(VALU_DEP_2)
	v_fmaak_f64 v[50:51], v[46:47], v[72:73], 0xbe927e4fa17f65f6
	v_add_f64_e64 v[36:37], v[36:37], -v[48:49]
	v_fmaak_f64 v[44:45], v[46:47], v[50:51], 0x3efa01a019f4ec90
	s_delay_alu instid0(VALU_DEP_1) | instskip(NEXT) | instid1(VALU_DEP_1)
	v_fmaak_f64 v[44:45], v[46:47], v[44:45], 0xbf56c16c16c16967
	v_fmaak_f64 v[44:45], v[46:47], v[44:45], 0x3fa5555555555555
	s_delay_alu instid0(VALU_DEP_1) | instskip(NEXT) | instid1(VALU_DEP_1)
	v_fmac_f64_e32 v[38:39], v[64:65], v[44:45]
	v_add_f64_e32 v[38:39], v[56:57], v[38:39]
	s_delay_alu instid0(VALU_DEP_1) | instskip(NEXT) | instid1(VALU_DEP_1)
	v_dual_cndmask_b32 v14, v38, v36, s5 :: v_dual_cndmask_b32 v15, v39, v37, s5
	v_cndmask_b32_e64 v8, 0, v14, s2
	s_delay_alu instid0(VALU_DEP_2) | instskip(SKIP_2) | instid1(VALU_DEP_3)
	v_bitop3_b32 v9, v15, v9, 0x80000000 bitop3:0x78
	v_and_or_b32 v15, v16, s27, 0x7fe00000
	v_cndmask_b32_e32 v14, 0, v42, vcc_lo
	v_cndmask_b32_e64 v9, 0x7ff80000, v9, s2
	s_delay_alu instid0(VALU_DEP_2) | instskip(NEXT) | instid1(VALU_DEP_2)
	v_mul_f64_e32 v[6:7], v[14:15], v[6:7]
	v_mul_f64_e32 v[8:9], v[14:15], v[8:9]
	v_lshrrev_b16 v14, 15, v1
	s_delay_alu instid0(VALU_DEP_1) | instskip(NEXT) | instid1(VALU_DEP_1)
	v_add_nc_u16 v14, v1, v14
	v_ashrrev_i16 v14, 1, v14
	s_delay_alu instid0(VALU_DEP_1) | instskip(NEXT) | instid1(VALU_DEP_1)
	v_bfe_i32 v14, v14, 0, 16
	v_lshl_add_u32 v25, v14, 20, 0x3ff00000
	v_dual_mov_b32 v14, v24 :: v_dual_sub_nc_u32 v1, v1, v14
	s_delay_alu instid0(VALU_DEP_1) | instskip(NEXT) | instid1(VALU_DEP_3)
	v_lshl_add_u32 v15, v1, 20, 0x3ff00000
	v_mul_f64_e32 v[6:7], v[6:7], v[24:25]
	v_mul_f64_e32 v[8:9], v[8:9], v[24:25]
	s_delay_alu instid0(VALU_DEP_2) | instskip(NEXT) | instid1(VALU_DEP_2)
	v_mul_f64_e32 v[6:7], v[6:7], v[14:15]
	v_mul_f64_e32 v[8:9], v[8:9], v[14:15]
	s_or_b32 exec_lo, exec_lo, s33
                                        ; implicit-def: $vgpr14_vgpr15
                                        ; implicit-def: $vgpr1
.LBB131_28:                             ;   in Loop: Header=BB131_4 Depth=1
	s_and_not1_saveexec_b32 s3, s31
	s_cbranch_execz .LBB131_34
.LBB131_29:                             ;   in Loop: Header=BB131_4 Depth=1
	v_add_f64_e64 v[8:9], v[16:17], -v[16:17]
	v_cmp_ne_u32_e32 vcc_lo, 0, v14
	v_cmp_ne_u32_e64 s2, 0x7ff00000, v1
	s_or_b32 s2, vcc_lo, s2
	s_delay_alu instid0(SALU_CYCLE_1) | instskip(NEXT) | instid1(SALU_CYCLE_1)
	s_and_saveexec_b32 s4, s2
	s_xor_b32 s2, exec_lo, s4
; %bb.30:                               ;   in Loop: Header=BB131_4 Depth=1
                                        ; implicit-def: $vgpr14_vgpr15
; %bb.31:                               ;   in Loop: Header=BB131_4 Depth=1
	s_delay_alu instid0(SALU_CYCLE_1)
	s_or_saveexec_b32 s2, s2
	v_mov_b64_e32 v[6:7], v[8:9]
	s_xor_b32 exec_lo, exec_lo, s2
; %bb.32:                               ;   in Loop: Header=BB131_4 Depth=1
	v_cmp_lt_i64_e32 vcc_lo, -1, v[14:15]
	v_dual_cndmask_b32 v7, 0, v15 :: v_dual_cndmask_b32 v6, 0, v14
	v_dual_cndmask_b32 v9, 0, v9 :: v_dual_cndmask_b32 v8, 0, v8
; %bb.33:                               ;   in Loop: Header=BB131_4 Depth=1
	s_or_b32 exec_lo, exec_lo, s2
.LBB131_34:                             ;   in Loop: Header=BB131_4 Depth=1
	s_delay_alu instid0(SALU_CYCLE_1)
	s_or_b32 exec_lo, exec_lo, s3
                                        ; implicit-def: $vgpr16_vgpr17
.LBB131_35:                             ;   in Loop: Header=BB131_4 Depth=1
	s_and_not1_saveexec_b32 s4, s30
	s_cbranch_execz .LBB131_45
; %bb.36:                               ;   in Loop: Header=BB131_4 Depth=1
	v_cmp_ngt_f64_e64 s2, 0x41d00000, |v[16:17]|
	v_trig_preop_f64 v[38:39], |v[16:17]|, 0
	v_trig_preop_f64 v[36:37], |v[16:17]|, 1
	v_ldexp_f64 v[40:41], |v[16:17]|, 0xffffff80
	v_trig_preop_f64 v[14:15], |v[16:17]|, 2
	v_and_b32_e32 v48, 0x7fffffff, v17
                                        ; implicit-def: $vgpr1
                                        ; implicit-def: $vgpr6_vgpr7
                                        ; implicit-def: $vgpr8_vgpr9
	s_and_saveexec_b32 s3, s2
	s_delay_alu instid0(SALU_CYCLE_1)
	s_xor_b32 s3, exec_lo, s3
	s_cbranch_execz .LBB131_38
; %bb.37:                               ;   in Loop: Header=BB131_4 Depth=1
	v_cmp_le_f64_e64 vcc_lo, 0x7b000000, |v[16:17]|
	s_delay_alu instid0(VALU_DEP_4) | instskip(SKIP_1) | instid1(VALU_DEP_1)
	v_cndmask_b32_e32 v7, v48, v41, vcc_lo
	v_cndmask_b32_e32 v6, v16, v40, vcc_lo
	v_mul_f64_e32 v[8:9], v[38:39], v[6:7]
	v_mul_f64_e32 v[42:43], v[36:37], v[6:7]
	s_delay_alu instid0(VALU_DEP_2) | instskip(NEXT) | instid1(VALU_DEP_1)
	v_fma_f64 v[44:45], v[38:39], v[6:7], -v[8:9]
	v_add_f64_e32 v[46:47], v[42:43], v[44:45]
	s_delay_alu instid0(VALU_DEP_1) | instskip(SKIP_1) | instid1(VALU_DEP_2)
	v_add_f64_e64 v[50:51], v[46:47], -v[42:43]
	v_add_f64_e32 v[54:55], v[8:9], v[46:47]
	v_add_f64_e64 v[52:53], v[46:47], -v[50:51]
	v_fma_f64 v[58:59], v[36:37], v[6:7], -v[42:43]
	v_add_f64_e64 v[44:45], v[44:45], -v[50:51]
	s_delay_alu instid0(VALU_DEP_4) | instskip(SKIP_2) | instid1(VALU_DEP_3)
	v_ldexp_f64 v[50:51], v[54:55], -2
	v_mul_f64_e32 v[56:57], v[14:15], v[6:7]
	v_add_f64_e64 v[42:43], v[42:43], -v[52:53]
	v_cmp_neq_f64_e64 vcc_lo, 0x7ff00000, |v[50:51]|
	s_delay_alu instid0(VALU_DEP_3) | instskip(SKIP_1) | instid1(VALU_DEP_4)
	v_add_f64_e32 v[52:53], v[56:57], v[58:59]
	v_fma_f64 v[6:7], v[14:15], v[6:7], -v[56:57]
	v_add_f64_e32 v[42:43], v[44:45], v[42:43]
	v_fract_f64_e32 v[44:45], v[50:51]
	s_delay_alu instid0(VALU_DEP_1) | instskip(NEXT) | instid1(VALU_DEP_1)
	v_ldexp_f64 v[44:45], v[44:45], 2
	v_cndmask_b32_e32 v45, 0, v45, vcc_lo
	v_add_f64_e64 v[8:9], v[54:55], -v[8:9]
	s_delay_alu instid0(VALU_DEP_3) | instskip(NEXT) | instid1(VALU_DEP_2)
	v_cndmask_b32_e32 v44, 0, v44, vcc_lo
	v_add_f64_e64 v[8:9], v[46:47], -v[8:9]
	v_add_f64_e32 v[46:47], v[52:53], v[42:43]
	s_delay_alu instid0(VALU_DEP_1) | instskip(SKIP_1) | instid1(VALU_DEP_2)
	v_add_f64_e32 v[50:51], v[8:9], v[46:47]
	v_add_f64_e64 v[60:61], v[46:47], -v[52:53]
	v_add_f64_e32 v[54:55], v[50:51], v[44:45]
	s_delay_alu instid0(VALU_DEP_2) | instskip(SKIP_2) | instid1(VALU_DEP_4)
	v_add_f64_e64 v[66:67], v[46:47], -v[60:61]
	v_add_f64_e64 v[42:43], v[42:43], -v[60:61]
	;; [unrolled: 1-line block ×3, first 2 shown]
	v_cmp_gt_f64_e32 vcc_lo, 0, v[54:55]
	v_add_f64_e64 v[54:55], v[52:53], -v[56:57]
	s_delay_alu instid0(VALU_DEP_3) | instskip(SKIP_1) | instid1(VALU_DEP_3)
	v_add_f64_e64 v[8:9], v[46:47], -v[8:9]
	v_cndmask_b32_e64 v25, 0, 0x40100000, vcc_lo
	v_add_f64_e64 v[64:65], v[52:53], -v[54:55]
	v_add_f64_e64 v[54:55], v[58:59], -v[54:55]
	;; [unrolled: 1-line block ×3, first 2 shown]
	s_delay_alu instid0(VALU_DEP_4) | instskip(NEXT) | instid1(VALU_DEP_4)
	v_add_f64_e32 v[44:45], v[44:45], v[24:25]
	v_add_f64_e64 v[58:59], v[56:57], -v[64:65]
	s_delay_alu instid0(VALU_DEP_3) | instskip(NEXT) | instid1(VALU_DEP_3)
	v_add_f64_e32 v[42:43], v[42:43], v[52:53]
	v_add_f64_e32 v[62:63], v[50:51], v[44:45]
	s_delay_alu instid0(VALU_DEP_3) | instskip(NEXT) | instid1(VALU_DEP_2)
	v_add_f64_e32 v[54:55], v[54:55], v[58:59]
	v_cvt_i32_f64_e32 v1, v[62:63]
	s_delay_alu instid0(VALU_DEP_2) | instskip(NEXT) | instid1(VALU_DEP_2)
	v_add_f64_e32 v[42:43], v[54:55], v[42:43]
	v_cvt_f64_i32_e32 v[60:61], v1
	s_delay_alu instid0(VALU_DEP_2) | instskip(NEXT) | instid1(VALU_DEP_2)
	v_add_f64_e32 v[6:7], v[6:7], v[42:43]
	v_add_f64_e64 v[44:45], v[44:45], -v[60:61]
	s_delay_alu instid0(VALU_DEP_2) | instskip(NEXT) | instid1(VALU_DEP_2)
	v_add_f64_e32 v[6:7], v[8:9], v[6:7]
	v_add_f64_e32 v[52:53], v[50:51], v[44:45]
	s_delay_alu instid0(VALU_DEP_1) | instskip(SKIP_1) | instid1(VALU_DEP_2)
	v_add_f64_e64 v[42:43], v[52:53], -v[44:45]
	v_cmp_le_f64_e32 vcc_lo, 0.5, v[52:53]
	v_add_f64_e64 v[8:9], v[50:51], -v[42:43]
	v_cndmask_b32_e64 v25, 0, 0x3ff00000, vcc_lo
	v_add_co_ci_u32_e64 v1, null, 0, v1, vcc_lo
	s_delay_alu instid0(VALU_DEP_3) | instskip(NEXT) | instid1(VALU_DEP_3)
	v_add_f64_e32 v[6:7], v[6:7], v[8:9]
	v_add_f64_e64 v[8:9], v[52:53], -v[24:25]
	s_delay_alu instid0(VALU_DEP_1) | instskip(NEXT) | instid1(VALU_DEP_1)
	v_add_f64_e32 v[42:43], v[8:9], v[6:7]
	v_mul_f64_e32 v[44:45], 0x3ff921fb54442d18, v[42:43]
	v_add_f64_e64 v[8:9], v[42:43], -v[8:9]
	s_delay_alu instid0(VALU_DEP_2) | instskip(NEXT) | instid1(VALU_DEP_2)
	v_fma_f64 v[46:47], v[42:43], s[14:15], -v[44:45]
	v_add_f64_e64 v[6:7], v[6:7], -v[8:9]
	s_delay_alu instid0(VALU_DEP_2) | instskip(NEXT) | instid1(VALU_DEP_1)
	v_fmac_f64_e32 v[46:47], 0x3c91a62633145c07, v[42:43]
	v_fmac_f64_e32 v[46:47], 0x3ff921fb54442d18, v[6:7]
	s_delay_alu instid0(VALU_DEP_1) | instskip(NEXT) | instid1(VALU_DEP_1)
	v_add_f64_e32 v[6:7], v[44:45], v[46:47]
	v_add_f64_e64 v[8:9], v[6:7], -v[44:45]
	s_delay_alu instid0(VALU_DEP_1)
	v_add_f64_e64 v[8:9], v[46:47], -v[8:9]
.LBB131_38:                             ;   in Loop: Header=BB131_4 Depth=1
	s_or_saveexec_b32 s3, s3
	v_mul_f64_e64 v[42:43], |v[16:17]|, s[16:17]
	s_delay_alu instid0(VALU_DEP_1)
	v_rndne_f64_e32 v[46:47], v[42:43]
	s_xor_b32 exec_lo, exec_lo, s3
	s_cbranch_execz .LBB131_40
; %bb.39:                               ;   in Loop: Header=BB131_4 Depth=1
	s_delay_alu instid0(VALU_DEP_1) | instskip(SKIP_2) | instid1(VALU_DEP_3)
	v_fma_f64 v[6:7], v[46:47], s[18:19], |v[16:17]|
	v_mul_f64_e32 v[8:9], 0xbc91a62633145c00, v[46:47]
	v_cvt_i32_f64_e32 v1, v[46:47]
	v_fmamk_f64 v[50:51], v[46:47], 0xbc91a62633145c00, v[6:7]
	s_delay_alu instid0(VALU_DEP_3) | instskip(NEXT) | instid1(VALU_DEP_1)
	v_add_f64_e32 v[42:43], v[6:7], v[8:9]
	v_add_f64_e64 v[44:45], v[6:7], -v[42:43]
	s_delay_alu instid0(VALU_DEP_3) | instskip(NEXT) | instid1(VALU_DEP_2)
	v_add_f64_e64 v[6:7], v[42:43], -v[50:51]
	v_add_f64_e32 v[42:43], v[44:45], v[8:9]
	v_fmamk_f64 v[8:9], v[46:47], 0x3c91a62633145c00, v[8:9]
	s_delay_alu instid0(VALU_DEP_2) | instskip(NEXT) | instid1(VALU_DEP_1)
	v_add_f64_e32 v[6:7], v[6:7], v[42:43]
	v_add_f64_e64 v[8:9], v[6:7], -v[8:9]
	s_delay_alu instid0(VALU_DEP_1) | instskip(NEXT) | instid1(VALU_DEP_1)
	v_fmac_f64_e32 v[8:9], 0xb97b839a252049c0, v[46:47]
	v_add_f64_e32 v[6:7], v[50:51], v[8:9]
	s_delay_alu instid0(VALU_DEP_1) | instskip(NEXT) | instid1(VALU_DEP_1)
	v_add_f64_e64 v[42:43], v[6:7], -v[50:51]
	v_add_f64_e64 v[8:9], v[8:9], -v[42:43]
.LBB131_40:                             ;   in Loop: Header=BB131_4 Depth=1
	s_or_b32 exec_lo, exec_lo, s3
                                        ; implicit-def: $vgpr49
                                        ; implicit-def: $vgpr42_vgpr43
                                        ; implicit-def: $vgpr44_vgpr45
	s_and_saveexec_b32 s3, s2
	s_delay_alu instid0(SALU_CYCLE_1)
	s_xor_b32 s2, exec_lo, s3
	s_cbranch_execz .LBB131_42
; %bb.41:                               ;   in Loop: Header=BB131_4 Depth=1
	v_cmp_le_f64_e64 vcc_lo, 0x7b000000, |v[16:17]|
	v_cndmask_b32_e32 v41, v48, v41, vcc_lo
	v_cndmask_b32_e32 v40, v16, v40, vcc_lo
	s_delay_alu instid0(VALU_DEP_1) | instskip(SKIP_1) | instid1(VALU_DEP_2)
	v_mul_f64_e32 v[42:43], v[38:39], v[40:41]
	v_mul_f64_e32 v[44:45], v[36:37], v[40:41]
	v_fma_f64 v[38:39], v[38:39], v[40:41], -v[42:43]
	s_delay_alu instid0(VALU_DEP_1) | instskip(NEXT) | instid1(VALU_DEP_1)
	v_add_f64_e32 v[46:47], v[44:45], v[38:39]
	v_add_f64_e64 v[48:49], v[46:47], -v[44:45]
	v_add_f64_e32 v[52:53], v[42:43], v[46:47]
	s_delay_alu instid0(VALU_DEP_2) | instskip(SKIP_1) | instid1(VALU_DEP_3)
	v_add_f64_e64 v[50:51], v[46:47], -v[48:49]
	v_add_f64_e64 v[38:39], v[38:39], -v[48:49]
	v_ldexp_f64 v[48:49], v[52:53], -2
	s_delay_alu instid0(VALU_DEP_1) | instskip(SKIP_1) | instid1(VALU_DEP_1)
	v_cmp_neq_f64_e64 vcc_lo, 0x7ff00000, |v[48:49]|
	v_add_f64_e64 v[42:43], v[52:53], -v[42:43]
	v_add_f64_e64 v[42:43], v[46:47], -v[42:43]
	v_mul_f64_e32 v[54:55], v[14:15], v[40:41]
	v_fma_f64 v[36:37], v[36:37], v[40:41], -v[44:45]
	v_add_f64_e64 v[44:45], v[44:45], -v[50:51]
	s_delay_alu instid0(VALU_DEP_3) | instskip(NEXT) | instid1(VALU_DEP_3)
	v_fma_f64 v[14:15], v[14:15], v[40:41], -v[54:55]
	v_add_f64_e32 v[50:51], v[54:55], v[36:37]
	s_delay_alu instid0(VALU_DEP_3) | instskip(SKIP_1) | instid1(VALU_DEP_2)
	v_add_f64_e32 v[38:39], v[38:39], v[44:45]
	v_fract_f64_e32 v[44:45], v[48:49]
	v_add_f64_e32 v[46:47], v[50:51], v[38:39]
	s_delay_alu instid0(VALU_DEP_2) | instskip(NEXT) | instid1(VALU_DEP_1)
	v_ldexp_f64 v[44:45], v[44:45], 2
	v_dual_add_f64 v[48:49], v[42:43], v[46:47] :: v_dual_cndmask_b32 v45, 0, v45, vcc_lo
	s_delay_alu instid0(VALU_DEP_2) | instskip(NEXT) | instid1(VALU_DEP_1)
	v_dual_add_f64 v[56:57], v[46:47], -v[50:51] :: v_dual_cndmask_b32 v44, 0, v44, vcc_lo
	v_add_f64_e32 v[52:53], v[48:49], v[44:45]
	v_add_f64_e64 v[40:41], v[48:49], -v[42:43]
	s_delay_alu instid0(VALU_DEP_3) | instskip(SKIP_1) | instid1(VALU_DEP_4)
	v_add_f64_e64 v[62:63], v[46:47], -v[56:57]
	v_add_f64_e64 v[38:39], v[38:39], -v[56:57]
	v_cmp_gt_f64_e32 vcc_lo, 0, v[52:53]
	v_add_f64_e64 v[52:53], v[50:51], -v[54:55]
	v_add_f64_e64 v[40:41], v[46:47], -v[40:41]
                                        ; implicit-def: $vgpr46_vgpr47
	v_cndmask_b32_e64 v25, 0, 0x40100000, vcc_lo
	s_delay_alu instid0(VALU_DEP_3) | instskip(SKIP_2) | instid1(VALU_DEP_4)
	v_add_f64_e64 v[60:61], v[50:51], -v[52:53]
	v_add_f64_e64 v[36:37], v[36:37], -v[52:53]
	;; [unrolled: 1-line block ×3, first 2 shown]
	v_add_f64_e32 v[44:45], v[44:45], v[24:25]
	s_delay_alu instid0(VALU_DEP_4) | instskip(NEXT) | instid1(VALU_DEP_3)
	v_add_f64_e64 v[52:53], v[54:55], -v[60:61]
	v_add_f64_e32 v[38:39], v[38:39], v[50:51]
	s_delay_alu instid0(VALU_DEP_3) | instskip(NEXT) | instid1(VALU_DEP_3)
	v_add_f64_e32 v[58:59], v[48:49], v[44:45]
	v_add_f64_e32 v[36:37], v[36:37], v[52:53]
	s_delay_alu instid0(VALU_DEP_2) | instskip(NEXT) | instid1(VALU_DEP_2)
	v_cvt_i32_f64_e32 v25, v[58:59]
	v_add_f64_e32 v[36:37], v[36:37], v[38:39]
	s_delay_alu instid0(VALU_DEP_2) | instskip(NEXT) | instid1(VALU_DEP_2)
	v_cvt_f64_i32_e32 v[56:57], v25
	v_add_f64_e32 v[14:15], v[14:15], v[36:37]
	s_delay_alu instid0(VALU_DEP_2) | instskip(NEXT) | instid1(VALU_DEP_2)
	v_add_f64_e64 v[44:45], v[44:45], -v[56:57]
	v_add_f64_e32 v[14:15], v[40:41], v[14:15]
	s_delay_alu instid0(VALU_DEP_2) | instskip(NEXT) | instid1(VALU_DEP_1)
	v_add_f64_e32 v[38:39], v[48:49], v[44:45]
	v_add_f64_e64 v[36:37], v[38:39], -v[44:45]
	v_cmp_le_f64_e32 vcc_lo, 0.5, v[38:39]
	s_delay_alu instid0(VALU_DEP_2) | instskip(SKIP_2) | instid1(VALU_DEP_3)
	v_add_f64_e64 v[36:37], v[48:49], -v[36:37]
	v_add_co_ci_u32_e64 v49, null, 0, v25, vcc_lo
	v_cndmask_b32_e64 v25, 0, 0x3ff00000, vcc_lo
	v_add_f64_e32 v[14:15], v[14:15], v[36:37]
	s_delay_alu instid0(VALU_DEP_2) | instskip(NEXT) | instid1(VALU_DEP_1)
	v_add_f64_e64 v[36:37], v[38:39], -v[24:25]
	v_add_f64_e32 v[38:39], v[36:37], v[14:15]
	s_delay_alu instid0(VALU_DEP_1) | instskip(SKIP_1) | instid1(VALU_DEP_2)
	v_mul_f64_e32 v[40:41], 0x3ff921fb54442d18, v[38:39]
	v_add_f64_e64 v[36:37], v[38:39], -v[36:37]
	v_fma_f64 v[44:45], v[38:39], s[14:15], -v[40:41]
	s_delay_alu instid0(VALU_DEP_2) | instskip(NEXT) | instid1(VALU_DEP_2)
	v_add_f64_e64 v[14:15], v[14:15], -v[36:37]
	v_fmac_f64_e32 v[44:45], 0x3c91a62633145c07, v[38:39]
	s_delay_alu instid0(VALU_DEP_1) | instskip(NEXT) | instid1(VALU_DEP_1)
	v_fmac_f64_e32 v[44:45], 0x3ff921fb54442d18, v[14:15]
	v_add_f64_e32 v[42:43], v[40:41], v[44:45]
	s_delay_alu instid0(VALU_DEP_1) | instskip(NEXT) | instid1(VALU_DEP_1)
	v_add_f64_e64 v[14:15], v[42:43], -v[40:41]
	v_add_f64_e64 v[44:45], v[44:45], -v[14:15]
	s_and_not1_saveexec_b32 s2, s2
	s_cbranch_execnz .LBB131_43
	s_branch .LBB131_44
.LBB131_42:                             ;   in Loop: Header=BB131_4 Depth=1
	s_and_not1_saveexec_b32 s2, s2
	s_cbranch_execz .LBB131_44
.LBB131_43:                             ;   in Loop: Header=BB131_4 Depth=1
	s_delay_alu instid0(VALU_DEP_1) | instskip(SKIP_2) | instid1(VALU_DEP_2)
	v_fma_f64 v[14:15], v[46:47], s[18:19], |v[16:17]|
	v_mul_f64_e32 v[36:37], 0xbc91a62633145c00, v[46:47]
	v_cvt_i32_f64_e32 v49, v[46:47]
	v_add_f64_e32 v[38:39], v[14:15], v[36:37]
	s_delay_alu instid0(VALU_DEP_1) | instskip(SKIP_1) | instid1(VALU_DEP_1)
	v_add_f64_e64 v[40:41], v[14:15], -v[38:39]
	v_fmamk_f64 v[14:15], v[46:47], 0xbc91a62633145c00, v[14:15]
	v_add_f64_e64 v[38:39], v[38:39], -v[14:15]
	s_delay_alu instid0(VALU_DEP_3) | instskip(SKIP_1) | instid1(VALU_DEP_2)
	v_add_f64_e32 v[40:41], v[40:41], v[36:37]
	v_fmamk_f64 v[36:37], v[46:47], 0x3c91a62633145c00, v[36:37]
	v_add_f64_e32 v[38:39], v[38:39], v[40:41]
	s_delay_alu instid0(VALU_DEP_1) | instskip(NEXT) | instid1(VALU_DEP_1)
	v_add_f64_e64 v[36:37], v[38:39], -v[36:37]
	v_fmac_f64_e32 v[36:37], 0xb97b839a252049c0, v[46:47]
	s_delay_alu instid0(VALU_DEP_1) | instskip(NEXT) | instid1(VALU_DEP_1)
	v_add_f64_e32 v[42:43], v[14:15], v[36:37]
	v_add_f64_e64 v[14:15], v[42:43], -v[14:15]
	s_delay_alu instid0(VALU_DEP_1)
	v_add_f64_e64 v[44:45], v[36:37], -v[14:15]
.LBB131_44:                             ;   in Loop: Header=BB131_4 Depth=1
	s_or_b32 exec_lo, exec_lo, s2
	v_dual_mul_f64 v[14:15], v[6:7], v[6:7] :: v_dual_bitop2_b32 v25, 1, v1 bitop3:0x40
	v_mul_f64_e32 v[36:37], v[42:43], v[42:43]
	s_delay_alu instid0(VALU_DEP_3)
	v_mul_f64_e32 v[52:53], 0.5, v[8:9]
	v_cmp_class_f64_e64 s2, v[16:17], 0x1f8
	v_mul_f64_e32 v[60:61], 0.5, v[44:45]
	v_cmp_eq_u32_e32 vcc_lo, 0, v25
	v_lshlrev_b32_e32 v16, 30, v49
	v_dual_mul_f64 v[38:39], 0.5, v[14:15] :: v_dual_lshlrev_b32 v1, 30, v1
	v_mul_f64_e64 v[54:55], v[6:7], -v[14:15]
	v_fmamk_f64 v[58:59], v[14:15], 0x3de5e0b2f9a43bb8, v[32:33]
	v_mul_f64_e64 v[62:63], v[42:43], -v[36:37]
	v_fmamk_f64 v[66:67], v[36:37], 0x3de5e0b2f9a43bb8, v[32:33]
	s_delay_alu instid0(VALU_DEP_3) | instskip(NEXT) | instid1(VALU_DEP_1)
	v_fmaak_f64 v[58:59], v[14:15], v[58:59], 0x3ec71de3796cde01
	v_fmaak_f64 v[58:59], v[14:15], v[58:59], 0xbf2a01a019e83e5c
	s_delay_alu instid0(VALU_DEP_1) | instskip(SKIP_1) | instid1(VALU_DEP_2)
	v_fmaak_f64 v[58:59], v[14:15], v[58:59], 0x3f81111111110bb3
	v_add_f64_e64 v[46:47], -v[38:39], 1.0
	v_fmac_f64_e32 v[52:53], v[54:55], v[58:59]
	v_mul_f64_e32 v[58:59], v[14:15], v[14:15]
	s_delay_alu instid0(VALU_DEP_3) | instskip(NEXT) | instid1(VALU_DEP_3)
	v_add_f64_e64 v[56:57], -v[46:47], 1.0
	v_fma_f64 v[52:53], v[14:15], v[52:53], -v[8:9]
	s_delay_alu instid0(VALU_DEP_2) | instskip(SKIP_1) | instid1(VALU_DEP_3)
	v_add_f64_e64 v[38:39], v[56:57], -v[38:39]
	v_fmaak_f64 v[56:57], v[36:37], v[66:67], 0x3ec71de3796cde01
	v_fmac_f64_e32 v[52:53], 0xbfc5555555555555, v[54:55]
	s_delay_alu instid0(VALU_DEP_2) | instskip(NEXT) | instid1(VALU_DEP_1)
	v_fmaak_f64 v[56:57], v[36:37], v[56:57], 0xbf2a01a019e83e5c
	v_fmaak_f64 v[56:57], v[36:37], v[56:57], 0x3f81111111110bb3
	s_delay_alu instid0(VALU_DEP_1) | instskip(SKIP_2) | instid1(VALU_DEP_2)
	v_fmac_f64_e32 v[60:61], v[62:63], v[56:57]
	v_fmamk_f64 v[56:57], v[14:15], 0xbda907db46cc5e42, v[30:31]
	v_fma_f64 v[8:9], v[6:7], -v[8:9], v[38:39]
	v_fmaak_f64 v[38:39], v[14:15], v[56:57], 0xbe927e4fa17f65f6
	v_add_f64_e64 v[6:7], v[6:7], -v[52:53]
	s_delay_alu instid0(VALU_DEP_2) | instskip(NEXT) | instid1(VALU_DEP_1)
	v_fmaak_f64 v[38:39], v[14:15], v[38:39], 0x3efa01a019f4ec90
	v_fmaak_f64 v[38:39], v[14:15], v[38:39], 0xbf56c16c16c16967
	s_delay_alu instid0(VALU_DEP_1) | instskip(NEXT) | instid1(VALU_DEP_1)
	v_fmaak_f64 v[14:15], v[14:15], v[38:39], 0x3fa5555555555555
	v_fmac_f64_e32 v[8:9], v[58:59], v[14:15]
	v_xor_b32_e32 v7, 0x80000000, v7
	s_delay_alu instid0(VALU_DEP_2) | instskip(NEXT) | instid1(VALU_DEP_1)
	v_add_f64_e32 v[8:9], v[46:47], v[8:9]
	v_dual_cndmask_b32 v6, v6, v8, vcc_lo :: v_dual_bitop2_b32 v8, 1, v49 bitop3:0x40
	v_fmamk_f64 v[56:57], v[36:37], 0xbda907db46cc5e42, v[30:31]
	v_fma_f64 v[60:61], v[36:37], v[60:61], -v[44:45]
	s_delay_alu instid0(VALU_DEP_3) | instskip(NEXT) | instid1(VALU_DEP_4)
	v_dual_cndmask_b32 v7, v7, v9, vcc_lo :: v_dual_cndmask_b32 v6, 0, v6, s2
	v_cmp_eq_u32_e64 s3, 0, v8
	v_mul_f64_e32 v[40:41], 0.5, v[36:37]
	v_xor_b32_e32 v8, v16, v17
	v_fmaak_f64 v[38:39], v[36:37], v[56:57], 0xbe927e4fa17f65f6
	s_delay_alu instid0(VALU_DEP_1) | instskip(NEXT) | instid1(VALU_DEP_1)
	v_fmaak_f64 v[14:15], v[36:37], v[38:39], 0x3efa01a019f4ec90
	v_fmaak_f64 v[14:15], v[36:37], v[14:15], 0xbf56c16c16c16967
	s_delay_alu instid0(VALU_DEP_1) | instskip(SKIP_2) | instid1(VALU_DEP_1)
	v_fmaak_f64 v[14:15], v[36:37], v[14:15], 0x3fa5555555555555
	v_fmac_f64_e32 v[60:61], 0xbfc5555555555555, v[62:63]
	v_add_f64_e64 v[50:51], -v[40:41], 1.0
	v_add_f64_e64 v[64:65], -v[50:51], 1.0
	s_delay_alu instid0(VALU_DEP_1) | instskip(SKIP_1) | instid1(VALU_DEP_2)
	v_add_f64_e64 v[40:41], v[64:65], -v[40:41]
	v_mul_f64_e32 v[64:65], v[36:37], v[36:37]
	v_fma_f64 v[40:41], v[42:43], -v[44:45], v[40:41]
	s_delay_alu instid0(VALU_DEP_1) | instskip(SKIP_1) | instid1(VALU_DEP_2)
	v_fmac_f64_e32 v[40:41], v[64:65], v[14:15]
	v_add_f64_e64 v[14:15], v[42:43], -v[60:61]
	v_add_f64_e32 v[36:37], v[50:51], v[40:41]
	s_delay_alu instid0(VALU_DEP_1) | instskip(NEXT) | instid1(VALU_DEP_1)
	v_dual_cndmask_b32 v9, v36, v14, s3 :: v_dual_cndmask_b32 v14, v37, v15, s3
	v_bitop3_b32 v14, v14, v8, 0x80000000 bitop3:0x78
	s_delay_alu instid0(VALU_DEP_2) | instskip(SKIP_1) | instid1(VALU_DEP_3)
	v_cndmask_b32_e64 v8, 0, v9, s2
	v_bitop3_b32 v1, v7, v1, 0x80000000 bitop3:0x78
	v_cndmask_b32_e64 v9, 0x7ff80000, v14, s2
	s_delay_alu instid0(VALU_DEP_2)
	v_cndmask_b32_e64 v7, 0x7ff80000, v1, s2
.LBB131_45:                             ;   in Loop: Header=BB131_4 Depth=1
	s_or_b32 exec_lo, exec_lo, s4
                                        ; implicit-def: $vgpr14_vgpr15
.LBB131_46:                             ;   in Loop: Header=BB131_4 Depth=1
	s_and_not1_saveexec_b32 s3, s29
	s_cbranch_execz .LBB131_48
; %bb.47:                               ;   in Loop: Header=BB131_4 Depth=1
	v_mul_f64_e32 v[6:7], 0x3ff71547652b82fe, v[14:15]
	v_cmp_nlt_f64_e32 vcc_lo, 0x40900000, v[14:15]
	v_cmp_ngt_f64_e64 s2, 0xc090cc00, v[14:15]
	s_delay_alu instid0(VALU_DEP_3) | instskip(NEXT) | instid1(VALU_DEP_1)
	v_rndne_f64_e32 v[6:7], v[6:7]
	v_fmamk_f64 v[8:9], v[6:7], 0xbfe62e42fefa39ef, v[14:15]
	v_cvt_i32_f64_e32 v1, v[6:7]
	s_delay_alu instid0(VALU_DEP_2) | instskip(NEXT) | instid1(VALU_DEP_1)
	v_fmac_f64_e32 v[8:9], 0xbc7abc9e3b39803f, v[6:7]
	v_fmamk_f64 v[36:37], v[8:9], 0x3e5ade156a5dcb37, v[28:29]
	s_delay_alu instid0(VALU_DEP_1) | instskip(NEXT) | instid1(VALU_DEP_1)
	v_fmaak_f64 v[36:37], v[8:9], v[36:37], 0x3ec71dee623fde64
	v_fmaak_f64 v[36:37], v[8:9], v[36:37], 0x3efa01997c89e6b0
	s_delay_alu instid0(VALU_DEP_1) | instskip(NEXT) | instid1(VALU_DEP_1)
	v_fmaak_f64 v[36:37], v[8:9], v[36:37], 0x3f2a01a014761f6e
	v_fmaak_f64 v[36:37], v[8:9], v[36:37], 0x3f56c16c1852b7b0
	;; [unrolled: 3-line block ×4, first 2 shown]
	s_delay_alu instid0(VALU_DEP_1) | instskip(NEXT) | instid1(VALU_DEP_1)
	v_fma_f64 v[36:37], v[8:9], v[36:37], 1.0
	v_fma_f64 v[6:7], v[8:9], v[36:37], 1.0
	v_mov_b64_e32 v[8:9], v[16:17]
	s_delay_alu instid0(VALU_DEP_2) | instskip(NEXT) | instid1(VALU_DEP_1)
	v_ldexp_f64 v[6:7], v[6:7], v1
	v_cndmask_b32_e32 v1, 0x7ff00000, v7, vcc_lo
	s_and_b32 vcc_lo, s2, vcc_lo
	s_delay_alu instid0(VALU_DEP_1) | instid1(SALU_CYCLE_1)
	v_dual_cndmask_b32 v6, 0, v6, vcc_lo :: v_dual_cndmask_b32 v7, 0, v1, s2
.LBB131_48:                             ;   in Loop: Header=BB131_4 Depth=1
	s_or_b32 exec_lo, exec_lo, s3
	s_wait_loadcnt 0x2
	v_and_b32_e32 v14, 0x7fffffff, v21
                                        ; implicit-def: $vgpr16_vgpr17
	s_mov_b32 s2, exec_lo
	s_delay_alu instid0(VALU_DEP_1) | instskip(NEXT) | instid1(VALU_DEP_1)
	v_or_b32_e32 v1, v14, v20
	v_cmpx_ne_u32_e32 0, v1
	s_xor_b32 s29, exec_lo, s2
	s_cbranch_execz .LBB131_90
; %bb.49:                               ;   in Loop: Header=BB131_4 Depth=1
	v_and_b32_e32 v1, 0x7fffffff, v19
	s_delay_alu instid0(VALU_DEP_1) | instskip(NEXT) | instid1(VALU_DEP_1)
	v_or_b32_e32 v15, v1, v18
	v_cmp_ne_u32_e32 vcc_lo, 0, v15
                                        ; implicit-def: $vgpr16_vgpr17
	s_and_saveexec_b32 s2, vcc_lo
	s_delay_alu instid0(SALU_CYCLE_1)
	s_xor_b32 s30, exec_lo, s2
	s_cbranch_execz .LBB131_79
; %bb.50:                               ;   in Loop: Header=BB131_4 Depth=1
	v_cmp_gt_u32_e32 vcc_lo, 0x7ff00000, v14
                                        ; implicit-def: $vgpr16_vgpr17
	s_and_saveexec_b32 s2, vcc_lo
	s_delay_alu instid0(SALU_CYCLE_1)
	s_xor_b32 s31, exec_lo, s2
	s_cbranch_execz .LBB131_72
; %bb.51:                               ;   in Loop: Header=BB131_4 Depth=1
	v_add_nc_u32_e32 v1, 0xbf79d1be, v19
                                        ; implicit-def: $vgpr16_vgpr17
	s_mov_b32 s2, exec_lo
	s_delay_alu instid0(VALU_DEP_1)
	v_cmpx_lt_u32_e32 0x108aa2, v1
	s_xor_b32 s33, exec_lo, s2
	s_cbranch_execz .LBB131_61
; %bb.52:                               ;   in Loop: Header=BB131_4 Depth=1
	v_cmp_ngt_f64_e64 s2, 0x41d00000, |v[20:21]|
                                        ; implicit-def: $vgpr1
                                        ; implicit-def: $vgpr14_vgpr15
                                        ; implicit-def: $vgpr16_vgpr17
	s_and_saveexec_b32 s3, s2
	s_delay_alu instid0(SALU_CYCLE_1)
	s_xor_b32 s3, exec_lo, s3
	s_cbranch_execz .LBB131_54
; %bb.53:                               ;   in Loop: Header=BB131_4 Depth=1
	v_ldexp_f64 v[14:15], |v[20:21]|, 0xffffff80
	v_cmp_le_f64_e64 vcc_lo, 0x7b000000, |v[20:21]|
	v_trig_preop_f64 v[16:17], |v[20:21]|, 0
	v_and_b32_e32 v1, 0x7fffffff, v21
	v_trig_preop_f64 v[36:37], |v[20:21]|, 1
	v_trig_preop_f64 v[46:47], |v[20:21]|, 2
	s_delay_alu instid0(VALU_DEP_3) | instskip(NEXT) | instid1(VALU_DEP_1)
	v_dual_cndmask_b32 v15, v1, v15 :: v_dual_cndmask_b32 v14, v20, v14
	v_mul_f64_e32 v[38:39], v[16:17], v[14:15]
	s_delay_alu instid0(VALU_DEP_4) | instskip(NEXT) | instid1(VALU_DEP_4)
	v_mul_f64_e32 v[40:41], v[36:37], v[14:15]
	v_mul_f64_e32 v[52:53], v[46:47], v[14:15]
	s_delay_alu instid0(VALU_DEP_3) | instskip(NEXT) | instid1(VALU_DEP_3)
	v_fma_f64 v[16:17], v[16:17], v[14:15], -v[38:39]
	v_fma_f64 v[36:37], v[36:37], v[14:15], -v[40:41]
	s_delay_alu instid0(VALU_DEP_3) | instskip(NEXT) | instid1(VALU_DEP_3)
	v_fma_f64 v[14:15], v[46:47], v[14:15], -v[52:53]
	v_add_f64_e32 v[42:43], v[40:41], v[16:17]
	s_delay_alu instid0(VALU_DEP_1) | instskip(SKIP_1) | instid1(VALU_DEP_2)
	v_add_f64_e64 v[44:45], v[42:43], -v[40:41]
	v_add_f64_e32 v[50:51], v[38:39], v[42:43]
	v_add_f64_e64 v[48:49], v[42:43], -v[44:45]
	v_add_f64_e64 v[16:17], v[16:17], -v[44:45]
	s_delay_alu instid0(VALU_DEP_3) | instskip(NEXT) | instid1(VALU_DEP_3)
	v_ldexp_f64 v[44:45], v[50:51], -2
	v_add_f64_e64 v[40:41], v[40:41], -v[48:49]
	v_add_f64_e32 v[48:49], v[52:53], v[36:37]
	s_delay_alu instid0(VALU_DEP_3) | instskip(NEXT) | instid1(VALU_DEP_3)
	v_cmp_neq_f64_e64 vcc_lo, 0x7ff00000, |v[44:45]|
	v_add_f64_e32 v[16:17], v[16:17], v[40:41]
	v_fract_f64_e32 v[40:41], v[44:45]
	s_delay_alu instid0(VALU_DEP_1) | instskip(NEXT) | instid1(VALU_DEP_1)
	v_ldexp_f64 v[40:41], v[40:41], 2
	v_dual_add_f64 v[38:39], v[50:51], -v[38:39] :: v_dual_cndmask_b32 v41, 0, v41, vcc_lo
	s_delay_alu instid0(VALU_DEP_1) | instskip(SKIP_1) | instid1(VALU_DEP_1)
	v_dual_add_f64 v[38:39], v[42:43], -v[38:39] :: v_dual_cndmask_b32 v40, 0, v40, vcc_lo
	v_add_f64_e32 v[42:43], v[48:49], v[16:17]
	v_add_f64_e32 v[44:45], v[38:39], v[42:43]
	v_add_f64_e64 v[54:55], v[42:43], -v[48:49]
	s_delay_alu instid0(VALU_DEP_2) | instskip(NEXT) | instid1(VALU_DEP_2)
	v_add_f64_e32 v[50:51], v[44:45], v[40:41]
	v_add_f64_e64 v[60:61], v[42:43], -v[54:55]
	v_add_f64_e64 v[16:17], v[16:17], -v[54:55]
	;; [unrolled: 1-line block ×3, first 2 shown]
	s_delay_alu instid0(VALU_DEP_4) | instskip(SKIP_1) | instid1(VALU_DEP_3)
	v_cmp_gt_f64_e32 vcc_lo, 0, v[50:51]
	v_add_f64_e64 v[50:51], v[48:49], -v[52:53]
	v_add_f64_e64 v[38:39], v[42:43], -v[38:39]
	v_cndmask_b32_e64 v25, 0, 0x40100000, vcc_lo
	s_delay_alu instid0(VALU_DEP_3) | instskip(SKIP_2) | instid1(VALU_DEP_4)
	v_add_f64_e64 v[58:59], v[48:49], -v[50:51]
	v_add_f64_e64 v[36:37], v[36:37], -v[50:51]
	;; [unrolled: 1-line block ×3, first 2 shown]
	v_add_f64_e32 v[40:41], v[40:41], v[24:25]
	s_delay_alu instid0(VALU_DEP_4) | instskip(NEXT) | instid1(VALU_DEP_3)
	v_add_f64_e64 v[50:51], v[52:53], -v[58:59]
	v_add_f64_e32 v[16:17], v[16:17], v[48:49]
	s_delay_alu instid0(VALU_DEP_3) | instskip(NEXT) | instid1(VALU_DEP_3)
	v_add_f64_e32 v[56:57], v[44:45], v[40:41]
	v_add_f64_e32 v[36:37], v[36:37], v[50:51]
	s_delay_alu instid0(VALU_DEP_2) | instskip(NEXT) | instid1(VALU_DEP_2)
	v_cvt_i32_f64_e32 v1, v[56:57]
	v_add_f64_e32 v[16:17], v[36:37], v[16:17]
	s_delay_alu instid0(VALU_DEP_2) | instskip(NEXT) | instid1(VALU_DEP_2)
	v_cvt_f64_i32_e32 v[54:55], v1
	v_add_f64_e32 v[14:15], v[14:15], v[16:17]
	s_delay_alu instid0(VALU_DEP_2) | instskip(NEXT) | instid1(VALU_DEP_2)
	v_add_f64_e64 v[40:41], v[40:41], -v[54:55]
	v_add_f64_e32 v[14:15], v[38:39], v[14:15]
	s_delay_alu instid0(VALU_DEP_2) | instskip(NEXT) | instid1(VALU_DEP_1)
	v_add_f64_e32 v[36:37], v[44:45], v[40:41]
	v_add_f64_e64 v[16:17], v[36:37], -v[40:41]
	v_cmp_le_f64_e32 vcc_lo, 0.5, v[36:37]
	s_delay_alu instid0(VALU_DEP_2) | instskip(SKIP_2) | instid1(VALU_DEP_3)
	v_add_f64_e64 v[16:17], v[44:45], -v[16:17]
	v_cndmask_b32_e64 v25, 0, 0x3ff00000, vcc_lo
	v_add_co_ci_u32_e64 v1, null, 0, v1, vcc_lo
	v_add_f64_e32 v[14:15], v[14:15], v[16:17]
	s_delay_alu instid0(VALU_DEP_3) | instskip(NEXT) | instid1(VALU_DEP_1)
	v_add_f64_e64 v[16:17], v[36:37], -v[24:25]
	v_add_f64_e32 v[36:37], v[16:17], v[14:15]
	s_delay_alu instid0(VALU_DEP_1) | instskip(SKIP_1) | instid1(VALU_DEP_2)
	v_mul_f64_e32 v[38:39], 0x3ff921fb54442d18, v[36:37]
	v_add_f64_e64 v[16:17], v[36:37], -v[16:17]
	v_fma_f64 v[40:41], v[36:37], s[14:15], -v[38:39]
	s_delay_alu instid0(VALU_DEP_2) | instskip(NEXT) | instid1(VALU_DEP_2)
	v_add_f64_e64 v[14:15], v[14:15], -v[16:17]
	v_fmac_f64_e32 v[40:41], 0x3c91a62633145c07, v[36:37]
	s_delay_alu instid0(VALU_DEP_1) | instskip(NEXT) | instid1(VALU_DEP_1)
	v_fmac_f64_e32 v[40:41], 0x3ff921fb54442d18, v[14:15]
	v_add_f64_e32 v[14:15], v[38:39], v[40:41]
	s_delay_alu instid0(VALU_DEP_1) | instskip(NEXT) | instid1(VALU_DEP_1)
	v_add_f64_e64 v[16:17], v[14:15], -v[38:39]
	v_add_f64_e64 v[16:17], v[40:41], -v[16:17]
	s_and_not1_saveexec_b32 s3, s3
	s_cbranch_execz .LBB131_56
	s_branch .LBB131_55
.LBB131_54:                             ;   in Loop: Header=BB131_4 Depth=1
	s_and_not1_saveexec_b32 s3, s3
	s_cbranch_execz .LBB131_56
.LBB131_55:                             ;   in Loop: Header=BB131_4 Depth=1
	v_mul_f64_e64 v[14:15], |v[20:21]|, s[16:17]
	s_delay_alu instid0(VALU_DEP_1) | instskip(NEXT) | instid1(VALU_DEP_1)
	v_rndne_f64_e32 v[36:37], v[14:15]
	v_fma_f64 v[14:15], v[36:37], s[18:19], |v[20:21]|
	v_mul_f64_e32 v[16:17], 0xbc91a62633145c00, v[36:37]
	v_cvt_i32_f64_e32 v1, v[36:37]
	s_delay_alu instid0(VALU_DEP_3) | instskip(NEXT) | instid1(VALU_DEP_3)
	v_fmamk_f64 v[42:43], v[36:37], 0xbc91a62633145c00, v[14:15]
	v_add_f64_e32 v[38:39], v[14:15], v[16:17]
	s_delay_alu instid0(VALU_DEP_1) | instskip(NEXT) | instid1(VALU_DEP_3)
	v_add_f64_e64 v[40:41], v[14:15], -v[38:39]
	v_add_f64_e64 v[14:15], v[38:39], -v[42:43]
	s_delay_alu instid0(VALU_DEP_2) | instskip(SKIP_1) | instid1(VALU_DEP_2)
	v_add_f64_e32 v[38:39], v[40:41], v[16:17]
	v_fmamk_f64 v[16:17], v[36:37], 0x3c91a62633145c00, v[16:17]
	v_add_f64_e32 v[14:15], v[14:15], v[38:39]
	s_delay_alu instid0(VALU_DEP_1) | instskip(NEXT) | instid1(VALU_DEP_1)
	v_add_f64_e64 v[16:17], v[14:15], -v[16:17]
	v_fmac_f64_e32 v[16:17], 0xb97b839a252049c0, v[36:37]
	s_delay_alu instid0(VALU_DEP_1) | instskip(NEXT) | instid1(VALU_DEP_1)
	v_add_f64_e32 v[14:15], v[42:43], v[16:17]
	v_add_f64_e64 v[38:39], v[14:15], -v[42:43]
	s_delay_alu instid0(VALU_DEP_1)
	v_add_f64_e64 v[16:17], v[16:17], -v[38:39]
.LBB131_56:                             ;   in Loop: Header=BB131_4 Depth=1
	s_or_b32 exec_lo, exec_lo, s3
                                        ; implicit-def: $vgpr40
                                        ; implicit-def: $vgpr36_vgpr37
                                        ; implicit-def: $vgpr38_vgpr39
	s_and_saveexec_b32 s3, s2
	s_delay_alu instid0(SALU_CYCLE_1)
	s_xor_b32 s2, exec_lo, s3
	s_cbranch_execz .LBB131_58
; %bb.57:                               ;   in Loop: Header=BB131_4 Depth=1
	v_ldexp_f64 v[36:37], |v[20:21]|, 0xffffff80
	v_cmp_le_f64_e64 vcc_lo, 0x7b000000, |v[20:21]|
	v_trig_preop_f64 v[38:39], |v[20:21]|, 0
	v_and_b32_e32 v25, 0x7fffffff, v21
	v_trig_preop_f64 v[40:41], |v[20:21]|, 1
	v_trig_preop_f64 v[50:51], |v[20:21]|, 2
	s_delay_alu instid0(VALU_DEP_3) | instskip(NEXT) | instid1(VALU_DEP_1)
	v_dual_cndmask_b32 v37, v25, v37 :: v_dual_cndmask_b32 v36, v20, v36
	v_mul_f64_e32 v[42:43], v[38:39], v[36:37]
	s_delay_alu instid0(VALU_DEP_4) | instskip(NEXT) | instid1(VALU_DEP_4)
	v_mul_f64_e32 v[44:45], v[40:41], v[36:37]
	v_mul_f64_e32 v[56:57], v[50:51], v[36:37]
	s_delay_alu instid0(VALU_DEP_3) | instskip(NEXT) | instid1(VALU_DEP_3)
	v_fma_f64 v[38:39], v[38:39], v[36:37], -v[42:43]
	v_fma_f64 v[40:41], v[40:41], v[36:37], -v[44:45]
	s_delay_alu instid0(VALU_DEP_3) | instskip(NEXT) | instid1(VALU_DEP_3)
	v_fma_f64 v[36:37], v[50:51], v[36:37], -v[56:57]
	v_add_f64_e32 v[46:47], v[44:45], v[38:39]
	s_delay_alu instid0(VALU_DEP_1) | instskip(SKIP_1) | instid1(VALU_DEP_2)
	v_add_f64_e64 v[48:49], v[46:47], -v[44:45]
	v_add_f64_e32 v[54:55], v[42:43], v[46:47]
	v_add_f64_e64 v[52:53], v[46:47], -v[48:49]
	v_add_f64_e64 v[38:39], v[38:39], -v[48:49]
	s_delay_alu instid0(VALU_DEP_3) | instskip(NEXT) | instid1(VALU_DEP_3)
	v_ldexp_f64 v[48:49], v[54:55], -2
	v_add_f64_e64 v[44:45], v[44:45], -v[52:53]
	v_add_f64_e32 v[52:53], v[56:57], v[40:41]
	s_delay_alu instid0(VALU_DEP_3) | instskip(NEXT) | instid1(VALU_DEP_3)
	v_cmp_neq_f64_e64 vcc_lo, 0x7ff00000, |v[48:49]|
	v_add_f64_e32 v[38:39], v[38:39], v[44:45]
	v_fract_f64_e32 v[44:45], v[48:49]
	s_delay_alu instid0(VALU_DEP_1) | instskip(NEXT) | instid1(VALU_DEP_1)
	v_ldexp_f64 v[44:45], v[44:45], 2
	v_dual_add_f64 v[42:43], v[54:55], -v[42:43] :: v_dual_cndmask_b32 v44, 0, v44, vcc_lo
	s_delay_alu instid0(VALU_DEP_1) | instskip(SKIP_1) | instid1(VALU_DEP_1)
	v_dual_add_f64 v[42:43], v[46:47], -v[42:43] :: v_dual_cndmask_b32 v45, 0, v45, vcc_lo
	v_add_f64_e32 v[46:47], v[52:53], v[38:39]
	v_add_f64_e32 v[48:49], v[42:43], v[46:47]
	v_add_f64_e64 v[58:59], v[46:47], -v[52:53]
	s_delay_alu instid0(VALU_DEP_2) | instskip(NEXT) | instid1(VALU_DEP_2)
	v_add_f64_e32 v[54:55], v[48:49], v[44:45]
	v_add_f64_e64 v[64:65], v[46:47], -v[58:59]
	v_add_f64_e64 v[38:39], v[38:39], -v[58:59]
	;; [unrolled: 1-line block ×3, first 2 shown]
	s_delay_alu instid0(VALU_DEP_4) | instskip(SKIP_2) | instid1(VALU_DEP_2)
	v_cmp_gt_f64_e32 vcc_lo, 0, v[54:55]
	v_add_f64_e64 v[54:55], v[52:53], -v[56:57]
	v_cndmask_b32_e64 v25, 0, 0x40100000, vcc_lo
	v_add_f64_e64 v[62:63], v[52:53], -v[54:55]
	v_add_f64_e64 v[40:41], v[40:41], -v[54:55]
	;; [unrolled: 1-line block ×3, first 2 shown]
	s_delay_alu instid0(VALU_DEP_4) | instskip(NEXT) | instid1(VALU_DEP_4)
	v_add_f64_e32 v[44:45], v[44:45], v[24:25]
	v_add_f64_e64 v[54:55], v[56:57], -v[62:63]
	s_delay_alu instid0(VALU_DEP_3) | instskip(NEXT) | instid1(VALU_DEP_3)
	v_add_f64_e32 v[38:39], v[38:39], v[52:53]
	v_add_f64_e32 v[60:61], v[48:49], v[44:45]
	s_delay_alu instid0(VALU_DEP_3) | instskip(NEXT) | instid1(VALU_DEP_2)
	v_add_f64_e32 v[40:41], v[40:41], v[54:55]
	v_cvt_i32_f64_e32 v25, v[60:61]
	s_delay_alu instid0(VALU_DEP_2) | instskip(SKIP_1) | instid1(VALU_DEP_3)
	v_add_f64_e32 v[38:39], v[40:41], v[38:39]
	v_add_f64_e64 v[40:41], v[46:47], -v[42:43]
	v_cvt_f64_i32_e32 v[58:59], v25
	s_delay_alu instid0(VALU_DEP_3) | instskip(NEXT) | instid1(VALU_DEP_2)
	v_add_f64_e32 v[36:37], v[36:37], v[38:39]
	v_add_f64_e64 v[44:45], v[44:45], -v[58:59]
	s_delay_alu instid0(VALU_DEP_2) | instskip(NEXT) | instid1(VALU_DEP_2)
	v_add_f64_e32 v[36:37], v[40:41], v[36:37]
	v_add_f64_e32 v[50:51], v[48:49], v[44:45]
	s_delay_alu instid0(VALU_DEP_1) | instskip(SKIP_1) | instid1(VALU_DEP_2)
	v_add_f64_e64 v[38:39], v[50:51], -v[44:45]
	v_cmp_le_f64_e32 vcc_lo, 0.5, v[50:51]
	v_add_f64_e64 v[38:39], v[48:49], -v[38:39]
	v_add_co_ci_u32_e64 v40, null, 0, v25, vcc_lo
	v_cndmask_b32_e64 v25, 0, 0x3ff00000, vcc_lo
	s_delay_alu instid0(VALU_DEP_3) | instskip(NEXT) | instid1(VALU_DEP_2)
	v_add_f64_e32 v[36:37], v[36:37], v[38:39]
	v_add_f64_e64 v[38:39], v[50:51], -v[24:25]
	s_delay_alu instid0(VALU_DEP_1) | instskip(NEXT) | instid1(VALU_DEP_1)
	v_add_f64_e32 v[42:43], v[38:39], v[36:37]
	v_mul_f64_e32 v[44:45], 0x3ff921fb54442d18, v[42:43]
	v_add_f64_e64 v[38:39], v[42:43], -v[38:39]
	s_delay_alu instid0(VALU_DEP_2) | instskip(NEXT) | instid1(VALU_DEP_2)
	v_fma_f64 v[46:47], v[42:43], s[14:15], -v[44:45]
	v_add_f64_e64 v[36:37], v[36:37], -v[38:39]
	s_delay_alu instid0(VALU_DEP_2) | instskip(NEXT) | instid1(VALU_DEP_1)
	v_fmac_f64_e32 v[46:47], 0x3c91a62633145c07, v[42:43]
	v_fmac_f64_e32 v[46:47], 0x3ff921fb54442d18, v[36:37]
	s_delay_alu instid0(VALU_DEP_1) | instskip(NEXT) | instid1(VALU_DEP_1)
	v_add_f64_e32 v[36:37], v[44:45], v[46:47]
	v_add_f64_e64 v[38:39], v[36:37], -v[44:45]
	s_delay_alu instid0(VALU_DEP_1)
	v_add_f64_e64 v[38:39], v[46:47], -v[38:39]
	s_and_not1_saveexec_b32 s2, s2
	s_cbranch_execnz .LBB131_59
	s_branch .LBB131_60
.LBB131_58:                             ;   in Loop: Header=BB131_4 Depth=1
	s_and_not1_saveexec_b32 s2, s2
	s_cbranch_execz .LBB131_60
.LBB131_59:                             ;   in Loop: Header=BB131_4 Depth=1
	v_mul_f64_e64 v[36:37], |v[20:21]|, s[16:17]
	s_delay_alu instid0(VALU_DEP_1) | instskip(NEXT) | instid1(VALU_DEP_1)
	v_rndne_f64_e32 v[40:41], v[36:37]
	v_fma_f64 v[36:37], v[40:41], s[18:19], |v[20:21]|
	v_mul_f64_e32 v[38:39], 0xbc91a62633145c00, v[40:41]
	s_delay_alu instid0(VALU_DEP_2) | instskip(NEXT) | instid1(VALU_DEP_2)
	v_fmamk_f64 v[46:47], v[40:41], 0xbc91a62633145c00, v[36:37]
	v_add_f64_e32 v[42:43], v[36:37], v[38:39]
	s_delay_alu instid0(VALU_DEP_1) | instskip(NEXT) | instid1(VALU_DEP_3)
	v_add_f64_e64 v[44:45], v[36:37], -v[42:43]
	v_add_f64_e64 v[36:37], v[42:43], -v[46:47]
	s_delay_alu instid0(VALU_DEP_2) | instskip(SKIP_1) | instid1(VALU_DEP_2)
	v_add_f64_e32 v[42:43], v[44:45], v[38:39]
	v_fmamk_f64 v[38:39], v[40:41], 0x3c91a62633145c00, v[38:39]
	v_add_f64_e32 v[36:37], v[36:37], v[42:43]
	s_delay_alu instid0(VALU_DEP_1) | instskip(NEXT) | instid1(VALU_DEP_1)
	v_add_f64_e64 v[38:39], v[36:37], -v[38:39]
	v_fmac_f64_e32 v[38:39], 0xb97b839a252049c0, v[40:41]
	v_cvt_i32_f64_e32 v40, v[40:41]
	s_delay_alu instid0(VALU_DEP_2) | instskip(NEXT) | instid1(VALU_DEP_1)
	v_add_f64_e32 v[36:37], v[46:47], v[38:39]
	v_add_f64_e64 v[42:43], v[36:37], -v[46:47]
	s_delay_alu instid0(VALU_DEP_1)
	v_add_f64_e64 v[38:39], v[38:39], -v[42:43]
.LBB131_60:                             ;   in Loop: Header=BB131_4 Depth=1
	s_or_b32 exec_lo, exec_lo, s2
	v_mul_f64_e32 v[42:43], 0x3ff71547652b82fe, v[18:19]
	v_mul_f64_e32 v[44:45], v[14:15], v[14:15]
	v_cmp_class_f64_e64 s2, v[20:21], 0x1f8
	v_mul_f64_e32 v[46:47], v[36:37], v[36:37]
	v_cmp_nlt_f64_e64 s3, 0x40900000, v[18:19]
	v_cmp_ngt_f64_e64 s4, 0xc090cc00, v[18:19]
	v_rndne_f64_e32 v[42:43], v[42:43]
	v_mul_f64_e32 v[48:49], 0.5, v[44:45]
	v_mul_f64_e64 v[70:71], v[36:37], -v[46:47]
	v_fmamk_f64 v[74:75], v[46:47], 0x3de5e0b2f9a43bb8, v[32:33]
	s_delay_alu instid0(VALU_DEP_4) | instskip(NEXT) | instid1(VALU_DEP_4)
	v_fmamk_f64 v[52:53], v[42:43], 0xbfe62e42fefa39ef, v[18:19]
	v_add_f64_e64 v[54:55], -v[48:49], 1.0
	v_cvt_i32_f64_e32 v25, v[42:43]
	v_dual_lshlrev_b32 v19, 30, v40 :: v_dual_bitop2_b32 v18, 1, v40 bitop3:0x40
	s_delay_alu instid0(VALU_DEP_4) | instskip(NEXT) | instid1(VALU_DEP_2)
	v_fmac_f64_e32 v[52:53], 0xbc7abc9e3b39803f, v[42:43]
	v_cmp_eq_u32_e64 s5, 0, v18
	v_add_f64_e64 v[62:63], -v[54:55], 1.0
	s_delay_alu instid0(VALU_DEP_3) | instskip(NEXT) | instid1(VALU_DEP_1)
	v_fmamk_f64 v[66:67], v[52:53], 0x3e5ade156a5dcb37, v[28:29]
	v_fmaak_f64 v[66:67], v[52:53], v[66:67], 0x3ec71dee623fde64
	s_delay_alu instid0(VALU_DEP_1) | instskip(NEXT) | instid1(VALU_DEP_1)
	v_fmaak_f64 v[66:67], v[52:53], v[66:67], 0x3efa01997c89e6b0
	v_fmaak_f64 v[66:67], v[52:53], v[66:67], 0x3f2a01a014761f6e
	v_add_f64_e64 v[48:49], v[62:63], -v[48:49]
	s_delay_alu instid0(VALU_DEP_2) | instskip(NEXT) | instid1(VALU_DEP_1)
	v_fmaak_f64 v[62:63], v[52:53], v[66:67], 0x3f56c16c1852b7b0
	v_fmaak_f64 v[62:63], v[52:53], v[62:63], 0x3f81111111122322
	s_delay_alu instid0(VALU_DEP_1) | instskip(NEXT) | instid1(VALU_DEP_1)
	v_fmaak_f64 v[62:63], v[52:53], v[62:63], 0x3fa55555555502a1
	v_fmaak_f64 v[62:63], v[52:53], v[62:63], 0x3fc5555555555511
	s_delay_alu instid0(VALU_DEP_1) | instskip(NEXT) | instid1(VALU_DEP_1)
	v_fmaak_f64 v[62:63], v[52:53], v[62:63], 0x3fe000000000000b
	v_fma_f64 v[62:63], v[52:53], v[62:63], 1.0
	s_delay_alu instid0(VALU_DEP_1) | instskip(NEXT) | instid1(VALU_DEP_1)
	v_fma_f64 v[42:43], v[52:53], v[62:63], 1.0
	v_ldexp_f64 v[42:43], v[42:43], v25
	v_mul_f64_e32 v[58:59], 0.5, v[16:17]
	v_and_b32_e32 v25, 1, v1
	v_mul_f64_e64 v[60:61], v[14:15], -v[44:45]
	v_fmamk_f64 v[64:65], v[44:45], 0x3de5e0b2f9a43bb8, v[32:33]
	v_mul_f64_e32 v[66:67], v[44:45], v[44:45]
	v_lshlrev_b32_e32 v1, 30, v1
	v_cmp_eq_u32_e32 vcc_lo, 0, v25
	s_delay_alu instid0(VALU_DEP_4) | instskip(NEXT) | instid1(VALU_DEP_1)
	v_fmaak_f64 v[64:65], v[44:45], v[64:65], 0x3ec71de3796cde01
	v_fmaak_f64 v[64:65], v[44:45], v[64:65], 0xbf2a01a019e83e5c
	s_delay_alu instid0(VALU_DEP_1) | instskip(NEXT) | instid1(VALU_DEP_1)
	v_fmaak_f64 v[64:65], v[44:45], v[64:65], 0x3f81111111110bb3
	v_fmac_f64_e32 v[58:59], v[60:61], v[64:65]
	v_fmaak_f64 v[64:65], v[46:47], v[74:75], 0x3ec71de3796cde01
	s_delay_alu instid0(VALU_DEP_1) | instskip(NEXT) | instid1(VALU_DEP_1)
	v_fmaak_f64 v[64:65], v[46:47], v[64:65], 0xbf2a01a019e83e5c
	v_fmaak_f64 v[64:65], v[46:47], v[64:65], 0x3f81111111110bb3
	s_delay_alu instid0(VALU_DEP_4) | instskip(SKIP_1) | instid1(VALU_DEP_2)
	v_fma_f64 v[58:59], v[44:45], v[58:59], -v[16:17]
	v_fma_f64 v[16:17], v[14:15], -v[16:17], v[48:49]
	v_fmac_f64_e32 v[58:59], 0xbfc5555555555555, v[60:61]
	s_delay_alu instid0(VALU_DEP_1) | instskip(SKIP_1) | instid1(VALU_DEP_2)
	v_add_f64_e64 v[14:15], v[14:15], -v[58:59]
	v_mul_f64_e32 v[68:69], 0.5, v[38:39]
	v_xor_b32_e32 v15, 0x80000000, v15
	s_delay_alu instid0(VALU_DEP_2) | instskip(SKIP_1) | instid1(VALU_DEP_1)
	v_fmac_f64_e32 v[68:69], v[70:71], v[64:65]
	v_fmamk_f64 v[64:65], v[44:45], 0xbda907db46cc5e42, v[30:31]
	v_fmaak_f64 v[48:49], v[44:45], v[64:65], 0xbe927e4fa17f65f6
	s_delay_alu instid0(VALU_DEP_1) | instskip(NEXT) | instid1(VALU_DEP_1)
	v_fmaak_f64 v[48:49], v[44:45], v[48:49], 0x3efa01a019f4ec90
	v_fmaak_f64 v[48:49], v[44:45], v[48:49], 0xbf56c16c16c16967
	s_delay_alu instid0(VALU_DEP_1) | instskip(NEXT) | instid1(VALU_DEP_1)
	v_fmaak_f64 v[44:45], v[44:45], v[48:49], 0x3fa5555555555555
	v_fmac_f64_e32 v[16:17], v[66:67], v[44:45]
	s_delay_alu instid0(VALU_DEP_1) | instskip(NEXT) | instid1(VALU_DEP_1)
	v_add_f64_e32 v[16:17], v[54:55], v[16:17]
	v_cndmask_b32_e32 v14, v14, v16, vcc_lo
	v_cndmask_b32_e64 v16, 0x7ff00000, v43, s3
	s_delay_alu instid0(VALU_DEP_3) | instskip(SKIP_1) | instid1(VALU_DEP_3)
	v_cndmask_b32_e32 v15, v15, v17, vcc_lo
	s_and_b32 vcc_lo, s4, s3
	v_dual_cndmask_b32 v14, 0, v14, s2 :: v_dual_bitop2_b32 v17, v19, v21 bitop3:0x14
	v_mul_f64_e32 v[50:51], 0.5, v[46:47]
	v_mul_f64_e32 v[64:65], v[46:47], v[46:47]
	v_fma_f64 v[48:49], v[46:47], v[68:69], -v[38:39]
	v_bitop3_b32 v1, v15, v1, 0x80000000 bitop3:0x78
	s_delay_alu instid0(VALU_DEP_1) | instskip(SKIP_1) | instid1(VALU_DEP_4)
	v_cndmask_b32_e64 v15, 0x7ff80000, v1, s2
	v_add_f64_e64 v[56:57], -v[50:51], 1.0
	v_fmac_f64_e32 v[48:49], 0xbfc5555555555555, v[70:71]
	s_delay_alu instid0(VALU_DEP_2) | instskip(NEXT) | instid1(VALU_DEP_1)
	v_add_f64_e64 v[72:73], -v[56:57], 1.0
	v_add_f64_e64 v[50:51], v[72:73], -v[50:51]
	v_fmamk_f64 v[72:73], v[46:47], 0xbda907db46cc5e42, v[30:31]
	s_delay_alu instid0(VALU_DEP_2) | instskip(NEXT) | instid1(VALU_DEP_2)
	v_fma_f64 v[38:39], v[36:37], -v[38:39], v[50:51]
	v_fmaak_f64 v[50:51], v[46:47], v[72:73], 0xbe927e4fa17f65f6
	v_add_f64_e64 v[36:37], v[36:37], -v[48:49]
	s_delay_alu instid0(VALU_DEP_2) | instskip(NEXT) | instid1(VALU_DEP_1)
	v_fmaak_f64 v[44:45], v[46:47], v[50:51], 0x3efa01a019f4ec90
	v_fmaak_f64 v[44:45], v[46:47], v[44:45], 0xbf56c16c16c16967
	s_delay_alu instid0(VALU_DEP_1) | instskip(NEXT) | instid1(VALU_DEP_1)
	v_fmaak_f64 v[44:45], v[46:47], v[44:45], 0x3fa5555555555555
	v_fmac_f64_e32 v[38:39], v[64:65], v[44:45]
	s_delay_alu instid0(VALU_DEP_1) | instskip(NEXT) | instid1(VALU_DEP_1)
	v_add_f64_e32 v[38:39], v[56:57], v[38:39]
	v_dual_cndmask_b32 v18, v38, v36, s5 :: v_dual_cndmask_b32 v19, v39, v37, s5
	s_delay_alu instid0(VALU_DEP_1) | instskip(NEXT) | instid1(VALU_DEP_2)
	v_cndmask_b32_e64 v18, 0, v18, s2
	v_bitop3_b32 v19, v19, v17, 0x80000000 bitop3:0x78
	v_dual_cndmask_b32 v17, 0, v16, s4 :: v_dual_cndmask_b32 v16, 0, v42, vcc_lo
	s_delay_alu instid0(VALU_DEP_2) | instskip(NEXT) | instid1(VALU_DEP_2)
	v_cndmask_b32_e64 v19, 0x7ff80000, v19, s2
	v_mul_f64_e32 v[14:15], v[16:17], v[14:15]
	s_delay_alu instid0(VALU_DEP_2)
	v_mul_f64_e32 v[16:17], v[16:17], v[18:19]
                                        ; implicit-def: $vgpr20_vgpr21
.LBB131_61:                             ;   in Loop: Header=BB131_4 Depth=1
	s_and_not1_saveexec_b32 s33, s33
	s_cbranch_execz .LBB131_71
; %bb.62:                               ;   in Loop: Header=BB131_4 Depth=1
	v_cmp_ngt_f64_e64 s2, 0x41d00000, |v[20:21]|
                                        ; implicit-def: $vgpr1
                                        ; implicit-def: $vgpr14_vgpr15
                                        ; implicit-def: $vgpr16_vgpr17
	s_and_saveexec_b32 s3, s2
	s_delay_alu instid0(SALU_CYCLE_1)
	s_xor_b32 s3, exec_lo, s3
	s_cbranch_execz .LBB131_64
; %bb.63:                               ;   in Loop: Header=BB131_4 Depth=1
	v_ldexp_f64 v[14:15], |v[20:21]|, 0xffffff80
	v_cmp_le_f64_e64 vcc_lo, 0x7b000000, |v[20:21]|
	v_trig_preop_f64 v[16:17], |v[20:21]|, 0
	v_and_b32_e32 v1, 0x7fffffff, v21
	v_trig_preop_f64 v[36:37], |v[20:21]|, 1
	v_trig_preop_f64 v[46:47], |v[20:21]|, 2
	s_delay_alu instid0(VALU_DEP_3) | instskip(NEXT) | instid1(VALU_DEP_1)
	v_dual_cndmask_b32 v15, v1, v15 :: v_dual_cndmask_b32 v14, v20, v14
	v_mul_f64_e32 v[38:39], v[16:17], v[14:15]
	s_delay_alu instid0(VALU_DEP_4) | instskip(NEXT) | instid1(VALU_DEP_4)
	v_mul_f64_e32 v[40:41], v[36:37], v[14:15]
	v_mul_f64_e32 v[52:53], v[46:47], v[14:15]
	s_delay_alu instid0(VALU_DEP_3) | instskip(NEXT) | instid1(VALU_DEP_3)
	v_fma_f64 v[16:17], v[16:17], v[14:15], -v[38:39]
	v_fma_f64 v[36:37], v[36:37], v[14:15], -v[40:41]
	s_delay_alu instid0(VALU_DEP_3) | instskip(NEXT) | instid1(VALU_DEP_3)
	v_fma_f64 v[14:15], v[46:47], v[14:15], -v[52:53]
	v_add_f64_e32 v[42:43], v[40:41], v[16:17]
	s_delay_alu instid0(VALU_DEP_1) | instskip(SKIP_1) | instid1(VALU_DEP_2)
	v_add_f64_e64 v[44:45], v[42:43], -v[40:41]
	v_add_f64_e32 v[50:51], v[38:39], v[42:43]
	v_add_f64_e64 v[48:49], v[42:43], -v[44:45]
	v_add_f64_e64 v[16:17], v[16:17], -v[44:45]
	s_delay_alu instid0(VALU_DEP_3) | instskip(NEXT) | instid1(VALU_DEP_3)
	v_ldexp_f64 v[44:45], v[50:51], -2
	v_add_f64_e64 v[40:41], v[40:41], -v[48:49]
	v_add_f64_e32 v[48:49], v[52:53], v[36:37]
	s_delay_alu instid0(VALU_DEP_3) | instskip(NEXT) | instid1(VALU_DEP_3)
	v_cmp_neq_f64_e64 vcc_lo, 0x7ff00000, |v[44:45]|
	v_add_f64_e32 v[16:17], v[16:17], v[40:41]
	v_fract_f64_e32 v[40:41], v[44:45]
	s_delay_alu instid0(VALU_DEP_1) | instskip(NEXT) | instid1(VALU_DEP_1)
	v_ldexp_f64 v[40:41], v[40:41], 2
	v_dual_add_f64 v[38:39], v[50:51], -v[38:39] :: v_dual_cndmask_b32 v41, 0, v41, vcc_lo
	s_delay_alu instid0(VALU_DEP_1) | instskip(SKIP_1) | instid1(VALU_DEP_1)
	v_dual_add_f64 v[38:39], v[42:43], -v[38:39] :: v_dual_cndmask_b32 v40, 0, v40, vcc_lo
	v_add_f64_e32 v[42:43], v[48:49], v[16:17]
	v_add_f64_e32 v[44:45], v[38:39], v[42:43]
	v_add_f64_e64 v[54:55], v[42:43], -v[48:49]
	s_delay_alu instid0(VALU_DEP_2) | instskip(NEXT) | instid1(VALU_DEP_2)
	v_add_f64_e32 v[50:51], v[44:45], v[40:41]
	v_add_f64_e64 v[60:61], v[42:43], -v[54:55]
	v_add_f64_e64 v[16:17], v[16:17], -v[54:55]
	;; [unrolled: 1-line block ×3, first 2 shown]
	s_delay_alu instid0(VALU_DEP_4) | instskip(SKIP_1) | instid1(VALU_DEP_3)
	v_cmp_gt_f64_e32 vcc_lo, 0, v[50:51]
	v_add_f64_e64 v[50:51], v[48:49], -v[52:53]
	v_add_f64_e64 v[38:39], v[42:43], -v[38:39]
	v_cndmask_b32_e64 v25, 0, 0x40100000, vcc_lo
	s_delay_alu instid0(VALU_DEP_3) | instskip(SKIP_2) | instid1(VALU_DEP_4)
	v_add_f64_e64 v[58:59], v[48:49], -v[50:51]
	v_add_f64_e64 v[36:37], v[36:37], -v[50:51]
	;; [unrolled: 1-line block ×3, first 2 shown]
	v_add_f64_e32 v[40:41], v[40:41], v[24:25]
	s_delay_alu instid0(VALU_DEP_4) | instskip(NEXT) | instid1(VALU_DEP_3)
	v_add_f64_e64 v[50:51], v[52:53], -v[58:59]
	v_add_f64_e32 v[16:17], v[16:17], v[48:49]
	s_delay_alu instid0(VALU_DEP_3) | instskip(NEXT) | instid1(VALU_DEP_3)
	v_add_f64_e32 v[56:57], v[44:45], v[40:41]
	v_add_f64_e32 v[36:37], v[36:37], v[50:51]
	s_delay_alu instid0(VALU_DEP_2) | instskip(NEXT) | instid1(VALU_DEP_2)
	v_cvt_i32_f64_e32 v1, v[56:57]
	v_add_f64_e32 v[16:17], v[36:37], v[16:17]
	s_delay_alu instid0(VALU_DEP_2) | instskip(NEXT) | instid1(VALU_DEP_2)
	v_cvt_f64_i32_e32 v[54:55], v1
	v_add_f64_e32 v[14:15], v[14:15], v[16:17]
	s_delay_alu instid0(VALU_DEP_2) | instskip(NEXT) | instid1(VALU_DEP_2)
	v_add_f64_e64 v[40:41], v[40:41], -v[54:55]
	v_add_f64_e32 v[14:15], v[38:39], v[14:15]
	s_delay_alu instid0(VALU_DEP_2) | instskip(NEXT) | instid1(VALU_DEP_1)
	v_add_f64_e32 v[36:37], v[44:45], v[40:41]
	v_add_f64_e64 v[16:17], v[36:37], -v[40:41]
	v_cmp_le_f64_e32 vcc_lo, 0.5, v[36:37]
	s_delay_alu instid0(VALU_DEP_2) | instskip(SKIP_2) | instid1(VALU_DEP_3)
	v_add_f64_e64 v[16:17], v[44:45], -v[16:17]
	v_cndmask_b32_e64 v25, 0, 0x3ff00000, vcc_lo
	v_add_co_ci_u32_e64 v1, null, 0, v1, vcc_lo
	v_add_f64_e32 v[14:15], v[14:15], v[16:17]
	s_delay_alu instid0(VALU_DEP_3) | instskip(NEXT) | instid1(VALU_DEP_1)
	v_add_f64_e64 v[16:17], v[36:37], -v[24:25]
	v_add_f64_e32 v[36:37], v[16:17], v[14:15]
	s_delay_alu instid0(VALU_DEP_1) | instskip(SKIP_1) | instid1(VALU_DEP_2)
	v_mul_f64_e32 v[38:39], 0x3ff921fb54442d18, v[36:37]
	v_add_f64_e64 v[16:17], v[36:37], -v[16:17]
	v_fma_f64 v[40:41], v[36:37], s[14:15], -v[38:39]
	s_delay_alu instid0(VALU_DEP_2) | instskip(NEXT) | instid1(VALU_DEP_2)
	v_add_f64_e64 v[14:15], v[14:15], -v[16:17]
	v_fmac_f64_e32 v[40:41], 0x3c91a62633145c07, v[36:37]
	s_delay_alu instid0(VALU_DEP_1) | instskip(NEXT) | instid1(VALU_DEP_1)
	v_fmac_f64_e32 v[40:41], 0x3ff921fb54442d18, v[14:15]
	v_add_f64_e32 v[14:15], v[38:39], v[40:41]
	s_delay_alu instid0(VALU_DEP_1) | instskip(NEXT) | instid1(VALU_DEP_1)
	v_add_f64_e64 v[16:17], v[14:15], -v[38:39]
	v_add_f64_e64 v[16:17], v[40:41], -v[16:17]
	s_and_not1_saveexec_b32 s3, s3
	s_cbranch_execz .LBB131_66
	s_branch .LBB131_65
.LBB131_64:                             ;   in Loop: Header=BB131_4 Depth=1
	s_and_not1_saveexec_b32 s3, s3
	s_cbranch_execz .LBB131_66
.LBB131_65:                             ;   in Loop: Header=BB131_4 Depth=1
	v_mul_f64_e64 v[14:15], |v[20:21]|, s[16:17]
	s_delay_alu instid0(VALU_DEP_1) | instskip(NEXT) | instid1(VALU_DEP_1)
	v_rndne_f64_e32 v[36:37], v[14:15]
	v_fma_f64 v[14:15], v[36:37], s[18:19], |v[20:21]|
	v_mul_f64_e32 v[16:17], 0xbc91a62633145c00, v[36:37]
	v_cvt_i32_f64_e32 v1, v[36:37]
	s_delay_alu instid0(VALU_DEP_3) | instskip(NEXT) | instid1(VALU_DEP_3)
	v_fmamk_f64 v[42:43], v[36:37], 0xbc91a62633145c00, v[14:15]
	v_add_f64_e32 v[38:39], v[14:15], v[16:17]
	s_delay_alu instid0(VALU_DEP_1) | instskip(NEXT) | instid1(VALU_DEP_3)
	v_add_f64_e64 v[40:41], v[14:15], -v[38:39]
	v_add_f64_e64 v[14:15], v[38:39], -v[42:43]
	s_delay_alu instid0(VALU_DEP_2) | instskip(SKIP_1) | instid1(VALU_DEP_2)
	v_add_f64_e32 v[38:39], v[40:41], v[16:17]
	v_fmamk_f64 v[16:17], v[36:37], 0x3c91a62633145c00, v[16:17]
	v_add_f64_e32 v[14:15], v[14:15], v[38:39]
	s_delay_alu instid0(VALU_DEP_1) | instskip(NEXT) | instid1(VALU_DEP_1)
	v_add_f64_e64 v[16:17], v[14:15], -v[16:17]
	v_fmac_f64_e32 v[16:17], 0xb97b839a252049c0, v[36:37]
	s_delay_alu instid0(VALU_DEP_1) | instskip(NEXT) | instid1(VALU_DEP_1)
	v_add_f64_e32 v[14:15], v[42:43], v[16:17]
	v_add_f64_e64 v[38:39], v[14:15], -v[42:43]
	s_delay_alu instid0(VALU_DEP_1)
	v_add_f64_e64 v[16:17], v[16:17], -v[38:39]
.LBB131_66:                             ;   in Loop: Header=BB131_4 Depth=1
	s_or_b32 exec_lo, exec_lo, s3
                                        ; implicit-def: $vgpr40
                                        ; implicit-def: $vgpr36_vgpr37
                                        ; implicit-def: $vgpr38_vgpr39
	s_and_saveexec_b32 s3, s2
	s_delay_alu instid0(SALU_CYCLE_1)
	s_xor_b32 s2, exec_lo, s3
	s_cbranch_execz .LBB131_68
; %bb.67:                               ;   in Loop: Header=BB131_4 Depth=1
	v_ldexp_f64 v[36:37], |v[20:21]|, 0xffffff80
	v_cmp_le_f64_e64 vcc_lo, 0x7b000000, |v[20:21]|
	v_trig_preop_f64 v[38:39], |v[20:21]|, 0
	v_and_b32_e32 v25, 0x7fffffff, v21
	v_trig_preop_f64 v[40:41], |v[20:21]|, 1
	v_trig_preop_f64 v[50:51], |v[20:21]|, 2
	s_delay_alu instid0(VALU_DEP_3) | instskip(NEXT) | instid1(VALU_DEP_1)
	v_dual_cndmask_b32 v37, v25, v37 :: v_dual_cndmask_b32 v36, v20, v36
	v_mul_f64_e32 v[42:43], v[38:39], v[36:37]
	s_delay_alu instid0(VALU_DEP_4) | instskip(NEXT) | instid1(VALU_DEP_4)
	v_mul_f64_e32 v[44:45], v[40:41], v[36:37]
	v_mul_f64_e32 v[56:57], v[50:51], v[36:37]
	s_delay_alu instid0(VALU_DEP_3) | instskip(NEXT) | instid1(VALU_DEP_3)
	v_fma_f64 v[38:39], v[38:39], v[36:37], -v[42:43]
	v_fma_f64 v[40:41], v[40:41], v[36:37], -v[44:45]
	s_delay_alu instid0(VALU_DEP_3) | instskip(NEXT) | instid1(VALU_DEP_3)
	v_fma_f64 v[36:37], v[50:51], v[36:37], -v[56:57]
	v_add_f64_e32 v[46:47], v[44:45], v[38:39]
	s_delay_alu instid0(VALU_DEP_1) | instskip(SKIP_1) | instid1(VALU_DEP_2)
	v_add_f64_e64 v[48:49], v[46:47], -v[44:45]
	v_add_f64_e32 v[54:55], v[42:43], v[46:47]
	v_add_f64_e64 v[52:53], v[46:47], -v[48:49]
	v_add_f64_e64 v[38:39], v[38:39], -v[48:49]
	s_delay_alu instid0(VALU_DEP_3) | instskip(NEXT) | instid1(VALU_DEP_3)
	v_ldexp_f64 v[48:49], v[54:55], -2
	v_add_f64_e64 v[44:45], v[44:45], -v[52:53]
	v_add_f64_e32 v[52:53], v[56:57], v[40:41]
	s_delay_alu instid0(VALU_DEP_3) | instskip(NEXT) | instid1(VALU_DEP_3)
	v_cmp_neq_f64_e64 vcc_lo, 0x7ff00000, |v[48:49]|
	v_add_f64_e32 v[38:39], v[38:39], v[44:45]
	v_fract_f64_e32 v[44:45], v[48:49]
	s_delay_alu instid0(VALU_DEP_1) | instskip(NEXT) | instid1(VALU_DEP_1)
	v_ldexp_f64 v[44:45], v[44:45], 2
	v_dual_add_f64 v[42:43], v[54:55], -v[42:43] :: v_dual_cndmask_b32 v44, 0, v44, vcc_lo
	s_delay_alu instid0(VALU_DEP_1) | instskip(SKIP_1) | instid1(VALU_DEP_1)
	v_dual_add_f64 v[42:43], v[46:47], -v[42:43] :: v_dual_cndmask_b32 v45, 0, v45, vcc_lo
	v_add_f64_e32 v[46:47], v[52:53], v[38:39]
	v_add_f64_e32 v[48:49], v[42:43], v[46:47]
	v_add_f64_e64 v[58:59], v[46:47], -v[52:53]
	s_delay_alu instid0(VALU_DEP_2) | instskip(NEXT) | instid1(VALU_DEP_2)
	v_add_f64_e32 v[54:55], v[48:49], v[44:45]
	v_add_f64_e64 v[64:65], v[46:47], -v[58:59]
	v_add_f64_e64 v[38:39], v[38:39], -v[58:59]
	;; [unrolled: 1-line block ×3, first 2 shown]
	s_delay_alu instid0(VALU_DEP_4) | instskip(SKIP_2) | instid1(VALU_DEP_2)
	v_cmp_gt_f64_e32 vcc_lo, 0, v[54:55]
	v_add_f64_e64 v[54:55], v[52:53], -v[56:57]
	v_cndmask_b32_e64 v25, 0, 0x40100000, vcc_lo
	v_add_f64_e64 v[62:63], v[52:53], -v[54:55]
	v_add_f64_e64 v[40:41], v[40:41], -v[54:55]
	;; [unrolled: 1-line block ×3, first 2 shown]
	s_delay_alu instid0(VALU_DEP_4) | instskip(NEXT) | instid1(VALU_DEP_4)
	v_add_f64_e32 v[44:45], v[44:45], v[24:25]
	v_add_f64_e64 v[54:55], v[56:57], -v[62:63]
	s_delay_alu instid0(VALU_DEP_3) | instskip(NEXT) | instid1(VALU_DEP_3)
	v_add_f64_e32 v[38:39], v[38:39], v[52:53]
	v_add_f64_e32 v[60:61], v[48:49], v[44:45]
	s_delay_alu instid0(VALU_DEP_3) | instskip(NEXT) | instid1(VALU_DEP_2)
	v_add_f64_e32 v[40:41], v[40:41], v[54:55]
	v_cvt_i32_f64_e32 v25, v[60:61]
	s_delay_alu instid0(VALU_DEP_2) | instskip(SKIP_1) | instid1(VALU_DEP_3)
	v_add_f64_e32 v[38:39], v[40:41], v[38:39]
	v_add_f64_e64 v[40:41], v[46:47], -v[42:43]
	v_cvt_f64_i32_e32 v[58:59], v25
	s_delay_alu instid0(VALU_DEP_3) | instskip(NEXT) | instid1(VALU_DEP_2)
	v_add_f64_e32 v[36:37], v[36:37], v[38:39]
	v_add_f64_e64 v[44:45], v[44:45], -v[58:59]
	s_delay_alu instid0(VALU_DEP_2) | instskip(NEXT) | instid1(VALU_DEP_2)
	v_add_f64_e32 v[36:37], v[40:41], v[36:37]
	v_add_f64_e32 v[50:51], v[48:49], v[44:45]
	s_delay_alu instid0(VALU_DEP_1) | instskip(SKIP_1) | instid1(VALU_DEP_2)
	v_add_f64_e64 v[38:39], v[50:51], -v[44:45]
	v_cmp_le_f64_e32 vcc_lo, 0.5, v[50:51]
	v_add_f64_e64 v[38:39], v[48:49], -v[38:39]
	v_add_co_ci_u32_e64 v40, null, 0, v25, vcc_lo
	v_cndmask_b32_e64 v25, 0, 0x3ff00000, vcc_lo
	s_delay_alu instid0(VALU_DEP_3) | instskip(NEXT) | instid1(VALU_DEP_2)
	v_add_f64_e32 v[36:37], v[36:37], v[38:39]
	v_add_f64_e64 v[38:39], v[50:51], -v[24:25]
	s_delay_alu instid0(VALU_DEP_1) | instskip(NEXT) | instid1(VALU_DEP_1)
	v_add_f64_e32 v[42:43], v[38:39], v[36:37]
	v_mul_f64_e32 v[44:45], 0x3ff921fb54442d18, v[42:43]
	v_add_f64_e64 v[38:39], v[42:43], -v[38:39]
	s_delay_alu instid0(VALU_DEP_2) | instskip(NEXT) | instid1(VALU_DEP_2)
	v_fma_f64 v[46:47], v[42:43], s[14:15], -v[44:45]
	v_add_f64_e64 v[36:37], v[36:37], -v[38:39]
	s_delay_alu instid0(VALU_DEP_2) | instskip(NEXT) | instid1(VALU_DEP_1)
	v_fmac_f64_e32 v[46:47], 0x3c91a62633145c07, v[42:43]
	v_fmac_f64_e32 v[46:47], 0x3ff921fb54442d18, v[36:37]
	s_delay_alu instid0(VALU_DEP_1) | instskip(NEXT) | instid1(VALU_DEP_1)
	v_add_f64_e32 v[36:37], v[44:45], v[46:47]
	v_add_f64_e64 v[38:39], v[36:37], -v[44:45]
	s_delay_alu instid0(VALU_DEP_1)
	v_add_f64_e64 v[38:39], v[46:47], -v[38:39]
	s_and_not1_saveexec_b32 s2, s2
	s_cbranch_execnz .LBB131_69
	s_branch .LBB131_70
.LBB131_68:                             ;   in Loop: Header=BB131_4 Depth=1
	s_and_not1_saveexec_b32 s2, s2
	s_cbranch_execz .LBB131_70
.LBB131_69:                             ;   in Loop: Header=BB131_4 Depth=1
	v_mul_f64_e64 v[36:37], |v[20:21]|, s[16:17]
	s_delay_alu instid0(VALU_DEP_1) | instskip(NEXT) | instid1(VALU_DEP_1)
	v_rndne_f64_e32 v[40:41], v[36:37]
	v_fma_f64 v[36:37], v[40:41], s[18:19], |v[20:21]|
	v_mul_f64_e32 v[38:39], 0xbc91a62633145c00, v[40:41]
	s_delay_alu instid0(VALU_DEP_2) | instskip(NEXT) | instid1(VALU_DEP_2)
	v_fmamk_f64 v[46:47], v[40:41], 0xbc91a62633145c00, v[36:37]
	v_add_f64_e32 v[42:43], v[36:37], v[38:39]
	s_delay_alu instid0(VALU_DEP_1) | instskip(NEXT) | instid1(VALU_DEP_3)
	v_add_f64_e64 v[44:45], v[36:37], -v[42:43]
	v_add_f64_e64 v[36:37], v[42:43], -v[46:47]
	s_delay_alu instid0(VALU_DEP_2) | instskip(SKIP_1) | instid1(VALU_DEP_2)
	v_add_f64_e32 v[42:43], v[44:45], v[38:39]
	v_fmamk_f64 v[38:39], v[40:41], 0x3c91a62633145c00, v[38:39]
	v_add_f64_e32 v[36:37], v[36:37], v[42:43]
	s_delay_alu instid0(VALU_DEP_1) | instskip(NEXT) | instid1(VALU_DEP_1)
	v_add_f64_e64 v[38:39], v[36:37], -v[38:39]
	v_fmac_f64_e32 v[38:39], 0xb97b839a252049c0, v[40:41]
	v_cvt_i32_f64_e32 v40, v[40:41]
	s_delay_alu instid0(VALU_DEP_2) | instskip(NEXT) | instid1(VALU_DEP_1)
	v_add_f64_e32 v[36:37], v[46:47], v[38:39]
	v_add_f64_e64 v[42:43], v[36:37], -v[46:47]
	s_delay_alu instid0(VALU_DEP_1)
	v_add_f64_e64 v[38:39], v[38:39], -v[42:43]
.LBB131_70:                             ;   in Loop: Header=BB131_4 Depth=1
	s_or_b32 exec_lo, exec_lo, s2
	v_add_f64_e32 v[18:19], 0xc0937be319ba0da4, v[18:19]
	v_mul_f64_e32 v[44:45], v[14:15], v[14:15]
	v_cmp_class_f64_e64 s2, v[20:21], 0x1f8
	v_mul_f64_e32 v[46:47], v[36:37], v[36:37]
	s_delay_alu instid0(VALU_DEP_4) | instskip(NEXT) | instid1(VALU_DEP_4)
	v_mul_f64_e32 v[42:43], 0x3ff71547652b82fe, v[18:19]
	v_mul_f64_e32 v[48:49], 0.5, v[44:45]
	v_cmp_nlt_f64_e64 s3, 0x40900000, v[18:19]
	s_delay_alu instid0(VALU_DEP_4) | instskip(SKIP_4) | instid1(VALU_DEP_2)
	v_mul_f64_e64 v[70:71], v[36:37], -v[46:47]
	v_fmamk_f64 v[74:75], v[46:47], 0x3de5e0b2f9a43bb8, v[32:33]
	v_cmp_ngt_f64_e64 s4, 0xc090cc00, v[18:19]
	v_rndne_f64_e32 v[42:43], v[42:43]
	v_add_f64_e64 v[54:55], -v[48:49], 1.0
	v_fmamk_f64 v[52:53], v[42:43], 0xbfe62e42fefa39ef, v[18:19]
	s_delay_alu instid0(VALU_DEP_2) | instskip(SKIP_2) | instid1(VALU_DEP_4)
	v_add_f64_e64 v[62:63], -v[54:55], 1.0
	v_cvt_i32_f64_e32 v25, v[42:43]
	v_dual_lshlrev_b32 v19, 30, v40 :: v_dual_bitop2_b32 v18, 1, v40 bitop3:0x40
	v_fmac_f64_e32 v[52:53], 0xbc7abc9e3b39803f, v[42:43]
	s_delay_alu instid0(VALU_DEP_2) | instskip(SKIP_1) | instid1(VALU_DEP_3)
	v_cmp_eq_u32_e64 s5, 0, v18
	v_add_f64_e64 v[48:49], v[62:63], -v[48:49]
	v_fmamk_f64 v[66:67], v[52:53], 0x3e5ade156a5dcb37, v[28:29]
	s_delay_alu instid0(VALU_DEP_1) | instskip(NEXT) | instid1(VALU_DEP_1)
	v_fmaak_f64 v[66:67], v[52:53], v[66:67], 0x3ec71dee623fde64
	v_fmaak_f64 v[66:67], v[52:53], v[66:67], 0x3efa01997c89e6b0
	s_delay_alu instid0(VALU_DEP_1) | instskip(NEXT) | instid1(VALU_DEP_1)
	v_fmaak_f64 v[66:67], v[52:53], v[66:67], 0x3f2a01a014761f6e
	v_fmaak_f64 v[62:63], v[52:53], v[66:67], 0x3f56c16c1852b7b0
	;; [unrolled: 3-line block ×4, first 2 shown]
	s_delay_alu instid0(VALU_DEP_1) | instskip(NEXT) | instid1(VALU_DEP_1)
	v_fma_f64 v[62:63], v[52:53], v[62:63], 1.0
	v_fma_f64 v[42:43], v[52:53], v[62:63], 1.0
	s_delay_alu instid0(VALU_DEP_1)
	v_ldexp_f64 v[42:43], v[42:43], v25
	v_mul_f64_e32 v[58:59], 0.5, v[16:17]
	v_and_b32_e32 v25, 1, v1
	v_mul_f64_e64 v[60:61], v[14:15], -v[44:45]
	v_fmamk_f64 v[64:65], v[44:45], 0x3de5e0b2f9a43bb8, v[32:33]
	v_mul_f64_e32 v[66:67], v[44:45], v[44:45]
	v_lshlrev_b32_e32 v1, 30, v1
	v_cmp_eq_u32_e32 vcc_lo, 0, v25
	s_delay_alu instid0(VALU_DEP_4) | instskip(NEXT) | instid1(VALU_DEP_1)
	v_fmaak_f64 v[64:65], v[44:45], v[64:65], 0x3ec71de3796cde01
	v_fmaak_f64 v[64:65], v[44:45], v[64:65], 0xbf2a01a019e83e5c
	s_delay_alu instid0(VALU_DEP_1) | instskip(NEXT) | instid1(VALU_DEP_1)
	v_fmaak_f64 v[64:65], v[44:45], v[64:65], 0x3f81111111110bb3
	v_fmac_f64_e32 v[58:59], v[60:61], v[64:65]
	v_fmaak_f64 v[64:65], v[46:47], v[74:75], 0x3ec71de3796cde01
	s_delay_alu instid0(VALU_DEP_1) | instskip(NEXT) | instid1(VALU_DEP_1)
	v_fmaak_f64 v[64:65], v[46:47], v[64:65], 0xbf2a01a019e83e5c
	v_fmaak_f64 v[64:65], v[46:47], v[64:65], 0x3f81111111110bb3
	s_delay_alu instid0(VALU_DEP_4) | instskip(SKIP_1) | instid1(VALU_DEP_2)
	v_fma_f64 v[58:59], v[44:45], v[58:59], -v[16:17]
	v_fma_f64 v[16:17], v[14:15], -v[16:17], v[48:49]
	v_fmac_f64_e32 v[58:59], 0xbfc5555555555555, v[60:61]
	s_delay_alu instid0(VALU_DEP_1) | instskip(SKIP_1) | instid1(VALU_DEP_2)
	v_add_f64_e64 v[14:15], v[14:15], -v[58:59]
	v_mul_f64_e32 v[68:69], 0.5, v[38:39]
	v_xor_b32_e32 v15, 0x80000000, v15
	s_delay_alu instid0(VALU_DEP_2) | instskip(SKIP_1) | instid1(VALU_DEP_1)
	v_fmac_f64_e32 v[68:69], v[70:71], v[64:65]
	v_fmamk_f64 v[64:65], v[44:45], 0xbda907db46cc5e42, v[30:31]
	v_fmaak_f64 v[48:49], v[44:45], v[64:65], 0xbe927e4fa17f65f6
	s_delay_alu instid0(VALU_DEP_1) | instskip(NEXT) | instid1(VALU_DEP_1)
	v_fmaak_f64 v[48:49], v[44:45], v[48:49], 0x3efa01a019f4ec90
	v_fmaak_f64 v[48:49], v[44:45], v[48:49], 0xbf56c16c16c16967
	s_delay_alu instid0(VALU_DEP_1) | instskip(NEXT) | instid1(VALU_DEP_1)
	v_fmaak_f64 v[44:45], v[44:45], v[48:49], 0x3fa5555555555555
	v_fmac_f64_e32 v[16:17], v[66:67], v[44:45]
	s_delay_alu instid0(VALU_DEP_1) | instskip(NEXT) | instid1(VALU_DEP_1)
	v_add_f64_e32 v[16:17], v[54:55], v[16:17]
	v_cndmask_b32_e32 v14, v14, v16, vcc_lo
	v_cndmask_b32_e64 v16, 0x7ff00000, v43, s3
	s_delay_alu instid0(VALU_DEP_3) | instskip(SKIP_1) | instid1(VALU_DEP_3)
	v_cndmask_b32_e32 v15, v15, v17, vcc_lo
	s_and_b32 vcc_lo, s4, s3
	v_dual_cndmask_b32 v14, 0, v14, s2 :: v_dual_bitop2_b32 v17, v19, v21 bitop3:0x14
	v_mul_f64_e32 v[50:51], 0.5, v[46:47]
	v_dual_mul_f64 v[64:65], v[46:47], v[46:47] :: v_dual_cndmask_b32 v20, 0, v16, s4
	v_fma_f64 v[48:49], v[46:47], v[68:69], -v[38:39]
	v_bitop3_b32 v1, v15, v1, 0x80000000 bitop3:0x78
	s_delay_alu instid0(VALU_DEP_1) | instskip(NEXT) | instid1(VALU_DEP_4)
	v_cndmask_b32_e64 v15, 0x7ff80000, v1, s2
	v_lshrrev_b32_e32 v1, 20, v20
	s_delay_alu instid0(VALU_DEP_1) | instskip(SKIP_2) | instid1(VALU_DEP_2)
	v_add_nc_u32_e32 v1, 0xffffff09, v1
	v_add_f64_e64 v[56:57], -v[50:51], 1.0
	v_fmac_f64_e32 v[48:49], 0xbfc5555555555555, v[70:71]
	v_add_f64_e64 v[72:73], -v[56:57], 1.0
	s_delay_alu instid0(VALU_DEP_1) | instskip(SKIP_1) | instid1(VALU_DEP_2)
	v_add_f64_e64 v[50:51], v[72:73], -v[50:51]
	v_fmamk_f64 v[72:73], v[46:47], 0xbda907db46cc5e42, v[30:31]
	v_fma_f64 v[38:39], v[36:37], -v[38:39], v[50:51]
	s_delay_alu instid0(VALU_DEP_2) | instskip(SKIP_1) | instid1(VALU_DEP_2)
	v_fmaak_f64 v[50:51], v[46:47], v[72:73], 0xbe927e4fa17f65f6
	v_add_f64_e64 v[36:37], v[36:37], -v[48:49]
	v_fmaak_f64 v[44:45], v[46:47], v[50:51], 0x3efa01a019f4ec90
	s_delay_alu instid0(VALU_DEP_1) | instskip(NEXT) | instid1(VALU_DEP_1)
	v_fmaak_f64 v[44:45], v[46:47], v[44:45], 0xbf56c16c16c16967
	v_fmaak_f64 v[44:45], v[46:47], v[44:45], 0x3fa5555555555555
	s_delay_alu instid0(VALU_DEP_1) | instskip(NEXT) | instid1(VALU_DEP_1)
	v_fmac_f64_e32 v[38:39], v[64:65], v[44:45]
	v_add_f64_e32 v[38:39], v[56:57], v[38:39]
	s_delay_alu instid0(VALU_DEP_1) | instskip(NEXT) | instid1(VALU_DEP_1)
	v_dual_cndmask_b32 v18, v38, v36, s5 :: v_dual_cndmask_b32 v19, v39, v37, s5
	v_cndmask_b32_e64 v16, 0, v18, s2
	s_delay_alu instid0(VALU_DEP_2) | instskip(SKIP_2) | instid1(VALU_DEP_3)
	v_bitop3_b32 v17, v19, v17, 0x80000000 bitop3:0x78
	v_and_or_b32 v19, v20, s27, 0x7fe00000
	v_cndmask_b32_e32 v18, 0, v42, vcc_lo
	v_cndmask_b32_e64 v17, 0x7ff80000, v17, s2
	s_delay_alu instid0(VALU_DEP_2) | instskip(NEXT) | instid1(VALU_DEP_2)
	v_mul_f64_e32 v[14:15], v[18:19], v[14:15]
	v_mul_f64_e32 v[16:17], v[18:19], v[16:17]
	v_lshrrev_b16 v18, 15, v1
	s_delay_alu instid0(VALU_DEP_1) | instskip(NEXT) | instid1(VALU_DEP_1)
	v_add_nc_u16 v18, v1, v18
	v_ashrrev_i16 v18, 1, v18
	s_delay_alu instid0(VALU_DEP_1) | instskip(NEXT) | instid1(VALU_DEP_1)
	v_bfe_i32 v18, v18, 0, 16
	v_lshl_add_u32 v25, v18, 20, 0x3ff00000
	v_dual_mov_b32 v18, v24 :: v_dual_sub_nc_u32 v1, v1, v18
	s_delay_alu instid0(VALU_DEP_1) | instskip(NEXT) | instid1(VALU_DEP_3)
	v_lshl_add_u32 v19, v1, 20, 0x3ff00000
	v_mul_f64_e32 v[14:15], v[14:15], v[24:25]
	v_mul_f64_e32 v[16:17], v[16:17], v[24:25]
	s_delay_alu instid0(VALU_DEP_2) | instskip(NEXT) | instid1(VALU_DEP_2)
	v_mul_f64_e32 v[14:15], v[14:15], v[18:19]
	v_mul_f64_e32 v[16:17], v[16:17], v[18:19]
.LBB131_71:                             ;   in Loop: Header=BB131_4 Depth=1
	s_or_b32 exec_lo, exec_lo, s33
                                        ; implicit-def: $vgpr18_vgpr19
                                        ; implicit-def: $vgpr1
.LBB131_72:                             ;   in Loop: Header=BB131_4 Depth=1
	s_and_not1_saveexec_b32 s3, s31
	s_cbranch_execz .LBB131_78
; %bb.73:                               ;   in Loop: Header=BB131_4 Depth=1
	v_add_f64_e64 v[16:17], v[20:21], -v[20:21]
	v_cmp_ne_u32_e32 vcc_lo, 0, v18
	v_cmp_ne_u32_e64 s2, 0x7ff00000, v1
	s_or_b32 s2, vcc_lo, s2
	s_delay_alu instid0(SALU_CYCLE_1) | instskip(NEXT) | instid1(SALU_CYCLE_1)
	s_and_saveexec_b32 s4, s2
	s_xor_b32 s2, exec_lo, s4
; %bb.74:                               ;   in Loop: Header=BB131_4 Depth=1
                                        ; implicit-def: $vgpr18_vgpr19
; %bb.75:                               ;   in Loop: Header=BB131_4 Depth=1
	s_delay_alu instid0(SALU_CYCLE_1)
	s_or_saveexec_b32 s2, s2
	v_mov_b64_e32 v[14:15], v[16:17]
	s_xor_b32 exec_lo, exec_lo, s2
; %bb.76:                               ;   in Loop: Header=BB131_4 Depth=1
	v_cmp_lt_i64_e32 vcc_lo, -1, v[18:19]
	v_dual_cndmask_b32 v15, 0, v19 :: v_dual_cndmask_b32 v14, 0, v18
	v_dual_cndmask_b32 v17, 0, v17 :: v_dual_cndmask_b32 v16, 0, v16
; %bb.77:                               ;   in Loop: Header=BB131_4 Depth=1
	s_or_b32 exec_lo, exec_lo, s2
.LBB131_78:                             ;   in Loop: Header=BB131_4 Depth=1
	s_delay_alu instid0(SALU_CYCLE_1)
	s_or_b32 exec_lo, exec_lo, s3
                                        ; implicit-def: $vgpr20_vgpr21
.LBB131_79:                             ;   in Loop: Header=BB131_4 Depth=1
	s_and_not1_saveexec_b32 s4, s30
	s_cbranch_execz .LBB131_89
; %bb.80:                               ;   in Loop: Header=BB131_4 Depth=1
	v_cmp_ngt_f64_e64 s2, 0x41d00000, |v[20:21]|
	v_trig_preop_f64 v[38:39], |v[20:21]|, 0
	v_trig_preop_f64 v[36:37], |v[20:21]|, 1
	v_ldexp_f64 v[40:41], |v[20:21]|, 0xffffff80
	v_trig_preop_f64 v[18:19], |v[20:21]|, 2
	v_and_b32_e32 v48, 0x7fffffff, v21
                                        ; implicit-def: $vgpr1
                                        ; implicit-def: $vgpr14_vgpr15
                                        ; implicit-def: $vgpr16_vgpr17
	s_and_saveexec_b32 s3, s2
	s_delay_alu instid0(SALU_CYCLE_1)
	s_xor_b32 s3, exec_lo, s3
	s_cbranch_execz .LBB131_82
; %bb.81:                               ;   in Loop: Header=BB131_4 Depth=1
	v_cmp_le_f64_e64 vcc_lo, 0x7b000000, |v[20:21]|
	s_delay_alu instid0(VALU_DEP_4) | instskip(SKIP_1) | instid1(VALU_DEP_1)
	v_cndmask_b32_e32 v15, v48, v41, vcc_lo
	v_cndmask_b32_e32 v14, v20, v40, vcc_lo
	v_mul_f64_e32 v[16:17], v[38:39], v[14:15]
	v_mul_f64_e32 v[42:43], v[36:37], v[14:15]
	s_delay_alu instid0(VALU_DEP_2) | instskip(NEXT) | instid1(VALU_DEP_1)
	v_fma_f64 v[44:45], v[38:39], v[14:15], -v[16:17]
	v_add_f64_e32 v[46:47], v[42:43], v[44:45]
	s_delay_alu instid0(VALU_DEP_1) | instskip(SKIP_1) | instid1(VALU_DEP_2)
	v_add_f64_e64 v[50:51], v[46:47], -v[42:43]
	v_add_f64_e32 v[54:55], v[16:17], v[46:47]
	v_add_f64_e64 v[52:53], v[46:47], -v[50:51]
	v_fma_f64 v[58:59], v[36:37], v[14:15], -v[42:43]
	v_add_f64_e64 v[44:45], v[44:45], -v[50:51]
	s_delay_alu instid0(VALU_DEP_4) | instskip(SKIP_2) | instid1(VALU_DEP_3)
	v_ldexp_f64 v[50:51], v[54:55], -2
	v_mul_f64_e32 v[56:57], v[18:19], v[14:15]
	v_add_f64_e64 v[42:43], v[42:43], -v[52:53]
	v_cmp_neq_f64_e64 vcc_lo, 0x7ff00000, |v[50:51]|
	s_delay_alu instid0(VALU_DEP_3) | instskip(SKIP_1) | instid1(VALU_DEP_4)
	v_add_f64_e32 v[52:53], v[56:57], v[58:59]
	v_fma_f64 v[14:15], v[18:19], v[14:15], -v[56:57]
	v_add_f64_e32 v[42:43], v[44:45], v[42:43]
	v_fract_f64_e32 v[44:45], v[50:51]
	s_delay_alu instid0(VALU_DEP_1) | instskip(NEXT) | instid1(VALU_DEP_1)
	v_ldexp_f64 v[44:45], v[44:45], 2
	v_cndmask_b32_e32 v45, 0, v45, vcc_lo
	v_add_f64_e64 v[16:17], v[54:55], -v[16:17]
	s_delay_alu instid0(VALU_DEP_3) | instskip(NEXT) | instid1(VALU_DEP_2)
	v_cndmask_b32_e32 v44, 0, v44, vcc_lo
	v_add_f64_e64 v[16:17], v[46:47], -v[16:17]
	v_add_f64_e32 v[46:47], v[52:53], v[42:43]
	s_delay_alu instid0(VALU_DEP_1) | instskip(SKIP_1) | instid1(VALU_DEP_2)
	v_add_f64_e32 v[50:51], v[16:17], v[46:47]
	v_add_f64_e64 v[60:61], v[46:47], -v[52:53]
	v_add_f64_e32 v[54:55], v[50:51], v[44:45]
	s_delay_alu instid0(VALU_DEP_2) | instskip(SKIP_2) | instid1(VALU_DEP_4)
	v_add_f64_e64 v[66:67], v[46:47], -v[60:61]
	v_add_f64_e64 v[42:43], v[42:43], -v[60:61]
	;; [unrolled: 1-line block ×3, first 2 shown]
	v_cmp_gt_f64_e32 vcc_lo, 0, v[54:55]
	v_add_f64_e64 v[54:55], v[52:53], -v[56:57]
	s_delay_alu instid0(VALU_DEP_3) | instskip(SKIP_1) | instid1(VALU_DEP_3)
	v_add_f64_e64 v[16:17], v[46:47], -v[16:17]
	v_cndmask_b32_e64 v25, 0, 0x40100000, vcc_lo
	v_add_f64_e64 v[64:65], v[52:53], -v[54:55]
	v_add_f64_e64 v[54:55], v[58:59], -v[54:55]
	;; [unrolled: 1-line block ×3, first 2 shown]
	s_delay_alu instid0(VALU_DEP_4) | instskip(NEXT) | instid1(VALU_DEP_4)
	v_add_f64_e32 v[44:45], v[44:45], v[24:25]
	v_add_f64_e64 v[58:59], v[56:57], -v[64:65]
	s_delay_alu instid0(VALU_DEP_3) | instskip(NEXT) | instid1(VALU_DEP_3)
	v_add_f64_e32 v[42:43], v[42:43], v[52:53]
	v_add_f64_e32 v[62:63], v[50:51], v[44:45]
	s_delay_alu instid0(VALU_DEP_3) | instskip(NEXT) | instid1(VALU_DEP_2)
	v_add_f64_e32 v[54:55], v[54:55], v[58:59]
	v_cvt_i32_f64_e32 v1, v[62:63]
	s_delay_alu instid0(VALU_DEP_2) | instskip(NEXT) | instid1(VALU_DEP_2)
	v_add_f64_e32 v[42:43], v[54:55], v[42:43]
	v_cvt_f64_i32_e32 v[60:61], v1
	s_delay_alu instid0(VALU_DEP_2) | instskip(NEXT) | instid1(VALU_DEP_2)
	v_add_f64_e32 v[14:15], v[14:15], v[42:43]
	v_add_f64_e64 v[44:45], v[44:45], -v[60:61]
	s_delay_alu instid0(VALU_DEP_2) | instskip(NEXT) | instid1(VALU_DEP_2)
	v_add_f64_e32 v[14:15], v[16:17], v[14:15]
	v_add_f64_e32 v[52:53], v[50:51], v[44:45]
	s_delay_alu instid0(VALU_DEP_1) | instskip(SKIP_1) | instid1(VALU_DEP_2)
	v_add_f64_e64 v[42:43], v[52:53], -v[44:45]
	v_cmp_le_f64_e32 vcc_lo, 0.5, v[52:53]
	v_add_f64_e64 v[16:17], v[50:51], -v[42:43]
	v_cndmask_b32_e64 v25, 0, 0x3ff00000, vcc_lo
	v_add_co_ci_u32_e64 v1, null, 0, v1, vcc_lo
	s_delay_alu instid0(VALU_DEP_3) | instskip(NEXT) | instid1(VALU_DEP_3)
	v_add_f64_e32 v[14:15], v[14:15], v[16:17]
	v_add_f64_e64 v[16:17], v[52:53], -v[24:25]
	s_delay_alu instid0(VALU_DEP_1) | instskip(NEXT) | instid1(VALU_DEP_1)
	v_add_f64_e32 v[42:43], v[16:17], v[14:15]
	v_mul_f64_e32 v[44:45], 0x3ff921fb54442d18, v[42:43]
	v_add_f64_e64 v[16:17], v[42:43], -v[16:17]
	s_delay_alu instid0(VALU_DEP_2) | instskip(NEXT) | instid1(VALU_DEP_2)
	v_fma_f64 v[46:47], v[42:43], s[14:15], -v[44:45]
	v_add_f64_e64 v[14:15], v[14:15], -v[16:17]
	s_delay_alu instid0(VALU_DEP_2) | instskip(NEXT) | instid1(VALU_DEP_1)
	v_fmac_f64_e32 v[46:47], 0x3c91a62633145c07, v[42:43]
	v_fmac_f64_e32 v[46:47], 0x3ff921fb54442d18, v[14:15]
	s_delay_alu instid0(VALU_DEP_1) | instskip(NEXT) | instid1(VALU_DEP_1)
	v_add_f64_e32 v[14:15], v[44:45], v[46:47]
	v_add_f64_e64 v[16:17], v[14:15], -v[44:45]
	s_delay_alu instid0(VALU_DEP_1)
	v_add_f64_e64 v[16:17], v[46:47], -v[16:17]
.LBB131_82:                             ;   in Loop: Header=BB131_4 Depth=1
	s_or_saveexec_b32 s3, s3
	v_mul_f64_e64 v[42:43], |v[20:21]|, s[16:17]
	s_delay_alu instid0(VALU_DEP_1)
	v_rndne_f64_e32 v[46:47], v[42:43]
	s_xor_b32 exec_lo, exec_lo, s3
	s_cbranch_execz .LBB131_84
; %bb.83:                               ;   in Loop: Header=BB131_4 Depth=1
	s_delay_alu instid0(VALU_DEP_1) | instskip(SKIP_2) | instid1(VALU_DEP_3)
	v_fma_f64 v[14:15], v[46:47], s[18:19], |v[20:21]|
	v_mul_f64_e32 v[16:17], 0xbc91a62633145c00, v[46:47]
	v_cvt_i32_f64_e32 v1, v[46:47]
	v_fmamk_f64 v[50:51], v[46:47], 0xbc91a62633145c00, v[14:15]
	s_delay_alu instid0(VALU_DEP_3) | instskip(NEXT) | instid1(VALU_DEP_1)
	v_add_f64_e32 v[42:43], v[14:15], v[16:17]
	v_add_f64_e64 v[44:45], v[14:15], -v[42:43]
	s_delay_alu instid0(VALU_DEP_3) | instskip(NEXT) | instid1(VALU_DEP_2)
	v_add_f64_e64 v[14:15], v[42:43], -v[50:51]
	v_add_f64_e32 v[42:43], v[44:45], v[16:17]
	v_fmamk_f64 v[16:17], v[46:47], 0x3c91a62633145c00, v[16:17]
	s_delay_alu instid0(VALU_DEP_2) | instskip(NEXT) | instid1(VALU_DEP_1)
	v_add_f64_e32 v[14:15], v[14:15], v[42:43]
	v_add_f64_e64 v[16:17], v[14:15], -v[16:17]
	s_delay_alu instid0(VALU_DEP_1) | instskip(NEXT) | instid1(VALU_DEP_1)
	v_fmac_f64_e32 v[16:17], 0xb97b839a252049c0, v[46:47]
	v_add_f64_e32 v[14:15], v[50:51], v[16:17]
	s_delay_alu instid0(VALU_DEP_1) | instskip(NEXT) | instid1(VALU_DEP_1)
	v_add_f64_e64 v[42:43], v[14:15], -v[50:51]
	v_add_f64_e64 v[16:17], v[16:17], -v[42:43]
.LBB131_84:                             ;   in Loop: Header=BB131_4 Depth=1
	s_or_b32 exec_lo, exec_lo, s3
                                        ; implicit-def: $vgpr49
                                        ; implicit-def: $vgpr42_vgpr43
                                        ; implicit-def: $vgpr44_vgpr45
	s_and_saveexec_b32 s3, s2
	s_delay_alu instid0(SALU_CYCLE_1)
	s_xor_b32 s2, exec_lo, s3
	s_cbranch_execz .LBB131_86
; %bb.85:                               ;   in Loop: Header=BB131_4 Depth=1
	v_cmp_le_f64_e64 vcc_lo, 0x7b000000, |v[20:21]|
	v_cndmask_b32_e32 v41, v48, v41, vcc_lo
	v_cndmask_b32_e32 v40, v20, v40, vcc_lo
	s_delay_alu instid0(VALU_DEP_1) | instskip(SKIP_1) | instid1(VALU_DEP_2)
	v_mul_f64_e32 v[42:43], v[38:39], v[40:41]
	v_mul_f64_e32 v[44:45], v[36:37], v[40:41]
	v_fma_f64 v[38:39], v[38:39], v[40:41], -v[42:43]
	s_delay_alu instid0(VALU_DEP_1) | instskip(NEXT) | instid1(VALU_DEP_1)
	v_add_f64_e32 v[46:47], v[44:45], v[38:39]
	v_add_f64_e64 v[48:49], v[46:47], -v[44:45]
	v_add_f64_e32 v[52:53], v[42:43], v[46:47]
	s_delay_alu instid0(VALU_DEP_2) | instskip(SKIP_1) | instid1(VALU_DEP_3)
	v_add_f64_e64 v[50:51], v[46:47], -v[48:49]
	v_add_f64_e64 v[38:39], v[38:39], -v[48:49]
	v_ldexp_f64 v[48:49], v[52:53], -2
	s_delay_alu instid0(VALU_DEP_1) | instskip(SKIP_1) | instid1(VALU_DEP_1)
	v_cmp_neq_f64_e64 vcc_lo, 0x7ff00000, |v[48:49]|
	v_add_f64_e64 v[42:43], v[52:53], -v[42:43]
	v_add_f64_e64 v[42:43], v[46:47], -v[42:43]
	v_mul_f64_e32 v[54:55], v[18:19], v[40:41]
	v_fma_f64 v[36:37], v[36:37], v[40:41], -v[44:45]
	v_add_f64_e64 v[44:45], v[44:45], -v[50:51]
	s_delay_alu instid0(VALU_DEP_3) | instskip(NEXT) | instid1(VALU_DEP_3)
	v_fma_f64 v[18:19], v[18:19], v[40:41], -v[54:55]
	v_add_f64_e32 v[50:51], v[54:55], v[36:37]
	s_delay_alu instid0(VALU_DEP_3) | instskip(SKIP_1) | instid1(VALU_DEP_2)
	v_add_f64_e32 v[38:39], v[38:39], v[44:45]
	v_fract_f64_e32 v[44:45], v[48:49]
	v_add_f64_e32 v[46:47], v[50:51], v[38:39]
	s_delay_alu instid0(VALU_DEP_2) | instskip(NEXT) | instid1(VALU_DEP_1)
	v_ldexp_f64 v[44:45], v[44:45], 2
	v_dual_add_f64 v[48:49], v[42:43], v[46:47] :: v_dual_cndmask_b32 v45, 0, v45, vcc_lo
	s_delay_alu instid0(VALU_DEP_2) | instskip(NEXT) | instid1(VALU_DEP_1)
	v_dual_add_f64 v[56:57], v[46:47], -v[50:51] :: v_dual_cndmask_b32 v44, 0, v44, vcc_lo
	v_add_f64_e32 v[52:53], v[48:49], v[44:45]
	v_add_f64_e64 v[40:41], v[48:49], -v[42:43]
	s_delay_alu instid0(VALU_DEP_3) | instskip(SKIP_1) | instid1(VALU_DEP_4)
	v_add_f64_e64 v[62:63], v[46:47], -v[56:57]
	v_add_f64_e64 v[38:39], v[38:39], -v[56:57]
	v_cmp_gt_f64_e32 vcc_lo, 0, v[52:53]
	v_add_f64_e64 v[52:53], v[50:51], -v[54:55]
	v_add_f64_e64 v[40:41], v[46:47], -v[40:41]
                                        ; implicit-def: $vgpr46_vgpr47
	v_cndmask_b32_e64 v25, 0, 0x40100000, vcc_lo
	s_delay_alu instid0(VALU_DEP_3) | instskip(SKIP_2) | instid1(VALU_DEP_4)
	v_add_f64_e64 v[60:61], v[50:51], -v[52:53]
	v_add_f64_e64 v[36:37], v[36:37], -v[52:53]
	;; [unrolled: 1-line block ×3, first 2 shown]
	v_add_f64_e32 v[44:45], v[44:45], v[24:25]
	s_delay_alu instid0(VALU_DEP_4) | instskip(NEXT) | instid1(VALU_DEP_3)
	v_add_f64_e64 v[52:53], v[54:55], -v[60:61]
	v_add_f64_e32 v[38:39], v[38:39], v[50:51]
	s_delay_alu instid0(VALU_DEP_3) | instskip(NEXT) | instid1(VALU_DEP_3)
	v_add_f64_e32 v[58:59], v[48:49], v[44:45]
	v_add_f64_e32 v[36:37], v[36:37], v[52:53]
	s_delay_alu instid0(VALU_DEP_2) | instskip(NEXT) | instid1(VALU_DEP_2)
	v_cvt_i32_f64_e32 v25, v[58:59]
	v_add_f64_e32 v[36:37], v[36:37], v[38:39]
	s_delay_alu instid0(VALU_DEP_2) | instskip(NEXT) | instid1(VALU_DEP_2)
	v_cvt_f64_i32_e32 v[56:57], v25
	v_add_f64_e32 v[18:19], v[18:19], v[36:37]
	s_delay_alu instid0(VALU_DEP_2) | instskip(NEXT) | instid1(VALU_DEP_2)
	v_add_f64_e64 v[44:45], v[44:45], -v[56:57]
	v_add_f64_e32 v[18:19], v[40:41], v[18:19]
	s_delay_alu instid0(VALU_DEP_2) | instskip(NEXT) | instid1(VALU_DEP_1)
	v_add_f64_e32 v[38:39], v[48:49], v[44:45]
	v_add_f64_e64 v[36:37], v[38:39], -v[44:45]
	v_cmp_le_f64_e32 vcc_lo, 0.5, v[38:39]
	s_delay_alu instid0(VALU_DEP_2) | instskip(SKIP_2) | instid1(VALU_DEP_3)
	v_add_f64_e64 v[36:37], v[48:49], -v[36:37]
	v_add_co_ci_u32_e64 v49, null, 0, v25, vcc_lo
	v_cndmask_b32_e64 v25, 0, 0x3ff00000, vcc_lo
	v_add_f64_e32 v[18:19], v[18:19], v[36:37]
	s_delay_alu instid0(VALU_DEP_2) | instskip(NEXT) | instid1(VALU_DEP_1)
	v_add_f64_e64 v[36:37], v[38:39], -v[24:25]
	v_add_f64_e32 v[38:39], v[36:37], v[18:19]
	s_delay_alu instid0(VALU_DEP_1) | instskip(SKIP_1) | instid1(VALU_DEP_2)
	v_mul_f64_e32 v[40:41], 0x3ff921fb54442d18, v[38:39]
	v_add_f64_e64 v[36:37], v[38:39], -v[36:37]
	v_fma_f64 v[44:45], v[38:39], s[14:15], -v[40:41]
	s_delay_alu instid0(VALU_DEP_2) | instskip(NEXT) | instid1(VALU_DEP_2)
	v_add_f64_e64 v[18:19], v[18:19], -v[36:37]
	v_fmac_f64_e32 v[44:45], 0x3c91a62633145c07, v[38:39]
	s_delay_alu instid0(VALU_DEP_1) | instskip(NEXT) | instid1(VALU_DEP_1)
	v_fmac_f64_e32 v[44:45], 0x3ff921fb54442d18, v[18:19]
	v_add_f64_e32 v[42:43], v[40:41], v[44:45]
	s_delay_alu instid0(VALU_DEP_1) | instskip(NEXT) | instid1(VALU_DEP_1)
	v_add_f64_e64 v[18:19], v[42:43], -v[40:41]
	v_add_f64_e64 v[44:45], v[44:45], -v[18:19]
	s_and_not1_saveexec_b32 s2, s2
	s_cbranch_execnz .LBB131_87
	s_branch .LBB131_88
.LBB131_86:                             ;   in Loop: Header=BB131_4 Depth=1
	s_and_not1_saveexec_b32 s2, s2
	s_cbranch_execz .LBB131_88
.LBB131_87:                             ;   in Loop: Header=BB131_4 Depth=1
	s_delay_alu instid0(VALU_DEP_1) | instskip(SKIP_2) | instid1(VALU_DEP_2)
	v_fma_f64 v[18:19], v[46:47], s[18:19], |v[20:21]|
	v_mul_f64_e32 v[36:37], 0xbc91a62633145c00, v[46:47]
	v_cvt_i32_f64_e32 v49, v[46:47]
	v_add_f64_e32 v[38:39], v[18:19], v[36:37]
	s_delay_alu instid0(VALU_DEP_1) | instskip(SKIP_1) | instid1(VALU_DEP_1)
	v_add_f64_e64 v[40:41], v[18:19], -v[38:39]
	v_fmamk_f64 v[18:19], v[46:47], 0xbc91a62633145c00, v[18:19]
	v_add_f64_e64 v[38:39], v[38:39], -v[18:19]
	s_delay_alu instid0(VALU_DEP_3) | instskip(SKIP_1) | instid1(VALU_DEP_2)
	v_add_f64_e32 v[40:41], v[40:41], v[36:37]
	v_fmamk_f64 v[36:37], v[46:47], 0x3c91a62633145c00, v[36:37]
	v_add_f64_e32 v[38:39], v[38:39], v[40:41]
	s_delay_alu instid0(VALU_DEP_1) | instskip(NEXT) | instid1(VALU_DEP_1)
	v_add_f64_e64 v[36:37], v[38:39], -v[36:37]
	v_fmac_f64_e32 v[36:37], 0xb97b839a252049c0, v[46:47]
	s_delay_alu instid0(VALU_DEP_1) | instskip(NEXT) | instid1(VALU_DEP_1)
	v_add_f64_e32 v[42:43], v[18:19], v[36:37]
	v_add_f64_e64 v[18:19], v[42:43], -v[18:19]
	s_delay_alu instid0(VALU_DEP_1)
	v_add_f64_e64 v[44:45], v[36:37], -v[18:19]
.LBB131_88:                             ;   in Loop: Header=BB131_4 Depth=1
	s_or_b32 exec_lo, exec_lo, s2
	v_dual_mul_f64 v[18:19], v[14:15], v[14:15] :: v_dual_bitop2_b32 v25, 1, v1 bitop3:0x40
	v_mul_f64_e32 v[36:37], v[42:43], v[42:43]
	s_delay_alu instid0(VALU_DEP_3)
	v_mul_f64_e32 v[52:53], 0.5, v[16:17]
	v_cmp_class_f64_e64 s2, v[20:21], 0x1f8
	v_mul_f64_e32 v[60:61], 0.5, v[44:45]
	v_cmp_eq_u32_e32 vcc_lo, 0, v25
	v_lshlrev_b32_e32 v20, 30, v49
	v_dual_mul_f64 v[38:39], 0.5, v[18:19] :: v_dual_lshlrev_b32 v1, 30, v1
	v_mul_f64_e64 v[54:55], v[14:15], -v[18:19]
	v_fmamk_f64 v[58:59], v[18:19], 0x3de5e0b2f9a43bb8, v[32:33]
	v_mul_f64_e64 v[62:63], v[42:43], -v[36:37]
	v_fmamk_f64 v[66:67], v[36:37], 0x3de5e0b2f9a43bb8, v[32:33]
	s_delay_alu instid0(VALU_DEP_3) | instskip(NEXT) | instid1(VALU_DEP_1)
	v_fmaak_f64 v[58:59], v[18:19], v[58:59], 0x3ec71de3796cde01
	v_fmaak_f64 v[58:59], v[18:19], v[58:59], 0xbf2a01a019e83e5c
	s_delay_alu instid0(VALU_DEP_1) | instskip(SKIP_1) | instid1(VALU_DEP_2)
	v_fmaak_f64 v[58:59], v[18:19], v[58:59], 0x3f81111111110bb3
	v_add_f64_e64 v[46:47], -v[38:39], 1.0
	v_fmac_f64_e32 v[52:53], v[54:55], v[58:59]
	v_mul_f64_e32 v[58:59], v[18:19], v[18:19]
	s_delay_alu instid0(VALU_DEP_3) | instskip(NEXT) | instid1(VALU_DEP_3)
	v_add_f64_e64 v[56:57], -v[46:47], 1.0
	v_fma_f64 v[52:53], v[18:19], v[52:53], -v[16:17]
	s_delay_alu instid0(VALU_DEP_2) | instskip(SKIP_1) | instid1(VALU_DEP_3)
	v_add_f64_e64 v[38:39], v[56:57], -v[38:39]
	v_fmaak_f64 v[56:57], v[36:37], v[66:67], 0x3ec71de3796cde01
	v_fmac_f64_e32 v[52:53], 0xbfc5555555555555, v[54:55]
	s_delay_alu instid0(VALU_DEP_2) | instskip(NEXT) | instid1(VALU_DEP_1)
	v_fmaak_f64 v[56:57], v[36:37], v[56:57], 0xbf2a01a019e83e5c
	v_fmaak_f64 v[56:57], v[36:37], v[56:57], 0x3f81111111110bb3
	s_delay_alu instid0(VALU_DEP_1) | instskip(SKIP_2) | instid1(VALU_DEP_2)
	v_fmac_f64_e32 v[60:61], v[62:63], v[56:57]
	v_fmamk_f64 v[56:57], v[18:19], 0xbda907db46cc5e42, v[30:31]
	v_fma_f64 v[16:17], v[14:15], -v[16:17], v[38:39]
	v_fmaak_f64 v[38:39], v[18:19], v[56:57], 0xbe927e4fa17f65f6
	v_add_f64_e64 v[14:15], v[14:15], -v[52:53]
	s_delay_alu instid0(VALU_DEP_2) | instskip(NEXT) | instid1(VALU_DEP_1)
	v_fmaak_f64 v[38:39], v[18:19], v[38:39], 0x3efa01a019f4ec90
	v_fmaak_f64 v[38:39], v[18:19], v[38:39], 0xbf56c16c16c16967
	s_delay_alu instid0(VALU_DEP_1) | instskip(NEXT) | instid1(VALU_DEP_1)
	v_fmaak_f64 v[18:19], v[18:19], v[38:39], 0x3fa5555555555555
	v_fmac_f64_e32 v[16:17], v[58:59], v[18:19]
	v_xor_b32_e32 v15, 0x80000000, v15
	s_delay_alu instid0(VALU_DEP_2) | instskip(NEXT) | instid1(VALU_DEP_1)
	v_add_f64_e32 v[16:17], v[46:47], v[16:17]
	v_dual_cndmask_b32 v14, v14, v16, vcc_lo :: v_dual_bitop2_b32 v16, 1, v49 bitop3:0x40
	v_fmamk_f64 v[56:57], v[36:37], 0xbda907db46cc5e42, v[30:31]
	v_fma_f64 v[60:61], v[36:37], v[60:61], -v[44:45]
	s_delay_alu instid0(VALU_DEP_3) | instskip(NEXT) | instid1(VALU_DEP_4)
	v_dual_cndmask_b32 v15, v15, v17, vcc_lo :: v_dual_cndmask_b32 v14, 0, v14, s2
	v_cmp_eq_u32_e64 s3, 0, v16
	v_mul_f64_e32 v[40:41], 0.5, v[36:37]
	v_xor_b32_e32 v16, v20, v21
	v_fmaak_f64 v[38:39], v[36:37], v[56:57], 0xbe927e4fa17f65f6
	s_delay_alu instid0(VALU_DEP_1) | instskip(NEXT) | instid1(VALU_DEP_1)
	v_fmaak_f64 v[18:19], v[36:37], v[38:39], 0x3efa01a019f4ec90
	v_fmaak_f64 v[18:19], v[36:37], v[18:19], 0xbf56c16c16c16967
	s_delay_alu instid0(VALU_DEP_1) | instskip(SKIP_2) | instid1(VALU_DEP_1)
	v_fmaak_f64 v[18:19], v[36:37], v[18:19], 0x3fa5555555555555
	v_fmac_f64_e32 v[60:61], 0xbfc5555555555555, v[62:63]
	v_add_f64_e64 v[50:51], -v[40:41], 1.0
	v_add_f64_e64 v[64:65], -v[50:51], 1.0
	s_delay_alu instid0(VALU_DEP_1) | instskip(SKIP_1) | instid1(VALU_DEP_2)
	v_add_f64_e64 v[40:41], v[64:65], -v[40:41]
	v_mul_f64_e32 v[64:65], v[36:37], v[36:37]
	v_fma_f64 v[40:41], v[42:43], -v[44:45], v[40:41]
	s_delay_alu instid0(VALU_DEP_1) | instskip(SKIP_1) | instid1(VALU_DEP_2)
	v_fmac_f64_e32 v[40:41], v[64:65], v[18:19]
	v_add_f64_e64 v[18:19], v[42:43], -v[60:61]
	v_add_f64_e32 v[36:37], v[50:51], v[40:41]
	s_delay_alu instid0(VALU_DEP_1) | instskip(NEXT) | instid1(VALU_DEP_1)
	v_dual_cndmask_b32 v17, v36, v18, s3 :: v_dual_cndmask_b32 v18, v37, v19, s3
	v_bitop3_b32 v18, v18, v16, 0x80000000 bitop3:0x78
	s_delay_alu instid0(VALU_DEP_2) | instskip(SKIP_1) | instid1(VALU_DEP_3)
	v_cndmask_b32_e64 v16, 0, v17, s2
	v_bitop3_b32 v1, v15, v1, 0x80000000 bitop3:0x78
	v_cndmask_b32_e64 v17, 0x7ff80000, v18, s2
	s_delay_alu instid0(VALU_DEP_2)
	v_cndmask_b32_e64 v15, 0x7ff80000, v1, s2
.LBB131_89:                             ;   in Loop: Header=BB131_4 Depth=1
	s_or_b32 exec_lo, exec_lo, s4
                                        ; implicit-def: $vgpr18_vgpr19
.LBB131_90:                             ;   in Loop: Header=BB131_4 Depth=1
	s_and_not1_saveexec_b32 s3, s29
	s_cbranch_execz .LBB131_92
; %bb.91:                               ;   in Loop: Header=BB131_4 Depth=1
	v_mul_f64_e32 v[14:15], 0x3ff71547652b82fe, v[18:19]
	v_cmp_nlt_f64_e32 vcc_lo, 0x40900000, v[18:19]
	v_cmp_ngt_f64_e64 s2, 0xc090cc00, v[18:19]
	s_delay_alu instid0(VALU_DEP_3) | instskip(NEXT) | instid1(VALU_DEP_1)
	v_rndne_f64_e32 v[14:15], v[14:15]
	v_fmamk_f64 v[16:17], v[14:15], 0xbfe62e42fefa39ef, v[18:19]
	v_cvt_i32_f64_e32 v1, v[14:15]
	s_delay_alu instid0(VALU_DEP_2) | instskip(NEXT) | instid1(VALU_DEP_1)
	v_fmac_f64_e32 v[16:17], 0xbc7abc9e3b39803f, v[14:15]
	v_fmamk_f64 v[36:37], v[16:17], 0x3e5ade156a5dcb37, v[28:29]
	s_delay_alu instid0(VALU_DEP_1) | instskip(NEXT) | instid1(VALU_DEP_1)
	v_fmaak_f64 v[36:37], v[16:17], v[36:37], 0x3ec71dee623fde64
	v_fmaak_f64 v[36:37], v[16:17], v[36:37], 0x3efa01997c89e6b0
	s_delay_alu instid0(VALU_DEP_1) | instskip(NEXT) | instid1(VALU_DEP_1)
	v_fmaak_f64 v[36:37], v[16:17], v[36:37], 0x3f2a01a014761f6e
	v_fmaak_f64 v[36:37], v[16:17], v[36:37], 0x3f56c16c1852b7b0
	;; [unrolled: 3-line block ×4, first 2 shown]
	s_delay_alu instid0(VALU_DEP_1) | instskip(NEXT) | instid1(VALU_DEP_1)
	v_fma_f64 v[36:37], v[16:17], v[36:37], 1.0
	v_fma_f64 v[14:15], v[16:17], v[36:37], 1.0
	v_mov_b64_e32 v[16:17], v[20:21]
	s_delay_alu instid0(VALU_DEP_2) | instskip(NEXT) | instid1(VALU_DEP_1)
	v_ldexp_f64 v[14:15], v[14:15], v1
	v_cndmask_b32_e32 v1, 0x7ff00000, v15, vcc_lo
	s_and_b32 vcc_lo, s2, vcc_lo
	s_delay_alu instid0(VALU_DEP_1) | instid1(SALU_CYCLE_1)
	v_dual_cndmask_b32 v14, 0, v14, vcc_lo :: v_dual_cndmask_b32 v15, 0, v1, s2
.LBB131_92:                             ;   in Loop: Header=BB131_4 Depth=1
	s_or_b32 exec_lo, exec_lo, s3
	s_wait_loadcnt 0x0
	v_and_b32_e32 v18, 0x7fffffff, v13
                                        ; implicit-def: $vgpr20_vgpr21
	s_mov_b32 s2, exec_lo
	s_delay_alu instid0(VALU_DEP_1) | instskip(NEXT) | instid1(VALU_DEP_1)
	v_or_b32_e32 v1, v18, v12
	v_cmpx_ne_u32_e32 0, v1
	s_xor_b32 s29, exec_lo, s2
	s_cbranch_execz .LBB131_134
; %bb.93:                               ;   in Loop: Header=BB131_4 Depth=1
	v_and_b32_e32 v1, 0x7fffffff, v11
	s_delay_alu instid0(VALU_DEP_1) | instskip(NEXT) | instid1(VALU_DEP_1)
	v_or_b32_e32 v19, v1, v10
	v_cmp_ne_u32_e32 vcc_lo, 0, v19
                                        ; implicit-def: $vgpr20_vgpr21
	s_and_saveexec_b32 s2, vcc_lo
	s_delay_alu instid0(SALU_CYCLE_1)
	s_xor_b32 s30, exec_lo, s2
	s_cbranch_execz .LBB131_123
; %bb.94:                               ;   in Loop: Header=BB131_4 Depth=1
	v_cmp_gt_u32_e32 vcc_lo, 0x7ff00000, v18
                                        ; implicit-def: $vgpr20_vgpr21
	s_and_saveexec_b32 s2, vcc_lo
	s_delay_alu instid0(SALU_CYCLE_1)
	s_xor_b32 s31, exec_lo, s2
	s_cbranch_execz .LBB131_116
; %bb.95:                               ;   in Loop: Header=BB131_4 Depth=1
	v_add_nc_u32_e32 v1, 0xbf79d1be, v11
                                        ; implicit-def: $vgpr20_vgpr21
	s_mov_b32 s2, exec_lo
	s_delay_alu instid0(VALU_DEP_1)
	v_cmpx_lt_u32_e32 0x108aa2, v1
	s_xor_b32 s33, exec_lo, s2
	s_cbranch_execz .LBB131_105
; %bb.96:                               ;   in Loop: Header=BB131_4 Depth=1
	v_cmp_ngt_f64_e64 s2, 0x41d00000, |v[12:13]|
                                        ; implicit-def: $vgpr1
                                        ; implicit-def: $vgpr18_vgpr19
                                        ; implicit-def: $vgpr20_vgpr21
	s_and_saveexec_b32 s3, s2
	s_delay_alu instid0(SALU_CYCLE_1)
	s_xor_b32 s3, exec_lo, s3
	s_cbranch_execz .LBB131_98
; %bb.97:                               ;   in Loop: Header=BB131_4 Depth=1
	v_ldexp_f64 v[18:19], |v[12:13]|, 0xffffff80
	v_cmp_le_f64_e64 vcc_lo, 0x7b000000, |v[12:13]|
	v_trig_preop_f64 v[20:21], |v[12:13]|, 0
	v_and_b32_e32 v1, 0x7fffffff, v13
	v_trig_preop_f64 v[36:37], |v[12:13]|, 1
	v_trig_preop_f64 v[46:47], |v[12:13]|, 2
	s_delay_alu instid0(VALU_DEP_3) | instskip(NEXT) | instid1(VALU_DEP_1)
	v_dual_cndmask_b32 v19, v1, v19 :: v_dual_cndmask_b32 v18, v12, v18
	v_mul_f64_e32 v[38:39], v[20:21], v[18:19]
	s_delay_alu instid0(VALU_DEP_4) | instskip(NEXT) | instid1(VALU_DEP_4)
	v_mul_f64_e32 v[40:41], v[36:37], v[18:19]
	v_mul_f64_e32 v[52:53], v[46:47], v[18:19]
	s_delay_alu instid0(VALU_DEP_3) | instskip(NEXT) | instid1(VALU_DEP_3)
	v_fma_f64 v[20:21], v[20:21], v[18:19], -v[38:39]
	v_fma_f64 v[36:37], v[36:37], v[18:19], -v[40:41]
	s_delay_alu instid0(VALU_DEP_3) | instskip(NEXT) | instid1(VALU_DEP_3)
	v_fma_f64 v[18:19], v[46:47], v[18:19], -v[52:53]
	v_add_f64_e32 v[42:43], v[40:41], v[20:21]
	s_delay_alu instid0(VALU_DEP_1) | instskip(SKIP_1) | instid1(VALU_DEP_2)
	v_add_f64_e64 v[44:45], v[42:43], -v[40:41]
	v_add_f64_e32 v[50:51], v[38:39], v[42:43]
	v_add_f64_e64 v[48:49], v[42:43], -v[44:45]
	v_add_f64_e64 v[20:21], v[20:21], -v[44:45]
	s_delay_alu instid0(VALU_DEP_3) | instskip(NEXT) | instid1(VALU_DEP_3)
	v_ldexp_f64 v[44:45], v[50:51], -2
	v_add_f64_e64 v[40:41], v[40:41], -v[48:49]
	v_add_f64_e32 v[48:49], v[52:53], v[36:37]
	s_delay_alu instid0(VALU_DEP_3) | instskip(NEXT) | instid1(VALU_DEP_3)
	v_cmp_neq_f64_e64 vcc_lo, 0x7ff00000, |v[44:45]|
	v_add_f64_e32 v[20:21], v[20:21], v[40:41]
	v_fract_f64_e32 v[40:41], v[44:45]
	s_delay_alu instid0(VALU_DEP_1) | instskip(NEXT) | instid1(VALU_DEP_1)
	v_ldexp_f64 v[40:41], v[40:41], 2
	v_dual_add_f64 v[38:39], v[50:51], -v[38:39] :: v_dual_cndmask_b32 v41, 0, v41, vcc_lo
	s_delay_alu instid0(VALU_DEP_1) | instskip(SKIP_1) | instid1(VALU_DEP_1)
	v_dual_add_f64 v[38:39], v[42:43], -v[38:39] :: v_dual_cndmask_b32 v40, 0, v40, vcc_lo
	v_add_f64_e32 v[42:43], v[48:49], v[20:21]
	v_add_f64_e32 v[44:45], v[38:39], v[42:43]
	v_add_f64_e64 v[54:55], v[42:43], -v[48:49]
	s_delay_alu instid0(VALU_DEP_2) | instskip(NEXT) | instid1(VALU_DEP_2)
	v_add_f64_e32 v[50:51], v[44:45], v[40:41]
	v_add_f64_e64 v[60:61], v[42:43], -v[54:55]
	v_add_f64_e64 v[20:21], v[20:21], -v[54:55]
	;; [unrolled: 1-line block ×3, first 2 shown]
	s_delay_alu instid0(VALU_DEP_4) | instskip(SKIP_1) | instid1(VALU_DEP_3)
	v_cmp_gt_f64_e32 vcc_lo, 0, v[50:51]
	v_add_f64_e64 v[50:51], v[48:49], -v[52:53]
	v_add_f64_e64 v[38:39], v[42:43], -v[38:39]
	v_cndmask_b32_e64 v25, 0, 0x40100000, vcc_lo
	s_delay_alu instid0(VALU_DEP_3) | instskip(SKIP_2) | instid1(VALU_DEP_4)
	v_add_f64_e64 v[58:59], v[48:49], -v[50:51]
	v_add_f64_e64 v[36:37], v[36:37], -v[50:51]
	v_add_f64_e64 v[48:49], v[48:49], -v[60:61]
	v_add_f64_e32 v[40:41], v[40:41], v[24:25]
	s_delay_alu instid0(VALU_DEP_4) | instskip(NEXT) | instid1(VALU_DEP_3)
	v_add_f64_e64 v[50:51], v[52:53], -v[58:59]
	v_add_f64_e32 v[20:21], v[20:21], v[48:49]
	s_delay_alu instid0(VALU_DEP_3) | instskip(NEXT) | instid1(VALU_DEP_3)
	v_add_f64_e32 v[56:57], v[44:45], v[40:41]
	v_add_f64_e32 v[36:37], v[36:37], v[50:51]
	s_delay_alu instid0(VALU_DEP_2) | instskip(NEXT) | instid1(VALU_DEP_2)
	v_cvt_i32_f64_e32 v1, v[56:57]
	v_add_f64_e32 v[20:21], v[36:37], v[20:21]
	s_delay_alu instid0(VALU_DEP_2) | instskip(NEXT) | instid1(VALU_DEP_2)
	v_cvt_f64_i32_e32 v[54:55], v1
	v_add_f64_e32 v[18:19], v[18:19], v[20:21]
	s_delay_alu instid0(VALU_DEP_2) | instskip(NEXT) | instid1(VALU_DEP_2)
	v_add_f64_e64 v[40:41], v[40:41], -v[54:55]
	v_add_f64_e32 v[18:19], v[38:39], v[18:19]
	s_delay_alu instid0(VALU_DEP_2) | instskip(NEXT) | instid1(VALU_DEP_1)
	v_add_f64_e32 v[36:37], v[44:45], v[40:41]
	v_add_f64_e64 v[20:21], v[36:37], -v[40:41]
	v_cmp_le_f64_e32 vcc_lo, 0.5, v[36:37]
	s_delay_alu instid0(VALU_DEP_2) | instskip(SKIP_2) | instid1(VALU_DEP_3)
	v_add_f64_e64 v[20:21], v[44:45], -v[20:21]
	v_cndmask_b32_e64 v25, 0, 0x3ff00000, vcc_lo
	v_add_co_ci_u32_e64 v1, null, 0, v1, vcc_lo
	v_add_f64_e32 v[18:19], v[18:19], v[20:21]
	s_delay_alu instid0(VALU_DEP_3) | instskip(NEXT) | instid1(VALU_DEP_1)
	v_add_f64_e64 v[20:21], v[36:37], -v[24:25]
	v_add_f64_e32 v[36:37], v[20:21], v[18:19]
	s_delay_alu instid0(VALU_DEP_1) | instskip(SKIP_1) | instid1(VALU_DEP_2)
	v_mul_f64_e32 v[38:39], 0x3ff921fb54442d18, v[36:37]
	v_add_f64_e64 v[20:21], v[36:37], -v[20:21]
	v_fma_f64 v[40:41], v[36:37], s[14:15], -v[38:39]
	s_delay_alu instid0(VALU_DEP_2) | instskip(NEXT) | instid1(VALU_DEP_2)
	v_add_f64_e64 v[18:19], v[18:19], -v[20:21]
	v_fmac_f64_e32 v[40:41], 0x3c91a62633145c07, v[36:37]
	s_delay_alu instid0(VALU_DEP_1) | instskip(NEXT) | instid1(VALU_DEP_1)
	v_fmac_f64_e32 v[40:41], 0x3ff921fb54442d18, v[18:19]
	v_add_f64_e32 v[18:19], v[38:39], v[40:41]
	s_delay_alu instid0(VALU_DEP_1) | instskip(NEXT) | instid1(VALU_DEP_1)
	v_add_f64_e64 v[20:21], v[18:19], -v[38:39]
	v_add_f64_e64 v[20:21], v[40:41], -v[20:21]
	s_and_not1_saveexec_b32 s3, s3
	s_cbranch_execz .LBB131_100
	s_branch .LBB131_99
.LBB131_98:                             ;   in Loop: Header=BB131_4 Depth=1
	s_and_not1_saveexec_b32 s3, s3
	s_cbranch_execz .LBB131_100
.LBB131_99:                             ;   in Loop: Header=BB131_4 Depth=1
	v_mul_f64_e64 v[18:19], |v[12:13]|, s[16:17]
	s_delay_alu instid0(VALU_DEP_1) | instskip(NEXT) | instid1(VALU_DEP_1)
	v_rndne_f64_e32 v[36:37], v[18:19]
	v_fma_f64 v[18:19], v[36:37], s[18:19], |v[12:13]|
	v_mul_f64_e32 v[20:21], 0xbc91a62633145c00, v[36:37]
	v_cvt_i32_f64_e32 v1, v[36:37]
	s_delay_alu instid0(VALU_DEP_3) | instskip(NEXT) | instid1(VALU_DEP_3)
	v_fmamk_f64 v[42:43], v[36:37], 0xbc91a62633145c00, v[18:19]
	v_add_f64_e32 v[38:39], v[18:19], v[20:21]
	s_delay_alu instid0(VALU_DEP_1) | instskip(NEXT) | instid1(VALU_DEP_3)
	v_add_f64_e64 v[40:41], v[18:19], -v[38:39]
	v_add_f64_e64 v[18:19], v[38:39], -v[42:43]
	s_delay_alu instid0(VALU_DEP_2) | instskip(SKIP_1) | instid1(VALU_DEP_2)
	v_add_f64_e32 v[38:39], v[40:41], v[20:21]
	v_fmamk_f64 v[20:21], v[36:37], 0x3c91a62633145c00, v[20:21]
	v_add_f64_e32 v[18:19], v[18:19], v[38:39]
	s_delay_alu instid0(VALU_DEP_1) | instskip(NEXT) | instid1(VALU_DEP_1)
	v_add_f64_e64 v[20:21], v[18:19], -v[20:21]
	v_fmac_f64_e32 v[20:21], 0xb97b839a252049c0, v[36:37]
	s_delay_alu instid0(VALU_DEP_1) | instskip(NEXT) | instid1(VALU_DEP_1)
	v_add_f64_e32 v[18:19], v[42:43], v[20:21]
	v_add_f64_e64 v[38:39], v[18:19], -v[42:43]
	s_delay_alu instid0(VALU_DEP_1)
	v_add_f64_e64 v[20:21], v[20:21], -v[38:39]
.LBB131_100:                            ;   in Loop: Header=BB131_4 Depth=1
	s_or_b32 exec_lo, exec_lo, s3
                                        ; implicit-def: $vgpr40
                                        ; implicit-def: $vgpr36_vgpr37
                                        ; implicit-def: $vgpr38_vgpr39
	s_and_saveexec_b32 s3, s2
	s_delay_alu instid0(SALU_CYCLE_1)
	s_xor_b32 s2, exec_lo, s3
	s_cbranch_execz .LBB131_102
; %bb.101:                              ;   in Loop: Header=BB131_4 Depth=1
	v_ldexp_f64 v[36:37], |v[12:13]|, 0xffffff80
	v_cmp_le_f64_e64 vcc_lo, 0x7b000000, |v[12:13]|
	v_trig_preop_f64 v[38:39], |v[12:13]|, 0
	v_and_b32_e32 v25, 0x7fffffff, v13
	v_trig_preop_f64 v[40:41], |v[12:13]|, 1
	v_trig_preop_f64 v[50:51], |v[12:13]|, 2
	s_delay_alu instid0(VALU_DEP_3) | instskip(NEXT) | instid1(VALU_DEP_1)
	v_dual_cndmask_b32 v37, v25, v37 :: v_dual_cndmask_b32 v36, v12, v36
	v_mul_f64_e32 v[42:43], v[38:39], v[36:37]
	s_delay_alu instid0(VALU_DEP_4) | instskip(NEXT) | instid1(VALU_DEP_4)
	v_mul_f64_e32 v[44:45], v[40:41], v[36:37]
	v_mul_f64_e32 v[56:57], v[50:51], v[36:37]
	s_delay_alu instid0(VALU_DEP_3) | instskip(NEXT) | instid1(VALU_DEP_3)
	v_fma_f64 v[38:39], v[38:39], v[36:37], -v[42:43]
	v_fma_f64 v[40:41], v[40:41], v[36:37], -v[44:45]
	s_delay_alu instid0(VALU_DEP_3) | instskip(NEXT) | instid1(VALU_DEP_3)
	v_fma_f64 v[36:37], v[50:51], v[36:37], -v[56:57]
	v_add_f64_e32 v[46:47], v[44:45], v[38:39]
	s_delay_alu instid0(VALU_DEP_1) | instskip(SKIP_1) | instid1(VALU_DEP_2)
	v_add_f64_e64 v[48:49], v[46:47], -v[44:45]
	v_add_f64_e32 v[54:55], v[42:43], v[46:47]
	v_add_f64_e64 v[52:53], v[46:47], -v[48:49]
	v_add_f64_e64 v[38:39], v[38:39], -v[48:49]
	s_delay_alu instid0(VALU_DEP_3) | instskip(NEXT) | instid1(VALU_DEP_3)
	v_ldexp_f64 v[48:49], v[54:55], -2
	v_add_f64_e64 v[44:45], v[44:45], -v[52:53]
	v_add_f64_e32 v[52:53], v[56:57], v[40:41]
	s_delay_alu instid0(VALU_DEP_3) | instskip(NEXT) | instid1(VALU_DEP_3)
	v_cmp_neq_f64_e64 vcc_lo, 0x7ff00000, |v[48:49]|
	v_add_f64_e32 v[38:39], v[38:39], v[44:45]
	v_fract_f64_e32 v[44:45], v[48:49]
	s_delay_alu instid0(VALU_DEP_1) | instskip(NEXT) | instid1(VALU_DEP_1)
	v_ldexp_f64 v[44:45], v[44:45], 2
	v_dual_add_f64 v[42:43], v[54:55], -v[42:43] :: v_dual_cndmask_b32 v44, 0, v44, vcc_lo
	s_delay_alu instid0(VALU_DEP_1) | instskip(SKIP_1) | instid1(VALU_DEP_1)
	v_dual_add_f64 v[42:43], v[46:47], -v[42:43] :: v_dual_cndmask_b32 v45, 0, v45, vcc_lo
	v_add_f64_e32 v[46:47], v[52:53], v[38:39]
	v_add_f64_e32 v[48:49], v[42:43], v[46:47]
	v_add_f64_e64 v[58:59], v[46:47], -v[52:53]
	s_delay_alu instid0(VALU_DEP_2) | instskip(NEXT) | instid1(VALU_DEP_2)
	v_add_f64_e32 v[54:55], v[48:49], v[44:45]
	v_add_f64_e64 v[64:65], v[46:47], -v[58:59]
	v_add_f64_e64 v[38:39], v[38:39], -v[58:59]
	;; [unrolled: 1-line block ×3, first 2 shown]
	s_delay_alu instid0(VALU_DEP_4) | instskip(SKIP_2) | instid1(VALU_DEP_2)
	v_cmp_gt_f64_e32 vcc_lo, 0, v[54:55]
	v_add_f64_e64 v[54:55], v[52:53], -v[56:57]
	v_cndmask_b32_e64 v25, 0, 0x40100000, vcc_lo
	v_add_f64_e64 v[62:63], v[52:53], -v[54:55]
	v_add_f64_e64 v[40:41], v[40:41], -v[54:55]
	;; [unrolled: 1-line block ×3, first 2 shown]
	s_delay_alu instid0(VALU_DEP_4) | instskip(NEXT) | instid1(VALU_DEP_4)
	v_add_f64_e32 v[44:45], v[44:45], v[24:25]
	v_add_f64_e64 v[54:55], v[56:57], -v[62:63]
	s_delay_alu instid0(VALU_DEP_3) | instskip(NEXT) | instid1(VALU_DEP_3)
	v_add_f64_e32 v[38:39], v[38:39], v[52:53]
	v_add_f64_e32 v[60:61], v[48:49], v[44:45]
	s_delay_alu instid0(VALU_DEP_3) | instskip(NEXT) | instid1(VALU_DEP_2)
	v_add_f64_e32 v[40:41], v[40:41], v[54:55]
	v_cvt_i32_f64_e32 v25, v[60:61]
	s_delay_alu instid0(VALU_DEP_2) | instskip(SKIP_1) | instid1(VALU_DEP_3)
	v_add_f64_e32 v[38:39], v[40:41], v[38:39]
	v_add_f64_e64 v[40:41], v[46:47], -v[42:43]
	v_cvt_f64_i32_e32 v[58:59], v25
	s_delay_alu instid0(VALU_DEP_3) | instskip(NEXT) | instid1(VALU_DEP_2)
	v_add_f64_e32 v[36:37], v[36:37], v[38:39]
	v_add_f64_e64 v[44:45], v[44:45], -v[58:59]
	s_delay_alu instid0(VALU_DEP_2) | instskip(NEXT) | instid1(VALU_DEP_2)
	v_add_f64_e32 v[36:37], v[40:41], v[36:37]
	v_add_f64_e32 v[50:51], v[48:49], v[44:45]
	s_delay_alu instid0(VALU_DEP_1) | instskip(SKIP_1) | instid1(VALU_DEP_2)
	v_add_f64_e64 v[38:39], v[50:51], -v[44:45]
	v_cmp_le_f64_e32 vcc_lo, 0.5, v[50:51]
	v_add_f64_e64 v[38:39], v[48:49], -v[38:39]
	v_add_co_ci_u32_e64 v40, null, 0, v25, vcc_lo
	v_cndmask_b32_e64 v25, 0, 0x3ff00000, vcc_lo
	s_delay_alu instid0(VALU_DEP_3) | instskip(NEXT) | instid1(VALU_DEP_2)
	v_add_f64_e32 v[36:37], v[36:37], v[38:39]
	v_add_f64_e64 v[38:39], v[50:51], -v[24:25]
	s_delay_alu instid0(VALU_DEP_1) | instskip(NEXT) | instid1(VALU_DEP_1)
	v_add_f64_e32 v[42:43], v[38:39], v[36:37]
	v_mul_f64_e32 v[44:45], 0x3ff921fb54442d18, v[42:43]
	v_add_f64_e64 v[38:39], v[42:43], -v[38:39]
	s_delay_alu instid0(VALU_DEP_2) | instskip(NEXT) | instid1(VALU_DEP_2)
	v_fma_f64 v[46:47], v[42:43], s[14:15], -v[44:45]
	v_add_f64_e64 v[36:37], v[36:37], -v[38:39]
	s_delay_alu instid0(VALU_DEP_2) | instskip(NEXT) | instid1(VALU_DEP_1)
	v_fmac_f64_e32 v[46:47], 0x3c91a62633145c07, v[42:43]
	v_fmac_f64_e32 v[46:47], 0x3ff921fb54442d18, v[36:37]
	s_delay_alu instid0(VALU_DEP_1) | instskip(NEXT) | instid1(VALU_DEP_1)
	v_add_f64_e32 v[36:37], v[44:45], v[46:47]
	v_add_f64_e64 v[38:39], v[36:37], -v[44:45]
	s_delay_alu instid0(VALU_DEP_1)
	v_add_f64_e64 v[38:39], v[46:47], -v[38:39]
	s_and_not1_saveexec_b32 s2, s2
	s_cbranch_execnz .LBB131_103
	s_branch .LBB131_104
.LBB131_102:                            ;   in Loop: Header=BB131_4 Depth=1
	s_and_not1_saveexec_b32 s2, s2
	s_cbranch_execz .LBB131_104
.LBB131_103:                            ;   in Loop: Header=BB131_4 Depth=1
	v_mul_f64_e64 v[36:37], |v[12:13]|, s[16:17]
	s_delay_alu instid0(VALU_DEP_1) | instskip(NEXT) | instid1(VALU_DEP_1)
	v_rndne_f64_e32 v[40:41], v[36:37]
	v_fma_f64 v[36:37], v[40:41], s[18:19], |v[12:13]|
	v_mul_f64_e32 v[38:39], 0xbc91a62633145c00, v[40:41]
	s_delay_alu instid0(VALU_DEP_2) | instskip(NEXT) | instid1(VALU_DEP_2)
	v_fmamk_f64 v[46:47], v[40:41], 0xbc91a62633145c00, v[36:37]
	v_add_f64_e32 v[42:43], v[36:37], v[38:39]
	s_delay_alu instid0(VALU_DEP_1) | instskip(NEXT) | instid1(VALU_DEP_3)
	v_add_f64_e64 v[44:45], v[36:37], -v[42:43]
	v_add_f64_e64 v[36:37], v[42:43], -v[46:47]
	s_delay_alu instid0(VALU_DEP_2) | instskip(SKIP_1) | instid1(VALU_DEP_2)
	v_add_f64_e32 v[42:43], v[44:45], v[38:39]
	v_fmamk_f64 v[38:39], v[40:41], 0x3c91a62633145c00, v[38:39]
	v_add_f64_e32 v[36:37], v[36:37], v[42:43]
	s_delay_alu instid0(VALU_DEP_1) | instskip(NEXT) | instid1(VALU_DEP_1)
	v_add_f64_e64 v[38:39], v[36:37], -v[38:39]
	v_fmac_f64_e32 v[38:39], 0xb97b839a252049c0, v[40:41]
	v_cvt_i32_f64_e32 v40, v[40:41]
	s_delay_alu instid0(VALU_DEP_2) | instskip(NEXT) | instid1(VALU_DEP_1)
	v_add_f64_e32 v[36:37], v[46:47], v[38:39]
	v_add_f64_e64 v[42:43], v[36:37], -v[46:47]
	s_delay_alu instid0(VALU_DEP_1)
	v_add_f64_e64 v[38:39], v[38:39], -v[42:43]
.LBB131_104:                            ;   in Loop: Header=BB131_4 Depth=1
	s_or_b32 exec_lo, exec_lo, s2
	v_mul_f64_e32 v[42:43], 0x3ff71547652b82fe, v[10:11]
	v_mul_f64_e32 v[44:45], v[18:19], v[18:19]
	v_cmp_class_f64_e64 s2, v[12:13], 0x1f8
	v_mul_f64_e32 v[46:47], v[36:37], v[36:37]
	v_cmp_nlt_f64_e64 s3, 0x40900000, v[10:11]
	v_cmp_ngt_f64_e64 s4, 0xc090cc00, v[10:11]
	v_rndne_f64_e32 v[42:43], v[42:43]
	v_mul_f64_e32 v[48:49], 0.5, v[44:45]
	v_mul_f64_e64 v[70:71], v[36:37], -v[46:47]
	v_fmamk_f64 v[74:75], v[46:47], 0x3de5e0b2f9a43bb8, v[32:33]
	s_delay_alu instid0(VALU_DEP_4) | instskip(NEXT) | instid1(VALU_DEP_4)
	v_fmamk_f64 v[52:53], v[42:43], 0xbfe62e42fefa39ef, v[10:11]
	v_add_f64_e64 v[54:55], -v[48:49], 1.0
	v_cvt_i32_f64_e32 v25, v[42:43]
	v_and_b32_e32 v10, 1, v40
	s_delay_alu instid0(VALU_DEP_4) | instskip(NEXT) | instid1(VALU_DEP_2)
	v_fmac_f64_e32 v[52:53], 0xbc7abc9e3b39803f, v[42:43]
	v_cmp_eq_u32_e64 s5, 0, v10
	v_add_f64_e64 v[62:63], -v[54:55], 1.0
	s_delay_alu instid0(VALU_DEP_3) | instskip(NEXT) | instid1(VALU_DEP_1)
	v_fmamk_f64 v[66:67], v[52:53], 0x3e5ade156a5dcb37, v[28:29]
	v_fmaak_f64 v[66:67], v[52:53], v[66:67], 0x3ec71dee623fde64
	s_delay_alu instid0(VALU_DEP_1) | instskip(NEXT) | instid1(VALU_DEP_1)
	v_fmaak_f64 v[66:67], v[52:53], v[66:67], 0x3efa01997c89e6b0
	v_fmaak_f64 v[66:67], v[52:53], v[66:67], 0x3f2a01a014761f6e
	v_add_f64_e64 v[48:49], v[62:63], -v[48:49]
	s_delay_alu instid0(VALU_DEP_2) | instskip(NEXT) | instid1(VALU_DEP_1)
	v_fmaak_f64 v[62:63], v[52:53], v[66:67], 0x3f56c16c1852b7b0
	v_fmaak_f64 v[62:63], v[52:53], v[62:63], 0x3f81111111122322
	s_delay_alu instid0(VALU_DEP_1) | instskip(NEXT) | instid1(VALU_DEP_1)
	v_fmaak_f64 v[62:63], v[52:53], v[62:63], 0x3fa55555555502a1
	v_fmaak_f64 v[62:63], v[52:53], v[62:63], 0x3fc5555555555511
	s_delay_alu instid0(VALU_DEP_1) | instskip(NEXT) | instid1(VALU_DEP_1)
	v_fmaak_f64 v[62:63], v[52:53], v[62:63], 0x3fe000000000000b
	v_fma_f64 v[62:63], v[52:53], v[62:63], 1.0
	s_delay_alu instid0(VALU_DEP_1) | instskip(NEXT) | instid1(VALU_DEP_1)
	v_fma_f64 v[42:43], v[52:53], v[62:63], 1.0
	v_ldexp_f64 v[42:43], v[42:43], v25
	v_mul_f64_e32 v[58:59], 0.5, v[20:21]
	v_and_b32_e32 v25, 1, v1
	v_mul_f64_e64 v[60:61], v[18:19], -v[44:45]
	v_fmamk_f64 v[64:65], v[44:45], 0x3de5e0b2f9a43bb8, v[32:33]
	v_mul_f64_e32 v[66:67], v[44:45], v[44:45]
	v_lshlrev_b32_e32 v1, 30, v1
	v_cmp_eq_u32_e32 vcc_lo, 0, v25
	s_delay_alu instid0(VALU_DEP_4) | instskip(NEXT) | instid1(VALU_DEP_1)
	v_fmaak_f64 v[64:65], v[44:45], v[64:65], 0x3ec71de3796cde01
	v_fmaak_f64 v[64:65], v[44:45], v[64:65], 0xbf2a01a019e83e5c
	s_delay_alu instid0(VALU_DEP_1) | instskip(SKIP_1) | instid1(VALU_DEP_2)
	v_fmaak_f64 v[64:65], v[44:45], v[64:65], 0x3f81111111110bb3
	v_cndmask_b32_e64 v12, 0x7ff00000, v43, s3
	v_fmac_f64_e32 v[58:59], v[60:61], v[64:65]
	v_fmaak_f64 v[64:65], v[46:47], v[74:75], 0x3ec71de3796cde01
	s_delay_alu instid0(VALU_DEP_1) | instskip(NEXT) | instid1(VALU_DEP_1)
	v_fmaak_f64 v[64:65], v[46:47], v[64:65], 0xbf2a01a019e83e5c
	v_fmaak_f64 v[64:65], v[46:47], v[64:65], 0x3f81111111110bb3
	s_delay_alu instid0(VALU_DEP_4) | instskip(SKIP_1) | instid1(VALU_DEP_2)
	v_fma_f64 v[58:59], v[44:45], v[58:59], -v[20:21]
	v_fma_f64 v[20:21], v[18:19], -v[20:21], v[48:49]
	v_fmac_f64_e32 v[58:59], 0xbfc5555555555555, v[60:61]
	s_delay_alu instid0(VALU_DEP_1) | instskip(SKIP_1) | instid1(VALU_DEP_2)
	v_add_f64_e64 v[18:19], v[18:19], -v[58:59]
	v_mul_f64_e32 v[68:69], 0.5, v[38:39]
	v_xor_b32_e32 v11, 0x80000000, v19
	s_delay_alu instid0(VALU_DEP_2) | instskip(SKIP_2) | instid1(VALU_DEP_2)
	v_fmac_f64_e32 v[68:69], v[70:71], v[64:65]
	v_fmamk_f64 v[64:65], v[44:45], 0xbda907db46cc5e42, v[30:31]
	v_lshlrev_b32_e32 v19, 30, v40
	v_fmaak_f64 v[48:49], v[44:45], v[64:65], 0xbe927e4fa17f65f6
	s_delay_alu instid0(VALU_DEP_1) | instskip(NEXT) | instid1(VALU_DEP_1)
	v_fmaak_f64 v[48:49], v[44:45], v[48:49], 0x3efa01a019f4ec90
	v_fmaak_f64 v[48:49], v[44:45], v[48:49], 0xbf56c16c16c16967
	s_delay_alu instid0(VALU_DEP_1) | instskip(NEXT) | instid1(VALU_DEP_1)
	v_fmaak_f64 v[44:45], v[44:45], v[48:49], 0x3fa5555555555555
	v_fmac_f64_e32 v[20:21], v[66:67], v[44:45]
	s_delay_alu instid0(VALU_DEP_1) | instskip(NEXT) | instid1(VALU_DEP_1)
	v_add_f64_e32 v[20:21], v[54:55], v[20:21]
	v_dual_cndmask_b32 v18, v18, v20, vcc_lo :: v_dual_cndmask_b32 v10, v11, v21, vcc_lo
	s_and_b32 vcc_lo, s4, s3
	v_xor_b32_e32 v11, v19, v13
	s_delay_alu instid0(VALU_DEP_2) | instskip(NEXT) | instid1(VALU_DEP_3)
	v_bitop3_b32 v1, v10, v1, 0x80000000 bitop3:0x78
	v_cndmask_b32_e64 v10, 0, v18, s2
	v_mul_f64_e32 v[50:51], 0.5, v[46:47]
	v_mul_f64_e32 v[64:65], v[46:47], v[46:47]
	v_fma_f64 v[48:49], v[46:47], v[68:69], -v[38:39]
	s_delay_alu instid0(VALU_DEP_3) | instskip(NEXT) | instid1(VALU_DEP_2)
	v_add_f64_e64 v[56:57], -v[50:51], 1.0
	v_fmac_f64_e32 v[48:49], 0xbfc5555555555555, v[70:71]
	s_delay_alu instid0(VALU_DEP_2) | instskip(NEXT) | instid1(VALU_DEP_1)
	v_add_f64_e64 v[72:73], -v[56:57], 1.0
	v_add_f64_e64 v[50:51], v[72:73], -v[50:51]
	v_fmamk_f64 v[72:73], v[46:47], 0xbda907db46cc5e42, v[30:31]
	s_delay_alu instid0(VALU_DEP_2) | instskip(NEXT) | instid1(VALU_DEP_2)
	v_fma_f64 v[38:39], v[36:37], -v[38:39], v[50:51]
	v_fmaak_f64 v[50:51], v[46:47], v[72:73], 0xbe927e4fa17f65f6
	v_add_f64_e64 v[36:37], v[36:37], -v[48:49]
	s_delay_alu instid0(VALU_DEP_2) | instskip(NEXT) | instid1(VALU_DEP_1)
	v_fmaak_f64 v[44:45], v[46:47], v[50:51], 0x3efa01a019f4ec90
	v_fmaak_f64 v[44:45], v[46:47], v[44:45], 0xbf56c16c16c16967
	s_delay_alu instid0(VALU_DEP_1) | instskip(NEXT) | instid1(VALU_DEP_1)
	v_fmaak_f64 v[44:45], v[46:47], v[44:45], 0x3fa5555555555555
	v_fmac_f64_e32 v[38:39], v[64:65], v[44:45]
	s_delay_alu instid0(VALU_DEP_1) | instskip(NEXT) | instid1(VALU_DEP_1)
	v_add_f64_e32 v[38:39], v[56:57], v[38:39]
	v_dual_cndmask_b32 v13, v39, v37, s5 :: v_dual_cndmask_b32 v19, v38, v36, s5
	s_delay_alu instid0(VALU_DEP_1) | instskip(SKIP_2) | instid1(VALU_DEP_4)
	v_bitop3_b32 v18, v13, v11, 0x80000000 bitop3:0x78
	v_cndmask_b32_e64 v13, 0, v12, s4
	v_cndmask_b32_e64 v11, 0x7ff80000, v1, s2
	v_dual_cndmask_b32 v20, 0, v19, s2 :: v_dual_cndmask_b32 v12, 0, v42, vcc_lo
	s_delay_alu instid0(VALU_DEP_4) | instskip(NEXT) | instid1(VALU_DEP_2)
	v_cndmask_b32_e64 v21, 0x7ff80000, v18, s2
	v_mul_f64_e32 v[18:19], v[12:13], v[10:11]
	s_delay_alu instid0(VALU_DEP_2)
	v_mul_f64_e32 v[20:21], v[12:13], v[20:21]
                                        ; implicit-def: $vgpr12_vgpr13
.LBB131_105:                            ;   in Loop: Header=BB131_4 Depth=1
	s_and_not1_saveexec_b32 s33, s33
	s_cbranch_execz .LBB131_115
; %bb.106:                              ;   in Loop: Header=BB131_4 Depth=1
	v_cmp_ngt_f64_e64 s2, 0x41d00000, |v[12:13]|
                                        ; implicit-def: $vgpr1
                                        ; implicit-def: $vgpr18_vgpr19
                                        ; implicit-def: $vgpr20_vgpr21
	s_and_saveexec_b32 s3, s2
	s_delay_alu instid0(SALU_CYCLE_1)
	s_xor_b32 s3, exec_lo, s3
	s_cbranch_execz .LBB131_108
; %bb.107:                              ;   in Loop: Header=BB131_4 Depth=1
	v_ldexp_f64 v[18:19], |v[12:13]|, 0xffffff80
	v_cmp_le_f64_e64 vcc_lo, 0x7b000000, |v[12:13]|
	v_trig_preop_f64 v[20:21], |v[12:13]|, 0
	v_and_b32_e32 v1, 0x7fffffff, v13
	v_trig_preop_f64 v[36:37], |v[12:13]|, 1
	v_trig_preop_f64 v[46:47], |v[12:13]|, 2
	s_delay_alu instid0(VALU_DEP_3) | instskip(NEXT) | instid1(VALU_DEP_1)
	v_dual_cndmask_b32 v19, v1, v19 :: v_dual_cndmask_b32 v18, v12, v18
	v_mul_f64_e32 v[38:39], v[20:21], v[18:19]
	s_delay_alu instid0(VALU_DEP_4) | instskip(NEXT) | instid1(VALU_DEP_4)
	v_mul_f64_e32 v[40:41], v[36:37], v[18:19]
	v_mul_f64_e32 v[52:53], v[46:47], v[18:19]
	s_delay_alu instid0(VALU_DEP_3) | instskip(NEXT) | instid1(VALU_DEP_3)
	v_fma_f64 v[20:21], v[20:21], v[18:19], -v[38:39]
	v_fma_f64 v[36:37], v[36:37], v[18:19], -v[40:41]
	s_delay_alu instid0(VALU_DEP_3) | instskip(NEXT) | instid1(VALU_DEP_3)
	v_fma_f64 v[18:19], v[46:47], v[18:19], -v[52:53]
	v_add_f64_e32 v[42:43], v[40:41], v[20:21]
	s_delay_alu instid0(VALU_DEP_1) | instskip(SKIP_1) | instid1(VALU_DEP_2)
	v_add_f64_e64 v[44:45], v[42:43], -v[40:41]
	v_add_f64_e32 v[50:51], v[38:39], v[42:43]
	v_add_f64_e64 v[48:49], v[42:43], -v[44:45]
	v_add_f64_e64 v[20:21], v[20:21], -v[44:45]
	s_delay_alu instid0(VALU_DEP_3) | instskip(NEXT) | instid1(VALU_DEP_3)
	v_ldexp_f64 v[44:45], v[50:51], -2
	v_add_f64_e64 v[40:41], v[40:41], -v[48:49]
	v_add_f64_e32 v[48:49], v[52:53], v[36:37]
	s_delay_alu instid0(VALU_DEP_3) | instskip(NEXT) | instid1(VALU_DEP_3)
	v_cmp_neq_f64_e64 vcc_lo, 0x7ff00000, |v[44:45]|
	v_add_f64_e32 v[20:21], v[20:21], v[40:41]
	v_fract_f64_e32 v[40:41], v[44:45]
	s_delay_alu instid0(VALU_DEP_1) | instskip(NEXT) | instid1(VALU_DEP_1)
	v_ldexp_f64 v[40:41], v[40:41], 2
	v_dual_add_f64 v[38:39], v[50:51], -v[38:39] :: v_dual_cndmask_b32 v41, 0, v41, vcc_lo
	s_delay_alu instid0(VALU_DEP_1) | instskip(SKIP_1) | instid1(VALU_DEP_1)
	v_dual_add_f64 v[38:39], v[42:43], -v[38:39] :: v_dual_cndmask_b32 v40, 0, v40, vcc_lo
	v_add_f64_e32 v[42:43], v[48:49], v[20:21]
	v_add_f64_e32 v[44:45], v[38:39], v[42:43]
	v_add_f64_e64 v[54:55], v[42:43], -v[48:49]
	s_delay_alu instid0(VALU_DEP_2) | instskip(NEXT) | instid1(VALU_DEP_2)
	v_add_f64_e32 v[50:51], v[44:45], v[40:41]
	v_add_f64_e64 v[60:61], v[42:43], -v[54:55]
	v_add_f64_e64 v[20:21], v[20:21], -v[54:55]
	;; [unrolled: 1-line block ×3, first 2 shown]
	s_delay_alu instid0(VALU_DEP_4) | instskip(SKIP_1) | instid1(VALU_DEP_3)
	v_cmp_gt_f64_e32 vcc_lo, 0, v[50:51]
	v_add_f64_e64 v[50:51], v[48:49], -v[52:53]
	v_add_f64_e64 v[38:39], v[42:43], -v[38:39]
	v_cndmask_b32_e64 v25, 0, 0x40100000, vcc_lo
	s_delay_alu instid0(VALU_DEP_3) | instskip(SKIP_2) | instid1(VALU_DEP_4)
	v_add_f64_e64 v[58:59], v[48:49], -v[50:51]
	v_add_f64_e64 v[36:37], v[36:37], -v[50:51]
	v_add_f64_e64 v[48:49], v[48:49], -v[60:61]
	v_add_f64_e32 v[40:41], v[40:41], v[24:25]
	s_delay_alu instid0(VALU_DEP_4) | instskip(NEXT) | instid1(VALU_DEP_3)
	v_add_f64_e64 v[50:51], v[52:53], -v[58:59]
	v_add_f64_e32 v[20:21], v[20:21], v[48:49]
	s_delay_alu instid0(VALU_DEP_3) | instskip(NEXT) | instid1(VALU_DEP_3)
	v_add_f64_e32 v[56:57], v[44:45], v[40:41]
	v_add_f64_e32 v[36:37], v[36:37], v[50:51]
	s_delay_alu instid0(VALU_DEP_2) | instskip(NEXT) | instid1(VALU_DEP_2)
	v_cvt_i32_f64_e32 v1, v[56:57]
	v_add_f64_e32 v[20:21], v[36:37], v[20:21]
	s_delay_alu instid0(VALU_DEP_2) | instskip(NEXT) | instid1(VALU_DEP_2)
	v_cvt_f64_i32_e32 v[54:55], v1
	v_add_f64_e32 v[18:19], v[18:19], v[20:21]
	s_delay_alu instid0(VALU_DEP_2) | instskip(NEXT) | instid1(VALU_DEP_2)
	v_add_f64_e64 v[40:41], v[40:41], -v[54:55]
	v_add_f64_e32 v[18:19], v[38:39], v[18:19]
	s_delay_alu instid0(VALU_DEP_2) | instskip(NEXT) | instid1(VALU_DEP_1)
	v_add_f64_e32 v[36:37], v[44:45], v[40:41]
	v_add_f64_e64 v[20:21], v[36:37], -v[40:41]
	v_cmp_le_f64_e32 vcc_lo, 0.5, v[36:37]
	s_delay_alu instid0(VALU_DEP_2) | instskip(SKIP_2) | instid1(VALU_DEP_3)
	v_add_f64_e64 v[20:21], v[44:45], -v[20:21]
	v_cndmask_b32_e64 v25, 0, 0x3ff00000, vcc_lo
	v_add_co_ci_u32_e64 v1, null, 0, v1, vcc_lo
	v_add_f64_e32 v[18:19], v[18:19], v[20:21]
	s_delay_alu instid0(VALU_DEP_3) | instskip(NEXT) | instid1(VALU_DEP_1)
	v_add_f64_e64 v[20:21], v[36:37], -v[24:25]
	v_add_f64_e32 v[36:37], v[20:21], v[18:19]
	s_delay_alu instid0(VALU_DEP_1) | instskip(SKIP_1) | instid1(VALU_DEP_2)
	v_mul_f64_e32 v[38:39], 0x3ff921fb54442d18, v[36:37]
	v_add_f64_e64 v[20:21], v[36:37], -v[20:21]
	v_fma_f64 v[40:41], v[36:37], s[14:15], -v[38:39]
	s_delay_alu instid0(VALU_DEP_2) | instskip(NEXT) | instid1(VALU_DEP_2)
	v_add_f64_e64 v[18:19], v[18:19], -v[20:21]
	v_fmac_f64_e32 v[40:41], 0x3c91a62633145c07, v[36:37]
	s_delay_alu instid0(VALU_DEP_1) | instskip(NEXT) | instid1(VALU_DEP_1)
	v_fmac_f64_e32 v[40:41], 0x3ff921fb54442d18, v[18:19]
	v_add_f64_e32 v[18:19], v[38:39], v[40:41]
	s_delay_alu instid0(VALU_DEP_1) | instskip(NEXT) | instid1(VALU_DEP_1)
	v_add_f64_e64 v[20:21], v[18:19], -v[38:39]
	v_add_f64_e64 v[20:21], v[40:41], -v[20:21]
	s_and_not1_saveexec_b32 s3, s3
	s_cbranch_execz .LBB131_110
	s_branch .LBB131_109
.LBB131_108:                            ;   in Loop: Header=BB131_4 Depth=1
	s_and_not1_saveexec_b32 s3, s3
	s_cbranch_execz .LBB131_110
.LBB131_109:                            ;   in Loop: Header=BB131_4 Depth=1
	v_mul_f64_e64 v[18:19], |v[12:13]|, s[16:17]
	s_delay_alu instid0(VALU_DEP_1) | instskip(NEXT) | instid1(VALU_DEP_1)
	v_rndne_f64_e32 v[36:37], v[18:19]
	v_fma_f64 v[18:19], v[36:37], s[18:19], |v[12:13]|
	v_mul_f64_e32 v[20:21], 0xbc91a62633145c00, v[36:37]
	v_cvt_i32_f64_e32 v1, v[36:37]
	s_delay_alu instid0(VALU_DEP_3) | instskip(NEXT) | instid1(VALU_DEP_3)
	v_fmamk_f64 v[42:43], v[36:37], 0xbc91a62633145c00, v[18:19]
	v_add_f64_e32 v[38:39], v[18:19], v[20:21]
	s_delay_alu instid0(VALU_DEP_1) | instskip(NEXT) | instid1(VALU_DEP_3)
	v_add_f64_e64 v[40:41], v[18:19], -v[38:39]
	v_add_f64_e64 v[18:19], v[38:39], -v[42:43]
	s_delay_alu instid0(VALU_DEP_2) | instskip(SKIP_1) | instid1(VALU_DEP_2)
	v_add_f64_e32 v[38:39], v[40:41], v[20:21]
	v_fmamk_f64 v[20:21], v[36:37], 0x3c91a62633145c00, v[20:21]
	v_add_f64_e32 v[18:19], v[18:19], v[38:39]
	s_delay_alu instid0(VALU_DEP_1) | instskip(NEXT) | instid1(VALU_DEP_1)
	v_add_f64_e64 v[20:21], v[18:19], -v[20:21]
	v_fmac_f64_e32 v[20:21], 0xb97b839a252049c0, v[36:37]
	s_delay_alu instid0(VALU_DEP_1) | instskip(NEXT) | instid1(VALU_DEP_1)
	v_add_f64_e32 v[18:19], v[42:43], v[20:21]
	v_add_f64_e64 v[38:39], v[18:19], -v[42:43]
	s_delay_alu instid0(VALU_DEP_1)
	v_add_f64_e64 v[20:21], v[20:21], -v[38:39]
.LBB131_110:                            ;   in Loop: Header=BB131_4 Depth=1
	s_or_b32 exec_lo, exec_lo, s3
                                        ; implicit-def: $vgpr40
                                        ; implicit-def: $vgpr36_vgpr37
                                        ; implicit-def: $vgpr38_vgpr39
	s_and_saveexec_b32 s3, s2
	s_delay_alu instid0(SALU_CYCLE_1)
	s_xor_b32 s2, exec_lo, s3
	s_cbranch_execz .LBB131_112
; %bb.111:                              ;   in Loop: Header=BB131_4 Depth=1
	v_ldexp_f64 v[36:37], |v[12:13]|, 0xffffff80
	v_cmp_le_f64_e64 vcc_lo, 0x7b000000, |v[12:13]|
	v_trig_preop_f64 v[38:39], |v[12:13]|, 0
	v_and_b32_e32 v25, 0x7fffffff, v13
	v_trig_preop_f64 v[40:41], |v[12:13]|, 1
	v_trig_preop_f64 v[50:51], |v[12:13]|, 2
	s_delay_alu instid0(VALU_DEP_3) | instskip(NEXT) | instid1(VALU_DEP_1)
	v_dual_cndmask_b32 v37, v25, v37 :: v_dual_cndmask_b32 v36, v12, v36
	v_mul_f64_e32 v[42:43], v[38:39], v[36:37]
	s_delay_alu instid0(VALU_DEP_4) | instskip(NEXT) | instid1(VALU_DEP_4)
	v_mul_f64_e32 v[44:45], v[40:41], v[36:37]
	v_mul_f64_e32 v[56:57], v[50:51], v[36:37]
	s_delay_alu instid0(VALU_DEP_3) | instskip(NEXT) | instid1(VALU_DEP_3)
	v_fma_f64 v[38:39], v[38:39], v[36:37], -v[42:43]
	v_fma_f64 v[40:41], v[40:41], v[36:37], -v[44:45]
	s_delay_alu instid0(VALU_DEP_3) | instskip(NEXT) | instid1(VALU_DEP_3)
	v_fma_f64 v[36:37], v[50:51], v[36:37], -v[56:57]
	v_add_f64_e32 v[46:47], v[44:45], v[38:39]
	s_delay_alu instid0(VALU_DEP_1) | instskip(SKIP_1) | instid1(VALU_DEP_2)
	v_add_f64_e64 v[48:49], v[46:47], -v[44:45]
	v_add_f64_e32 v[54:55], v[42:43], v[46:47]
	v_add_f64_e64 v[52:53], v[46:47], -v[48:49]
	v_add_f64_e64 v[38:39], v[38:39], -v[48:49]
	s_delay_alu instid0(VALU_DEP_3) | instskip(NEXT) | instid1(VALU_DEP_3)
	v_ldexp_f64 v[48:49], v[54:55], -2
	v_add_f64_e64 v[44:45], v[44:45], -v[52:53]
	v_add_f64_e32 v[52:53], v[56:57], v[40:41]
	s_delay_alu instid0(VALU_DEP_3) | instskip(NEXT) | instid1(VALU_DEP_3)
	v_cmp_neq_f64_e64 vcc_lo, 0x7ff00000, |v[48:49]|
	v_add_f64_e32 v[38:39], v[38:39], v[44:45]
	v_fract_f64_e32 v[44:45], v[48:49]
	s_delay_alu instid0(VALU_DEP_1) | instskip(NEXT) | instid1(VALU_DEP_1)
	v_ldexp_f64 v[44:45], v[44:45], 2
	v_dual_add_f64 v[42:43], v[54:55], -v[42:43] :: v_dual_cndmask_b32 v44, 0, v44, vcc_lo
	s_delay_alu instid0(VALU_DEP_1) | instskip(SKIP_1) | instid1(VALU_DEP_1)
	v_dual_add_f64 v[42:43], v[46:47], -v[42:43] :: v_dual_cndmask_b32 v45, 0, v45, vcc_lo
	v_add_f64_e32 v[46:47], v[52:53], v[38:39]
	v_add_f64_e32 v[48:49], v[42:43], v[46:47]
	v_add_f64_e64 v[58:59], v[46:47], -v[52:53]
	s_delay_alu instid0(VALU_DEP_2) | instskip(NEXT) | instid1(VALU_DEP_2)
	v_add_f64_e32 v[54:55], v[48:49], v[44:45]
	v_add_f64_e64 v[64:65], v[46:47], -v[58:59]
	v_add_f64_e64 v[38:39], v[38:39], -v[58:59]
	;; [unrolled: 1-line block ×3, first 2 shown]
	s_delay_alu instid0(VALU_DEP_4) | instskip(SKIP_2) | instid1(VALU_DEP_2)
	v_cmp_gt_f64_e32 vcc_lo, 0, v[54:55]
	v_add_f64_e64 v[54:55], v[52:53], -v[56:57]
	v_cndmask_b32_e64 v25, 0, 0x40100000, vcc_lo
	v_add_f64_e64 v[62:63], v[52:53], -v[54:55]
	v_add_f64_e64 v[40:41], v[40:41], -v[54:55]
	;; [unrolled: 1-line block ×3, first 2 shown]
	s_delay_alu instid0(VALU_DEP_4) | instskip(NEXT) | instid1(VALU_DEP_4)
	v_add_f64_e32 v[44:45], v[44:45], v[24:25]
	v_add_f64_e64 v[54:55], v[56:57], -v[62:63]
	s_delay_alu instid0(VALU_DEP_3) | instskip(NEXT) | instid1(VALU_DEP_3)
	v_add_f64_e32 v[38:39], v[38:39], v[52:53]
	v_add_f64_e32 v[60:61], v[48:49], v[44:45]
	s_delay_alu instid0(VALU_DEP_3) | instskip(NEXT) | instid1(VALU_DEP_2)
	v_add_f64_e32 v[40:41], v[40:41], v[54:55]
	v_cvt_i32_f64_e32 v25, v[60:61]
	s_delay_alu instid0(VALU_DEP_2) | instskip(SKIP_1) | instid1(VALU_DEP_3)
	v_add_f64_e32 v[38:39], v[40:41], v[38:39]
	v_add_f64_e64 v[40:41], v[46:47], -v[42:43]
	v_cvt_f64_i32_e32 v[58:59], v25
	s_delay_alu instid0(VALU_DEP_3) | instskip(NEXT) | instid1(VALU_DEP_2)
	v_add_f64_e32 v[36:37], v[36:37], v[38:39]
	v_add_f64_e64 v[44:45], v[44:45], -v[58:59]
	s_delay_alu instid0(VALU_DEP_2) | instskip(NEXT) | instid1(VALU_DEP_2)
	v_add_f64_e32 v[36:37], v[40:41], v[36:37]
	v_add_f64_e32 v[50:51], v[48:49], v[44:45]
	s_delay_alu instid0(VALU_DEP_1) | instskip(SKIP_1) | instid1(VALU_DEP_2)
	v_add_f64_e64 v[38:39], v[50:51], -v[44:45]
	v_cmp_le_f64_e32 vcc_lo, 0.5, v[50:51]
	v_add_f64_e64 v[38:39], v[48:49], -v[38:39]
	v_add_co_ci_u32_e64 v40, null, 0, v25, vcc_lo
	v_cndmask_b32_e64 v25, 0, 0x3ff00000, vcc_lo
	s_delay_alu instid0(VALU_DEP_3) | instskip(NEXT) | instid1(VALU_DEP_2)
	v_add_f64_e32 v[36:37], v[36:37], v[38:39]
	v_add_f64_e64 v[38:39], v[50:51], -v[24:25]
	s_delay_alu instid0(VALU_DEP_1) | instskip(NEXT) | instid1(VALU_DEP_1)
	v_add_f64_e32 v[42:43], v[38:39], v[36:37]
	v_mul_f64_e32 v[44:45], 0x3ff921fb54442d18, v[42:43]
	v_add_f64_e64 v[38:39], v[42:43], -v[38:39]
	s_delay_alu instid0(VALU_DEP_2) | instskip(NEXT) | instid1(VALU_DEP_2)
	v_fma_f64 v[46:47], v[42:43], s[14:15], -v[44:45]
	v_add_f64_e64 v[36:37], v[36:37], -v[38:39]
	s_delay_alu instid0(VALU_DEP_2) | instskip(NEXT) | instid1(VALU_DEP_1)
	v_fmac_f64_e32 v[46:47], 0x3c91a62633145c07, v[42:43]
	v_fmac_f64_e32 v[46:47], 0x3ff921fb54442d18, v[36:37]
	s_delay_alu instid0(VALU_DEP_1) | instskip(NEXT) | instid1(VALU_DEP_1)
	v_add_f64_e32 v[36:37], v[44:45], v[46:47]
	v_add_f64_e64 v[38:39], v[36:37], -v[44:45]
	s_delay_alu instid0(VALU_DEP_1)
	v_add_f64_e64 v[38:39], v[46:47], -v[38:39]
	s_and_not1_saveexec_b32 s2, s2
	s_cbranch_execnz .LBB131_113
	s_branch .LBB131_114
.LBB131_112:                            ;   in Loop: Header=BB131_4 Depth=1
	s_and_not1_saveexec_b32 s2, s2
	s_cbranch_execz .LBB131_114
.LBB131_113:                            ;   in Loop: Header=BB131_4 Depth=1
	v_mul_f64_e64 v[36:37], |v[12:13]|, s[16:17]
	s_delay_alu instid0(VALU_DEP_1) | instskip(NEXT) | instid1(VALU_DEP_1)
	v_rndne_f64_e32 v[40:41], v[36:37]
	v_fma_f64 v[36:37], v[40:41], s[18:19], |v[12:13]|
	v_mul_f64_e32 v[38:39], 0xbc91a62633145c00, v[40:41]
	s_delay_alu instid0(VALU_DEP_2) | instskip(NEXT) | instid1(VALU_DEP_2)
	v_fmamk_f64 v[46:47], v[40:41], 0xbc91a62633145c00, v[36:37]
	v_add_f64_e32 v[42:43], v[36:37], v[38:39]
	s_delay_alu instid0(VALU_DEP_1) | instskip(NEXT) | instid1(VALU_DEP_3)
	v_add_f64_e64 v[44:45], v[36:37], -v[42:43]
	v_add_f64_e64 v[36:37], v[42:43], -v[46:47]
	s_delay_alu instid0(VALU_DEP_2) | instskip(SKIP_1) | instid1(VALU_DEP_2)
	v_add_f64_e32 v[42:43], v[44:45], v[38:39]
	v_fmamk_f64 v[38:39], v[40:41], 0x3c91a62633145c00, v[38:39]
	v_add_f64_e32 v[36:37], v[36:37], v[42:43]
	s_delay_alu instid0(VALU_DEP_1) | instskip(NEXT) | instid1(VALU_DEP_1)
	v_add_f64_e64 v[38:39], v[36:37], -v[38:39]
	v_fmac_f64_e32 v[38:39], 0xb97b839a252049c0, v[40:41]
	v_cvt_i32_f64_e32 v40, v[40:41]
	s_delay_alu instid0(VALU_DEP_2) | instskip(NEXT) | instid1(VALU_DEP_1)
	v_add_f64_e32 v[36:37], v[46:47], v[38:39]
	v_add_f64_e64 v[42:43], v[36:37], -v[46:47]
	s_delay_alu instid0(VALU_DEP_1)
	v_add_f64_e64 v[38:39], v[38:39], -v[42:43]
.LBB131_114:                            ;   in Loop: Header=BB131_4 Depth=1
	s_or_b32 exec_lo, exec_lo, s2
	v_add_f64_e32 v[10:11], 0xc0937be319ba0da4, v[10:11]
	v_mul_f64_e32 v[44:45], v[18:19], v[18:19]
	s_delay_alu instid0(VALU_DEP_3)
	v_mul_f64_e32 v[58:59], 0.5, v[20:21]
	v_cmp_class_f64_e64 s2, v[12:13], 0x1f8
	v_mul_f64_e32 v[46:47], v[36:37], v[36:37]
	v_mul_f64_e32 v[42:43], 0x3ff71547652b82fe, v[10:11]
	v_mul_f64_e32 v[48:49], 0.5, v[44:45]
	v_cmp_nlt_f64_e64 s3, 0x40900000, v[10:11]
	v_cmp_ngt_f64_e64 s4, 0xc090cc00, v[10:11]
	v_mul_f64_e64 v[70:71], v[36:37], -v[46:47]
	v_fmamk_f64 v[74:75], v[46:47], 0x3de5e0b2f9a43bb8, v[32:33]
	v_rndne_f64_e32 v[42:43], v[42:43]
	v_add_f64_e64 v[54:55], -v[48:49], 1.0
	s_delay_alu instid0(VALU_DEP_2) | instskip(NEXT) | instid1(VALU_DEP_2)
	v_fmamk_f64 v[52:53], v[42:43], 0xbfe62e42fefa39ef, v[10:11]
	v_add_f64_e64 v[62:63], -v[54:55], 1.0
	v_cvt_i32_f64_e32 v25, v[42:43]
	v_and_b32_e32 v10, 1, v40
	s_delay_alu instid0(VALU_DEP_4) | instskip(NEXT) | instid1(VALU_DEP_2)
	v_fmac_f64_e32 v[52:53], 0xbc7abc9e3b39803f, v[42:43]
	v_cmp_eq_u32_e64 s5, 0, v10
	v_add_f64_e64 v[48:49], v[62:63], -v[48:49]
	s_delay_alu instid0(VALU_DEP_3) | instskip(NEXT) | instid1(VALU_DEP_1)
	v_fmamk_f64 v[66:67], v[52:53], 0x3e5ade156a5dcb37, v[28:29]
	v_fmaak_f64 v[66:67], v[52:53], v[66:67], 0x3ec71dee623fde64
	s_delay_alu instid0(VALU_DEP_1) | instskip(NEXT) | instid1(VALU_DEP_1)
	v_fmaak_f64 v[66:67], v[52:53], v[66:67], 0x3efa01997c89e6b0
	v_fmaak_f64 v[66:67], v[52:53], v[66:67], 0x3f2a01a014761f6e
	s_delay_alu instid0(VALU_DEP_1) | instskip(NEXT) | instid1(VALU_DEP_1)
	v_fmaak_f64 v[62:63], v[52:53], v[66:67], 0x3f56c16c1852b7b0
	;; [unrolled: 3-line block ×4, first 2 shown]
	v_fma_f64 v[62:63], v[52:53], v[62:63], 1.0
	s_delay_alu instid0(VALU_DEP_1) | instskip(NEXT) | instid1(VALU_DEP_1)
	v_fma_f64 v[42:43], v[52:53], v[62:63], 1.0
	v_ldexp_f64 v[42:43], v[42:43], v25
	v_and_b32_e32 v25, 1, v1
	v_mul_f64_e64 v[60:61], v[18:19], -v[44:45]
	v_fmamk_f64 v[64:65], v[44:45], 0x3de5e0b2f9a43bb8, v[32:33]
	v_mul_f64_e32 v[66:67], v[44:45], v[44:45]
	v_lshlrev_b32_e32 v1, 30, v1
	v_cmp_eq_u32_e32 vcc_lo, 0, v25
	s_delay_alu instid0(VALU_DEP_4) | instskip(NEXT) | instid1(VALU_DEP_1)
	v_fmaak_f64 v[64:65], v[44:45], v[64:65], 0x3ec71de3796cde01
	v_fmaak_f64 v[64:65], v[44:45], v[64:65], 0xbf2a01a019e83e5c
	s_delay_alu instid0(VALU_DEP_1) | instskip(SKIP_1) | instid1(VALU_DEP_2)
	v_fmaak_f64 v[64:65], v[44:45], v[64:65], 0x3f81111111110bb3
	v_cndmask_b32_e64 v12, 0x7ff00000, v43, s3
	v_fmac_f64_e32 v[58:59], v[60:61], v[64:65]
	v_fmaak_f64 v[64:65], v[46:47], v[74:75], 0x3ec71de3796cde01
	s_delay_alu instid0(VALU_DEP_1) | instskip(NEXT) | instid1(VALU_DEP_1)
	v_fmaak_f64 v[64:65], v[46:47], v[64:65], 0xbf2a01a019e83e5c
	v_fmaak_f64 v[64:65], v[46:47], v[64:65], 0x3f81111111110bb3
	s_delay_alu instid0(VALU_DEP_4) | instskip(SKIP_1) | instid1(VALU_DEP_2)
	v_fma_f64 v[58:59], v[44:45], v[58:59], -v[20:21]
	v_fma_f64 v[20:21], v[18:19], -v[20:21], v[48:49]
	v_fmac_f64_e32 v[58:59], 0xbfc5555555555555, v[60:61]
	s_delay_alu instid0(VALU_DEP_1) | instskip(SKIP_1) | instid1(VALU_DEP_2)
	v_add_f64_e64 v[18:19], v[18:19], -v[58:59]
	v_mul_f64_e32 v[68:69], 0.5, v[38:39]
	v_xor_b32_e32 v11, 0x80000000, v19
	s_delay_alu instid0(VALU_DEP_2) | instskip(SKIP_2) | instid1(VALU_DEP_2)
	v_fmac_f64_e32 v[68:69], v[70:71], v[64:65]
	v_fmamk_f64 v[64:65], v[44:45], 0xbda907db46cc5e42, v[30:31]
	v_lshlrev_b32_e32 v19, 30, v40
	v_fmaak_f64 v[48:49], v[44:45], v[64:65], 0xbe927e4fa17f65f6
	s_delay_alu instid0(VALU_DEP_1) | instskip(NEXT) | instid1(VALU_DEP_1)
	v_fmaak_f64 v[48:49], v[44:45], v[48:49], 0x3efa01a019f4ec90
	v_fmaak_f64 v[48:49], v[44:45], v[48:49], 0xbf56c16c16c16967
	s_delay_alu instid0(VALU_DEP_1) | instskip(NEXT) | instid1(VALU_DEP_1)
	v_fmaak_f64 v[44:45], v[44:45], v[48:49], 0x3fa5555555555555
	v_fmac_f64_e32 v[20:21], v[66:67], v[44:45]
	s_delay_alu instid0(VALU_DEP_1) | instskip(NEXT) | instid1(VALU_DEP_1)
	v_add_f64_e32 v[20:21], v[54:55], v[20:21]
	v_dual_cndmask_b32 v18, v18, v20, vcc_lo :: v_dual_cndmask_b32 v10, v11, v21, vcc_lo
	v_cndmask_b32_e64 v20, 0, v12, s4
	s_and_b32 vcc_lo, s4, s3
	v_xor_b32_e32 v11, v19, v13
	s_delay_alu instid0(VALU_DEP_3) | instskip(SKIP_4) | instid1(VALU_DEP_3)
	v_bitop3_b32 v1, v10, v1, 0x80000000 bitop3:0x78
	v_cndmask_b32_e64 v10, 0, v18, s2
	v_mul_f64_e32 v[50:51], 0.5, v[46:47]
	v_mul_f64_e32 v[64:65], v[46:47], v[46:47]
	v_dual_fma_f64 v[48:49], v[46:47], v[68:69], -v[38:39] :: v_dual_cndmask_b32 v18, 0, v42, vcc_lo
	v_add_f64_e64 v[56:57], -v[50:51], 1.0
	s_delay_alu instid0(VALU_DEP_2) | instskip(NEXT) | instid1(VALU_DEP_2)
	v_fmac_f64_e32 v[48:49], 0xbfc5555555555555, v[70:71]
	v_add_f64_e64 v[72:73], -v[56:57], 1.0
	s_delay_alu instid0(VALU_DEP_1) | instskip(SKIP_1) | instid1(VALU_DEP_2)
	v_add_f64_e64 v[50:51], v[72:73], -v[50:51]
	v_fmamk_f64 v[72:73], v[46:47], 0xbda907db46cc5e42, v[30:31]
	v_fma_f64 v[38:39], v[36:37], -v[38:39], v[50:51]
	s_delay_alu instid0(VALU_DEP_2) | instskip(SKIP_1) | instid1(VALU_DEP_2)
	v_fmaak_f64 v[50:51], v[46:47], v[72:73], 0xbe927e4fa17f65f6
	v_add_f64_e64 v[36:37], v[36:37], -v[48:49]
	v_fmaak_f64 v[44:45], v[46:47], v[50:51], 0x3efa01a019f4ec90
	s_delay_alu instid0(VALU_DEP_1) | instskip(NEXT) | instid1(VALU_DEP_1)
	v_fmaak_f64 v[44:45], v[46:47], v[44:45], 0xbf56c16c16c16967
	v_fmaak_f64 v[44:45], v[46:47], v[44:45], 0x3fa5555555555555
	s_delay_alu instid0(VALU_DEP_1) | instskip(NEXT) | instid1(VALU_DEP_1)
	v_fmac_f64_e32 v[38:39], v[64:65], v[44:45]
	v_add_f64_e32 v[38:39], v[56:57], v[38:39]
	s_delay_alu instid0(VALU_DEP_1) | instskip(NEXT) | instid1(VALU_DEP_1)
	v_dual_cndmask_b32 v19, v39, v37, s5 :: v_dual_cndmask_b32 v13, v38, v36, s5
	v_bitop3_b32 v21, v19, v11, 0x80000000 bitop3:0x78
	v_cndmask_b32_e64 v11, 0x7ff80000, v1, s2
	s_delay_alu instid0(VALU_DEP_3) | instskip(SKIP_3) | instid1(VALU_DEP_3)
	v_cndmask_b32_e64 v12, 0, v13, s2
	v_and_or_b32 v19, v20, s27, 0x7fe00000
	v_lshrrev_b32_e32 v1, 20, v20
	v_cndmask_b32_e64 v13, 0x7ff80000, v21, s2
	v_dual_mul_f64 v[10:11], v[18:19], v[10:11] :: v_dual_mov_b32 v20, v24
	s_delay_alu instid0(VALU_DEP_3) | instskip(NEXT) | instid1(VALU_DEP_3)
	v_add_nc_u32_e32 v1, 0xffffff09, v1
	v_mul_f64_e32 v[12:13], v[18:19], v[12:13]
	s_delay_alu instid0(VALU_DEP_2) | instskip(NEXT) | instid1(VALU_DEP_1)
	v_lshrrev_b16 v18, 15, v1
	v_add_nc_u16 v18, v1, v18
	s_delay_alu instid0(VALU_DEP_1) | instskip(NEXT) | instid1(VALU_DEP_1)
	v_ashrrev_i16 v18, 1, v18
	v_bfe_i32 v18, v18, 0, 16
	s_delay_alu instid0(VALU_DEP_1) | instskip(NEXT) | instid1(VALU_DEP_1)
	v_lshl_add_u32 v25, v18, 20, 0x3ff00000
	v_dual_mul_f64 v[10:11], v[10:11], v[24:25] :: v_dual_sub_nc_u32 v1, v1, v18
	s_delay_alu instid0(VALU_DEP_1) | instskip(SKIP_1) | instid1(VALU_DEP_2)
	v_lshl_add_u32 v21, v1, 20, 0x3ff00000
	v_mul_f64_e32 v[12:13], v[12:13], v[24:25]
	v_mul_f64_e32 v[18:19], v[10:11], v[20:21]
	s_delay_alu instid0(VALU_DEP_2)
	v_mul_f64_e32 v[20:21], v[12:13], v[20:21]
.LBB131_115:                            ;   in Loop: Header=BB131_4 Depth=1
	s_or_b32 exec_lo, exec_lo, s33
                                        ; implicit-def: $vgpr10_vgpr11
                                        ; implicit-def: $vgpr1
.LBB131_116:                            ;   in Loop: Header=BB131_4 Depth=1
	s_and_not1_saveexec_b32 s3, s31
	s_cbranch_execz .LBB131_122
; %bb.117:                              ;   in Loop: Header=BB131_4 Depth=1
	v_add_f64_e64 v[20:21], v[12:13], -v[12:13]
	v_cmp_ne_u32_e32 vcc_lo, 0, v10
	v_cmp_ne_u32_e64 s2, 0x7ff00000, v1
	s_or_b32 s2, vcc_lo, s2
	s_delay_alu instid0(SALU_CYCLE_1) | instskip(NEXT) | instid1(SALU_CYCLE_1)
	s_and_saveexec_b32 s4, s2
	s_xor_b32 s2, exec_lo, s4
; %bb.118:                              ;   in Loop: Header=BB131_4 Depth=1
                                        ; implicit-def: $vgpr10_vgpr11
; %bb.119:                              ;   in Loop: Header=BB131_4 Depth=1
	s_delay_alu instid0(SALU_CYCLE_1)
	s_or_saveexec_b32 s2, s2
	v_mov_b64_e32 v[18:19], v[20:21]
	s_xor_b32 exec_lo, exec_lo, s2
; %bb.120:                              ;   in Loop: Header=BB131_4 Depth=1
	v_cmp_lt_i64_e32 vcc_lo, -1, v[10:11]
	v_dual_cndmask_b32 v19, 0, v11 :: v_dual_cndmask_b32 v18, 0, v10
	v_dual_cndmask_b32 v21, 0, v21 :: v_dual_cndmask_b32 v20, 0, v20
; %bb.121:                              ;   in Loop: Header=BB131_4 Depth=1
	s_or_b32 exec_lo, exec_lo, s2
.LBB131_122:                            ;   in Loop: Header=BB131_4 Depth=1
	s_delay_alu instid0(SALU_CYCLE_1)
	s_or_b32 exec_lo, exec_lo, s3
                                        ; implicit-def: $vgpr12_vgpr13
.LBB131_123:                            ;   in Loop: Header=BB131_4 Depth=1
	s_and_not1_saveexec_b32 s4, s30
	s_cbranch_execz .LBB131_133
; %bb.124:                              ;   in Loop: Header=BB131_4 Depth=1
	v_cmp_ngt_f64_e64 s2, 0x41d00000, |v[12:13]|
	v_trig_preop_f64 v[38:39], |v[12:13]|, 0
	v_trig_preop_f64 v[36:37], |v[12:13]|, 1
	v_ldexp_f64 v[40:41], |v[12:13]|, 0xffffff80
	v_trig_preop_f64 v[20:21], |v[12:13]|, 2
	v_and_b32_e32 v48, 0x7fffffff, v13
                                        ; implicit-def: $vgpr1
                                        ; implicit-def: $vgpr10_vgpr11
                                        ; implicit-def: $vgpr18_vgpr19
	s_and_saveexec_b32 s3, s2
	s_delay_alu instid0(SALU_CYCLE_1)
	s_xor_b32 s3, exec_lo, s3
	s_cbranch_execz .LBB131_126
; %bb.125:                              ;   in Loop: Header=BB131_4 Depth=1
	v_cmp_le_f64_e64 vcc_lo, 0x7b000000, |v[12:13]|
	s_delay_alu instid0(VALU_DEP_4) | instskip(SKIP_1) | instid1(VALU_DEP_1)
	v_cndmask_b32_e32 v11, v48, v41, vcc_lo
	v_cndmask_b32_e32 v10, v12, v40, vcc_lo
	v_mul_f64_e32 v[18:19], v[38:39], v[10:11]
	v_mul_f64_e32 v[42:43], v[36:37], v[10:11]
	s_delay_alu instid0(VALU_DEP_2) | instskip(NEXT) | instid1(VALU_DEP_1)
	v_fma_f64 v[44:45], v[38:39], v[10:11], -v[18:19]
	v_add_f64_e32 v[46:47], v[42:43], v[44:45]
	s_delay_alu instid0(VALU_DEP_1) | instskip(SKIP_1) | instid1(VALU_DEP_2)
	v_add_f64_e64 v[50:51], v[46:47], -v[42:43]
	v_add_f64_e32 v[54:55], v[18:19], v[46:47]
	v_add_f64_e64 v[52:53], v[46:47], -v[50:51]
	v_fma_f64 v[58:59], v[36:37], v[10:11], -v[42:43]
	v_add_f64_e64 v[44:45], v[44:45], -v[50:51]
	s_delay_alu instid0(VALU_DEP_4) | instskip(SKIP_2) | instid1(VALU_DEP_3)
	v_ldexp_f64 v[50:51], v[54:55], -2
	v_mul_f64_e32 v[56:57], v[20:21], v[10:11]
	v_add_f64_e64 v[42:43], v[42:43], -v[52:53]
	v_cmp_neq_f64_e64 vcc_lo, 0x7ff00000, |v[50:51]|
	s_delay_alu instid0(VALU_DEP_3) | instskip(SKIP_1) | instid1(VALU_DEP_4)
	v_add_f64_e32 v[52:53], v[56:57], v[58:59]
	v_fma_f64 v[10:11], v[20:21], v[10:11], -v[56:57]
	v_add_f64_e32 v[42:43], v[44:45], v[42:43]
	v_fract_f64_e32 v[44:45], v[50:51]
	s_delay_alu instid0(VALU_DEP_1) | instskip(NEXT) | instid1(VALU_DEP_1)
	v_ldexp_f64 v[44:45], v[44:45], 2
	v_dual_add_f64 v[18:19], v[54:55], -v[18:19] :: v_dual_cndmask_b32 v45, 0, v45, vcc_lo
	s_delay_alu instid0(VALU_DEP_1) | instskip(SKIP_1) | instid1(VALU_DEP_1)
	v_dual_add_f64 v[18:19], v[46:47], -v[18:19] :: v_dual_cndmask_b32 v44, 0, v44, vcc_lo
	v_add_f64_e32 v[46:47], v[52:53], v[42:43]
	v_add_f64_e32 v[50:51], v[18:19], v[46:47]
	v_add_f64_e64 v[60:61], v[46:47], -v[52:53]
	s_delay_alu instid0(VALU_DEP_2) | instskip(NEXT) | instid1(VALU_DEP_2)
	v_add_f64_e32 v[54:55], v[50:51], v[44:45]
	v_add_f64_e64 v[66:67], v[46:47], -v[60:61]
	v_add_f64_e64 v[42:43], v[42:43], -v[60:61]
	;; [unrolled: 1-line block ×3, first 2 shown]
	s_delay_alu instid0(VALU_DEP_4) | instskip(SKIP_1) | instid1(VALU_DEP_3)
	v_cmp_gt_f64_e32 vcc_lo, 0, v[54:55]
	v_add_f64_e64 v[54:55], v[52:53], -v[56:57]
	v_add_f64_e64 v[18:19], v[46:47], -v[18:19]
	v_cndmask_b32_e64 v25, 0, 0x40100000, vcc_lo
	s_delay_alu instid0(VALU_DEP_3) | instskip(SKIP_2) | instid1(VALU_DEP_4)
	v_add_f64_e64 v[64:65], v[52:53], -v[54:55]
	v_add_f64_e64 v[54:55], v[58:59], -v[54:55]
	;; [unrolled: 1-line block ×3, first 2 shown]
	v_add_f64_e32 v[44:45], v[44:45], v[24:25]
	s_delay_alu instid0(VALU_DEP_4) | instskip(NEXT) | instid1(VALU_DEP_3)
	v_add_f64_e64 v[58:59], v[56:57], -v[64:65]
	v_add_f64_e32 v[42:43], v[42:43], v[52:53]
	s_delay_alu instid0(VALU_DEP_3) | instskip(NEXT) | instid1(VALU_DEP_3)
	v_add_f64_e32 v[62:63], v[50:51], v[44:45]
	v_add_f64_e32 v[54:55], v[54:55], v[58:59]
	s_delay_alu instid0(VALU_DEP_2) | instskip(NEXT) | instid1(VALU_DEP_2)
	v_cvt_i32_f64_e32 v1, v[62:63]
	v_add_f64_e32 v[42:43], v[54:55], v[42:43]
	s_delay_alu instid0(VALU_DEP_2) | instskip(NEXT) | instid1(VALU_DEP_2)
	v_cvt_f64_i32_e32 v[60:61], v1
	v_add_f64_e32 v[10:11], v[10:11], v[42:43]
	s_delay_alu instid0(VALU_DEP_2) | instskip(NEXT) | instid1(VALU_DEP_2)
	v_add_f64_e64 v[44:45], v[44:45], -v[60:61]
	v_add_f64_e32 v[10:11], v[18:19], v[10:11]
	s_delay_alu instid0(VALU_DEP_2) | instskip(NEXT) | instid1(VALU_DEP_1)
	v_add_f64_e32 v[52:53], v[50:51], v[44:45]
	v_add_f64_e64 v[42:43], v[52:53], -v[44:45]
	v_cmp_le_f64_e32 vcc_lo, 0.5, v[52:53]
	s_delay_alu instid0(VALU_DEP_2) | instskip(SKIP_2) | instid1(VALU_DEP_3)
	v_add_f64_e64 v[18:19], v[50:51], -v[42:43]
	v_cndmask_b32_e64 v25, 0, 0x3ff00000, vcc_lo
	v_add_co_ci_u32_e64 v1, null, 0, v1, vcc_lo
	v_add_f64_e32 v[10:11], v[10:11], v[18:19]
	s_delay_alu instid0(VALU_DEP_3) | instskip(NEXT) | instid1(VALU_DEP_1)
	v_add_f64_e64 v[18:19], v[52:53], -v[24:25]
	v_add_f64_e32 v[42:43], v[18:19], v[10:11]
	s_delay_alu instid0(VALU_DEP_1) | instskip(SKIP_1) | instid1(VALU_DEP_2)
	v_mul_f64_e32 v[44:45], 0x3ff921fb54442d18, v[42:43]
	v_add_f64_e64 v[18:19], v[42:43], -v[18:19]
	v_fma_f64 v[46:47], v[42:43], s[14:15], -v[44:45]
	s_delay_alu instid0(VALU_DEP_2) | instskip(NEXT) | instid1(VALU_DEP_2)
	v_add_f64_e64 v[10:11], v[10:11], -v[18:19]
	v_fmac_f64_e32 v[46:47], 0x3c91a62633145c07, v[42:43]
	s_delay_alu instid0(VALU_DEP_1) | instskip(NEXT) | instid1(VALU_DEP_1)
	v_fmac_f64_e32 v[46:47], 0x3ff921fb54442d18, v[10:11]
	v_add_f64_e32 v[10:11], v[44:45], v[46:47]
	s_delay_alu instid0(VALU_DEP_1) | instskip(NEXT) | instid1(VALU_DEP_1)
	v_add_f64_e64 v[18:19], v[10:11], -v[44:45]
	v_add_f64_e64 v[18:19], v[46:47], -v[18:19]
.LBB131_126:                            ;   in Loop: Header=BB131_4 Depth=1
	s_or_saveexec_b32 s3, s3
	v_mul_f64_e64 v[42:43], |v[12:13]|, s[16:17]
	s_delay_alu instid0(VALU_DEP_1)
	v_rndne_f64_e32 v[46:47], v[42:43]
	s_xor_b32 exec_lo, exec_lo, s3
	s_cbranch_execz .LBB131_128
; %bb.127:                              ;   in Loop: Header=BB131_4 Depth=1
	s_delay_alu instid0(VALU_DEP_1) | instskip(SKIP_2) | instid1(VALU_DEP_3)
	v_fma_f64 v[10:11], v[46:47], s[18:19], |v[12:13]|
	v_mul_f64_e32 v[18:19], 0xbc91a62633145c00, v[46:47]
	v_cvt_i32_f64_e32 v1, v[46:47]
	v_fmamk_f64 v[50:51], v[46:47], 0xbc91a62633145c00, v[10:11]
	s_delay_alu instid0(VALU_DEP_3) | instskip(NEXT) | instid1(VALU_DEP_1)
	v_add_f64_e32 v[42:43], v[10:11], v[18:19]
	v_add_f64_e64 v[44:45], v[10:11], -v[42:43]
	s_delay_alu instid0(VALU_DEP_3) | instskip(NEXT) | instid1(VALU_DEP_2)
	v_add_f64_e64 v[10:11], v[42:43], -v[50:51]
	v_add_f64_e32 v[42:43], v[44:45], v[18:19]
	v_fmamk_f64 v[18:19], v[46:47], 0x3c91a62633145c00, v[18:19]
	s_delay_alu instid0(VALU_DEP_2) | instskip(NEXT) | instid1(VALU_DEP_1)
	v_add_f64_e32 v[10:11], v[10:11], v[42:43]
	v_add_f64_e64 v[18:19], v[10:11], -v[18:19]
	s_delay_alu instid0(VALU_DEP_1) | instskip(NEXT) | instid1(VALU_DEP_1)
	v_fmac_f64_e32 v[18:19], 0xb97b839a252049c0, v[46:47]
	v_add_f64_e32 v[10:11], v[50:51], v[18:19]
	s_delay_alu instid0(VALU_DEP_1) | instskip(NEXT) | instid1(VALU_DEP_1)
	v_add_f64_e64 v[42:43], v[10:11], -v[50:51]
	v_add_f64_e64 v[18:19], v[18:19], -v[42:43]
.LBB131_128:                            ;   in Loop: Header=BB131_4 Depth=1
	s_or_b32 exec_lo, exec_lo, s3
                                        ; implicit-def: $vgpr49
                                        ; implicit-def: $vgpr42_vgpr43
                                        ; implicit-def: $vgpr44_vgpr45
	s_and_saveexec_b32 s3, s2
	s_delay_alu instid0(SALU_CYCLE_1)
	s_xor_b32 s2, exec_lo, s3
	s_cbranch_execz .LBB131_130
; %bb.129:                              ;   in Loop: Header=BB131_4 Depth=1
	v_cmp_le_f64_e64 vcc_lo, 0x7b000000, |v[12:13]|
	v_cndmask_b32_e32 v41, v48, v41, vcc_lo
	v_cndmask_b32_e32 v40, v12, v40, vcc_lo
	s_delay_alu instid0(VALU_DEP_1) | instskip(SKIP_1) | instid1(VALU_DEP_2)
	v_mul_f64_e32 v[42:43], v[38:39], v[40:41]
	v_mul_f64_e32 v[44:45], v[36:37], v[40:41]
	v_fma_f64 v[38:39], v[38:39], v[40:41], -v[42:43]
	s_delay_alu instid0(VALU_DEP_1) | instskip(NEXT) | instid1(VALU_DEP_1)
	v_add_f64_e32 v[46:47], v[44:45], v[38:39]
	v_add_f64_e64 v[48:49], v[46:47], -v[44:45]
	v_add_f64_e32 v[52:53], v[42:43], v[46:47]
	s_delay_alu instid0(VALU_DEP_2) | instskip(SKIP_1) | instid1(VALU_DEP_3)
	v_add_f64_e64 v[50:51], v[46:47], -v[48:49]
	v_add_f64_e64 v[38:39], v[38:39], -v[48:49]
	v_ldexp_f64 v[48:49], v[52:53], -2
	s_delay_alu instid0(VALU_DEP_1) | instskip(SKIP_1) | instid1(VALU_DEP_1)
	v_cmp_neq_f64_e64 vcc_lo, 0x7ff00000, |v[48:49]|
	v_add_f64_e64 v[42:43], v[52:53], -v[42:43]
	v_add_f64_e64 v[42:43], v[46:47], -v[42:43]
	v_mul_f64_e32 v[54:55], v[20:21], v[40:41]
	v_fma_f64 v[36:37], v[36:37], v[40:41], -v[44:45]
	v_add_f64_e64 v[44:45], v[44:45], -v[50:51]
	s_delay_alu instid0(VALU_DEP_3) | instskip(NEXT) | instid1(VALU_DEP_3)
	v_fma_f64 v[20:21], v[20:21], v[40:41], -v[54:55]
	v_add_f64_e32 v[50:51], v[54:55], v[36:37]
	s_delay_alu instid0(VALU_DEP_3) | instskip(SKIP_1) | instid1(VALU_DEP_2)
	v_add_f64_e32 v[38:39], v[38:39], v[44:45]
	v_fract_f64_e32 v[44:45], v[48:49]
	v_add_f64_e32 v[46:47], v[50:51], v[38:39]
	s_delay_alu instid0(VALU_DEP_2) | instskip(NEXT) | instid1(VALU_DEP_1)
	v_ldexp_f64 v[44:45], v[44:45], 2
	v_dual_add_f64 v[48:49], v[42:43], v[46:47] :: v_dual_cndmask_b32 v45, 0, v45, vcc_lo
	s_delay_alu instid0(VALU_DEP_2) | instskip(NEXT) | instid1(VALU_DEP_1)
	v_dual_add_f64 v[56:57], v[46:47], -v[50:51] :: v_dual_cndmask_b32 v44, 0, v44, vcc_lo
	v_add_f64_e32 v[52:53], v[48:49], v[44:45]
	v_add_f64_e64 v[40:41], v[48:49], -v[42:43]
	s_delay_alu instid0(VALU_DEP_3) | instskip(SKIP_1) | instid1(VALU_DEP_4)
	v_add_f64_e64 v[62:63], v[46:47], -v[56:57]
	v_add_f64_e64 v[38:39], v[38:39], -v[56:57]
	v_cmp_gt_f64_e32 vcc_lo, 0, v[52:53]
	v_add_f64_e64 v[52:53], v[50:51], -v[54:55]
	v_add_f64_e64 v[40:41], v[46:47], -v[40:41]
                                        ; implicit-def: $vgpr46_vgpr47
	v_cndmask_b32_e64 v25, 0, 0x40100000, vcc_lo
	s_delay_alu instid0(VALU_DEP_3) | instskip(SKIP_2) | instid1(VALU_DEP_4)
	v_add_f64_e64 v[60:61], v[50:51], -v[52:53]
	v_add_f64_e64 v[36:37], v[36:37], -v[52:53]
	;; [unrolled: 1-line block ×3, first 2 shown]
	v_add_f64_e32 v[44:45], v[44:45], v[24:25]
	s_delay_alu instid0(VALU_DEP_4) | instskip(NEXT) | instid1(VALU_DEP_3)
	v_add_f64_e64 v[52:53], v[54:55], -v[60:61]
	v_add_f64_e32 v[38:39], v[38:39], v[50:51]
	s_delay_alu instid0(VALU_DEP_3) | instskip(NEXT) | instid1(VALU_DEP_3)
	v_add_f64_e32 v[58:59], v[48:49], v[44:45]
	v_add_f64_e32 v[36:37], v[36:37], v[52:53]
	s_delay_alu instid0(VALU_DEP_2) | instskip(NEXT) | instid1(VALU_DEP_2)
	v_cvt_i32_f64_e32 v25, v[58:59]
	v_add_f64_e32 v[36:37], v[36:37], v[38:39]
	s_delay_alu instid0(VALU_DEP_2) | instskip(NEXT) | instid1(VALU_DEP_2)
	v_cvt_f64_i32_e32 v[56:57], v25
	v_add_f64_e32 v[20:21], v[20:21], v[36:37]
	s_delay_alu instid0(VALU_DEP_2) | instskip(NEXT) | instid1(VALU_DEP_2)
	v_add_f64_e64 v[44:45], v[44:45], -v[56:57]
	v_add_f64_e32 v[20:21], v[40:41], v[20:21]
	s_delay_alu instid0(VALU_DEP_2) | instskip(NEXT) | instid1(VALU_DEP_1)
	v_add_f64_e32 v[38:39], v[48:49], v[44:45]
	v_add_f64_e64 v[36:37], v[38:39], -v[44:45]
	v_cmp_le_f64_e32 vcc_lo, 0.5, v[38:39]
	s_delay_alu instid0(VALU_DEP_2) | instskip(SKIP_2) | instid1(VALU_DEP_3)
	v_add_f64_e64 v[36:37], v[48:49], -v[36:37]
	v_add_co_ci_u32_e64 v49, null, 0, v25, vcc_lo
	v_cndmask_b32_e64 v25, 0, 0x3ff00000, vcc_lo
	v_add_f64_e32 v[20:21], v[20:21], v[36:37]
	s_delay_alu instid0(VALU_DEP_2) | instskip(NEXT) | instid1(VALU_DEP_1)
	v_add_f64_e64 v[36:37], v[38:39], -v[24:25]
	v_add_f64_e32 v[38:39], v[36:37], v[20:21]
	s_delay_alu instid0(VALU_DEP_1) | instskip(SKIP_1) | instid1(VALU_DEP_2)
	v_mul_f64_e32 v[40:41], 0x3ff921fb54442d18, v[38:39]
	v_add_f64_e64 v[36:37], v[38:39], -v[36:37]
	v_fma_f64 v[44:45], v[38:39], s[14:15], -v[40:41]
	s_delay_alu instid0(VALU_DEP_2) | instskip(NEXT) | instid1(VALU_DEP_2)
	v_add_f64_e64 v[20:21], v[20:21], -v[36:37]
	v_fmac_f64_e32 v[44:45], 0x3c91a62633145c07, v[38:39]
	s_delay_alu instid0(VALU_DEP_1) | instskip(NEXT) | instid1(VALU_DEP_1)
	v_fmac_f64_e32 v[44:45], 0x3ff921fb54442d18, v[20:21]
	v_add_f64_e32 v[42:43], v[40:41], v[44:45]
	s_delay_alu instid0(VALU_DEP_1) | instskip(NEXT) | instid1(VALU_DEP_1)
	v_add_f64_e64 v[20:21], v[42:43], -v[40:41]
	v_add_f64_e64 v[44:45], v[44:45], -v[20:21]
	s_and_not1_saveexec_b32 s2, s2
	s_cbranch_execnz .LBB131_131
	s_branch .LBB131_132
.LBB131_130:                            ;   in Loop: Header=BB131_4 Depth=1
	s_and_not1_saveexec_b32 s2, s2
	s_cbranch_execz .LBB131_132
.LBB131_131:                            ;   in Loop: Header=BB131_4 Depth=1
	s_delay_alu instid0(VALU_DEP_1) | instskip(SKIP_2) | instid1(VALU_DEP_2)
	v_fma_f64 v[20:21], v[46:47], s[18:19], |v[12:13]|
	v_mul_f64_e32 v[36:37], 0xbc91a62633145c00, v[46:47]
	v_cvt_i32_f64_e32 v49, v[46:47]
	v_add_f64_e32 v[38:39], v[20:21], v[36:37]
	s_delay_alu instid0(VALU_DEP_1) | instskip(SKIP_1) | instid1(VALU_DEP_1)
	v_add_f64_e64 v[40:41], v[20:21], -v[38:39]
	v_fmamk_f64 v[20:21], v[46:47], 0xbc91a62633145c00, v[20:21]
	v_add_f64_e64 v[38:39], v[38:39], -v[20:21]
	s_delay_alu instid0(VALU_DEP_3) | instskip(SKIP_1) | instid1(VALU_DEP_2)
	v_add_f64_e32 v[40:41], v[40:41], v[36:37]
	v_fmamk_f64 v[36:37], v[46:47], 0x3c91a62633145c00, v[36:37]
	v_add_f64_e32 v[38:39], v[38:39], v[40:41]
	s_delay_alu instid0(VALU_DEP_1) | instskip(NEXT) | instid1(VALU_DEP_1)
	v_add_f64_e64 v[36:37], v[38:39], -v[36:37]
	v_fmac_f64_e32 v[36:37], 0xb97b839a252049c0, v[46:47]
	s_delay_alu instid0(VALU_DEP_1) | instskip(NEXT) | instid1(VALU_DEP_1)
	v_add_f64_e32 v[42:43], v[20:21], v[36:37]
	v_add_f64_e64 v[20:21], v[42:43], -v[20:21]
	s_delay_alu instid0(VALU_DEP_1)
	v_add_f64_e64 v[44:45], v[36:37], -v[20:21]
.LBB131_132:                            ;   in Loop: Header=BB131_4 Depth=1
	s_or_b32 exec_lo, exec_lo, s2
	v_dual_mul_f64 v[20:21], v[10:11], v[10:11] :: v_dual_bitop2_b32 v25, 1, v1 bitop3:0x40
	s_delay_alu instid0(VALU_DEP_2) | instskip(SKIP_2) | instid1(VALU_DEP_4)
	v_mul_f64_e32 v[52:53], 0.5, v[18:19]
	v_cmp_class_f64_e64 s2, v[12:13], 0x1f8
	v_dual_mul_f64 v[36:37], v[42:43], v[42:43] :: v_dual_bitop2_b32 v12, 1, v49 bitop3:0x40
	v_cmp_eq_u32_e32 vcc_lo, 0, v25
	v_mul_f64_e32 v[60:61], 0.5, v[44:45]
	v_lshlrev_b32_e32 v1, 30, v1
	s_delay_alu instid0(VALU_DEP_4)
	v_cmp_eq_u32_e64 s3, 0, v12
	v_mul_f64_e32 v[38:39], 0.5, v[20:21]
	v_mul_f64_e64 v[54:55], v[10:11], -v[20:21]
	v_fmamk_f64 v[58:59], v[20:21], 0x3de5e0b2f9a43bb8, v[32:33]
	v_mul_f64_e64 v[62:63], v[42:43], -v[36:37]
	v_fmamk_f64 v[66:67], v[36:37], 0x3de5e0b2f9a43bb8, v[32:33]
	s_delay_alu instid0(VALU_DEP_3) | instskip(NEXT) | instid1(VALU_DEP_1)
	v_fmaak_f64 v[58:59], v[20:21], v[58:59], 0x3ec71de3796cde01
	v_fmaak_f64 v[58:59], v[20:21], v[58:59], 0xbf2a01a019e83e5c
	s_delay_alu instid0(VALU_DEP_1) | instskip(SKIP_1) | instid1(VALU_DEP_2)
	v_fmaak_f64 v[58:59], v[20:21], v[58:59], 0x3f81111111110bb3
	v_add_f64_e64 v[46:47], -v[38:39], 1.0
	v_fmac_f64_e32 v[52:53], v[54:55], v[58:59]
	v_mul_f64_e32 v[58:59], v[20:21], v[20:21]
	s_delay_alu instid0(VALU_DEP_3) | instskip(NEXT) | instid1(VALU_DEP_3)
	v_add_f64_e64 v[56:57], -v[46:47], 1.0
	v_fma_f64 v[52:53], v[20:21], v[52:53], -v[18:19]
	s_delay_alu instid0(VALU_DEP_2) | instskip(SKIP_1) | instid1(VALU_DEP_3)
	v_add_f64_e64 v[38:39], v[56:57], -v[38:39]
	v_fmaak_f64 v[56:57], v[36:37], v[66:67], 0x3ec71de3796cde01
	v_fmac_f64_e32 v[52:53], 0xbfc5555555555555, v[54:55]
	s_delay_alu instid0(VALU_DEP_2) | instskip(NEXT) | instid1(VALU_DEP_1)
	v_fmaak_f64 v[56:57], v[36:37], v[56:57], 0xbf2a01a019e83e5c
	v_fmaak_f64 v[56:57], v[36:37], v[56:57], 0x3f81111111110bb3
	s_delay_alu instid0(VALU_DEP_1) | instskip(SKIP_2) | instid1(VALU_DEP_2)
	v_fmac_f64_e32 v[60:61], v[62:63], v[56:57]
	v_fmamk_f64 v[56:57], v[20:21], 0xbda907db46cc5e42, v[30:31]
	v_fma_f64 v[18:19], v[10:11], -v[18:19], v[38:39]
	v_fmaak_f64 v[38:39], v[20:21], v[56:57], 0xbe927e4fa17f65f6
	v_add_f64_e64 v[10:11], v[10:11], -v[52:53]
	v_fmamk_f64 v[56:57], v[36:37], 0xbda907db46cc5e42, v[30:31]
	s_delay_alu instid0(VALU_DEP_3) | instskip(NEXT) | instid1(VALU_DEP_1)
	v_fmaak_f64 v[38:39], v[20:21], v[38:39], 0x3efa01a019f4ec90
	v_fmaak_f64 v[38:39], v[20:21], v[38:39], 0xbf56c16c16c16967
	s_delay_alu instid0(VALU_DEP_1) | instskip(SKIP_2) | instid1(VALU_DEP_3)
	v_fmaak_f64 v[20:21], v[20:21], v[38:39], 0x3fa5555555555555
	v_fma_f64 v[60:61], v[36:37], v[60:61], -v[44:45]
	v_fmaak_f64 v[38:39], v[36:37], v[56:57], 0xbe927e4fa17f65f6
	v_fmac_f64_e32 v[18:19], v[58:59], v[20:21]
	s_delay_alu instid0(VALU_DEP_2) | instskip(SKIP_1) | instid1(VALU_DEP_2)
	v_fmaak_f64 v[20:21], v[36:37], v[38:39], 0x3efa01a019f4ec90
	v_xor_b32_e32 v11, 0x80000000, v11
	v_fmaak_f64 v[20:21], v[36:37], v[20:21], 0xbf56c16c16c16967
	s_delay_alu instid0(VALU_DEP_1) | instskip(SKIP_2) | instid1(VALU_DEP_1)
	v_fmaak_f64 v[20:21], v[36:37], v[20:21], 0x3fa5555555555555
	v_fmac_f64_e32 v[60:61], 0xbfc5555555555555, v[62:63]
	v_add_f64_e32 v[18:19], v[46:47], v[18:19]
	v_dual_mul_f64 v[40:41], 0.5, v[36:37] :: v_dual_cndmask_b32 v11, v11, v19, vcc_lo
	s_delay_alu instid0(VALU_DEP_1) | instskip(NEXT) | instid1(VALU_DEP_3)
	v_add_f64_e64 v[50:51], -v[40:41], 1.0
	v_dual_cndmask_b32 v10, v10, v18, vcc_lo :: v_dual_lshlrev_b32 v18, 30, v49
	s_delay_alu instid0(VALU_DEP_3) | instskip(NEXT) | instid1(VALU_DEP_2)
	v_bitop3_b32 v1, v11, v1, 0x80000000 bitop3:0x78
	v_xor_b32_e32 v12, v18, v13
	s_delay_alu instid0(VALU_DEP_2) | instskip(SKIP_1) | instid1(VALU_DEP_1)
	v_cndmask_b32_e64 v19, 0x7ff80000, v1, s2
	v_add_f64_e64 v[64:65], -v[50:51], 1.0
	v_add_f64_e64 v[40:41], v[64:65], -v[40:41]
	v_mul_f64_e32 v[64:65], v[36:37], v[36:37]
	s_delay_alu instid0(VALU_DEP_2) | instskip(NEXT) | instid1(VALU_DEP_1)
	v_fma_f64 v[40:41], v[42:43], -v[44:45], v[40:41]
	v_fmac_f64_e32 v[40:41], v[64:65], v[20:21]
	v_add_f64_e64 v[20:21], v[42:43], -v[60:61]
	s_delay_alu instid0(VALU_DEP_2) | instskip(NEXT) | instid1(VALU_DEP_1)
	v_add_f64_e32 v[36:37], v[50:51], v[40:41]
	v_dual_cndmask_b32 v18, v37, v21, s3 :: v_dual_cndmask_b32 v13, v36, v20, s3
	s_delay_alu instid0(VALU_DEP_1) | instskip(NEXT) | instid1(VALU_DEP_2)
	v_bitop3_b32 v11, v18, v12, 0x80000000 bitop3:0x78
	v_dual_cndmask_b32 v18, 0, v10, s2 :: v_dual_cndmask_b32 v20, 0, v13, s2
	s_delay_alu instid0(VALU_DEP_2)
	v_cndmask_b32_e64 v21, 0x7ff80000, v11, s2
.LBB131_133:                            ;   in Loop: Header=BB131_4 Depth=1
	s_or_b32 exec_lo, exec_lo, s4
                                        ; implicit-def: $vgpr10_vgpr11
.LBB131_134:                            ;   in Loop: Header=BB131_4 Depth=1
	s_and_not1_saveexec_b32 s3, s29
	s_cbranch_execz .LBB131_136
; %bb.135:                              ;   in Loop: Header=BB131_4 Depth=1
	v_mul_f64_e32 v[18:19], 0x3ff71547652b82fe, v[10:11]
	v_cmp_nlt_f64_e32 vcc_lo, 0x40900000, v[10:11]
	v_cmp_ngt_f64_e64 s2, 0xc090cc00, v[10:11]
	s_delay_alu instid0(VALU_DEP_3) | instskip(NEXT) | instid1(VALU_DEP_1)
	v_rndne_f64_e32 v[18:19], v[18:19]
	v_fmamk_f64 v[20:21], v[18:19], 0xbfe62e42fefa39ef, v[10:11]
	v_cvt_i32_f64_e32 v1, v[18:19]
	s_delay_alu instid0(VALU_DEP_2) | instskip(NEXT) | instid1(VALU_DEP_1)
	v_fmac_f64_e32 v[20:21], 0xbc7abc9e3b39803f, v[18:19]
	v_fmamk_f64 v[36:37], v[20:21], 0x3e5ade156a5dcb37, v[28:29]
	s_delay_alu instid0(VALU_DEP_1) | instskip(NEXT) | instid1(VALU_DEP_1)
	v_fmaak_f64 v[36:37], v[20:21], v[36:37], 0x3ec71dee623fde64
	v_fmaak_f64 v[36:37], v[20:21], v[36:37], 0x3efa01997c89e6b0
	s_delay_alu instid0(VALU_DEP_1) | instskip(NEXT) | instid1(VALU_DEP_1)
	v_fmaak_f64 v[36:37], v[20:21], v[36:37], 0x3f2a01a014761f6e
	v_fmaak_f64 v[36:37], v[20:21], v[36:37], 0x3f56c16c1852b7b0
	;; [unrolled: 3-line block ×4, first 2 shown]
	s_delay_alu instid0(VALU_DEP_1) | instskip(NEXT) | instid1(VALU_DEP_1)
	v_fma_f64 v[36:37], v[20:21], v[36:37], 1.0
	v_fma_f64 v[18:19], v[20:21], v[36:37], 1.0
	v_mov_b64_e32 v[20:21], v[12:13]
	s_delay_alu instid0(VALU_DEP_2) | instskip(NEXT) | instid1(VALU_DEP_1)
	v_ldexp_f64 v[18:19], v[18:19], v1
	v_cndmask_b32_e32 v1, 0x7ff00000, v19, vcc_lo
	s_and_b32 vcc_lo, s2, vcc_lo
	s_delay_alu instid0(VALU_DEP_1) | instid1(SALU_CYCLE_1)
	v_dual_cndmask_b32 v18, 0, v18, vcc_lo :: v_dual_cndmask_b32 v19, 0, v1, s2
.LBB131_136:                            ;   in Loop: Header=BB131_4 Depth=1
	s_or_b32 exec_lo, exec_lo, s3
	v_and_b32_e32 v10, 0x7fffffff, v5
                                        ; implicit-def: $vgpr12_vgpr13
	s_mov_b32 s2, exec_lo
	s_delay_alu instid0(VALU_DEP_1) | instskip(NEXT) | instid1(VALU_DEP_1)
	v_or_b32_e32 v1, v10, v4
	v_cmpx_ne_u32_e32 0, v1
	s_xor_b32 s29, exec_lo, s2
	s_cbranch_execz .LBB131_178
; %bb.137:                              ;   in Loop: Header=BB131_4 Depth=1
	v_and_b32_e32 v1, 0x7fffffff, v3
	s_delay_alu instid0(VALU_DEP_1) | instskip(NEXT) | instid1(VALU_DEP_1)
	v_or_b32_e32 v11, v1, v2
	v_cmp_ne_u32_e32 vcc_lo, 0, v11
                                        ; implicit-def: $vgpr12_vgpr13
	s_and_saveexec_b32 s2, vcc_lo
	s_delay_alu instid0(SALU_CYCLE_1)
	s_xor_b32 s30, exec_lo, s2
	s_cbranch_execz .LBB131_167
; %bb.138:                              ;   in Loop: Header=BB131_4 Depth=1
	v_cmp_gt_u32_e32 vcc_lo, 0x7ff00000, v10
                                        ; implicit-def: $vgpr12_vgpr13
	s_and_saveexec_b32 s2, vcc_lo
	s_delay_alu instid0(SALU_CYCLE_1)
	s_xor_b32 s31, exec_lo, s2
	s_cbranch_execz .LBB131_160
; %bb.139:                              ;   in Loop: Header=BB131_4 Depth=1
	v_add_nc_u32_e32 v1, 0xbf79d1be, v3
                                        ; implicit-def: $vgpr12_vgpr13
	s_mov_b32 s2, exec_lo
	s_delay_alu instid0(VALU_DEP_1)
	v_cmpx_lt_u32_e32 0x108aa2, v1
	s_xor_b32 s33, exec_lo, s2
	s_cbranch_execz .LBB131_149
; %bb.140:                              ;   in Loop: Header=BB131_4 Depth=1
	v_cmp_ngt_f64_e64 s2, 0x41d00000, |v[4:5]|
                                        ; implicit-def: $vgpr1
                                        ; implicit-def: $vgpr10_vgpr11
                                        ; implicit-def: $vgpr12_vgpr13
	s_and_saveexec_b32 s3, s2
	s_delay_alu instid0(SALU_CYCLE_1)
	s_xor_b32 s3, exec_lo, s3
	s_cbranch_execz .LBB131_142
; %bb.141:                              ;   in Loop: Header=BB131_4 Depth=1
	v_ldexp_f64 v[10:11], |v[4:5]|, 0xffffff80
	v_cmp_le_f64_e64 vcc_lo, 0x7b000000, |v[4:5]|
	v_trig_preop_f64 v[12:13], |v[4:5]|, 0
	v_and_b32_e32 v1, 0x7fffffff, v5
	v_trig_preop_f64 v[36:37], |v[4:5]|, 1
	v_trig_preop_f64 v[46:47], |v[4:5]|, 2
	s_delay_alu instid0(VALU_DEP_3) | instskip(NEXT) | instid1(VALU_DEP_1)
	v_dual_cndmask_b32 v11, v1, v11 :: v_dual_cndmask_b32 v10, v4, v10
	v_mul_f64_e32 v[38:39], v[12:13], v[10:11]
	s_delay_alu instid0(VALU_DEP_4) | instskip(NEXT) | instid1(VALU_DEP_4)
	v_mul_f64_e32 v[40:41], v[36:37], v[10:11]
	v_mul_f64_e32 v[52:53], v[46:47], v[10:11]
	s_delay_alu instid0(VALU_DEP_3) | instskip(NEXT) | instid1(VALU_DEP_3)
	v_fma_f64 v[12:13], v[12:13], v[10:11], -v[38:39]
	v_fma_f64 v[36:37], v[36:37], v[10:11], -v[40:41]
	s_delay_alu instid0(VALU_DEP_3) | instskip(NEXT) | instid1(VALU_DEP_3)
	v_fma_f64 v[10:11], v[46:47], v[10:11], -v[52:53]
	v_add_f64_e32 v[42:43], v[40:41], v[12:13]
	s_delay_alu instid0(VALU_DEP_1) | instskip(SKIP_1) | instid1(VALU_DEP_2)
	v_add_f64_e64 v[44:45], v[42:43], -v[40:41]
	v_add_f64_e32 v[50:51], v[38:39], v[42:43]
	v_add_f64_e64 v[48:49], v[42:43], -v[44:45]
	v_add_f64_e64 v[12:13], v[12:13], -v[44:45]
	s_delay_alu instid0(VALU_DEP_3) | instskip(NEXT) | instid1(VALU_DEP_3)
	v_ldexp_f64 v[44:45], v[50:51], -2
	v_add_f64_e64 v[40:41], v[40:41], -v[48:49]
	v_add_f64_e32 v[48:49], v[52:53], v[36:37]
	s_delay_alu instid0(VALU_DEP_3) | instskip(NEXT) | instid1(VALU_DEP_3)
	v_cmp_neq_f64_e64 vcc_lo, 0x7ff00000, |v[44:45]|
	v_add_f64_e32 v[12:13], v[12:13], v[40:41]
	v_fract_f64_e32 v[40:41], v[44:45]
	s_delay_alu instid0(VALU_DEP_1) | instskip(NEXT) | instid1(VALU_DEP_1)
	v_ldexp_f64 v[40:41], v[40:41], 2
	v_dual_add_f64 v[38:39], v[50:51], -v[38:39] :: v_dual_cndmask_b32 v41, 0, v41, vcc_lo
	s_delay_alu instid0(VALU_DEP_1) | instskip(SKIP_1) | instid1(VALU_DEP_1)
	v_dual_add_f64 v[38:39], v[42:43], -v[38:39] :: v_dual_cndmask_b32 v40, 0, v40, vcc_lo
	v_add_f64_e32 v[42:43], v[48:49], v[12:13]
	v_add_f64_e32 v[44:45], v[38:39], v[42:43]
	v_add_f64_e64 v[54:55], v[42:43], -v[48:49]
	s_delay_alu instid0(VALU_DEP_2) | instskip(NEXT) | instid1(VALU_DEP_2)
	v_add_f64_e32 v[50:51], v[44:45], v[40:41]
	v_add_f64_e64 v[60:61], v[42:43], -v[54:55]
	v_add_f64_e64 v[12:13], v[12:13], -v[54:55]
	;; [unrolled: 1-line block ×3, first 2 shown]
	s_delay_alu instid0(VALU_DEP_4) | instskip(SKIP_1) | instid1(VALU_DEP_3)
	v_cmp_gt_f64_e32 vcc_lo, 0, v[50:51]
	v_add_f64_e64 v[50:51], v[48:49], -v[52:53]
	v_add_f64_e64 v[38:39], v[42:43], -v[38:39]
	v_cndmask_b32_e64 v25, 0, 0x40100000, vcc_lo
	s_delay_alu instid0(VALU_DEP_3) | instskip(SKIP_2) | instid1(VALU_DEP_4)
	v_add_f64_e64 v[58:59], v[48:49], -v[50:51]
	v_add_f64_e64 v[36:37], v[36:37], -v[50:51]
	;; [unrolled: 1-line block ×3, first 2 shown]
	v_add_f64_e32 v[40:41], v[40:41], v[24:25]
	s_delay_alu instid0(VALU_DEP_4) | instskip(NEXT) | instid1(VALU_DEP_3)
	v_add_f64_e64 v[50:51], v[52:53], -v[58:59]
	v_add_f64_e32 v[12:13], v[12:13], v[48:49]
	s_delay_alu instid0(VALU_DEP_3) | instskip(NEXT) | instid1(VALU_DEP_3)
	v_add_f64_e32 v[56:57], v[44:45], v[40:41]
	v_add_f64_e32 v[36:37], v[36:37], v[50:51]
	s_delay_alu instid0(VALU_DEP_2) | instskip(NEXT) | instid1(VALU_DEP_2)
	v_cvt_i32_f64_e32 v1, v[56:57]
	v_add_f64_e32 v[12:13], v[36:37], v[12:13]
	s_delay_alu instid0(VALU_DEP_2) | instskip(NEXT) | instid1(VALU_DEP_2)
	v_cvt_f64_i32_e32 v[54:55], v1
	v_add_f64_e32 v[10:11], v[10:11], v[12:13]
	s_delay_alu instid0(VALU_DEP_2) | instskip(NEXT) | instid1(VALU_DEP_2)
	v_add_f64_e64 v[40:41], v[40:41], -v[54:55]
	v_add_f64_e32 v[10:11], v[38:39], v[10:11]
	s_delay_alu instid0(VALU_DEP_2) | instskip(NEXT) | instid1(VALU_DEP_1)
	v_add_f64_e32 v[36:37], v[44:45], v[40:41]
	v_add_f64_e64 v[12:13], v[36:37], -v[40:41]
	v_cmp_le_f64_e32 vcc_lo, 0.5, v[36:37]
	s_delay_alu instid0(VALU_DEP_2) | instskip(SKIP_2) | instid1(VALU_DEP_3)
	v_add_f64_e64 v[12:13], v[44:45], -v[12:13]
	v_cndmask_b32_e64 v25, 0, 0x3ff00000, vcc_lo
	v_add_co_ci_u32_e64 v1, null, 0, v1, vcc_lo
	v_add_f64_e32 v[10:11], v[10:11], v[12:13]
	s_delay_alu instid0(VALU_DEP_3) | instskip(NEXT) | instid1(VALU_DEP_1)
	v_add_f64_e64 v[12:13], v[36:37], -v[24:25]
	v_add_f64_e32 v[36:37], v[12:13], v[10:11]
	s_delay_alu instid0(VALU_DEP_1) | instskip(SKIP_1) | instid1(VALU_DEP_2)
	v_mul_f64_e32 v[38:39], 0x3ff921fb54442d18, v[36:37]
	v_add_f64_e64 v[12:13], v[36:37], -v[12:13]
	v_fma_f64 v[40:41], v[36:37], s[14:15], -v[38:39]
	s_delay_alu instid0(VALU_DEP_2) | instskip(NEXT) | instid1(VALU_DEP_2)
	v_add_f64_e64 v[10:11], v[10:11], -v[12:13]
	v_fmac_f64_e32 v[40:41], 0x3c91a62633145c07, v[36:37]
	s_delay_alu instid0(VALU_DEP_1) | instskip(NEXT) | instid1(VALU_DEP_1)
	v_fmac_f64_e32 v[40:41], 0x3ff921fb54442d18, v[10:11]
	v_add_f64_e32 v[10:11], v[38:39], v[40:41]
	s_delay_alu instid0(VALU_DEP_1) | instskip(NEXT) | instid1(VALU_DEP_1)
	v_add_f64_e64 v[12:13], v[10:11], -v[38:39]
	v_add_f64_e64 v[12:13], v[40:41], -v[12:13]
	s_and_not1_saveexec_b32 s3, s3
	s_cbranch_execz .LBB131_144
	s_branch .LBB131_143
.LBB131_142:                            ;   in Loop: Header=BB131_4 Depth=1
	s_and_not1_saveexec_b32 s3, s3
	s_cbranch_execz .LBB131_144
.LBB131_143:                            ;   in Loop: Header=BB131_4 Depth=1
	v_mul_f64_e64 v[10:11], |v[4:5]|, s[16:17]
	s_delay_alu instid0(VALU_DEP_1) | instskip(NEXT) | instid1(VALU_DEP_1)
	v_rndne_f64_e32 v[36:37], v[10:11]
	v_fma_f64 v[10:11], v[36:37], s[18:19], |v[4:5]|
	v_mul_f64_e32 v[12:13], 0xbc91a62633145c00, v[36:37]
	v_cvt_i32_f64_e32 v1, v[36:37]
	s_delay_alu instid0(VALU_DEP_3) | instskip(NEXT) | instid1(VALU_DEP_3)
	v_fmamk_f64 v[42:43], v[36:37], 0xbc91a62633145c00, v[10:11]
	v_add_f64_e32 v[38:39], v[10:11], v[12:13]
	s_delay_alu instid0(VALU_DEP_1) | instskip(NEXT) | instid1(VALU_DEP_3)
	v_add_f64_e64 v[40:41], v[10:11], -v[38:39]
	v_add_f64_e64 v[10:11], v[38:39], -v[42:43]
	s_delay_alu instid0(VALU_DEP_2) | instskip(SKIP_1) | instid1(VALU_DEP_2)
	v_add_f64_e32 v[38:39], v[40:41], v[12:13]
	v_fmamk_f64 v[12:13], v[36:37], 0x3c91a62633145c00, v[12:13]
	v_add_f64_e32 v[10:11], v[10:11], v[38:39]
	s_delay_alu instid0(VALU_DEP_1) | instskip(NEXT) | instid1(VALU_DEP_1)
	v_add_f64_e64 v[12:13], v[10:11], -v[12:13]
	v_fmac_f64_e32 v[12:13], 0xb97b839a252049c0, v[36:37]
	s_delay_alu instid0(VALU_DEP_1) | instskip(NEXT) | instid1(VALU_DEP_1)
	v_add_f64_e32 v[10:11], v[42:43], v[12:13]
	v_add_f64_e64 v[38:39], v[10:11], -v[42:43]
	s_delay_alu instid0(VALU_DEP_1)
	v_add_f64_e64 v[12:13], v[12:13], -v[38:39]
.LBB131_144:                            ;   in Loop: Header=BB131_4 Depth=1
	s_or_b32 exec_lo, exec_lo, s3
                                        ; implicit-def: $vgpr40
                                        ; implicit-def: $vgpr36_vgpr37
                                        ; implicit-def: $vgpr38_vgpr39
	s_and_saveexec_b32 s3, s2
	s_delay_alu instid0(SALU_CYCLE_1)
	s_xor_b32 s2, exec_lo, s3
	s_cbranch_execz .LBB131_146
; %bb.145:                              ;   in Loop: Header=BB131_4 Depth=1
	v_ldexp_f64 v[36:37], |v[4:5]|, 0xffffff80
	v_cmp_le_f64_e64 vcc_lo, 0x7b000000, |v[4:5]|
	v_trig_preop_f64 v[38:39], |v[4:5]|, 0
	v_and_b32_e32 v25, 0x7fffffff, v5
	v_trig_preop_f64 v[40:41], |v[4:5]|, 1
	v_trig_preop_f64 v[50:51], |v[4:5]|, 2
	s_delay_alu instid0(VALU_DEP_3) | instskip(NEXT) | instid1(VALU_DEP_1)
	v_dual_cndmask_b32 v37, v25, v37 :: v_dual_cndmask_b32 v36, v4, v36
	v_mul_f64_e32 v[42:43], v[38:39], v[36:37]
	s_delay_alu instid0(VALU_DEP_4) | instskip(NEXT) | instid1(VALU_DEP_4)
	v_mul_f64_e32 v[44:45], v[40:41], v[36:37]
	v_mul_f64_e32 v[56:57], v[50:51], v[36:37]
	s_delay_alu instid0(VALU_DEP_3) | instskip(NEXT) | instid1(VALU_DEP_3)
	v_fma_f64 v[38:39], v[38:39], v[36:37], -v[42:43]
	v_fma_f64 v[40:41], v[40:41], v[36:37], -v[44:45]
	s_delay_alu instid0(VALU_DEP_3) | instskip(NEXT) | instid1(VALU_DEP_3)
	v_fma_f64 v[36:37], v[50:51], v[36:37], -v[56:57]
	v_add_f64_e32 v[46:47], v[44:45], v[38:39]
	s_delay_alu instid0(VALU_DEP_1) | instskip(SKIP_1) | instid1(VALU_DEP_2)
	v_add_f64_e64 v[48:49], v[46:47], -v[44:45]
	v_add_f64_e32 v[54:55], v[42:43], v[46:47]
	v_add_f64_e64 v[52:53], v[46:47], -v[48:49]
	v_add_f64_e64 v[38:39], v[38:39], -v[48:49]
	s_delay_alu instid0(VALU_DEP_3) | instskip(NEXT) | instid1(VALU_DEP_3)
	v_ldexp_f64 v[48:49], v[54:55], -2
	v_add_f64_e64 v[44:45], v[44:45], -v[52:53]
	v_add_f64_e32 v[52:53], v[56:57], v[40:41]
	s_delay_alu instid0(VALU_DEP_3) | instskip(NEXT) | instid1(VALU_DEP_3)
	v_cmp_neq_f64_e64 vcc_lo, 0x7ff00000, |v[48:49]|
	v_add_f64_e32 v[38:39], v[38:39], v[44:45]
	v_fract_f64_e32 v[44:45], v[48:49]
	s_delay_alu instid0(VALU_DEP_1) | instskip(NEXT) | instid1(VALU_DEP_1)
	v_ldexp_f64 v[44:45], v[44:45], 2
	v_dual_add_f64 v[42:43], v[54:55], -v[42:43] :: v_dual_cndmask_b32 v44, 0, v44, vcc_lo
	s_delay_alu instid0(VALU_DEP_1) | instskip(SKIP_1) | instid1(VALU_DEP_1)
	v_dual_add_f64 v[42:43], v[46:47], -v[42:43] :: v_dual_cndmask_b32 v45, 0, v45, vcc_lo
	v_add_f64_e32 v[46:47], v[52:53], v[38:39]
	v_add_f64_e32 v[48:49], v[42:43], v[46:47]
	v_add_f64_e64 v[58:59], v[46:47], -v[52:53]
	s_delay_alu instid0(VALU_DEP_2) | instskip(NEXT) | instid1(VALU_DEP_2)
	v_add_f64_e32 v[54:55], v[48:49], v[44:45]
	v_add_f64_e64 v[64:65], v[46:47], -v[58:59]
	v_add_f64_e64 v[38:39], v[38:39], -v[58:59]
	;; [unrolled: 1-line block ×3, first 2 shown]
	s_delay_alu instid0(VALU_DEP_4) | instskip(SKIP_2) | instid1(VALU_DEP_2)
	v_cmp_gt_f64_e32 vcc_lo, 0, v[54:55]
	v_add_f64_e64 v[54:55], v[52:53], -v[56:57]
	v_cndmask_b32_e64 v25, 0, 0x40100000, vcc_lo
	v_add_f64_e64 v[62:63], v[52:53], -v[54:55]
	v_add_f64_e64 v[40:41], v[40:41], -v[54:55]
	;; [unrolled: 1-line block ×3, first 2 shown]
	s_delay_alu instid0(VALU_DEP_4) | instskip(NEXT) | instid1(VALU_DEP_4)
	v_add_f64_e32 v[44:45], v[44:45], v[24:25]
	v_add_f64_e64 v[54:55], v[56:57], -v[62:63]
	s_delay_alu instid0(VALU_DEP_3) | instskip(NEXT) | instid1(VALU_DEP_3)
	v_add_f64_e32 v[38:39], v[38:39], v[52:53]
	v_add_f64_e32 v[60:61], v[48:49], v[44:45]
	s_delay_alu instid0(VALU_DEP_3) | instskip(NEXT) | instid1(VALU_DEP_2)
	v_add_f64_e32 v[40:41], v[40:41], v[54:55]
	v_cvt_i32_f64_e32 v25, v[60:61]
	s_delay_alu instid0(VALU_DEP_2) | instskip(SKIP_1) | instid1(VALU_DEP_3)
	v_add_f64_e32 v[38:39], v[40:41], v[38:39]
	v_add_f64_e64 v[40:41], v[46:47], -v[42:43]
	v_cvt_f64_i32_e32 v[58:59], v25
	s_delay_alu instid0(VALU_DEP_3) | instskip(NEXT) | instid1(VALU_DEP_2)
	v_add_f64_e32 v[36:37], v[36:37], v[38:39]
	v_add_f64_e64 v[44:45], v[44:45], -v[58:59]
	s_delay_alu instid0(VALU_DEP_2) | instskip(NEXT) | instid1(VALU_DEP_2)
	v_add_f64_e32 v[36:37], v[40:41], v[36:37]
	v_add_f64_e32 v[50:51], v[48:49], v[44:45]
	s_delay_alu instid0(VALU_DEP_1) | instskip(SKIP_1) | instid1(VALU_DEP_2)
	v_add_f64_e64 v[38:39], v[50:51], -v[44:45]
	v_cmp_le_f64_e32 vcc_lo, 0.5, v[50:51]
	v_add_f64_e64 v[38:39], v[48:49], -v[38:39]
	v_add_co_ci_u32_e64 v40, null, 0, v25, vcc_lo
	v_cndmask_b32_e64 v25, 0, 0x3ff00000, vcc_lo
	s_delay_alu instid0(VALU_DEP_3) | instskip(NEXT) | instid1(VALU_DEP_2)
	v_add_f64_e32 v[36:37], v[36:37], v[38:39]
	v_add_f64_e64 v[38:39], v[50:51], -v[24:25]
	s_delay_alu instid0(VALU_DEP_1) | instskip(NEXT) | instid1(VALU_DEP_1)
	v_add_f64_e32 v[42:43], v[38:39], v[36:37]
	v_mul_f64_e32 v[44:45], 0x3ff921fb54442d18, v[42:43]
	v_add_f64_e64 v[38:39], v[42:43], -v[38:39]
	s_delay_alu instid0(VALU_DEP_2) | instskip(NEXT) | instid1(VALU_DEP_2)
	v_fma_f64 v[46:47], v[42:43], s[14:15], -v[44:45]
	v_add_f64_e64 v[36:37], v[36:37], -v[38:39]
	s_delay_alu instid0(VALU_DEP_2) | instskip(NEXT) | instid1(VALU_DEP_1)
	v_fmac_f64_e32 v[46:47], 0x3c91a62633145c07, v[42:43]
	v_fmac_f64_e32 v[46:47], 0x3ff921fb54442d18, v[36:37]
	s_delay_alu instid0(VALU_DEP_1) | instskip(NEXT) | instid1(VALU_DEP_1)
	v_add_f64_e32 v[36:37], v[44:45], v[46:47]
	v_add_f64_e64 v[38:39], v[36:37], -v[44:45]
	s_delay_alu instid0(VALU_DEP_1)
	v_add_f64_e64 v[38:39], v[46:47], -v[38:39]
	s_and_not1_saveexec_b32 s2, s2
	s_cbranch_execnz .LBB131_147
	s_branch .LBB131_148
.LBB131_146:                            ;   in Loop: Header=BB131_4 Depth=1
	s_and_not1_saveexec_b32 s2, s2
	s_cbranch_execz .LBB131_148
.LBB131_147:                            ;   in Loop: Header=BB131_4 Depth=1
	v_mul_f64_e64 v[36:37], |v[4:5]|, s[16:17]
	s_delay_alu instid0(VALU_DEP_1) | instskip(NEXT) | instid1(VALU_DEP_1)
	v_rndne_f64_e32 v[40:41], v[36:37]
	v_fma_f64 v[36:37], v[40:41], s[18:19], |v[4:5]|
	v_mul_f64_e32 v[38:39], 0xbc91a62633145c00, v[40:41]
	s_delay_alu instid0(VALU_DEP_2) | instskip(NEXT) | instid1(VALU_DEP_2)
	v_fmamk_f64 v[46:47], v[40:41], 0xbc91a62633145c00, v[36:37]
	v_add_f64_e32 v[42:43], v[36:37], v[38:39]
	s_delay_alu instid0(VALU_DEP_1) | instskip(NEXT) | instid1(VALU_DEP_3)
	v_add_f64_e64 v[44:45], v[36:37], -v[42:43]
	v_add_f64_e64 v[36:37], v[42:43], -v[46:47]
	s_delay_alu instid0(VALU_DEP_2) | instskip(SKIP_1) | instid1(VALU_DEP_2)
	v_add_f64_e32 v[42:43], v[44:45], v[38:39]
	v_fmamk_f64 v[38:39], v[40:41], 0x3c91a62633145c00, v[38:39]
	v_add_f64_e32 v[36:37], v[36:37], v[42:43]
	s_delay_alu instid0(VALU_DEP_1) | instskip(NEXT) | instid1(VALU_DEP_1)
	v_add_f64_e64 v[38:39], v[36:37], -v[38:39]
	v_fmac_f64_e32 v[38:39], 0xb97b839a252049c0, v[40:41]
	v_cvt_i32_f64_e32 v40, v[40:41]
	s_delay_alu instid0(VALU_DEP_2) | instskip(NEXT) | instid1(VALU_DEP_1)
	v_add_f64_e32 v[36:37], v[46:47], v[38:39]
	v_add_f64_e64 v[42:43], v[36:37], -v[46:47]
	s_delay_alu instid0(VALU_DEP_1)
	v_add_f64_e64 v[38:39], v[38:39], -v[42:43]
.LBB131_148:                            ;   in Loop: Header=BB131_4 Depth=1
	s_or_b32 exec_lo, exec_lo, s2
	v_mul_f64_e32 v[42:43], 0x3ff71547652b82fe, v[2:3]
	v_mul_f64_e32 v[44:45], v[10:11], v[10:11]
	v_cmp_class_f64_e64 s2, v[4:5], 0x1f8
	v_mul_f64_e32 v[46:47], v[36:37], v[36:37]
	v_cmp_nlt_f64_e64 s3, 0x40900000, v[2:3]
	v_cmp_ngt_f64_e64 s4, 0xc090cc00, v[2:3]
	v_rndne_f64_e32 v[42:43], v[42:43]
	v_mul_f64_e32 v[48:49], 0.5, v[44:45]
	v_mul_f64_e64 v[70:71], v[36:37], -v[46:47]
	v_fmamk_f64 v[74:75], v[46:47], 0x3de5e0b2f9a43bb8, v[32:33]
	s_delay_alu instid0(VALU_DEP_4) | instskip(NEXT) | instid1(VALU_DEP_4)
	v_fmamk_f64 v[52:53], v[42:43], 0xbfe62e42fefa39ef, v[2:3]
	v_add_f64_e64 v[54:55], -v[48:49], 1.0
	v_cvt_i32_f64_e32 v25, v[42:43]
	v_and_b32_e32 v2, 1, v40
	s_delay_alu instid0(VALU_DEP_4) | instskip(NEXT) | instid1(VALU_DEP_2)
	v_fmac_f64_e32 v[52:53], 0xbc7abc9e3b39803f, v[42:43]
	v_cmp_eq_u32_e64 s5, 0, v2
	v_add_f64_e64 v[62:63], -v[54:55], 1.0
	s_delay_alu instid0(VALU_DEP_3) | instskip(NEXT) | instid1(VALU_DEP_1)
	v_fmamk_f64 v[66:67], v[52:53], 0x3e5ade156a5dcb37, v[28:29]
	v_fmaak_f64 v[66:67], v[52:53], v[66:67], 0x3ec71dee623fde64
	s_delay_alu instid0(VALU_DEP_1) | instskip(NEXT) | instid1(VALU_DEP_1)
	v_fmaak_f64 v[66:67], v[52:53], v[66:67], 0x3efa01997c89e6b0
	v_fmaak_f64 v[66:67], v[52:53], v[66:67], 0x3f2a01a014761f6e
	v_add_f64_e64 v[48:49], v[62:63], -v[48:49]
	s_delay_alu instid0(VALU_DEP_2) | instskip(NEXT) | instid1(VALU_DEP_1)
	v_fmaak_f64 v[62:63], v[52:53], v[66:67], 0x3f56c16c1852b7b0
	v_fmaak_f64 v[62:63], v[52:53], v[62:63], 0x3f81111111122322
	s_delay_alu instid0(VALU_DEP_1) | instskip(NEXT) | instid1(VALU_DEP_1)
	v_fmaak_f64 v[62:63], v[52:53], v[62:63], 0x3fa55555555502a1
	v_fmaak_f64 v[62:63], v[52:53], v[62:63], 0x3fc5555555555511
	s_delay_alu instid0(VALU_DEP_1) | instskip(NEXT) | instid1(VALU_DEP_1)
	v_fmaak_f64 v[62:63], v[52:53], v[62:63], 0x3fe000000000000b
	v_fma_f64 v[62:63], v[52:53], v[62:63], 1.0
	s_delay_alu instid0(VALU_DEP_1) | instskip(NEXT) | instid1(VALU_DEP_1)
	v_fma_f64 v[42:43], v[52:53], v[62:63], 1.0
	v_ldexp_f64 v[42:43], v[42:43], v25
	v_mul_f64_e32 v[58:59], 0.5, v[12:13]
	v_and_b32_e32 v25, 1, v1
	v_mul_f64_e64 v[60:61], v[10:11], -v[44:45]
	v_fmamk_f64 v[64:65], v[44:45], 0x3de5e0b2f9a43bb8, v[32:33]
	v_mul_f64_e32 v[66:67], v[44:45], v[44:45]
	v_lshlrev_b32_e32 v1, 30, v1
	v_cmp_eq_u32_e32 vcc_lo, 0, v25
	s_delay_alu instid0(VALU_DEP_4) | instskip(NEXT) | instid1(VALU_DEP_1)
	v_fmaak_f64 v[64:65], v[44:45], v[64:65], 0x3ec71de3796cde01
	v_fmaak_f64 v[64:65], v[44:45], v[64:65], 0xbf2a01a019e83e5c
	s_delay_alu instid0(VALU_DEP_1) | instskip(SKIP_1) | instid1(VALU_DEP_2)
	v_fmaak_f64 v[64:65], v[44:45], v[64:65], 0x3f81111111110bb3
	v_cndmask_b32_e64 v4, 0x7ff00000, v43, s3
	v_fmac_f64_e32 v[58:59], v[60:61], v[64:65]
	v_fmaak_f64 v[64:65], v[46:47], v[74:75], 0x3ec71de3796cde01
	s_delay_alu instid0(VALU_DEP_1) | instskip(NEXT) | instid1(VALU_DEP_1)
	v_fmaak_f64 v[64:65], v[46:47], v[64:65], 0xbf2a01a019e83e5c
	v_fmaak_f64 v[64:65], v[46:47], v[64:65], 0x3f81111111110bb3
	s_delay_alu instid0(VALU_DEP_4) | instskip(SKIP_1) | instid1(VALU_DEP_2)
	v_fma_f64 v[58:59], v[44:45], v[58:59], -v[12:13]
	v_fma_f64 v[12:13], v[10:11], -v[12:13], v[48:49]
	v_fmac_f64_e32 v[58:59], 0xbfc5555555555555, v[60:61]
	s_delay_alu instid0(VALU_DEP_1) | instskip(SKIP_1) | instid1(VALU_DEP_2)
	v_add_f64_e64 v[10:11], v[10:11], -v[58:59]
	v_mul_f64_e32 v[68:69], 0.5, v[38:39]
	v_xor_b32_e32 v3, 0x80000000, v11
	s_delay_alu instid0(VALU_DEP_2) | instskip(SKIP_2) | instid1(VALU_DEP_2)
	v_fmac_f64_e32 v[68:69], v[70:71], v[64:65]
	v_fmamk_f64 v[64:65], v[44:45], 0xbda907db46cc5e42, v[30:31]
	v_lshlrev_b32_e32 v11, 30, v40
	v_fmaak_f64 v[48:49], v[44:45], v[64:65], 0xbe927e4fa17f65f6
	s_delay_alu instid0(VALU_DEP_1) | instskip(NEXT) | instid1(VALU_DEP_1)
	v_fmaak_f64 v[48:49], v[44:45], v[48:49], 0x3efa01a019f4ec90
	v_fmaak_f64 v[48:49], v[44:45], v[48:49], 0xbf56c16c16c16967
	s_delay_alu instid0(VALU_DEP_1) | instskip(NEXT) | instid1(VALU_DEP_1)
	v_fmaak_f64 v[44:45], v[44:45], v[48:49], 0x3fa5555555555555
	v_fmac_f64_e32 v[12:13], v[66:67], v[44:45]
	s_delay_alu instid0(VALU_DEP_1) | instskip(NEXT) | instid1(VALU_DEP_1)
	v_add_f64_e32 v[12:13], v[54:55], v[12:13]
	v_dual_cndmask_b32 v10, v10, v12, vcc_lo :: v_dual_cndmask_b32 v2, v3, v13, vcc_lo
	s_and_b32 vcc_lo, s4, s3
	v_xor_b32_e32 v3, v11, v5
	s_delay_alu instid0(VALU_DEP_2) | instskip(NEXT) | instid1(VALU_DEP_3)
	v_bitop3_b32 v1, v2, v1, 0x80000000 bitop3:0x78
	v_cndmask_b32_e64 v2, 0, v10, s2
	v_mul_f64_e32 v[50:51], 0.5, v[46:47]
	v_mul_f64_e32 v[64:65], v[46:47], v[46:47]
	v_fma_f64 v[48:49], v[46:47], v[68:69], -v[38:39]
	s_delay_alu instid0(VALU_DEP_3) | instskip(NEXT) | instid1(VALU_DEP_2)
	v_add_f64_e64 v[56:57], -v[50:51], 1.0
	v_fmac_f64_e32 v[48:49], 0xbfc5555555555555, v[70:71]
	s_delay_alu instid0(VALU_DEP_2) | instskip(NEXT) | instid1(VALU_DEP_1)
	v_add_f64_e64 v[72:73], -v[56:57], 1.0
	v_add_f64_e64 v[50:51], v[72:73], -v[50:51]
	v_fmamk_f64 v[72:73], v[46:47], 0xbda907db46cc5e42, v[30:31]
	s_delay_alu instid0(VALU_DEP_2) | instskip(NEXT) | instid1(VALU_DEP_2)
	v_fma_f64 v[38:39], v[36:37], -v[38:39], v[50:51]
	v_fmaak_f64 v[50:51], v[46:47], v[72:73], 0xbe927e4fa17f65f6
	v_add_f64_e64 v[36:37], v[36:37], -v[48:49]
	s_delay_alu instid0(VALU_DEP_2) | instskip(NEXT) | instid1(VALU_DEP_1)
	v_fmaak_f64 v[44:45], v[46:47], v[50:51], 0x3efa01a019f4ec90
	v_fmaak_f64 v[44:45], v[46:47], v[44:45], 0xbf56c16c16c16967
	s_delay_alu instid0(VALU_DEP_1) | instskip(NEXT) | instid1(VALU_DEP_1)
	v_fmaak_f64 v[44:45], v[46:47], v[44:45], 0x3fa5555555555555
	v_fmac_f64_e32 v[38:39], v[64:65], v[44:45]
	s_delay_alu instid0(VALU_DEP_1) | instskip(NEXT) | instid1(VALU_DEP_1)
	v_add_f64_e32 v[38:39], v[56:57], v[38:39]
	v_dual_cndmask_b32 v5, v39, v37, s5 :: v_dual_cndmask_b32 v11, v38, v36, s5
	s_delay_alu instid0(VALU_DEP_1) | instskip(SKIP_2) | instid1(VALU_DEP_4)
	v_bitop3_b32 v10, v5, v3, 0x80000000 bitop3:0x78
	v_cndmask_b32_e64 v5, 0, v4, s4
	v_cndmask_b32_e64 v3, 0x7ff80000, v1, s2
	v_dual_cndmask_b32 v12, 0, v11, s2 :: v_dual_cndmask_b32 v4, 0, v42, vcc_lo
	s_delay_alu instid0(VALU_DEP_4) | instskip(NEXT) | instid1(VALU_DEP_2)
	v_cndmask_b32_e64 v13, 0x7ff80000, v10, s2
	v_mul_f64_e32 v[10:11], v[4:5], v[2:3]
	s_delay_alu instid0(VALU_DEP_2)
	v_mul_f64_e32 v[12:13], v[4:5], v[12:13]
                                        ; implicit-def: $vgpr4_vgpr5
.LBB131_149:                            ;   in Loop: Header=BB131_4 Depth=1
	s_and_not1_saveexec_b32 s33, s33
	s_cbranch_execz .LBB131_159
; %bb.150:                              ;   in Loop: Header=BB131_4 Depth=1
	v_cmp_ngt_f64_e64 s2, 0x41d00000, |v[4:5]|
                                        ; implicit-def: $vgpr1
                                        ; implicit-def: $vgpr10_vgpr11
                                        ; implicit-def: $vgpr12_vgpr13
	s_and_saveexec_b32 s3, s2
	s_delay_alu instid0(SALU_CYCLE_1)
	s_xor_b32 s3, exec_lo, s3
	s_cbranch_execz .LBB131_152
; %bb.151:                              ;   in Loop: Header=BB131_4 Depth=1
	v_ldexp_f64 v[10:11], |v[4:5]|, 0xffffff80
	v_cmp_le_f64_e64 vcc_lo, 0x7b000000, |v[4:5]|
	v_trig_preop_f64 v[12:13], |v[4:5]|, 0
	v_and_b32_e32 v1, 0x7fffffff, v5
	v_trig_preop_f64 v[36:37], |v[4:5]|, 1
	v_trig_preop_f64 v[46:47], |v[4:5]|, 2
	s_delay_alu instid0(VALU_DEP_3) | instskip(NEXT) | instid1(VALU_DEP_1)
	v_dual_cndmask_b32 v11, v1, v11 :: v_dual_cndmask_b32 v10, v4, v10
	v_mul_f64_e32 v[38:39], v[12:13], v[10:11]
	s_delay_alu instid0(VALU_DEP_4) | instskip(NEXT) | instid1(VALU_DEP_4)
	v_mul_f64_e32 v[40:41], v[36:37], v[10:11]
	v_mul_f64_e32 v[52:53], v[46:47], v[10:11]
	s_delay_alu instid0(VALU_DEP_3) | instskip(NEXT) | instid1(VALU_DEP_3)
	v_fma_f64 v[12:13], v[12:13], v[10:11], -v[38:39]
	v_fma_f64 v[36:37], v[36:37], v[10:11], -v[40:41]
	s_delay_alu instid0(VALU_DEP_3) | instskip(NEXT) | instid1(VALU_DEP_3)
	v_fma_f64 v[10:11], v[46:47], v[10:11], -v[52:53]
	v_add_f64_e32 v[42:43], v[40:41], v[12:13]
	s_delay_alu instid0(VALU_DEP_1) | instskip(SKIP_1) | instid1(VALU_DEP_2)
	v_add_f64_e64 v[44:45], v[42:43], -v[40:41]
	v_add_f64_e32 v[50:51], v[38:39], v[42:43]
	v_add_f64_e64 v[48:49], v[42:43], -v[44:45]
	v_add_f64_e64 v[12:13], v[12:13], -v[44:45]
	s_delay_alu instid0(VALU_DEP_3) | instskip(NEXT) | instid1(VALU_DEP_3)
	v_ldexp_f64 v[44:45], v[50:51], -2
	v_add_f64_e64 v[40:41], v[40:41], -v[48:49]
	v_add_f64_e32 v[48:49], v[52:53], v[36:37]
	s_delay_alu instid0(VALU_DEP_3) | instskip(NEXT) | instid1(VALU_DEP_3)
	v_cmp_neq_f64_e64 vcc_lo, 0x7ff00000, |v[44:45]|
	v_add_f64_e32 v[12:13], v[12:13], v[40:41]
	v_fract_f64_e32 v[40:41], v[44:45]
	s_delay_alu instid0(VALU_DEP_1) | instskip(NEXT) | instid1(VALU_DEP_1)
	v_ldexp_f64 v[40:41], v[40:41], 2
	v_dual_add_f64 v[38:39], v[50:51], -v[38:39] :: v_dual_cndmask_b32 v41, 0, v41, vcc_lo
	s_delay_alu instid0(VALU_DEP_1) | instskip(SKIP_1) | instid1(VALU_DEP_1)
	v_dual_add_f64 v[38:39], v[42:43], -v[38:39] :: v_dual_cndmask_b32 v40, 0, v40, vcc_lo
	v_add_f64_e32 v[42:43], v[48:49], v[12:13]
	v_add_f64_e32 v[44:45], v[38:39], v[42:43]
	v_add_f64_e64 v[54:55], v[42:43], -v[48:49]
	s_delay_alu instid0(VALU_DEP_2) | instskip(NEXT) | instid1(VALU_DEP_2)
	v_add_f64_e32 v[50:51], v[44:45], v[40:41]
	v_add_f64_e64 v[60:61], v[42:43], -v[54:55]
	v_add_f64_e64 v[12:13], v[12:13], -v[54:55]
	v_add_f64_e64 v[38:39], v[44:45], -v[38:39]
	s_delay_alu instid0(VALU_DEP_4) | instskip(SKIP_1) | instid1(VALU_DEP_3)
	v_cmp_gt_f64_e32 vcc_lo, 0, v[50:51]
	v_add_f64_e64 v[50:51], v[48:49], -v[52:53]
	v_add_f64_e64 v[38:39], v[42:43], -v[38:39]
	v_cndmask_b32_e64 v25, 0, 0x40100000, vcc_lo
	s_delay_alu instid0(VALU_DEP_3) | instskip(SKIP_2) | instid1(VALU_DEP_4)
	v_add_f64_e64 v[58:59], v[48:49], -v[50:51]
	v_add_f64_e64 v[36:37], v[36:37], -v[50:51]
	;; [unrolled: 1-line block ×3, first 2 shown]
	v_add_f64_e32 v[40:41], v[40:41], v[24:25]
	s_delay_alu instid0(VALU_DEP_4) | instskip(NEXT) | instid1(VALU_DEP_3)
	v_add_f64_e64 v[50:51], v[52:53], -v[58:59]
	v_add_f64_e32 v[12:13], v[12:13], v[48:49]
	s_delay_alu instid0(VALU_DEP_3) | instskip(NEXT) | instid1(VALU_DEP_3)
	v_add_f64_e32 v[56:57], v[44:45], v[40:41]
	v_add_f64_e32 v[36:37], v[36:37], v[50:51]
	s_delay_alu instid0(VALU_DEP_2) | instskip(NEXT) | instid1(VALU_DEP_2)
	v_cvt_i32_f64_e32 v1, v[56:57]
	v_add_f64_e32 v[12:13], v[36:37], v[12:13]
	s_delay_alu instid0(VALU_DEP_2) | instskip(NEXT) | instid1(VALU_DEP_2)
	v_cvt_f64_i32_e32 v[54:55], v1
	v_add_f64_e32 v[10:11], v[10:11], v[12:13]
	s_delay_alu instid0(VALU_DEP_2) | instskip(NEXT) | instid1(VALU_DEP_2)
	v_add_f64_e64 v[40:41], v[40:41], -v[54:55]
	v_add_f64_e32 v[10:11], v[38:39], v[10:11]
	s_delay_alu instid0(VALU_DEP_2) | instskip(NEXT) | instid1(VALU_DEP_1)
	v_add_f64_e32 v[36:37], v[44:45], v[40:41]
	v_add_f64_e64 v[12:13], v[36:37], -v[40:41]
	v_cmp_le_f64_e32 vcc_lo, 0.5, v[36:37]
	s_delay_alu instid0(VALU_DEP_2) | instskip(SKIP_2) | instid1(VALU_DEP_3)
	v_add_f64_e64 v[12:13], v[44:45], -v[12:13]
	v_cndmask_b32_e64 v25, 0, 0x3ff00000, vcc_lo
	v_add_co_ci_u32_e64 v1, null, 0, v1, vcc_lo
	v_add_f64_e32 v[10:11], v[10:11], v[12:13]
	s_delay_alu instid0(VALU_DEP_3) | instskip(NEXT) | instid1(VALU_DEP_1)
	v_add_f64_e64 v[12:13], v[36:37], -v[24:25]
	v_add_f64_e32 v[36:37], v[12:13], v[10:11]
	s_delay_alu instid0(VALU_DEP_1) | instskip(SKIP_1) | instid1(VALU_DEP_2)
	v_mul_f64_e32 v[38:39], 0x3ff921fb54442d18, v[36:37]
	v_add_f64_e64 v[12:13], v[36:37], -v[12:13]
	v_fma_f64 v[40:41], v[36:37], s[14:15], -v[38:39]
	s_delay_alu instid0(VALU_DEP_2) | instskip(NEXT) | instid1(VALU_DEP_2)
	v_add_f64_e64 v[10:11], v[10:11], -v[12:13]
	v_fmac_f64_e32 v[40:41], 0x3c91a62633145c07, v[36:37]
	s_delay_alu instid0(VALU_DEP_1) | instskip(NEXT) | instid1(VALU_DEP_1)
	v_fmac_f64_e32 v[40:41], 0x3ff921fb54442d18, v[10:11]
	v_add_f64_e32 v[10:11], v[38:39], v[40:41]
	s_delay_alu instid0(VALU_DEP_1) | instskip(NEXT) | instid1(VALU_DEP_1)
	v_add_f64_e64 v[12:13], v[10:11], -v[38:39]
	v_add_f64_e64 v[12:13], v[40:41], -v[12:13]
	s_and_not1_saveexec_b32 s3, s3
	s_cbranch_execz .LBB131_154
	s_branch .LBB131_153
.LBB131_152:                            ;   in Loop: Header=BB131_4 Depth=1
	s_and_not1_saveexec_b32 s3, s3
	s_cbranch_execz .LBB131_154
.LBB131_153:                            ;   in Loop: Header=BB131_4 Depth=1
	v_mul_f64_e64 v[10:11], |v[4:5]|, s[16:17]
	s_delay_alu instid0(VALU_DEP_1) | instskip(NEXT) | instid1(VALU_DEP_1)
	v_rndne_f64_e32 v[36:37], v[10:11]
	v_fma_f64 v[10:11], v[36:37], s[18:19], |v[4:5]|
	v_mul_f64_e32 v[12:13], 0xbc91a62633145c00, v[36:37]
	v_cvt_i32_f64_e32 v1, v[36:37]
	s_delay_alu instid0(VALU_DEP_3) | instskip(NEXT) | instid1(VALU_DEP_3)
	v_fmamk_f64 v[42:43], v[36:37], 0xbc91a62633145c00, v[10:11]
	v_add_f64_e32 v[38:39], v[10:11], v[12:13]
	s_delay_alu instid0(VALU_DEP_1) | instskip(NEXT) | instid1(VALU_DEP_3)
	v_add_f64_e64 v[40:41], v[10:11], -v[38:39]
	v_add_f64_e64 v[10:11], v[38:39], -v[42:43]
	s_delay_alu instid0(VALU_DEP_2) | instskip(SKIP_1) | instid1(VALU_DEP_2)
	v_add_f64_e32 v[38:39], v[40:41], v[12:13]
	v_fmamk_f64 v[12:13], v[36:37], 0x3c91a62633145c00, v[12:13]
	v_add_f64_e32 v[10:11], v[10:11], v[38:39]
	s_delay_alu instid0(VALU_DEP_1) | instskip(NEXT) | instid1(VALU_DEP_1)
	v_add_f64_e64 v[12:13], v[10:11], -v[12:13]
	v_fmac_f64_e32 v[12:13], 0xb97b839a252049c0, v[36:37]
	s_delay_alu instid0(VALU_DEP_1) | instskip(NEXT) | instid1(VALU_DEP_1)
	v_add_f64_e32 v[10:11], v[42:43], v[12:13]
	v_add_f64_e64 v[38:39], v[10:11], -v[42:43]
	s_delay_alu instid0(VALU_DEP_1)
	v_add_f64_e64 v[12:13], v[12:13], -v[38:39]
.LBB131_154:                            ;   in Loop: Header=BB131_4 Depth=1
	s_or_b32 exec_lo, exec_lo, s3
                                        ; implicit-def: $vgpr40
                                        ; implicit-def: $vgpr36_vgpr37
                                        ; implicit-def: $vgpr38_vgpr39
	s_and_saveexec_b32 s3, s2
	s_delay_alu instid0(SALU_CYCLE_1)
	s_xor_b32 s2, exec_lo, s3
	s_cbranch_execz .LBB131_156
; %bb.155:                              ;   in Loop: Header=BB131_4 Depth=1
	v_ldexp_f64 v[36:37], |v[4:5]|, 0xffffff80
	v_cmp_le_f64_e64 vcc_lo, 0x7b000000, |v[4:5]|
	v_trig_preop_f64 v[38:39], |v[4:5]|, 0
	v_and_b32_e32 v25, 0x7fffffff, v5
	v_trig_preop_f64 v[40:41], |v[4:5]|, 1
	v_trig_preop_f64 v[50:51], |v[4:5]|, 2
	s_delay_alu instid0(VALU_DEP_3) | instskip(NEXT) | instid1(VALU_DEP_1)
	v_dual_cndmask_b32 v37, v25, v37 :: v_dual_cndmask_b32 v36, v4, v36
	v_mul_f64_e32 v[42:43], v[38:39], v[36:37]
	s_delay_alu instid0(VALU_DEP_4) | instskip(NEXT) | instid1(VALU_DEP_4)
	v_mul_f64_e32 v[44:45], v[40:41], v[36:37]
	v_mul_f64_e32 v[56:57], v[50:51], v[36:37]
	s_delay_alu instid0(VALU_DEP_3) | instskip(NEXT) | instid1(VALU_DEP_3)
	v_fma_f64 v[38:39], v[38:39], v[36:37], -v[42:43]
	v_fma_f64 v[40:41], v[40:41], v[36:37], -v[44:45]
	s_delay_alu instid0(VALU_DEP_3) | instskip(NEXT) | instid1(VALU_DEP_3)
	v_fma_f64 v[36:37], v[50:51], v[36:37], -v[56:57]
	v_add_f64_e32 v[46:47], v[44:45], v[38:39]
	s_delay_alu instid0(VALU_DEP_1) | instskip(SKIP_1) | instid1(VALU_DEP_2)
	v_add_f64_e64 v[48:49], v[46:47], -v[44:45]
	v_add_f64_e32 v[54:55], v[42:43], v[46:47]
	v_add_f64_e64 v[52:53], v[46:47], -v[48:49]
	v_add_f64_e64 v[38:39], v[38:39], -v[48:49]
	s_delay_alu instid0(VALU_DEP_3) | instskip(NEXT) | instid1(VALU_DEP_3)
	v_ldexp_f64 v[48:49], v[54:55], -2
	v_add_f64_e64 v[44:45], v[44:45], -v[52:53]
	v_add_f64_e32 v[52:53], v[56:57], v[40:41]
	s_delay_alu instid0(VALU_DEP_3) | instskip(NEXT) | instid1(VALU_DEP_3)
	v_cmp_neq_f64_e64 vcc_lo, 0x7ff00000, |v[48:49]|
	v_add_f64_e32 v[38:39], v[38:39], v[44:45]
	v_fract_f64_e32 v[44:45], v[48:49]
	s_delay_alu instid0(VALU_DEP_1) | instskip(NEXT) | instid1(VALU_DEP_1)
	v_ldexp_f64 v[44:45], v[44:45], 2
	v_dual_add_f64 v[42:43], v[54:55], -v[42:43] :: v_dual_cndmask_b32 v44, 0, v44, vcc_lo
	s_delay_alu instid0(VALU_DEP_1) | instskip(SKIP_1) | instid1(VALU_DEP_1)
	v_dual_add_f64 v[42:43], v[46:47], -v[42:43] :: v_dual_cndmask_b32 v45, 0, v45, vcc_lo
	v_add_f64_e32 v[46:47], v[52:53], v[38:39]
	v_add_f64_e32 v[48:49], v[42:43], v[46:47]
	v_add_f64_e64 v[58:59], v[46:47], -v[52:53]
	s_delay_alu instid0(VALU_DEP_2) | instskip(NEXT) | instid1(VALU_DEP_2)
	v_add_f64_e32 v[54:55], v[48:49], v[44:45]
	v_add_f64_e64 v[64:65], v[46:47], -v[58:59]
	v_add_f64_e64 v[38:39], v[38:39], -v[58:59]
	;; [unrolled: 1-line block ×3, first 2 shown]
	s_delay_alu instid0(VALU_DEP_4) | instskip(SKIP_2) | instid1(VALU_DEP_2)
	v_cmp_gt_f64_e32 vcc_lo, 0, v[54:55]
	v_add_f64_e64 v[54:55], v[52:53], -v[56:57]
	v_cndmask_b32_e64 v25, 0, 0x40100000, vcc_lo
	v_add_f64_e64 v[62:63], v[52:53], -v[54:55]
	v_add_f64_e64 v[40:41], v[40:41], -v[54:55]
	;; [unrolled: 1-line block ×3, first 2 shown]
	s_delay_alu instid0(VALU_DEP_4) | instskip(NEXT) | instid1(VALU_DEP_4)
	v_add_f64_e32 v[44:45], v[44:45], v[24:25]
	v_add_f64_e64 v[54:55], v[56:57], -v[62:63]
	s_delay_alu instid0(VALU_DEP_3) | instskip(NEXT) | instid1(VALU_DEP_3)
	v_add_f64_e32 v[38:39], v[38:39], v[52:53]
	v_add_f64_e32 v[60:61], v[48:49], v[44:45]
	s_delay_alu instid0(VALU_DEP_3) | instskip(NEXT) | instid1(VALU_DEP_2)
	v_add_f64_e32 v[40:41], v[40:41], v[54:55]
	v_cvt_i32_f64_e32 v25, v[60:61]
	s_delay_alu instid0(VALU_DEP_2) | instskip(SKIP_1) | instid1(VALU_DEP_3)
	v_add_f64_e32 v[38:39], v[40:41], v[38:39]
	v_add_f64_e64 v[40:41], v[46:47], -v[42:43]
	v_cvt_f64_i32_e32 v[58:59], v25
	s_delay_alu instid0(VALU_DEP_3) | instskip(NEXT) | instid1(VALU_DEP_2)
	v_add_f64_e32 v[36:37], v[36:37], v[38:39]
	v_add_f64_e64 v[44:45], v[44:45], -v[58:59]
	s_delay_alu instid0(VALU_DEP_2) | instskip(NEXT) | instid1(VALU_DEP_2)
	v_add_f64_e32 v[36:37], v[40:41], v[36:37]
	v_add_f64_e32 v[50:51], v[48:49], v[44:45]
	s_delay_alu instid0(VALU_DEP_1) | instskip(SKIP_1) | instid1(VALU_DEP_2)
	v_add_f64_e64 v[38:39], v[50:51], -v[44:45]
	v_cmp_le_f64_e32 vcc_lo, 0.5, v[50:51]
	v_add_f64_e64 v[38:39], v[48:49], -v[38:39]
	v_add_co_ci_u32_e64 v40, null, 0, v25, vcc_lo
	v_cndmask_b32_e64 v25, 0, 0x3ff00000, vcc_lo
	s_delay_alu instid0(VALU_DEP_3) | instskip(NEXT) | instid1(VALU_DEP_2)
	v_add_f64_e32 v[36:37], v[36:37], v[38:39]
	v_add_f64_e64 v[38:39], v[50:51], -v[24:25]
	s_delay_alu instid0(VALU_DEP_1) | instskip(NEXT) | instid1(VALU_DEP_1)
	v_add_f64_e32 v[42:43], v[38:39], v[36:37]
	v_mul_f64_e32 v[44:45], 0x3ff921fb54442d18, v[42:43]
	v_add_f64_e64 v[38:39], v[42:43], -v[38:39]
	s_delay_alu instid0(VALU_DEP_2) | instskip(NEXT) | instid1(VALU_DEP_2)
	v_fma_f64 v[46:47], v[42:43], s[14:15], -v[44:45]
	v_add_f64_e64 v[36:37], v[36:37], -v[38:39]
	s_delay_alu instid0(VALU_DEP_2) | instskip(NEXT) | instid1(VALU_DEP_1)
	v_fmac_f64_e32 v[46:47], 0x3c91a62633145c07, v[42:43]
	v_fmac_f64_e32 v[46:47], 0x3ff921fb54442d18, v[36:37]
	s_delay_alu instid0(VALU_DEP_1) | instskip(NEXT) | instid1(VALU_DEP_1)
	v_add_f64_e32 v[36:37], v[44:45], v[46:47]
	v_add_f64_e64 v[38:39], v[36:37], -v[44:45]
	s_delay_alu instid0(VALU_DEP_1)
	v_add_f64_e64 v[38:39], v[46:47], -v[38:39]
	s_and_not1_saveexec_b32 s2, s2
	s_cbranch_execnz .LBB131_157
	s_branch .LBB131_158
.LBB131_156:                            ;   in Loop: Header=BB131_4 Depth=1
	s_and_not1_saveexec_b32 s2, s2
	s_cbranch_execz .LBB131_158
.LBB131_157:                            ;   in Loop: Header=BB131_4 Depth=1
	v_mul_f64_e64 v[36:37], |v[4:5]|, s[16:17]
	s_delay_alu instid0(VALU_DEP_1) | instskip(NEXT) | instid1(VALU_DEP_1)
	v_rndne_f64_e32 v[40:41], v[36:37]
	v_fma_f64 v[36:37], v[40:41], s[18:19], |v[4:5]|
	v_mul_f64_e32 v[38:39], 0xbc91a62633145c00, v[40:41]
	s_delay_alu instid0(VALU_DEP_2) | instskip(NEXT) | instid1(VALU_DEP_2)
	v_fmamk_f64 v[46:47], v[40:41], 0xbc91a62633145c00, v[36:37]
	v_add_f64_e32 v[42:43], v[36:37], v[38:39]
	s_delay_alu instid0(VALU_DEP_1) | instskip(NEXT) | instid1(VALU_DEP_3)
	v_add_f64_e64 v[44:45], v[36:37], -v[42:43]
	v_add_f64_e64 v[36:37], v[42:43], -v[46:47]
	s_delay_alu instid0(VALU_DEP_2) | instskip(SKIP_1) | instid1(VALU_DEP_2)
	v_add_f64_e32 v[42:43], v[44:45], v[38:39]
	v_fmamk_f64 v[38:39], v[40:41], 0x3c91a62633145c00, v[38:39]
	v_add_f64_e32 v[36:37], v[36:37], v[42:43]
	s_delay_alu instid0(VALU_DEP_1) | instskip(NEXT) | instid1(VALU_DEP_1)
	v_add_f64_e64 v[38:39], v[36:37], -v[38:39]
	v_fmac_f64_e32 v[38:39], 0xb97b839a252049c0, v[40:41]
	v_cvt_i32_f64_e32 v40, v[40:41]
	s_delay_alu instid0(VALU_DEP_2) | instskip(NEXT) | instid1(VALU_DEP_1)
	v_add_f64_e32 v[36:37], v[46:47], v[38:39]
	v_add_f64_e64 v[42:43], v[36:37], -v[46:47]
	s_delay_alu instid0(VALU_DEP_1)
	v_add_f64_e64 v[38:39], v[38:39], -v[42:43]
.LBB131_158:                            ;   in Loop: Header=BB131_4 Depth=1
	s_or_b32 exec_lo, exec_lo, s2
	v_add_f64_e32 v[2:3], 0xc0937be319ba0da4, v[2:3]
	v_mul_f64_e32 v[44:45], v[10:11], v[10:11]
	s_delay_alu instid0(VALU_DEP_3)
	v_mul_f64_e32 v[58:59], 0.5, v[12:13]
	v_cmp_class_f64_e64 s2, v[4:5], 0x1f8
	v_mul_f64_e32 v[46:47], v[36:37], v[36:37]
	v_mul_f64_e32 v[42:43], 0x3ff71547652b82fe, v[2:3]
	v_mul_f64_e32 v[48:49], 0.5, v[44:45]
	v_cmp_nlt_f64_e64 s3, 0x40900000, v[2:3]
	v_cmp_ngt_f64_e64 s4, 0xc090cc00, v[2:3]
	v_mul_f64_e64 v[70:71], v[36:37], -v[46:47]
	v_fmamk_f64 v[74:75], v[46:47], 0x3de5e0b2f9a43bb8, v[32:33]
	v_rndne_f64_e32 v[42:43], v[42:43]
	v_add_f64_e64 v[54:55], -v[48:49], 1.0
	s_delay_alu instid0(VALU_DEP_2) | instskip(NEXT) | instid1(VALU_DEP_2)
	v_fmamk_f64 v[52:53], v[42:43], 0xbfe62e42fefa39ef, v[2:3]
	v_add_f64_e64 v[62:63], -v[54:55], 1.0
	v_cvt_i32_f64_e32 v25, v[42:43]
	v_and_b32_e32 v2, 1, v40
	s_delay_alu instid0(VALU_DEP_4) | instskip(NEXT) | instid1(VALU_DEP_2)
	v_fmac_f64_e32 v[52:53], 0xbc7abc9e3b39803f, v[42:43]
	v_cmp_eq_u32_e64 s5, 0, v2
	v_add_f64_e64 v[48:49], v[62:63], -v[48:49]
	s_delay_alu instid0(VALU_DEP_3) | instskip(NEXT) | instid1(VALU_DEP_1)
	v_fmamk_f64 v[66:67], v[52:53], 0x3e5ade156a5dcb37, v[28:29]
	v_fmaak_f64 v[66:67], v[52:53], v[66:67], 0x3ec71dee623fde64
	s_delay_alu instid0(VALU_DEP_1) | instskip(NEXT) | instid1(VALU_DEP_1)
	v_fmaak_f64 v[66:67], v[52:53], v[66:67], 0x3efa01997c89e6b0
	v_fmaak_f64 v[66:67], v[52:53], v[66:67], 0x3f2a01a014761f6e
	s_delay_alu instid0(VALU_DEP_1) | instskip(NEXT) | instid1(VALU_DEP_1)
	v_fmaak_f64 v[62:63], v[52:53], v[66:67], 0x3f56c16c1852b7b0
	v_fmaak_f64 v[62:63], v[52:53], v[62:63], 0x3f81111111122322
	s_delay_alu instid0(VALU_DEP_1) | instskip(NEXT) | instid1(VALU_DEP_1)
	v_fmaak_f64 v[62:63], v[52:53], v[62:63], 0x3fa55555555502a1
	v_fmaak_f64 v[62:63], v[52:53], v[62:63], 0x3fc5555555555511
	s_delay_alu instid0(VALU_DEP_1) | instskip(NEXT) | instid1(VALU_DEP_1)
	v_fmaak_f64 v[62:63], v[52:53], v[62:63], 0x3fe000000000000b
	v_fma_f64 v[62:63], v[52:53], v[62:63], 1.0
	s_delay_alu instid0(VALU_DEP_1) | instskip(NEXT) | instid1(VALU_DEP_1)
	v_fma_f64 v[42:43], v[52:53], v[62:63], 1.0
	v_ldexp_f64 v[42:43], v[42:43], v25
	v_and_b32_e32 v25, 1, v1
	v_mul_f64_e64 v[60:61], v[10:11], -v[44:45]
	v_fmamk_f64 v[64:65], v[44:45], 0x3de5e0b2f9a43bb8, v[32:33]
	v_mul_f64_e32 v[66:67], v[44:45], v[44:45]
	v_lshlrev_b32_e32 v1, 30, v1
	v_cmp_eq_u32_e32 vcc_lo, 0, v25
	s_delay_alu instid0(VALU_DEP_4) | instskip(NEXT) | instid1(VALU_DEP_1)
	v_fmaak_f64 v[64:65], v[44:45], v[64:65], 0x3ec71de3796cde01
	v_fmaak_f64 v[64:65], v[44:45], v[64:65], 0xbf2a01a019e83e5c
	s_delay_alu instid0(VALU_DEP_1) | instskip(SKIP_1) | instid1(VALU_DEP_2)
	v_fmaak_f64 v[64:65], v[44:45], v[64:65], 0x3f81111111110bb3
	v_cndmask_b32_e64 v4, 0x7ff00000, v43, s3
	v_fmac_f64_e32 v[58:59], v[60:61], v[64:65]
	v_fmaak_f64 v[64:65], v[46:47], v[74:75], 0x3ec71de3796cde01
	s_delay_alu instid0(VALU_DEP_1) | instskip(NEXT) | instid1(VALU_DEP_1)
	v_fmaak_f64 v[64:65], v[46:47], v[64:65], 0xbf2a01a019e83e5c
	v_fmaak_f64 v[64:65], v[46:47], v[64:65], 0x3f81111111110bb3
	s_delay_alu instid0(VALU_DEP_4) | instskip(SKIP_1) | instid1(VALU_DEP_2)
	v_fma_f64 v[58:59], v[44:45], v[58:59], -v[12:13]
	v_fma_f64 v[12:13], v[10:11], -v[12:13], v[48:49]
	v_fmac_f64_e32 v[58:59], 0xbfc5555555555555, v[60:61]
	s_delay_alu instid0(VALU_DEP_1) | instskip(SKIP_1) | instid1(VALU_DEP_2)
	v_add_f64_e64 v[10:11], v[10:11], -v[58:59]
	v_mul_f64_e32 v[68:69], 0.5, v[38:39]
	v_xor_b32_e32 v3, 0x80000000, v11
	s_delay_alu instid0(VALU_DEP_2) | instskip(SKIP_2) | instid1(VALU_DEP_2)
	v_fmac_f64_e32 v[68:69], v[70:71], v[64:65]
	v_fmamk_f64 v[64:65], v[44:45], 0xbda907db46cc5e42, v[30:31]
	v_lshlrev_b32_e32 v11, 30, v40
	v_fmaak_f64 v[48:49], v[44:45], v[64:65], 0xbe927e4fa17f65f6
	s_delay_alu instid0(VALU_DEP_1) | instskip(NEXT) | instid1(VALU_DEP_1)
	v_fmaak_f64 v[48:49], v[44:45], v[48:49], 0x3efa01a019f4ec90
	v_fmaak_f64 v[48:49], v[44:45], v[48:49], 0xbf56c16c16c16967
	s_delay_alu instid0(VALU_DEP_1) | instskip(NEXT) | instid1(VALU_DEP_1)
	v_fmaak_f64 v[44:45], v[44:45], v[48:49], 0x3fa5555555555555
	v_fmac_f64_e32 v[12:13], v[66:67], v[44:45]
	s_delay_alu instid0(VALU_DEP_1) | instskip(NEXT) | instid1(VALU_DEP_1)
	v_add_f64_e32 v[12:13], v[54:55], v[12:13]
	v_dual_cndmask_b32 v10, v10, v12, vcc_lo :: v_dual_cndmask_b32 v2, v3, v13, vcc_lo
	v_cndmask_b32_e64 v12, 0, v4, s4
	s_and_b32 vcc_lo, s4, s3
	v_xor_b32_e32 v3, v11, v5
	s_delay_alu instid0(VALU_DEP_3) | instskip(SKIP_4) | instid1(VALU_DEP_3)
	v_bitop3_b32 v1, v2, v1, 0x80000000 bitop3:0x78
	v_cndmask_b32_e64 v2, 0, v10, s2
	v_mul_f64_e32 v[50:51], 0.5, v[46:47]
	v_mul_f64_e32 v[64:65], v[46:47], v[46:47]
	v_dual_fma_f64 v[48:49], v[46:47], v[68:69], -v[38:39] :: v_dual_cndmask_b32 v10, 0, v42, vcc_lo
	v_add_f64_e64 v[56:57], -v[50:51], 1.0
	s_delay_alu instid0(VALU_DEP_2) | instskip(NEXT) | instid1(VALU_DEP_2)
	v_fmac_f64_e32 v[48:49], 0xbfc5555555555555, v[70:71]
	v_add_f64_e64 v[72:73], -v[56:57], 1.0
	s_delay_alu instid0(VALU_DEP_1) | instskip(SKIP_1) | instid1(VALU_DEP_2)
	v_add_f64_e64 v[50:51], v[72:73], -v[50:51]
	v_fmamk_f64 v[72:73], v[46:47], 0xbda907db46cc5e42, v[30:31]
	v_fma_f64 v[38:39], v[36:37], -v[38:39], v[50:51]
	s_delay_alu instid0(VALU_DEP_2) | instskip(SKIP_1) | instid1(VALU_DEP_2)
	v_fmaak_f64 v[50:51], v[46:47], v[72:73], 0xbe927e4fa17f65f6
	v_add_f64_e64 v[36:37], v[36:37], -v[48:49]
	v_fmaak_f64 v[44:45], v[46:47], v[50:51], 0x3efa01a019f4ec90
	s_delay_alu instid0(VALU_DEP_1) | instskip(NEXT) | instid1(VALU_DEP_1)
	v_fmaak_f64 v[44:45], v[46:47], v[44:45], 0xbf56c16c16c16967
	v_fmaak_f64 v[44:45], v[46:47], v[44:45], 0x3fa5555555555555
	s_delay_alu instid0(VALU_DEP_1) | instskip(NEXT) | instid1(VALU_DEP_1)
	v_fmac_f64_e32 v[38:39], v[64:65], v[44:45]
	v_add_f64_e32 v[38:39], v[56:57], v[38:39]
	s_delay_alu instid0(VALU_DEP_1) | instskip(NEXT) | instid1(VALU_DEP_1)
	v_dual_cndmask_b32 v11, v39, v37, s5 :: v_dual_cndmask_b32 v5, v38, v36, s5
	v_bitop3_b32 v13, v11, v3, 0x80000000 bitop3:0x78
	v_cndmask_b32_e64 v3, 0x7ff80000, v1, s2
	s_delay_alu instid0(VALU_DEP_3) | instskip(SKIP_3) | instid1(VALU_DEP_3)
	v_cndmask_b32_e64 v4, 0, v5, s2
	v_and_or_b32 v11, v12, s27, 0x7fe00000
	v_lshrrev_b32_e32 v1, 20, v12
	v_cndmask_b32_e64 v5, 0x7ff80000, v13, s2
	v_dual_mul_f64 v[2:3], v[10:11], v[2:3] :: v_dual_mov_b32 v12, v24
	s_delay_alu instid0(VALU_DEP_3) | instskip(NEXT) | instid1(VALU_DEP_3)
	v_add_nc_u32_e32 v1, 0xffffff09, v1
	v_mul_f64_e32 v[4:5], v[10:11], v[4:5]
	s_delay_alu instid0(VALU_DEP_2) | instskip(NEXT) | instid1(VALU_DEP_1)
	v_lshrrev_b16 v10, 15, v1
	v_add_nc_u16 v10, v1, v10
	s_delay_alu instid0(VALU_DEP_1) | instskip(NEXT) | instid1(VALU_DEP_1)
	v_ashrrev_i16 v10, 1, v10
	v_bfe_i32 v10, v10, 0, 16
	s_delay_alu instid0(VALU_DEP_1) | instskip(NEXT) | instid1(VALU_DEP_1)
	v_lshl_add_u32 v25, v10, 20, 0x3ff00000
	v_dual_mul_f64 v[2:3], v[2:3], v[24:25] :: v_dual_sub_nc_u32 v1, v1, v10
	s_delay_alu instid0(VALU_DEP_1) | instskip(SKIP_1) | instid1(VALU_DEP_2)
	v_lshl_add_u32 v13, v1, 20, 0x3ff00000
	v_mul_f64_e32 v[4:5], v[4:5], v[24:25]
	v_mul_f64_e32 v[10:11], v[2:3], v[12:13]
	s_delay_alu instid0(VALU_DEP_2)
	v_mul_f64_e32 v[12:13], v[4:5], v[12:13]
.LBB131_159:                            ;   in Loop: Header=BB131_4 Depth=1
	s_or_b32 exec_lo, exec_lo, s33
                                        ; implicit-def: $vgpr2_vgpr3
                                        ; implicit-def: $vgpr1
.LBB131_160:                            ;   in Loop: Header=BB131_4 Depth=1
	s_and_not1_saveexec_b32 s3, s31
	s_cbranch_execz .LBB131_166
; %bb.161:                              ;   in Loop: Header=BB131_4 Depth=1
	v_add_f64_e64 v[12:13], v[4:5], -v[4:5]
	v_cmp_ne_u32_e32 vcc_lo, 0, v2
	v_cmp_ne_u32_e64 s2, 0x7ff00000, v1
	s_or_b32 s2, vcc_lo, s2
	s_delay_alu instid0(SALU_CYCLE_1) | instskip(NEXT) | instid1(SALU_CYCLE_1)
	s_and_saveexec_b32 s4, s2
	s_xor_b32 s2, exec_lo, s4
; %bb.162:                              ;   in Loop: Header=BB131_4 Depth=1
                                        ; implicit-def: $vgpr2_vgpr3
; %bb.163:                              ;   in Loop: Header=BB131_4 Depth=1
	s_delay_alu instid0(SALU_CYCLE_1)
	s_or_saveexec_b32 s2, s2
	v_mov_b64_e32 v[10:11], v[12:13]
	s_xor_b32 exec_lo, exec_lo, s2
; %bb.164:                              ;   in Loop: Header=BB131_4 Depth=1
	v_cmp_lt_i64_e32 vcc_lo, -1, v[2:3]
	v_dual_cndmask_b32 v11, 0, v3 :: v_dual_cndmask_b32 v10, 0, v2
	v_dual_cndmask_b32 v13, 0, v13 :: v_dual_cndmask_b32 v12, 0, v12
; %bb.165:                              ;   in Loop: Header=BB131_4 Depth=1
	s_or_b32 exec_lo, exec_lo, s2
.LBB131_166:                            ;   in Loop: Header=BB131_4 Depth=1
	s_delay_alu instid0(SALU_CYCLE_1)
	s_or_b32 exec_lo, exec_lo, s3
                                        ; implicit-def: $vgpr4_vgpr5
.LBB131_167:                            ;   in Loop: Header=BB131_4 Depth=1
	s_and_not1_saveexec_b32 s4, s30
	s_cbranch_execz .LBB131_177
; %bb.168:                              ;   in Loop: Header=BB131_4 Depth=1
	v_cmp_ngt_f64_e64 s2, 0x41d00000, |v[4:5]|
	v_trig_preop_f64 v[38:39], |v[4:5]|, 0
	v_trig_preop_f64 v[36:37], |v[4:5]|, 1
	v_ldexp_f64 v[40:41], |v[4:5]|, 0xffffff80
	v_trig_preop_f64 v[12:13], |v[4:5]|, 2
	v_and_b32_e32 v48, 0x7fffffff, v5
                                        ; implicit-def: $vgpr1
                                        ; implicit-def: $vgpr2_vgpr3
                                        ; implicit-def: $vgpr10_vgpr11
	s_and_saveexec_b32 s3, s2
	s_delay_alu instid0(SALU_CYCLE_1)
	s_xor_b32 s3, exec_lo, s3
	s_cbranch_execz .LBB131_170
; %bb.169:                              ;   in Loop: Header=BB131_4 Depth=1
	v_cmp_le_f64_e64 vcc_lo, 0x7b000000, |v[4:5]|
	s_delay_alu instid0(VALU_DEP_4) | instskip(SKIP_1) | instid1(VALU_DEP_1)
	v_cndmask_b32_e32 v3, v48, v41, vcc_lo
	v_cndmask_b32_e32 v2, v4, v40, vcc_lo
	v_mul_f64_e32 v[10:11], v[38:39], v[2:3]
	v_mul_f64_e32 v[42:43], v[36:37], v[2:3]
	s_delay_alu instid0(VALU_DEP_2) | instskip(NEXT) | instid1(VALU_DEP_1)
	v_fma_f64 v[44:45], v[38:39], v[2:3], -v[10:11]
	v_add_f64_e32 v[46:47], v[42:43], v[44:45]
	s_delay_alu instid0(VALU_DEP_1) | instskip(SKIP_1) | instid1(VALU_DEP_2)
	v_add_f64_e64 v[50:51], v[46:47], -v[42:43]
	v_add_f64_e32 v[54:55], v[10:11], v[46:47]
	v_add_f64_e64 v[52:53], v[46:47], -v[50:51]
	v_fma_f64 v[58:59], v[36:37], v[2:3], -v[42:43]
	v_add_f64_e64 v[44:45], v[44:45], -v[50:51]
	s_delay_alu instid0(VALU_DEP_4) | instskip(SKIP_2) | instid1(VALU_DEP_3)
	v_ldexp_f64 v[50:51], v[54:55], -2
	v_mul_f64_e32 v[56:57], v[12:13], v[2:3]
	v_add_f64_e64 v[42:43], v[42:43], -v[52:53]
	v_cmp_neq_f64_e64 vcc_lo, 0x7ff00000, |v[50:51]|
	s_delay_alu instid0(VALU_DEP_3) | instskip(SKIP_1) | instid1(VALU_DEP_4)
	v_add_f64_e32 v[52:53], v[56:57], v[58:59]
	v_fma_f64 v[2:3], v[12:13], v[2:3], -v[56:57]
	v_add_f64_e32 v[42:43], v[44:45], v[42:43]
	v_fract_f64_e32 v[44:45], v[50:51]
	s_delay_alu instid0(VALU_DEP_1) | instskip(NEXT) | instid1(VALU_DEP_1)
	v_ldexp_f64 v[44:45], v[44:45], 2
	v_dual_add_f64 v[10:11], v[54:55], -v[10:11] :: v_dual_cndmask_b32 v45, 0, v45, vcc_lo
	s_delay_alu instid0(VALU_DEP_1) | instskip(SKIP_1) | instid1(VALU_DEP_1)
	v_dual_add_f64 v[10:11], v[46:47], -v[10:11] :: v_dual_cndmask_b32 v44, 0, v44, vcc_lo
	v_add_f64_e32 v[46:47], v[52:53], v[42:43]
	v_add_f64_e32 v[50:51], v[10:11], v[46:47]
	v_add_f64_e64 v[60:61], v[46:47], -v[52:53]
	s_delay_alu instid0(VALU_DEP_2) | instskip(NEXT) | instid1(VALU_DEP_2)
	v_add_f64_e32 v[54:55], v[50:51], v[44:45]
	v_add_f64_e64 v[66:67], v[46:47], -v[60:61]
	v_add_f64_e64 v[42:43], v[42:43], -v[60:61]
	;; [unrolled: 1-line block ×3, first 2 shown]
	s_delay_alu instid0(VALU_DEP_4) | instskip(SKIP_1) | instid1(VALU_DEP_3)
	v_cmp_gt_f64_e32 vcc_lo, 0, v[54:55]
	v_add_f64_e64 v[54:55], v[52:53], -v[56:57]
	v_add_f64_e64 v[10:11], v[46:47], -v[10:11]
	v_cndmask_b32_e64 v25, 0, 0x40100000, vcc_lo
	s_delay_alu instid0(VALU_DEP_3) | instskip(SKIP_2) | instid1(VALU_DEP_4)
	v_add_f64_e64 v[64:65], v[52:53], -v[54:55]
	v_add_f64_e64 v[54:55], v[58:59], -v[54:55]
	;; [unrolled: 1-line block ×3, first 2 shown]
	v_add_f64_e32 v[44:45], v[44:45], v[24:25]
	s_delay_alu instid0(VALU_DEP_4) | instskip(NEXT) | instid1(VALU_DEP_3)
	v_add_f64_e64 v[58:59], v[56:57], -v[64:65]
	v_add_f64_e32 v[42:43], v[42:43], v[52:53]
	s_delay_alu instid0(VALU_DEP_3) | instskip(NEXT) | instid1(VALU_DEP_3)
	v_add_f64_e32 v[62:63], v[50:51], v[44:45]
	v_add_f64_e32 v[54:55], v[54:55], v[58:59]
	s_delay_alu instid0(VALU_DEP_2) | instskip(NEXT) | instid1(VALU_DEP_2)
	v_cvt_i32_f64_e32 v1, v[62:63]
	v_add_f64_e32 v[42:43], v[54:55], v[42:43]
	s_delay_alu instid0(VALU_DEP_2) | instskip(NEXT) | instid1(VALU_DEP_2)
	v_cvt_f64_i32_e32 v[60:61], v1
	v_add_f64_e32 v[2:3], v[2:3], v[42:43]
	s_delay_alu instid0(VALU_DEP_2) | instskip(NEXT) | instid1(VALU_DEP_2)
	v_add_f64_e64 v[44:45], v[44:45], -v[60:61]
	v_add_f64_e32 v[2:3], v[10:11], v[2:3]
	s_delay_alu instid0(VALU_DEP_2) | instskip(NEXT) | instid1(VALU_DEP_1)
	v_add_f64_e32 v[52:53], v[50:51], v[44:45]
	v_add_f64_e64 v[42:43], v[52:53], -v[44:45]
	v_cmp_le_f64_e32 vcc_lo, 0.5, v[52:53]
	s_delay_alu instid0(VALU_DEP_2) | instskip(SKIP_2) | instid1(VALU_DEP_3)
	v_add_f64_e64 v[10:11], v[50:51], -v[42:43]
	v_cndmask_b32_e64 v25, 0, 0x3ff00000, vcc_lo
	v_add_co_ci_u32_e64 v1, null, 0, v1, vcc_lo
	v_add_f64_e32 v[2:3], v[2:3], v[10:11]
	s_delay_alu instid0(VALU_DEP_3) | instskip(NEXT) | instid1(VALU_DEP_1)
	v_add_f64_e64 v[10:11], v[52:53], -v[24:25]
	v_add_f64_e32 v[42:43], v[10:11], v[2:3]
	s_delay_alu instid0(VALU_DEP_1) | instskip(SKIP_1) | instid1(VALU_DEP_2)
	v_mul_f64_e32 v[44:45], 0x3ff921fb54442d18, v[42:43]
	v_add_f64_e64 v[10:11], v[42:43], -v[10:11]
	v_fma_f64 v[46:47], v[42:43], s[14:15], -v[44:45]
	s_delay_alu instid0(VALU_DEP_2) | instskip(NEXT) | instid1(VALU_DEP_2)
	v_add_f64_e64 v[2:3], v[2:3], -v[10:11]
	v_fmac_f64_e32 v[46:47], 0x3c91a62633145c07, v[42:43]
	s_delay_alu instid0(VALU_DEP_1) | instskip(NEXT) | instid1(VALU_DEP_1)
	v_fmac_f64_e32 v[46:47], 0x3ff921fb54442d18, v[2:3]
	v_add_f64_e32 v[2:3], v[44:45], v[46:47]
	s_delay_alu instid0(VALU_DEP_1) | instskip(NEXT) | instid1(VALU_DEP_1)
	v_add_f64_e64 v[10:11], v[2:3], -v[44:45]
	v_add_f64_e64 v[10:11], v[46:47], -v[10:11]
.LBB131_170:                            ;   in Loop: Header=BB131_4 Depth=1
	s_or_saveexec_b32 s3, s3
	v_mul_f64_e64 v[42:43], |v[4:5]|, s[16:17]
	s_delay_alu instid0(VALU_DEP_1)
	v_rndne_f64_e32 v[46:47], v[42:43]
	s_xor_b32 exec_lo, exec_lo, s3
	s_cbranch_execz .LBB131_172
; %bb.171:                              ;   in Loop: Header=BB131_4 Depth=1
	s_delay_alu instid0(VALU_DEP_1) | instskip(SKIP_2) | instid1(VALU_DEP_3)
	v_fma_f64 v[2:3], v[46:47], s[18:19], |v[4:5]|
	v_mul_f64_e32 v[10:11], 0xbc91a62633145c00, v[46:47]
	v_cvt_i32_f64_e32 v1, v[46:47]
	v_fmamk_f64 v[50:51], v[46:47], 0xbc91a62633145c00, v[2:3]
	s_delay_alu instid0(VALU_DEP_3) | instskip(NEXT) | instid1(VALU_DEP_1)
	v_add_f64_e32 v[42:43], v[2:3], v[10:11]
	v_add_f64_e64 v[44:45], v[2:3], -v[42:43]
	s_delay_alu instid0(VALU_DEP_3) | instskip(NEXT) | instid1(VALU_DEP_2)
	v_add_f64_e64 v[2:3], v[42:43], -v[50:51]
	v_add_f64_e32 v[42:43], v[44:45], v[10:11]
	v_fmamk_f64 v[10:11], v[46:47], 0x3c91a62633145c00, v[10:11]
	s_delay_alu instid0(VALU_DEP_2) | instskip(NEXT) | instid1(VALU_DEP_1)
	v_add_f64_e32 v[2:3], v[2:3], v[42:43]
	v_add_f64_e64 v[10:11], v[2:3], -v[10:11]
	s_delay_alu instid0(VALU_DEP_1) | instskip(NEXT) | instid1(VALU_DEP_1)
	v_fmac_f64_e32 v[10:11], 0xb97b839a252049c0, v[46:47]
	v_add_f64_e32 v[2:3], v[50:51], v[10:11]
	s_delay_alu instid0(VALU_DEP_1) | instskip(NEXT) | instid1(VALU_DEP_1)
	v_add_f64_e64 v[42:43], v[2:3], -v[50:51]
	v_add_f64_e64 v[10:11], v[10:11], -v[42:43]
.LBB131_172:                            ;   in Loop: Header=BB131_4 Depth=1
	s_or_b32 exec_lo, exec_lo, s3
                                        ; implicit-def: $vgpr49
                                        ; implicit-def: $vgpr42_vgpr43
                                        ; implicit-def: $vgpr44_vgpr45
	s_and_saveexec_b32 s3, s2
	s_delay_alu instid0(SALU_CYCLE_1)
	s_xor_b32 s2, exec_lo, s3
	s_cbranch_execz .LBB131_174
; %bb.173:                              ;   in Loop: Header=BB131_4 Depth=1
	v_cmp_le_f64_e64 vcc_lo, 0x7b000000, |v[4:5]|
	v_cndmask_b32_e32 v41, v48, v41, vcc_lo
	v_cndmask_b32_e32 v40, v4, v40, vcc_lo
	s_delay_alu instid0(VALU_DEP_1) | instskip(SKIP_1) | instid1(VALU_DEP_2)
	v_mul_f64_e32 v[42:43], v[38:39], v[40:41]
	v_mul_f64_e32 v[44:45], v[36:37], v[40:41]
	v_fma_f64 v[38:39], v[38:39], v[40:41], -v[42:43]
	s_delay_alu instid0(VALU_DEP_1) | instskip(NEXT) | instid1(VALU_DEP_1)
	v_add_f64_e32 v[46:47], v[44:45], v[38:39]
	v_add_f64_e64 v[48:49], v[46:47], -v[44:45]
	v_add_f64_e32 v[52:53], v[42:43], v[46:47]
	s_delay_alu instid0(VALU_DEP_2) | instskip(SKIP_1) | instid1(VALU_DEP_3)
	v_add_f64_e64 v[50:51], v[46:47], -v[48:49]
	v_add_f64_e64 v[38:39], v[38:39], -v[48:49]
	v_ldexp_f64 v[48:49], v[52:53], -2
	s_delay_alu instid0(VALU_DEP_1) | instskip(SKIP_1) | instid1(VALU_DEP_1)
	v_cmp_neq_f64_e64 vcc_lo, 0x7ff00000, |v[48:49]|
	v_add_f64_e64 v[42:43], v[52:53], -v[42:43]
	v_add_f64_e64 v[42:43], v[46:47], -v[42:43]
	v_mul_f64_e32 v[54:55], v[12:13], v[40:41]
	v_fma_f64 v[36:37], v[36:37], v[40:41], -v[44:45]
	v_add_f64_e64 v[44:45], v[44:45], -v[50:51]
	s_delay_alu instid0(VALU_DEP_3) | instskip(NEXT) | instid1(VALU_DEP_3)
	v_fma_f64 v[12:13], v[12:13], v[40:41], -v[54:55]
	v_add_f64_e32 v[50:51], v[54:55], v[36:37]
	s_delay_alu instid0(VALU_DEP_3) | instskip(SKIP_1) | instid1(VALU_DEP_2)
	v_add_f64_e32 v[38:39], v[38:39], v[44:45]
	v_fract_f64_e32 v[44:45], v[48:49]
	v_add_f64_e32 v[46:47], v[50:51], v[38:39]
	s_delay_alu instid0(VALU_DEP_2) | instskip(NEXT) | instid1(VALU_DEP_1)
	v_ldexp_f64 v[44:45], v[44:45], 2
	v_dual_add_f64 v[48:49], v[42:43], v[46:47] :: v_dual_cndmask_b32 v45, 0, v45, vcc_lo
	s_delay_alu instid0(VALU_DEP_2) | instskip(NEXT) | instid1(VALU_DEP_1)
	v_dual_add_f64 v[56:57], v[46:47], -v[50:51] :: v_dual_cndmask_b32 v44, 0, v44, vcc_lo
	v_add_f64_e32 v[52:53], v[48:49], v[44:45]
	v_add_f64_e64 v[40:41], v[48:49], -v[42:43]
	s_delay_alu instid0(VALU_DEP_3) | instskip(SKIP_1) | instid1(VALU_DEP_4)
	v_add_f64_e64 v[62:63], v[46:47], -v[56:57]
	v_add_f64_e64 v[38:39], v[38:39], -v[56:57]
	v_cmp_gt_f64_e32 vcc_lo, 0, v[52:53]
	v_add_f64_e64 v[52:53], v[50:51], -v[54:55]
	v_add_f64_e64 v[40:41], v[46:47], -v[40:41]
                                        ; implicit-def: $vgpr46_vgpr47
	v_cndmask_b32_e64 v25, 0, 0x40100000, vcc_lo
	s_delay_alu instid0(VALU_DEP_3) | instskip(SKIP_2) | instid1(VALU_DEP_4)
	v_add_f64_e64 v[60:61], v[50:51], -v[52:53]
	v_add_f64_e64 v[36:37], v[36:37], -v[52:53]
	;; [unrolled: 1-line block ×3, first 2 shown]
	v_add_f64_e32 v[44:45], v[44:45], v[24:25]
	s_delay_alu instid0(VALU_DEP_4) | instskip(NEXT) | instid1(VALU_DEP_3)
	v_add_f64_e64 v[52:53], v[54:55], -v[60:61]
	v_add_f64_e32 v[38:39], v[38:39], v[50:51]
	s_delay_alu instid0(VALU_DEP_3) | instskip(NEXT) | instid1(VALU_DEP_3)
	v_add_f64_e32 v[58:59], v[48:49], v[44:45]
	v_add_f64_e32 v[36:37], v[36:37], v[52:53]
	s_delay_alu instid0(VALU_DEP_2) | instskip(NEXT) | instid1(VALU_DEP_2)
	v_cvt_i32_f64_e32 v25, v[58:59]
	v_add_f64_e32 v[36:37], v[36:37], v[38:39]
	s_delay_alu instid0(VALU_DEP_2) | instskip(NEXT) | instid1(VALU_DEP_2)
	v_cvt_f64_i32_e32 v[56:57], v25
	v_add_f64_e32 v[12:13], v[12:13], v[36:37]
	s_delay_alu instid0(VALU_DEP_2) | instskip(NEXT) | instid1(VALU_DEP_2)
	v_add_f64_e64 v[44:45], v[44:45], -v[56:57]
	v_add_f64_e32 v[12:13], v[40:41], v[12:13]
	s_delay_alu instid0(VALU_DEP_2) | instskip(NEXT) | instid1(VALU_DEP_1)
	v_add_f64_e32 v[38:39], v[48:49], v[44:45]
	v_add_f64_e64 v[36:37], v[38:39], -v[44:45]
	v_cmp_le_f64_e32 vcc_lo, 0.5, v[38:39]
	s_delay_alu instid0(VALU_DEP_2) | instskip(SKIP_2) | instid1(VALU_DEP_3)
	v_add_f64_e64 v[36:37], v[48:49], -v[36:37]
	v_add_co_ci_u32_e64 v49, null, 0, v25, vcc_lo
	v_cndmask_b32_e64 v25, 0, 0x3ff00000, vcc_lo
	v_add_f64_e32 v[12:13], v[12:13], v[36:37]
	s_delay_alu instid0(VALU_DEP_2) | instskip(NEXT) | instid1(VALU_DEP_1)
	v_add_f64_e64 v[36:37], v[38:39], -v[24:25]
	v_add_f64_e32 v[38:39], v[36:37], v[12:13]
	s_delay_alu instid0(VALU_DEP_1) | instskip(SKIP_1) | instid1(VALU_DEP_2)
	v_mul_f64_e32 v[40:41], 0x3ff921fb54442d18, v[38:39]
	v_add_f64_e64 v[36:37], v[38:39], -v[36:37]
	v_fma_f64 v[44:45], v[38:39], s[14:15], -v[40:41]
	s_delay_alu instid0(VALU_DEP_2) | instskip(NEXT) | instid1(VALU_DEP_2)
	v_add_f64_e64 v[12:13], v[12:13], -v[36:37]
	v_fmac_f64_e32 v[44:45], 0x3c91a62633145c07, v[38:39]
	s_delay_alu instid0(VALU_DEP_1) | instskip(NEXT) | instid1(VALU_DEP_1)
	v_fmac_f64_e32 v[44:45], 0x3ff921fb54442d18, v[12:13]
	v_add_f64_e32 v[42:43], v[40:41], v[44:45]
	s_delay_alu instid0(VALU_DEP_1) | instskip(NEXT) | instid1(VALU_DEP_1)
	v_add_f64_e64 v[12:13], v[42:43], -v[40:41]
	v_add_f64_e64 v[44:45], v[44:45], -v[12:13]
	s_and_not1_saveexec_b32 s2, s2
	s_cbranch_execnz .LBB131_175
	s_branch .LBB131_176
.LBB131_174:                            ;   in Loop: Header=BB131_4 Depth=1
	s_and_not1_saveexec_b32 s2, s2
	s_cbranch_execz .LBB131_176
.LBB131_175:                            ;   in Loop: Header=BB131_4 Depth=1
	s_delay_alu instid0(VALU_DEP_1) | instskip(SKIP_2) | instid1(VALU_DEP_2)
	v_fma_f64 v[12:13], v[46:47], s[18:19], |v[4:5]|
	v_mul_f64_e32 v[36:37], 0xbc91a62633145c00, v[46:47]
	v_cvt_i32_f64_e32 v49, v[46:47]
	v_add_f64_e32 v[38:39], v[12:13], v[36:37]
	s_delay_alu instid0(VALU_DEP_1) | instskip(SKIP_1) | instid1(VALU_DEP_1)
	v_add_f64_e64 v[40:41], v[12:13], -v[38:39]
	v_fmamk_f64 v[12:13], v[46:47], 0xbc91a62633145c00, v[12:13]
	v_add_f64_e64 v[38:39], v[38:39], -v[12:13]
	s_delay_alu instid0(VALU_DEP_3) | instskip(SKIP_1) | instid1(VALU_DEP_2)
	v_add_f64_e32 v[40:41], v[40:41], v[36:37]
	v_fmamk_f64 v[36:37], v[46:47], 0x3c91a62633145c00, v[36:37]
	v_add_f64_e32 v[38:39], v[38:39], v[40:41]
	s_delay_alu instid0(VALU_DEP_1) | instskip(NEXT) | instid1(VALU_DEP_1)
	v_add_f64_e64 v[36:37], v[38:39], -v[36:37]
	v_fmac_f64_e32 v[36:37], 0xb97b839a252049c0, v[46:47]
	s_delay_alu instid0(VALU_DEP_1) | instskip(NEXT) | instid1(VALU_DEP_1)
	v_add_f64_e32 v[42:43], v[12:13], v[36:37]
	v_add_f64_e64 v[12:13], v[42:43], -v[12:13]
	s_delay_alu instid0(VALU_DEP_1)
	v_add_f64_e64 v[44:45], v[36:37], -v[12:13]
.LBB131_176:                            ;   in Loop: Header=BB131_4 Depth=1
	s_or_b32 exec_lo, exec_lo, s2
	v_dual_mul_f64 v[12:13], v[2:3], v[2:3] :: v_dual_bitop2_b32 v25, 1, v1 bitop3:0x40
	s_delay_alu instid0(VALU_DEP_2) | instskip(SKIP_2) | instid1(VALU_DEP_4)
	v_mul_f64_e32 v[52:53], 0.5, v[10:11]
	v_cmp_class_f64_e64 s2, v[4:5], 0x1f8
	v_dual_mul_f64 v[36:37], v[42:43], v[42:43] :: v_dual_bitop2_b32 v4, 1, v49 bitop3:0x40
	v_cmp_eq_u32_e32 vcc_lo, 0, v25
	v_mul_f64_e32 v[60:61], 0.5, v[44:45]
	v_lshlrev_b32_e32 v1, 30, v1
	s_delay_alu instid0(VALU_DEP_4)
	v_cmp_eq_u32_e64 s3, 0, v4
	v_mul_f64_e32 v[38:39], 0.5, v[12:13]
	v_mul_f64_e64 v[54:55], v[2:3], -v[12:13]
	v_fmamk_f64 v[58:59], v[12:13], 0x3de5e0b2f9a43bb8, v[32:33]
	v_mul_f64_e64 v[62:63], v[42:43], -v[36:37]
	v_fmamk_f64 v[66:67], v[36:37], 0x3de5e0b2f9a43bb8, v[32:33]
	s_delay_alu instid0(VALU_DEP_3) | instskip(NEXT) | instid1(VALU_DEP_1)
	v_fmaak_f64 v[58:59], v[12:13], v[58:59], 0x3ec71de3796cde01
	v_fmaak_f64 v[58:59], v[12:13], v[58:59], 0xbf2a01a019e83e5c
	s_delay_alu instid0(VALU_DEP_1) | instskip(SKIP_1) | instid1(VALU_DEP_2)
	v_fmaak_f64 v[58:59], v[12:13], v[58:59], 0x3f81111111110bb3
	v_add_f64_e64 v[46:47], -v[38:39], 1.0
	v_fmac_f64_e32 v[52:53], v[54:55], v[58:59]
	v_mul_f64_e32 v[58:59], v[12:13], v[12:13]
	s_delay_alu instid0(VALU_DEP_3) | instskip(NEXT) | instid1(VALU_DEP_3)
	v_add_f64_e64 v[56:57], -v[46:47], 1.0
	v_fma_f64 v[52:53], v[12:13], v[52:53], -v[10:11]
	s_delay_alu instid0(VALU_DEP_2) | instskip(SKIP_1) | instid1(VALU_DEP_3)
	v_add_f64_e64 v[38:39], v[56:57], -v[38:39]
	v_fmaak_f64 v[56:57], v[36:37], v[66:67], 0x3ec71de3796cde01
	v_fmac_f64_e32 v[52:53], 0xbfc5555555555555, v[54:55]
	s_delay_alu instid0(VALU_DEP_2) | instskip(NEXT) | instid1(VALU_DEP_1)
	v_fmaak_f64 v[56:57], v[36:37], v[56:57], 0xbf2a01a019e83e5c
	v_fmaak_f64 v[56:57], v[36:37], v[56:57], 0x3f81111111110bb3
	s_delay_alu instid0(VALU_DEP_1) | instskip(SKIP_2) | instid1(VALU_DEP_2)
	v_fmac_f64_e32 v[60:61], v[62:63], v[56:57]
	v_fmamk_f64 v[56:57], v[12:13], 0xbda907db46cc5e42, v[30:31]
	v_fma_f64 v[10:11], v[2:3], -v[10:11], v[38:39]
	v_fmaak_f64 v[38:39], v[12:13], v[56:57], 0xbe927e4fa17f65f6
	v_add_f64_e64 v[2:3], v[2:3], -v[52:53]
	v_fmamk_f64 v[56:57], v[36:37], 0xbda907db46cc5e42, v[30:31]
	s_delay_alu instid0(VALU_DEP_3) | instskip(NEXT) | instid1(VALU_DEP_1)
	v_fmaak_f64 v[38:39], v[12:13], v[38:39], 0x3efa01a019f4ec90
	v_fmaak_f64 v[38:39], v[12:13], v[38:39], 0xbf56c16c16c16967
	s_delay_alu instid0(VALU_DEP_1) | instskip(SKIP_2) | instid1(VALU_DEP_3)
	v_fmaak_f64 v[12:13], v[12:13], v[38:39], 0x3fa5555555555555
	v_fma_f64 v[60:61], v[36:37], v[60:61], -v[44:45]
	v_fmaak_f64 v[38:39], v[36:37], v[56:57], 0xbe927e4fa17f65f6
	v_fmac_f64_e32 v[10:11], v[58:59], v[12:13]
	s_delay_alu instid0(VALU_DEP_2) | instskip(SKIP_1) | instid1(VALU_DEP_2)
	v_fmaak_f64 v[12:13], v[36:37], v[38:39], 0x3efa01a019f4ec90
	v_xor_b32_e32 v3, 0x80000000, v3
	v_fmaak_f64 v[12:13], v[36:37], v[12:13], 0xbf56c16c16c16967
	s_delay_alu instid0(VALU_DEP_1) | instskip(SKIP_2) | instid1(VALU_DEP_1)
	v_fmaak_f64 v[12:13], v[36:37], v[12:13], 0x3fa5555555555555
	v_fmac_f64_e32 v[60:61], 0xbfc5555555555555, v[62:63]
	v_add_f64_e32 v[10:11], v[46:47], v[10:11]
	v_dual_mul_f64 v[40:41], 0.5, v[36:37] :: v_dual_cndmask_b32 v3, v3, v11, vcc_lo
	s_delay_alu instid0(VALU_DEP_1) | instskip(NEXT) | instid1(VALU_DEP_3)
	v_add_f64_e64 v[50:51], -v[40:41], 1.0
	v_dual_cndmask_b32 v2, v2, v10, vcc_lo :: v_dual_lshlrev_b32 v10, 30, v49
	s_delay_alu instid0(VALU_DEP_3) | instskip(NEXT) | instid1(VALU_DEP_2)
	v_bitop3_b32 v1, v3, v1, 0x80000000 bitop3:0x78
	v_xor_b32_e32 v4, v10, v5
	s_delay_alu instid0(VALU_DEP_2) | instskip(SKIP_1) | instid1(VALU_DEP_1)
	v_cndmask_b32_e64 v11, 0x7ff80000, v1, s2
	v_add_f64_e64 v[64:65], -v[50:51], 1.0
	v_add_f64_e64 v[40:41], v[64:65], -v[40:41]
	v_mul_f64_e32 v[64:65], v[36:37], v[36:37]
	s_delay_alu instid0(VALU_DEP_2) | instskip(NEXT) | instid1(VALU_DEP_1)
	v_fma_f64 v[40:41], v[42:43], -v[44:45], v[40:41]
	v_fmac_f64_e32 v[40:41], v[64:65], v[12:13]
	v_add_f64_e64 v[12:13], v[42:43], -v[60:61]
	s_delay_alu instid0(VALU_DEP_2) | instskip(NEXT) | instid1(VALU_DEP_1)
	v_add_f64_e32 v[36:37], v[50:51], v[40:41]
	v_dual_cndmask_b32 v10, v37, v13, s3 :: v_dual_cndmask_b32 v5, v36, v12, s3
	s_delay_alu instid0(VALU_DEP_1) | instskip(NEXT) | instid1(VALU_DEP_2)
	v_bitop3_b32 v3, v10, v4, 0x80000000 bitop3:0x78
	v_dual_cndmask_b32 v10, 0, v2, s2 :: v_dual_cndmask_b32 v12, 0, v5, s2
	s_delay_alu instid0(VALU_DEP_2)
	v_cndmask_b32_e64 v13, 0x7ff80000, v3, s2
.LBB131_177:                            ;   in Loop: Header=BB131_4 Depth=1
	s_or_b32 exec_lo, exec_lo, s4
                                        ; implicit-def: $vgpr2_vgpr3
.LBB131_178:                            ;   in Loop: Header=BB131_4 Depth=1
	s_and_not1_saveexec_b32 s3, s29
	s_cbranch_execz .LBB131_3
; %bb.179:                              ;   in Loop: Header=BB131_4 Depth=1
	v_mul_f64_e32 v[10:11], 0x3ff71547652b82fe, v[2:3]
	v_cmp_nlt_f64_e32 vcc_lo, 0x40900000, v[2:3]
	v_cmp_ngt_f64_e64 s2, 0xc090cc00, v[2:3]
	s_delay_alu instid0(VALU_DEP_3) | instskip(NEXT) | instid1(VALU_DEP_1)
	v_rndne_f64_e32 v[10:11], v[10:11]
	v_fmamk_f64 v[12:13], v[10:11], 0xbfe62e42fefa39ef, v[2:3]
	v_cvt_i32_f64_e32 v1, v[10:11]
	s_delay_alu instid0(VALU_DEP_2) | instskip(NEXT) | instid1(VALU_DEP_1)
	v_fmac_f64_e32 v[12:13], 0xbc7abc9e3b39803f, v[10:11]
	v_fmamk_f64 v[36:37], v[12:13], 0x3e5ade156a5dcb37, v[28:29]
	s_delay_alu instid0(VALU_DEP_1) | instskip(NEXT) | instid1(VALU_DEP_1)
	v_fmaak_f64 v[36:37], v[12:13], v[36:37], 0x3ec71dee623fde64
	v_fmaak_f64 v[36:37], v[12:13], v[36:37], 0x3efa01997c89e6b0
	s_delay_alu instid0(VALU_DEP_1) | instskip(NEXT) | instid1(VALU_DEP_1)
	v_fmaak_f64 v[36:37], v[12:13], v[36:37], 0x3f2a01a014761f6e
	v_fmaak_f64 v[36:37], v[12:13], v[36:37], 0x3f56c16c1852b7b0
	;; [unrolled: 3-line block ×4, first 2 shown]
	s_delay_alu instid0(VALU_DEP_1) | instskip(NEXT) | instid1(VALU_DEP_1)
	v_fma_f64 v[36:37], v[12:13], v[36:37], 1.0
	v_fma_f64 v[10:11], v[12:13], v[36:37], 1.0
	v_mov_b64_e32 v[12:13], v[4:5]
	s_delay_alu instid0(VALU_DEP_2) | instskip(NEXT) | instid1(VALU_DEP_1)
	v_ldexp_f64 v[10:11], v[10:11], v1
	v_cndmask_b32_e32 v1, 0x7ff00000, v11, vcc_lo
	s_and_b32 vcc_lo, s2, vcc_lo
	s_delay_alu instid0(VALU_DEP_1) | instid1(SALU_CYCLE_1)
	v_dual_cndmask_b32 v10, 0, v10, vcc_lo :: v_dual_cndmask_b32 v11, 0, v1, s2
	s_branch .LBB131_3
.LBB131_180:
	s_or_b32 exec_lo, exec_lo, s26
	s_mov_b32 s2, 0
.LBB131_181:
	s_delay_alu instid0(SALU_CYCLE_1)
	s_and_not1_b32 vcc_lo, exec_lo, s2
	s_cbranch_vccnz .LBB131_377
; %bb.182:
	v_cmp_lt_i64_e64 s2, s[6:7], 1
	s_and_b32 vcc_lo, exec_lo, s2
	s_cbranch_vccnz .LBB131_377
; %bb.183:
	v_min_i64 v[22:23], 0x10000, s[6:7]
	v_min_u64 v[24:25], 0x10000, s[6:7]
	s_load_b32 s0, s[0:1], 0xc5c
	v_mov_b32_e32 v26, 0
	v_mov_b64_e32 v[28:29], 0x3e928af3fca7ab0c
	v_mov_b64_e32 v[30:31], 0x3e21eeb69037ab78
	v_mov_b64_e32 v[32:33], 0xbe5ae600b42fdfa7
	s_mov_b32 s13, 0
	v_mov_b32_e32 v1, v26
	s_mov_b64 s[14:15], 0x3ff921fb54442d18
	s_mov_b64 s[16:17], 0x3fe45f306dc9c883
	s_mov_b32 s19, s13
	s_mov_b64 s[22:23], 0xbff921fb54442d18
	s_mov_b32 s21, s13
	s_mov_b32 s25, s13
	s_mov_b64 s[26:27], 0
	s_mov_b32 s28, 0xfffff
                                        ; implicit-def: $vgpr2_vgpr3
                                        ; implicit-def: $vgpr2_vgpr3
	;; [unrolled: 1-line block ×15, first 2 shown]
	s_wait_kmcnt 0x0
	s_and_b32 s12, s0, 0xffff
	s_delay_alu instid0(SALU_CYCLE_1)
	s_lshl_b32 s18, s12, 1
	s_mul_i32 s20, s12, 3
	s_lshl_b32 s24, s12, 2
	s_branch .LBB131_185
.LBB131_184:                            ;   in Loop: Header=BB131_185 Depth=1
	s_wait_xcnt 0x0
	s_or_b32 exec_lo, exec_lo, s0
	s_add_nc_u64 s[26:27], s[26:27], s[24:25]
	s_delay_alu instid0(SALU_CYCLE_1)
	v_cmp_ge_i64_e32 vcc_lo, s[26:27], v[22:23]
	s_cbranch_vccnz .LBB131_377
.LBB131_185:                            ; =>This Inner Loop Header: Depth=1
	v_add_nc_u64_e32 v[34:35], s[26:27], v[0:1]
	v_mov_b64_e32 v[20:21], 0
	v_mov_b64_e32 v[16:17], 0
	;; [unrolled: 1-line block ×3, first 2 shown]
	s_delay_alu instid0(VALU_DEP_4)
	v_cmp_lt_u64_e32 vcc_lo, v[34:35], v[24:25]
	s_and_saveexec_b32 s0, vcc_lo
	s_cbranch_execz .LBB131_187
; %bb.186:                              ;   in Loop: Header=BB131_185 Depth=1
	v_lshl_add_u64 v[2:3], v[34:35], 4, s[8:9]
	global_load_b128 v[14:17], v[2:3], off
.LBB131_187:                            ;   in Loop: Header=BB131_185 Depth=1
	s_wait_xcnt 0x0
	s_or_b32 exec_lo, exec_lo, s0
	v_add_nc_u64_e32 v[36:37], s[12:13], v[34:35]
	v_mov_b64_e32 v[18:19], 0
	s_delay_alu instid0(VALU_DEP_2)
	v_cmp_lt_u64_e64 s0, v[36:37], v[24:25]
	s_and_saveexec_b32 s1, s0
	s_cbranch_execz .LBB131_189
; %bb.188:                              ;   in Loop: Header=BB131_185 Depth=1
	v_lshl_add_u64 v[2:3], v[36:37], 4, s[8:9]
	global_load_b128 v[18:21], v[2:3], off
.LBB131_189:                            ;   in Loop: Header=BB131_185 Depth=1
	s_wait_xcnt 0x0
	s_or_b32 exec_lo, exec_lo, s1
	v_add_nc_u64_e32 v[38:39], s[18:19], v[34:35]
	v_mov_b64_e32 v[4:5], 0
	v_mov_b64_e32 v[12:13], 0
	;; [unrolled: 1-line block ×3, first 2 shown]
	s_delay_alu instid0(VALU_DEP_4)
	v_cmp_lt_u64_e64 s1, v[38:39], v[24:25]
	s_and_saveexec_b32 s2, s1
	s_cbranch_execz .LBB131_191
; %bb.190:                              ;   in Loop: Header=BB131_185 Depth=1
	v_lshl_add_u64 v[2:3], v[38:39], 4, s[8:9]
	global_load_b128 v[10:13], v[2:3], off
.LBB131_191:                            ;   in Loop: Header=BB131_185 Depth=1
	s_wait_xcnt 0x0
	s_or_b32 exec_lo, exec_lo, s2
	v_add_nc_u64_e32 v[40:41], s[20:21], v[34:35]
	v_mov_b64_e32 v[2:3], 0
	s_delay_alu instid0(VALU_DEP_2)
	v_cmp_lt_u64_e64 s2, v[40:41], v[24:25]
	s_and_saveexec_b32 s3, s2
	s_cbranch_execz .LBB131_193
; %bb.192:                              ;   in Loop: Header=BB131_185 Depth=1
	v_lshl_add_u64 v[2:3], v[40:41], 4, s[8:9]
	global_load_b128 v[2:5], v[2:3], off
.LBB131_193:                            ;   in Loop: Header=BB131_185 Depth=1
	s_wait_xcnt 0x0
	s_or_b32 exec_lo, exec_lo, s3
	s_wait_loadcnt 0x0
	v_and_b32_e32 v46, 0x7fffffff, v17
	s_delay_alu instid0(VALU_DEP_1) | instskip(NEXT) | instid1(VALU_DEP_1)
	v_or_b32_e32 v6, v46, v16
	v_cmp_ne_u32_e64 s3, 0, v6
                                        ; implicit-def: $vgpr8_vgpr9
	s_and_saveexec_b32 s4, s3
	s_delay_alu instid0(SALU_CYCLE_1)
	s_xor_b32 s29, exec_lo, s4
	s_cbranch_execz .LBB131_234
; %bb.194:                              ;   in Loop: Header=BB131_185 Depth=1
	v_and_b32_e32 v27, 0x7fffffff, v15
	s_delay_alu instid0(VALU_DEP_1) | instskip(NEXT) | instid1(VALU_DEP_1)
	v_or_b32_e32 v6, v27, v14
	v_cmp_ne_u32_e64 s3, 0, v6
                                        ; implicit-def: $vgpr8_vgpr9
	s_and_saveexec_b32 s4, s3
	s_delay_alu instid0(SALU_CYCLE_1)
	s_xor_b32 s30, exec_lo, s4
	s_cbranch_execz .LBB131_223
; %bb.195:                              ;   in Loop: Header=BB131_185 Depth=1
                                        ; implicit-def: $vgpr8_vgpr9
	s_mov_b32 s4, exec_lo
	v_cmpx_gt_u32_e32 0x7ff00000, v46
	s_xor_b32 s31, exec_lo, s4
	s_cbranch_execz .LBB131_216
; %bb.196:                              ;   in Loop: Header=BB131_185 Depth=1
	v_add_nc_u32_e32 v6, 0xbf79d1be, v15
	s_delay_alu instid0(VALU_DEP_1) | instskip(SKIP_1) | instid1(SALU_CYCLE_1)
	v_cmp_lt_u32_e64 s3, 0x108aa2, v6
                                        ; implicit-def: $vgpr8_vgpr9
	s_and_saveexec_b32 s4, s3
	s_xor_b32 s33, exec_lo, s4
	s_cbranch_execz .LBB131_206
; %bb.197:                              ;   in Loop: Header=BB131_185 Depth=1
	v_cmp_ngt_f64_e64 s4, 0x41d00000, |v[16:17]|
                                        ; implicit-def: $vgpr47
                                        ; implicit-def: $vgpr6_vgpr7
                                        ; implicit-def: $vgpr8_vgpr9
	s_and_saveexec_b32 s3, s4
	s_delay_alu instid0(SALU_CYCLE_1)
	s_xor_b32 s5, exec_lo, s3
	s_cbranch_execz .LBB131_199
; %bb.198:                              ;   in Loop: Header=BB131_185 Depth=1
	v_ldexp_f64 v[6:7], |v[16:17]|, 0xffffff80
	v_cmp_le_f64_e64 s3, 0x7b000000, |v[16:17]|
	v_trig_preop_f64 v[8:9], |v[16:17]|, 0
	v_trig_preop_f64 v[42:43], |v[16:17]|, 1
	;; [unrolled: 1-line block ×3, first 2 shown]
	s_delay_alu instid0(VALU_DEP_4) | instskip(NEXT) | instid1(VALU_DEP_1)
	v_dual_cndmask_b32 v7, v46, v7, s3 :: v_dual_cndmask_b32 v6, v16, v6, s3
	v_mul_f64_e32 v[44:45], v[8:9], v[6:7]
	s_delay_alu instid0(VALU_DEP_4) | instskip(NEXT) | instid1(VALU_DEP_4)
	v_mul_f64_e32 v[48:49], v[42:43], v[6:7]
	v_mul_f64_e32 v[60:61], v[54:55], v[6:7]
	s_delay_alu instid0(VALU_DEP_3) | instskip(NEXT) | instid1(VALU_DEP_3)
	v_fma_f64 v[8:9], v[8:9], v[6:7], -v[44:45]
	v_fma_f64 v[42:43], v[42:43], v[6:7], -v[48:49]
	s_delay_alu instid0(VALU_DEP_3) | instskip(NEXT) | instid1(VALU_DEP_3)
	v_fma_f64 v[6:7], v[54:55], v[6:7], -v[60:61]
	v_add_f64_e32 v[50:51], v[48:49], v[8:9]
	s_delay_alu instid0(VALU_DEP_1) | instskip(SKIP_1) | instid1(VALU_DEP_2)
	v_add_f64_e64 v[52:53], v[50:51], -v[48:49]
	v_add_f64_e32 v[58:59], v[44:45], v[50:51]
	v_add_f64_e64 v[56:57], v[50:51], -v[52:53]
	v_add_f64_e64 v[8:9], v[8:9], -v[52:53]
	s_delay_alu instid0(VALU_DEP_3) | instskip(NEXT) | instid1(VALU_DEP_3)
	v_ldexp_f64 v[52:53], v[58:59], -2
	v_add_f64_e64 v[48:49], v[48:49], -v[56:57]
	v_add_f64_e32 v[56:57], v[60:61], v[42:43]
	s_delay_alu instid0(VALU_DEP_3) | instskip(NEXT) | instid1(VALU_DEP_3)
	v_cmp_neq_f64_e64 s3, 0x7ff00000, |v[52:53]|
	v_add_f64_e32 v[8:9], v[8:9], v[48:49]
	v_fract_f64_e32 v[48:49], v[52:53]
	s_delay_alu instid0(VALU_DEP_1) | instskip(NEXT) | instid1(VALU_DEP_1)
	v_ldexp_f64 v[48:49], v[48:49], 2
	v_cndmask_b32_e64 v49, 0, v49, s3
	v_add_f64_e64 v[44:45], v[58:59], -v[44:45]
	s_delay_alu instid0(VALU_DEP_3) | instskip(NEXT) | instid1(VALU_DEP_2)
	v_cndmask_b32_e64 v48, 0, v48, s3
	v_add_f64_e64 v[44:45], v[50:51], -v[44:45]
	v_add_f64_e32 v[50:51], v[56:57], v[8:9]
	s_delay_alu instid0(VALU_DEP_1) | instskip(SKIP_1) | instid1(VALU_DEP_2)
	v_add_f64_e32 v[52:53], v[44:45], v[50:51]
	v_add_f64_e64 v[62:63], v[50:51], -v[56:57]
	v_add_f64_e32 v[58:59], v[52:53], v[48:49]
	s_delay_alu instid0(VALU_DEP_2) | instskip(SKIP_2) | instid1(VALU_DEP_4)
	v_add_f64_e64 v[68:69], v[50:51], -v[62:63]
	v_add_f64_e64 v[8:9], v[8:9], -v[62:63]
	;; [unrolled: 1-line block ×3, first 2 shown]
	v_cmp_gt_f64_e64 s3, 0, v[58:59]
	v_add_f64_e64 v[58:59], v[56:57], -v[60:61]
	s_delay_alu instid0(VALU_DEP_3) | instskip(NEXT) | instid1(VALU_DEP_3)
	v_add_f64_e64 v[44:45], v[50:51], -v[44:45]
	v_cndmask_b32_e64 v27, 0, 0x40100000, s3
	s_delay_alu instid0(VALU_DEP_3) | instskip(SKIP_2) | instid1(VALU_DEP_4)
	v_add_f64_e64 v[66:67], v[56:57], -v[58:59]
	v_add_f64_e64 v[42:43], v[42:43], -v[58:59]
	;; [unrolled: 1-line block ×3, first 2 shown]
	v_add_f64_e32 v[48:49], v[48:49], v[26:27]
	s_delay_alu instid0(VALU_DEP_4) | instskip(NEXT) | instid1(VALU_DEP_3)
	v_add_f64_e64 v[58:59], v[60:61], -v[66:67]
	v_add_f64_e32 v[8:9], v[8:9], v[56:57]
	s_delay_alu instid0(VALU_DEP_3) | instskip(NEXT) | instid1(VALU_DEP_3)
	v_add_f64_e32 v[64:65], v[52:53], v[48:49]
	v_add_f64_e32 v[42:43], v[42:43], v[58:59]
	s_delay_alu instid0(VALU_DEP_2) | instskip(NEXT) | instid1(VALU_DEP_2)
	v_cvt_i32_f64_e32 v27, v[64:65]
	v_add_f64_e32 v[8:9], v[42:43], v[8:9]
	s_delay_alu instid0(VALU_DEP_2) | instskip(NEXT) | instid1(VALU_DEP_2)
	v_cvt_f64_i32_e32 v[62:63], v27
	v_add_f64_e32 v[6:7], v[6:7], v[8:9]
	s_delay_alu instid0(VALU_DEP_2) | instskip(NEXT) | instid1(VALU_DEP_2)
	v_add_f64_e64 v[48:49], v[48:49], -v[62:63]
	v_add_f64_e32 v[6:7], v[44:45], v[6:7]
	s_delay_alu instid0(VALU_DEP_2) | instskip(NEXT) | instid1(VALU_DEP_1)
	v_add_f64_e32 v[42:43], v[52:53], v[48:49]
	v_add_f64_e64 v[8:9], v[42:43], -v[48:49]
	v_cmp_le_f64_e64 s3, 0.5, v[42:43]
	s_delay_alu instid0(VALU_DEP_2) | instskip(NEXT) | instid1(VALU_DEP_2)
	v_add_f64_e64 v[8:9], v[52:53], -v[8:9]
	v_add_co_ci_u32_e64 v47, null, 0, v27, s3
	v_cndmask_b32_e64 v27, 0, 0x3ff00000, s3
	s_delay_alu instid0(VALU_DEP_3) | instskip(NEXT) | instid1(VALU_DEP_2)
	v_add_f64_e32 v[6:7], v[6:7], v[8:9]
	v_add_f64_e64 v[8:9], v[42:43], -v[26:27]
	s_delay_alu instid0(VALU_DEP_1) | instskip(NEXT) | instid1(VALU_DEP_1)
	v_add_f64_e32 v[42:43], v[8:9], v[6:7]
	v_mul_f64_e32 v[44:45], 0x3ff921fb54442d18, v[42:43]
	v_add_f64_e64 v[8:9], v[42:43], -v[8:9]
	s_delay_alu instid0(VALU_DEP_2) | instskip(NEXT) | instid1(VALU_DEP_2)
	v_fma_f64 v[48:49], v[42:43], s[14:15], -v[44:45]
	v_add_f64_e64 v[6:7], v[6:7], -v[8:9]
	s_delay_alu instid0(VALU_DEP_2) | instskip(NEXT) | instid1(VALU_DEP_1)
	v_fmac_f64_e32 v[48:49], 0x3c91a62633145c07, v[42:43]
	v_fmac_f64_e32 v[48:49], 0x3ff921fb54442d18, v[6:7]
	s_delay_alu instid0(VALU_DEP_1) | instskip(NEXT) | instid1(VALU_DEP_1)
	v_add_f64_e32 v[6:7], v[44:45], v[48:49]
	v_add_f64_e64 v[8:9], v[6:7], -v[44:45]
	s_delay_alu instid0(VALU_DEP_1)
	v_add_f64_e64 v[8:9], v[48:49], -v[8:9]
	s_and_not1_saveexec_b32 s3, s5
	s_cbranch_execz .LBB131_201
	s_branch .LBB131_200
.LBB131_199:                            ;   in Loop: Header=BB131_185 Depth=1
	s_and_not1_saveexec_b32 s3, s5
	s_cbranch_execz .LBB131_201
.LBB131_200:                            ;   in Loop: Header=BB131_185 Depth=1
	v_mul_f64_e64 v[6:7], |v[16:17]|, s[16:17]
	s_delay_alu instid0(VALU_DEP_1) | instskip(NEXT) | instid1(VALU_DEP_1)
	v_rndne_f64_e32 v[42:43], v[6:7]
	v_fma_f64 v[6:7], v[42:43], s[22:23], |v[16:17]|
	v_mul_f64_e32 v[8:9], 0xbc91a62633145c00, v[42:43]
	v_cvt_i32_f64_e32 v47, v[42:43]
	s_delay_alu instid0(VALU_DEP_3) | instskip(NEXT) | instid1(VALU_DEP_3)
	v_fmamk_f64 v[50:51], v[42:43], 0xbc91a62633145c00, v[6:7]
	v_add_f64_e32 v[44:45], v[6:7], v[8:9]
	s_delay_alu instid0(VALU_DEP_1) | instskip(NEXT) | instid1(VALU_DEP_3)
	v_add_f64_e64 v[48:49], v[6:7], -v[44:45]
	v_add_f64_e64 v[6:7], v[44:45], -v[50:51]
	s_delay_alu instid0(VALU_DEP_2) | instskip(SKIP_1) | instid1(VALU_DEP_2)
	v_add_f64_e32 v[44:45], v[48:49], v[8:9]
	v_fmamk_f64 v[8:9], v[42:43], 0x3c91a62633145c00, v[8:9]
	v_add_f64_e32 v[6:7], v[6:7], v[44:45]
	s_delay_alu instid0(VALU_DEP_1) | instskip(NEXT) | instid1(VALU_DEP_1)
	v_add_f64_e64 v[8:9], v[6:7], -v[8:9]
	v_fmac_f64_e32 v[8:9], 0xb97b839a252049c0, v[42:43]
	s_delay_alu instid0(VALU_DEP_1) | instskip(NEXT) | instid1(VALU_DEP_1)
	v_add_f64_e32 v[6:7], v[50:51], v[8:9]
	v_add_f64_e64 v[44:45], v[6:7], -v[50:51]
	s_delay_alu instid0(VALU_DEP_1)
	v_add_f64_e64 v[8:9], v[8:9], -v[44:45]
.LBB131_201:                            ;   in Loop: Header=BB131_185 Depth=1
	s_or_b32 exec_lo, exec_lo, s3
                                        ; implicit-def: $vgpr48
                                        ; implicit-def: $vgpr42_vgpr43
                                        ; implicit-def: $vgpr44_vgpr45
	s_and_saveexec_b32 s3, s4
	s_delay_alu instid0(SALU_CYCLE_1)
	s_xor_b32 s4, exec_lo, s3
	s_cbranch_execz .LBB131_203
; %bb.202:                              ;   in Loop: Header=BB131_185 Depth=1
	v_ldexp_f64 v[42:43], |v[16:17]|, 0xffffff80
	v_cmp_le_f64_e64 s3, 0x7b000000, |v[16:17]|
	v_trig_preop_f64 v[44:45], |v[16:17]|, 0
	v_trig_preop_f64 v[48:49], |v[16:17]|, 1
	;; [unrolled: 1-line block ×3, first 2 shown]
	s_delay_alu instid0(VALU_DEP_4) | instskip(NEXT) | instid1(VALU_DEP_1)
	v_dual_cndmask_b32 v43, v46, v43, s3 :: v_dual_cndmask_b32 v42, v16, v42, s3
	v_mul_f64_e32 v[50:51], v[44:45], v[42:43]
	s_delay_alu instid0(VALU_DEP_4) | instskip(NEXT) | instid1(VALU_DEP_4)
	v_mul_f64_e32 v[52:53], v[48:49], v[42:43]
	v_mul_f64_e32 v[64:65], v[58:59], v[42:43]
	s_delay_alu instid0(VALU_DEP_3) | instskip(NEXT) | instid1(VALU_DEP_3)
	v_fma_f64 v[44:45], v[44:45], v[42:43], -v[50:51]
	v_fma_f64 v[48:49], v[48:49], v[42:43], -v[52:53]
	s_delay_alu instid0(VALU_DEP_3) | instskip(NEXT) | instid1(VALU_DEP_3)
	v_fma_f64 v[42:43], v[58:59], v[42:43], -v[64:65]
	v_add_f64_e32 v[54:55], v[52:53], v[44:45]
	s_delay_alu instid0(VALU_DEP_1) | instskip(SKIP_1) | instid1(VALU_DEP_2)
	v_add_f64_e64 v[56:57], v[54:55], -v[52:53]
	v_add_f64_e32 v[62:63], v[50:51], v[54:55]
	v_add_f64_e64 v[60:61], v[54:55], -v[56:57]
	v_add_f64_e64 v[44:45], v[44:45], -v[56:57]
	s_delay_alu instid0(VALU_DEP_3) | instskip(NEXT) | instid1(VALU_DEP_3)
	v_ldexp_f64 v[56:57], v[62:63], -2
	v_add_f64_e64 v[52:53], v[52:53], -v[60:61]
	v_add_f64_e32 v[60:61], v[64:65], v[48:49]
	s_delay_alu instid0(VALU_DEP_3) | instskip(NEXT) | instid1(VALU_DEP_3)
	v_cmp_neq_f64_e64 s3, 0x7ff00000, |v[56:57]|
	v_add_f64_e32 v[44:45], v[44:45], v[52:53]
	v_fract_f64_e32 v[52:53], v[56:57]
	s_delay_alu instid0(VALU_DEP_1) | instskip(NEXT) | instid1(VALU_DEP_1)
	v_ldexp_f64 v[52:53], v[52:53], 2
	v_dual_add_f64 v[50:51], v[62:63], -v[50:51] :: v_dual_cndmask_b32 v53, 0, v53, s3
	s_delay_alu instid0(VALU_DEP_1) | instskip(SKIP_1) | instid1(VALU_DEP_1)
	v_dual_add_f64 v[50:51], v[54:55], -v[50:51] :: v_dual_cndmask_b32 v52, 0, v52, s3
	v_add_f64_e32 v[54:55], v[60:61], v[44:45]
	v_add_f64_e32 v[56:57], v[50:51], v[54:55]
	v_add_f64_e64 v[66:67], v[54:55], -v[60:61]
	s_delay_alu instid0(VALU_DEP_2) | instskip(NEXT) | instid1(VALU_DEP_2)
	v_add_f64_e32 v[62:63], v[56:57], v[52:53]
	v_add_f64_e64 v[72:73], v[54:55], -v[66:67]
	v_add_f64_e64 v[44:45], v[44:45], -v[66:67]
	;; [unrolled: 1-line block ×3, first 2 shown]
	s_delay_alu instid0(VALU_DEP_4) | instskip(SKIP_1) | instid1(VALU_DEP_2)
	v_cmp_gt_f64_e64 s3, 0, v[62:63]
	v_add_f64_e64 v[62:63], v[60:61], -v[64:65]
	v_cndmask_b32_e64 v27, 0, 0x40100000, s3
	s_delay_alu instid0(VALU_DEP_2) | instskip(SKIP_2) | instid1(VALU_DEP_4)
	v_add_f64_e64 v[70:71], v[60:61], -v[62:63]
	v_add_f64_e64 v[48:49], v[48:49], -v[62:63]
	;; [unrolled: 1-line block ×3, first 2 shown]
	v_add_f64_e32 v[52:53], v[52:53], v[26:27]
	s_delay_alu instid0(VALU_DEP_4) | instskip(NEXT) | instid1(VALU_DEP_3)
	v_add_f64_e64 v[62:63], v[64:65], -v[70:71]
	v_add_f64_e32 v[44:45], v[44:45], v[60:61]
	s_delay_alu instid0(VALU_DEP_3) | instskip(NEXT) | instid1(VALU_DEP_3)
	v_add_f64_e32 v[68:69], v[56:57], v[52:53]
	v_add_f64_e32 v[48:49], v[48:49], v[62:63]
	s_delay_alu instid0(VALU_DEP_2) | instskip(NEXT) | instid1(VALU_DEP_2)
	v_cvt_i32_f64_e32 v27, v[68:69]
	v_add_f64_e32 v[44:45], v[48:49], v[44:45]
	v_add_f64_e64 v[48:49], v[54:55], -v[50:51]
	s_delay_alu instid0(VALU_DEP_3) | instskip(NEXT) | instid1(VALU_DEP_3)
	v_cvt_f64_i32_e32 v[66:67], v27
	v_add_f64_e32 v[42:43], v[42:43], v[44:45]
	s_delay_alu instid0(VALU_DEP_2) | instskip(NEXT) | instid1(VALU_DEP_2)
	v_add_f64_e64 v[52:53], v[52:53], -v[66:67]
	v_add_f64_e32 v[42:43], v[48:49], v[42:43]
	s_delay_alu instid0(VALU_DEP_2) | instskip(NEXT) | instid1(VALU_DEP_1)
	v_add_f64_e32 v[58:59], v[56:57], v[52:53]
	v_add_f64_e64 v[44:45], v[58:59], -v[52:53]
	v_cmp_le_f64_e64 s3, 0.5, v[58:59]
	s_delay_alu instid0(VALU_DEP_2) | instskip(NEXT) | instid1(VALU_DEP_2)
	v_add_f64_e64 v[44:45], v[56:57], -v[44:45]
	v_add_co_ci_u32_e64 v48, null, 0, v27, s3
	v_cndmask_b32_e64 v27, 0, 0x3ff00000, s3
	s_delay_alu instid0(VALU_DEP_3) | instskip(NEXT) | instid1(VALU_DEP_2)
	v_add_f64_e32 v[42:43], v[42:43], v[44:45]
	v_add_f64_e64 v[44:45], v[58:59], -v[26:27]
	s_delay_alu instid0(VALU_DEP_1) | instskip(NEXT) | instid1(VALU_DEP_1)
	v_add_f64_e32 v[50:51], v[44:45], v[42:43]
	v_mul_f64_e32 v[52:53], 0x3ff921fb54442d18, v[50:51]
	v_add_f64_e64 v[44:45], v[50:51], -v[44:45]
	s_delay_alu instid0(VALU_DEP_2) | instskip(NEXT) | instid1(VALU_DEP_2)
	v_fma_f64 v[54:55], v[50:51], s[14:15], -v[52:53]
	v_add_f64_e64 v[42:43], v[42:43], -v[44:45]
	s_delay_alu instid0(VALU_DEP_2) | instskip(NEXT) | instid1(VALU_DEP_1)
	v_fmac_f64_e32 v[54:55], 0x3c91a62633145c07, v[50:51]
	v_fmac_f64_e32 v[54:55], 0x3ff921fb54442d18, v[42:43]
	s_delay_alu instid0(VALU_DEP_1) | instskip(NEXT) | instid1(VALU_DEP_1)
	v_add_f64_e32 v[42:43], v[52:53], v[54:55]
	v_add_f64_e64 v[44:45], v[42:43], -v[52:53]
	s_delay_alu instid0(VALU_DEP_1)
	v_add_f64_e64 v[44:45], v[54:55], -v[44:45]
	s_and_not1_saveexec_b32 s3, s4
	s_cbranch_execnz .LBB131_204
	s_branch .LBB131_205
.LBB131_203:                            ;   in Loop: Header=BB131_185 Depth=1
	s_and_not1_saveexec_b32 s3, s4
	s_cbranch_execz .LBB131_205
.LBB131_204:                            ;   in Loop: Header=BB131_185 Depth=1
	v_mul_f64_e64 v[42:43], |v[16:17]|, s[16:17]
	s_delay_alu instid0(VALU_DEP_1) | instskip(NEXT) | instid1(VALU_DEP_1)
	v_rndne_f64_e32 v[48:49], v[42:43]
	v_fma_f64 v[42:43], v[48:49], s[22:23], |v[16:17]|
	v_mul_f64_e32 v[44:45], 0xbc91a62633145c00, v[48:49]
	s_delay_alu instid0(VALU_DEP_2) | instskip(NEXT) | instid1(VALU_DEP_2)
	v_fmamk_f64 v[54:55], v[48:49], 0xbc91a62633145c00, v[42:43]
	v_add_f64_e32 v[50:51], v[42:43], v[44:45]
	s_delay_alu instid0(VALU_DEP_1) | instskip(NEXT) | instid1(VALU_DEP_3)
	v_add_f64_e64 v[52:53], v[42:43], -v[50:51]
	v_add_f64_e64 v[42:43], v[50:51], -v[54:55]
	s_delay_alu instid0(VALU_DEP_2) | instskip(SKIP_1) | instid1(VALU_DEP_2)
	v_add_f64_e32 v[50:51], v[52:53], v[44:45]
	v_fmamk_f64 v[44:45], v[48:49], 0x3c91a62633145c00, v[44:45]
	v_add_f64_e32 v[42:43], v[42:43], v[50:51]
	s_delay_alu instid0(VALU_DEP_1) | instskip(NEXT) | instid1(VALU_DEP_1)
	v_add_f64_e64 v[44:45], v[42:43], -v[44:45]
	v_fmac_f64_e32 v[44:45], 0xb97b839a252049c0, v[48:49]
	v_cvt_i32_f64_e32 v48, v[48:49]
	s_delay_alu instid0(VALU_DEP_2) | instskip(NEXT) | instid1(VALU_DEP_1)
	v_add_f64_e32 v[42:43], v[54:55], v[44:45]
	v_add_f64_e64 v[50:51], v[42:43], -v[54:55]
	s_delay_alu instid0(VALU_DEP_1)
	v_add_f64_e64 v[44:45], v[44:45], -v[50:51]
.LBB131_205:                            ;   in Loop: Header=BB131_185 Depth=1
	s_or_b32 exec_lo, exec_lo, s3
	v_mul_f64_e32 v[50:51], 0x3ff71547652b82fe, v[14:15]
	v_mul_f64_e32 v[52:53], v[6:7], v[6:7]
	v_cmp_nlt_f64_e64 s5, 0x40900000, v[14:15]
	v_cmp_ngt_f64_e64 s6, 0xc090cc00, v[14:15]
	v_mul_f64_e32 v[54:55], v[42:43], v[42:43]
	v_mul_f64_e32 v[66:67], 0.5, v[8:9]
	v_cmp_class_f64_e64 s4, v[16:17], 0x1f8
                                        ; implicit-def: $vgpr46
	v_rndne_f64_e32 v[50:51], v[50:51]
	s_delay_alu instid0(VALU_DEP_1) | instskip(SKIP_4) | instid1(VALU_DEP_4)
	v_fmamk_f64 v[60:61], v[50:51], 0xbfe62e42fefa39ef, v[14:15]
	v_and_b32_e32 v14, 1, v48
	v_mul_f64_e32 v[56:57], 0.5, v[52:53]
	v_fmamk_f64 v[72:73], v[52:53], 0x3de5e0b2f9a43bb8, v[32:33]
	v_dual_mul_f64 v[78:79], v[42:43], -v[54:55] :: v_dual_lshlrev_b32 v15, 30, v48
	v_cmp_eq_u32_e64 s7, 0, v14
	v_fmac_f64_e32 v[60:61], 0xbc7abc9e3b39803f, v[50:51]
	v_mul_f64_e64 v[68:69], v[6:7], -v[52:53]
	v_mul_f64_e32 v[76:77], 0.5, v[44:45]
	v_fmaak_f64 v[72:73], v[52:53], v[72:73], 0x3ec71de3796cde01
	v_lshlrev_b32_e32 v14, 30, v47
	v_fmamk_f64 v[82:83], v[54:55], 0x3de5e0b2f9a43bb8, v[32:33]
	v_cvt_i32_f64_e32 v27, v[50:51]
	s_delay_alu instid0(VALU_DEP_4) | instskip(NEXT) | instid1(VALU_DEP_1)
	v_fmaak_f64 v[72:73], v[52:53], v[72:73], 0xbf2a01a019e83e5c
	v_fmaak_f64 v[72:73], v[52:53], v[72:73], 0x3f81111111110bb3
	v_add_f64_e64 v[62:63], -v[56:57], 1.0
	v_fmamk_f64 v[74:75], v[60:61], 0x3e5ade156a5dcb37, v[28:29]
	s_delay_alu instid0(VALU_DEP_3) | instskip(SKIP_1) | instid1(VALU_DEP_3)
	v_fmac_f64_e32 v[66:67], v[68:69], v[72:73]
	v_fmaak_f64 v[72:73], v[54:55], v[82:83], 0x3ec71de3796cde01
	v_fmaak_f64 v[74:75], v[60:61], v[74:75], 0x3ec71dee623fde64
	s_delay_alu instid0(VALU_DEP_2) | instskip(NEXT) | instid1(VALU_DEP_2)
	v_fmaak_f64 v[72:73], v[54:55], v[72:73], 0xbf2a01a019e83e5c
	v_fmaak_f64 v[74:75], v[60:61], v[74:75], 0x3efa01997c89e6b0
	s_delay_alu instid0(VALU_DEP_2) | instskip(NEXT) | instid1(VALU_DEP_2)
	v_fmaak_f64 v[72:73], v[54:55], v[72:73], 0x3f81111111110bb3
	v_fmaak_f64 v[74:75], v[60:61], v[74:75], 0x3f2a01a014761f6e
	s_delay_alu instid0(VALU_DEP_2) | instskip(SKIP_3) | instid1(VALU_DEP_2)
	v_fmac_f64_e32 v[76:77], v[78:79], v[72:73]
	v_fmamk_f64 v[72:73], v[52:53], 0xbda907db46cc5e42, v[30:31]
	v_add_f64_e64 v[70:71], -v[62:63], 1.0
	v_fma_f64 v[66:67], v[52:53], v[66:67], -v[8:9]
	v_add_f64_e64 v[56:57], v[70:71], -v[56:57]
	v_fmaak_f64 v[70:71], v[60:61], v[74:75], 0x3f56c16c1852b7b0
	v_mul_f64_e32 v[74:75], v[52:53], v[52:53]
	s_delay_alu instid0(VALU_DEP_4) | instskip(NEXT) | instid1(VALU_DEP_3)
	v_fmac_f64_e32 v[66:67], 0xbfc5555555555555, v[68:69]
	v_fmaak_f64 v[70:71], v[60:61], v[70:71], 0x3f81111111122322
	s_delay_alu instid0(VALU_DEP_1) | instskip(NEXT) | instid1(VALU_DEP_1)
	v_fmaak_f64 v[70:71], v[60:61], v[70:71], 0x3fa55555555502a1
	v_fmaak_f64 v[70:71], v[60:61], v[70:71], 0x3fc5555555555511
	s_delay_alu instid0(VALU_DEP_1) | instskip(SKIP_3) | instid1(VALU_DEP_4)
	v_fmaak_f64 v[70:71], v[60:61], v[70:71], 0x3fe000000000000b
	v_fma_f64 v[8:9], v[6:7], -v[8:9], v[56:57]
	v_fmaak_f64 v[56:57], v[52:53], v[72:73], 0xbe927e4fa17f65f6
	v_mul_f64_e32 v[72:73], v[54:55], v[54:55]
	v_fma_f64 v[70:71], v[60:61], v[70:71], 1.0
	v_add_f64_e64 v[6:7], v[6:7], -v[66:67]
	s_delay_alu instid0(VALU_DEP_4) | instskip(NEXT) | instid1(VALU_DEP_1)
	v_fmaak_f64 v[56:57], v[52:53], v[56:57], 0x3efa01a019f4ec90
	v_fmaak_f64 v[56:57], v[52:53], v[56:57], 0xbf56c16c16c16967
	s_delay_alu instid0(VALU_DEP_1) | instskip(NEXT) | instid1(VALU_DEP_1)
	v_fmaak_f64 v[52:53], v[52:53], v[56:57], 0x3fa5555555555555
	v_fmac_f64_e32 v[8:9], v[74:75], v[52:53]
	v_fma_f64 v[50:51], v[60:61], v[70:71], 1.0
	v_xor_b32_e32 v7, 0x80000000, v7
	s_delay_alu instid0(VALU_DEP_3) | instskip(NEXT) | instid1(VALU_DEP_3)
	v_add_f64_e32 v[8:9], v[62:63], v[8:9]
	v_ldexp_f64 v[50:51], v[50:51], v27
	v_and_b32_e32 v27, 1, v47
	s_delay_alu instid0(VALU_DEP_1) | instskip(NEXT) | instid1(VALU_DEP_1)
	v_cmp_eq_u32_e64 s3, 0, v27
	v_dual_mul_f64 v[58:59], 0.5, v[54:55] :: v_dual_cndmask_b32 v6, v6, v8, s3
	v_cndmask_b32_e64 v7, v7, v9, s3
	s_and_b32 s3, s6, s5
	v_fma_f64 v[56:57], v[54:55], v[76:77], -v[44:45]
	v_xor_b32_e32 v9, v15, v17
	v_cndmask_b32_e64 v8, 0x7ff00000, v51, s5
	v_cndmask_b32_e64 v6, 0, v6, s4
	v_bitop3_b32 v7, v7, v14, 0x80000000 bitop3:0x78
	v_add_f64_e64 v[64:65], -v[58:59], 1.0
	s_delay_alu instid0(VALU_DEP_2) | instskip(SKIP_1) | instid1(VALU_DEP_3)
	v_cndmask_b32_e64 v7, 0x7ff80000, v7, s4
	v_fmac_f64_e32 v[56:57], 0xbfc5555555555555, v[78:79]
	v_add_f64_e64 v[80:81], -v[64:65], 1.0
	s_delay_alu instid0(VALU_DEP_1) | instskip(SKIP_1) | instid1(VALU_DEP_2)
	v_add_f64_e64 v[58:59], v[80:81], -v[58:59]
	v_fmamk_f64 v[80:81], v[54:55], 0xbda907db46cc5e42, v[30:31]
	v_fma_f64 v[44:45], v[42:43], -v[44:45], v[58:59]
	s_delay_alu instid0(VALU_DEP_2) | instskip(SKIP_1) | instid1(VALU_DEP_2)
	v_fmaak_f64 v[58:59], v[54:55], v[80:81], 0xbe927e4fa17f65f6
	v_add_f64_e64 v[42:43], v[42:43], -v[56:57]
	v_fmaak_f64 v[52:53], v[54:55], v[58:59], 0x3efa01a019f4ec90
	s_delay_alu instid0(VALU_DEP_1) | instskip(NEXT) | instid1(VALU_DEP_1)
	v_fmaak_f64 v[52:53], v[54:55], v[52:53], 0xbf56c16c16c16967
	v_fmaak_f64 v[52:53], v[54:55], v[52:53], 0x3fa5555555555555
	s_delay_alu instid0(VALU_DEP_1) | instskip(NEXT) | instid1(VALU_DEP_1)
	v_fmac_f64_e32 v[44:45], v[72:73], v[52:53]
	v_add_f64_e32 v[44:45], v[64:65], v[44:45]
	s_delay_alu instid0(VALU_DEP_1) | instskip(NEXT) | instid1(VALU_DEP_1)
	v_dual_cndmask_b32 v16, v45, v43, s7 :: v_dual_cndmask_b32 v15, v44, v42, s7
	v_bitop3_b32 v16, v16, v9, 0x80000000 bitop3:0x78
	s_delay_alu instid0(VALU_DEP_2) | instskip(SKIP_1) | instid1(VALU_DEP_3)
	v_dual_cndmask_b32 v9, 0, v8, s6 :: v_dual_cndmask_b32 v14, 0, v15, s4
	v_cndmask_b32_e64 v8, 0, v50, s3
	v_cndmask_b32_e64 v15, 0x7ff80000, v16, s4
	s_delay_alu instid0(VALU_DEP_2) | instskip(NEXT) | instid1(VALU_DEP_2)
	v_mul_f64_e32 v[6:7], v[8:9], v[6:7]
	v_mul_f64_e32 v[8:9], v[8:9], v[14:15]
                                        ; implicit-def: $vgpr16_vgpr17
.LBB131_206:                            ;   in Loop: Header=BB131_185 Depth=1
	s_and_not1_saveexec_b32 s33, s33
	s_cbranch_execz .LBB131_242
; %bb.207:                              ;   in Loop: Header=BB131_185 Depth=1
	v_cmp_ngt_f64_e64 s4, 0x41d00000, |v[16:17]|
                                        ; implicit-def: $vgpr47
                                        ; implicit-def: $vgpr6_vgpr7
                                        ; implicit-def: $vgpr8_vgpr9
	s_and_saveexec_b32 s3, s4
	s_delay_alu instid0(SALU_CYCLE_1)
	s_xor_b32 s5, exec_lo, s3
	s_cbranch_execz .LBB131_209
; %bb.208:                              ;   in Loop: Header=BB131_185 Depth=1
	v_ldexp_f64 v[6:7], |v[16:17]|, 0xffffff80
	v_cmp_le_f64_e64 s3, 0x7b000000, |v[16:17]|
	v_trig_preop_f64 v[8:9], |v[16:17]|, 0
	v_trig_preop_f64 v[42:43], |v[16:17]|, 1
	;; [unrolled: 1-line block ×3, first 2 shown]
	s_delay_alu instid0(VALU_DEP_4) | instskip(NEXT) | instid1(VALU_DEP_1)
	v_dual_cndmask_b32 v7, v46, v7, s3 :: v_dual_cndmask_b32 v6, v16, v6, s3
	v_mul_f64_e32 v[44:45], v[8:9], v[6:7]
	s_delay_alu instid0(VALU_DEP_4) | instskip(NEXT) | instid1(VALU_DEP_4)
	v_mul_f64_e32 v[48:49], v[42:43], v[6:7]
	v_mul_f64_e32 v[60:61], v[54:55], v[6:7]
	s_delay_alu instid0(VALU_DEP_3) | instskip(NEXT) | instid1(VALU_DEP_3)
	v_fma_f64 v[8:9], v[8:9], v[6:7], -v[44:45]
	v_fma_f64 v[42:43], v[42:43], v[6:7], -v[48:49]
	s_delay_alu instid0(VALU_DEP_3) | instskip(NEXT) | instid1(VALU_DEP_3)
	v_fma_f64 v[6:7], v[54:55], v[6:7], -v[60:61]
	v_add_f64_e32 v[50:51], v[48:49], v[8:9]
	s_delay_alu instid0(VALU_DEP_1) | instskip(SKIP_1) | instid1(VALU_DEP_2)
	v_add_f64_e64 v[52:53], v[50:51], -v[48:49]
	v_add_f64_e32 v[58:59], v[44:45], v[50:51]
	v_add_f64_e64 v[56:57], v[50:51], -v[52:53]
	v_add_f64_e64 v[8:9], v[8:9], -v[52:53]
	s_delay_alu instid0(VALU_DEP_3) | instskip(NEXT) | instid1(VALU_DEP_3)
	v_ldexp_f64 v[52:53], v[58:59], -2
	v_add_f64_e64 v[48:49], v[48:49], -v[56:57]
	v_add_f64_e32 v[56:57], v[60:61], v[42:43]
	s_delay_alu instid0(VALU_DEP_3) | instskip(NEXT) | instid1(VALU_DEP_3)
	v_cmp_neq_f64_e64 s3, 0x7ff00000, |v[52:53]|
	v_add_f64_e32 v[8:9], v[8:9], v[48:49]
	v_fract_f64_e32 v[48:49], v[52:53]
	s_delay_alu instid0(VALU_DEP_1) | instskip(NEXT) | instid1(VALU_DEP_1)
	v_ldexp_f64 v[48:49], v[48:49], 2
	v_cndmask_b32_e64 v49, 0, v49, s3
	v_add_f64_e64 v[44:45], v[58:59], -v[44:45]
	s_delay_alu instid0(VALU_DEP_3) | instskip(NEXT) | instid1(VALU_DEP_2)
	v_cndmask_b32_e64 v48, 0, v48, s3
	v_add_f64_e64 v[44:45], v[50:51], -v[44:45]
	v_add_f64_e32 v[50:51], v[56:57], v[8:9]
	s_delay_alu instid0(VALU_DEP_1) | instskip(SKIP_1) | instid1(VALU_DEP_2)
	v_add_f64_e32 v[52:53], v[44:45], v[50:51]
	v_add_f64_e64 v[62:63], v[50:51], -v[56:57]
	v_add_f64_e32 v[58:59], v[52:53], v[48:49]
	s_delay_alu instid0(VALU_DEP_2) | instskip(SKIP_2) | instid1(VALU_DEP_4)
	v_add_f64_e64 v[68:69], v[50:51], -v[62:63]
	v_add_f64_e64 v[8:9], v[8:9], -v[62:63]
	;; [unrolled: 1-line block ×3, first 2 shown]
	v_cmp_gt_f64_e64 s3, 0, v[58:59]
	v_add_f64_e64 v[58:59], v[56:57], -v[60:61]
	s_delay_alu instid0(VALU_DEP_3) | instskip(NEXT) | instid1(VALU_DEP_3)
	v_add_f64_e64 v[44:45], v[50:51], -v[44:45]
	v_cndmask_b32_e64 v27, 0, 0x40100000, s3
	s_delay_alu instid0(VALU_DEP_3) | instskip(SKIP_2) | instid1(VALU_DEP_4)
	v_add_f64_e64 v[66:67], v[56:57], -v[58:59]
	v_add_f64_e64 v[42:43], v[42:43], -v[58:59]
	v_add_f64_e64 v[56:57], v[56:57], -v[68:69]
	v_add_f64_e32 v[48:49], v[48:49], v[26:27]
	s_delay_alu instid0(VALU_DEP_4) | instskip(NEXT) | instid1(VALU_DEP_3)
	v_add_f64_e64 v[58:59], v[60:61], -v[66:67]
	v_add_f64_e32 v[8:9], v[8:9], v[56:57]
	s_delay_alu instid0(VALU_DEP_3) | instskip(NEXT) | instid1(VALU_DEP_3)
	v_add_f64_e32 v[64:65], v[52:53], v[48:49]
	v_add_f64_e32 v[42:43], v[42:43], v[58:59]
	s_delay_alu instid0(VALU_DEP_2) | instskip(NEXT) | instid1(VALU_DEP_2)
	v_cvt_i32_f64_e32 v27, v[64:65]
	v_add_f64_e32 v[8:9], v[42:43], v[8:9]
	s_delay_alu instid0(VALU_DEP_2) | instskip(NEXT) | instid1(VALU_DEP_2)
	v_cvt_f64_i32_e32 v[62:63], v27
	v_add_f64_e32 v[6:7], v[6:7], v[8:9]
	s_delay_alu instid0(VALU_DEP_2) | instskip(NEXT) | instid1(VALU_DEP_2)
	v_add_f64_e64 v[48:49], v[48:49], -v[62:63]
	v_add_f64_e32 v[6:7], v[44:45], v[6:7]
	s_delay_alu instid0(VALU_DEP_2) | instskip(NEXT) | instid1(VALU_DEP_1)
	v_add_f64_e32 v[42:43], v[52:53], v[48:49]
	v_add_f64_e64 v[8:9], v[42:43], -v[48:49]
	v_cmp_le_f64_e64 s3, 0.5, v[42:43]
	s_delay_alu instid0(VALU_DEP_2) | instskip(NEXT) | instid1(VALU_DEP_2)
	v_add_f64_e64 v[8:9], v[52:53], -v[8:9]
	v_add_co_ci_u32_e64 v47, null, 0, v27, s3
	v_cndmask_b32_e64 v27, 0, 0x3ff00000, s3
	s_delay_alu instid0(VALU_DEP_3) | instskip(NEXT) | instid1(VALU_DEP_2)
	v_add_f64_e32 v[6:7], v[6:7], v[8:9]
	v_add_f64_e64 v[8:9], v[42:43], -v[26:27]
	s_delay_alu instid0(VALU_DEP_1) | instskip(NEXT) | instid1(VALU_DEP_1)
	v_add_f64_e32 v[42:43], v[8:9], v[6:7]
	v_mul_f64_e32 v[44:45], 0x3ff921fb54442d18, v[42:43]
	v_add_f64_e64 v[8:9], v[42:43], -v[8:9]
	s_delay_alu instid0(VALU_DEP_2) | instskip(NEXT) | instid1(VALU_DEP_2)
	v_fma_f64 v[48:49], v[42:43], s[14:15], -v[44:45]
	v_add_f64_e64 v[6:7], v[6:7], -v[8:9]
	s_delay_alu instid0(VALU_DEP_2) | instskip(NEXT) | instid1(VALU_DEP_1)
	v_fmac_f64_e32 v[48:49], 0x3c91a62633145c07, v[42:43]
	v_fmac_f64_e32 v[48:49], 0x3ff921fb54442d18, v[6:7]
	s_delay_alu instid0(VALU_DEP_1) | instskip(NEXT) | instid1(VALU_DEP_1)
	v_add_f64_e32 v[6:7], v[44:45], v[48:49]
	v_add_f64_e64 v[8:9], v[6:7], -v[44:45]
	s_delay_alu instid0(VALU_DEP_1)
	v_add_f64_e64 v[8:9], v[48:49], -v[8:9]
	s_and_not1_saveexec_b32 s3, s5
	s_cbranch_execz .LBB131_211
	s_branch .LBB131_210
.LBB131_209:                            ;   in Loop: Header=BB131_185 Depth=1
	s_and_not1_saveexec_b32 s3, s5
	s_cbranch_execz .LBB131_211
.LBB131_210:                            ;   in Loop: Header=BB131_185 Depth=1
	v_mul_f64_e64 v[6:7], |v[16:17]|, s[16:17]
	s_delay_alu instid0(VALU_DEP_1) | instskip(NEXT) | instid1(VALU_DEP_1)
	v_rndne_f64_e32 v[42:43], v[6:7]
	v_fma_f64 v[6:7], v[42:43], s[22:23], |v[16:17]|
	v_mul_f64_e32 v[8:9], 0xbc91a62633145c00, v[42:43]
	v_cvt_i32_f64_e32 v47, v[42:43]
	s_delay_alu instid0(VALU_DEP_3) | instskip(NEXT) | instid1(VALU_DEP_3)
	v_fmamk_f64 v[50:51], v[42:43], 0xbc91a62633145c00, v[6:7]
	v_add_f64_e32 v[44:45], v[6:7], v[8:9]
	s_delay_alu instid0(VALU_DEP_1) | instskip(NEXT) | instid1(VALU_DEP_3)
	v_add_f64_e64 v[48:49], v[6:7], -v[44:45]
	v_add_f64_e64 v[6:7], v[44:45], -v[50:51]
	s_delay_alu instid0(VALU_DEP_2) | instskip(SKIP_1) | instid1(VALU_DEP_2)
	v_add_f64_e32 v[44:45], v[48:49], v[8:9]
	v_fmamk_f64 v[8:9], v[42:43], 0x3c91a62633145c00, v[8:9]
	v_add_f64_e32 v[6:7], v[6:7], v[44:45]
	s_delay_alu instid0(VALU_DEP_1) | instskip(NEXT) | instid1(VALU_DEP_1)
	v_add_f64_e64 v[8:9], v[6:7], -v[8:9]
	v_fmac_f64_e32 v[8:9], 0xb97b839a252049c0, v[42:43]
	s_delay_alu instid0(VALU_DEP_1) | instskip(NEXT) | instid1(VALU_DEP_1)
	v_add_f64_e32 v[6:7], v[50:51], v[8:9]
	v_add_f64_e64 v[44:45], v[6:7], -v[50:51]
	s_delay_alu instid0(VALU_DEP_1)
	v_add_f64_e64 v[8:9], v[8:9], -v[44:45]
.LBB131_211:                            ;   in Loop: Header=BB131_185 Depth=1
	s_or_b32 exec_lo, exec_lo, s3
                                        ; implicit-def: $vgpr48
                                        ; implicit-def: $vgpr42_vgpr43
                                        ; implicit-def: $vgpr44_vgpr45
	s_and_saveexec_b32 s3, s4
	s_delay_alu instid0(SALU_CYCLE_1)
	s_xor_b32 s4, exec_lo, s3
	s_cbranch_execz .LBB131_213
; %bb.212:                              ;   in Loop: Header=BB131_185 Depth=1
	v_ldexp_f64 v[42:43], |v[16:17]|, 0xffffff80
	v_cmp_le_f64_e64 s3, 0x7b000000, |v[16:17]|
	v_trig_preop_f64 v[44:45], |v[16:17]|, 0
	v_trig_preop_f64 v[48:49], |v[16:17]|, 1
	v_trig_preop_f64 v[58:59], |v[16:17]|, 2
	s_delay_alu instid0(VALU_DEP_4) | instskip(NEXT) | instid1(VALU_DEP_1)
	v_dual_cndmask_b32 v43, v46, v43, s3 :: v_dual_cndmask_b32 v42, v16, v42, s3
	v_mul_f64_e32 v[50:51], v[44:45], v[42:43]
	s_delay_alu instid0(VALU_DEP_4) | instskip(NEXT) | instid1(VALU_DEP_4)
	v_mul_f64_e32 v[52:53], v[48:49], v[42:43]
	v_mul_f64_e32 v[64:65], v[58:59], v[42:43]
	s_delay_alu instid0(VALU_DEP_3) | instskip(NEXT) | instid1(VALU_DEP_3)
	v_fma_f64 v[44:45], v[44:45], v[42:43], -v[50:51]
	v_fma_f64 v[48:49], v[48:49], v[42:43], -v[52:53]
	s_delay_alu instid0(VALU_DEP_3) | instskip(NEXT) | instid1(VALU_DEP_3)
	v_fma_f64 v[42:43], v[58:59], v[42:43], -v[64:65]
	v_add_f64_e32 v[54:55], v[52:53], v[44:45]
	s_delay_alu instid0(VALU_DEP_1) | instskip(SKIP_1) | instid1(VALU_DEP_2)
	v_add_f64_e64 v[56:57], v[54:55], -v[52:53]
	v_add_f64_e32 v[62:63], v[50:51], v[54:55]
	v_add_f64_e64 v[60:61], v[54:55], -v[56:57]
	v_add_f64_e64 v[44:45], v[44:45], -v[56:57]
	s_delay_alu instid0(VALU_DEP_3) | instskip(NEXT) | instid1(VALU_DEP_3)
	v_ldexp_f64 v[56:57], v[62:63], -2
	v_add_f64_e64 v[52:53], v[52:53], -v[60:61]
	v_add_f64_e32 v[60:61], v[64:65], v[48:49]
	s_delay_alu instid0(VALU_DEP_3) | instskip(NEXT) | instid1(VALU_DEP_3)
	v_cmp_neq_f64_e64 s3, 0x7ff00000, |v[56:57]|
	v_add_f64_e32 v[44:45], v[44:45], v[52:53]
	v_fract_f64_e32 v[52:53], v[56:57]
	s_delay_alu instid0(VALU_DEP_1) | instskip(NEXT) | instid1(VALU_DEP_1)
	v_ldexp_f64 v[52:53], v[52:53], 2
	v_dual_add_f64 v[50:51], v[62:63], -v[50:51] :: v_dual_cndmask_b32 v53, 0, v53, s3
	s_delay_alu instid0(VALU_DEP_1) | instskip(SKIP_1) | instid1(VALU_DEP_1)
	v_dual_add_f64 v[50:51], v[54:55], -v[50:51] :: v_dual_cndmask_b32 v52, 0, v52, s3
	v_add_f64_e32 v[54:55], v[60:61], v[44:45]
	v_add_f64_e32 v[56:57], v[50:51], v[54:55]
	v_add_f64_e64 v[66:67], v[54:55], -v[60:61]
	s_delay_alu instid0(VALU_DEP_2) | instskip(NEXT) | instid1(VALU_DEP_2)
	v_add_f64_e32 v[62:63], v[56:57], v[52:53]
	v_add_f64_e64 v[72:73], v[54:55], -v[66:67]
	v_add_f64_e64 v[44:45], v[44:45], -v[66:67]
	;; [unrolled: 1-line block ×3, first 2 shown]
	s_delay_alu instid0(VALU_DEP_4) | instskip(SKIP_1) | instid1(VALU_DEP_2)
	v_cmp_gt_f64_e64 s3, 0, v[62:63]
	v_add_f64_e64 v[62:63], v[60:61], -v[64:65]
	v_cndmask_b32_e64 v27, 0, 0x40100000, s3
	s_delay_alu instid0(VALU_DEP_2) | instskip(SKIP_2) | instid1(VALU_DEP_4)
	v_add_f64_e64 v[70:71], v[60:61], -v[62:63]
	v_add_f64_e64 v[48:49], v[48:49], -v[62:63]
	;; [unrolled: 1-line block ×3, first 2 shown]
	v_add_f64_e32 v[52:53], v[52:53], v[26:27]
	s_delay_alu instid0(VALU_DEP_4) | instskip(NEXT) | instid1(VALU_DEP_3)
	v_add_f64_e64 v[62:63], v[64:65], -v[70:71]
	v_add_f64_e32 v[44:45], v[44:45], v[60:61]
	s_delay_alu instid0(VALU_DEP_3) | instskip(NEXT) | instid1(VALU_DEP_3)
	v_add_f64_e32 v[68:69], v[56:57], v[52:53]
	v_add_f64_e32 v[48:49], v[48:49], v[62:63]
	s_delay_alu instid0(VALU_DEP_2) | instskip(NEXT) | instid1(VALU_DEP_2)
	v_cvt_i32_f64_e32 v27, v[68:69]
	v_add_f64_e32 v[44:45], v[48:49], v[44:45]
	v_add_f64_e64 v[48:49], v[54:55], -v[50:51]
	s_delay_alu instid0(VALU_DEP_3) | instskip(NEXT) | instid1(VALU_DEP_3)
	v_cvt_f64_i32_e32 v[66:67], v27
	v_add_f64_e32 v[42:43], v[42:43], v[44:45]
	s_delay_alu instid0(VALU_DEP_2) | instskip(NEXT) | instid1(VALU_DEP_2)
	v_add_f64_e64 v[52:53], v[52:53], -v[66:67]
	v_add_f64_e32 v[42:43], v[48:49], v[42:43]
	s_delay_alu instid0(VALU_DEP_2) | instskip(NEXT) | instid1(VALU_DEP_1)
	v_add_f64_e32 v[58:59], v[56:57], v[52:53]
	v_add_f64_e64 v[44:45], v[58:59], -v[52:53]
	v_cmp_le_f64_e64 s3, 0.5, v[58:59]
	s_delay_alu instid0(VALU_DEP_2) | instskip(NEXT) | instid1(VALU_DEP_2)
	v_add_f64_e64 v[44:45], v[56:57], -v[44:45]
	v_add_co_ci_u32_e64 v48, null, 0, v27, s3
	v_cndmask_b32_e64 v27, 0, 0x3ff00000, s3
	s_delay_alu instid0(VALU_DEP_3) | instskip(NEXT) | instid1(VALU_DEP_2)
	v_add_f64_e32 v[42:43], v[42:43], v[44:45]
	v_add_f64_e64 v[44:45], v[58:59], -v[26:27]
	s_delay_alu instid0(VALU_DEP_1) | instskip(NEXT) | instid1(VALU_DEP_1)
	v_add_f64_e32 v[50:51], v[44:45], v[42:43]
	v_mul_f64_e32 v[52:53], 0x3ff921fb54442d18, v[50:51]
	v_add_f64_e64 v[44:45], v[50:51], -v[44:45]
	s_delay_alu instid0(VALU_DEP_2) | instskip(NEXT) | instid1(VALU_DEP_2)
	v_fma_f64 v[54:55], v[50:51], s[14:15], -v[52:53]
	v_add_f64_e64 v[42:43], v[42:43], -v[44:45]
	s_delay_alu instid0(VALU_DEP_2) | instskip(NEXT) | instid1(VALU_DEP_1)
	v_fmac_f64_e32 v[54:55], 0x3c91a62633145c07, v[50:51]
	v_fmac_f64_e32 v[54:55], 0x3ff921fb54442d18, v[42:43]
	s_delay_alu instid0(VALU_DEP_1) | instskip(NEXT) | instid1(VALU_DEP_1)
	v_add_f64_e32 v[42:43], v[52:53], v[54:55]
	v_add_f64_e64 v[44:45], v[42:43], -v[52:53]
	s_delay_alu instid0(VALU_DEP_1)
	v_add_f64_e64 v[44:45], v[54:55], -v[44:45]
	s_and_not1_saveexec_b32 s3, s4
	s_cbranch_execnz .LBB131_214
	s_branch .LBB131_215
.LBB131_213:                            ;   in Loop: Header=BB131_185 Depth=1
	s_and_not1_saveexec_b32 s3, s4
	s_cbranch_execz .LBB131_215
.LBB131_214:                            ;   in Loop: Header=BB131_185 Depth=1
	v_mul_f64_e64 v[42:43], |v[16:17]|, s[16:17]
	s_delay_alu instid0(VALU_DEP_1) | instskip(NEXT) | instid1(VALU_DEP_1)
	v_rndne_f64_e32 v[48:49], v[42:43]
	v_fma_f64 v[42:43], v[48:49], s[22:23], |v[16:17]|
	v_mul_f64_e32 v[44:45], 0xbc91a62633145c00, v[48:49]
	s_delay_alu instid0(VALU_DEP_2) | instskip(NEXT) | instid1(VALU_DEP_2)
	v_fmamk_f64 v[54:55], v[48:49], 0xbc91a62633145c00, v[42:43]
	v_add_f64_e32 v[50:51], v[42:43], v[44:45]
	s_delay_alu instid0(VALU_DEP_1) | instskip(NEXT) | instid1(VALU_DEP_3)
	v_add_f64_e64 v[52:53], v[42:43], -v[50:51]
	v_add_f64_e64 v[42:43], v[50:51], -v[54:55]
	s_delay_alu instid0(VALU_DEP_2) | instskip(SKIP_1) | instid1(VALU_DEP_2)
	v_add_f64_e32 v[50:51], v[52:53], v[44:45]
	v_fmamk_f64 v[44:45], v[48:49], 0x3c91a62633145c00, v[44:45]
	v_add_f64_e32 v[42:43], v[42:43], v[50:51]
	s_delay_alu instid0(VALU_DEP_1) | instskip(NEXT) | instid1(VALU_DEP_1)
	v_add_f64_e64 v[44:45], v[42:43], -v[44:45]
	v_fmac_f64_e32 v[44:45], 0xb97b839a252049c0, v[48:49]
	v_cvt_i32_f64_e32 v48, v[48:49]
	s_delay_alu instid0(VALU_DEP_2) | instskip(NEXT) | instid1(VALU_DEP_1)
	v_add_f64_e32 v[42:43], v[54:55], v[44:45]
	v_add_f64_e64 v[50:51], v[42:43], -v[54:55]
	s_delay_alu instid0(VALU_DEP_1)
	v_add_f64_e64 v[44:45], v[44:45], -v[50:51]
.LBB131_215:                            ;   in Loop: Header=BB131_185 Depth=1
	s_or_b32 exec_lo, exec_lo, s3
	v_add_f64_e32 v[14:15], 0xc0937be319ba0da4, v[14:15]
	v_mul_f64_e32 v[52:53], v[6:7], v[6:7]
	v_cmp_class_f64_e64 s4, v[16:17], 0x1f8
	v_mul_f64_e32 v[54:55], v[42:43], v[42:43]
	v_dual_mul_f64 v[66:67], 0.5, v[8:9] :: v_dual_lshlrev_b32 v16, 30, v47
	v_mul_f64_e32 v[50:51], 0x3ff71547652b82fe, v[14:15]
	v_cmp_nlt_f64_e64 s5, 0x40900000, v[14:15]
	v_cmp_ngt_f64_e64 s6, 0xc090cc00, v[14:15]
	s_delay_alu instid0(VALU_DEP_3) | instskip(NEXT) | instid1(VALU_DEP_1)
	v_rndne_f64_e32 v[50:51], v[50:51]
	v_fmamk_f64 v[60:61], v[50:51], 0xbfe62e42fefa39ef, v[14:15]
	v_and_b32_e32 v14, 1, v48
	v_mul_f64_e32 v[56:57], 0.5, v[52:53]
	v_fmamk_f64 v[72:73], v[52:53], 0x3de5e0b2f9a43bb8, v[32:33]
	v_dual_mul_f64 v[78:79], v[42:43], -v[54:55] :: v_dual_lshlrev_b32 v15, 30, v48
	s_delay_alu instid0(VALU_DEP_4)
	v_cmp_eq_u32_e64 s7, 0, v14
	v_fmac_f64_e32 v[60:61], 0xbc7abc9e3b39803f, v[50:51]
	v_mul_f64_e64 v[68:69], v[6:7], -v[52:53]
	v_mul_f64_e32 v[76:77], 0.5, v[44:45]
	v_fmaak_f64 v[72:73], v[52:53], v[72:73], 0x3ec71de3796cde01
	v_cvt_i32_f64_e32 v27, v[50:51]
	v_fmamk_f64 v[82:83], v[54:55], 0x3de5e0b2f9a43bb8, v[32:33]
	s_delay_alu instid0(VALU_DEP_3) | instskip(NEXT) | instid1(VALU_DEP_1)
	v_fmaak_f64 v[72:73], v[52:53], v[72:73], 0xbf2a01a019e83e5c
	v_fmaak_f64 v[72:73], v[52:53], v[72:73], 0x3f81111111110bb3
	v_add_f64_e64 v[62:63], -v[56:57], 1.0
	v_fmamk_f64 v[74:75], v[60:61], 0x3e5ade156a5dcb37, v[28:29]
	s_delay_alu instid0(VALU_DEP_3) | instskip(SKIP_1) | instid1(VALU_DEP_3)
	v_fmac_f64_e32 v[66:67], v[68:69], v[72:73]
	v_fmaak_f64 v[72:73], v[54:55], v[82:83], 0x3ec71de3796cde01
	v_fmaak_f64 v[74:75], v[60:61], v[74:75], 0x3ec71dee623fde64
	s_delay_alu instid0(VALU_DEP_2) | instskip(NEXT) | instid1(VALU_DEP_2)
	v_fmaak_f64 v[72:73], v[54:55], v[72:73], 0xbf2a01a019e83e5c
	v_fmaak_f64 v[74:75], v[60:61], v[74:75], 0x3efa01997c89e6b0
	s_delay_alu instid0(VALU_DEP_2) | instskip(NEXT) | instid1(VALU_DEP_2)
	v_fmaak_f64 v[72:73], v[54:55], v[72:73], 0x3f81111111110bb3
	v_fmaak_f64 v[74:75], v[60:61], v[74:75], 0x3f2a01a014761f6e
	s_delay_alu instid0(VALU_DEP_2) | instskip(SKIP_3) | instid1(VALU_DEP_2)
	v_fmac_f64_e32 v[76:77], v[78:79], v[72:73]
	v_fmamk_f64 v[72:73], v[52:53], 0xbda907db46cc5e42, v[30:31]
	v_add_f64_e64 v[70:71], -v[62:63], 1.0
	v_fma_f64 v[66:67], v[52:53], v[66:67], -v[8:9]
	v_add_f64_e64 v[56:57], v[70:71], -v[56:57]
	v_fmaak_f64 v[70:71], v[60:61], v[74:75], 0x3f56c16c1852b7b0
	v_mul_f64_e32 v[74:75], v[52:53], v[52:53]
	s_delay_alu instid0(VALU_DEP_4) | instskip(NEXT) | instid1(VALU_DEP_3)
	v_fmac_f64_e32 v[66:67], 0xbfc5555555555555, v[68:69]
	v_fmaak_f64 v[70:71], v[60:61], v[70:71], 0x3f81111111122322
	s_delay_alu instid0(VALU_DEP_1) | instskip(NEXT) | instid1(VALU_DEP_1)
	v_fmaak_f64 v[70:71], v[60:61], v[70:71], 0x3fa55555555502a1
	v_fmaak_f64 v[70:71], v[60:61], v[70:71], 0x3fc5555555555511
	s_delay_alu instid0(VALU_DEP_1) | instskip(NEXT) | instid1(VALU_DEP_1)
	v_fmaak_f64 v[70:71], v[60:61], v[70:71], 0x3fe000000000000b
	v_fma_f64 v[70:71], v[60:61], v[70:71], 1.0
	s_delay_alu instid0(VALU_DEP_1) | instskip(NEXT) | instid1(VALU_DEP_1)
	v_fma_f64 v[50:51], v[60:61], v[70:71], 1.0
	v_ldexp_f64 v[50:51], v[50:51], v27
	v_fma_f64 v[8:9], v[6:7], -v[8:9], v[56:57]
	v_fmaak_f64 v[56:57], v[52:53], v[72:73], 0xbe927e4fa17f65f6
	v_and_b32_e32 v27, 1, v47
	v_add_f64_e64 v[6:7], v[6:7], -v[66:67]
	s_delay_alu instid0(VALU_DEP_2) | instskip(NEXT) | instid1(VALU_DEP_4)
	v_cmp_eq_u32_e64 s3, 0, v27
	v_fmaak_f64 v[56:57], v[52:53], v[56:57], 0x3efa01a019f4ec90
	s_delay_alu instid0(VALU_DEP_1) | instskip(NEXT) | instid1(VALU_DEP_1)
	v_fmaak_f64 v[56:57], v[52:53], v[56:57], 0xbf56c16c16c16967
	v_fmaak_f64 v[52:53], v[52:53], v[56:57], 0x3fa5555555555555
	v_fma_f64 v[56:57], v[54:55], v[76:77], -v[44:45]
	s_delay_alu instid0(VALU_DEP_2) | instskip(SKIP_1) | instid1(VALU_DEP_2)
	v_fmac_f64_e32 v[8:9], v[74:75], v[52:53]
	v_xor_b32_e32 v7, 0x80000000, v7
	v_add_f64_e32 v[8:9], v[62:63], v[8:9]
	s_delay_alu instid0(VALU_DEP_1) | instskip(NEXT) | instid1(VALU_DEP_1)
	v_dual_mul_f64 v[58:59], 0.5, v[54:55] :: v_dual_cndmask_b32 v6, v6, v8, s3
	v_add_f64_e64 v[64:65], -v[58:59], 1.0
	v_cndmask_b32_e64 v8, 0x7ff00000, v51, s5
	s_delay_alu instid0(VALU_DEP_4) | instskip(SKIP_3) | instid1(VALU_DEP_3)
	v_cndmask_b32_e64 v7, v7, v9, s3
	v_xor_b32_e32 v9, v15, v17
	s_and_b32 s3, s6, s5
	v_cndmask_b32_e64 v6, 0, v6, s4
	v_bitop3_b32 v7, v7, v16, 0x80000000 bitop3:0x78
	v_dual_mul_f64 v[72:73], v[54:55], v[54:55] :: v_dual_cndmask_b32 v16, 0, v8, s6
	v_fmac_f64_e32 v[56:57], 0xbfc5555555555555, v[78:79]
	s_delay_alu instid0(VALU_DEP_3) | instskip(SKIP_1) | instid1(VALU_DEP_1)
	v_cndmask_b32_e64 v7, 0x7ff80000, v7, s4
	v_add_f64_e64 v[80:81], -v[64:65], 1.0
	v_add_f64_e64 v[58:59], v[80:81], -v[58:59]
	v_fmamk_f64 v[80:81], v[54:55], 0xbda907db46cc5e42, v[30:31]
	s_delay_alu instid0(VALU_DEP_2) | instskip(NEXT) | instid1(VALU_DEP_2)
	v_fma_f64 v[44:45], v[42:43], -v[44:45], v[58:59]
	v_fmaak_f64 v[58:59], v[54:55], v[80:81], 0xbe927e4fa17f65f6
	v_add_f64_e64 v[42:43], v[42:43], -v[56:57]
	s_delay_alu instid0(VALU_DEP_2) | instskip(NEXT) | instid1(VALU_DEP_1)
	v_fmaak_f64 v[52:53], v[54:55], v[58:59], 0x3efa01a019f4ec90
	v_fmaak_f64 v[52:53], v[54:55], v[52:53], 0xbf56c16c16c16967
	s_delay_alu instid0(VALU_DEP_1) | instskip(NEXT) | instid1(VALU_DEP_1)
	v_fmaak_f64 v[52:53], v[54:55], v[52:53], 0x3fa5555555555555
	v_fmac_f64_e32 v[44:45], v[72:73], v[52:53]
	s_delay_alu instid0(VALU_DEP_1) | instskip(NEXT) | instid1(VALU_DEP_1)
	v_add_f64_e32 v[44:45], v[64:65], v[44:45]
	v_dual_cndmask_b32 v15, v45, v43, s7 :: v_dual_cndmask_b32 v14, v44, v42, s7
	s_delay_alu instid0(VALU_DEP_1) | instskip(NEXT) | instid1(VALU_DEP_2)
	v_bitop3_b32 v9, v15, v9, 0x80000000 bitop3:0x78
	v_cndmask_b32_e64 v8, 0, v14, s4
	v_and_or_b32 v15, v16, s28, 0x7fe00000
	v_dual_cndmask_b32 v14, 0, v50, s3 :: v_dual_lshrrev_b32 v16, 20, v16
	s_delay_alu instid0(VALU_DEP_4) | instskip(NEXT) | instid1(VALU_DEP_2)
	v_cndmask_b32_e64 v9, 0x7ff80000, v9, s4
	v_mul_f64_e32 v[6:7], v[14:15], v[6:7]
	s_delay_alu instid0(VALU_DEP_2) | instskip(NEXT) | instid1(VALU_DEP_4)
	v_mul_f64_e32 v[8:9], v[14:15], v[8:9]
	v_add_nc_u32_e32 v14, 0xffffff09, v16
	s_delay_alu instid0(VALU_DEP_1) | instskip(NEXT) | instid1(VALU_DEP_1)
	v_lshrrev_b16 v15, 15, v14
	v_add_nc_u16 v15, v14, v15
	s_delay_alu instid0(VALU_DEP_1) | instskip(NEXT) | instid1(VALU_DEP_1)
	v_ashrrev_i16 v15, 1, v15
	v_bfe_i32 v15, v15, 0, 16
	s_delay_alu instid0(VALU_DEP_1) | instskip(SKIP_2) | instid1(VALU_DEP_3)
	v_lshl_add_u32 v27, v15, 20, 0x3ff00000
	v_sub_nc_u32_e32 v15, v14, v15
	v_mov_b32_e32 v14, v26
	v_mul_f64_e32 v[6:7], v[6:7], v[26:27]
	v_mul_f64_e32 v[8:9], v[8:9], v[26:27]
	s_delay_alu instid0(VALU_DEP_4) | instskip(NEXT) | instid1(VALU_DEP_1)
	v_lshl_add_u32 v15, v15, 20, 0x3ff00000
	v_mul_f64_e32 v[6:7], v[6:7], v[14:15]
	s_delay_alu instid0(VALU_DEP_3)
	v_mul_f64_e32 v[8:9], v[8:9], v[14:15]
	s_or_b32 exec_lo, exec_lo, s33
                                        ; implicit-def: $vgpr14_vgpr15
                                        ; implicit-def: $vgpr27
.LBB131_216:                            ;   in Loop: Header=BB131_185 Depth=1
	s_and_not1_saveexec_b32 s5, s31
	s_cbranch_execz .LBB131_222
.LBB131_217:                            ;   in Loop: Header=BB131_185 Depth=1
	v_cmp_ne_u32_e64 s3, 0, v14
	v_cmp_ne_u32_e64 s4, 0x7ff00000, v27
                                        ; implicit-def: $vgpr8_vgpr9
	s_or_b32 s3, s3, s4
	s_delay_alu instid0(SALU_CYCLE_1) | instskip(NEXT) | instid1(SALU_CYCLE_1)
	s_and_saveexec_b32 s4, s3
	s_xor_b32 s3, exec_lo, s4
; %bb.218:                              ;   in Loop: Header=BB131_185 Depth=1
	v_add_f64_e64 v[8:9], v[16:17], -v[16:17]
                                        ; implicit-def: $vgpr14_vgpr15
; %bb.219:                              ;   in Loop: Header=BB131_185 Depth=1
	s_or_saveexec_b32 s4, s3
	s_delay_alu instid0(VALU_DEP_1)
	v_mov_b64_e32 v[6:7], v[8:9]
	s_xor_b32 exec_lo, exec_lo, s4
	s_cbranch_execz .LBB131_221
; %bb.220:                              ;   in Loop: Header=BB131_185 Depth=1
	v_cmp_lt_i64_e64 s3, -1, v[14:15]
	s_delay_alu instid0(VALU_DEP_1) | instskip(NEXT) | instid1(VALU_DEP_1)
	v_dual_add_f64 v[8:9], v[16:17], -v[16:17] :: v_dual_cndmask_b32 v7, 0, v15, s3
	v_dual_cndmask_b32 v6, 0, v14, s3 :: v_dual_cndmask_b32 v9, 0, v9, s3
	s_delay_alu instid0(VALU_DEP_2)
	v_cndmask_b32_e64 v8, 0, v8, s3
.LBB131_221:                            ;   in Loop: Header=BB131_185 Depth=1
	s_or_b32 exec_lo, exec_lo, s4
.LBB131_222:                            ;   in Loop: Header=BB131_185 Depth=1
	s_delay_alu instid0(SALU_CYCLE_1)
	s_or_b32 exec_lo, exec_lo, s5
                                        ; implicit-def: $vgpr16_vgpr17
                                        ; implicit-def: $vgpr46
.LBB131_223:                            ;   in Loop: Header=BB131_185 Depth=1
	s_and_not1_saveexec_b32 s6, s30
	s_cbranch_execz .LBB131_233
; %bb.224:                              ;   in Loop: Header=BB131_185 Depth=1
	v_cmp_ngt_f64_e64 s4, 0x41d00000, |v[16:17]|
                                        ; implicit-def: $vgpr44
                                        ; implicit-def: $vgpr6_vgpr7
                                        ; implicit-def: $vgpr8_vgpr9
	s_and_saveexec_b32 s3, s4
	s_delay_alu instid0(SALU_CYCLE_1)
	s_xor_b32 s5, exec_lo, s3
	s_cbranch_execz .LBB131_226
; %bb.225:                              ;   in Loop: Header=BB131_185 Depth=1
	v_ldexp_f64 v[6:7], |v[16:17]|, 0xffffff80
	v_cmp_le_f64_e64 s3, 0x7b000000, |v[16:17]|
	v_trig_preop_f64 v[8:9], |v[16:17]|, 0
	v_trig_preop_f64 v[14:15], |v[16:17]|, 1
	;; [unrolled: 1-line block ×3, first 2 shown]
	s_delay_alu instid0(VALU_DEP_4) | instskip(NEXT) | instid1(VALU_DEP_1)
	v_dual_cndmask_b32 v7, v46, v7, s3 :: v_dual_cndmask_b32 v6, v16, v6, s3
	v_mul_f64_e32 v[42:43], v[8:9], v[6:7]
	s_delay_alu instid0(VALU_DEP_4) | instskip(NEXT) | instid1(VALU_DEP_4)
	v_mul_f64_e32 v[44:45], v[14:15], v[6:7]
	v_mul_f64_e32 v[58:59], v[52:53], v[6:7]
	s_delay_alu instid0(VALU_DEP_3) | instskip(NEXT) | instid1(VALU_DEP_3)
	v_fma_f64 v[8:9], v[8:9], v[6:7], -v[42:43]
	v_fma_f64 v[14:15], v[14:15], v[6:7], -v[44:45]
	s_delay_alu instid0(VALU_DEP_3) | instskip(NEXT) | instid1(VALU_DEP_3)
	v_fma_f64 v[6:7], v[52:53], v[6:7], -v[58:59]
	v_add_f64_e32 v[48:49], v[44:45], v[8:9]
	s_delay_alu instid0(VALU_DEP_1) | instskip(SKIP_1) | instid1(VALU_DEP_2)
	v_add_f64_e64 v[50:51], v[48:49], -v[44:45]
	v_add_f64_e32 v[56:57], v[42:43], v[48:49]
	v_add_f64_e64 v[54:55], v[48:49], -v[50:51]
	v_add_f64_e64 v[8:9], v[8:9], -v[50:51]
	s_delay_alu instid0(VALU_DEP_3) | instskip(NEXT) | instid1(VALU_DEP_3)
	v_ldexp_f64 v[50:51], v[56:57], -2
	v_add_f64_e64 v[44:45], v[44:45], -v[54:55]
	v_add_f64_e32 v[54:55], v[58:59], v[14:15]
	s_delay_alu instid0(VALU_DEP_3) | instskip(NEXT) | instid1(VALU_DEP_3)
	v_cmp_neq_f64_e64 s3, 0x7ff00000, |v[50:51]|
	v_add_f64_e32 v[8:9], v[8:9], v[44:45]
	v_fract_f64_e32 v[44:45], v[50:51]
	s_delay_alu instid0(VALU_DEP_1) | instskip(NEXT) | instid1(VALU_DEP_1)
	v_ldexp_f64 v[44:45], v[44:45], 2
	v_dual_add_f64 v[42:43], v[56:57], -v[42:43] :: v_dual_cndmask_b32 v45, 0, v45, s3
	s_delay_alu instid0(VALU_DEP_1) | instskip(SKIP_1) | instid1(VALU_DEP_1)
	v_dual_add_f64 v[42:43], v[48:49], -v[42:43] :: v_dual_cndmask_b32 v44, 0, v44, s3
	v_add_f64_e32 v[48:49], v[54:55], v[8:9]
	v_add_f64_e32 v[50:51], v[42:43], v[48:49]
	v_add_f64_e64 v[60:61], v[48:49], -v[54:55]
	s_delay_alu instid0(VALU_DEP_2) | instskip(NEXT) | instid1(VALU_DEP_2)
	v_add_f64_e32 v[56:57], v[50:51], v[44:45]
	v_add_f64_e64 v[66:67], v[48:49], -v[60:61]
	v_add_f64_e64 v[8:9], v[8:9], -v[60:61]
	;; [unrolled: 1-line block ×3, first 2 shown]
	s_delay_alu instid0(VALU_DEP_4) | instskip(SKIP_1) | instid1(VALU_DEP_3)
	v_cmp_gt_f64_e64 s3, 0, v[56:57]
	v_add_f64_e64 v[56:57], v[54:55], -v[58:59]
	v_add_f64_e64 v[42:43], v[48:49], -v[42:43]
	s_delay_alu instid0(VALU_DEP_3) | instskip(NEXT) | instid1(VALU_DEP_3)
	v_cndmask_b32_e64 v27, 0, 0x40100000, s3
	v_add_f64_e64 v[64:65], v[54:55], -v[56:57]
	v_add_f64_e64 v[14:15], v[14:15], -v[56:57]
	;; [unrolled: 1-line block ×3, first 2 shown]
	s_delay_alu instid0(VALU_DEP_4) | instskip(NEXT) | instid1(VALU_DEP_4)
	v_add_f64_e32 v[44:45], v[44:45], v[26:27]
	v_add_f64_e64 v[56:57], v[58:59], -v[64:65]
	s_delay_alu instid0(VALU_DEP_3) | instskip(NEXT) | instid1(VALU_DEP_3)
	v_add_f64_e32 v[8:9], v[8:9], v[54:55]
	v_add_f64_e32 v[62:63], v[50:51], v[44:45]
	s_delay_alu instid0(VALU_DEP_3) | instskip(NEXT) | instid1(VALU_DEP_2)
	v_add_f64_e32 v[14:15], v[14:15], v[56:57]
	v_cvt_i32_f64_e32 v27, v[62:63]
	s_delay_alu instid0(VALU_DEP_2) | instskip(NEXT) | instid1(VALU_DEP_2)
	v_add_f64_e32 v[8:9], v[14:15], v[8:9]
	v_cvt_f64_i32_e32 v[60:61], v27
	s_delay_alu instid0(VALU_DEP_2) | instskip(NEXT) | instid1(VALU_DEP_2)
	v_add_f64_e32 v[6:7], v[6:7], v[8:9]
	v_add_f64_e64 v[44:45], v[44:45], -v[60:61]
	s_delay_alu instid0(VALU_DEP_2) | instskip(NEXT) | instid1(VALU_DEP_2)
	v_add_f64_e32 v[6:7], v[42:43], v[6:7]
	v_add_f64_e32 v[14:15], v[50:51], v[44:45]
	s_delay_alu instid0(VALU_DEP_1) | instskip(SKIP_1) | instid1(VALU_DEP_2)
	v_add_f64_e64 v[8:9], v[14:15], -v[44:45]
	v_cmp_le_f64_e64 s3, 0.5, v[14:15]
	v_add_f64_e64 v[8:9], v[50:51], -v[8:9]
	s_delay_alu instid0(VALU_DEP_2) | instskip(SKIP_1) | instid1(VALU_DEP_3)
	v_add_co_ci_u32_e64 v44, null, 0, v27, s3
	v_cndmask_b32_e64 v27, 0, 0x3ff00000, s3
	v_add_f64_e32 v[6:7], v[6:7], v[8:9]
	s_delay_alu instid0(VALU_DEP_2) | instskip(NEXT) | instid1(VALU_DEP_1)
	v_add_f64_e64 v[8:9], v[14:15], -v[26:27]
	v_add_f64_e32 v[14:15], v[8:9], v[6:7]
	s_delay_alu instid0(VALU_DEP_1) | instskip(SKIP_1) | instid1(VALU_DEP_2)
	v_mul_f64_e32 v[42:43], 0x3ff921fb54442d18, v[14:15]
	v_add_f64_e64 v[8:9], v[14:15], -v[8:9]
	v_fma_f64 v[48:49], v[14:15], s[14:15], -v[42:43]
	s_delay_alu instid0(VALU_DEP_2) | instskip(NEXT) | instid1(VALU_DEP_2)
	v_add_f64_e64 v[6:7], v[6:7], -v[8:9]
	v_fmac_f64_e32 v[48:49], 0x3c91a62633145c07, v[14:15]
	s_delay_alu instid0(VALU_DEP_1) | instskip(NEXT) | instid1(VALU_DEP_1)
	v_fmac_f64_e32 v[48:49], 0x3ff921fb54442d18, v[6:7]
	v_add_f64_e32 v[6:7], v[42:43], v[48:49]
	s_delay_alu instid0(VALU_DEP_1) | instskip(NEXT) | instid1(VALU_DEP_1)
	v_add_f64_e64 v[8:9], v[6:7], -v[42:43]
	v_add_f64_e64 v[8:9], v[48:49], -v[8:9]
	s_and_not1_saveexec_b32 s3, s5
	s_cbranch_execz .LBB131_228
	s_branch .LBB131_227
.LBB131_226:                            ;   in Loop: Header=BB131_185 Depth=1
	s_and_not1_saveexec_b32 s3, s5
	s_cbranch_execz .LBB131_228
.LBB131_227:                            ;   in Loop: Header=BB131_185 Depth=1
	v_mul_f64_e64 v[6:7], |v[16:17]|, s[16:17]
	s_delay_alu instid0(VALU_DEP_1) | instskip(NEXT) | instid1(VALU_DEP_1)
	v_rndne_f64_e32 v[14:15], v[6:7]
	v_fma_f64 v[6:7], v[14:15], s[22:23], |v[16:17]|
	v_mul_f64_e32 v[8:9], 0xbc91a62633145c00, v[14:15]
	s_delay_alu instid0(VALU_DEP_2) | instskip(NEXT) | instid1(VALU_DEP_2)
	v_fmamk_f64 v[48:49], v[14:15], 0xbc91a62633145c00, v[6:7]
	v_add_f64_e32 v[42:43], v[6:7], v[8:9]
	s_delay_alu instid0(VALU_DEP_1) | instskip(NEXT) | instid1(VALU_DEP_3)
	v_add_f64_e64 v[44:45], v[6:7], -v[42:43]
	v_add_f64_e64 v[6:7], v[42:43], -v[48:49]
	s_delay_alu instid0(VALU_DEP_2) | instskip(SKIP_2) | instid1(VALU_DEP_3)
	v_add_f64_e32 v[42:43], v[44:45], v[8:9]
	v_fmamk_f64 v[8:9], v[14:15], 0x3c91a62633145c00, v[8:9]
	v_cvt_i32_f64_e32 v44, v[14:15]
	v_add_f64_e32 v[6:7], v[6:7], v[42:43]
	s_delay_alu instid0(VALU_DEP_1) | instskip(NEXT) | instid1(VALU_DEP_1)
	v_add_f64_e64 v[8:9], v[6:7], -v[8:9]
	v_fmac_f64_e32 v[8:9], 0xb97b839a252049c0, v[14:15]
	s_delay_alu instid0(VALU_DEP_1) | instskip(NEXT) | instid1(VALU_DEP_1)
	v_add_f64_e32 v[6:7], v[48:49], v[8:9]
	v_add_f64_e64 v[42:43], v[6:7], -v[48:49]
	s_delay_alu instid0(VALU_DEP_1)
	v_add_f64_e64 v[8:9], v[8:9], -v[42:43]
.LBB131_228:                            ;   in Loop: Header=BB131_185 Depth=1
	s_or_b32 exec_lo, exec_lo, s3
                                        ; implicit-def: $vgpr45
                                        ; implicit-def: $vgpr14_vgpr15
                                        ; implicit-def: $vgpr42_vgpr43
	s_and_saveexec_b32 s3, s4
	s_delay_alu instid0(SALU_CYCLE_1)
	s_xor_b32 s4, exec_lo, s3
	s_cbranch_execz .LBB131_230
; %bb.229:                              ;   in Loop: Header=BB131_185 Depth=1
	v_ldexp_f64 v[14:15], |v[16:17]|, 0xffffff80
	v_cmp_le_f64_e64 s3, 0x7b000000, |v[16:17]|
	v_trig_preop_f64 v[42:43], |v[16:17]|, 0
	v_trig_preop_f64 v[56:57], |v[16:17]|, 2
	s_delay_alu instid0(VALU_DEP_3) | instskip(SKIP_1) | instid1(VALU_DEP_2)
	v_dual_cndmask_b32 v15, v46, v15, s3 :: v_dual_cndmask_b32 v14, v16, v14, s3
	v_trig_preop_f64 v[46:47], |v[16:17]|, 1
	v_mul_f64_e32 v[48:49], v[42:43], v[14:15]
	s_delay_alu instid0(VALU_DEP_4) | instskip(NEXT) | instid1(VALU_DEP_3)
	v_mul_f64_e32 v[62:63], v[56:57], v[14:15]
	v_mul_f64_e32 v[50:51], v[46:47], v[14:15]
	s_delay_alu instid0(VALU_DEP_3) | instskip(NEXT) | instid1(VALU_DEP_2)
	v_fma_f64 v[42:43], v[42:43], v[14:15], -v[48:49]
	v_fma_f64 v[46:47], v[46:47], v[14:15], -v[50:51]
	s_delay_alu instid0(VALU_DEP_4) | instskip(NEXT) | instid1(VALU_DEP_3)
	v_fma_f64 v[14:15], v[56:57], v[14:15], -v[62:63]
	v_add_f64_e32 v[52:53], v[50:51], v[42:43]
	s_delay_alu instid0(VALU_DEP_1) | instskip(SKIP_1) | instid1(VALU_DEP_2)
	v_add_f64_e64 v[54:55], v[52:53], -v[50:51]
	v_add_f64_e32 v[60:61], v[48:49], v[52:53]
	v_add_f64_e64 v[58:59], v[52:53], -v[54:55]
	v_add_f64_e64 v[42:43], v[42:43], -v[54:55]
	s_delay_alu instid0(VALU_DEP_3) | instskip(NEXT) | instid1(VALU_DEP_3)
	v_ldexp_f64 v[54:55], v[60:61], -2
	v_add_f64_e64 v[50:51], v[50:51], -v[58:59]
	v_add_f64_e32 v[58:59], v[62:63], v[46:47]
	s_delay_alu instid0(VALU_DEP_3) | instskip(NEXT) | instid1(VALU_DEP_3)
	v_cmp_neq_f64_e64 s3, 0x7ff00000, |v[54:55]|
	v_add_f64_e32 v[42:43], v[42:43], v[50:51]
	v_fract_f64_e32 v[50:51], v[54:55]
	s_delay_alu instid0(VALU_DEP_1) | instskip(NEXT) | instid1(VALU_DEP_1)
	v_ldexp_f64 v[50:51], v[50:51], 2
	v_dual_add_f64 v[48:49], v[60:61], -v[48:49] :: v_dual_cndmask_b32 v51, 0, v51, s3
	s_delay_alu instid0(VALU_DEP_1) | instskip(SKIP_1) | instid1(VALU_DEP_1)
	v_dual_add_f64 v[48:49], v[52:53], -v[48:49] :: v_dual_cndmask_b32 v50, 0, v50, s3
	v_add_f64_e32 v[52:53], v[58:59], v[42:43]
	v_add_f64_e32 v[54:55], v[48:49], v[52:53]
	v_add_f64_e64 v[64:65], v[52:53], -v[58:59]
	s_delay_alu instid0(VALU_DEP_2) | instskip(NEXT) | instid1(VALU_DEP_2)
	v_add_f64_e32 v[60:61], v[54:55], v[50:51]
	v_add_f64_e64 v[70:71], v[52:53], -v[64:65]
	v_add_f64_e64 v[42:43], v[42:43], -v[64:65]
	;; [unrolled: 1-line block ×3, first 2 shown]
	s_delay_alu instid0(VALU_DEP_4) | instskip(SKIP_1) | instid1(VALU_DEP_3)
	v_cmp_gt_f64_e64 s3, 0, v[60:61]
	v_add_f64_e64 v[60:61], v[58:59], -v[62:63]
	v_add_f64_e64 v[48:49], v[52:53], -v[48:49]
	s_delay_alu instid0(VALU_DEP_3) | instskip(NEXT) | instid1(VALU_DEP_3)
	v_cndmask_b32_e64 v27, 0, 0x40100000, s3
	v_add_f64_e64 v[68:69], v[58:59], -v[60:61]
	v_add_f64_e64 v[46:47], v[46:47], -v[60:61]
	v_add_f64_e64 v[58:59], v[58:59], -v[70:71]
	s_delay_alu instid0(VALU_DEP_4) | instskip(NEXT) | instid1(VALU_DEP_4)
	v_add_f64_e32 v[50:51], v[50:51], v[26:27]
	v_add_f64_e64 v[60:61], v[62:63], -v[68:69]
	s_delay_alu instid0(VALU_DEP_3) | instskip(NEXT) | instid1(VALU_DEP_3)
	v_add_f64_e32 v[42:43], v[42:43], v[58:59]
	v_add_f64_e32 v[66:67], v[54:55], v[50:51]
	s_delay_alu instid0(VALU_DEP_3) | instskip(NEXT) | instid1(VALU_DEP_2)
	v_add_f64_e32 v[46:47], v[46:47], v[60:61]
	v_cvt_i32_f64_e32 v27, v[66:67]
	s_delay_alu instid0(VALU_DEP_2) | instskip(NEXT) | instid1(VALU_DEP_2)
	v_add_f64_e32 v[42:43], v[46:47], v[42:43]
	v_cvt_f64_i32_e32 v[64:65], v27
	s_delay_alu instid0(VALU_DEP_2) | instskip(NEXT) | instid1(VALU_DEP_2)
	v_add_f64_e32 v[14:15], v[14:15], v[42:43]
	v_add_f64_e64 v[50:51], v[50:51], -v[64:65]
	s_delay_alu instid0(VALU_DEP_2) | instskip(NEXT) | instid1(VALU_DEP_2)
	v_add_f64_e32 v[14:15], v[48:49], v[14:15]
	v_add_f64_e32 v[46:47], v[54:55], v[50:51]
	s_delay_alu instid0(VALU_DEP_1) | instskip(SKIP_1) | instid1(VALU_DEP_2)
	v_add_f64_e64 v[42:43], v[46:47], -v[50:51]
	v_cmp_le_f64_e64 s3, 0.5, v[46:47]
	v_add_f64_e64 v[42:43], v[54:55], -v[42:43]
	s_delay_alu instid0(VALU_DEP_2) | instskip(SKIP_1) | instid1(VALU_DEP_3)
	v_add_co_ci_u32_e64 v45, null, 0, v27, s3
	v_cndmask_b32_e64 v27, 0, 0x3ff00000, s3
	v_add_f64_e32 v[14:15], v[14:15], v[42:43]
	s_delay_alu instid0(VALU_DEP_2) | instskip(NEXT) | instid1(VALU_DEP_1)
	v_add_f64_e64 v[42:43], v[46:47], -v[26:27]
	v_add_f64_e32 v[46:47], v[42:43], v[14:15]
	s_delay_alu instid0(VALU_DEP_1) | instskip(SKIP_1) | instid1(VALU_DEP_2)
	v_mul_f64_e32 v[48:49], 0x3ff921fb54442d18, v[46:47]
	v_add_f64_e64 v[42:43], v[46:47], -v[42:43]
	v_fma_f64 v[50:51], v[46:47], s[14:15], -v[48:49]
	s_delay_alu instid0(VALU_DEP_2) | instskip(NEXT) | instid1(VALU_DEP_2)
	v_add_f64_e64 v[14:15], v[14:15], -v[42:43]
	v_fmac_f64_e32 v[50:51], 0x3c91a62633145c07, v[46:47]
	s_delay_alu instid0(VALU_DEP_1) | instskip(NEXT) | instid1(VALU_DEP_1)
	v_fmac_f64_e32 v[50:51], 0x3ff921fb54442d18, v[14:15]
	v_add_f64_e32 v[14:15], v[48:49], v[50:51]
	s_delay_alu instid0(VALU_DEP_1) | instskip(NEXT) | instid1(VALU_DEP_1)
	v_add_f64_e64 v[42:43], v[14:15], -v[48:49]
	v_add_f64_e64 v[42:43], v[50:51], -v[42:43]
	s_and_not1_saveexec_b32 s3, s4
	s_cbranch_execnz .LBB131_231
	s_branch .LBB131_232
.LBB131_230:                            ;   in Loop: Header=BB131_185 Depth=1
	s_and_not1_saveexec_b32 s3, s4
	s_cbranch_execz .LBB131_232
.LBB131_231:                            ;   in Loop: Header=BB131_185 Depth=1
	v_mul_f64_e64 v[14:15], |v[16:17]|, s[16:17]
	s_delay_alu instid0(VALU_DEP_1) | instskip(NEXT) | instid1(VALU_DEP_1)
	v_rndne_f64_e32 v[46:47], v[14:15]
	v_fma_f64 v[14:15], v[46:47], s[22:23], |v[16:17]|
	v_mul_f64_e32 v[42:43], 0xbc91a62633145c00, v[46:47]
	v_cvt_i32_f64_e32 v45, v[46:47]
	s_delay_alu instid0(VALU_DEP_3) | instskip(NEXT) | instid1(VALU_DEP_3)
	v_fmamk_f64 v[52:53], v[46:47], 0xbc91a62633145c00, v[14:15]
	v_add_f64_e32 v[48:49], v[14:15], v[42:43]
	s_delay_alu instid0(VALU_DEP_1) | instskip(NEXT) | instid1(VALU_DEP_3)
	v_add_f64_e64 v[50:51], v[14:15], -v[48:49]
	v_add_f64_e64 v[14:15], v[48:49], -v[52:53]
	s_delay_alu instid0(VALU_DEP_2) | instskip(SKIP_1) | instid1(VALU_DEP_2)
	v_add_f64_e32 v[48:49], v[50:51], v[42:43]
	v_fmamk_f64 v[42:43], v[46:47], 0x3c91a62633145c00, v[42:43]
	v_add_f64_e32 v[14:15], v[14:15], v[48:49]
	s_delay_alu instid0(VALU_DEP_1) | instskip(NEXT) | instid1(VALU_DEP_1)
	v_add_f64_e64 v[42:43], v[14:15], -v[42:43]
	v_fmac_f64_e32 v[42:43], 0xb97b839a252049c0, v[46:47]
	s_delay_alu instid0(VALU_DEP_1) | instskip(NEXT) | instid1(VALU_DEP_1)
	v_add_f64_e32 v[14:15], v[52:53], v[42:43]
	v_add_f64_e64 v[48:49], v[14:15], -v[52:53]
	s_delay_alu instid0(VALU_DEP_1)
	v_add_f64_e64 v[42:43], v[42:43], -v[48:49]
.LBB131_232:                            ;   in Loop: Header=BB131_185 Depth=1
	s_or_b32 exec_lo, exec_lo, s3
	v_dual_mul_f64 v[46:47], v[6:7], v[6:7] :: v_dual_bitop2_b32 v27, 1, v44 bitop3:0x40
	v_mul_f64_e32 v[48:49], v[14:15], v[14:15]
	s_delay_alu instid0(VALU_DEP_3) | instskip(NEXT) | instid1(VALU_DEP_4)
	v_mul_f64_e32 v[58:59], 0.5, v[8:9]
	v_mul_f64_e32 v[66:67], 0.5, v[42:43]
	v_cmp_class_f64_e64 s4, v[16:17], 0x1f8
	v_cmp_eq_u32_e64 s3, 0, v27
	v_lshlrev_b32_e32 v16, 30, v45
	s_delay_alu instid0(VALU_DEP_1) | instskip(SKIP_4) | instid1(VALU_DEP_3)
	v_dual_mul_f64 v[50:51], 0.5, v[46:47] :: v_dual_bitop2_b32 v16, v16, v17 bitop3:0x14
	v_mul_f64_e64 v[60:61], v[6:7], -v[46:47]
	v_fmamk_f64 v[64:65], v[46:47], 0x3de5e0b2f9a43bb8, v[32:33]
	v_mul_f64_e64 v[68:69], v[14:15], -v[48:49]
	v_fmamk_f64 v[72:73], v[48:49], 0x3de5e0b2f9a43bb8, v[32:33]
	v_fmaak_f64 v[64:65], v[46:47], v[64:65], 0x3ec71de3796cde01
	s_delay_alu instid0(VALU_DEP_1) | instskip(NEXT) | instid1(VALU_DEP_1)
	v_fmaak_f64 v[64:65], v[46:47], v[64:65], 0xbf2a01a019e83e5c
	v_fmaak_f64 v[64:65], v[46:47], v[64:65], 0x3f81111111110bb3
	v_add_f64_e64 v[54:55], -v[50:51], 1.0
	s_delay_alu instid0(VALU_DEP_2) | instskip(SKIP_1) | instid1(VALU_DEP_3)
	v_fmac_f64_e32 v[58:59], v[60:61], v[64:65]
	v_mul_f64_e32 v[64:65], v[46:47], v[46:47]
	v_add_f64_e64 v[62:63], -v[54:55], 1.0
	s_delay_alu instid0(VALU_DEP_3) | instskip(NEXT) | instid1(VALU_DEP_2)
	v_fma_f64 v[58:59], v[46:47], v[58:59], -v[8:9]
	v_add_f64_e64 v[50:51], v[62:63], -v[50:51]
	v_fmaak_f64 v[62:63], v[48:49], v[72:73], 0x3ec71de3796cde01
	s_delay_alu instid0(VALU_DEP_3) | instskip(NEXT) | instid1(VALU_DEP_2)
	v_fmac_f64_e32 v[58:59], 0xbfc5555555555555, v[60:61]
	v_fmaak_f64 v[62:63], v[48:49], v[62:63], 0xbf2a01a019e83e5c
	s_delay_alu instid0(VALU_DEP_1) | instskip(NEXT) | instid1(VALU_DEP_1)
	v_fmaak_f64 v[62:63], v[48:49], v[62:63], 0x3f81111111110bb3
	v_fmac_f64_e32 v[66:67], v[68:69], v[62:63]
	v_fmamk_f64 v[62:63], v[46:47], 0xbda907db46cc5e42, v[30:31]
	v_fma_f64 v[8:9], v[6:7], -v[8:9], v[50:51]
	s_delay_alu instid0(VALU_DEP_2) | instskip(SKIP_1) | instid1(VALU_DEP_2)
	v_fmaak_f64 v[50:51], v[46:47], v[62:63], 0xbe927e4fa17f65f6
	v_add_f64_e64 v[6:7], v[6:7], -v[58:59]
	v_fmaak_f64 v[50:51], v[46:47], v[50:51], 0x3efa01a019f4ec90
	s_delay_alu instid0(VALU_DEP_1) | instskip(NEXT) | instid1(VALU_DEP_1)
	v_fmaak_f64 v[50:51], v[46:47], v[50:51], 0xbf56c16c16c16967
	v_fmaak_f64 v[46:47], v[46:47], v[50:51], 0x3fa5555555555555
	s_delay_alu instid0(VALU_DEP_1) | instskip(SKIP_1) | instid1(VALU_DEP_2)
	v_fmac_f64_e32 v[8:9], v[64:65], v[46:47]
	v_xor_b32_e32 v7, 0x80000000, v7
	v_add_f64_e32 v[8:9], v[54:55], v[8:9]
	s_delay_alu instid0(VALU_DEP_1) | instskip(SKIP_1) | instid1(VALU_DEP_3)
	v_dual_cndmask_b32 v6, v6, v8, s3 :: v_dual_bitop2_b32 v8, 1, v45 bitop3:0x40
	v_fmamk_f64 v[62:63], v[48:49], 0xbda907db46cc5e42, v[30:31]
	v_dual_fma_f64 v[66:67], v[48:49], v[66:67], -v[42:43] :: v_dual_cndmask_b32 v7, v7, v9, s3
	s_delay_alu instid0(VALU_DEP_3) | instskip(NEXT) | instid1(VALU_DEP_4)
	v_cndmask_b32_e64 v6, 0, v6, s4
	v_cmp_eq_u32_e64 s5, 0, v8
	v_mul_f64_e32 v[52:53], 0.5, v[48:49]
	v_lshlrev_b32_e32 v8, 30, v44
	v_fmaak_f64 v[50:51], v[48:49], v[62:63], 0xbe927e4fa17f65f6
	s_delay_alu instid0(VALU_DEP_2) | instskip(NEXT) | instid1(VALU_DEP_2)
	v_bitop3_b32 v7, v7, v8, 0x80000000 bitop3:0x78
	v_fmaak_f64 v[46:47], v[48:49], v[50:51], 0x3efa01a019f4ec90
	s_delay_alu instid0(VALU_DEP_2) | instskip(NEXT) | instid1(VALU_DEP_2)
	v_cndmask_b32_e64 v7, 0x7ff80000, v7, s4
	v_fmaak_f64 v[46:47], v[48:49], v[46:47], 0xbf56c16c16c16967
	s_delay_alu instid0(VALU_DEP_1) | instskip(SKIP_2) | instid1(VALU_DEP_1)
	v_fmaak_f64 v[46:47], v[48:49], v[46:47], 0x3fa5555555555555
	v_fmac_f64_e32 v[66:67], 0xbfc5555555555555, v[68:69]
	v_add_f64_e64 v[56:57], -v[52:53], 1.0
	v_add_f64_e64 v[70:71], -v[56:57], 1.0
	s_delay_alu instid0(VALU_DEP_1) | instskip(SKIP_1) | instid1(VALU_DEP_2)
	v_add_f64_e64 v[52:53], v[70:71], -v[52:53]
	v_mul_f64_e32 v[70:71], v[48:49], v[48:49]
	v_fma_f64 v[42:43], v[14:15], -v[42:43], v[52:53]
	v_add_f64_e64 v[14:15], v[14:15], -v[66:67]
	s_delay_alu instid0(VALU_DEP_2) | instskip(NEXT) | instid1(VALU_DEP_1)
	v_fmac_f64_e32 v[42:43], v[70:71], v[46:47]
	v_add_f64_e32 v[42:43], v[56:57], v[42:43]
	s_delay_alu instid0(VALU_DEP_1) | instskip(NEXT) | instid1(VALU_DEP_1)
	v_dual_cndmask_b32 v9, v42, v14, s5 :: v_dual_cndmask_b32 v14, v43, v15, s5
	v_cndmask_b32_e64 v8, 0, v9, s4
	s_delay_alu instid0(VALU_DEP_2) | instskip(NEXT) | instid1(VALU_DEP_1)
	v_bitop3_b32 v14, v14, v16, 0x80000000 bitop3:0x78
	v_cndmask_b32_e64 v9, 0x7ff80000, v14, s4
.LBB131_233:                            ;   in Loop: Header=BB131_185 Depth=1
	s_or_b32 exec_lo, exec_lo, s6
                                        ; implicit-def: $vgpr14_vgpr15
.LBB131_234:                            ;   in Loop: Header=BB131_185 Depth=1
	s_and_not1_saveexec_b32 s5, s29
	s_cbranch_execz .LBB131_236
; %bb.235:                              ;   in Loop: Header=BB131_185 Depth=1
	v_mul_f64_e32 v[6:7], 0x3ff71547652b82fe, v[14:15]
	v_cmp_nlt_f64_e64 s3, 0x40900000, v[14:15]
	v_cmp_ngt_f64_e64 s4, 0xc090cc00, v[14:15]
	s_delay_alu instid0(VALU_DEP_3) | instskip(NEXT) | instid1(VALU_DEP_1)
	v_rndne_f64_e32 v[6:7], v[6:7]
	v_fmamk_f64 v[8:9], v[6:7], 0xbfe62e42fefa39ef, v[14:15]
	v_cvt_i32_f64_e32 v27, v[6:7]
	s_delay_alu instid0(VALU_DEP_2) | instskip(NEXT) | instid1(VALU_DEP_1)
	v_fmac_f64_e32 v[8:9], 0xbc7abc9e3b39803f, v[6:7]
	v_fmamk_f64 v[42:43], v[8:9], 0x3e5ade156a5dcb37, v[28:29]
	s_delay_alu instid0(VALU_DEP_1) | instskip(NEXT) | instid1(VALU_DEP_1)
	v_fmaak_f64 v[42:43], v[8:9], v[42:43], 0x3ec71dee623fde64
	v_fmaak_f64 v[42:43], v[8:9], v[42:43], 0x3efa01997c89e6b0
	s_delay_alu instid0(VALU_DEP_1) | instskip(NEXT) | instid1(VALU_DEP_1)
	v_fmaak_f64 v[42:43], v[8:9], v[42:43], 0x3f2a01a014761f6e
	v_fmaak_f64 v[42:43], v[8:9], v[42:43], 0x3f56c16c1852b7b0
	;; [unrolled: 3-line block ×4, first 2 shown]
	s_delay_alu instid0(VALU_DEP_1) | instskip(NEXT) | instid1(VALU_DEP_1)
	v_fma_f64 v[42:43], v[8:9], v[42:43], 1.0
	v_fma_f64 v[6:7], v[8:9], v[42:43], 1.0
	v_mov_b64_e32 v[8:9], v[16:17]
	s_delay_alu instid0(VALU_DEP_2) | instskip(NEXT) | instid1(VALU_DEP_1)
	v_ldexp_f64 v[6:7], v[6:7], v27
	v_cndmask_b32_e64 v7, 0x7ff00000, v7, s3
	s_and_b32 s3, s4, s3
	s_delay_alu instid0(VALU_DEP_1) | instid1(SALU_CYCLE_1)
	v_dual_cndmask_b32 v6, 0, v6, s3 :: v_dual_cndmask_b32 v7, 0, v7, s4
.LBB131_236:                            ;   in Loop: Header=BB131_185 Depth=1
	s_or_b32 exec_lo, exec_lo, s5
	v_and_b32_e32 v46, 0x7fffffff, v21
	s_delay_alu instid0(VALU_DEP_1) | instskip(NEXT) | instid1(VALU_DEP_1)
	v_or_b32_e32 v14, v46, v20
	v_cmp_ne_u32_e64 s3, 0, v14
                                        ; implicit-def: $vgpr16_vgpr17
	s_and_saveexec_b32 s4, s3
	s_delay_alu instid0(SALU_CYCLE_1)
	s_xor_b32 s29, exec_lo, s4
	s_cbranch_execz .LBB131_279
; %bb.237:                              ;   in Loop: Header=BB131_185 Depth=1
	v_and_b32_e32 v27, 0x7fffffff, v19
	s_delay_alu instid0(VALU_DEP_1) | instskip(NEXT) | instid1(VALU_DEP_1)
	v_or_b32_e32 v14, v27, v18
	v_cmp_ne_u32_e64 s3, 0, v14
                                        ; implicit-def: $vgpr16_vgpr17
	s_and_saveexec_b32 s4, s3
	s_delay_alu instid0(SALU_CYCLE_1)
	s_xor_b32 s30, exec_lo, s4
	s_cbranch_execz .LBB131_268
; %bb.238:                              ;   in Loop: Header=BB131_185 Depth=1
                                        ; implicit-def: $vgpr16_vgpr17
	s_mov_b32 s4, exec_lo
	v_cmpx_gt_u32_e32 0x7ff00000, v46
	s_xor_b32 s31, exec_lo, s4
	s_cbranch_execz .LBB131_261
; %bb.239:                              ;   in Loop: Header=BB131_185 Depth=1
	v_add_nc_u32_e32 v14, 0xbf79d1be, v19
	s_delay_alu instid0(VALU_DEP_1) | instskip(SKIP_1) | instid1(SALU_CYCLE_1)
	v_cmp_lt_u32_e64 s3, 0x108aa2, v14
                                        ; implicit-def: $vgpr16_vgpr17
	s_and_saveexec_b32 s4, s3
	s_xor_b32 s33, exec_lo, s4
	s_cbranch_execz .LBB131_250
; %bb.240:                              ;   in Loop: Header=BB131_185 Depth=1
	v_cmp_ngt_f64_e64 s4, 0x41d00000, |v[20:21]|
                                        ; implicit-def: $vgpr47
                                        ; implicit-def: $vgpr14_vgpr15
                                        ; implicit-def: $vgpr16_vgpr17
	s_and_saveexec_b32 s3, s4
	s_delay_alu instid0(SALU_CYCLE_1)
	s_xor_b32 s5, exec_lo, s3
	s_cbranch_execz .LBB131_243
; %bb.241:                              ;   in Loop: Header=BB131_185 Depth=1
	v_ldexp_f64 v[14:15], |v[20:21]|, 0xffffff80
	v_cmp_le_f64_e64 s3, 0x7b000000, |v[20:21]|
	v_trig_preop_f64 v[16:17], |v[20:21]|, 0
	v_trig_preop_f64 v[42:43], |v[20:21]|, 1
	;; [unrolled: 1-line block ×3, first 2 shown]
	s_delay_alu instid0(VALU_DEP_4) | instskip(NEXT) | instid1(VALU_DEP_1)
	v_dual_cndmask_b32 v15, v46, v15, s3 :: v_dual_cndmask_b32 v14, v20, v14, s3
	v_mul_f64_e32 v[44:45], v[16:17], v[14:15]
	s_delay_alu instid0(VALU_DEP_4) | instskip(NEXT) | instid1(VALU_DEP_4)
	v_mul_f64_e32 v[48:49], v[42:43], v[14:15]
	v_mul_f64_e32 v[60:61], v[54:55], v[14:15]
	s_delay_alu instid0(VALU_DEP_3) | instskip(NEXT) | instid1(VALU_DEP_3)
	v_fma_f64 v[16:17], v[16:17], v[14:15], -v[44:45]
	v_fma_f64 v[42:43], v[42:43], v[14:15], -v[48:49]
	s_delay_alu instid0(VALU_DEP_3) | instskip(NEXT) | instid1(VALU_DEP_3)
	v_fma_f64 v[14:15], v[54:55], v[14:15], -v[60:61]
	v_add_f64_e32 v[50:51], v[48:49], v[16:17]
	s_delay_alu instid0(VALU_DEP_1) | instskip(SKIP_1) | instid1(VALU_DEP_2)
	v_add_f64_e64 v[52:53], v[50:51], -v[48:49]
	v_add_f64_e32 v[58:59], v[44:45], v[50:51]
	v_add_f64_e64 v[56:57], v[50:51], -v[52:53]
	v_add_f64_e64 v[16:17], v[16:17], -v[52:53]
	s_delay_alu instid0(VALU_DEP_3) | instskip(NEXT) | instid1(VALU_DEP_3)
	v_ldexp_f64 v[52:53], v[58:59], -2
	v_add_f64_e64 v[48:49], v[48:49], -v[56:57]
	v_add_f64_e32 v[56:57], v[60:61], v[42:43]
	s_delay_alu instid0(VALU_DEP_3) | instskip(NEXT) | instid1(VALU_DEP_3)
	v_cmp_neq_f64_e64 s3, 0x7ff00000, |v[52:53]|
	v_add_f64_e32 v[16:17], v[16:17], v[48:49]
	v_fract_f64_e32 v[48:49], v[52:53]
	s_delay_alu instid0(VALU_DEP_1) | instskip(NEXT) | instid1(VALU_DEP_1)
	v_ldexp_f64 v[48:49], v[48:49], 2
	v_cndmask_b32_e64 v49, 0, v49, s3
	v_add_f64_e64 v[44:45], v[58:59], -v[44:45]
	s_delay_alu instid0(VALU_DEP_3) | instskip(NEXT) | instid1(VALU_DEP_2)
	v_cndmask_b32_e64 v48, 0, v48, s3
	v_add_f64_e64 v[44:45], v[50:51], -v[44:45]
	v_add_f64_e32 v[50:51], v[56:57], v[16:17]
	s_delay_alu instid0(VALU_DEP_1) | instskip(SKIP_1) | instid1(VALU_DEP_2)
	v_add_f64_e32 v[52:53], v[44:45], v[50:51]
	v_add_f64_e64 v[62:63], v[50:51], -v[56:57]
	v_add_f64_e32 v[58:59], v[52:53], v[48:49]
	s_delay_alu instid0(VALU_DEP_2) | instskip(SKIP_2) | instid1(VALU_DEP_4)
	v_add_f64_e64 v[68:69], v[50:51], -v[62:63]
	v_add_f64_e64 v[16:17], v[16:17], -v[62:63]
	;; [unrolled: 1-line block ×3, first 2 shown]
	v_cmp_gt_f64_e64 s3, 0, v[58:59]
	v_add_f64_e64 v[58:59], v[56:57], -v[60:61]
	s_delay_alu instid0(VALU_DEP_3) | instskip(NEXT) | instid1(VALU_DEP_3)
	v_add_f64_e64 v[44:45], v[50:51], -v[44:45]
	v_cndmask_b32_e64 v27, 0, 0x40100000, s3
	s_delay_alu instid0(VALU_DEP_3) | instskip(SKIP_2) | instid1(VALU_DEP_4)
	v_add_f64_e64 v[66:67], v[56:57], -v[58:59]
	v_add_f64_e64 v[42:43], v[42:43], -v[58:59]
	v_add_f64_e64 v[56:57], v[56:57], -v[68:69]
	v_add_f64_e32 v[48:49], v[48:49], v[26:27]
	s_delay_alu instid0(VALU_DEP_4) | instskip(NEXT) | instid1(VALU_DEP_3)
	v_add_f64_e64 v[58:59], v[60:61], -v[66:67]
	v_add_f64_e32 v[16:17], v[16:17], v[56:57]
	s_delay_alu instid0(VALU_DEP_3) | instskip(NEXT) | instid1(VALU_DEP_3)
	v_add_f64_e32 v[64:65], v[52:53], v[48:49]
	v_add_f64_e32 v[42:43], v[42:43], v[58:59]
	s_delay_alu instid0(VALU_DEP_2) | instskip(NEXT) | instid1(VALU_DEP_2)
	v_cvt_i32_f64_e32 v27, v[64:65]
	v_add_f64_e32 v[16:17], v[42:43], v[16:17]
	s_delay_alu instid0(VALU_DEP_2) | instskip(NEXT) | instid1(VALU_DEP_2)
	v_cvt_f64_i32_e32 v[62:63], v27
	v_add_f64_e32 v[14:15], v[14:15], v[16:17]
	s_delay_alu instid0(VALU_DEP_2) | instskip(NEXT) | instid1(VALU_DEP_2)
	v_add_f64_e64 v[48:49], v[48:49], -v[62:63]
	v_add_f64_e32 v[14:15], v[44:45], v[14:15]
	s_delay_alu instid0(VALU_DEP_2) | instskip(NEXT) | instid1(VALU_DEP_1)
	v_add_f64_e32 v[42:43], v[52:53], v[48:49]
	v_add_f64_e64 v[16:17], v[42:43], -v[48:49]
	v_cmp_le_f64_e64 s3, 0.5, v[42:43]
	s_delay_alu instid0(VALU_DEP_2) | instskip(NEXT) | instid1(VALU_DEP_2)
	v_add_f64_e64 v[16:17], v[52:53], -v[16:17]
	v_add_co_ci_u32_e64 v47, null, 0, v27, s3
	v_cndmask_b32_e64 v27, 0, 0x3ff00000, s3
	s_delay_alu instid0(VALU_DEP_3) | instskip(NEXT) | instid1(VALU_DEP_2)
	v_add_f64_e32 v[14:15], v[14:15], v[16:17]
	v_add_f64_e64 v[16:17], v[42:43], -v[26:27]
	s_delay_alu instid0(VALU_DEP_1) | instskip(NEXT) | instid1(VALU_DEP_1)
	v_add_f64_e32 v[42:43], v[16:17], v[14:15]
	v_mul_f64_e32 v[44:45], 0x3ff921fb54442d18, v[42:43]
	v_add_f64_e64 v[16:17], v[42:43], -v[16:17]
	s_delay_alu instid0(VALU_DEP_2) | instskip(NEXT) | instid1(VALU_DEP_2)
	v_fma_f64 v[48:49], v[42:43], s[14:15], -v[44:45]
	v_add_f64_e64 v[14:15], v[14:15], -v[16:17]
	s_delay_alu instid0(VALU_DEP_2) | instskip(NEXT) | instid1(VALU_DEP_1)
	v_fmac_f64_e32 v[48:49], 0x3c91a62633145c07, v[42:43]
	v_fmac_f64_e32 v[48:49], 0x3ff921fb54442d18, v[14:15]
	s_delay_alu instid0(VALU_DEP_1) | instskip(NEXT) | instid1(VALU_DEP_1)
	v_add_f64_e32 v[14:15], v[44:45], v[48:49]
	v_add_f64_e64 v[16:17], v[14:15], -v[44:45]
	s_delay_alu instid0(VALU_DEP_1)
	v_add_f64_e64 v[16:17], v[48:49], -v[16:17]
	s_and_not1_saveexec_b32 s3, s5
	s_cbranch_execz .LBB131_245
	s_branch .LBB131_244
.LBB131_242:                            ;   in Loop: Header=BB131_185 Depth=1
	s_or_b32 exec_lo, exec_lo, s33
                                        ; implicit-def: $vgpr14_vgpr15
                                        ; implicit-def: $vgpr27
	s_and_not1_saveexec_b32 s5, s31
	s_cbranch_execnz .LBB131_217
	s_branch .LBB131_222
.LBB131_243:                            ;   in Loop: Header=BB131_185 Depth=1
	s_and_not1_saveexec_b32 s3, s5
	s_cbranch_execz .LBB131_245
.LBB131_244:                            ;   in Loop: Header=BB131_185 Depth=1
	v_mul_f64_e64 v[14:15], |v[20:21]|, s[16:17]
	s_delay_alu instid0(VALU_DEP_1) | instskip(NEXT) | instid1(VALU_DEP_1)
	v_rndne_f64_e32 v[42:43], v[14:15]
	v_fma_f64 v[14:15], v[42:43], s[22:23], |v[20:21]|
	v_mul_f64_e32 v[16:17], 0xbc91a62633145c00, v[42:43]
	v_cvt_i32_f64_e32 v47, v[42:43]
	s_delay_alu instid0(VALU_DEP_3) | instskip(NEXT) | instid1(VALU_DEP_3)
	v_fmamk_f64 v[50:51], v[42:43], 0xbc91a62633145c00, v[14:15]
	v_add_f64_e32 v[44:45], v[14:15], v[16:17]
	s_delay_alu instid0(VALU_DEP_1) | instskip(NEXT) | instid1(VALU_DEP_3)
	v_add_f64_e64 v[48:49], v[14:15], -v[44:45]
	v_add_f64_e64 v[14:15], v[44:45], -v[50:51]
	s_delay_alu instid0(VALU_DEP_2) | instskip(SKIP_1) | instid1(VALU_DEP_2)
	v_add_f64_e32 v[44:45], v[48:49], v[16:17]
	v_fmamk_f64 v[16:17], v[42:43], 0x3c91a62633145c00, v[16:17]
	v_add_f64_e32 v[14:15], v[14:15], v[44:45]
	s_delay_alu instid0(VALU_DEP_1) | instskip(NEXT) | instid1(VALU_DEP_1)
	v_add_f64_e64 v[16:17], v[14:15], -v[16:17]
	v_fmac_f64_e32 v[16:17], 0xb97b839a252049c0, v[42:43]
	s_delay_alu instid0(VALU_DEP_1) | instskip(NEXT) | instid1(VALU_DEP_1)
	v_add_f64_e32 v[14:15], v[50:51], v[16:17]
	v_add_f64_e64 v[44:45], v[14:15], -v[50:51]
	s_delay_alu instid0(VALU_DEP_1)
	v_add_f64_e64 v[16:17], v[16:17], -v[44:45]
.LBB131_245:                            ;   in Loop: Header=BB131_185 Depth=1
	s_or_b32 exec_lo, exec_lo, s3
                                        ; implicit-def: $vgpr48
                                        ; implicit-def: $vgpr42_vgpr43
                                        ; implicit-def: $vgpr44_vgpr45
	s_and_saveexec_b32 s3, s4
	s_delay_alu instid0(SALU_CYCLE_1)
	s_xor_b32 s4, exec_lo, s3
	s_cbranch_execz .LBB131_247
; %bb.246:                              ;   in Loop: Header=BB131_185 Depth=1
	v_ldexp_f64 v[42:43], |v[20:21]|, 0xffffff80
	v_cmp_le_f64_e64 s3, 0x7b000000, |v[20:21]|
	v_trig_preop_f64 v[44:45], |v[20:21]|, 0
	v_trig_preop_f64 v[48:49], |v[20:21]|, 1
	;; [unrolled: 1-line block ×3, first 2 shown]
	s_delay_alu instid0(VALU_DEP_4) | instskip(NEXT) | instid1(VALU_DEP_1)
	v_dual_cndmask_b32 v43, v46, v43, s3 :: v_dual_cndmask_b32 v42, v20, v42, s3
	v_mul_f64_e32 v[50:51], v[44:45], v[42:43]
	s_delay_alu instid0(VALU_DEP_4) | instskip(NEXT) | instid1(VALU_DEP_4)
	v_mul_f64_e32 v[52:53], v[48:49], v[42:43]
	v_mul_f64_e32 v[64:65], v[58:59], v[42:43]
	s_delay_alu instid0(VALU_DEP_3) | instskip(NEXT) | instid1(VALU_DEP_3)
	v_fma_f64 v[44:45], v[44:45], v[42:43], -v[50:51]
	v_fma_f64 v[48:49], v[48:49], v[42:43], -v[52:53]
	s_delay_alu instid0(VALU_DEP_3) | instskip(NEXT) | instid1(VALU_DEP_3)
	v_fma_f64 v[42:43], v[58:59], v[42:43], -v[64:65]
	v_add_f64_e32 v[54:55], v[52:53], v[44:45]
	s_delay_alu instid0(VALU_DEP_1) | instskip(SKIP_1) | instid1(VALU_DEP_2)
	v_add_f64_e64 v[56:57], v[54:55], -v[52:53]
	v_add_f64_e32 v[62:63], v[50:51], v[54:55]
	v_add_f64_e64 v[60:61], v[54:55], -v[56:57]
	v_add_f64_e64 v[44:45], v[44:45], -v[56:57]
	s_delay_alu instid0(VALU_DEP_3) | instskip(NEXT) | instid1(VALU_DEP_3)
	v_ldexp_f64 v[56:57], v[62:63], -2
	v_add_f64_e64 v[52:53], v[52:53], -v[60:61]
	v_add_f64_e32 v[60:61], v[64:65], v[48:49]
	s_delay_alu instid0(VALU_DEP_3) | instskip(NEXT) | instid1(VALU_DEP_3)
	v_cmp_neq_f64_e64 s3, 0x7ff00000, |v[56:57]|
	v_add_f64_e32 v[44:45], v[44:45], v[52:53]
	v_fract_f64_e32 v[52:53], v[56:57]
	s_delay_alu instid0(VALU_DEP_1) | instskip(NEXT) | instid1(VALU_DEP_1)
	v_ldexp_f64 v[52:53], v[52:53], 2
	v_dual_add_f64 v[50:51], v[62:63], -v[50:51] :: v_dual_cndmask_b32 v53, 0, v53, s3
	s_delay_alu instid0(VALU_DEP_1) | instskip(SKIP_1) | instid1(VALU_DEP_1)
	v_dual_add_f64 v[50:51], v[54:55], -v[50:51] :: v_dual_cndmask_b32 v52, 0, v52, s3
	v_add_f64_e32 v[54:55], v[60:61], v[44:45]
	v_add_f64_e32 v[56:57], v[50:51], v[54:55]
	v_add_f64_e64 v[66:67], v[54:55], -v[60:61]
	s_delay_alu instid0(VALU_DEP_2) | instskip(NEXT) | instid1(VALU_DEP_2)
	v_add_f64_e32 v[62:63], v[56:57], v[52:53]
	v_add_f64_e64 v[72:73], v[54:55], -v[66:67]
	v_add_f64_e64 v[44:45], v[44:45], -v[66:67]
	;; [unrolled: 1-line block ×3, first 2 shown]
	s_delay_alu instid0(VALU_DEP_4) | instskip(SKIP_1) | instid1(VALU_DEP_2)
	v_cmp_gt_f64_e64 s3, 0, v[62:63]
	v_add_f64_e64 v[62:63], v[60:61], -v[64:65]
	v_cndmask_b32_e64 v27, 0, 0x40100000, s3
	s_delay_alu instid0(VALU_DEP_2) | instskip(SKIP_2) | instid1(VALU_DEP_4)
	v_add_f64_e64 v[70:71], v[60:61], -v[62:63]
	v_add_f64_e64 v[48:49], v[48:49], -v[62:63]
	;; [unrolled: 1-line block ×3, first 2 shown]
	v_add_f64_e32 v[52:53], v[52:53], v[26:27]
	s_delay_alu instid0(VALU_DEP_4) | instskip(NEXT) | instid1(VALU_DEP_3)
	v_add_f64_e64 v[62:63], v[64:65], -v[70:71]
	v_add_f64_e32 v[44:45], v[44:45], v[60:61]
	s_delay_alu instid0(VALU_DEP_3) | instskip(NEXT) | instid1(VALU_DEP_3)
	v_add_f64_e32 v[68:69], v[56:57], v[52:53]
	v_add_f64_e32 v[48:49], v[48:49], v[62:63]
	s_delay_alu instid0(VALU_DEP_2) | instskip(NEXT) | instid1(VALU_DEP_2)
	v_cvt_i32_f64_e32 v27, v[68:69]
	v_add_f64_e32 v[44:45], v[48:49], v[44:45]
	v_add_f64_e64 v[48:49], v[54:55], -v[50:51]
	s_delay_alu instid0(VALU_DEP_3) | instskip(NEXT) | instid1(VALU_DEP_3)
	v_cvt_f64_i32_e32 v[66:67], v27
	v_add_f64_e32 v[42:43], v[42:43], v[44:45]
	s_delay_alu instid0(VALU_DEP_2) | instskip(NEXT) | instid1(VALU_DEP_2)
	v_add_f64_e64 v[52:53], v[52:53], -v[66:67]
	v_add_f64_e32 v[42:43], v[48:49], v[42:43]
	s_delay_alu instid0(VALU_DEP_2) | instskip(NEXT) | instid1(VALU_DEP_1)
	v_add_f64_e32 v[58:59], v[56:57], v[52:53]
	v_add_f64_e64 v[44:45], v[58:59], -v[52:53]
	v_cmp_le_f64_e64 s3, 0.5, v[58:59]
	s_delay_alu instid0(VALU_DEP_2) | instskip(NEXT) | instid1(VALU_DEP_2)
	v_add_f64_e64 v[44:45], v[56:57], -v[44:45]
	v_add_co_ci_u32_e64 v48, null, 0, v27, s3
	v_cndmask_b32_e64 v27, 0, 0x3ff00000, s3
	s_delay_alu instid0(VALU_DEP_3) | instskip(NEXT) | instid1(VALU_DEP_2)
	v_add_f64_e32 v[42:43], v[42:43], v[44:45]
	v_add_f64_e64 v[44:45], v[58:59], -v[26:27]
	s_delay_alu instid0(VALU_DEP_1) | instskip(NEXT) | instid1(VALU_DEP_1)
	v_add_f64_e32 v[50:51], v[44:45], v[42:43]
	v_mul_f64_e32 v[52:53], 0x3ff921fb54442d18, v[50:51]
	v_add_f64_e64 v[44:45], v[50:51], -v[44:45]
	s_delay_alu instid0(VALU_DEP_2) | instskip(NEXT) | instid1(VALU_DEP_2)
	v_fma_f64 v[54:55], v[50:51], s[14:15], -v[52:53]
	v_add_f64_e64 v[42:43], v[42:43], -v[44:45]
	s_delay_alu instid0(VALU_DEP_2) | instskip(NEXT) | instid1(VALU_DEP_1)
	v_fmac_f64_e32 v[54:55], 0x3c91a62633145c07, v[50:51]
	v_fmac_f64_e32 v[54:55], 0x3ff921fb54442d18, v[42:43]
	s_delay_alu instid0(VALU_DEP_1) | instskip(NEXT) | instid1(VALU_DEP_1)
	v_add_f64_e32 v[42:43], v[52:53], v[54:55]
	v_add_f64_e64 v[44:45], v[42:43], -v[52:53]
	s_delay_alu instid0(VALU_DEP_1)
	v_add_f64_e64 v[44:45], v[54:55], -v[44:45]
	s_and_not1_saveexec_b32 s3, s4
	s_cbranch_execnz .LBB131_248
	s_branch .LBB131_249
.LBB131_247:                            ;   in Loop: Header=BB131_185 Depth=1
	s_and_not1_saveexec_b32 s3, s4
	s_cbranch_execz .LBB131_249
.LBB131_248:                            ;   in Loop: Header=BB131_185 Depth=1
	v_mul_f64_e64 v[42:43], |v[20:21]|, s[16:17]
	s_delay_alu instid0(VALU_DEP_1) | instskip(NEXT) | instid1(VALU_DEP_1)
	v_rndne_f64_e32 v[48:49], v[42:43]
	v_fma_f64 v[42:43], v[48:49], s[22:23], |v[20:21]|
	v_mul_f64_e32 v[44:45], 0xbc91a62633145c00, v[48:49]
	s_delay_alu instid0(VALU_DEP_2) | instskip(NEXT) | instid1(VALU_DEP_2)
	v_fmamk_f64 v[54:55], v[48:49], 0xbc91a62633145c00, v[42:43]
	v_add_f64_e32 v[50:51], v[42:43], v[44:45]
	s_delay_alu instid0(VALU_DEP_1) | instskip(NEXT) | instid1(VALU_DEP_3)
	v_add_f64_e64 v[52:53], v[42:43], -v[50:51]
	v_add_f64_e64 v[42:43], v[50:51], -v[54:55]
	s_delay_alu instid0(VALU_DEP_2) | instskip(SKIP_1) | instid1(VALU_DEP_2)
	v_add_f64_e32 v[50:51], v[52:53], v[44:45]
	v_fmamk_f64 v[44:45], v[48:49], 0x3c91a62633145c00, v[44:45]
	v_add_f64_e32 v[42:43], v[42:43], v[50:51]
	s_delay_alu instid0(VALU_DEP_1) | instskip(NEXT) | instid1(VALU_DEP_1)
	v_add_f64_e64 v[44:45], v[42:43], -v[44:45]
	v_fmac_f64_e32 v[44:45], 0xb97b839a252049c0, v[48:49]
	v_cvt_i32_f64_e32 v48, v[48:49]
	s_delay_alu instid0(VALU_DEP_2) | instskip(NEXT) | instid1(VALU_DEP_1)
	v_add_f64_e32 v[42:43], v[54:55], v[44:45]
	v_add_f64_e64 v[50:51], v[42:43], -v[54:55]
	s_delay_alu instid0(VALU_DEP_1)
	v_add_f64_e64 v[44:45], v[44:45], -v[50:51]
.LBB131_249:                            ;   in Loop: Header=BB131_185 Depth=1
	s_or_b32 exec_lo, exec_lo, s3
	v_mul_f64_e32 v[50:51], 0x3ff71547652b82fe, v[18:19]
	v_mul_f64_e32 v[52:53], v[14:15], v[14:15]
	v_cmp_nlt_f64_e64 s5, 0x40900000, v[18:19]
	v_cmp_ngt_f64_e64 s6, 0xc090cc00, v[18:19]
	v_mul_f64_e32 v[54:55], v[42:43], v[42:43]
	v_mul_f64_e32 v[66:67], 0.5, v[16:17]
	v_cmp_class_f64_e64 s4, v[20:21], 0x1f8
                                        ; implicit-def: $vgpr46
	v_rndne_f64_e32 v[50:51], v[50:51]
	s_delay_alu instid0(VALU_DEP_1) | instskip(SKIP_4) | instid1(VALU_DEP_4)
	v_fmamk_f64 v[60:61], v[50:51], 0xbfe62e42fefa39ef, v[18:19]
	v_and_b32_e32 v18, 1, v48
	v_mul_f64_e32 v[56:57], 0.5, v[52:53]
	v_fmamk_f64 v[72:73], v[52:53], 0x3de5e0b2f9a43bb8, v[32:33]
	v_dual_mul_f64 v[78:79], v[42:43], -v[54:55] :: v_dual_lshlrev_b32 v19, 30, v48
	v_cmp_eq_u32_e64 s7, 0, v18
	v_fmac_f64_e32 v[60:61], 0xbc7abc9e3b39803f, v[50:51]
	v_mul_f64_e64 v[68:69], v[14:15], -v[52:53]
	v_mul_f64_e32 v[76:77], 0.5, v[44:45]
	v_fmaak_f64 v[72:73], v[52:53], v[72:73], 0x3ec71de3796cde01
	v_lshlrev_b32_e32 v18, 30, v47
	v_fmamk_f64 v[82:83], v[54:55], 0x3de5e0b2f9a43bb8, v[32:33]
	v_cvt_i32_f64_e32 v27, v[50:51]
	s_delay_alu instid0(VALU_DEP_4) | instskip(NEXT) | instid1(VALU_DEP_1)
	v_fmaak_f64 v[72:73], v[52:53], v[72:73], 0xbf2a01a019e83e5c
	v_fmaak_f64 v[72:73], v[52:53], v[72:73], 0x3f81111111110bb3
	v_add_f64_e64 v[62:63], -v[56:57], 1.0
	v_fmamk_f64 v[74:75], v[60:61], 0x3e5ade156a5dcb37, v[28:29]
	s_delay_alu instid0(VALU_DEP_3) | instskip(SKIP_1) | instid1(VALU_DEP_3)
	v_fmac_f64_e32 v[66:67], v[68:69], v[72:73]
	v_fmaak_f64 v[72:73], v[54:55], v[82:83], 0x3ec71de3796cde01
	v_fmaak_f64 v[74:75], v[60:61], v[74:75], 0x3ec71dee623fde64
	s_delay_alu instid0(VALU_DEP_2) | instskip(NEXT) | instid1(VALU_DEP_2)
	v_fmaak_f64 v[72:73], v[54:55], v[72:73], 0xbf2a01a019e83e5c
	v_fmaak_f64 v[74:75], v[60:61], v[74:75], 0x3efa01997c89e6b0
	s_delay_alu instid0(VALU_DEP_2) | instskip(NEXT) | instid1(VALU_DEP_2)
	v_fmaak_f64 v[72:73], v[54:55], v[72:73], 0x3f81111111110bb3
	v_fmaak_f64 v[74:75], v[60:61], v[74:75], 0x3f2a01a014761f6e
	s_delay_alu instid0(VALU_DEP_2) | instskip(SKIP_3) | instid1(VALU_DEP_2)
	v_fmac_f64_e32 v[76:77], v[78:79], v[72:73]
	v_fmamk_f64 v[72:73], v[52:53], 0xbda907db46cc5e42, v[30:31]
	v_add_f64_e64 v[70:71], -v[62:63], 1.0
	v_fma_f64 v[66:67], v[52:53], v[66:67], -v[16:17]
	v_add_f64_e64 v[56:57], v[70:71], -v[56:57]
	v_fmaak_f64 v[70:71], v[60:61], v[74:75], 0x3f56c16c1852b7b0
	v_mul_f64_e32 v[74:75], v[52:53], v[52:53]
	s_delay_alu instid0(VALU_DEP_4) | instskip(NEXT) | instid1(VALU_DEP_3)
	v_fmac_f64_e32 v[66:67], 0xbfc5555555555555, v[68:69]
	v_fmaak_f64 v[70:71], v[60:61], v[70:71], 0x3f81111111122322
	s_delay_alu instid0(VALU_DEP_1) | instskip(NEXT) | instid1(VALU_DEP_1)
	v_fmaak_f64 v[70:71], v[60:61], v[70:71], 0x3fa55555555502a1
	v_fmaak_f64 v[70:71], v[60:61], v[70:71], 0x3fc5555555555511
	s_delay_alu instid0(VALU_DEP_1) | instskip(SKIP_3) | instid1(VALU_DEP_4)
	v_fmaak_f64 v[70:71], v[60:61], v[70:71], 0x3fe000000000000b
	v_fma_f64 v[16:17], v[14:15], -v[16:17], v[56:57]
	v_fmaak_f64 v[56:57], v[52:53], v[72:73], 0xbe927e4fa17f65f6
	v_mul_f64_e32 v[72:73], v[54:55], v[54:55]
	v_fma_f64 v[70:71], v[60:61], v[70:71], 1.0
	v_add_f64_e64 v[14:15], v[14:15], -v[66:67]
	s_delay_alu instid0(VALU_DEP_4) | instskip(NEXT) | instid1(VALU_DEP_1)
	v_fmaak_f64 v[56:57], v[52:53], v[56:57], 0x3efa01a019f4ec90
	v_fmaak_f64 v[56:57], v[52:53], v[56:57], 0xbf56c16c16c16967
	s_delay_alu instid0(VALU_DEP_1) | instskip(NEXT) | instid1(VALU_DEP_1)
	v_fmaak_f64 v[52:53], v[52:53], v[56:57], 0x3fa5555555555555
	v_fmac_f64_e32 v[16:17], v[74:75], v[52:53]
	v_fma_f64 v[50:51], v[60:61], v[70:71], 1.0
	v_xor_b32_e32 v15, 0x80000000, v15
	s_delay_alu instid0(VALU_DEP_3) | instskip(NEXT) | instid1(VALU_DEP_3)
	v_add_f64_e32 v[16:17], v[62:63], v[16:17]
	v_ldexp_f64 v[50:51], v[50:51], v27
	v_and_b32_e32 v27, 1, v47
	s_delay_alu instid0(VALU_DEP_1) | instskip(NEXT) | instid1(VALU_DEP_1)
	v_cmp_eq_u32_e64 s3, 0, v27
	v_dual_mul_f64 v[58:59], 0.5, v[54:55] :: v_dual_cndmask_b32 v14, v14, v16, s3
	v_cndmask_b32_e64 v15, v15, v17, s3
	s_and_b32 s3, s6, s5
	v_fma_f64 v[56:57], v[54:55], v[76:77], -v[44:45]
	v_xor_b32_e32 v17, v19, v21
	v_cndmask_b32_e64 v16, 0x7ff00000, v51, s5
	v_cndmask_b32_e64 v14, 0, v14, s4
	v_bitop3_b32 v15, v15, v18, 0x80000000 bitop3:0x78
	v_add_f64_e64 v[64:65], -v[58:59], 1.0
	s_delay_alu instid0(VALU_DEP_2) | instskip(SKIP_1) | instid1(VALU_DEP_3)
	v_cndmask_b32_e64 v15, 0x7ff80000, v15, s4
	v_fmac_f64_e32 v[56:57], 0xbfc5555555555555, v[78:79]
	v_add_f64_e64 v[80:81], -v[64:65], 1.0
	s_delay_alu instid0(VALU_DEP_1) | instskip(SKIP_1) | instid1(VALU_DEP_2)
	v_add_f64_e64 v[58:59], v[80:81], -v[58:59]
	v_fmamk_f64 v[80:81], v[54:55], 0xbda907db46cc5e42, v[30:31]
	v_fma_f64 v[44:45], v[42:43], -v[44:45], v[58:59]
	s_delay_alu instid0(VALU_DEP_2) | instskip(SKIP_1) | instid1(VALU_DEP_2)
	v_fmaak_f64 v[58:59], v[54:55], v[80:81], 0xbe927e4fa17f65f6
	v_add_f64_e64 v[42:43], v[42:43], -v[56:57]
	v_fmaak_f64 v[52:53], v[54:55], v[58:59], 0x3efa01a019f4ec90
	s_delay_alu instid0(VALU_DEP_1) | instskip(NEXT) | instid1(VALU_DEP_1)
	v_fmaak_f64 v[52:53], v[54:55], v[52:53], 0xbf56c16c16c16967
	v_fmaak_f64 v[52:53], v[54:55], v[52:53], 0x3fa5555555555555
	s_delay_alu instid0(VALU_DEP_1) | instskip(NEXT) | instid1(VALU_DEP_1)
	v_fmac_f64_e32 v[44:45], v[72:73], v[52:53]
	v_add_f64_e32 v[44:45], v[64:65], v[44:45]
	s_delay_alu instid0(VALU_DEP_1) | instskip(NEXT) | instid1(VALU_DEP_1)
	v_dual_cndmask_b32 v20, v45, v43, s7 :: v_dual_cndmask_b32 v19, v44, v42, s7
	v_bitop3_b32 v20, v20, v17, 0x80000000 bitop3:0x78
	s_delay_alu instid0(VALU_DEP_2) | instskip(SKIP_1) | instid1(VALU_DEP_3)
	v_dual_cndmask_b32 v17, 0, v16, s6 :: v_dual_cndmask_b32 v18, 0, v19, s4
	v_cndmask_b32_e64 v16, 0, v50, s3
	v_cndmask_b32_e64 v19, 0x7ff80000, v20, s4
	s_delay_alu instid0(VALU_DEP_2) | instskip(NEXT) | instid1(VALU_DEP_2)
	v_mul_f64_e32 v[14:15], v[16:17], v[14:15]
	v_mul_f64_e32 v[16:17], v[16:17], v[18:19]
                                        ; implicit-def: $vgpr20_vgpr21
.LBB131_250:                            ;   in Loop: Header=BB131_185 Depth=1
	s_and_not1_saveexec_b32 s33, s33
	s_cbranch_execz .LBB131_260
; %bb.251:                              ;   in Loop: Header=BB131_185 Depth=1
	v_cmp_ngt_f64_e64 s4, 0x41d00000, |v[20:21]|
                                        ; implicit-def: $vgpr47
                                        ; implicit-def: $vgpr14_vgpr15
                                        ; implicit-def: $vgpr16_vgpr17
	s_and_saveexec_b32 s3, s4
	s_delay_alu instid0(SALU_CYCLE_1)
	s_xor_b32 s5, exec_lo, s3
	s_cbranch_execz .LBB131_253
; %bb.252:                              ;   in Loop: Header=BB131_185 Depth=1
	v_ldexp_f64 v[14:15], |v[20:21]|, 0xffffff80
	v_cmp_le_f64_e64 s3, 0x7b000000, |v[20:21]|
	v_trig_preop_f64 v[16:17], |v[20:21]|, 0
	v_trig_preop_f64 v[42:43], |v[20:21]|, 1
	;; [unrolled: 1-line block ×3, first 2 shown]
	s_delay_alu instid0(VALU_DEP_4) | instskip(NEXT) | instid1(VALU_DEP_1)
	v_dual_cndmask_b32 v15, v46, v15, s3 :: v_dual_cndmask_b32 v14, v20, v14, s3
	v_mul_f64_e32 v[44:45], v[16:17], v[14:15]
	s_delay_alu instid0(VALU_DEP_4) | instskip(NEXT) | instid1(VALU_DEP_4)
	v_mul_f64_e32 v[48:49], v[42:43], v[14:15]
	v_mul_f64_e32 v[60:61], v[54:55], v[14:15]
	s_delay_alu instid0(VALU_DEP_3) | instskip(NEXT) | instid1(VALU_DEP_3)
	v_fma_f64 v[16:17], v[16:17], v[14:15], -v[44:45]
	v_fma_f64 v[42:43], v[42:43], v[14:15], -v[48:49]
	s_delay_alu instid0(VALU_DEP_3) | instskip(NEXT) | instid1(VALU_DEP_3)
	v_fma_f64 v[14:15], v[54:55], v[14:15], -v[60:61]
	v_add_f64_e32 v[50:51], v[48:49], v[16:17]
	s_delay_alu instid0(VALU_DEP_1) | instskip(SKIP_1) | instid1(VALU_DEP_2)
	v_add_f64_e64 v[52:53], v[50:51], -v[48:49]
	v_add_f64_e32 v[58:59], v[44:45], v[50:51]
	v_add_f64_e64 v[56:57], v[50:51], -v[52:53]
	v_add_f64_e64 v[16:17], v[16:17], -v[52:53]
	s_delay_alu instid0(VALU_DEP_3) | instskip(NEXT) | instid1(VALU_DEP_3)
	v_ldexp_f64 v[52:53], v[58:59], -2
	v_add_f64_e64 v[48:49], v[48:49], -v[56:57]
	v_add_f64_e32 v[56:57], v[60:61], v[42:43]
	s_delay_alu instid0(VALU_DEP_3) | instskip(NEXT) | instid1(VALU_DEP_3)
	v_cmp_neq_f64_e64 s3, 0x7ff00000, |v[52:53]|
	v_add_f64_e32 v[16:17], v[16:17], v[48:49]
	v_fract_f64_e32 v[48:49], v[52:53]
	s_delay_alu instid0(VALU_DEP_1) | instskip(NEXT) | instid1(VALU_DEP_1)
	v_ldexp_f64 v[48:49], v[48:49], 2
	v_cndmask_b32_e64 v49, 0, v49, s3
	v_add_f64_e64 v[44:45], v[58:59], -v[44:45]
	s_delay_alu instid0(VALU_DEP_3) | instskip(NEXT) | instid1(VALU_DEP_2)
	v_cndmask_b32_e64 v48, 0, v48, s3
	v_add_f64_e64 v[44:45], v[50:51], -v[44:45]
	v_add_f64_e32 v[50:51], v[56:57], v[16:17]
	s_delay_alu instid0(VALU_DEP_1) | instskip(SKIP_1) | instid1(VALU_DEP_2)
	v_add_f64_e32 v[52:53], v[44:45], v[50:51]
	v_add_f64_e64 v[62:63], v[50:51], -v[56:57]
	v_add_f64_e32 v[58:59], v[52:53], v[48:49]
	s_delay_alu instid0(VALU_DEP_2) | instskip(SKIP_2) | instid1(VALU_DEP_4)
	v_add_f64_e64 v[68:69], v[50:51], -v[62:63]
	v_add_f64_e64 v[16:17], v[16:17], -v[62:63]
	;; [unrolled: 1-line block ×3, first 2 shown]
	v_cmp_gt_f64_e64 s3, 0, v[58:59]
	v_add_f64_e64 v[58:59], v[56:57], -v[60:61]
	s_delay_alu instid0(VALU_DEP_3) | instskip(NEXT) | instid1(VALU_DEP_3)
	v_add_f64_e64 v[44:45], v[50:51], -v[44:45]
	v_cndmask_b32_e64 v27, 0, 0x40100000, s3
	s_delay_alu instid0(VALU_DEP_3) | instskip(SKIP_2) | instid1(VALU_DEP_4)
	v_add_f64_e64 v[66:67], v[56:57], -v[58:59]
	v_add_f64_e64 v[42:43], v[42:43], -v[58:59]
	;; [unrolled: 1-line block ×3, first 2 shown]
	v_add_f64_e32 v[48:49], v[48:49], v[26:27]
	s_delay_alu instid0(VALU_DEP_4) | instskip(NEXT) | instid1(VALU_DEP_3)
	v_add_f64_e64 v[58:59], v[60:61], -v[66:67]
	v_add_f64_e32 v[16:17], v[16:17], v[56:57]
	s_delay_alu instid0(VALU_DEP_3) | instskip(NEXT) | instid1(VALU_DEP_3)
	v_add_f64_e32 v[64:65], v[52:53], v[48:49]
	v_add_f64_e32 v[42:43], v[42:43], v[58:59]
	s_delay_alu instid0(VALU_DEP_2) | instskip(NEXT) | instid1(VALU_DEP_2)
	v_cvt_i32_f64_e32 v27, v[64:65]
	v_add_f64_e32 v[16:17], v[42:43], v[16:17]
	s_delay_alu instid0(VALU_DEP_2) | instskip(NEXT) | instid1(VALU_DEP_2)
	v_cvt_f64_i32_e32 v[62:63], v27
	v_add_f64_e32 v[14:15], v[14:15], v[16:17]
	s_delay_alu instid0(VALU_DEP_2) | instskip(NEXT) | instid1(VALU_DEP_2)
	v_add_f64_e64 v[48:49], v[48:49], -v[62:63]
	v_add_f64_e32 v[14:15], v[44:45], v[14:15]
	s_delay_alu instid0(VALU_DEP_2) | instskip(NEXT) | instid1(VALU_DEP_1)
	v_add_f64_e32 v[42:43], v[52:53], v[48:49]
	v_add_f64_e64 v[16:17], v[42:43], -v[48:49]
	v_cmp_le_f64_e64 s3, 0.5, v[42:43]
	s_delay_alu instid0(VALU_DEP_2) | instskip(NEXT) | instid1(VALU_DEP_2)
	v_add_f64_e64 v[16:17], v[52:53], -v[16:17]
	v_add_co_ci_u32_e64 v47, null, 0, v27, s3
	v_cndmask_b32_e64 v27, 0, 0x3ff00000, s3
	s_delay_alu instid0(VALU_DEP_3) | instskip(NEXT) | instid1(VALU_DEP_2)
	v_add_f64_e32 v[14:15], v[14:15], v[16:17]
	v_add_f64_e64 v[16:17], v[42:43], -v[26:27]
	s_delay_alu instid0(VALU_DEP_1) | instskip(NEXT) | instid1(VALU_DEP_1)
	v_add_f64_e32 v[42:43], v[16:17], v[14:15]
	v_mul_f64_e32 v[44:45], 0x3ff921fb54442d18, v[42:43]
	v_add_f64_e64 v[16:17], v[42:43], -v[16:17]
	s_delay_alu instid0(VALU_DEP_2) | instskip(NEXT) | instid1(VALU_DEP_2)
	v_fma_f64 v[48:49], v[42:43], s[14:15], -v[44:45]
	v_add_f64_e64 v[14:15], v[14:15], -v[16:17]
	s_delay_alu instid0(VALU_DEP_2) | instskip(NEXT) | instid1(VALU_DEP_1)
	v_fmac_f64_e32 v[48:49], 0x3c91a62633145c07, v[42:43]
	v_fmac_f64_e32 v[48:49], 0x3ff921fb54442d18, v[14:15]
	s_delay_alu instid0(VALU_DEP_1) | instskip(NEXT) | instid1(VALU_DEP_1)
	v_add_f64_e32 v[14:15], v[44:45], v[48:49]
	v_add_f64_e64 v[16:17], v[14:15], -v[44:45]
	s_delay_alu instid0(VALU_DEP_1)
	v_add_f64_e64 v[16:17], v[48:49], -v[16:17]
	s_and_not1_saveexec_b32 s3, s5
	s_cbranch_execz .LBB131_255
	s_branch .LBB131_254
.LBB131_253:                            ;   in Loop: Header=BB131_185 Depth=1
	s_and_not1_saveexec_b32 s3, s5
	s_cbranch_execz .LBB131_255
.LBB131_254:                            ;   in Loop: Header=BB131_185 Depth=1
	v_mul_f64_e64 v[14:15], |v[20:21]|, s[16:17]
	s_delay_alu instid0(VALU_DEP_1) | instskip(NEXT) | instid1(VALU_DEP_1)
	v_rndne_f64_e32 v[42:43], v[14:15]
	v_fma_f64 v[14:15], v[42:43], s[22:23], |v[20:21]|
	v_mul_f64_e32 v[16:17], 0xbc91a62633145c00, v[42:43]
	v_cvt_i32_f64_e32 v47, v[42:43]
	s_delay_alu instid0(VALU_DEP_3) | instskip(NEXT) | instid1(VALU_DEP_3)
	v_fmamk_f64 v[50:51], v[42:43], 0xbc91a62633145c00, v[14:15]
	v_add_f64_e32 v[44:45], v[14:15], v[16:17]
	s_delay_alu instid0(VALU_DEP_1) | instskip(NEXT) | instid1(VALU_DEP_3)
	v_add_f64_e64 v[48:49], v[14:15], -v[44:45]
	v_add_f64_e64 v[14:15], v[44:45], -v[50:51]
	s_delay_alu instid0(VALU_DEP_2) | instskip(SKIP_1) | instid1(VALU_DEP_2)
	v_add_f64_e32 v[44:45], v[48:49], v[16:17]
	v_fmamk_f64 v[16:17], v[42:43], 0x3c91a62633145c00, v[16:17]
	v_add_f64_e32 v[14:15], v[14:15], v[44:45]
	s_delay_alu instid0(VALU_DEP_1) | instskip(NEXT) | instid1(VALU_DEP_1)
	v_add_f64_e64 v[16:17], v[14:15], -v[16:17]
	v_fmac_f64_e32 v[16:17], 0xb97b839a252049c0, v[42:43]
	s_delay_alu instid0(VALU_DEP_1) | instskip(NEXT) | instid1(VALU_DEP_1)
	v_add_f64_e32 v[14:15], v[50:51], v[16:17]
	v_add_f64_e64 v[44:45], v[14:15], -v[50:51]
	s_delay_alu instid0(VALU_DEP_1)
	v_add_f64_e64 v[16:17], v[16:17], -v[44:45]
.LBB131_255:                            ;   in Loop: Header=BB131_185 Depth=1
	s_or_b32 exec_lo, exec_lo, s3
                                        ; implicit-def: $vgpr48
                                        ; implicit-def: $vgpr42_vgpr43
                                        ; implicit-def: $vgpr44_vgpr45
	s_and_saveexec_b32 s3, s4
	s_delay_alu instid0(SALU_CYCLE_1)
	s_xor_b32 s4, exec_lo, s3
	s_cbranch_execz .LBB131_257
; %bb.256:                              ;   in Loop: Header=BB131_185 Depth=1
	v_ldexp_f64 v[42:43], |v[20:21]|, 0xffffff80
	v_cmp_le_f64_e64 s3, 0x7b000000, |v[20:21]|
	v_trig_preop_f64 v[44:45], |v[20:21]|, 0
	v_trig_preop_f64 v[48:49], |v[20:21]|, 1
	;; [unrolled: 1-line block ×3, first 2 shown]
	s_delay_alu instid0(VALU_DEP_4) | instskip(NEXT) | instid1(VALU_DEP_1)
	v_dual_cndmask_b32 v43, v46, v43, s3 :: v_dual_cndmask_b32 v42, v20, v42, s3
	v_mul_f64_e32 v[50:51], v[44:45], v[42:43]
	s_delay_alu instid0(VALU_DEP_4) | instskip(NEXT) | instid1(VALU_DEP_4)
	v_mul_f64_e32 v[52:53], v[48:49], v[42:43]
	v_mul_f64_e32 v[64:65], v[58:59], v[42:43]
	s_delay_alu instid0(VALU_DEP_3) | instskip(NEXT) | instid1(VALU_DEP_3)
	v_fma_f64 v[44:45], v[44:45], v[42:43], -v[50:51]
	v_fma_f64 v[48:49], v[48:49], v[42:43], -v[52:53]
	s_delay_alu instid0(VALU_DEP_3) | instskip(NEXT) | instid1(VALU_DEP_3)
	v_fma_f64 v[42:43], v[58:59], v[42:43], -v[64:65]
	v_add_f64_e32 v[54:55], v[52:53], v[44:45]
	s_delay_alu instid0(VALU_DEP_1) | instskip(SKIP_1) | instid1(VALU_DEP_2)
	v_add_f64_e64 v[56:57], v[54:55], -v[52:53]
	v_add_f64_e32 v[62:63], v[50:51], v[54:55]
	v_add_f64_e64 v[60:61], v[54:55], -v[56:57]
	v_add_f64_e64 v[44:45], v[44:45], -v[56:57]
	s_delay_alu instid0(VALU_DEP_3) | instskip(NEXT) | instid1(VALU_DEP_3)
	v_ldexp_f64 v[56:57], v[62:63], -2
	v_add_f64_e64 v[52:53], v[52:53], -v[60:61]
	v_add_f64_e32 v[60:61], v[64:65], v[48:49]
	s_delay_alu instid0(VALU_DEP_3) | instskip(NEXT) | instid1(VALU_DEP_3)
	v_cmp_neq_f64_e64 s3, 0x7ff00000, |v[56:57]|
	v_add_f64_e32 v[44:45], v[44:45], v[52:53]
	v_fract_f64_e32 v[52:53], v[56:57]
	s_delay_alu instid0(VALU_DEP_1) | instskip(NEXT) | instid1(VALU_DEP_1)
	v_ldexp_f64 v[52:53], v[52:53], 2
	v_dual_add_f64 v[50:51], v[62:63], -v[50:51] :: v_dual_cndmask_b32 v53, 0, v53, s3
	s_delay_alu instid0(VALU_DEP_1) | instskip(SKIP_1) | instid1(VALU_DEP_1)
	v_dual_add_f64 v[50:51], v[54:55], -v[50:51] :: v_dual_cndmask_b32 v52, 0, v52, s3
	v_add_f64_e32 v[54:55], v[60:61], v[44:45]
	v_add_f64_e32 v[56:57], v[50:51], v[54:55]
	v_add_f64_e64 v[66:67], v[54:55], -v[60:61]
	s_delay_alu instid0(VALU_DEP_2) | instskip(NEXT) | instid1(VALU_DEP_2)
	v_add_f64_e32 v[62:63], v[56:57], v[52:53]
	v_add_f64_e64 v[72:73], v[54:55], -v[66:67]
	v_add_f64_e64 v[44:45], v[44:45], -v[66:67]
	;; [unrolled: 1-line block ×3, first 2 shown]
	s_delay_alu instid0(VALU_DEP_4) | instskip(SKIP_1) | instid1(VALU_DEP_2)
	v_cmp_gt_f64_e64 s3, 0, v[62:63]
	v_add_f64_e64 v[62:63], v[60:61], -v[64:65]
	v_cndmask_b32_e64 v27, 0, 0x40100000, s3
	s_delay_alu instid0(VALU_DEP_2) | instskip(SKIP_2) | instid1(VALU_DEP_4)
	v_add_f64_e64 v[70:71], v[60:61], -v[62:63]
	v_add_f64_e64 v[48:49], v[48:49], -v[62:63]
	;; [unrolled: 1-line block ×3, first 2 shown]
	v_add_f64_e32 v[52:53], v[52:53], v[26:27]
	s_delay_alu instid0(VALU_DEP_4) | instskip(NEXT) | instid1(VALU_DEP_3)
	v_add_f64_e64 v[62:63], v[64:65], -v[70:71]
	v_add_f64_e32 v[44:45], v[44:45], v[60:61]
	s_delay_alu instid0(VALU_DEP_3) | instskip(NEXT) | instid1(VALU_DEP_3)
	v_add_f64_e32 v[68:69], v[56:57], v[52:53]
	v_add_f64_e32 v[48:49], v[48:49], v[62:63]
	s_delay_alu instid0(VALU_DEP_2) | instskip(NEXT) | instid1(VALU_DEP_2)
	v_cvt_i32_f64_e32 v27, v[68:69]
	v_add_f64_e32 v[44:45], v[48:49], v[44:45]
	v_add_f64_e64 v[48:49], v[54:55], -v[50:51]
	s_delay_alu instid0(VALU_DEP_3) | instskip(NEXT) | instid1(VALU_DEP_3)
	v_cvt_f64_i32_e32 v[66:67], v27
	v_add_f64_e32 v[42:43], v[42:43], v[44:45]
	s_delay_alu instid0(VALU_DEP_2) | instskip(NEXT) | instid1(VALU_DEP_2)
	v_add_f64_e64 v[52:53], v[52:53], -v[66:67]
	v_add_f64_e32 v[42:43], v[48:49], v[42:43]
	s_delay_alu instid0(VALU_DEP_2) | instskip(NEXT) | instid1(VALU_DEP_1)
	v_add_f64_e32 v[58:59], v[56:57], v[52:53]
	v_add_f64_e64 v[44:45], v[58:59], -v[52:53]
	v_cmp_le_f64_e64 s3, 0.5, v[58:59]
	s_delay_alu instid0(VALU_DEP_2) | instskip(NEXT) | instid1(VALU_DEP_2)
	v_add_f64_e64 v[44:45], v[56:57], -v[44:45]
	v_add_co_ci_u32_e64 v48, null, 0, v27, s3
	v_cndmask_b32_e64 v27, 0, 0x3ff00000, s3
	s_delay_alu instid0(VALU_DEP_3) | instskip(NEXT) | instid1(VALU_DEP_2)
	v_add_f64_e32 v[42:43], v[42:43], v[44:45]
	v_add_f64_e64 v[44:45], v[58:59], -v[26:27]
	s_delay_alu instid0(VALU_DEP_1) | instskip(NEXT) | instid1(VALU_DEP_1)
	v_add_f64_e32 v[50:51], v[44:45], v[42:43]
	v_mul_f64_e32 v[52:53], 0x3ff921fb54442d18, v[50:51]
	v_add_f64_e64 v[44:45], v[50:51], -v[44:45]
	s_delay_alu instid0(VALU_DEP_2) | instskip(NEXT) | instid1(VALU_DEP_2)
	v_fma_f64 v[54:55], v[50:51], s[14:15], -v[52:53]
	v_add_f64_e64 v[42:43], v[42:43], -v[44:45]
	s_delay_alu instid0(VALU_DEP_2) | instskip(NEXT) | instid1(VALU_DEP_1)
	v_fmac_f64_e32 v[54:55], 0x3c91a62633145c07, v[50:51]
	v_fmac_f64_e32 v[54:55], 0x3ff921fb54442d18, v[42:43]
	s_delay_alu instid0(VALU_DEP_1) | instskip(NEXT) | instid1(VALU_DEP_1)
	v_add_f64_e32 v[42:43], v[52:53], v[54:55]
	v_add_f64_e64 v[44:45], v[42:43], -v[52:53]
	s_delay_alu instid0(VALU_DEP_1)
	v_add_f64_e64 v[44:45], v[54:55], -v[44:45]
	s_and_not1_saveexec_b32 s3, s4
	s_cbranch_execnz .LBB131_258
	s_branch .LBB131_259
.LBB131_257:                            ;   in Loop: Header=BB131_185 Depth=1
	s_and_not1_saveexec_b32 s3, s4
	s_cbranch_execz .LBB131_259
.LBB131_258:                            ;   in Loop: Header=BB131_185 Depth=1
	v_mul_f64_e64 v[42:43], |v[20:21]|, s[16:17]
	s_delay_alu instid0(VALU_DEP_1) | instskip(NEXT) | instid1(VALU_DEP_1)
	v_rndne_f64_e32 v[48:49], v[42:43]
	v_fma_f64 v[42:43], v[48:49], s[22:23], |v[20:21]|
	v_mul_f64_e32 v[44:45], 0xbc91a62633145c00, v[48:49]
	s_delay_alu instid0(VALU_DEP_2) | instskip(NEXT) | instid1(VALU_DEP_2)
	v_fmamk_f64 v[54:55], v[48:49], 0xbc91a62633145c00, v[42:43]
	v_add_f64_e32 v[50:51], v[42:43], v[44:45]
	s_delay_alu instid0(VALU_DEP_1) | instskip(NEXT) | instid1(VALU_DEP_3)
	v_add_f64_e64 v[52:53], v[42:43], -v[50:51]
	v_add_f64_e64 v[42:43], v[50:51], -v[54:55]
	s_delay_alu instid0(VALU_DEP_2) | instskip(SKIP_1) | instid1(VALU_DEP_2)
	v_add_f64_e32 v[50:51], v[52:53], v[44:45]
	v_fmamk_f64 v[44:45], v[48:49], 0x3c91a62633145c00, v[44:45]
	v_add_f64_e32 v[42:43], v[42:43], v[50:51]
	s_delay_alu instid0(VALU_DEP_1) | instskip(NEXT) | instid1(VALU_DEP_1)
	v_add_f64_e64 v[44:45], v[42:43], -v[44:45]
	v_fmac_f64_e32 v[44:45], 0xb97b839a252049c0, v[48:49]
	v_cvt_i32_f64_e32 v48, v[48:49]
	s_delay_alu instid0(VALU_DEP_2) | instskip(NEXT) | instid1(VALU_DEP_1)
	v_add_f64_e32 v[42:43], v[54:55], v[44:45]
	v_add_f64_e64 v[50:51], v[42:43], -v[54:55]
	s_delay_alu instid0(VALU_DEP_1)
	v_add_f64_e64 v[44:45], v[44:45], -v[50:51]
.LBB131_259:                            ;   in Loop: Header=BB131_185 Depth=1
	s_or_b32 exec_lo, exec_lo, s3
	v_add_f64_e32 v[18:19], 0xc0937be319ba0da4, v[18:19]
	v_mul_f64_e32 v[52:53], v[14:15], v[14:15]
	v_cmp_class_f64_e64 s4, v[20:21], 0x1f8
	v_mul_f64_e32 v[54:55], v[42:43], v[42:43]
	v_dual_mul_f64 v[66:67], 0.5, v[16:17] :: v_dual_lshlrev_b32 v20, 30, v47
	v_mul_f64_e32 v[50:51], 0x3ff71547652b82fe, v[18:19]
	v_cmp_nlt_f64_e64 s5, 0x40900000, v[18:19]
	v_cmp_ngt_f64_e64 s6, 0xc090cc00, v[18:19]
	s_delay_alu instid0(VALU_DEP_3) | instskip(NEXT) | instid1(VALU_DEP_1)
	v_rndne_f64_e32 v[50:51], v[50:51]
	v_fmamk_f64 v[60:61], v[50:51], 0xbfe62e42fefa39ef, v[18:19]
	v_and_b32_e32 v18, 1, v48
	v_mul_f64_e32 v[56:57], 0.5, v[52:53]
	v_fmamk_f64 v[72:73], v[52:53], 0x3de5e0b2f9a43bb8, v[32:33]
	v_dual_mul_f64 v[78:79], v[42:43], -v[54:55] :: v_dual_lshlrev_b32 v19, 30, v48
	s_delay_alu instid0(VALU_DEP_4)
	v_cmp_eq_u32_e64 s7, 0, v18
	v_fmac_f64_e32 v[60:61], 0xbc7abc9e3b39803f, v[50:51]
	v_mul_f64_e64 v[68:69], v[14:15], -v[52:53]
	v_mul_f64_e32 v[76:77], 0.5, v[44:45]
	v_fmaak_f64 v[72:73], v[52:53], v[72:73], 0x3ec71de3796cde01
	v_cvt_i32_f64_e32 v27, v[50:51]
	v_fmamk_f64 v[82:83], v[54:55], 0x3de5e0b2f9a43bb8, v[32:33]
	s_delay_alu instid0(VALU_DEP_3) | instskip(NEXT) | instid1(VALU_DEP_1)
	v_fmaak_f64 v[72:73], v[52:53], v[72:73], 0xbf2a01a019e83e5c
	v_fmaak_f64 v[72:73], v[52:53], v[72:73], 0x3f81111111110bb3
	v_add_f64_e64 v[62:63], -v[56:57], 1.0
	v_fmamk_f64 v[74:75], v[60:61], 0x3e5ade156a5dcb37, v[28:29]
	s_delay_alu instid0(VALU_DEP_3) | instskip(SKIP_1) | instid1(VALU_DEP_3)
	v_fmac_f64_e32 v[66:67], v[68:69], v[72:73]
	v_fmaak_f64 v[72:73], v[54:55], v[82:83], 0x3ec71de3796cde01
	v_fmaak_f64 v[74:75], v[60:61], v[74:75], 0x3ec71dee623fde64
	s_delay_alu instid0(VALU_DEP_2) | instskip(NEXT) | instid1(VALU_DEP_2)
	v_fmaak_f64 v[72:73], v[54:55], v[72:73], 0xbf2a01a019e83e5c
	v_fmaak_f64 v[74:75], v[60:61], v[74:75], 0x3efa01997c89e6b0
	s_delay_alu instid0(VALU_DEP_2) | instskip(NEXT) | instid1(VALU_DEP_2)
	v_fmaak_f64 v[72:73], v[54:55], v[72:73], 0x3f81111111110bb3
	v_fmaak_f64 v[74:75], v[60:61], v[74:75], 0x3f2a01a014761f6e
	s_delay_alu instid0(VALU_DEP_2) | instskip(SKIP_3) | instid1(VALU_DEP_2)
	v_fmac_f64_e32 v[76:77], v[78:79], v[72:73]
	v_fmamk_f64 v[72:73], v[52:53], 0xbda907db46cc5e42, v[30:31]
	v_add_f64_e64 v[70:71], -v[62:63], 1.0
	v_fma_f64 v[66:67], v[52:53], v[66:67], -v[16:17]
	v_add_f64_e64 v[56:57], v[70:71], -v[56:57]
	v_fmaak_f64 v[70:71], v[60:61], v[74:75], 0x3f56c16c1852b7b0
	v_mul_f64_e32 v[74:75], v[52:53], v[52:53]
	s_delay_alu instid0(VALU_DEP_4) | instskip(NEXT) | instid1(VALU_DEP_3)
	v_fmac_f64_e32 v[66:67], 0xbfc5555555555555, v[68:69]
	v_fmaak_f64 v[70:71], v[60:61], v[70:71], 0x3f81111111122322
	s_delay_alu instid0(VALU_DEP_1) | instskip(NEXT) | instid1(VALU_DEP_1)
	v_fmaak_f64 v[70:71], v[60:61], v[70:71], 0x3fa55555555502a1
	v_fmaak_f64 v[70:71], v[60:61], v[70:71], 0x3fc5555555555511
	s_delay_alu instid0(VALU_DEP_1) | instskip(NEXT) | instid1(VALU_DEP_1)
	v_fmaak_f64 v[70:71], v[60:61], v[70:71], 0x3fe000000000000b
	v_fma_f64 v[70:71], v[60:61], v[70:71], 1.0
	s_delay_alu instid0(VALU_DEP_1) | instskip(NEXT) | instid1(VALU_DEP_1)
	v_fma_f64 v[50:51], v[60:61], v[70:71], 1.0
	v_ldexp_f64 v[50:51], v[50:51], v27
	v_fma_f64 v[16:17], v[14:15], -v[16:17], v[56:57]
	v_fmaak_f64 v[56:57], v[52:53], v[72:73], 0xbe927e4fa17f65f6
	v_and_b32_e32 v27, 1, v47
	v_add_f64_e64 v[14:15], v[14:15], -v[66:67]
	s_delay_alu instid0(VALU_DEP_2) | instskip(NEXT) | instid1(VALU_DEP_4)
	v_cmp_eq_u32_e64 s3, 0, v27
	v_fmaak_f64 v[56:57], v[52:53], v[56:57], 0x3efa01a019f4ec90
	s_delay_alu instid0(VALU_DEP_1) | instskip(NEXT) | instid1(VALU_DEP_1)
	v_fmaak_f64 v[56:57], v[52:53], v[56:57], 0xbf56c16c16c16967
	v_fmaak_f64 v[52:53], v[52:53], v[56:57], 0x3fa5555555555555
	v_fma_f64 v[56:57], v[54:55], v[76:77], -v[44:45]
	s_delay_alu instid0(VALU_DEP_2) | instskip(SKIP_1) | instid1(VALU_DEP_2)
	v_fmac_f64_e32 v[16:17], v[74:75], v[52:53]
	v_xor_b32_e32 v15, 0x80000000, v15
	v_add_f64_e32 v[16:17], v[62:63], v[16:17]
	s_delay_alu instid0(VALU_DEP_1) | instskip(NEXT) | instid1(VALU_DEP_1)
	v_dual_mul_f64 v[58:59], 0.5, v[54:55] :: v_dual_cndmask_b32 v14, v14, v16, s3
	v_add_f64_e64 v[64:65], -v[58:59], 1.0
	v_cndmask_b32_e64 v16, 0x7ff00000, v51, s5
	s_delay_alu instid0(VALU_DEP_4) | instskip(SKIP_3) | instid1(VALU_DEP_3)
	v_cndmask_b32_e64 v15, v15, v17, s3
	v_xor_b32_e32 v17, v19, v21
	s_and_b32 s3, s6, s5
	v_cndmask_b32_e64 v14, 0, v14, s4
	v_bitop3_b32 v15, v15, v20, 0x80000000 bitop3:0x78
	v_dual_mul_f64 v[72:73], v[54:55], v[54:55] :: v_dual_cndmask_b32 v20, 0, v16, s6
	v_fmac_f64_e32 v[56:57], 0xbfc5555555555555, v[78:79]
	s_delay_alu instid0(VALU_DEP_3) | instskip(SKIP_1) | instid1(VALU_DEP_1)
	v_cndmask_b32_e64 v15, 0x7ff80000, v15, s4
	v_add_f64_e64 v[80:81], -v[64:65], 1.0
	v_add_f64_e64 v[58:59], v[80:81], -v[58:59]
	v_fmamk_f64 v[80:81], v[54:55], 0xbda907db46cc5e42, v[30:31]
	s_delay_alu instid0(VALU_DEP_2) | instskip(NEXT) | instid1(VALU_DEP_2)
	v_fma_f64 v[44:45], v[42:43], -v[44:45], v[58:59]
	v_fmaak_f64 v[58:59], v[54:55], v[80:81], 0xbe927e4fa17f65f6
	v_add_f64_e64 v[42:43], v[42:43], -v[56:57]
	s_delay_alu instid0(VALU_DEP_2) | instskip(NEXT) | instid1(VALU_DEP_1)
	v_fmaak_f64 v[52:53], v[54:55], v[58:59], 0x3efa01a019f4ec90
	v_fmaak_f64 v[52:53], v[54:55], v[52:53], 0xbf56c16c16c16967
	s_delay_alu instid0(VALU_DEP_1) | instskip(NEXT) | instid1(VALU_DEP_1)
	v_fmaak_f64 v[52:53], v[54:55], v[52:53], 0x3fa5555555555555
	v_fmac_f64_e32 v[44:45], v[72:73], v[52:53]
	s_delay_alu instid0(VALU_DEP_1) | instskip(NEXT) | instid1(VALU_DEP_1)
	v_add_f64_e32 v[44:45], v[64:65], v[44:45]
	v_dual_cndmask_b32 v19, v45, v43, s7 :: v_dual_cndmask_b32 v18, v44, v42, s7
	s_delay_alu instid0(VALU_DEP_1) | instskip(NEXT) | instid1(VALU_DEP_2)
	v_bitop3_b32 v17, v19, v17, 0x80000000 bitop3:0x78
	v_cndmask_b32_e64 v16, 0, v18, s4
	v_and_or_b32 v19, v20, s28, 0x7fe00000
	v_dual_cndmask_b32 v18, 0, v50, s3 :: v_dual_lshrrev_b32 v20, 20, v20
	s_delay_alu instid0(VALU_DEP_4) | instskip(NEXT) | instid1(VALU_DEP_2)
	v_cndmask_b32_e64 v17, 0x7ff80000, v17, s4
	v_mul_f64_e32 v[14:15], v[18:19], v[14:15]
	s_delay_alu instid0(VALU_DEP_2) | instskip(NEXT) | instid1(VALU_DEP_4)
	v_mul_f64_e32 v[16:17], v[18:19], v[16:17]
	v_add_nc_u32_e32 v18, 0xffffff09, v20
	s_delay_alu instid0(VALU_DEP_1) | instskip(NEXT) | instid1(VALU_DEP_1)
	v_lshrrev_b16 v19, 15, v18
	v_add_nc_u16 v19, v18, v19
	s_delay_alu instid0(VALU_DEP_1) | instskip(NEXT) | instid1(VALU_DEP_1)
	v_ashrrev_i16 v19, 1, v19
	v_bfe_i32 v19, v19, 0, 16
	s_delay_alu instid0(VALU_DEP_1) | instskip(SKIP_2) | instid1(VALU_DEP_3)
	v_lshl_add_u32 v27, v19, 20, 0x3ff00000
	v_sub_nc_u32_e32 v19, v18, v19
	v_mov_b32_e32 v18, v26
	v_mul_f64_e32 v[14:15], v[14:15], v[26:27]
	v_mul_f64_e32 v[16:17], v[16:17], v[26:27]
	s_delay_alu instid0(VALU_DEP_4) | instskip(NEXT) | instid1(VALU_DEP_1)
	v_lshl_add_u32 v19, v19, 20, 0x3ff00000
	v_mul_f64_e32 v[14:15], v[14:15], v[18:19]
	s_delay_alu instid0(VALU_DEP_3)
	v_mul_f64_e32 v[16:17], v[16:17], v[18:19]
.LBB131_260:                            ;   in Loop: Header=BB131_185 Depth=1
	s_or_b32 exec_lo, exec_lo, s33
                                        ; implicit-def: $vgpr18_vgpr19
                                        ; implicit-def: $vgpr27
.LBB131_261:                            ;   in Loop: Header=BB131_185 Depth=1
	s_and_not1_saveexec_b32 s5, s31
	s_cbranch_execz .LBB131_267
; %bb.262:                              ;   in Loop: Header=BB131_185 Depth=1
	v_cmp_ne_u32_e64 s3, 0, v18
	v_cmp_ne_u32_e64 s4, 0x7ff00000, v27
                                        ; implicit-def: $vgpr16_vgpr17
	s_or_b32 s3, s3, s4
	s_delay_alu instid0(SALU_CYCLE_1) | instskip(NEXT) | instid1(SALU_CYCLE_1)
	s_and_saveexec_b32 s4, s3
	s_xor_b32 s3, exec_lo, s4
; %bb.263:                              ;   in Loop: Header=BB131_185 Depth=1
	v_add_f64_e64 v[16:17], v[20:21], -v[20:21]
                                        ; implicit-def: $vgpr18_vgpr19
; %bb.264:                              ;   in Loop: Header=BB131_185 Depth=1
	s_or_saveexec_b32 s4, s3
	s_delay_alu instid0(VALU_DEP_1)
	v_mov_b64_e32 v[14:15], v[16:17]
	s_xor_b32 exec_lo, exec_lo, s4
	s_cbranch_execz .LBB131_266
; %bb.265:                              ;   in Loop: Header=BB131_185 Depth=1
	v_cmp_lt_i64_e64 s3, -1, v[18:19]
	s_delay_alu instid0(VALU_DEP_1) | instskip(NEXT) | instid1(VALU_DEP_1)
	v_dual_add_f64 v[16:17], v[20:21], -v[20:21] :: v_dual_cndmask_b32 v15, 0, v19, s3
	v_dual_cndmask_b32 v14, 0, v18, s3 :: v_dual_cndmask_b32 v17, 0, v17, s3
	s_delay_alu instid0(VALU_DEP_2)
	v_cndmask_b32_e64 v16, 0, v16, s3
.LBB131_266:                            ;   in Loop: Header=BB131_185 Depth=1
	s_or_b32 exec_lo, exec_lo, s4
.LBB131_267:                            ;   in Loop: Header=BB131_185 Depth=1
	s_delay_alu instid0(SALU_CYCLE_1)
	s_or_b32 exec_lo, exec_lo, s5
                                        ; implicit-def: $vgpr20_vgpr21
                                        ; implicit-def: $vgpr46
.LBB131_268:                            ;   in Loop: Header=BB131_185 Depth=1
	s_and_not1_saveexec_b32 s6, s30
	s_cbranch_execz .LBB131_278
; %bb.269:                              ;   in Loop: Header=BB131_185 Depth=1
	v_cmp_ngt_f64_e64 s4, 0x41d00000, |v[20:21]|
                                        ; implicit-def: $vgpr44
                                        ; implicit-def: $vgpr14_vgpr15
                                        ; implicit-def: $vgpr16_vgpr17
	s_and_saveexec_b32 s3, s4
	s_delay_alu instid0(SALU_CYCLE_1)
	s_xor_b32 s5, exec_lo, s3
	s_cbranch_execz .LBB131_271
; %bb.270:                              ;   in Loop: Header=BB131_185 Depth=1
	v_ldexp_f64 v[14:15], |v[20:21]|, 0xffffff80
	v_cmp_le_f64_e64 s3, 0x7b000000, |v[20:21]|
	v_trig_preop_f64 v[16:17], |v[20:21]|, 0
	v_trig_preop_f64 v[18:19], |v[20:21]|, 1
	;; [unrolled: 1-line block ×3, first 2 shown]
	s_delay_alu instid0(VALU_DEP_4) | instskip(NEXT) | instid1(VALU_DEP_1)
	v_dual_cndmask_b32 v15, v46, v15, s3 :: v_dual_cndmask_b32 v14, v20, v14, s3
	v_mul_f64_e32 v[42:43], v[16:17], v[14:15]
	s_delay_alu instid0(VALU_DEP_4) | instskip(NEXT) | instid1(VALU_DEP_4)
	v_mul_f64_e32 v[44:45], v[18:19], v[14:15]
	v_mul_f64_e32 v[58:59], v[52:53], v[14:15]
	s_delay_alu instid0(VALU_DEP_3) | instskip(NEXT) | instid1(VALU_DEP_3)
	v_fma_f64 v[16:17], v[16:17], v[14:15], -v[42:43]
	v_fma_f64 v[18:19], v[18:19], v[14:15], -v[44:45]
	s_delay_alu instid0(VALU_DEP_3) | instskip(NEXT) | instid1(VALU_DEP_3)
	v_fma_f64 v[14:15], v[52:53], v[14:15], -v[58:59]
	v_add_f64_e32 v[48:49], v[44:45], v[16:17]
	s_delay_alu instid0(VALU_DEP_1) | instskip(SKIP_1) | instid1(VALU_DEP_2)
	v_add_f64_e64 v[50:51], v[48:49], -v[44:45]
	v_add_f64_e32 v[56:57], v[42:43], v[48:49]
	v_add_f64_e64 v[54:55], v[48:49], -v[50:51]
	v_add_f64_e64 v[16:17], v[16:17], -v[50:51]
	s_delay_alu instid0(VALU_DEP_3) | instskip(NEXT) | instid1(VALU_DEP_3)
	v_ldexp_f64 v[50:51], v[56:57], -2
	v_add_f64_e64 v[44:45], v[44:45], -v[54:55]
	v_add_f64_e32 v[54:55], v[58:59], v[18:19]
	s_delay_alu instid0(VALU_DEP_3) | instskip(NEXT) | instid1(VALU_DEP_3)
	v_cmp_neq_f64_e64 s3, 0x7ff00000, |v[50:51]|
	v_add_f64_e32 v[16:17], v[16:17], v[44:45]
	v_fract_f64_e32 v[44:45], v[50:51]
	s_delay_alu instid0(VALU_DEP_1) | instskip(NEXT) | instid1(VALU_DEP_1)
	v_ldexp_f64 v[44:45], v[44:45], 2
	v_dual_add_f64 v[42:43], v[56:57], -v[42:43] :: v_dual_cndmask_b32 v45, 0, v45, s3
	s_delay_alu instid0(VALU_DEP_1) | instskip(SKIP_1) | instid1(VALU_DEP_1)
	v_dual_add_f64 v[42:43], v[48:49], -v[42:43] :: v_dual_cndmask_b32 v44, 0, v44, s3
	v_add_f64_e32 v[48:49], v[54:55], v[16:17]
	v_add_f64_e32 v[50:51], v[42:43], v[48:49]
	v_add_f64_e64 v[60:61], v[48:49], -v[54:55]
	s_delay_alu instid0(VALU_DEP_2) | instskip(NEXT) | instid1(VALU_DEP_2)
	v_add_f64_e32 v[56:57], v[50:51], v[44:45]
	v_add_f64_e64 v[66:67], v[48:49], -v[60:61]
	v_add_f64_e64 v[16:17], v[16:17], -v[60:61]
	;; [unrolled: 1-line block ×3, first 2 shown]
	s_delay_alu instid0(VALU_DEP_4) | instskip(SKIP_1) | instid1(VALU_DEP_3)
	v_cmp_gt_f64_e64 s3, 0, v[56:57]
	v_add_f64_e64 v[56:57], v[54:55], -v[58:59]
	v_add_f64_e64 v[42:43], v[48:49], -v[42:43]
	s_delay_alu instid0(VALU_DEP_3) | instskip(NEXT) | instid1(VALU_DEP_3)
	v_cndmask_b32_e64 v27, 0, 0x40100000, s3
	v_add_f64_e64 v[64:65], v[54:55], -v[56:57]
	v_add_f64_e64 v[18:19], v[18:19], -v[56:57]
	;; [unrolled: 1-line block ×3, first 2 shown]
	s_delay_alu instid0(VALU_DEP_4) | instskip(NEXT) | instid1(VALU_DEP_4)
	v_add_f64_e32 v[44:45], v[44:45], v[26:27]
	v_add_f64_e64 v[56:57], v[58:59], -v[64:65]
	s_delay_alu instid0(VALU_DEP_3) | instskip(NEXT) | instid1(VALU_DEP_3)
	v_add_f64_e32 v[16:17], v[16:17], v[54:55]
	v_add_f64_e32 v[62:63], v[50:51], v[44:45]
	s_delay_alu instid0(VALU_DEP_3) | instskip(NEXT) | instid1(VALU_DEP_2)
	v_add_f64_e32 v[18:19], v[18:19], v[56:57]
	v_cvt_i32_f64_e32 v27, v[62:63]
	s_delay_alu instid0(VALU_DEP_2) | instskip(NEXT) | instid1(VALU_DEP_2)
	v_add_f64_e32 v[16:17], v[18:19], v[16:17]
	v_cvt_f64_i32_e32 v[60:61], v27
	s_delay_alu instid0(VALU_DEP_2) | instskip(NEXT) | instid1(VALU_DEP_2)
	v_add_f64_e32 v[14:15], v[14:15], v[16:17]
	v_add_f64_e64 v[44:45], v[44:45], -v[60:61]
	s_delay_alu instid0(VALU_DEP_2) | instskip(NEXT) | instid1(VALU_DEP_2)
	v_add_f64_e32 v[14:15], v[42:43], v[14:15]
	v_add_f64_e32 v[18:19], v[50:51], v[44:45]
	s_delay_alu instid0(VALU_DEP_1) | instskip(SKIP_1) | instid1(VALU_DEP_2)
	v_add_f64_e64 v[16:17], v[18:19], -v[44:45]
	v_cmp_le_f64_e64 s3, 0.5, v[18:19]
	v_add_f64_e64 v[16:17], v[50:51], -v[16:17]
	s_delay_alu instid0(VALU_DEP_2) | instskip(SKIP_1) | instid1(VALU_DEP_3)
	v_add_co_ci_u32_e64 v44, null, 0, v27, s3
	v_cndmask_b32_e64 v27, 0, 0x3ff00000, s3
	v_add_f64_e32 v[14:15], v[14:15], v[16:17]
	s_delay_alu instid0(VALU_DEP_2) | instskip(NEXT) | instid1(VALU_DEP_1)
	v_add_f64_e64 v[16:17], v[18:19], -v[26:27]
	v_add_f64_e32 v[18:19], v[16:17], v[14:15]
	s_delay_alu instid0(VALU_DEP_1) | instskip(SKIP_1) | instid1(VALU_DEP_2)
	v_mul_f64_e32 v[42:43], 0x3ff921fb54442d18, v[18:19]
	v_add_f64_e64 v[16:17], v[18:19], -v[16:17]
	v_fma_f64 v[48:49], v[18:19], s[14:15], -v[42:43]
	s_delay_alu instid0(VALU_DEP_2) | instskip(NEXT) | instid1(VALU_DEP_2)
	v_add_f64_e64 v[14:15], v[14:15], -v[16:17]
	v_fmac_f64_e32 v[48:49], 0x3c91a62633145c07, v[18:19]
	s_delay_alu instid0(VALU_DEP_1) | instskip(NEXT) | instid1(VALU_DEP_1)
	v_fmac_f64_e32 v[48:49], 0x3ff921fb54442d18, v[14:15]
	v_add_f64_e32 v[14:15], v[42:43], v[48:49]
	s_delay_alu instid0(VALU_DEP_1) | instskip(NEXT) | instid1(VALU_DEP_1)
	v_add_f64_e64 v[16:17], v[14:15], -v[42:43]
	v_add_f64_e64 v[16:17], v[48:49], -v[16:17]
	s_and_not1_saveexec_b32 s3, s5
	s_cbranch_execz .LBB131_273
	s_branch .LBB131_272
.LBB131_271:                            ;   in Loop: Header=BB131_185 Depth=1
	s_and_not1_saveexec_b32 s3, s5
	s_cbranch_execz .LBB131_273
.LBB131_272:                            ;   in Loop: Header=BB131_185 Depth=1
	v_mul_f64_e64 v[14:15], |v[20:21]|, s[16:17]
	s_delay_alu instid0(VALU_DEP_1) | instskip(NEXT) | instid1(VALU_DEP_1)
	v_rndne_f64_e32 v[18:19], v[14:15]
	v_fma_f64 v[14:15], v[18:19], s[22:23], |v[20:21]|
	v_mul_f64_e32 v[16:17], 0xbc91a62633145c00, v[18:19]
	s_delay_alu instid0(VALU_DEP_2) | instskip(NEXT) | instid1(VALU_DEP_2)
	v_fmamk_f64 v[48:49], v[18:19], 0xbc91a62633145c00, v[14:15]
	v_add_f64_e32 v[42:43], v[14:15], v[16:17]
	s_delay_alu instid0(VALU_DEP_1) | instskip(NEXT) | instid1(VALU_DEP_3)
	v_add_f64_e64 v[44:45], v[14:15], -v[42:43]
	v_add_f64_e64 v[14:15], v[42:43], -v[48:49]
	s_delay_alu instid0(VALU_DEP_2) | instskip(SKIP_2) | instid1(VALU_DEP_3)
	v_add_f64_e32 v[42:43], v[44:45], v[16:17]
	v_fmamk_f64 v[16:17], v[18:19], 0x3c91a62633145c00, v[16:17]
	v_cvt_i32_f64_e32 v44, v[18:19]
	v_add_f64_e32 v[14:15], v[14:15], v[42:43]
	s_delay_alu instid0(VALU_DEP_1) | instskip(NEXT) | instid1(VALU_DEP_1)
	v_add_f64_e64 v[16:17], v[14:15], -v[16:17]
	v_fmac_f64_e32 v[16:17], 0xb97b839a252049c0, v[18:19]
	s_delay_alu instid0(VALU_DEP_1) | instskip(NEXT) | instid1(VALU_DEP_1)
	v_add_f64_e32 v[14:15], v[48:49], v[16:17]
	v_add_f64_e64 v[42:43], v[14:15], -v[48:49]
	s_delay_alu instid0(VALU_DEP_1)
	v_add_f64_e64 v[16:17], v[16:17], -v[42:43]
.LBB131_273:                            ;   in Loop: Header=BB131_185 Depth=1
	s_or_b32 exec_lo, exec_lo, s3
                                        ; implicit-def: $vgpr45
                                        ; implicit-def: $vgpr18_vgpr19
                                        ; implicit-def: $vgpr42_vgpr43
	s_and_saveexec_b32 s3, s4
	s_delay_alu instid0(SALU_CYCLE_1)
	s_xor_b32 s4, exec_lo, s3
	s_cbranch_execz .LBB131_275
; %bb.274:                              ;   in Loop: Header=BB131_185 Depth=1
	v_ldexp_f64 v[18:19], |v[20:21]|, 0xffffff80
	v_cmp_le_f64_e64 s3, 0x7b000000, |v[20:21]|
	v_trig_preop_f64 v[42:43], |v[20:21]|, 0
	v_trig_preop_f64 v[56:57], |v[20:21]|, 2
	s_delay_alu instid0(VALU_DEP_3) | instskip(SKIP_1) | instid1(VALU_DEP_2)
	v_dual_cndmask_b32 v19, v46, v19, s3 :: v_dual_cndmask_b32 v18, v20, v18, s3
	v_trig_preop_f64 v[46:47], |v[20:21]|, 1
	v_mul_f64_e32 v[48:49], v[42:43], v[18:19]
	s_delay_alu instid0(VALU_DEP_4) | instskip(NEXT) | instid1(VALU_DEP_3)
	v_mul_f64_e32 v[62:63], v[56:57], v[18:19]
	v_mul_f64_e32 v[50:51], v[46:47], v[18:19]
	s_delay_alu instid0(VALU_DEP_3) | instskip(NEXT) | instid1(VALU_DEP_2)
	v_fma_f64 v[42:43], v[42:43], v[18:19], -v[48:49]
	v_fma_f64 v[46:47], v[46:47], v[18:19], -v[50:51]
	s_delay_alu instid0(VALU_DEP_4) | instskip(NEXT) | instid1(VALU_DEP_3)
	v_fma_f64 v[18:19], v[56:57], v[18:19], -v[62:63]
	v_add_f64_e32 v[52:53], v[50:51], v[42:43]
	s_delay_alu instid0(VALU_DEP_1) | instskip(SKIP_1) | instid1(VALU_DEP_2)
	v_add_f64_e64 v[54:55], v[52:53], -v[50:51]
	v_add_f64_e32 v[60:61], v[48:49], v[52:53]
	v_add_f64_e64 v[58:59], v[52:53], -v[54:55]
	v_add_f64_e64 v[42:43], v[42:43], -v[54:55]
	s_delay_alu instid0(VALU_DEP_3) | instskip(NEXT) | instid1(VALU_DEP_3)
	v_ldexp_f64 v[54:55], v[60:61], -2
	v_add_f64_e64 v[50:51], v[50:51], -v[58:59]
	v_add_f64_e32 v[58:59], v[62:63], v[46:47]
	s_delay_alu instid0(VALU_DEP_3) | instskip(NEXT) | instid1(VALU_DEP_3)
	v_cmp_neq_f64_e64 s3, 0x7ff00000, |v[54:55]|
	v_add_f64_e32 v[42:43], v[42:43], v[50:51]
	v_fract_f64_e32 v[50:51], v[54:55]
	s_delay_alu instid0(VALU_DEP_1) | instskip(NEXT) | instid1(VALU_DEP_1)
	v_ldexp_f64 v[50:51], v[50:51], 2
	v_dual_add_f64 v[48:49], v[60:61], -v[48:49] :: v_dual_cndmask_b32 v51, 0, v51, s3
	s_delay_alu instid0(VALU_DEP_1) | instskip(SKIP_1) | instid1(VALU_DEP_1)
	v_dual_add_f64 v[48:49], v[52:53], -v[48:49] :: v_dual_cndmask_b32 v50, 0, v50, s3
	v_add_f64_e32 v[52:53], v[58:59], v[42:43]
	v_add_f64_e32 v[54:55], v[48:49], v[52:53]
	v_add_f64_e64 v[64:65], v[52:53], -v[58:59]
	s_delay_alu instid0(VALU_DEP_2) | instskip(NEXT) | instid1(VALU_DEP_2)
	v_add_f64_e32 v[60:61], v[54:55], v[50:51]
	v_add_f64_e64 v[70:71], v[52:53], -v[64:65]
	v_add_f64_e64 v[42:43], v[42:43], -v[64:65]
	;; [unrolled: 1-line block ×3, first 2 shown]
	s_delay_alu instid0(VALU_DEP_4) | instskip(SKIP_1) | instid1(VALU_DEP_3)
	v_cmp_gt_f64_e64 s3, 0, v[60:61]
	v_add_f64_e64 v[60:61], v[58:59], -v[62:63]
	v_add_f64_e64 v[48:49], v[52:53], -v[48:49]
	s_delay_alu instid0(VALU_DEP_3) | instskip(NEXT) | instid1(VALU_DEP_3)
	v_cndmask_b32_e64 v27, 0, 0x40100000, s3
	v_add_f64_e64 v[68:69], v[58:59], -v[60:61]
	v_add_f64_e64 v[46:47], v[46:47], -v[60:61]
	;; [unrolled: 1-line block ×3, first 2 shown]
	s_delay_alu instid0(VALU_DEP_4) | instskip(NEXT) | instid1(VALU_DEP_4)
	v_add_f64_e32 v[50:51], v[50:51], v[26:27]
	v_add_f64_e64 v[60:61], v[62:63], -v[68:69]
	s_delay_alu instid0(VALU_DEP_3) | instskip(NEXT) | instid1(VALU_DEP_3)
	v_add_f64_e32 v[42:43], v[42:43], v[58:59]
	v_add_f64_e32 v[66:67], v[54:55], v[50:51]
	s_delay_alu instid0(VALU_DEP_3) | instskip(NEXT) | instid1(VALU_DEP_2)
	v_add_f64_e32 v[46:47], v[46:47], v[60:61]
	v_cvt_i32_f64_e32 v27, v[66:67]
	s_delay_alu instid0(VALU_DEP_2) | instskip(NEXT) | instid1(VALU_DEP_2)
	v_add_f64_e32 v[42:43], v[46:47], v[42:43]
	v_cvt_f64_i32_e32 v[64:65], v27
	s_delay_alu instid0(VALU_DEP_2) | instskip(NEXT) | instid1(VALU_DEP_2)
	v_add_f64_e32 v[18:19], v[18:19], v[42:43]
	v_add_f64_e64 v[50:51], v[50:51], -v[64:65]
	s_delay_alu instid0(VALU_DEP_2) | instskip(NEXT) | instid1(VALU_DEP_2)
	v_add_f64_e32 v[18:19], v[48:49], v[18:19]
	v_add_f64_e32 v[46:47], v[54:55], v[50:51]
	s_delay_alu instid0(VALU_DEP_1) | instskip(SKIP_1) | instid1(VALU_DEP_2)
	v_add_f64_e64 v[42:43], v[46:47], -v[50:51]
	v_cmp_le_f64_e64 s3, 0.5, v[46:47]
	v_add_f64_e64 v[42:43], v[54:55], -v[42:43]
	s_delay_alu instid0(VALU_DEP_2) | instskip(SKIP_1) | instid1(VALU_DEP_3)
	v_add_co_ci_u32_e64 v45, null, 0, v27, s3
	v_cndmask_b32_e64 v27, 0, 0x3ff00000, s3
	v_add_f64_e32 v[18:19], v[18:19], v[42:43]
	s_delay_alu instid0(VALU_DEP_2) | instskip(NEXT) | instid1(VALU_DEP_1)
	v_add_f64_e64 v[42:43], v[46:47], -v[26:27]
	v_add_f64_e32 v[46:47], v[42:43], v[18:19]
	s_delay_alu instid0(VALU_DEP_1) | instskip(SKIP_1) | instid1(VALU_DEP_2)
	v_mul_f64_e32 v[48:49], 0x3ff921fb54442d18, v[46:47]
	v_add_f64_e64 v[42:43], v[46:47], -v[42:43]
	v_fma_f64 v[50:51], v[46:47], s[14:15], -v[48:49]
	s_delay_alu instid0(VALU_DEP_2) | instskip(NEXT) | instid1(VALU_DEP_2)
	v_add_f64_e64 v[18:19], v[18:19], -v[42:43]
	v_fmac_f64_e32 v[50:51], 0x3c91a62633145c07, v[46:47]
	s_delay_alu instid0(VALU_DEP_1) | instskip(NEXT) | instid1(VALU_DEP_1)
	v_fmac_f64_e32 v[50:51], 0x3ff921fb54442d18, v[18:19]
	v_add_f64_e32 v[18:19], v[48:49], v[50:51]
	s_delay_alu instid0(VALU_DEP_1) | instskip(NEXT) | instid1(VALU_DEP_1)
	v_add_f64_e64 v[42:43], v[18:19], -v[48:49]
	v_add_f64_e64 v[42:43], v[50:51], -v[42:43]
	s_and_not1_saveexec_b32 s3, s4
	s_cbranch_execnz .LBB131_276
	s_branch .LBB131_277
.LBB131_275:                            ;   in Loop: Header=BB131_185 Depth=1
	s_and_not1_saveexec_b32 s3, s4
	s_cbranch_execz .LBB131_277
.LBB131_276:                            ;   in Loop: Header=BB131_185 Depth=1
	v_mul_f64_e64 v[18:19], |v[20:21]|, s[16:17]
	s_delay_alu instid0(VALU_DEP_1) | instskip(NEXT) | instid1(VALU_DEP_1)
	v_rndne_f64_e32 v[46:47], v[18:19]
	v_fma_f64 v[18:19], v[46:47], s[22:23], |v[20:21]|
	v_mul_f64_e32 v[42:43], 0xbc91a62633145c00, v[46:47]
	v_cvt_i32_f64_e32 v45, v[46:47]
	s_delay_alu instid0(VALU_DEP_3) | instskip(NEXT) | instid1(VALU_DEP_3)
	v_fmamk_f64 v[52:53], v[46:47], 0xbc91a62633145c00, v[18:19]
	v_add_f64_e32 v[48:49], v[18:19], v[42:43]
	s_delay_alu instid0(VALU_DEP_1) | instskip(NEXT) | instid1(VALU_DEP_3)
	v_add_f64_e64 v[50:51], v[18:19], -v[48:49]
	v_add_f64_e64 v[18:19], v[48:49], -v[52:53]
	s_delay_alu instid0(VALU_DEP_2) | instskip(SKIP_1) | instid1(VALU_DEP_2)
	v_add_f64_e32 v[48:49], v[50:51], v[42:43]
	v_fmamk_f64 v[42:43], v[46:47], 0x3c91a62633145c00, v[42:43]
	v_add_f64_e32 v[18:19], v[18:19], v[48:49]
	s_delay_alu instid0(VALU_DEP_1) | instskip(NEXT) | instid1(VALU_DEP_1)
	v_add_f64_e64 v[42:43], v[18:19], -v[42:43]
	v_fmac_f64_e32 v[42:43], 0xb97b839a252049c0, v[46:47]
	s_delay_alu instid0(VALU_DEP_1) | instskip(NEXT) | instid1(VALU_DEP_1)
	v_add_f64_e32 v[18:19], v[52:53], v[42:43]
	v_add_f64_e64 v[48:49], v[18:19], -v[52:53]
	s_delay_alu instid0(VALU_DEP_1)
	v_add_f64_e64 v[42:43], v[42:43], -v[48:49]
.LBB131_277:                            ;   in Loop: Header=BB131_185 Depth=1
	s_or_b32 exec_lo, exec_lo, s3
	v_dual_mul_f64 v[46:47], v[14:15], v[14:15] :: v_dual_bitop2_b32 v27, 1, v44 bitop3:0x40
	v_mul_f64_e32 v[48:49], v[18:19], v[18:19]
	s_delay_alu instid0(VALU_DEP_3) | instskip(NEXT) | instid1(VALU_DEP_4)
	v_mul_f64_e32 v[58:59], 0.5, v[16:17]
	v_mul_f64_e32 v[66:67], 0.5, v[42:43]
	v_cmp_class_f64_e64 s4, v[20:21], 0x1f8
	v_cmp_eq_u32_e64 s3, 0, v27
	v_lshlrev_b32_e32 v20, 30, v45
	s_delay_alu instid0(VALU_DEP_1) | instskip(SKIP_4) | instid1(VALU_DEP_3)
	v_dual_mul_f64 v[50:51], 0.5, v[46:47] :: v_dual_bitop2_b32 v20, v20, v21 bitop3:0x14
	v_mul_f64_e64 v[60:61], v[14:15], -v[46:47]
	v_fmamk_f64 v[64:65], v[46:47], 0x3de5e0b2f9a43bb8, v[32:33]
	v_mul_f64_e64 v[68:69], v[18:19], -v[48:49]
	v_fmamk_f64 v[72:73], v[48:49], 0x3de5e0b2f9a43bb8, v[32:33]
	v_fmaak_f64 v[64:65], v[46:47], v[64:65], 0x3ec71de3796cde01
	s_delay_alu instid0(VALU_DEP_1) | instskip(NEXT) | instid1(VALU_DEP_1)
	v_fmaak_f64 v[64:65], v[46:47], v[64:65], 0xbf2a01a019e83e5c
	v_fmaak_f64 v[64:65], v[46:47], v[64:65], 0x3f81111111110bb3
	v_add_f64_e64 v[54:55], -v[50:51], 1.0
	s_delay_alu instid0(VALU_DEP_2) | instskip(SKIP_1) | instid1(VALU_DEP_3)
	v_fmac_f64_e32 v[58:59], v[60:61], v[64:65]
	v_mul_f64_e32 v[64:65], v[46:47], v[46:47]
	v_add_f64_e64 v[62:63], -v[54:55], 1.0
	s_delay_alu instid0(VALU_DEP_3) | instskip(NEXT) | instid1(VALU_DEP_2)
	v_fma_f64 v[58:59], v[46:47], v[58:59], -v[16:17]
	v_add_f64_e64 v[50:51], v[62:63], -v[50:51]
	v_fmaak_f64 v[62:63], v[48:49], v[72:73], 0x3ec71de3796cde01
	s_delay_alu instid0(VALU_DEP_3) | instskip(NEXT) | instid1(VALU_DEP_2)
	v_fmac_f64_e32 v[58:59], 0xbfc5555555555555, v[60:61]
	v_fmaak_f64 v[62:63], v[48:49], v[62:63], 0xbf2a01a019e83e5c
	s_delay_alu instid0(VALU_DEP_1) | instskip(NEXT) | instid1(VALU_DEP_1)
	v_fmaak_f64 v[62:63], v[48:49], v[62:63], 0x3f81111111110bb3
	v_fmac_f64_e32 v[66:67], v[68:69], v[62:63]
	v_fmamk_f64 v[62:63], v[46:47], 0xbda907db46cc5e42, v[30:31]
	v_fma_f64 v[16:17], v[14:15], -v[16:17], v[50:51]
	s_delay_alu instid0(VALU_DEP_2) | instskip(SKIP_1) | instid1(VALU_DEP_2)
	v_fmaak_f64 v[50:51], v[46:47], v[62:63], 0xbe927e4fa17f65f6
	v_add_f64_e64 v[14:15], v[14:15], -v[58:59]
	v_fmaak_f64 v[50:51], v[46:47], v[50:51], 0x3efa01a019f4ec90
	s_delay_alu instid0(VALU_DEP_1) | instskip(NEXT) | instid1(VALU_DEP_1)
	v_fmaak_f64 v[50:51], v[46:47], v[50:51], 0xbf56c16c16c16967
	v_fmaak_f64 v[46:47], v[46:47], v[50:51], 0x3fa5555555555555
	s_delay_alu instid0(VALU_DEP_1) | instskip(SKIP_1) | instid1(VALU_DEP_2)
	v_fmac_f64_e32 v[16:17], v[64:65], v[46:47]
	v_xor_b32_e32 v15, 0x80000000, v15
	v_add_f64_e32 v[16:17], v[54:55], v[16:17]
	s_delay_alu instid0(VALU_DEP_1) | instskip(SKIP_1) | instid1(VALU_DEP_3)
	v_dual_cndmask_b32 v14, v14, v16, s3 :: v_dual_bitop2_b32 v16, 1, v45 bitop3:0x40
	v_fmamk_f64 v[62:63], v[48:49], 0xbda907db46cc5e42, v[30:31]
	v_dual_fma_f64 v[66:67], v[48:49], v[66:67], -v[42:43] :: v_dual_cndmask_b32 v15, v15, v17, s3
	s_delay_alu instid0(VALU_DEP_3) | instskip(NEXT) | instid1(VALU_DEP_4)
	v_cndmask_b32_e64 v14, 0, v14, s4
	v_cmp_eq_u32_e64 s5, 0, v16
	v_mul_f64_e32 v[52:53], 0.5, v[48:49]
	v_lshlrev_b32_e32 v16, 30, v44
	v_fmaak_f64 v[50:51], v[48:49], v[62:63], 0xbe927e4fa17f65f6
	s_delay_alu instid0(VALU_DEP_2) | instskip(NEXT) | instid1(VALU_DEP_2)
	v_bitop3_b32 v15, v15, v16, 0x80000000 bitop3:0x78
	v_fmaak_f64 v[46:47], v[48:49], v[50:51], 0x3efa01a019f4ec90
	s_delay_alu instid0(VALU_DEP_2) | instskip(NEXT) | instid1(VALU_DEP_2)
	v_cndmask_b32_e64 v15, 0x7ff80000, v15, s4
	v_fmaak_f64 v[46:47], v[48:49], v[46:47], 0xbf56c16c16c16967
	s_delay_alu instid0(VALU_DEP_1) | instskip(SKIP_2) | instid1(VALU_DEP_1)
	v_fmaak_f64 v[46:47], v[48:49], v[46:47], 0x3fa5555555555555
	v_fmac_f64_e32 v[66:67], 0xbfc5555555555555, v[68:69]
	v_add_f64_e64 v[56:57], -v[52:53], 1.0
	v_add_f64_e64 v[70:71], -v[56:57], 1.0
	s_delay_alu instid0(VALU_DEP_1) | instskip(SKIP_1) | instid1(VALU_DEP_2)
	v_add_f64_e64 v[52:53], v[70:71], -v[52:53]
	v_mul_f64_e32 v[70:71], v[48:49], v[48:49]
	v_fma_f64 v[42:43], v[18:19], -v[42:43], v[52:53]
	v_add_f64_e64 v[18:19], v[18:19], -v[66:67]
	s_delay_alu instid0(VALU_DEP_2) | instskip(NEXT) | instid1(VALU_DEP_1)
	v_fmac_f64_e32 v[42:43], v[70:71], v[46:47]
	v_add_f64_e32 v[42:43], v[56:57], v[42:43]
	s_delay_alu instid0(VALU_DEP_1) | instskip(NEXT) | instid1(VALU_DEP_1)
	v_dual_cndmask_b32 v17, v42, v18, s5 :: v_dual_cndmask_b32 v18, v43, v19, s5
	v_cndmask_b32_e64 v16, 0, v17, s4
	s_delay_alu instid0(VALU_DEP_2) | instskip(NEXT) | instid1(VALU_DEP_1)
	v_bitop3_b32 v18, v18, v20, 0x80000000 bitop3:0x78
	v_cndmask_b32_e64 v17, 0x7ff80000, v18, s4
.LBB131_278:                            ;   in Loop: Header=BB131_185 Depth=1
	s_or_b32 exec_lo, exec_lo, s6
                                        ; implicit-def: $vgpr18_vgpr19
.LBB131_279:                            ;   in Loop: Header=BB131_185 Depth=1
	s_and_not1_saveexec_b32 s5, s29
	s_cbranch_execz .LBB131_281
; %bb.280:                              ;   in Loop: Header=BB131_185 Depth=1
	v_mul_f64_e32 v[14:15], 0x3ff71547652b82fe, v[18:19]
	v_cmp_nlt_f64_e64 s3, 0x40900000, v[18:19]
	v_cmp_ngt_f64_e64 s4, 0xc090cc00, v[18:19]
	s_delay_alu instid0(VALU_DEP_3) | instskip(NEXT) | instid1(VALU_DEP_1)
	v_rndne_f64_e32 v[14:15], v[14:15]
	v_fmamk_f64 v[16:17], v[14:15], 0xbfe62e42fefa39ef, v[18:19]
	v_cvt_i32_f64_e32 v27, v[14:15]
	s_delay_alu instid0(VALU_DEP_2) | instskip(NEXT) | instid1(VALU_DEP_1)
	v_fmac_f64_e32 v[16:17], 0xbc7abc9e3b39803f, v[14:15]
	v_fmamk_f64 v[42:43], v[16:17], 0x3e5ade156a5dcb37, v[28:29]
	s_delay_alu instid0(VALU_DEP_1) | instskip(NEXT) | instid1(VALU_DEP_1)
	v_fmaak_f64 v[42:43], v[16:17], v[42:43], 0x3ec71dee623fde64
	v_fmaak_f64 v[42:43], v[16:17], v[42:43], 0x3efa01997c89e6b0
	s_delay_alu instid0(VALU_DEP_1) | instskip(NEXT) | instid1(VALU_DEP_1)
	v_fmaak_f64 v[42:43], v[16:17], v[42:43], 0x3f2a01a014761f6e
	v_fmaak_f64 v[42:43], v[16:17], v[42:43], 0x3f56c16c1852b7b0
	;; [unrolled: 3-line block ×4, first 2 shown]
	s_delay_alu instid0(VALU_DEP_1) | instskip(NEXT) | instid1(VALU_DEP_1)
	v_fma_f64 v[42:43], v[16:17], v[42:43], 1.0
	v_fma_f64 v[14:15], v[16:17], v[42:43], 1.0
	v_mov_b64_e32 v[16:17], v[20:21]
	s_delay_alu instid0(VALU_DEP_2) | instskip(NEXT) | instid1(VALU_DEP_1)
	v_ldexp_f64 v[14:15], v[14:15], v27
	v_cndmask_b32_e64 v15, 0x7ff00000, v15, s3
	s_and_b32 s3, s4, s3
	s_delay_alu instid0(VALU_DEP_1) | instid1(SALU_CYCLE_1)
	v_dual_cndmask_b32 v14, 0, v14, s3 :: v_dual_cndmask_b32 v15, 0, v15, s4
.LBB131_281:                            ;   in Loop: Header=BB131_185 Depth=1
	s_or_b32 exec_lo, exec_lo, s5
	v_and_b32_e32 v46, 0x7fffffff, v13
	s_delay_alu instid0(VALU_DEP_1) | instskip(NEXT) | instid1(VALU_DEP_1)
	v_or_b32_e32 v18, v46, v12
	v_cmp_ne_u32_e64 s3, 0, v18
                                        ; implicit-def: $vgpr20_vgpr21
	s_and_saveexec_b32 s4, s3
	s_delay_alu instid0(SALU_CYCLE_1)
	s_xor_b32 s29, exec_lo, s4
	s_cbranch_execz .LBB131_323
; %bb.282:                              ;   in Loop: Header=BB131_185 Depth=1
	v_and_b32_e32 v27, 0x7fffffff, v11
	s_delay_alu instid0(VALU_DEP_1) | instskip(NEXT) | instid1(VALU_DEP_1)
	v_or_b32_e32 v18, v27, v10
	v_cmp_ne_u32_e64 s3, 0, v18
                                        ; implicit-def: $vgpr20_vgpr21
	s_and_saveexec_b32 s4, s3
	s_delay_alu instid0(SALU_CYCLE_1)
	s_xor_b32 s30, exec_lo, s4
	s_cbranch_execz .LBB131_312
; %bb.283:                              ;   in Loop: Header=BB131_185 Depth=1
                                        ; implicit-def: $vgpr20_vgpr21
	s_mov_b32 s4, exec_lo
	v_cmpx_gt_u32_e32 0x7ff00000, v46
	s_xor_b32 s31, exec_lo, s4
	s_cbranch_execz .LBB131_305
; %bb.284:                              ;   in Loop: Header=BB131_185 Depth=1
	v_add_nc_u32_e32 v18, 0xbf79d1be, v11
	s_delay_alu instid0(VALU_DEP_1) | instskip(SKIP_1) | instid1(SALU_CYCLE_1)
	v_cmp_lt_u32_e64 s3, 0x108aa2, v18
                                        ; implicit-def: $vgpr20_vgpr21
	s_and_saveexec_b32 s4, s3
	s_xor_b32 s33, exec_lo, s4
	s_cbranch_execz .LBB131_294
; %bb.285:                              ;   in Loop: Header=BB131_185 Depth=1
	v_cmp_ngt_f64_e64 s4, 0x41d00000, |v[12:13]|
                                        ; implicit-def: $vgpr47
                                        ; implicit-def: $vgpr18_vgpr19
                                        ; implicit-def: $vgpr20_vgpr21
	s_and_saveexec_b32 s3, s4
	s_delay_alu instid0(SALU_CYCLE_1)
	s_xor_b32 s5, exec_lo, s3
	s_cbranch_execz .LBB131_287
; %bb.286:                              ;   in Loop: Header=BB131_185 Depth=1
	v_ldexp_f64 v[18:19], |v[12:13]|, 0xffffff80
	v_cmp_le_f64_e64 s3, 0x7b000000, |v[12:13]|
	v_trig_preop_f64 v[20:21], |v[12:13]|, 0
	v_trig_preop_f64 v[42:43], |v[12:13]|, 1
	;; [unrolled: 1-line block ×3, first 2 shown]
	s_delay_alu instid0(VALU_DEP_4) | instskip(NEXT) | instid1(VALU_DEP_1)
	v_dual_cndmask_b32 v19, v46, v19, s3 :: v_dual_cndmask_b32 v18, v12, v18, s3
	v_mul_f64_e32 v[44:45], v[20:21], v[18:19]
	s_delay_alu instid0(VALU_DEP_4) | instskip(NEXT) | instid1(VALU_DEP_4)
	v_mul_f64_e32 v[48:49], v[42:43], v[18:19]
	v_mul_f64_e32 v[60:61], v[54:55], v[18:19]
	s_delay_alu instid0(VALU_DEP_3) | instskip(NEXT) | instid1(VALU_DEP_3)
	v_fma_f64 v[20:21], v[20:21], v[18:19], -v[44:45]
	v_fma_f64 v[42:43], v[42:43], v[18:19], -v[48:49]
	s_delay_alu instid0(VALU_DEP_3) | instskip(NEXT) | instid1(VALU_DEP_3)
	v_fma_f64 v[18:19], v[54:55], v[18:19], -v[60:61]
	v_add_f64_e32 v[50:51], v[48:49], v[20:21]
	s_delay_alu instid0(VALU_DEP_1) | instskip(SKIP_1) | instid1(VALU_DEP_2)
	v_add_f64_e64 v[52:53], v[50:51], -v[48:49]
	v_add_f64_e32 v[58:59], v[44:45], v[50:51]
	v_add_f64_e64 v[56:57], v[50:51], -v[52:53]
	v_add_f64_e64 v[20:21], v[20:21], -v[52:53]
	s_delay_alu instid0(VALU_DEP_3) | instskip(NEXT) | instid1(VALU_DEP_3)
	v_ldexp_f64 v[52:53], v[58:59], -2
	v_add_f64_e64 v[48:49], v[48:49], -v[56:57]
	v_add_f64_e32 v[56:57], v[60:61], v[42:43]
	s_delay_alu instid0(VALU_DEP_3) | instskip(NEXT) | instid1(VALU_DEP_3)
	v_cmp_neq_f64_e64 s3, 0x7ff00000, |v[52:53]|
	v_add_f64_e32 v[20:21], v[20:21], v[48:49]
	v_fract_f64_e32 v[48:49], v[52:53]
	s_delay_alu instid0(VALU_DEP_1) | instskip(NEXT) | instid1(VALU_DEP_1)
	v_ldexp_f64 v[48:49], v[48:49], 2
	v_cndmask_b32_e64 v49, 0, v49, s3
	v_add_f64_e64 v[44:45], v[58:59], -v[44:45]
	s_delay_alu instid0(VALU_DEP_3) | instskip(NEXT) | instid1(VALU_DEP_2)
	v_cndmask_b32_e64 v48, 0, v48, s3
	v_add_f64_e64 v[44:45], v[50:51], -v[44:45]
	v_add_f64_e32 v[50:51], v[56:57], v[20:21]
	s_delay_alu instid0(VALU_DEP_1) | instskip(SKIP_1) | instid1(VALU_DEP_2)
	v_add_f64_e32 v[52:53], v[44:45], v[50:51]
	v_add_f64_e64 v[62:63], v[50:51], -v[56:57]
	v_add_f64_e32 v[58:59], v[52:53], v[48:49]
	s_delay_alu instid0(VALU_DEP_2) | instskip(SKIP_2) | instid1(VALU_DEP_4)
	v_add_f64_e64 v[68:69], v[50:51], -v[62:63]
	v_add_f64_e64 v[20:21], v[20:21], -v[62:63]
	v_add_f64_e64 v[44:45], v[52:53], -v[44:45]
	v_cmp_gt_f64_e64 s3, 0, v[58:59]
	v_add_f64_e64 v[58:59], v[56:57], -v[60:61]
	s_delay_alu instid0(VALU_DEP_3) | instskip(NEXT) | instid1(VALU_DEP_3)
	v_add_f64_e64 v[44:45], v[50:51], -v[44:45]
	v_cndmask_b32_e64 v27, 0, 0x40100000, s3
	s_delay_alu instid0(VALU_DEP_3) | instskip(SKIP_2) | instid1(VALU_DEP_4)
	v_add_f64_e64 v[66:67], v[56:57], -v[58:59]
	v_add_f64_e64 v[42:43], v[42:43], -v[58:59]
	;; [unrolled: 1-line block ×3, first 2 shown]
	v_add_f64_e32 v[48:49], v[48:49], v[26:27]
	s_delay_alu instid0(VALU_DEP_4) | instskip(NEXT) | instid1(VALU_DEP_3)
	v_add_f64_e64 v[58:59], v[60:61], -v[66:67]
	v_add_f64_e32 v[20:21], v[20:21], v[56:57]
	s_delay_alu instid0(VALU_DEP_3) | instskip(NEXT) | instid1(VALU_DEP_3)
	v_add_f64_e32 v[64:65], v[52:53], v[48:49]
	v_add_f64_e32 v[42:43], v[42:43], v[58:59]
	s_delay_alu instid0(VALU_DEP_2) | instskip(NEXT) | instid1(VALU_DEP_2)
	v_cvt_i32_f64_e32 v27, v[64:65]
	v_add_f64_e32 v[20:21], v[42:43], v[20:21]
	s_delay_alu instid0(VALU_DEP_2) | instskip(NEXT) | instid1(VALU_DEP_2)
	v_cvt_f64_i32_e32 v[62:63], v27
	v_add_f64_e32 v[18:19], v[18:19], v[20:21]
	s_delay_alu instid0(VALU_DEP_2) | instskip(NEXT) | instid1(VALU_DEP_2)
	v_add_f64_e64 v[48:49], v[48:49], -v[62:63]
	v_add_f64_e32 v[18:19], v[44:45], v[18:19]
	s_delay_alu instid0(VALU_DEP_2) | instskip(NEXT) | instid1(VALU_DEP_1)
	v_add_f64_e32 v[42:43], v[52:53], v[48:49]
	v_add_f64_e64 v[20:21], v[42:43], -v[48:49]
	v_cmp_le_f64_e64 s3, 0.5, v[42:43]
	s_delay_alu instid0(VALU_DEP_2) | instskip(NEXT) | instid1(VALU_DEP_2)
	v_add_f64_e64 v[20:21], v[52:53], -v[20:21]
	v_add_co_ci_u32_e64 v47, null, 0, v27, s3
	v_cndmask_b32_e64 v27, 0, 0x3ff00000, s3
	s_delay_alu instid0(VALU_DEP_3) | instskip(NEXT) | instid1(VALU_DEP_2)
	v_add_f64_e32 v[18:19], v[18:19], v[20:21]
	v_add_f64_e64 v[20:21], v[42:43], -v[26:27]
	s_delay_alu instid0(VALU_DEP_1) | instskip(NEXT) | instid1(VALU_DEP_1)
	v_add_f64_e32 v[42:43], v[20:21], v[18:19]
	v_mul_f64_e32 v[44:45], 0x3ff921fb54442d18, v[42:43]
	v_add_f64_e64 v[20:21], v[42:43], -v[20:21]
	s_delay_alu instid0(VALU_DEP_2) | instskip(NEXT) | instid1(VALU_DEP_2)
	v_fma_f64 v[48:49], v[42:43], s[14:15], -v[44:45]
	v_add_f64_e64 v[18:19], v[18:19], -v[20:21]
	s_delay_alu instid0(VALU_DEP_2) | instskip(NEXT) | instid1(VALU_DEP_1)
	v_fmac_f64_e32 v[48:49], 0x3c91a62633145c07, v[42:43]
	v_fmac_f64_e32 v[48:49], 0x3ff921fb54442d18, v[18:19]
	s_delay_alu instid0(VALU_DEP_1) | instskip(NEXT) | instid1(VALU_DEP_1)
	v_add_f64_e32 v[18:19], v[44:45], v[48:49]
	v_add_f64_e64 v[20:21], v[18:19], -v[44:45]
	s_delay_alu instid0(VALU_DEP_1)
	v_add_f64_e64 v[20:21], v[48:49], -v[20:21]
	s_and_not1_saveexec_b32 s3, s5
	s_cbranch_execz .LBB131_289
	s_branch .LBB131_288
.LBB131_287:                            ;   in Loop: Header=BB131_185 Depth=1
	s_and_not1_saveexec_b32 s3, s5
	s_cbranch_execz .LBB131_289
.LBB131_288:                            ;   in Loop: Header=BB131_185 Depth=1
	v_mul_f64_e64 v[18:19], |v[12:13]|, s[16:17]
	s_delay_alu instid0(VALU_DEP_1) | instskip(NEXT) | instid1(VALU_DEP_1)
	v_rndne_f64_e32 v[42:43], v[18:19]
	v_fma_f64 v[18:19], v[42:43], s[22:23], |v[12:13]|
	v_mul_f64_e32 v[20:21], 0xbc91a62633145c00, v[42:43]
	v_cvt_i32_f64_e32 v47, v[42:43]
	s_delay_alu instid0(VALU_DEP_3) | instskip(NEXT) | instid1(VALU_DEP_3)
	v_fmamk_f64 v[50:51], v[42:43], 0xbc91a62633145c00, v[18:19]
	v_add_f64_e32 v[44:45], v[18:19], v[20:21]
	s_delay_alu instid0(VALU_DEP_1) | instskip(NEXT) | instid1(VALU_DEP_3)
	v_add_f64_e64 v[48:49], v[18:19], -v[44:45]
	v_add_f64_e64 v[18:19], v[44:45], -v[50:51]
	s_delay_alu instid0(VALU_DEP_2) | instskip(SKIP_1) | instid1(VALU_DEP_2)
	v_add_f64_e32 v[44:45], v[48:49], v[20:21]
	v_fmamk_f64 v[20:21], v[42:43], 0x3c91a62633145c00, v[20:21]
	v_add_f64_e32 v[18:19], v[18:19], v[44:45]
	s_delay_alu instid0(VALU_DEP_1) | instskip(NEXT) | instid1(VALU_DEP_1)
	v_add_f64_e64 v[20:21], v[18:19], -v[20:21]
	v_fmac_f64_e32 v[20:21], 0xb97b839a252049c0, v[42:43]
	s_delay_alu instid0(VALU_DEP_1) | instskip(NEXT) | instid1(VALU_DEP_1)
	v_add_f64_e32 v[18:19], v[50:51], v[20:21]
	v_add_f64_e64 v[44:45], v[18:19], -v[50:51]
	s_delay_alu instid0(VALU_DEP_1)
	v_add_f64_e64 v[20:21], v[20:21], -v[44:45]
.LBB131_289:                            ;   in Loop: Header=BB131_185 Depth=1
	s_or_b32 exec_lo, exec_lo, s3
                                        ; implicit-def: $vgpr48
                                        ; implicit-def: $vgpr42_vgpr43
                                        ; implicit-def: $vgpr44_vgpr45
	s_and_saveexec_b32 s3, s4
	s_delay_alu instid0(SALU_CYCLE_1)
	s_xor_b32 s4, exec_lo, s3
	s_cbranch_execz .LBB131_291
; %bb.290:                              ;   in Loop: Header=BB131_185 Depth=1
	v_ldexp_f64 v[42:43], |v[12:13]|, 0xffffff80
	v_cmp_le_f64_e64 s3, 0x7b000000, |v[12:13]|
	v_trig_preop_f64 v[44:45], |v[12:13]|, 0
	v_trig_preop_f64 v[48:49], |v[12:13]|, 1
	;; [unrolled: 1-line block ×3, first 2 shown]
	s_delay_alu instid0(VALU_DEP_4) | instskip(NEXT) | instid1(VALU_DEP_1)
	v_dual_cndmask_b32 v43, v46, v43, s3 :: v_dual_cndmask_b32 v42, v12, v42, s3
	v_mul_f64_e32 v[50:51], v[44:45], v[42:43]
	s_delay_alu instid0(VALU_DEP_4) | instskip(NEXT) | instid1(VALU_DEP_4)
	v_mul_f64_e32 v[52:53], v[48:49], v[42:43]
	v_mul_f64_e32 v[64:65], v[58:59], v[42:43]
	s_delay_alu instid0(VALU_DEP_3) | instskip(NEXT) | instid1(VALU_DEP_3)
	v_fma_f64 v[44:45], v[44:45], v[42:43], -v[50:51]
	v_fma_f64 v[48:49], v[48:49], v[42:43], -v[52:53]
	s_delay_alu instid0(VALU_DEP_3) | instskip(NEXT) | instid1(VALU_DEP_3)
	v_fma_f64 v[42:43], v[58:59], v[42:43], -v[64:65]
	v_add_f64_e32 v[54:55], v[52:53], v[44:45]
	s_delay_alu instid0(VALU_DEP_1) | instskip(SKIP_1) | instid1(VALU_DEP_2)
	v_add_f64_e64 v[56:57], v[54:55], -v[52:53]
	v_add_f64_e32 v[62:63], v[50:51], v[54:55]
	v_add_f64_e64 v[60:61], v[54:55], -v[56:57]
	v_add_f64_e64 v[44:45], v[44:45], -v[56:57]
	s_delay_alu instid0(VALU_DEP_3) | instskip(NEXT) | instid1(VALU_DEP_3)
	v_ldexp_f64 v[56:57], v[62:63], -2
	v_add_f64_e64 v[52:53], v[52:53], -v[60:61]
	v_add_f64_e32 v[60:61], v[64:65], v[48:49]
	s_delay_alu instid0(VALU_DEP_3) | instskip(NEXT) | instid1(VALU_DEP_3)
	v_cmp_neq_f64_e64 s3, 0x7ff00000, |v[56:57]|
	v_add_f64_e32 v[44:45], v[44:45], v[52:53]
	v_fract_f64_e32 v[52:53], v[56:57]
	s_delay_alu instid0(VALU_DEP_1) | instskip(NEXT) | instid1(VALU_DEP_1)
	v_ldexp_f64 v[52:53], v[52:53], 2
	v_dual_add_f64 v[50:51], v[62:63], -v[50:51] :: v_dual_cndmask_b32 v53, 0, v53, s3
	s_delay_alu instid0(VALU_DEP_1) | instskip(SKIP_1) | instid1(VALU_DEP_1)
	v_dual_add_f64 v[50:51], v[54:55], -v[50:51] :: v_dual_cndmask_b32 v52, 0, v52, s3
	v_add_f64_e32 v[54:55], v[60:61], v[44:45]
	v_add_f64_e32 v[56:57], v[50:51], v[54:55]
	v_add_f64_e64 v[66:67], v[54:55], -v[60:61]
	s_delay_alu instid0(VALU_DEP_2) | instskip(NEXT) | instid1(VALU_DEP_2)
	v_add_f64_e32 v[62:63], v[56:57], v[52:53]
	v_add_f64_e64 v[72:73], v[54:55], -v[66:67]
	v_add_f64_e64 v[44:45], v[44:45], -v[66:67]
	;; [unrolled: 1-line block ×3, first 2 shown]
	s_delay_alu instid0(VALU_DEP_4) | instskip(SKIP_1) | instid1(VALU_DEP_2)
	v_cmp_gt_f64_e64 s3, 0, v[62:63]
	v_add_f64_e64 v[62:63], v[60:61], -v[64:65]
	v_cndmask_b32_e64 v27, 0, 0x40100000, s3
	s_delay_alu instid0(VALU_DEP_2) | instskip(SKIP_2) | instid1(VALU_DEP_4)
	v_add_f64_e64 v[70:71], v[60:61], -v[62:63]
	v_add_f64_e64 v[48:49], v[48:49], -v[62:63]
	v_add_f64_e64 v[60:61], v[60:61], -v[72:73]
	v_add_f64_e32 v[52:53], v[52:53], v[26:27]
	s_delay_alu instid0(VALU_DEP_4) | instskip(NEXT) | instid1(VALU_DEP_3)
	v_add_f64_e64 v[62:63], v[64:65], -v[70:71]
	v_add_f64_e32 v[44:45], v[44:45], v[60:61]
	s_delay_alu instid0(VALU_DEP_3) | instskip(NEXT) | instid1(VALU_DEP_3)
	v_add_f64_e32 v[68:69], v[56:57], v[52:53]
	v_add_f64_e32 v[48:49], v[48:49], v[62:63]
	s_delay_alu instid0(VALU_DEP_2) | instskip(NEXT) | instid1(VALU_DEP_2)
	v_cvt_i32_f64_e32 v27, v[68:69]
	v_add_f64_e32 v[44:45], v[48:49], v[44:45]
	v_add_f64_e64 v[48:49], v[54:55], -v[50:51]
	s_delay_alu instid0(VALU_DEP_3) | instskip(NEXT) | instid1(VALU_DEP_3)
	v_cvt_f64_i32_e32 v[66:67], v27
	v_add_f64_e32 v[42:43], v[42:43], v[44:45]
	s_delay_alu instid0(VALU_DEP_2) | instskip(NEXT) | instid1(VALU_DEP_2)
	v_add_f64_e64 v[52:53], v[52:53], -v[66:67]
	v_add_f64_e32 v[42:43], v[48:49], v[42:43]
	s_delay_alu instid0(VALU_DEP_2) | instskip(NEXT) | instid1(VALU_DEP_1)
	v_add_f64_e32 v[58:59], v[56:57], v[52:53]
	v_add_f64_e64 v[44:45], v[58:59], -v[52:53]
	v_cmp_le_f64_e64 s3, 0.5, v[58:59]
	s_delay_alu instid0(VALU_DEP_2) | instskip(NEXT) | instid1(VALU_DEP_2)
	v_add_f64_e64 v[44:45], v[56:57], -v[44:45]
	v_add_co_ci_u32_e64 v48, null, 0, v27, s3
	v_cndmask_b32_e64 v27, 0, 0x3ff00000, s3
	s_delay_alu instid0(VALU_DEP_3) | instskip(NEXT) | instid1(VALU_DEP_2)
	v_add_f64_e32 v[42:43], v[42:43], v[44:45]
	v_add_f64_e64 v[44:45], v[58:59], -v[26:27]
	s_delay_alu instid0(VALU_DEP_1) | instskip(NEXT) | instid1(VALU_DEP_1)
	v_add_f64_e32 v[50:51], v[44:45], v[42:43]
	v_mul_f64_e32 v[52:53], 0x3ff921fb54442d18, v[50:51]
	v_add_f64_e64 v[44:45], v[50:51], -v[44:45]
	s_delay_alu instid0(VALU_DEP_2) | instskip(NEXT) | instid1(VALU_DEP_2)
	v_fma_f64 v[54:55], v[50:51], s[14:15], -v[52:53]
	v_add_f64_e64 v[42:43], v[42:43], -v[44:45]
	s_delay_alu instid0(VALU_DEP_2) | instskip(NEXT) | instid1(VALU_DEP_1)
	v_fmac_f64_e32 v[54:55], 0x3c91a62633145c07, v[50:51]
	v_fmac_f64_e32 v[54:55], 0x3ff921fb54442d18, v[42:43]
	s_delay_alu instid0(VALU_DEP_1) | instskip(NEXT) | instid1(VALU_DEP_1)
	v_add_f64_e32 v[42:43], v[52:53], v[54:55]
	v_add_f64_e64 v[44:45], v[42:43], -v[52:53]
	s_delay_alu instid0(VALU_DEP_1)
	v_add_f64_e64 v[44:45], v[54:55], -v[44:45]
	s_and_not1_saveexec_b32 s3, s4
	s_cbranch_execnz .LBB131_292
	s_branch .LBB131_293
.LBB131_291:                            ;   in Loop: Header=BB131_185 Depth=1
	s_and_not1_saveexec_b32 s3, s4
	s_cbranch_execz .LBB131_293
.LBB131_292:                            ;   in Loop: Header=BB131_185 Depth=1
	v_mul_f64_e64 v[42:43], |v[12:13]|, s[16:17]
	s_delay_alu instid0(VALU_DEP_1) | instskip(NEXT) | instid1(VALU_DEP_1)
	v_rndne_f64_e32 v[48:49], v[42:43]
	v_fma_f64 v[42:43], v[48:49], s[22:23], |v[12:13]|
	v_mul_f64_e32 v[44:45], 0xbc91a62633145c00, v[48:49]
	s_delay_alu instid0(VALU_DEP_2) | instskip(NEXT) | instid1(VALU_DEP_2)
	v_fmamk_f64 v[54:55], v[48:49], 0xbc91a62633145c00, v[42:43]
	v_add_f64_e32 v[50:51], v[42:43], v[44:45]
	s_delay_alu instid0(VALU_DEP_1) | instskip(NEXT) | instid1(VALU_DEP_3)
	v_add_f64_e64 v[52:53], v[42:43], -v[50:51]
	v_add_f64_e64 v[42:43], v[50:51], -v[54:55]
	s_delay_alu instid0(VALU_DEP_2) | instskip(SKIP_1) | instid1(VALU_DEP_2)
	v_add_f64_e32 v[50:51], v[52:53], v[44:45]
	v_fmamk_f64 v[44:45], v[48:49], 0x3c91a62633145c00, v[44:45]
	v_add_f64_e32 v[42:43], v[42:43], v[50:51]
	s_delay_alu instid0(VALU_DEP_1) | instskip(NEXT) | instid1(VALU_DEP_1)
	v_add_f64_e64 v[44:45], v[42:43], -v[44:45]
	v_fmac_f64_e32 v[44:45], 0xb97b839a252049c0, v[48:49]
	v_cvt_i32_f64_e32 v48, v[48:49]
	s_delay_alu instid0(VALU_DEP_2) | instskip(NEXT) | instid1(VALU_DEP_1)
	v_add_f64_e32 v[42:43], v[54:55], v[44:45]
	v_add_f64_e64 v[50:51], v[42:43], -v[54:55]
	s_delay_alu instid0(VALU_DEP_1)
	v_add_f64_e64 v[44:45], v[44:45], -v[50:51]
.LBB131_293:                            ;   in Loop: Header=BB131_185 Depth=1
	s_or_b32 exec_lo, exec_lo, s3
	v_mul_f64_e32 v[50:51], 0x3ff71547652b82fe, v[10:11]
	v_mul_f64_e32 v[52:53], v[18:19], v[18:19]
	v_cmp_nlt_f64_e64 s5, 0x40900000, v[10:11]
	v_cmp_ngt_f64_e64 s6, 0xc090cc00, v[10:11]
	v_mul_f64_e32 v[66:67], 0.5, v[20:21]
	v_cmp_class_f64_e64 s4, v[12:13], 0x1f8
	v_mul_f64_e32 v[54:55], v[42:43], v[42:43]
                                        ; implicit-def: $vgpr46
	v_rndne_f64_e32 v[50:51], v[50:51]
	s_delay_alu instid0(VALU_DEP_1) | instskip(SKIP_4) | instid1(VALU_DEP_4)
	v_fmamk_f64 v[60:61], v[50:51], 0xbfe62e42fefa39ef, v[10:11]
	v_and_b32_e32 v10, 1, v48
	v_mul_f64_e32 v[56:57], 0.5, v[52:53]
	v_fmamk_f64 v[72:73], v[52:53], 0x3de5e0b2f9a43bb8, v[32:33]
	v_cvt_i32_f64_e32 v27, v[50:51]
	v_cmp_eq_u32_e64 s7, 0, v10
	v_fmac_f64_e32 v[60:61], 0xbc7abc9e3b39803f, v[50:51]
	v_dual_mul_f64 v[68:69], v[18:19], -v[52:53] :: v_dual_lshlrev_b32 v10, 30, v47
	v_fmaak_f64 v[72:73], v[52:53], v[72:73], 0x3ec71de3796cde01
	v_mul_f64_e32 v[76:77], 0.5, v[44:45]
	s_delay_alu instid0(VALU_DEP_2) | instskip(NEXT) | instid1(VALU_DEP_1)
	v_fmaak_f64 v[72:73], v[52:53], v[72:73], 0xbf2a01a019e83e5c
	v_fmaak_f64 v[72:73], v[52:53], v[72:73], 0x3f81111111110bb3
	v_add_f64_e64 v[62:63], -v[56:57], 1.0
	v_fmamk_f64 v[74:75], v[60:61], 0x3e5ade156a5dcb37, v[28:29]
	s_delay_alu instid0(VALU_DEP_3) | instskip(NEXT) | instid1(VALU_DEP_2)
	v_fmac_f64_e32 v[66:67], v[68:69], v[72:73]
	v_fmaak_f64 v[74:75], v[60:61], v[74:75], 0x3ec71dee623fde64
	s_delay_alu instid0(VALU_DEP_1) | instskip(NEXT) | instid1(VALU_DEP_1)
	v_fmaak_f64 v[74:75], v[60:61], v[74:75], 0x3efa01997c89e6b0
	v_fmaak_f64 v[74:75], v[60:61], v[74:75], 0x3f2a01a014761f6e
	v_add_f64_e64 v[70:71], -v[62:63], 1.0
	v_fma_f64 v[66:67], v[52:53], v[66:67], -v[20:21]
	s_delay_alu instid0(VALU_DEP_2) | instskip(NEXT) | instid1(VALU_DEP_4)
	v_add_f64_e64 v[56:57], v[70:71], -v[56:57]
	v_fmaak_f64 v[70:71], v[60:61], v[74:75], 0x3f56c16c1852b7b0
	v_mul_f64_e32 v[74:75], v[52:53], v[52:53]
	s_delay_alu instid0(VALU_DEP_4) | instskip(NEXT) | instid1(VALU_DEP_3)
	v_fmac_f64_e32 v[66:67], 0xbfc5555555555555, v[68:69]
	v_fmaak_f64 v[70:71], v[60:61], v[70:71], 0x3f81111111122322
	s_delay_alu instid0(VALU_DEP_1) | instskip(NEXT) | instid1(VALU_DEP_1)
	v_fmaak_f64 v[70:71], v[60:61], v[70:71], 0x3fa55555555502a1
	v_fmaak_f64 v[70:71], v[60:61], v[70:71], 0x3fc5555555555511
	s_delay_alu instid0(VALU_DEP_1) | instskip(NEXT) | instid1(VALU_DEP_1)
	v_fmaak_f64 v[70:71], v[60:61], v[70:71], 0x3fe000000000000b
	v_fma_f64 v[70:71], v[60:61], v[70:71], 1.0
	s_delay_alu instid0(VALU_DEP_1) | instskip(NEXT) | instid1(VALU_DEP_1)
	v_fma_f64 v[50:51], v[60:61], v[70:71], 1.0
	v_ldexp_f64 v[50:51], v[50:51], v27
	v_fma_f64 v[20:21], v[18:19], -v[20:21], v[56:57]
	v_add_f64_e64 v[18:19], v[18:19], -v[66:67]
	v_and_b32_e32 v27, 1, v47
	s_delay_alu instid0(VALU_DEP_1) | instskip(SKIP_1) | instid1(VALU_DEP_4)
	v_cmp_eq_u32_e64 s3, 0, v27
	v_cndmask_b32_e64 v12, 0x7ff00000, v51, s5
	v_xor_b32_e32 v11, 0x80000000, v19
	v_dual_mul_f64 v[78:79], v[42:43], -v[54:55] :: v_dual_lshlrev_b32 v19, 30, v48
	v_fmamk_f64 v[82:83], v[54:55], 0x3de5e0b2f9a43bb8, v[32:33]
	s_delay_alu instid0(VALU_DEP_2) | instskip(NEXT) | instid1(VALU_DEP_2)
	v_xor_b32_e32 v13, v19, v13
	v_fmaak_f64 v[72:73], v[54:55], v[82:83], 0x3ec71de3796cde01
	s_delay_alu instid0(VALU_DEP_1) | instskip(NEXT) | instid1(VALU_DEP_1)
	v_fmaak_f64 v[72:73], v[54:55], v[72:73], 0xbf2a01a019e83e5c
	v_fmaak_f64 v[72:73], v[54:55], v[72:73], 0x3f81111111110bb3
	s_delay_alu instid0(VALU_DEP_1) | instskip(SKIP_1) | instid1(VALU_DEP_1)
	v_fmac_f64_e32 v[76:77], v[78:79], v[72:73]
	v_fmamk_f64 v[72:73], v[52:53], 0xbda907db46cc5e42, v[30:31]
	v_fmaak_f64 v[56:57], v[52:53], v[72:73], 0xbe927e4fa17f65f6
	v_mul_f64_e32 v[72:73], v[54:55], v[54:55]
	s_delay_alu instid0(VALU_DEP_2) | instskip(NEXT) | instid1(VALU_DEP_1)
	v_fmaak_f64 v[56:57], v[52:53], v[56:57], 0x3efa01a019f4ec90
	v_fmaak_f64 v[56:57], v[52:53], v[56:57], 0xbf56c16c16c16967
	s_delay_alu instid0(VALU_DEP_1) | instskip(SKIP_1) | instid1(VALU_DEP_2)
	v_fmaak_f64 v[52:53], v[52:53], v[56:57], 0x3fa5555555555555
	v_fma_f64 v[56:57], v[54:55], v[76:77], -v[44:45]
	v_fmac_f64_e32 v[20:21], v[74:75], v[52:53]
	s_delay_alu instid0(VALU_DEP_2) | instskip(NEXT) | instid1(VALU_DEP_2)
	v_fmac_f64_e32 v[56:57], 0xbfc5555555555555, v[78:79]
	v_add_f64_e32 v[20:21], v[62:63], v[20:21]
	s_delay_alu instid0(VALU_DEP_1) | instskip(NEXT) | instid1(VALU_DEP_1)
	v_dual_mul_f64 v[58:59], 0.5, v[54:55] :: v_dual_cndmask_b32 v18, v18, v20, s3
	v_add_f64_e64 v[64:65], -v[58:59], 1.0
	s_delay_alu instid0(VALU_DEP_3) | instskip(SKIP_1) | instid1(VALU_DEP_1)
	v_cndmask_b32_e64 v11, v11, v21, s3
	s_and_b32 s3, s6, s5
	v_bitop3_b32 v11, v11, v10, 0x80000000 bitop3:0x78
	v_cndmask_b32_e64 v10, 0, v18, s4
	s_delay_alu instid0(VALU_DEP_2) | instskip(SKIP_1) | instid1(VALU_DEP_1)
	v_cndmask_b32_e64 v11, 0x7ff80000, v11, s4
	v_add_f64_e64 v[80:81], -v[64:65], 1.0
	v_add_f64_e64 v[58:59], v[80:81], -v[58:59]
	v_fmamk_f64 v[80:81], v[54:55], 0xbda907db46cc5e42, v[30:31]
	s_delay_alu instid0(VALU_DEP_2) | instskip(NEXT) | instid1(VALU_DEP_2)
	v_fma_f64 v[44:45], v[42:43], -v[44:45], v[58:59]
	v_fmaak_f64 v[58:59], v[54:55], v[80:81], 0xbe927e4fa17f65f6
	v_add_f64_e64 v[42:43], v[42:43], -v[56:57]
	s_delay_alu instid0(VALU_DEP_2) | instskip(NEXT) | instid1(VALU_DEP_1)
	v_fmaak_f64 v[52:53], v[54:55], v[58:59], 0x3efa01a019f4ec90
	v_fmaak_f64 v[52:53], v[54:55], v[52:53], 0xbf56c16c16c16967
	s_delay_alu instid0(VALU_DEP_1) | instskip(NEXT) | instid1(VALU_DEP_1)
	v_fmaak_f64 v[52:53], v[54:55], v[52:53], 0x3fa5555555555555
	v_fmac_f64_e32 v[44:45], v[72:73], v[52:53]
	s_delay_alu instid0(VALU_DEP_1) | instskip(NEXT) | instid1(VALU_DEP_1)
	v_add_f64_e32 v[44:45], v[64:65], v[44:45]
	v_dual_cndmask_b32 v20, v45, v43, s7 :: v_dual_cndmask_b32 v19, v44, v42, s7
	s_delay_alu instid0(VALU_DEP_1) | instskip(NEXT) | instid1(VALU_DEP_2)
	v_bitop3_b32 v18, v20, v13, 0x80000000 bitop3:0x78
	v_dual_cndmask_b32 v13, 0, v12, s6 :: v_dual_cndmask_b32 v20, 0, v19, s4
	v_cndmask_b32_e64 v12, 0, v50, s3
	s_delay_alu instid0(VALU_DEP_3) | instskip(NEXT) | instid1(VALU_DEP_2)
	v_cndmask_b32_e64 v21, 0x7ff80000, v18, s4
	v_mul_f64_e32 v[18:19], v[12:13], v[10:11]
	s_delay_alu instid0(VALU_DEP_2)
	v_mul_f64_e32 v[20:21], v[12:13], v[20:21]
                                        ; implicit-def: $vgpr12_vgpr13
.LBB131_294:                            ;   in Loop: Header=BB131_185 Depth=1
	s_and_not1_saveexec_b32 s33, s33
	s_cbranch_execz .LBB131_304
; %bb.295:                              ;   in Loop: Header=BB131_185 Depth=1
	v_cmp_ngt_f64_e64 s4, 0x41d00000, |v[12:13]|
                                        ; implicit-def: $vgpr47
                                        ; implicit-def: $vgpr18_vgpr19
                                        ; implicit-def: $vgpr20_vgpr21
	s_and_saveexec_b32 s3, s4
	s_delay_alu instid0(SALU_CYCLE_1)
	s_xor_b32 s5, exec_lo, s3
	s_cbranch_execz .LBB131_297
; %bb.296:                              ;   in Loop: Header=BB131_185 Depth=1
	v_ldexp_f64 v[18:19], |v[12:13]|, 0xffffff80
	v_cmp_le_f64_e64 s3, 0x7b000000, |v[12:13]|
	v_trig_preop_f64 v[20:21], |v[12:13]|, 0
	v_trig_preop_f64 v[42:43], |v[12:13]|, 1
	;; [unrolled: 1-line block ×3, first 2 shown]
	s_delay_alu instid0(VALU_DEP_4) | instskip(NEXT) | instid1(VALU_DEP_1)
	v_dual_cndmask_b32 v19, v46, v19, s3 :: v_dual_cndmask_b32 v18, v12, v18, s3
	v_mul_f64_e32 v[44:45], v[20:21], v[18:19]
	s_delay_alu instid0(VALU_DEP_4) | instskip(NEXT) | instid1(VALU_DEP_4)
	v_mul_f64_e32 v[48:49], v[42:43], v[18:19]
	v_mul_f64_e32 v[60:61], v[54:55], v[18:19]
	s_delay_alu instid0(VALU_DEP_3) | instskip(NEXT) | instid1(VALU_DEP_3)
	v_fma_f64 v[20:21], v[20:21], v[18:19], -v[44:45]
	v_fma_f64 v[42:43], v[42:43], v[18:19], -v[48:49]
	s_delay_alu instid0(VALU_DEP_3) | instskip(NEXT) | instid1(VALU_DEP_3)
	v_fma_f64 v[18:19], v[54:55], v[18:19], -v[60:61]
	v_add_f64_e32 v[50:51], v[48:49], v[20:21]
	s_delay_alu instid0(VALU_DEP_1) | instskip(SKIP_1) | instid1(VALU_DEP_2)
	v_add_f64_e64 v[52:53], v[50:51], -v[48:49]
	v_add_f64_e32 v[58:59], v[44:45], v[50:51]
	v_add_f64_e64 v[56:57], v[50:51], -v[52:53]
	v_add_f64_e64 v[20:21], v[20:21], -v[52:53]
	s_delay_alu instid0(VALU_DEP_3) | instskip(NEXT) | instid1(VALU_DEP_3)
	v_ldexp_f64 v[52:53], v[58:59], -2
	v_add_f64_e64 v[48:49], v[48:49], -v[56:57]
	v_add_f64_e32 v[56:57], v[60:61], v[42:43]
	s_delay_alu instid0(VALU_DEP_3) | instskip(NEXT) | instid1(VALU_DEP_3)
	v_cmp_neq_f64_e64 s3, 0x7ff00000, |v[52:53]|
	v_add_f64_e32 v[20:21], v[20:21], v[48:49]
	v_fract_f64_e32 v[48:49], v[52:53]
	s_delay_alu instid0(VALU_DEP_1) | instskip(NEXT) | instid1(VALU_DEP_1)
	v_ldexp_f64 v[48:49], v[48:49], 2
	v_cndmask_b32_e64 v49, 0, v49, s3
	v_add_f64_e64 v[44:45], v[58:59], -v[44:45]
	s_delay_alu instid0(VALU_DEP_3) | instskip(NEXT) | instid1(VALU_DEP_2)
	v_cndmask_b32_e64 v48, 0, v48, s3
	v_add_f64_e64 v[44:45], v[50:51], -v[44:45]
	v_add_f64_e32 v[50:51], v[56:57], v[20:21]
	s_delay_alu instid0(VALU_DEP_1) | instskip(SKIP_1) | instid1(VALU_DEP_2)
	v_add_f64_e32 v[52:53], v[44:45], v[50:51]
	v_add_f64_e64 v[62:63], v[50:51], -v[56:57]
	v_add_f64_e32 v[58:59], v[52:53], v[48:49]
	s_delay_alu instid0(VALU_DEP_2) | instskip(SKIP_2) | instid1(VALU_DEP_4)
	v_add_f64_e64 v[68:69], v[50:51], -v[62:63]
	v_add_f64_e64 v[20:21], v[20:21], -v[62:63]
	;; [unrolled: 1-line block ×3, first 2 shown]
	v_cmp_gt_f64_e64 s3, 0, v[58:59]
	v_add_f64_e64 v[58:59], v[56:57], -v[60:61]
	s_delay_alu instid0(VALU_DEP_3) | instskip(NEXT) | instid1(VALU_DEP_3)
	v_add_f64_e64 v[44:45], v[50:51], -v[44:45]
	v_cndmask_b32_e64 v27, 0, 0x40100000, s3
	s_delay_alu instid0(VALU_DEP_3) | instskip(SKIP_2) | instid1(VALU_DEP_4)
	v_add_f64_e64 v[66:67], v[56:57], -v[58:59]
	v_add_f64_e64 v[42:43], v[42:43], -v[58:59]
	;; [unrolled: 1-line block ×3, first 2 shown]
	v_add_f64_e32 v[48:49], v[48:49], v[26:27]
	s_delay_alu instid0(VALU_DEP_4) | instskip(NEXT) | instid1(VALU_DEP_3)
	v_add_f64_e64 v[58:59], v[60:61], -v[66:67]
	v_add_f64_e32 v[20:21], v[20:21], v[56:57]
	s_delay_alu instid0(VALU_DEP_3) | instskip(NEXT) | instid1(VALU_DEP_3)
	v_add_f64_e32 v[64:65], v[52:53], v[48:49]
	v_add_f64_e32 v[42:43], v[42:43], v[58:59]
	s_delay_alu instid0(VALU_DEP_2) | instskip(NEXT) | instid1(VALU_DEP_2)
	v_cvt_i32_f64_e32 v27, v[64:65]
	v_add_f64_e32 v[20:21], v[42:43], v[20:21]
	s_delay_alu instid0(VALU_DEP_2) | instskip(NEXT) | instid1(VALU_DEP_2)
	v_cvt_f64_i32_e32 v[62:63], v27
	v_add_f64_e32 v[18:19], v[18:19], v[20:21]
	s_delay_alu instid0(VALU_DEP_2) | instskip(NEXT) | instid1(VALU_DEP_2)
	v_add_f64_e64 v[48:49], v[48:49], -v[62:63]
	v_add_f64_e32 v[18:19], v[44:45], v[18:19]
	s_delay_alu instid0(VALU_DEP_2) | instskip(NEXT) | instid1(VALU_DEP_1)
	v_add_f64_e32 v[42:43], v[52:53], v[48:49]
	v_add_f64_e64 v[20:21], v[42:43], -v[48:49]
	v_cmp_le_f64_e64 s3, 0.5, v[42:43]
	s_delay_alu instid0(VALU_DEP_2) | instskip(NEXT) | instid1(VALU_DEP_2)
	v_add_f64_e64 v[20:21], v[52:53], -v[20:21]
	v_add_co_ci_u32_e64 v47, null, 0, v27, s3
	v_cndmask_b32_e64 v27, 0, 0x3ff00000, s3
	s_delay_alu instid0(VALU_DEP_3) | instskip(NEXT) | instid1(VALU_DEP_2)
	v_add_f64_e32 v[18:19], v[18:19], v[20:21]
	v_add_f64_e64 v[20:21], v[42:43], -v[26:27]
	s_delay_alu instid0(VALU_DEP_1) | instskip(NEXT) | instid1(VALU_DEP_1)
	v_add_f64_e32 v[42:43], v[20:21], v[18:19]
	v_mul_f64_e32 v[44:45], 0x3ff921fb54442d18, v[42:43]
	v_add_f64_e64 v[20:21], v[42:43], -v[20:21]
	s_delay_alu instid0(VALU_DEP_2) | instskip(NEXT) | instid1(VALU_DEP_2)
	v_fma_f64 v[48:49], v[42:43], s[14:15], -v[44:45]
	v_add_f64_e64 v[18:19], v[18:19], -v[20:21]
	s_delay_alu instid0(VALU_DEP_2) | instskip(NEXT) | instid1(VALU_DEP_1)
	v_fmac_f64_e32 v[48:49], 0x3c91a62633145c07, v[42:43]
	v_fmac_f64_e32 v[48:49], 0x3ff921fb54442d18, v[18:19]
	s_delay_alu instid0(VALU_DEP_1) | instskip(NEXT) | instid1(VALU_DEP_1)
	v_add_f64_e32 v[18:19], v[44:45], v[48:49]
	v_add_f64_e64 v[20:21], v[18:19], -v[44:45]
	s_delay_alu instid0(VALU_DEP_1)
	v_add_f64_e64 v[20:21], v[48:49], -v[20:21]
	s_and_not1_saveexec_b32 s3, s5
	s_cbranch_execz .LBB131_299
	s_branch .LBB131_298
.LBB131_297:                            ;   in Loop: Header=BB131_185 Depth=1
	s_and_not1_saveexec_b32 s3, s5
	s_cbranch_execz .LBB131_299
.LBB131_298:                            ;   in Loop: Header=BB131_185 Depth=1
	v_mul_f64_e64 v[18:19], |v[12:13]|, s[16:17]
	s_delay_alu instid0(VALU_DEP_1) | instskip(NEXT) | instid1(VALU_DEP_1)
	v_rndne_f64_e32 v[42:43], v[18:19]
	v_fma_f64 v[18:19], v[42:43], s[22:23], |v[12:13]|
	v_mul_f64_e32 v[20:21], 0xbc91a62633145c00, v[42:43]
	v_cvt_i32_f64_e32 v47, v[42:43]
	s_delay_alu instid0(VALU_DEP_3) | instskip(NEXT) | instid1(VALU_DEP_3)
	v_fmamk_f64 v[50:51], v[42:43], 0xbc91a62633145c00, v[18:19]
	v_add_f64_e32 v[44:45], v[18:19], v[20:21]
	s_delay_alu instid0(VALU_DEP_1) | instskip(NEXT) | instid1(VALU_DEP_3)
	v_add_f64_e64 v[48:49], v[18:19], -v[44:45]
	v_add_f64_e64 v[18:19], v[44:45], -v[50:51]
	s_delay_alu instid0(VALU_DEP_2) | instskip(SKIP_1) | instid1(VALU_DEP_2)
	v_add_f64_e32 v[44:45], v[48:49], v[20:21]
	v_fmamk_f64 v[20:21], v[42:43], 0x3c91a62633145c00, v[20:21]
	v_add_f64_e32 v[18:19], v[18:19], v[44:45]
	s_delay_alu instid0(VALU_DEP_1) | instskip(NEXT) | instid1(VALU_DEP_1)
	v_add_f64_e64 v[20:21], v[18:19], -v[20:21]
	v_fmac_f64_e32 v[20:21], 0xb97b839a252049c0, v[42:43]
	s_delay_alu instid0(VALU_DEP_1) | instskip(NEXT) | instid1(VALU_DEP_1)
	v_add_f64_e32 v[18:19], v[50:51], v[20:21]
	v_add_f64_e64 v[44:45], v[18:19], -v[50:51]
	s_delay_alu instid0(VALU_DEP_1)
	v_add_f64_e64 v[20:21], v[20:21], -v[44:45]
.LBB131_299:                            ;   in Loop: Header=BB131_185 Depth=1
	s_or_b32 exec_lo, exec_lo, s3
                                        ; implicit-def: $vgpr48
                                        ; implicit-def: $vgpr42_vgpr43
                                        ; implicit-def: $vgpr44_vgpr45
	s_and_saveexec_b32 s3, s4
	s_delay_alu instid0(SALU_CYCLE_1)
	s_xor_b32 s4, exec_lo, s3
	s_cbranch_execz .LBB131_301
; %bb.300:                              ;   in Loop: Header=BB131_185 Depth=1
	v_ldexp_f64 v[42:43], |v[12:13]|, 0xffffff80
	v_cmp_le_f64_e64 s3, 0x7b000000, |v[12:13]|
	v_trig_preop_f64 v[44:45], |v[12:13]|, 0
	v_trig_preop_f64 v[48:49], |v[12:13]|, 1
	v_trig_preop_f64 v[58:59], |v[12:13]|, 2
	s_delay_alu instid0(VALU_DEP_4) | instskip(NEXT) | instid1(VALU_DEP_1)
	v_dual_cndmask_b32 v43, v46, v43, s3 :: v_dual_cndmask_b32 v42, v12, v42, s3
	v_mul_f64_e32 v[50:51], v[44:45], v[42:43]
	s_delay_alu instid0(VALU_DEP_4) | instskip(NEXT) | instid1(VALU_DEP_4)
	v_mul_f64_e32 v[52:53], v[48:49], v[42:43]
	v_mul_f64_e32 v[64:65], v[58:59], v[42:43]
	s_delay_alu instid0(VALU_DEP_3) | instskip(NEXT) | instid1(VALU_DEP_3)
	v_fma_f64 v[44:45], v[44:45], v[42:43], -v[50:51]
	v_fma_f64 v[48:49], v[48:49], v[42:43], -v[52:53]
	s_delay_alu instid0(VALU_DEP_3) | instskip(NEXT) | instid1(VALU_DEP_3)
	v_fma_f64 v[42:43], v[58:59], v[42:43], -v[64:65]
	v_add_f64_e32 v[54:55], v[52:53], v[44:45]
	s_delay_alu instid0(VALU_DEP_1) | instskip(SKIP_1) | instid1(VALU_DEP_2)
	v_add_f64_e64 v[56:57], v[54:55], -v[52:53]
	v_add_f64_e32 v[62:63], v[50:51], v[54:55]
	v_add_f64_e64 v[60:61], v[54:55], -v[56:57]
	v_add_f64_e64 v[44:45], v[44:45], -v[56:57]
	s_delay_alu instid0(VALU_DEP_3) | instskip(NEXT) | instid1(VALU_DEP_3)
	v_ldexp_f64 v[56:57], v[62:63], -2
	v_add_f64_e64 v[52:53], v[52:53], -v[60:61]
	v_add_f64_e32 v[60:61], v[64:65], v[48:49]
	s_delay_alu instid0(VALU_DEP_3) | instskip(NEXT) | instid1(VALU_DEP_3)
	v_cmp_neq_f64_e64 s3, 0x7ff00000, |v[56:57]|
	v_add_f64_e32 v[44:45], v[44:45], v[52:53]
	v_fract_f64_e32 v[52:53], v[56:57]
	s_delay_alu instid0(VALU_DEP_1) | instskip(NEXT) | instid1(VALU_DEP_1)
	v_ldexp_f64 v[52:53], v[52:53], 2
	v_dual_add_f64 v[50:51], v[62:63], -v[50:51] :: v_dual_cndmask_b32 v53, 0, v53, s3
	s_delay_alu instid0(VALU_DEP_1) | instskip(SKIP_1) | instid1(VALU_DEP_1)
	v_dual_add_f64 v[50:51], v[54:55], -v[50:51] :: v_dual_cndmask_b32 v52, 0, v52, s3
	v_add_f64_e32 v[54:55], v[60:61], v[44:45]
	v_add_f64_e32 v[56:57], v[50:51], v[54:55]
	v_add_f64_e64 v[66:67], v[54:55], -v[60:61]
	s_delay_alu instid0(VALU_DEP_2) | instskip(NEXT) | instid1(VALU_DEP_2)
	v_add_f64_e32 v[62:63], v[56:57], v[52:53]
	v_add_f64_e64 v[72:73], v[54:55], -v[66:67]
	v_add_f64_e64 v[44:45], v[44:45], -v[66:67]
	;; [unrolled: 1-line block ×3, first 2 shown]
	s_delay_alu instid0(VALU_DEP_4) | instskip(SKIP_1) | instid1(VALU_DEP_2)
	v_cmp_gt_f64_e64 s3, 0, v[62:63]
	v_add_f64_e64 v[62:63], v[60:61], -v[64:65]
	v_cndmask_b32_e64 v27, 0, 0x40100000, s3
	s_delay_alu instid0(VALU_DEP_2) | instskip(SKIP_2) | instid1(VALU_DEP_4)
	v_add_f64_e64 v[70:71], v[60:61], -v[62:63]
	v_add_f64_e64 v[48:49], v[48:49], -v[62:63]
	;; [unrolled: 1-line block ×3, first 2 shown]
	v_add_f64_e32 v[52:53], v[52:53], v[26:27]
	s_delay_alu instid0(VALU_DEP_4) | instskip(NEXT) | instid1(VALU_DEP_3)
	v_add_f64_e64 v[62:63], v[64:65], -v[70:71]
	v_add_f64_e32 v[44:45], v[44:45], v[60:61]
	s_delay_alu instid0(VALU_DEP_3) | instskip(NEXT) | instid1(VALU_DEP_3)
	v_add_f64_e32 v[68:69], v[56:57], v[52:53]
	v_add_f64_e32 v[48:49], v[48:49], v[62:63]
	s_delay_alu instid0(VALU_DEP_2) | instskip(NEXT) | instid1(VALU_DEP_2)
	v_cvt_i32_f64_e32 v27, v[68:69]
	v_add_f64_e32 v[44:45], v[48:49], v[44:45]
	v_add_f64_e64 v[48:49], v[54:55], -v[50:51]
	s_delay_alu instid0(VALU_DEP_3) | instskip(NEXT) | instid1(VALU_DEP_3)
	v_cvt_f64_i32_e32 v[66:67], v27
	v_add_f64_e32 v[42:43], v[42:43], v[44:45]
	s_delay_alu instid0(VALU_DEP_2) | instskip(NEXT) | instid1(VALU_DEP_2)
	v_add_f64_e64 v[52:53], v[52:53], -v[66:67]
	v_add_f64_e32 v[42:43], v[48:49], v[42:43]
	s_delay_alu instid0(VALU_DEP_2) | instskip(NEXT) | instid1(VALU_DEP_1)
	v_add_f64_e32 v[58:59], v[56:57], v[52:53]
	v_add_f64_e64 v[44:45], v[58:59], -v[52:53]
	v_cmp_le_f64_e64 s3, 0.5, v[58:59]
	s_delay_alu instid0(VALU_DEP_2) | instskip(NEXT) | instid1(VALU_DEP_2)
	v_add_f64_e64 v[44:45], v[56:57], -v[44:45]
	v_add_co_ci_u32_e64 v48, null, 0, v27, s3
	v_cndmask_b32_e64 v27, 0, 0x3ff00000, s3
	s_delay_alu instid0(VALU_DEP_3) | instskip(NEXT) | instid1(VALU_DEP_2)
	v_add_f64_e32 v[42:43], v[42:43], v[44:45]
	v_add_f64_e64 v[44:45], v[58:59], -v[26:27]
	s_delay_alu instid0(VALU_DEP_1) | instskip(NEXT) | instid1(VALU_DEP_1)
	v_add_f64_e32 v[50:51], v[44:45], v[42:43]
	v_mul_f64_e32 v[52:53], 0x3ff921fb54442d18, v[50:51]
	v_add_f64_e64 v[44:45], v[50:51], -v[44:45]
	s_delay_alu instid0(VALU_DEP_2) | instskip(NEXT) | instid1(VALU_DEP_2)
	v_fma_f64 v[54:55], v[50:51], s[14:15], -v[52:53]
	v_add_f64_e64 v[42:43], v[42:43], -v[44:45]
	s_delay_alu instid0(VALU_DEP_2) | instskip(NEXT) | instid1(VALU_DEP_1)
	v_fmac_f64_e32 v[54:55], 0x3c91a62633145c07, v[50:51]
	v_fmac_f64_e32 v[54:55], 0x3ff921fb54442d18, v[42:43]
	s_delay_alu instid0(VALU_DEP_1) | instskip(NEXT) | instid1(VALU_DEP_1)
	v_add_f64_e32 v[42:43], v[52:53], v[54:55]
	v_add_f64_e64 v[44:45], v[42:43], -v[52:53]
	s_delay_alu instid0(VALU_DEP_1)
	v_add_f64_e64 v[44:45], v[54:55], -v[44:45]
	s_and_not1_saveexec_b32 s3, s4
	s_cbranch_execnz .LBB131_302
	s_branch .LBB131_303
.LBB131_301:                            ;   in Loop: Header=BB131_185 Depth=1
	s_and_not1_saveexec_b32 s3, s4
	s_cbranch_execz .LBB131_303
.LBB131_302:                            ;   in Loop: Header=BB131_185 Depth=1
	v_mul_f64_e64 v[42:43], |v[12:13]|, s[16:17]
	s_delay_alu instid0(VALU_DEP_1) | instskip(NEXT) | instid1(VALU_DEP_1)
	v_rndne_f64_e32 v[48:49], v[42:43]
	v_fma_f64 v[42:43], v[48:49], s[22:23], |v[12:13]|
	v_mul_f64_e32 v[44:45], 0xbc91a62633145c00, v[48:49]
	s_delay_alu instid0(VALU_DEP_2) | instskip(NEXT) | instid1(VALU_DEP_2)
	v_fmamk_f64 v[54:55], v[48:49], 0xbc91a62633145c00, v[42:43]
	v_add_f64_e32 v[50:51], v[42:43], v[44:45]
	s_delay_alu instid0(VALU_DEP_1) | instskip(NEXT) | instid1(VALU_DEP_3)
	v_add_f64_e64 v[52:53], v[42:43], -v[50:51]
	v_add_f64_e64 v[42:43], v[50:51], -v[54:55]
	s_delay_alu instid0(VALU_DEP_2) | instskip(SKIP_1) | instid1(VALU_DEP_2)
	v_add_f64_e32 v[50:51], v[52:53], v[44:45]
	v_fmamk_f64 v[44:45], v[48:49], 0x3c91a62633145c00, v[44:45]
	v_add_f64_e32 v[42:43], v[42:43], v[50:51]
	s_delay_alu instid0(VALU_DEP_1) | instskip(NEXT) | instid1(VALU_DEP_1)
	v_add_f64_e64 v[44:45], v[42:43], -v[44:45]
	v_fmac_f64_e32 v[44:45], 0xb97b839a252049c0, v[48:49]
	v_cvt_i32_f64_e32 v48, v[48:49]
	s_delay_alu instid0(VALU_DEP_2) | instskip(NEXT) | instid1(VALU_DEP_1)
	v_add_f64_e32 v[42:43], v[54:55], v[44:45]
	v_add_f64_e64 v[50:51], v[42:43], -v[54:55]
	s_delay_alu instid0(VALU_DEP_1)
	v_add_f64_e64 v[44:45], v[44:45], -v[50:51]
.LBB131_303:                            ;   in Loop: Header=BB131_185 Depth=1
	s_or_b32 exec_lo, exec_lo, s3
	v_add_f64_e32 v[10:11], 0xc0937be319ba0da4, v[10:11]
	v_mul_f64_e32 v[52:53], v[18:19], v[18:19]
	s_delay_alu instid0(VALU_DEP_3)
	v_mul_f64_e32 v[66:67], 0.5, v[20:21]
	v_cmp_class_f64_e64 s4, v[12:13], 0x1f8
	v_mul_f64_e32 v[54:55], v[42:43], v[42:43]
	v_mul_f64_e32 v[50:51], 0x3ff71547652b82fe, v[10:11]
	v_cmp_nlt_f64_e64 s5, 0x40900000, v[10:11]
	v_cmp_ngt_f64_e64 s6, 0xc090cc00, v[10:11]
	s_delay_alu instid0(VALU_DEP_3) | instskip(NEXT) | instid1(VALU_DEP_1)
	v_rndne_f64_e32 v[50:51], v[50:51]
	v_fmamk_f64 v[60:61], v[50:51], 0xbfe62e42fefa39ef, v[10:11]
	v_and_b32_e32 v10, 1, v48
	v_mul_f64_e32 v[56:57], 0.5, v[52:53]
	v_fmamk_f64 v[72:73], v[52:53], 0x3de5e0b2f9a43bb8, v[32:33]
	v_cvt_i32_f64_e32 v27, v[50:51]
	s_delay_alu instid0(VALU_DEP_4) | instskip(SKIP_4) | instid1(VALU_DEP_1)
	v_cmp_eq_u32_e64 s7, 0, v10
	v_fmac_f64_e32 v[60:61], 0xbc7abc9e3b39803f, v[50:51]
	v_mul_f64_e64 v[68:69], v[18:19], -v[52:53]
	v_mul_f64_e32 v[76:77], 0.5, v[44:45]
	v_fmaak_f64 v[72:73], v[52:53], v[72:73], 0x3ec71de3796cde01
	v_fmaak_f64 v[72:73], v[52:53], v[72:73], 0xbf2a01a019e83e5c
	s_delay_alu instid0(VALU_DEP_1) | instskip(SKIP_2) | instid1(VALU_DEP_3)
	v_fmaak_f64 v[72:73], v[52:53], v[72:73], 0x3f81111111110bb3
	v_add_f64_e64 v[62:63], -v[56:57], 1.0
	v_fmamk_f64 v[74:75], v[60:61], 0x3e5ade156a5dcb37, v[28:29]
	v_fmac_f64_e32 v[66:67], v[68:69], v[72:73]
	s_delay_alu instid0(VALU_DEP_2) | instskip(NEXT) | instid1(VALU_DEP_1)
	v_fmaak_f64 v[74:75], v[60:61], v[74:75], 0x3ec71dee623fde64
	v_fmaak_f64 v[74:75], v[60:61], v[74:75], 0x3efa01997c89e6b0
	s_delay_alu instid0(VALU_DEP_1) | instskip(SKIP_2) | instid1(VALU_DEP_2)
	v_fmaak_f64 v[74:75], v[60:61], v[74:75], 0x3f2a01a014761f6e
	v_add_f64_e64 v[70:71], -v[62:63], 1.0
	v_fma_f64 v[66:67], v[52:53], v[66:67], -v[20:21]
	v_add_f64_e64 v[56:57], v[70:71], -v[56:57]
	s_delay_alu instid0(VALU_DEP_4) | instskip(NEXT) | instid1(VALU_DEP_3)
	v_fmaak_f64 v[70:71], v[60:61], v[74:75], 0x3f56c16c1852b7b0
	v_fmac_f64_e32 v[66:67], 0xbfc5555555555555, v[68:69]
	s_delay_alu instid0(VALU_DEP_2) | instskip(NEXT) | instid1(VALU_DEP_1)
	v_fmaak_f64 v[70:71], v[60:61], v[70:71], 0x3f81111111122322
	v_fmaak_f64 v[70:71], v[60:61], v[70:71], 0x3fa55555555502a1
	s_delay_alu instid0(VALU_DEP_1) | instskip(NEXT) | instid1(VALU_DEP_1)
	v_fmaak_f64 v[70:71], v[60:61], v[70:71], 0x3fc5555555555511
	v_fmaak_f64 v[70:71], v[60:61], v[70:71], 0x3fe000000000000b
	v_fma_f64 v[20:21], v[18:19], -v[20:21], v[56:57]
	s_delay_alu instid0(VALU_DEP_2) | instskip(SKIP_1) | instid1(VALU_DEP_2)
	v_fma_f64 v[70:71], v[60:61], v[70:71], 1.0
	v_add_f64_e64 v[18:19], v[18:19], -v[66:67]
	v_fma_f64 v[50:51], v[60:61], v[70:71], 1.0
	s_delay_alu instid0(VALU_DEP_2) | instskip(SKIP_2) | instid1(VALU_DEP_1)
	v_xor_b32_e32 v11, 0x80000000, v19
	v_lshlrev_b32_e32 v19, 30, v48
	v_fmamk_f64 v[82:83], v[54:55], 0x3de5e0b2f9a43bb8, v[32:33]
	v_fmaak_f64 v[72:73], v[54:55], v[82:83], 0x3ec71de3796cde01
	s_delay_alu instid0(VALU_DEP_1) | instskip(NEXT) | instid1(VALU_DEP_1)
	v_fmaak_f64 v[72:73], v[54:55], v[72:73], 0xbf2a01a019e83e5c
	v_fmaak_f64 v[72:73], v[54:55], v[72:73], 0x3f81111111110bb3
	v_ldexp_f64 v[50:51], v[50:51], v27
	v_dual_mul_f64 v[74:75], v[52:53], v[52:53] :: v_dual_bitop2_b32 v27, 1, v47 bitop3:0x40
	s_delay_alu instid0(VALU_DEP_1) | instskip(NEXT) | instid1(VALU_DEP_3)
	v_cmp_eq_u32_e64 s3, 0, v27
	v_cndmask_b32_e64 v12, 0x7ff00000, v51, s5
	v_mul_f64_e64 v[78:79], v[42:43], -v[54:55]
	s_delay_alu instid0(VALU_DEP_1) | instskip(SKIP_1) | instid1(VALU_DEP_1)
	v_fmac_f64_e32 v[76:77], v[78:79], v[72:73]
	v_fmamk_f64 v[72:73], v[52:53], 0xbda907db46cc5e42, v[30:31]
	v_fmaak_f64 v[56:57], v[52:53], v[72:73], 0xbe927e4fa17f65f6
	v_mul_f64_e32 v[72:73], v[54:55], v[54:55]
	s_delay_alu instid0(VALU_DEP_2) | instskip(NEXT) | instid1(VALU_DEP_1)
	v_fmaak_f64 v[56:57], v[52:53], v[56:57], 0x3efa01a019f4ec90
	v_fmaak_f64 v[56:57], v[52:53], v[56:57], 0xbf56c16c16c16967
	s_delay_alu instid0(VALU_DEP_1) | instskip(SKIP_1) | instid1(VALU_DEP_2)
	v_fmaak_f64 v[52:53], v[52:53], v[56:57], 0x3fa5555555555555
	v_fma_f64 v[56:57], v[54:55], v[76:77], -v[44:45]
	v_fmac_f64_e32 v[20:21], v[74:75], v[52:53]
	s_delay_alu instid0(VALU_DEP_1) | instskip(NEXT) | instid1(VALU_DEP_1)
	v_add_f64_e32 v[20:21], v[62:63], v[20:21]
	v_dual_mul_f64 v[58:59], 0.5, v[54:55] :: v_dual_cndmask_b32 v18, v18, v20, s3
	s_delay_alu instid0(VALU_DEP_1) | instskip(NEXT) | instid1(VALU_DEP_3)
	v_add_f64_e64 v[64:65], -v[58:59], 1.0
	v_dual_lshlrev_b32 v20, 30, v47 :: v_dual_cndmask_b32 v10, v11, v21, s3
	v_cndmask_b32_e64 v21, 0, v12, s6
	v_fmac_f64_e32 v[56:57], 0xbfc5555555555555, v[78:79]
	v_xor_b32_e32 v11, v19, v13
	s_and_b32 s3, s6, s5
	v_bitop3_b32 v20, v10, v20, 0x80000000 bitop3:0x78
	v_cndmask_b32_e64 v10, 0, v18, s4
	v_cndmask_b32_e64 v18, 0, v50, s3
	v_add_f64_e64 v[80:81], -v[64:65], 1.0
	s_delay_alu instid0(VALU_DEP_1) | instskip(SKIP_1) | instid1(VALU_DEP_2)
	v_add_f64_e64 v[58:59], v[80:81], -v[58:59]
	v_fmamk_f64 v[80:81], v[54:55], 0xbda907db46cc5e42, v[30:31]
	v_fma_f64 v[44:45], v[42:43], -v[44:45], v[58:59]
	s_delay_alu instid0(VALU_DEP_2) | instskip(SKIP_1) | instid1(VALU_DEP_2)
	v_fmaak_f64 v[58:59], v[54:55], v[80:81], 0xbe927e4fa17f65f6
	v_add_f64_e64 v[42:43], v[42:43], -v[56:57]
	v_fmaak_f64 v[52:53], v[54:55], v[58:59], 0x3efa01a019f4ec90
	s_delay_alu instid0(VALU_DEP_1) | instskip(NEXT) | instid1(VALU_DEP_1)
	v_fmaak_f64 v[52:53], v[54:55], v[52:53], 0xbf56c16c16c16967
	v_fmaak_f64 v[52:53], v[54:55], v[52:53], 0x3fa5555555555555
	s_delay_alu instid0(VALU_DEP_1) | instskip(NEXT) | instid1(VALU_DEP_1)
	v_fmac_f64_e32 v[44:45], v[72:73], v[52:53]
	v_add_f64_e32 v[44:45], v[64:65], v[44:45]
	s_delay_alu instid0(VALU_DEP_1) | instskip(NEXT) | instid1(VALU_DEP_1)
	v_dual_cndmask_b32 v19, v45, v43, s7 :: v_dual_cndmask_b32 v13, v44, v42, s7
	v_bitop3_b32 v27, v19, v11, 0x80000000 bitop3:0x78
	v_cndmask_b32_e64 v11, 0x7ff80000, v20, s4
	s_delay_alu instid0(VALU_DEP_3) | instskip(SKIP_3) | instid1(VALU_DEP_3)
	v_cndmask_b32_e64 v12, 0, v13, s4
	v_and_or_b32 v19, v21, s28, 0x7fe00000
	v_lshrrev_b32_e32 v20, 20, v21
	v_cndmask_b32_e64 v13, 0x7ff80000, v27, s4
	v_mul_f64_e32 v[10:11], v[18:19], v[10:11]
	s_delay_alu instid0(VALU_DEP_2) | instskip(NEXT) | instid1(VALU_DEP_4)
	v_mul_f64_e32 v[12:13], v[18:19], v[12:13]
	v_add_nc_u32_e32 v18, 0xffffff09, v20
	v_mov_b32_e32 v20, v26
	s_delay_alu instid0(VALU_DEP_2) | instskip(NEXT) | instid1(VALU_DEP_1)
	v_lshrrev_b16 v19, 15, v18
	v_add_nc_u16 v19, v18, v19
	s_delay_alu instid0(VALU_DEP_1) | instskip(NEXT) | instid1(VALU_DEP_1)
	v_ashrrev_i16 v19, 1, v19
	v_bfe_i32 v19, v19, 0, 16
	s_delay_alu instid0(VALU_DEP_1) | instskip(SKIP_1) | instid1(VALU_DEP_2)
	v_lshl_add_u32 v27, v19, 20, 0x3ff00000
	v_sub_nc_u32_e32 v18, v18, v19
	v_mul_f64_e32 v[10:11], v[10:11], v[26:27]
	v_mul_f64_e32 v[12:13], v[12:13], v[26:27]
	s_delay_alu instid0(VALU_DEP_3) | instskip(NEXT) | instid1(VALU_DEP_1)
	v_lshl_add_u32 v21, v18, 20, 0x3ff00000
	v_mul_f64_e32 v[18:19], v[10:11], v[20:21]
	s_delay_alu instid0(VALU_DEP_3)
	v_mul_f64_e32 v[20:21], v[12:13], v[20:21]
.LBB131_304:                            ;   in Loop: Header=BB131_185 Depth=1
	s_or_b32 exec_lo, exec_lo, s33
                                        ; implicit-def: $vgpr10_vgpr11
                                        ; implicit-def: $vgpr27
.LBB131_305:                            ;   in Loop: Header=BB131_185 Depth=1
	s_and_not1_saveexec_b32 s5, s31
	s_cbranch_execz .LBB131_311
; %bb.306:                              ;   in Loop: Header=BB131_185 Depth=1
	v_cmp_ne_u32_e64 s3, 0, v10
	v_cmp_ne_u32_e64 s4, 0x7ff00000, v27
                                        ; implicit-def: $vgpr20_vgpr21
	s_or_b32 s3, s3, s4
	s_delay_alu instid0(SALU_CYCLE_1) | instskip(NEXT) | instid1(SALU_CYCLE_1)
	s_and_saveexec_b32 s4, s3
	s_xor_b32 s3, exec_lo, s4
; %bb.307:                              ;   in Loop: Header=BB131_185 Depth=1
	v_add_f64_e64 v[20:21], v[12:13], -v[12:13]
                                        ; implicit-def: $vgpr10_vgpr11
; %bb.308:                              ;   in Loop: Header=BB131_185 Depth=1
	s_or_saveexec_b32 s4, s3
	s_delay_alu instid0(VALU_DEP_1)
	v_mov_b64_e32 v[18:19], v[20:21]
	s_xor_b32 exec_lo, exec_lo, s4
	s_cbranch_execz .LBB131_310
; %bb.309:                              ;   in Loop: Header=BB131_185 Depth=1
	v_cmp_lt_i64_e64 s3, -1, v[10:11]
	s_delay_alu instid0(VALU_DEP_1) | instskip(NEXT) | instid1(VALU_DEP_1)
	v_dual_add_f64 v[12:13], v[12:13], -v[12:13] :: v_dual_cndmask_b32 v19, 0, v11, s3
	v_dual_cndmask_b32 v18, 0, v10, s3 :: v_dual_cndmask_b32 v21, 0, v13, s3
	s_delay_alu instid0(VALU_DEP_2)
	v_cndmask_b32_e64 v20, 0, v12, s3
.LBB131_310:                            ;   in Loop: Header=BB131_185 Depth=1
	s_or_b32 exec_lo, exec_lo, s4
.LBB131_311:                            ;   in Loop: Header=BB131_185 Depth=1
	s_delay_alu instid0(SALU_CYCLE_1)
	s_or_b32 exec_lo, exec_lo, s5
                                        ; implicit-def: $vgpr12_vgpr13
                                        ; implicit-def: $vgpr46
.LBB131_312:                            ;   in Loop: Header=BB131_185 Depth=1
	s_and_not1_saveexec_b32 s6, s30
	s_cbranch_execz .LBB131_322
; %bb.313:                              ;   in Loop: Header=BB131_185 Depth=1
	v_cmp_ngt_f64_e64 s4, 0x41d00000, |v[12:13]|
                                        ; implicit-def: $vgpr44
                                        ; implicit-def: $vgpr10_vgpr11
                                        ; implicit-def: $vgpr18_vgpr19
	s_and_saveexec_b32 s3, s4
	s_delay_alu instid0(SALU_CYCLE_1)
	s_xor_b32 s5, exec_lo, s3
	s_cbranch_execz .LBB131_315
; %bb.314:                              ;   in Loop: Header=BB131_185 Depth=1
	v_ldexp_f64 v[10:11], |v[12:13]|, 0xffffff80
	v_cmp_le_f64_e64 s3, 0x7b000000, |v[12:13]|
	v_trig_preop_f64 v[18:19], |v[12:13]|, 0
	v_trig_preop_f64 v[20:21], |v[12:13]|, 1
	;; [unrolled: 1-line block ×3, first 2 shown]
	s_delay_alu instid0(VALU_DEP_4) | instskip(NEXT) | instid1(VALU_DEP_1)
	v_dual_cndmask_b32 v11, v46, v11, s3 :: v_dual_cndmask_b32 v10, v12, v10, s3
	v_mul_f64_e32 v[42:43], v[18:19], v[10:11]
	s_delay_alu instid0(VALU_DEP_4) | instskip(NEXT) | instid1(VALU_DEP_4)
	v_mul_f64_e32 v[44:45], v[20:21], v[10:11]
	v_mul_f64_e32 v[58:59], v[52:53], v[10:11]
	s_delay_alu instid0(VALU_DEP_3) | instskip(NEXT) | instid1(VALU_DEP_3)
	v_fma_f64 v[18:19], v[18:19], v[10:11], -v[42:43]
	v_fma_f64 v[20:21], v[20:21], v[10:11], -v[44:45]
	s_delay_alu instid0(VALU_DEP_3) | instskip(NEXT) | instid1(VALU_DEP_3)
	v_fma_f64 v[10:11], v[52:53], v[10:11], -v[58:59]
	v_add_f64_e32 v[48:49], v[44:45], v[18:19]
	s_delay_alu instid0(VALU_DEP_1) | instskip(SKIP_1) | instid1(VALU_DEP_2)
	v_add_f64_e64 v[50:51], v[48:49], -v[44:45]
	v_add_f64_e32 v[56:57], v[42:43], v[48:49]
	v_add_f64_e64 v[54:55], v[48:49], -v[50:51]
	v_add_f64_e64 v[18:19], v[18:19], -v[50:51]
	s_delay_alu instid0(VALU_DEP_3) | instskip(NEXT) | instid1(VALU_DEP_3)
	v_ldexp_f64 v[50:51], v[56:57], -2
	v_add_f64_e64 v[44:45], v[44:45], -v[54:55]
	v_add_f64_e32 v[54:55], v[58:59], v[20:21]
	s_delay_alu instid0(VALU_DEP_3) | instskip(NEXT) | instid1(VALU_DEP_3)
	v_cmp_neq_f64_e64 s3, 0x7ff00000, |v[50:51]|
	v_add_f64_e32 v[18:19], v[18:19], v[44:45]
	v_fract_f64_e32 v[44:45], v[50:51]
	s_delay_alu instid0(VALU_DEP_1) | instskip(NEXT) | instid1(VALU_DEP_1)
	v_ldexp_f64 v[44:45], v[44:45], 2
	v_dual_add_f64 v[42:43], v[56:57], -v[42:43] :: v_dual_cndmask_b32 v45, 0, v45, s3
	s_delay_alu instid0(VALU_DEP_1) | instskip(SKIP_1) | instid1(VALU_DEP_1)
	v_dual_add_f64 v[42:43], v[48:49], -v[42:43] :: v_dual_cndmask_b32 v44, 0, v44, s3
	v_add_f64_e32 v[48:49], v[54:55], v[18:19]
	v_add_f64_e32 v[50:51], v[42:43], v[48:49]
	v_add_f64_e64 v[60:61], v[48:49], -v[54:55]
	s_delay_alu instid0(VALU_DEP_2) | instskip(NEXT) | instid1(VALU_DEP_2)
	v_add_f64_e32 v[56:57], v[50:51], v[44:45]
	v_add_f64_e64 v[66:67], v[48:49], -v[60:61]
	v_add_f64_e64 v[18:19], v[18:19], -v[60:61]
	;; [unrolled: 1-line block ×3, first 2 shown]
	s_delay_alu instid0(VALU_DEP_4) | instskip(SKIP_1) | instid1(VALU_DEP_3)
	v_cmp_gt_f64_e64 s3, 0, v[56:57]
	v_add_f64_e64 v[56:57], v[54:55], -v[58:59]
	v_add_f64_e64 v[42:43], v[48:49], -v[42:43]
	s_delay_alu instid0(VALU_DEP_3) | instskip(NEXT) | instid1(VALU_DEP_3)
	v_cndmask_b32_e64 v27, 0, 0x40100000, s3
	v_add_f64_e64 v[64:65], v[54:55], -v[56:57]
	v_add_f64_e64 v[20:21], v[20:21], -v[56:57]
	;; [unrolled: 1-line block ×3, first 2 shown]
	s_delay_alu instid0(VALU_DEP_4) | instskip(NEXT) | instid1(VALU_DEP_4)
	v_add_f64_e32 v[44:45], v[44:45], v[26:27]
	v_add_f64_e64 v[56:57], v[58:59], -v[64:65]
	s_delay_alu instid0(VALU_DEP_3) | instskip(NEXT) | instid1(VALU_DEP_3)
	v_add_f64_e32 v[18:19], v[18:19], v[54:55]
	v_add_f64_e32 v[62:63], v[50:51], v[44:45]
	s_delay_alu instid0(VALU_DEP_3) | instskip(NEXT) | instid1(VALU_DEP_2)
	v_add_f64_e32 v[20:21], v[20:21], v[56:57]
	v_cvt_i32_f64_e32 v27, v[62:63]
	s_delay_alu instid0(VALU_DEP_2) | instskip(NEXT) | instid1(VALU_DEP_2)
	v_add_f64_e32 v[18:19], v[20:21], v[18:19]
	v_cvt_f64_i32_e32 v[60:61], v27
	s_delay_alu instid0(VALU_DEP_2) | instskip(NEXT) | instid1(VALU_DEP_2)
	v_add_f64_e32 v[10:11], v[10:11], v[18:19]
	v_add_f64_e64 v[44:45], v[44:45], -v[60:61]
	s_delay_alu instid0(VALU_DEP_2) | instskip(NEXT) | instid1(VALU_DEP_2)
	v_add_f64_e32 v[10:11], v[42:43], v[10:11]
	v_add_f64_e32 v[20:21], v[50:51], v[44:45]
	s_delay_alu instid0(VALU_DEP_1) | instskip(SKIP_1) | instid1(VALU_DEP_2)
	v_add_f64_e64 v[18:19], v[20:21], -v[44:45]
	v_cmp_le_f64_e64 s3, 0.5, v[20:21]
	v_add_f64_e64 v[18:19], v[50:51], -v[18:19]
	s_delay_alu instid0(VALU_DEP_2) | instskip(SKIP_1) | instid1(VALU_DEP_3)
	v_add_co_ci_u32_e64 v44, null, 0, v27, s3
	v_cndmask_b32_e64 v27, 0, 0x3ff00000, s3
	v_add_f64_e32 v[10:11], v[10:11], v[18:19]
	s_delay_alu instid0(VALU_DEP_2) | instskip(NEXT) | instid1(VALU_DEP_1)
	v_add_f64_e64 v[18:19], v[20:21], -v[26:27]
	v_add_f64_e32 v[20:21], v[18:19], v[10:11]
	s_delay_alu instid0(VALU_DEP_1) | instskip(SKIP_1) | instid1(VALU_DEP_2)
	v_mul_f64_e32 v[42:43], 0x3ff921fb54442d18, v[20:21]
	v_add_f64_e64 v[18:19], v[20:21], -v[18:19]
	v_fma_f64 v[48:49], v[20:21], s[14:15], -v[42:43]
	s_delay_alu instid0(VALU_DEP_2) | instskip(NEXT) | instid1(VALU_DEP_2)
	v_add_f64_e64 v[10:11], v[10:11], -v[18:19]
	v_fmac_f64_e32 v[48:49], 0x3c91a62633145c07, v[20:21]
	s_delay_alu instid0(VALU_DEP_1) | instskip(NEXT) | instid1(VALU_DEP_1)
	v_fmac_f64_e32 v[48:49], 0x3ff921fb54442d18, v[10:11]
	v_add_f64_e32 v[10:11], v[42:43], v[48:49]
	s_delay_alu instid0(VALU_DEP_1) | instskip(NEXT) | instid1(VALU_DEP_1)
	v_add_f64_e64 v[18:19], v[10:11], -v[42:43]
	v_add_f64_e64 v[18:19], v[48:49], -v[18:19]
	s_and_not1_saveexec_b32 s3, s5
	s_cbranch_execz .LBB131_317
	s_branch .LBB131_316
.LBB131_315:                            ;   in Loop: Header=BB131_185 Depth=1
	s_and_not1_saveexec_b32 s3, s5
	s_cbranch_execz .LBB131_317
.LBB131_316:                            ;   in Loop: Header=BB131_185 Depth=1
	v_mul_f64_e64 v[10:11], |v[12:13]|, s[16:17]
	s_delay_alu instid0(VALU_DEP_1) | instskip(NEXT) | instid1(VALU_DEP_1)
	v_rndne_f64_e32 v[20:21], v[10:11]
	v_fma_f64 v[10:11], v[20:21], s[22:23], |v[12:13]|
	v_mul_f64_e32 v[18:19], 0xbc91a62633145c00, v[20:21]
	s_delay_alu instid0(VALU_DEP_2) | instskip(NEXT) | instid1(VALU_DEP_2)
	v_fmamk_f64 v[48:49], v[20:21], 0xbc91a62633145c00, v[10:11]
	v_add_f64_e32 v[42:43], v[10:11], v[18:19]
	s_delay_alu instid0(VALU_DEP_1) | instskip(NEXT) | instid1(VALU_DEP_3)
	v_add_f64_e64 v[44:45], v[10:11], -v[42:43]
	v_add_f64_e64 v[10:11], v[42:43], -v[48:49]
	s_delay_alu instid0(VALU_DEP_2) | instskip(SKIP_2) | instid1(VALU_DEP_3)
	v_add_f64_e32 v[42:43], v[44:45], v[18:19]
	v_fmamk_f64 v[18:19], v[20:21], 0x3c91a62633145c00, v[18:19]
	v_cvt_i32_f64_e32 v44, v[20:21]
	v_add_f64_e32 v[10:11], v[10:11], v[42:43]
	s_delay_alu instid0(VALU_DEP_1) | instskip(NEXT) | instid1(VALU_DEP_1)
	v_add_f64_e64 v[18:19], v[10:11], -v[18:19]
	v_fmac_f64_e32 v[18:19], 0xb97b839a252049c0, v[20:21]
	s_delay_alu instid0(VALU_DEP_1) | instskip(NEXT) | instid1(VALU_DEP_1)
	v_add_f64_e32 v[10:11], v[48:49], v[18:19]
	v_add_f64_e64 v[42:43], v[10:11], -v[48:49]
	s_delay_alu instid0(VALU_DEP_1)
	v_add_f64_e64 v[18:19], v[18:19], -v[42:43]
.LBB131_317:                            ;   in Loop: Header=BB131_185 Depth=1
	s_or_b32 exec_lo, exec_lo, s3
                                        ; implicit-def: $vgpr45
                                        ; implicit-def: $vgpr20_vgpr21
                                        ; implicit-def: $vgpr42_vgpr43
	s_and_saveexec_b32 s3, s4
	s_delay_alu instid0(SALU_CYCLE_1)
	s_xor_b32 s4, exec_lo, s3
	s_cbranch_execz .LBB131_319
; %bb.318:                              ;   in Loop: Header=BB131_185 Depth=1
	v_ldexp_f64 v[20:21], |v[12:13]|, 0xffffff80
	v_cmp_le_f64_e64 s3, 0x7b000000, |v[12:13]|
	v_trig_preop_f64 v[42:43], |v[12:13]|, 0
	v_trig_preop_f64 v[56:57], |v[12:13]|, 2
	s_delay_alu instid0(VALU_DEP_3) | instskip(SKIP_1) | instid1(VALU_DEP_2)
	v_dual_cndmask_b32 v21, v46, v21, s3 :: v_dual_cndmask_b32 v20, v12, v20, s3
	v_trig_preop_f64 v[46:47], |v[12:13]|, 1
	v_mul_f64_e32 v[48:49], v[42:43], v[20:21]
	s_delay_alu instid0(VALU_DEP_4) | instskip(NEXT) | instid1(VALU_DEP_3)
	v_mul_f64_e32 v[62:63], v[56:57], v[20:21]
	v_mul_f64_e32 v[50:51], v[46:47], v[20:21]
	s_delay_alu instid0(VALU_DEP_3) | instskip(NEXT) | instid1(VALU_DEP_2)
	v_fma_f64 v[42:43], v[42:43], v[20:21], -v[48:49]
	v_fma_f64 v[46:47], v[46:47], v[20:21], -v[50:51]
	s_delay_alu instid0(VALU_DEP_4) | instskip(NEXT) | instid1(VALU_DEP_3)
	v_fma_f64 v[20:21], v[56:57], v[20:21], -v[62:63]
	v_add_f64_e32 v[52:53], v[50:51], v[42:43]
	s_delay_alu instid0(VALU_DEP_1) | instskip(SKIP_1) | instid1(VALU_DEP_2)
	v_add_f64_e64 v[54:55], v[52:53], -v[50:51]
	v_add_f64_e32 v[60:61], v[48:49], v[52:53]
	v_add_f64_e64 v[58:59], v[52:53], -v[54:55]
	v_add_f64_e64 v[42:43], v[42:43], -v[54:55]
	s_delay_alu instid0(VALU_DEP_3) | instskip(NEXT) | instid1(VALU_DEP_3)
	v_ldexp_f64 v[54:55], v[60:61], -2
	v_add_f64_e64 v[50:51], v[50:51], -v[58:59]
	v_add_f64_e32 v[58:59], v[62:63], v[46:47]
	s_delay_alu instid0(VALU_DEP_3) | instskip(NEXT) | instid1(VALU_DEP_3)
	v_cmp_neq_f64_e64 s3, 0x7ff00000, |v[54:55]|
	v_add_f64_e32 v[42:43], v[42:43], v[50:51]
	v_fract_f64_e32 v[50:51], v[54:55]
	s_delay_alu instid0(VALU_DEP_1) | instskip(NEXT) | instid1(VALU_DEP_1)
	v_ldexp_f64 v[50:51], v[50:51], 2
	v_dual_add_f64 v[48:49], v[60:61], -v[48:49] :: v_dual_cndmask_b32 v51, 0, v51, s3
	s_delay_alu instid0(VALU_DEP_1) | instskip(SKIP_1) | instid1(VALU_DEP_1)
	v_dual_add_f64 v[48:49], v[52:53], -v[48:49] :: v_dual_cndmask_b32 v50, 0, v50, s3
	v_add_f64_e32 v[52:53], v[58:59], v[42:43]
	v_add_f64_e32 v[54:55], v[48:49], v[52:53]
	v_add_f64_e64 v[64:65], v[52:53], -v[58:59]
	s_delay_alu instid0(VALU_DEP_2) | instskip(NEXT) | instid1(VALU_DEP_2)
	v_add_f64_e32 v[60:61], v[54:55], v[50:51]
	v_add_f64_e64 v[70:71], v[52:53], -v[64:65]
	v_add_f64_e64 v[42:43], v[42:43], -v[64:65]
	;; [unrolled: 1-line block ×3, first 2 shown]
	s_delay_alu instid0(VALU_DEP_4) | instskip(SKIP_1) | instid1(VALU_DEP_3)
	v_cmp_gt_f64_e64 s3, 0, v[60:61]
	v_add_f64_e64 v[60:61], v[58:59], -v[62:63]
	v_add_f64_e64 v[48:49], v[52:53], -v[48:49]
	s_delay_alu instid0(VALU_DEP_3) | instskip(NEXT) | instid1(VALU_DEP_3)
	v_cndmask_b32_e64 v27, 0, 0x40100000, s3
	v_add_f64_e64 v[68:69], v[58:59], -v[60:61]
	v_add_f64_e64 v[46:47], v[46:47], -v[60:61]
	;; [unrolled: 1-line block ×3, first 2 shown]
	s_delay_alu instid0(VALU_DEP_4) | instskip(NEXT) | instid1(VALU_DEP_4)
	v_add_f64_e32 v[50:51], v[50:51], v[26:27]
	v_add_f64_e64 v[60:61], v[62:63], -v[68:69]
	s_delay_alu instid0(VALU_DEP_3) | instskip(NEXT) | instid1(VALU_DEP_3)
	v_add_f64_e32 v[42:43], v[42:43], v[58:59]
	v_add_f64_e32 v[66:67], v[54:55], v[50:51]
	s_delay_alu instid0(VALU_DEP_3) | instskip(NEXT) | instid1(VALU_DEP_2)
	v_add_f64_e32 v[46:47], v[46:47], v[60:61]
	v_cvt_i32_f64_e32 v27, v[66:67]
	s_delay_alu instid0(VALU_DEP_2) | instskip(NEXT) | instid1(VALU_DEP_2)
	v_add_f64_e32 v[42:43], v[46:47], v[42:43]
	v_cvt_f64_i32_e32 v[64:65], v27
	s_delay_alu instid0(VALU_DEP_2) | instskip(NEXT) | instid1(VALU_DEP_2)
	v_add_f64_e32 v[20:21], v[20:21], v[42:43]
	v_add_f64_e64 v[50:51], v[50:51], -v[64:65]
	s_delay_alu instid0(VALU_DEP_2) | instskip(NEXT) | instid1(VALU_DEP_2)
	v_add_f64_e32 v[20:21], v[48:49], v[20:21]
	v_add_f64_e32 v[46:47], v[54:55], v[50:51]
	s_delay_alu instid0(VALU_DEP_1) | instskip(SKIP_1) | instid1(VALU_DEP_2)
	v_add_f64_e64 v[42:43], v[46:47], -v[50:51]
	v_cmp_le_f64_e64 s3, 0.5, v[46:47]
	v_add_f64_e64 v[42:43], v[54:55], -v[42:43]
	s_delay_alu instid0(VALU_DEP_2) | instskip(SKIP_1) | instid1(VALU_DEP_3)
	v_add_co_ci_u32_e64 v45, null, 0, v27, s3
	v_cndmask_b32_e64 v27, 0, 0x3ff00000, s3
	v_add_f64_e32 v[20:21], v[20:21], v[42:43]
	s_delay_alu instid0(VALU_DEP_2) | instskip(NEXT) | instid1(VALU_DEP_1)
	v_add_f64_e64 v[42:43], v[46:47], -v[26:27]
	v_add_f64_e32 v[46:47], v[42:43], v[20:21]
	s_delay_alu instid0(VALU_DEP_1) | instskip(SKIP_1) | instid1(VALU_DEP_2)
	v_mul_f64_e32 v[48:49], 0x3ff921fb54442d18, v[46:47]
	v_add_f64_e64 v[42:43], v[46:47], -v[42:43]
	v_fma_f64 v[50:51], v[46:47], s[14:15], -v[48:49]
	s_delay_alu instid0(VALU_DEP_2) | instskip(NEXT) | instid1(VALU_DEP_2)
	v_add_f64_e64 v[20:21], v[20:21], -v[42:43]
	v_fmac_f64_e32 v[50:51], 0x3c91a62633145c07, v[46:47]
	s_delay_alu instid0(VALU_DEP_1) | instskip(NEXT) | instid1(VALU_DEP_1)
	v_fmac_f64_e32 v[50:51], 0x3ff921fb54442d18, v[20:21]
	v_add_f64_e32 v[20:21], v[48:49], v[50:51]
	s_delay_alu instid0(VALU_DEP_1) | instskip(NEXT) | instid1(VALU_DEP_1)
	v_add_f64_e64 v[42:43], v[20:21], -v[48:49]
	v_add_f64_e64 v[42:43], v[50:51], -v[42:43]
	s_and_not1_saveexec_b32 s3, s4
	s_cbranch_execnz .LBB131_320
	s_branch .LBB131_321
.LBB131_319:                            ;   in Loop: Header=BB131_185 Depth=1
	s_and_not1_saveexec_b32 s3, s4
	s_cbranch_execz .LBB131_321
.LBB131_320:                            ;   in Loop: Header=BB131_185 Depth=1
	v_mul_f64_e64 v[20:21], |v[12:13]|, s[16:17]
	s_delay_alu instid0(VALU_DEP_1) | instskip(NEXT) | instid1(VALU_DEP_1)
	v_rndne_f64_e32 v[46:47], v[20:21]
	v_fma_f64 v[20:21], v[46:47], s[22:23], |v[12:13]|
	v_mul_f64_e32 v[42:43], 0xbc91a62633145c00, v[46:47]
	v_cvt_i32_f64_e32 v45, v[46:47]
	s_delay_alu instid0(VALU_DEP_3) | instskip(NEXT) | instid1(VALU_DEP_3)
	v_fmamk_f64 v[52:53], v[46:47], 0xbc91a62633145c00, v[20:21]
	v_add_f64_e32 v[48:49], v[20:21], v[42:43]
	s_delay_alu instid0(VALU_DEP_1) | instskip(NEXT) | instid1(VALU_DEP_3)
	v_add_f64_e64 v[50:51], v[20:21], -v[48:49]
	v_add_f64_e64 v[20:21], v[48:49], -v[52:53]
	s_delay_alu instid0(VALU_DEP_2) | instskip(SKIP_1) | instid1(VALU_DEP_2)
	v_add_f64_e32 v[48:49], v[50:51], v[42:43]
	v_fmamk_f64 v[42:43], v[46:47], 0x3c91a62633145c00, v[42:43]
	v_add_f64_e32 v[20:21], v[20:21], v[48:49]
	s_delay_alu instid0(VALU_DEP_1) | instskip(NEXT) | instid1(VALU_DEP_1)
	v_add_f64_e64 v[42:43], v[20:21], -v[42:43]
	v_fmac_f64_e32 v[42:43], 0xb97b839a252049c0, v[46:47]
	s_delay_alu instid0(VALU_DEP_1) | instskip(NEXT) | instid1(VALU_DEP_1)
	v_add_f64_e32 v[20:21], v[52:53], v[42:43]
	v_add_f64_e64 v[48:49], v[20:21], -v[52:53]
	s_delay_alu instid0(VALU_DEP_1)
	v_add_f64_e64 v[42:43], v[42:43], -v[48:49]
.LBB131_321:                            ;   in Loop: Header=BB131_185 Depth=1
	s_or_b32 exec_lo, exec_lo, s3
	v_dual_mul_f64 v[46:47], v[10:11], v[10:11] :: v_dual_bitop2_b32 v27, 1, v44 bitop3:0x40
	s_delay_alu instid0(VALU_DEP_2) | instskip(SKIP_1) | instid1(VALU_DEP_4)
	v_mul_f64_e32 v[58:59], 0.5, v[18:19]
	v_cmp_class_f64_e64 s4, v[12:13], 0x1f8
	v_dual_mul_f64 v[66:67], 0.5, v[42:43] :: v_dual_bitop2_b32 v12, 1, v45 bitop3:0x40
	s_delay_alu instid0(VALU_DEP_4) | instskip(NEXT) | instid1(VALU_DEP_2)
	v_cmp_eq_u32_e64 s3, 0, v27
	v_cmp_eq_u32_e64 s5, 0, v12
	v_dual_mul_f64 v[60:61], v[10:11], -v[46:47] :: v_dual_lshlrev_b32 v12, 30, v44
	v_mul_f64_e32 v[50:51], 0.5, v[46:47]
	v_fmamk_f64 v[64:65], v[46:47], 0x3de5e0b2f9a43bb8, v[32:33]
	s_delay_alu instid0(VALU_DEP_1) | instskip(NEXT) | instid1(VALU_DEP_1)
	v_fmaak_f64 v[64:65], v[46:47], v[64:65], 0x3ec71de3796cde01
	v_fmaak_f64 v[64:65], v[46:47], v[64:65], 0xbf2a01a019e83e5c
	s_delay_alu instid0(VALU_DEP_1) | instskip(NEXT) | instid1(VALU_DEP_1)
	v_fmaak_f64 v[64:65], v[46:47], v[64:65], 0x3f81111111110bb3
	v_fmac_f64_e32 v[58:59], v[60:61], v[64:65]
	v_add_f64_e64 v[54:55], -v[50:51], 1.0
	v_mul_f64_e32 v[64:65], v[46:47], v[46:47]
	s_delay_alu instid0(VALU_DEP_3) | instskip(NEXT) | instid1(VALU_DEP_3)
	v_fma_f64 v[58:59], v[46:47], v[58:59], -v[18:19]
	v_add_f64_e64 v[62:63], -v[54:55], 1.0
	s_delay_alu instid0(VALU_DEP_2) | instskip(NEXT) | instid1(VALU_DEP_2)
	v_fmac_f64_e32 v[58:59], 0xbfc5555555555555, v[60:61]
	v_add_f64_e64 v[50:51], v[62:63], -v[50:51]
	s_delay_alu instid0(VALU_DEP_1) | instskip(NEXT) | instid1(VALU_DEP_3)
	v_fma_f64 v[18:19], v[10:11], -v[18:19], v[50:51]
	v_add_f64_e64 v[10:11], v[10:11], -v[58:59]
	v_mul_f64_e32 v[48:49], v[20:21], v[20:21]
	s_delay_alu instid0(VALU_DEP_2) | instskip(NEXT) | instid1(VALU_DEP_2)
	v_xor_b32_e32 v11, 0x80000000, v11
	v_mul_f64_e64 v[68:69], v[20:21], -v[48:49]
	v_fmamk_f64 v[72:73], v[48:49], 0x3de5e0b2f9a43bb8, v[32:33]
	s_delay_alu instid0(VALU_DEP_1) | instskip(NEXT) | instid1(VALU_DEP_1)
	v_fmaak_f64 v[62:63], v[48:49], v[72:73], 0x3ec71de3796cde01
	v_fmaak_f64 v[62:63], v[48:49], v[62:63], 0xbf2a01a019e83e5c
	s_delay_alu instid0(VALU_DEP_1) | instskip(NEXT) | instid1(VALU_DEP_1)
	v_fmaak_f64 v[62:63], v[48:49], v[62:63], 0x3f81111111110bb3
	v_fmac_f64_e32 v[66:67], v[68:69], v[62:63]
	v_fmamk_f64 v[62:63], v[46:47], 0xbda907db46cc5e42, v[30:31]
	s_delay_alu instid0(VALU_DEP_1) | instskip(NEXT) | instid1(VALU_DEP_1)
	v_fmaak_f64 v[50:51], v[46:47], v[62:63], 0xbe927e4fa17f65f6
	v_fmaak_f64 v[50:51], v[46:47], v[50:51], 0x3efa01a019f4ec90
	s_delay_alu instid0(VALU_DEP_1) | instskip(NEXT) | instid1(VALU_DEP_1)
	v_fmaak_f64 v[50:51], v[46:47], v[50:51], 0xbf56c16c16c16967
	v_fmaak_f64 v[46:47], v[46:47], v[50:51], 0x3fa5555555555555
	s_delay_alu instid0(VALU_DEP_1) | instskip(NEXT) | instid1(VALU_DEP_1)
	v_fmac_f64_e32 v[18:19], v[64:65], v[46:47]
	v_add_f64_e32 v[18:19], v[54:55], v[18:19]
	s_delay_alu instid0(VALU_DEP_1) | instskip(NEXT) | instid1(VALU_DEP_2)
	v_dual_mul_f64 v[52:53], 0.5, v[48:49] :: v_dual_cndmask_b32 v10, v10, v18, s3
	v_cndmask_b32_e64 v11, v11, v19, s3
	v_fmamk_f64 v[62:63], v[48:49], 0xbda907db46cc5e42, v[30:31]
	v_dual_fma_f64 v[66:67], v[48:49], v[66:67], -v[42:43] :: v_dual_lshlrev_b32 v18, 30, v45
	s_delay_alu instid0(VALU_DEP_3) | instskip(NEXT) | instid1(VALU_DEP_3)
	v_bitop3_b32 v11, v11, v12, 0x80000000 bitop3:0x78
	v_fmaak_f64 v[50:51], v[48:49], v[62:63], 0xbe927e4fa17f65f6
	s_delay_alu instid0(VALU_DEP_3) | instskip(NEXT) | instid1(VALU_DEP_3)
	v_xor_b32_e32 v13, v18, v13
	v_cndmask_b32_e64 v19, 0x7ff80000, v11, s4
	s_delay_alu instid0(VALU_DEP_3) | instskip(NEXT) | instid1(VALU_DEP_1)
	v_fmaak_f64 v[46:47], v[48:49], v[50:51], 0x3efa01a019f4ec90
	v_fmaak_f64 v[46:47], v[48:49], v[46:47], 0xbf56c16c16c16967
	s_delay_alu instid0(VALU_DEP_1) | instskip(SKIP_2) | instid1(VALU_DEP_2)
	v_fmaak_f64 v[46:47], v[48:49], v[46:47], 0x3fa5555555555555
	v_add_f64_e64 v[56:57], -v[52:53], 1.0
	v_fmac_f64_e32 v[66:67], 0xbfc5555555555555, v[68:69]
	v_add_f64_e64 v[70:71], -v[56:57], 1.0
	s_delay_alu instid0(VALU_DEP_1) | instskip(SKIP_1) | instid1(VALU_DEP_2)
	v_add_f64_e64 v[52:53], v[70:71], -v[52:53]
	v_mul_f64_e32 v[70:71], v[48:49], v[48:49]
	v_fma_f64 v[42:43], v[20:21], -v[42:43], v[52:53]
	v_add_f64_e64 v[20:21], v[20:21], -v[66:67]
	s_delay_alu instid0(VALU_DEP_2) | instskip(NEXT) | instid1(VALU_DEP_1)
	v_fmac_f64_e32 v[42:43], v[70:71], v[46:47]
	v_add_f64_e32 v[42:43], v[56:57], v[42:43]
	s_delay_alu instid0(VALU_DEP_1) | instskip(NEXT) | instid1(VALU_DEP_1)
	v_dual_cndmask_b32 v18, v43, v21, s5 :: v_dual_cndmask_b32 v20, v42, v20, s5
	v_bitop3_b32 v12, v18, v13, 0x80000000 bitop3:0x78
	s_delay_alu instid0(VALU_DEP_2) | instskip(NEXT) | instid1(VALU_DEP_2)
	v_dual_cndmask_b32 v18, 0, v10, s4 :: v_dual_cndmask_b32 v20, 0, v20, s4
	v_cndmask_b32_e64 v21, 0x7ff80000, v12, s4
.LBB131_322:                            ;   in Loop: Header=BB131_185 Depth=1
	s_or_b32 exec_lo, exec_lo, s6
                                        ; implicit-def: $vgpr10_vgpr11
.LBB131_323:                            ;   in Loop: Header=BB131_185 Depth=1
	s_and_not1_saveexec_b32 s5, s29
	s_cbranch_execz .LBB131_325
; %bb.324:                              ;   in Loop: Header=BB131_185 Depth=1
	v_mul_f64_e32 v[18:19], 0x3ff71547652b82fe, v[10:11]
	v_cmp_nlt_f64_e64 s3, 0x40900000, v[10:11]
	v_cmp_ngt_f64_e64 s4, 0xc090cc00, v[10:11]
	s_delay_alu instid0(VALU_DEP_3) | instskip(NEXT) | instid1(VALU_DEP_1)
	v_rndne_f64_e32 v[18:19], v[18:19]
	v_fmamk_f64 v[20:21], v[18:19], 0xbfe62e42fefa39ef, v[10:11]
	v_cvt_i32_f64_e32 v27, v[18:19]
	s_delay_alu instid0(VALU_DEP_2) | instskip(NEXT) | instid1(VALU_DEP_1)
	v_fmac_f64_e32 v[20:21], 0xbc7abc9e3b39803f, v[18:19]
	v_fmamk_f64 v[42:43], v[20:21], 0x3e5ade156a5dcb37, v[28:29]
	s_delay_alu instid0(VALU_DEP_1) | instskip(NEXT) | instid1(VALU_DEP_1)
	v_fmaak_f64 v[42:43], v[20:21], v[42:43], 0x3ec71dee623fde64
	v_fmaak_f64 v[42:43], v[20:21], v[42:43], 0x3efa01997c89e6b0
	s_delay_alu instid0(VALU_DEP_1) | instskip(NEXT) | instid1(VALU_DEP_1)
	v_fmaak_f64 v[42:43], v[20:21], v[42:43], 0x3f2a01a014761f6e
	v_fmaak_f64 v[42:43], v[20:21], v[42:43], 0x3f56c16c1852b7b0
	;; [unrolled: 3-line block ×4, first 2 shown]
	s_delay_alu instid0(VALU_DEP_1) | instskip(NEXT) | instid1(VALU_DEP_1)
	v_fma_f64 v[42:43], v[20:21], v[42:43], 1.0
	v_fma_f64 v[18:19], v[20:21], v[42:43], 1.0
	v_mov_b64_e32 v[20:21], v[12:13]
	s_delay_alu instid0(VALU_DEP_2) | instskip(NEXT) | instid1(VALU_DEP_1)
	v_ldexp_f64 v[18:19], v[18:19], v27
	v_cndmask_b32_e64 v19, 0x7ff00000, v19, s3
	s_and_b32 s3, s4, s3
	s_delay_alu instid0(VALU_DEP_1) | instid1(SALU_CYCLE_1)
	v_dual_cndmask_b32 v18, 0, v18, s3 :: v_dual_cndmask_b32 v19, 0, v19, s4
.LBB131_325:                            ;   in Loop: Header=BB131_185 Depth=1
	s_or_b32 exec_lo, exec_lo, s5
	v_and_b32_e32 v46, 0x7fffffff, v5
	s_delay_alu instid0(VALU_DEP_1) | instskip(NEXT) | instid1(VALU_DEP_1)
	v_or_b32_e32 v10, v46, v4
	v_cmp_ne_u32_e64 s3, 0, v10
                                        ; implicit-def: $vgpr12_vgpr13
	s_and_saveexec_b32 s4, s3
	s_delay_alu instid0(SALU_CYCLE_1)
	s_xor_b32 s29, exec_lo, s4
	s_cbranch_execz .LBB131_331
; %bb.326:                              ;   in Loop: Header=BB131_185 Depth=1
	v_and_b32_e32 v27, 0x7fffffff, v3
	s_delay_alu instid0(VALU_DEP_1) | instskip(NEXT) | instid1(VALU_DEP_1)
	v_or_b32_e32 v10, v27, v2
	v_cmp_ne_u32_e64 s3, 0, v10
                                        ; implicit-def: $vgpr12_vgpr13
	s_and_saveexec_b32 s4, s3
	s_delay_alu instid0(SALU_CYCLE_1)
	s_xor_b32 s30, exec_lo, s4
	s_cbranch_execz .LBB131_361
; %bb.327:                              ;   in Loop: Header=BB131_185 Depth=1
                                        ; implicit-def: $vgpr12_vgpr13
	s_mov_b32 s4, exec_lo
	v_cmpx_gt_u32_e32 0x7ff00000, v46
	s_xor_b32 s31, exec_lo, s4
	s_cbranch_execz .LBB131_354
; %bb.328:                              ;   in Loop: Header=BB131_185 Depth=1
	v_add_nc_u32_e32 v10, 0xbf79d1be, v3
	s_delay_alu instid0(VALU_DEP_1) | instskip(SKIP_1) | instid1(SALU_CYCLE_1)
	v_cmp_lt_u32_e64 s3, 0x108aa2, v10
                                        ; implicit-def: $vgpr12_vgpr13
	s_and_saveexec_b32 s4, s3
	s_xor_b32 s33, exec_lo, s4
	s_cbranch_execz .LBB131_343
; %bb.329:                              ;   in Loop: Header=BB131_185 Depth=1
	v_cmp_ngt_f64_e64 s4, 0x41d00000, |v[4:5]|
                                        ; implicit-def: $vgpr47
                                        ; implicit-def: $vgpr10_vgpr11
                                        ; implicit-def: $vgpr12_vgpr13
	s_and_saveexec_b32 s3, s4
	s_delay_alu instid0(SALU_CYCLE_1)
	s_xor_b32 s5, exec_lo, s3
	s_cbranch_execz .LBB131_336
; %bb.330:                              ;   in Loop: Header=BB131_185 Depth=1
	v_ldexp_f64 v[10:11], |v[4:5]|, 0xffffff80
	v_cmp_le_f64_e64 s3, 0x7b000000, |v[4:5]|
	v_trig_preop_f64 v[12:13], |v[4:5]|, 0
	v_trig_preop_f64 v[42:43], |v[4:5]|, 1
	;; [unrolled: 1-line block ×3, first 2 shown]
	s_delay_alu instid0(VALU_DEP_4) | instskip(NEXT) | instid1(VALU_DEP_1)
	v_dual_cndmask_b32 v11, v46, v11, s3 :: v_dual_cndmask_b32 v10, v4, v10, s3
	v_mul_f64_e32 v[44:45], v[12:13], v[10:11]
	s_delay_alu instid0(VALU_DEP_4) | instskip(NEXT) | instid1(VALU_DEP_4)
	v_mul_f64_e32 v[48:49], v[42:43], v[10:11]
	v_mul_f64_e32 v[60:61], v[54:55], v[10:11]
	s_delay_alu instid0(VALU_DEP_3) | instskip(NEXT) | instid1(VALU_DEP_3)
	v_fma_f64 v[12:13], v[12:13], v[10:11], -v[44:45]
	v_fma_f64 v[42:43], v[42:43], v[10:11], -v[48:49]
	s_delay_alu instid0(VALU_DEP_3) | instskip(NEXT) | instid1(VALU_DEP_3)
	v_fma_f64 v[10:11], v[54:55], v[10:11], -v[60:61]
	v_add_f64_e32 v[50:51], v[48:49], v[12:13]
	s_delay_alu instid0(VALU_DEP_1) | instskip(SKIP_1) | instid1(VALU_DEP_2)
	v_add_f64_e64 v[52:53], v[50:51], -v[48:49]
	v_add_f64_e32 v[58:59], v[44:45], v[50:51]
	v_add_f64_e64 v[56:57], v[50:51], -v[52:53]
	v_add_f64_e64 v[12:13], v[12:13], -v[52:53]
	s_delay_alu instid0(VALU_DEP_3) | instskip(NEXT) | instid1(VALU_DEP_3)
	v_ldexp_f64 v[52:53], v[58:59], -2
	v_add_f64_e64 v[48:49], v[48:49], -v[56:57]
	v_add_f64_e32 v[56:57], v[60:61], v[42:43]
	s_delay_alu instid0(VALU_DEP_3) | instskip(NEXT) | instid1(VALU_DEP_3)
	v_cmp_neq_f64_e64 s3, 0x7ff00000, |v[52:53]|
	v_add_f64_e32 v[12:13], v[12:13], v[48:49]
	v_fract_f64_e32 v[48:49], v[52:53]
	s_delay_alu instid0(VALU_DEP_1) | instskip(NEXT) | instid1(VALU_DEP_1)
	v_ldexp_f64 v[48:49], v[48:49], 2
	v_cndmask_b32_e64 v49, 0, v49, s3
	v_add_f64_e64 v[44:45], v[58:59], -v[44:45]
	s_delay_alu instid0(VALU_DEP_3) | instskip(NEXT) | instid1(VALU_DEP_2)
	v_cndmask_b32_e64 v48, 0, v48, s3
	v_add_f64_e64 v[44:45], v[50:51], -v[44:45]
	v_add_f64_e32 v[50:51], v[56:57], v[12:13]
	s_delay_alu instid0(VALU_DEP_1) | instskip(SKIP_1) | instid1(VALU_DEP_2)
	v_add_f64_e32 v[52:53], v[44:45], v[50:51]
	v_add_f64_e64 v[62:63], v[50:51], -v[56:57]
	v_add_f64_e32 v[58:59], v[52:53], v[48:49]
	s_delay_alu instid0(VALU_DEP_2) | instskip(SKIP_2) | instid1(VALU_DEP_4)
	v_add_f64_e64 v[68:69], v[50:51], -v[62:63]
	v_add_f64_e64 v[12:13], v[12:13], -v[62:63]
	;; [unrolled: 1-line block ×3, first 2 shown]
	v_cmp_gt_f64_e64 s3, 0, v[58:59]
	v_add_f64_e64 v[58:59], v[56:57], -v[60:61]
	s_delay_alu instid0(VALU_DEP_3) | instskip(NEXT) | instid1(VALU_DEP_3)
	v_add_f64_e64 v[44:45], v[50:51], -v[44:45]
	v_cndmask_b32_e64 v27, 0, 0x40100000, s3
	s_delay_alu instid0(VALU_DEP_3) | instskip(SKIP_2) | instid1(VALU_DEP_4)
	v_add_f64_e64 v[66:67], v[56:57], -v[58:59]
	v_add_f64_e64 v[42:43], v[42:43], -v[58:59]
	;; [unrolled: 1-line block ×3, first 2 shown]
	v_add_f64_e32 v[48:49], v[48:49], v[26:27]
	s_delay_alu instid0(VALU_DEP_4) | instskip(NEXT) | instid1(VALU_DEP_3)
	v_add_f64_e64 v[58:59], v[60:61], -v[66:67]
	v_add_f64_e32 v[12:13], v[12:13], v[56:57]
	s_delay_alu instid0(VALU_DEP_3) | instskip(NEXT) | instid1(VALU_DEP_3)
	v_add_f64_e32 v[64:65], v[52:53], v[48:49]
	v_add_f64_e32 v[42:43], v[42:43], v[58:59]
	s_delay_alu instid0(VALU_DEP_2) | instskip(NEXT) | instid1(VALU_DEP_2)
	v_cvt_i32_f64_e32 v27, v[64:65]
	v_add_f64_e32 v[12:13], v[42:43], v[12:13]
	s_delay_alu instid0(VALU_DEP_2) | instskip(NEXT) | instid1(VALU_DEP_2)
	v_cvt_f64_i32_e32 v[62:63], v27
	v_add_f64_e32 v[10:11], v[10:11], v[12:13]
	s_delay_alu instid0(VALU_DEP_2) | instskip(NEXT) | instid1(VALU_DEP_2)
	v_add_f64_e64 v[48:49], v[48:49], -v[62:63]
	v_add_f64_e32 v[10:11], v[44:45], v[10:11]
	s_delay_alu instid0(VALU_DEP_2) | instskip(NEXT) | instid1(VALU_DEP_1)
	v_add_f64_e32 v[42:43], v[52:53], v[48:49]
	v_add_f64_e64 v[12:13], v[42:43], -v[48:49]
	v_cmp_le_f64_e64 s3, 0.5, v[42:43]
	s_delay_alu instid0(VALU_DEP_2) | instskip(NEXT) | instid1(VALU_DEP_2)
	v_add_f64_e64 v[12:13], v[52:53], -v[12:13]
	v_add_co_ci_u32_e64 v47, null, 0, v27, s3
	v_cndmask_b32_e64 v27, 0, 0x3ff00000, s3
	s_delay_alu instid0(VALU_DEP_3) | instskip(NEXT) | instid1(VALU_DEP_2)
	v_add_f64_e32 v[10:11], v[10:11], v[12:13]
	v_add_f64_e64 v[12:13], v[42:43], -v[26:27]
	s_delay_alu instid0(VALU_DEP_1) | instskip(NEXT) | instid1(VALU_DEP_1)
	v_add_f64_e32 v[42:43], v[12:13], v[10:11]
	v_mul_f64_e32 v[44:45], 0x3ff921fb54442d18, v[42:43]
	v_add_f64_e64 v[12:13], v[42:43], -v[12:13]
	s_delay_alu instid0(VALU_DEP_2) | instskip(NEXT) | instid1(VALU_DEP_2)
	v_fma_f64 v[48:49], v[42:43], s[14:15], -v[44:45]
	v_add_f64_e64 v[10:11], v[10:11], -v[12:13]
	s_delay_alu instid0(VALU_DEP_2) | instskip(NEXT) | instid1(VALU_DEP_1)
	v_fmac_f64_e32 v[48:49], 0x3c91a62633145c07, v[42:43]
	v_fmac_f64_e32 v[48:49], 0x3ff921fb54442d18, v[10:11]
	s_delay_alu instid0(VALU_DEP_1) | instskip(NEXT) | instid1(VALU_DEP_1)
	v_add_f64_e32 v[10:11], v[44:45], v[48:49]
	v_add_f64_e64 v[12:13], v[10:11], -v[44:45]
	s_delay_alu instid0(VALU_DEP_1)
	v_add_f64_e64 v[12:13], v[48:49], -v[12:13]
	s_and_not1_saveexec_b32 s3, s5
	s_cbranch_execz .LBB131_338
	s_branch .LBB131_337
.LBB131_331:                            ;   in Loop: Header=BB131_185 Depth=1
	s_and_not1_saveexec_b32 s5, s29
	s_cbranch_execz .LBB131_372
.LBB131_332:                            ;   in Loop: Header=BB131_185 Depth=1
	v_mul_f64_e32 v[10:11], 0x3ff71547652b82fe, v[2:3]
	v_cmp_nlt_f64_e64 s3, 0x40900000, v[2:3]
	v_cmp_ngt_f64_e64 s4, 0xc090cc00, v[2:3]
	s_delay_alu instid0(VALU_DEP_3) | instskip(NEXT) | instid1(VALU_DEP_1)
	v_rndne_f64_e32 v[10:11], v[10:11]
	v_fmamk_f64 v[12:13], v[10:11], 0xbfe62e42fefa39ef, v[2:3]
	v_cvt_i32_f64_e32 v27, v[10:11]
	s_delay_alu instid0(VALU_DEP_2) | instskip(NEXT) | instid1(VALU_DEP_1)
	v_fmac_f64_e32 v[12:13], 0xbc7abc9e3b39803f, v[10:11]
	v_fmamk_f64 v[42:43], v[12:13], 0x3e5ade156a5dcb37, v[28:29]
	s_delay_alu instid0(VALU_DEP_1) | instskip(NEXT) | instid1(VALU_DEP_1)
	v_fmaak_f64 v[42:43], v[12:13], v[42:43], 0x3ec71dee623fde64
	v_fmaak_f64 v[42:43], v[12:13], v[42:43], 0x3efa01997c89e6b0
	s_delay_alu instid0(VALU_DEP_1) | instskip(NEXT) | instid1(VALU_DEP_1)
	v_fmaak_f64 v[42:43], v[12:13], v[42:43], 0x3f2a01a014761f6e
	v_fmaak_f64 v[42:43], v[12:13], v[42:43], 0x3f56c16c1852b7b0
	;; [unrolled: 3-line block ×4, first 2 shown]
	s_delay_alu instid0(VALU_DEP_1) | instskip(NEXT) | instid1(VALU_DEP_1)
	v_fma_f64 v[42:43], v[12:13], v[42:43], 1.0
	v_fma_f64 v[10:11], v[12:13], v[42:43], 1.0
	v_mov_b64_e32 v[12:13], v[4:5]
	s_delay_alu instid0(VALU_DEP_2) | instskip(NEXT) | instid1(VALU_DEP_1)
	v_ldexp_f64 v[10:11], v[10:11], v27
	v_cndmask_b32_e64 v11, 0x7ff00000, v11, s3
	s_and_b32 s3, s4, s3
	s_delay_alu instid0(VALU_DEP_1) | instid1(SALU_CYCLE_1)
	v_dual_cndmask_b32 v10, 0, v10, s3 :: v_dual_cndmask_b32 v11, 0, v11, s4
	s_or_b32 exec_lo, exec_lo, s5
	s_and_saveexec_b32 s3, vcc_lo
	s_delay_alu instid0(SALU_CYCLE_1)
	s_xor_b32 s3, exec_lo, s3
	s_cbranch_execnz .LBB131_373
.LBB131_333:                            ;   in Loop: Header=BB131_185 Depth=1
	s_or_b32 exec_lo, exec_lo, s3
	s_and_saveexec_b32 s3, s0
	s_cbranch_execz .LBB131_374
.LBB131_334:                            ;   in Loop: Header=BB131_185 Depth=1
	v_lshl_add_u64 v[2:3], v[36:37], 4, s[10:11]
	global_store_b128 v[2:3], v[14:17], off
	s_wait_xcnt 0x0
	s_or_b32 exec_lo, exec_lo, s3
	s_and_saveexec_b32 s0, s1
	s_cbranch_execnz .LBB131_375
.LBB131_335:                            ;   in Loop: Header=BB131_185 Depth=1
	s_or_b32 exec_lo, exec_lo, s0
	s_and_saveexec_b32 s0, s2
	s_cbranch_execz .LBB131_184
	s_branch .LBB131_376
.LBB131_336:                            ;   in Loop: Header=BB131_185 Depth=1
	s_and_not1_saveexec_b32 s3, s5
	s_cbranch_execz .LBB131_338
.LBB131_337:                            ;   in Loop: Header=BB131_185 Depth=1
	v_mul_f64_e64 v[10:11], |v[4:5]|, s[16:17]
	s_delay_alu instid0(VALU_DEP_1) | instskip(NEXT) | instid1(VALU_DEP_1)
	v_rndne_f64_e32 v[42:43], v[10:11]
	v_fma_f64 v[10:11], v[42:43], s[22:23], |v[4:5]|
	v_mul_f64_e32 v[12:13], 0xbc91a62633145c00, v[42:43]
	v_cvt_i32_f64_e32 v47, v[42:43]
	s_delay_alu instid0(VALU_DEP_3) | instskip(NEXT) | instid1(VALU_DEP_3)
	v_fmamk_f64 v[50:51], v[42:43], 0xbc91a62633145c00, v[10:11]
	v_add_f64_e32 v[44:45], v[10:11], v[12:13]
	s_delay_alu instid0(VALU_DEP_1) | instskip(NEXT) | instid1(VALU_DEP_3)
	v_add_f64_e64 v[48:49], v[10:11], -v[44:45]
	v_add_f64_e64 v[10:11], v[44:45], -v[50:51]
	s_delay_alu instid0(VALU_DEP_2) | instskip(SKIP_1) | instid1(VALU_DEP_2)
	v_add_f64_e32 v[44:45], v[48:49], v[12:13]
	v_fmamk_f64 v[12:13], v[42:43], 0x3c91a62633145c00, v[12:13]
	v_add_f64_e32 v[10:11], v[10:11], v[44:45]
	s_delay_alu instid0(VALU_DEP_1) | instskip(NEXT) | instid1(VALU_DEP_1)
	v_add_f64_e64 v[12:13], v[10:11], -v[12:13]
	v_fmac_f64_e32 v[12:13], 0xb97b839a252049c0, v[42:43]
	s_delay_alu instid0(VALU_DEP_1) | instskip(NEXT) | instid1(VALU_DEP_1)
	v_add_f64_e32 v[10:11], v[50:51], v[12:13]
	v_add_f64_e64 v[44:45], v[10:11], -v[50:51]
	s_delay_alu instid0(VALU_DEP_1)
	v_add_f64_e64 v[12:13], v[12:13], -v[44:45]
.LBB131_338:                            ;   in Loop: Header=BB131_185 Depth=1
	s_or_b32 exec_lo, exec_lo, s3
                                        ; implicit-def: $vgpr48
                                        ; implicit-def: $vgpr42_vgpr43
                                        ; implicit-def: $vgpr44_vgpr45
	s_and_saveexec_b32 s3, s4
	s_delay_alu instid0(SALU_CYCLE_1)
	s_xor_b32 s4, exec_lo, s3
	s_cbranch_execz .LBB131_340
; %bb.339:                              ;   in Loop: Header=BB131_185 Depth=1
	v_ldexp_f64 v[42:43], |v[4:5]|, 0xffffff80
	v_cmp_le_f64_e64 s3, 0x7b000000, |v[4:5]|
	v_trig_preop_f64 v[44:45], |v[4:5]|, 0
	v_trig_preop_f64 v[48:49], |v[4:5]|, 1
	;; [unrolled: 1-line block ×3, first 2 shown]
	s_delay_alu instid0(VALU_DEP_4) | instskip(NEXT) | instid1(VALU_DEP_1)
	v_dual_cndmask_b32 v43, v46, v43, s3 :: v_dual_cndmask_b32 v42, v4, v42, s3
	v_mul_f64_e32 v[50:51], v[44:45], v[42:43]
	s_delay_alu instid0(VALU_DEP_4) | instskip(NEXT) | instid1(VALU_DEP_4)
	v_mul_f64_e32 v[52:53], v[48:49], v[42:43]
	v_mul_f64_e32 v[64:65], v[58:59], v[42:43]
	s_delay_alu instid0(VALU_DEP_3) | instskip(NEXT) | instid1(VALU_DEP_3)
	v_fma_f64 v[44:45], v[44:45], v[42:43], -v[50:51]
	v_fma_f64 v[48:49], v[48:49], v[42:43], -v[52:53]
	s_delay_alu instid0(VALU_DEP_3) | instskip(NEXT) | instid1(VALU_DEP_3)
	v_fma_f64 v[42:43], v[58:59], v[42:43], -v[64:65]
	v_add_f64_e32 v[54:55], v[52:53], v[44:45]
	s_delay_alu instid0(VALU_DEP_1) | instskip(SKIP_1) | instid1(VALU_DEP_2)
	v_add_f64_e64 v[56:57], v[54:55], -v[52:53]
	v_add_f64_e32 v[62:63], v[50:51], v[54:55]
	v_add_f64_e64 v[60:61], v[54:55], -v[56:57]
	v_add_f64_e64 v[44:45], v[44:45], -v[56:57]
	s_delay_alu instid0(VALU_DEP_3) | instskip(NEXT) | instid1(VALU_DEP_3)
	v_ldexp_f64 v[56:57], v[62:63], -2
	v_add_f64_e64 v[52:53], v[52:53], -v[60:61]
	v_add_f64_e32 v[60:61], v[64:65], v[48:49]
	s_delay_alu instid0(VALU_DEP_3) | instskip(NEXT) | instid1(VALU_DEP_3)
	v_cmp_neq_f64_e64 s3, 0x7ff00000, |v[56:57]|
	v_add_f64_e32 v[44:45], v[44:45], v[52:53]
	v_fract_f64_e32 v[52:53], v[56:57]
	s_delay_alu instid0(VALU_DEP_1) | instskip(NEXT) | instid1(VALU_DEP_1)
	v_ldexp_f64 v[52:53], v[52:53], 2
	v_dual_add_f64 v[50:51], v[62:63], -v[50:51] :: v_dual_cndmask_b32 v53, 0, v53, s3
	s_delay_alu instid0(VALU_DEP_1) | instskip(SKIP_1) | instid1(VALU_DEP_1)
	v_dual_add_f64 v[50:51], v[54:55], -v[50:51] :: v_dual_cndmask_b32 v52, 0, v52, s3
	v_add_f64_e32 v[54:55], v[60:61], v[44:45]
	v_add_f64_e32 v[56:57], v[50:51], v[54:55]
	v_add_f64_e64 v[66:67], v[54:55], -v[60:61]
	s_delay_alu instid0(VALU_DEP_2) | instskip(NEXT) | instid1(VALU_DEP_2)
	v_add_f64_e32 v[62:63], v[56:57], v[52:53]
	v_add_f64_e64 v[72:73], v[54:55], -v[66:67]
	v_add_f64_e64 v[44:45], v[44:45], -v[66:67]
	;; [unrolled: 1-line block ×3, first 2 shown]
	s_delay_alu instid0(VALU_DEP_4) | instskip(SKIP_1) | instid1(VALU_DEP_2)
	v_cmp_gt_f64_e64 s3, 0, v[62:63]
	v_add_f64_e64 v[62:63], v[60:61], -v[64:65]
	v_cndmask_b32_e64 v27, 0, 0x40100000, s3
	s_delay_alu instid0(VALU_DEP_2) | instskip(SKIP_2) | instid1(VALU_DEP_4)
	v_add_f64_e64 v[70:71], v[60:61], -v[62:63]
	v_add_f64_e64 v[48:49], v[48:49], -v[62:63]
	;; [unrolled: 1-line block ×3, first 2 shown]
	v_add_f64_e32 v[52:53], v[52:53], v[26:27]
	s_delay_alu instid0(VALU_DEP_4) | instskip(NEXT) | instid1(VALU_DEP_3)
	v_add_f64_e64 v[62:63], v[64:65], -v[70:71]
	v_add_f64_e32 v[44:45], v[44:45], v[60:61]
	s_delay_alu instid0(VALU_DEP_3) | instskip(NEXT) | instid1(VALU_DEP_3)
	v_add_f64_e32 v[68:69], v[56:57], v[52:53]
	v_add_f64_e32 v[48:49], v[48:49], v[62:63]
	s_delay_alu instid0(VALU_DEP_2) | instskip(NEXT) | instid1(VALU_DEP_2)
	v_cvt_i32_f64_e32 v27, v[68:69]
	v_add_f64_e32 v[44:45], v[48:49], v[44:45]
	v_add_f64_e64 v[48:49], v[54:55], -v[50:51]
	s_delay_alu instid0(VALU_DEP_3) | instskip(NEXT) | instid1(VALU_DEP_3)
	v_cvt_f64_i32_e32 v[66:67], v27
	v_add_f64_e32 v[42:43], v[42:43], v[44:45]
	s_delay_alu instid0(VALU_DEP_2) | instskip(NEXT) | instid1(VALU_DEP_2)
	v_add_f64_e64 v[52:53], v[52:53], -v[66:67]
	v_add_f64_e32 v[42:43], v[48:49], v[42:43]
	s_delay_alu instid0(VALU_DEP_2) | instskip(NEXT) | instid1(VALU_DEP_1)
	v_add_f64_e32 v[58:59], v[56:57], v[52:53]
	v_add_f64_e64 v[44:45], v[58:59], -v[52:53]
	v_cmp_le_f64_e64 s3, 0.5, v[58:59]
	s_delay_alu instid0(VALU_DEP_2) | instskip(NEXT) | instid1(VALU_DEP_2)
	v_add_f64_e64 v[44:45], v[56:57], -v[44:45]
	v_add_co_ci_u32_e64 v48, null, 0, v27, s3
	v_cndmask_b32_e64 v27, 0, 0x3ff00000, s3
	s_delay_alu instid0(VALU_DEP_3) | instskip(NEXT) | instid1(VALU_DEP_2)
	v_add_f64_e32 v[42:43], v[42:43], v[44:45]
	v_add_f64_e64 v[44:45], v[58:59], -v[26:27]
	s_delay_alu instid0(VALU_DEP_1) | instskip(NEXT) | instid1(VALU_DEP_1)
	v_add_f64_e32 v[50:51], v[44:45], v[42:43]
	v_mul_f64_e32 v[52:53], 0x3ff921fb54442d18, v[50:51]
	v_add_f64_e64 v[44:45], v[50:51], -v[44:45]
	s_delay_alu instid0(VALU_DEP_2) | instskip(NEXT) | instid1(VALU_DEP_2)
	v_fma_f64 v[54:55], v[50:51], s[14:15], -v[52:53]
	v_add_f64_e64 v[42:43], v[42:43], -v[44:45]
	s_delay_alu instid0(VALU_DEP_2) | instskip(NEXT) | instid1(VALU_DEP_1)
	v_fmac_f64_e32 v[54:55], 0x3c91a62633145c07, v[50:51]
	v_fmac_f64_e32 v[54:55], 0x3ff921fb54442d18, v[42:43]
	s_delay_alu instid0(VALU_DEP_1) | instskip(NEXT) | instid1(VALU_DEP_1)
	v_add_f64_e32 v[42:43], v[52:53], v[54:55]
	v_add_f64_e64 v[44:45], v[42:43], -v[52:53]
	s_delay_alu instid0(VALU_DEP_1)
	v_add_f64_e64 v[44:45], v[54:55], -v[44:45]
	s_and_not1_saveexec_b32 s3, s4
	s_cbranch_execnz .LBB131_341
	s_branch .LBB131_342
.LBB131_340:                            ;   in Loop: Header=BB131_185 Depth=1
	s_and_not1_saveexec_b32 s3, s4
	s_cbranch_execz .LBB131_342
.LBB131_341:                            ;   in Loop: Header=BB131_185 Depth=1
	v_mul_f64_e64 v[42:43], |v[4:5]|, s[16:17]
	s_delay_alu instid0(VALU_DEP_1) | instskip(NEXT) | instid1(VALU_DEP_1)
	v_rndne_f64_e32 v[48:49], v[42:43]
	v_fma_f64 v[42:43], v[48:49], s[22:23], |v[4:5]|
	v_mul_f64_e32 v[44:45], 0xbc91a62633145c00, v[48:49]
	s_delay_alu instid0(VALU_DEP_2) | instskip(NEXT) | instid1(VALU_DEP_2)
	v_fmamk_f64 v[54:55], v[48:49], 0xbc91a62633145c00, v[42:43]
	v_add_f64_e32 v[50:51], v[42:43], v[44:45]
	s_delay_alu instid0(VALU_DEP_1) | instskip(NEXT) | instid1(VALU_DEP_3)
	v_add_f64_e64 v[52:53], v[42:43], -v[50:51]
	v_add_f64_e64 v[42:43], v[50:51], -v[54:55]
	s_delay_alu instid0(VALU_DEP_2) | instskip(SKIP_1) | instid1(VALU_DEP_2)
	v_add_f64_e32 v[50:51], v[52:53], v[44:45]
	v_fmamk_f64 v[44:45], v[48:49], 0x3c91a62633145c00, v[44:45]
	v_add_f64_e32 v[42:43], v[42:43], v[50:51]
	s_delay_alu instid0(VALU_DEP_1) | instskip(NEXT) | instid1(VALU_DEP_1)
	v_add_f64_e64 v[44:45], v[42:43], -v[44:45]
	v_fmac_f64_e32 v[44:45], 0xb97b839a252049c0, v[48:49]
	v_cvt_i32_f64_e32 v48, v[48:49]
	s_delay_alu instid0(VALU_DEP_2) | instskip(NEXT) | instid1(VALU_DEP_1)
	v_add_f64_e32 v[42:43], v[54:55], v[44:45]
	v_add_f64_e64 v[50:51], v[42:43], -v[54:55]
	s_delay_alu instid0(VALU_DEP_1)
	v_add_f64_e64 v[44:45], v[44:45], -v[50:51]
.LBB131_342:                            ;   in Loop: Header=BB131_185 Depth=1
	s_or_b32 exec_lo, exec_lo, s3
	v_mul_f64_e32 v[50:51], 0x3ff71547652b82fe, v[2:3]
	v_mul_f64_e32 v[52:53], v[10:11], v[10:11]
	v_cmp_nlt_f64_e64 s5, 0x40900000, v[2:3]
	v_cmp_ngt_f64_e64 s6, 0xc090cc00, v[2:3]
	v_mul_f64_e32 v[66:67], 0.5, v[12:13]
	v_cmp_class_f64_e64 s4, v[4:5], 0x1f8
	v_mul_f64_e32 v[54:55], v[42:43], v[42:43]
                                        ; implicit-def: $vgpr46
	v_rndne_f64_e32 v[50:51], v[50:51]
	s_delay_alu instid0(VALU_DEP_1) | instskip(SKIP_4) | instid1(VALU_DEP_4)
	v_fmamk_f64 v[60:61], v[50:51], 0xbfe62e42fefa39ef, v[2:3]
	v_and_b32_e32 v2, 1, v48
	v_mul_f64_e32 v[56:57], 0.5, v[52:53]
	v_fmamk_f64 v[72:73], v[52:53], 0x3de5e0b2f9a43bb8, v[32:33]
	v_cvt_i32_f64_e32 v27, v[50:51]
	v_cmp_eq_u32_e64 s7, 0, v2
	v_fmac_f64_e32 v[60:61], 0xbc7abc9e3b39803f, v[50:51]
	v_dual_mul_f64 v[68:69], v[10:11], -v[52:53] :: v_dual_lshlrev_b32 v2, 30, v47
	v_fmaak_f64 v[72:73], v[52:53], v[72:73], 0x3ec71de3796cde01
	v_mul_f64_e32 v[76:77], 0.5, v[44:45]
	s_delay_alu instid0(VALU_DEP_2) | instskip(NEXT) | instid1(VALU_DEP_1)
	v_fmaak_f64 v[72:73], v[52:53], v[72:73], 0xbf2a01a019e83e5c
	v_fmaak_f64 v[72:73], v[52:53], v[72:73], 0x3f81111111110bb3
	v_add_f64_e64 v[62:63], -v[56:57], 1.0
	v_fmamk_f64 v[74:75], v[60:61], 0x3e5ade156a5dcb37, v[28:29]
	s_delay_alu instid0(VALU_DEP_3) | instskip(NEXT) | instid1(VALU_DEP_2)
	v_fmac_f64_e32 v[66:67], v[68:69], v[72:73]
	v_fmaak_f64 v[74:75], v[60:61], v[74:75], 0x3ec71dee623fde64
	s_delay_alu instid0(VALU_DEP_1) | instskip(NEXT) | instid1(VALU_DEP_1)
	v_fmaak_f64 v[74:75], v[60:61], v[74:75], 0x3efa01997c89e6b0
	v_fmaak_f64 v[74:75], v[60:61], v[74:75], 0x3f2a01a014761f6e
	v_add_f64_e64 v[70:71], -v[62:63], 1.0
	v_fma_f64 v[66:67], v[52:53], v[66:67], -v[12:13]
	s_delay_alu instid0(VALU_DEP_2) | instskip(NEXT) | instid1(VALU_DEP_4)
	v_add_f64_e64 v[56:57], v[70:71], -v[56:57]
	v_fmaak_f64 v[70:71], v[60:61], v[74:75], 0x3f56c16c1852b7b0
	v_mul_f64_e32 v[74:75], v[52:53], v[52:53]
	s_delay_alu instid0(VALU_DEP_4) | instskip(NEXT) | instid1(VALU_DEP_3)
	v_fmac_f64_e32 v[66:67], 0xbfc5555555555555, v[68:69]
	v_fmaak_f64 v[70:71], v[60:61], v[70:71], 0x3f81111111122322
	s_delay_alu instid0(VALU_DEP_1) | instskip(NEXT) | instid1(VALU_DEP_1)
	v_fmaak_f64 v[70:71], v[60:61], v[70:71], 0x3fa55555555502a1
	v_fmaak_f64 v[70:71], v[60:61], v[70:71], 0x3fc5555555555511
	s_delay_alu instid0(VALU_DEP_1) | instskip(NEXT) | instid1(VALU_DEP_1)
	v_fmaak_f64 v[70:71], v[60:61], v[70:71], 0x3fe000000000000b
	v_fma_f64 v[70:71], v[60:61], v[70:71], 1.0
	s_delay_alu instid0(VALU_DEP_1) | instskip(NEXT) | instid1(VALU_DEP_1)
	v_fma_f64 v[50:51], v[60:61], v[70:71], 1.0
	v_ldexp_f64 v[50:51], v[50:51], v27
	v_fma_f64 v[12:13], v[10:11], -v[12:13], v[56:57]
	v_add_f64_e64 v[10:11], v[10:11], -v[66:67]
	v_and_b32_e32 v27, 1, v47
	s_delay_alu instid0(VALU_DEP_1) | instskip(SKIP_1) | instid1(VALU_DEP_4)
	v_cmp_eq_u32_e64 s3, 0, v27
	v_cndmask_b32_e64 v4, 0x7ff00000, v51, s5
	v_xor_b32_e32 v3, 0x80000000, v11
	v_dual_mul_f64 v[78:79], v[42:43], -v[54:55] :: v_dual_lshlrev_b32 v11, 30, v48
	v_fmamk_f64 v[82:83], v[54:55], 0x3de5e0b2f9a43bb8, v[32:33]
	s_delay_alu instid0(VALU_DEP_2) | instskip(NEXT) | instid1(VALU_DEP_2)
	v_xor_b32_e32 v5, v11, v5
	v_fmaak_f64 v[72:73], v[54:55], v[82:83], 0x3ec71de3796cde01
	s_delay_alu instid0(VALU_DEP_1) | instskip(NEXT) | instid1(VALU_DEP_1)
	v_fmaak_f64 v[72:73], v[54:55], v[72:73], 0xbf2a01a019e83e5c
	v_fmaak_f64 v[72:73], v[54:55], v[72:73], 0x3f81111111110bb3
	s_delay_alu instid0(VALU_DEP_1) | instskip(SKIP_1) | instid1(VALU_DEP_1)
	v_fmac_f64_e32 v[76:77], v[78:79], v[72:73]
	v_fmamk_f64 v[72:73], v[52:53], 0xbda907db46cc5e42, v[30:31]
	v_fmaak_f64 v[56:57], v[52:53], v[72:73], 0xbe927e4fa17f65f6
	v_mul_f64_e32 v[72:73], v[54:55], v[54:55]
	s_delay_alu instid0(VALU_DEP_2) | instskip(NEXT) | instid1(VALU_DEP_1)
	v_fmaak_f64 v[56:57], v[52:53], v[56:57], 0x3efa01a019f4ec90
	v_fmaak_f64 v[56:57], v[52:53], v[56:57], 0xbf56c16c16c16967
	s_delay_alu instid0(VALU_DEP_1) | instskip(SKIP_1) | instid1(VALU_DEP_2)
	v_fmaak_f64 v[52:53], v[52:53], v[56:57], 0x3fa5555555555555
	v_fma_f64 v[56:57], v[54:55], v[76:77], -v[44:45]
	v_fmac_f64_e32 v[12:13], v[74:75], v[52:53]
	s_delay_alu instid0(VALU_DEP_2) | instskip(NEXT) | instid1(VALU_DEP_2)
	v_fmac_f64_e32 v[56:57], 0xbfc5555555555555, v[78:79]
	v_add_f64_e32 v[12:13], v[62:63], v[12:13]
	s_delay_alu instid0(VALU_DEP_1) | instskip(NEXT) | instid1(VALU_DEP_1)
	v_dual_mul_f64 v[58:59], 0.5, v[54:55] :: v_dual_cndmask_b32 v10, v10, v12, s3
	v_add_f64_e64 v[64:65], -v[58:59], 1.0
	s_delay_alu instid0(VALU_DEP_3) | instskip(SKIP_1) | instid1(VALU_DEP_1)
	v_cndmask_b32_e64 v3, v3, v13, s3
	s_and_b32 s3, s6, s5
	v_bitop3_b32 v3, v3, v2, 0x80000000 bitop3:0x78
	v_cndmask_b32_e64 v2, 0, v10, s4
	s_delay_alu instid0(VALU_DEP_2) | instskip(SKIP_1) | instid1(VALU_DEP_1)
	v_cndmask_b32_e64 v3, 0x7ff80000, v3, s4
	v_add_f64_e64 v[80:81], -v[64:65], 1.0
	v_add_f64_e64 v[58:59], v[80:81], -v[58:59]
	v_fmamk_f64 v[80:81], v[54:55], 0xbda907db46cc5e42, v[30:31]
	s_delay_alu instid0(VALU_DEP_2) | instskip(NEXT) | instid1(VALU_DEP_2)
	v_fma_f64 v[44:45], v[42:43], -v[44:45], v[58:59]
	v_fmaak_f64 v[58:59], v[54:55], v[80:81], 0xbe927e4fa17f65f6
	v_add_f64_e64 v[42:43], v[42:43], -v[56:57]
	s_delay_alu instid0(VALU_DEP_2) | instskip(NEXT) | instid1(VALU_DEP_1)
	v_fmaak_f64 v[52:53], v[54:55], v[58:59], 0x3efa01a019f4ec90
	v_fmaak_f64 v[52:53], v[54:55], v[52:53], 0xbf56c16c16c16967
	s_delay_alu instid0(VALU_DEP_1) | instskip(NEXT) | instid1(VALU_DEP_1)
	v_fmaak_f64 v[52:53], v[54:55], v[52:53], 0x3fa5555555555555
	v_fmac_f64_e32 v[44:45], v[72:73], v[52:53]
	s_delay_alu instid0(VALU_DEP_1) | instskip(NEXT) | instid1(VALU_DEP_1)
	v_add_f64_e32 v[44:45], v[64:65], v[44:45]
	v_dual_cndmask_b32 v12, v45, v43, s7 :: v_dual_cndmask_b32 v11, v44, v42, s7
	s_delay_alu instid0(VALU_DEP_1) | instskip(NEXT) | instid1(VALU_DEP_2)
	v_bitop3_b32 v10, v12, v5, 0x80000000 bitop3:0x78
	v_dual_cndmask_b32 v5, 0, v4, s6 :: v_dual_cndmask_b32 v12, 0, v11, s4
	v_cndmask_b32_e64 v4, 0, v50, s3
	s_delay_alu instid0(VALU_DEP_3) | instskip(NEXT) | instid1(VALU_DEP_2)
	v_cndmask_b32_e64 v13, 0x7ff80000, v10, s4
	v_mul_f64_e32 v[10:11], v[4:5], v[2:3]
	s_delay_alu instid0(VALU_DEP_2)
	v_mul_f64_e32 v[12:13], v[4:5], v[12:13]
                                        ; implicit-def: $vgpr4_vgpr5
.LBB131_343:                            ;   in Loop: Header=BB131_185 Depth=1
	s_and_not1_saveexec_b32 s33, s33
	s_cbranch_execz .LBB131_353
; %bb.344:                              ;   in Loop: Header=BB131_185 Depth=1
	v_cmp_ngt_f64_e64 s4, 0x41d00000, |v[4:5]|
                                        ; implicit-def: $vgpr47
                                        ; implicit-def: $vgpr10_vgpr11
                                        ; implicit-def: $vgpr12_vgpr13
	s_and_saveexec_b32 s3, s4
	s_delay_alu instid0(SALU_CYCLE_1)
	s_xor_b32 s5, exec_lo, s3
	s_cbranch_execz .LBB131_346
; %bb.345:                              ;   in Loop: Header=BB131_185 Depth=1
	v_ldexp_f64 v[10:11], |v[4:5]|, 0xffffff80
	v_cmp_le_f64_e64 s3, 0x7b000000, |v[4:5]|
	v_trig_preop_f64 v[12:13], |v[4:5]|, 0
	v_trig_preop_f64 v[42:43], |v[4:5]|, 1
	;; [unrolled: 1-line block ×3, first 2 shown]
	s_delay_alu instid0(VALU_DEP_4) | instskip(NEXT) | instid1(VALU_DEP_1)
	v_dual_cndmask_b32 v11, v46, v11, s3 :: v_dual_cndmask_b32 v10, v4, v10, s3
	v_mul_f64_e32 v[44:45], v[12:13], v[10:11]
	s_delay_alu instid0(VALU_DEP_4) | instskip(NEXT) | instid1(VALU_DEP_4)
	v_mul_f64_e32 v[48:49], v[42:43], v[10:11]
	v_mul_f64_e32 v[60:61], v[54:55], v[10:11]
	s_delay_alu instid0(VALU_DEP_3) | instskip(NEXT) | instid1(VALU_DEP_3)
	v_fma_f64 v[12:13], v[12:13], v[10:11], -v[44:45]
	v_fma_f64 v[42:43], v[42:43], v[10:11], -v[48:49]
	s_delay_alu instid0(VALU_DEP_3) | instskip(NEXT) | instid1(VALU_DEP_3)
	v_fma_f64 v[10:11], v[54:55], v[10:11], -v[60:61]
	v_add_f64_e32 v[50:51], v[48:49], v[12:13]
	s_delay_alu instid0(VALU_DEP_1) | instskip(SKIP_1) | instid1(VALU_DEP_2)
	v_add_f64_e64 v[52:53], v[50:51], -v[48:49]
	v_add_f64_e32 v[58:59], v[44:45], v[50:51]
	v_add_f64_e64 v[56:57], v[50:51], -v[52:53]
	v_add_f64_e64 v[12:13], v[12:13], -v[52:53]
	s_delay_alu instid0(VALU_DEP_3) | instskip(NEXT) | instid1(VALU_DEP_3)
	v_ldexp_f64 v[52:53], v[58:59], -2
	v_add_f64_e64 v[48:49], v[48:49], -v[56:57]
	v_add_f64_e32 v[56:57], v[60:61], v[42:43]
	s_delay_alu instid0(VALU_DEP_3) | instskip(NEXT) | instid1(VALU_DEP_3)
	v_cmp_neq_f64_e64 s3, 0x7ff00000, |v[52:53]|
	v_add_f64_e32 v[12:13], v[12:13], v[48:49]
	v_fract_f64_e32 v[48:49], v[52:53]
	s_delay_alu instid0(VALU_DEP_1) | instskip(NEXT) | instid1(VALU_DEP_1)
	v_ldexp_f64 v[48:49], v[48:49], 2
	v_cndmask_b32_e64 v49, 0, v49, s3
	v_add_f64_e64 v[44:45], v[58:59], -v[44:45]
	s_delay_alu instid0(VALU_DEP_3) | instskip(NEXT) | instid1(VALU_DEP_2)
	v_cndmask_b32_e64 v48, 0, v48, s3
	v_add_f64_e64 v[44:45], v[50:51], -v[44:45]
	v_add_f64_e32 v[50:51], v[56:57], v[12:13]
	s_delay_alu instid0(VALU_DEP_1) | instskip(SKIP_1) | instid1(VALU_DEP_2)
	v_add_f64_e32 v[52:53], v[44:45], v[50:51]
	v_add_f64_e64 v[62:63], v[50:51], -v[56:57]
	v_add_f64_e32 v[58:59], v[52:53], v[48:49]
	s_delay_alu instid0(VALU_DEP_2) | instskip(SKIP_2) | instid1(VALU_DEP_4)
	v_add_f64_e64 v[68:69], v[50:51], -v[62:63]
	v_add_f64_e64 v[12:13], v[12:13], -v[62:63]
	;; [unrolled: 1-line block ×3, first 2 shown]
	v_cmp_gt_f64_e64 s3, 0, v[58:59]
	v_add_f64_e64 v[58:59], v[56:57], -v[60:61]
	s_delay_alu instid0(VALU_DEP_3) | instskip(NEXT) | instid1(VALU_DEP_3)
	v_add_f64_e64 v[44:45], v[50:51], -v[44:45]
	v_cndmask_b32_e64 v27, 0, 0x40100000, s3
	s_delay_alu instid0(VALU_DEP_3) | instskip(SKIP_2) | instid1(VALU_DEP_4)
	v_add_f64_e64 v[66:67], v[56:57], -v[58:59]
	v_add_f64_e64 v[42:43], v[42:43], -v[58:59]
	;; [unrolled: 1-line block ×3, first 2 shown]
	v_add_f64_e32 v[48:49], v[48:49], v[26:27]
	s_delay_alu instid0(VALU_DEP_4) | instskip(NEXT) | instid1(VALU_DEP_3)
	v_add_f64_e64 v[58:59], v[60:61], -v[66:67]
	v_add_f64_e32 v[12:13], v[12:13], v[56:57]
	s_delay_alu instid0(VALU_DEP_3) | instskip(NEXT) | instid1(VALU_DEP_3)
	v_add_f64_e32 v[64:65], v[52:53], v[48:49]
	v_add_f64_e32 v[42:43], v[42:43], v[58:59]
	s_delay_alu instid0(VALU_DEP_2) | instskip(NEXT) | instid1(VALU_DEP_2)
	v_cvt_i32_f64_e32 v27, v[64:65]
	v_add_f64_e32 v[12:13], v[42:43], v[12:13]
	s_delay_alu instid0(VALU_DEP_2) | instskip(NEXT) | instid1(VALU_DEP_2)
	v_cvt_f64_i32_e32 v[62:63], v27
	v_add_f64_e32 v[10:11], v[10:11], v[12:13]
	s_delay_alu instid0(VALU_DEP_2) | instskip(NEXT) | instid1(VALU_DEP_2)
	v_add_f64_e64 v[48:49], v[48:49], -v[62:63]
	v_add_f64_e32 v[10:11], v[44:45], v[10:11]
	s_delay_alu instid0(VALU_DEP_2) | instskip(NEXT) | instid1(VALU_DEP_1)
	v_add_f64_e32 v[42:43], v[52:53], v[48:49]
	v_add_f64_e64 v[12:13], v[42:43], -v[48:49]
	v_cmp_le_f64_e64 s3, 0.5, v[42:43]
	s_delay_alu instid0(VALU_DEP_2) | instskip(NEXT) | instid1(VALU_DEP_2)
	v_add_f64_e64 v[12:13], v[52:53], -v[12:13]
	v_add_co_ci_u32_e64 v47, null, 0, v27, s3
	v_cndmask_b32_e64 v27, 0, 0x3ff00000, s3
	s_delay_alu instid0(VALU_DEP_3) | instskip(NEXT) | instid1(VALU_DEP_2)
	v_add_f64_e32 v[10:11], v[10:11], v[12:13]
	v_add_f64_e64 v[12:13], v[42:43], -v[26:27]
	s_delay_alu instid0(VALU_DEP_1) | instskip(NEXT) | instid1(VALU_DEP_1)
	v_add_f64_e32 v[42:43], v[12:13], v[10:11]
	v_mul_f64_e32 v[44:45], 0x3ff921fb54442d18, v[42:43]
	v_add_f64_e64 v[12:13], v[42:43], -v[12:13]
	s_delay_alu instid0(VALU_DEP_2) | instskip(NEXT) | instid1(VALU_DEP_2)
	v_fma_f64 v[48:49], v[42:43], s[14:15], -v[44:45]
	v_add_f64_e64 v[10:11], v[10:11], -v[12:13]
	s_delay_alu instid0(VALU_DEP_2) | instskip(NEXT) | instid1(VALU_DEP_1)
	v_fmac_f64_e32 v[48:49], 0x3c91a62633145c07, v[42:43]
	v_fmac_f64_e32 v[48:49], 0x3ff921fb54442d18, v[10:11]
	s_delay_alu instid0(VALU_DEP_1) | instskip(NEXT) | instid1(VALU_DEP_1)
	v_add_f64_e32 v[10:11], v[44:45], v[48:49]
	v_add_f64_e64 v[12:13], v[10:11], -v[44:45]
	s_delay_alu instid0(VALU_DEP_1)
	v_add_f64_e64 v[12:13], v[48:49], -v[12:13]
	s_and_not1_saveexec_b32 s3, s5
	s_cbranch_execz .LBB131_348
	s_branch .LBB131_347
.LBB131_346:                            ;   in Loop: Header=BB131_185 Depth=1
	s_and_not1_saveexec_b32 s3, s5
	s_cbranch_execz .LBB131_348
.LBB131_347:                            ;   in Loop: Header=BB131_185 Depth=1
	v_mul_f64_e64 v[10:11], |v[4:5]|, s[16:17]
	s_delay_alu instid0(VALU_DEP_1) | instskip(NEXT) | instid1(VALU_DEP_1)
	v_rndne_f64_e32 v[42:43], v[10:11]
	v_fma_f64 v[10:11], v[42:43], s[22:23], |v[4:5]|
	v_mul_f64_e32 v[12:13], 0xbc91a62633145c00, v[42:43]
	v_cvt_i32_f64_e32 v47, v[42:43]
	s_delay_alu instid0(VALU_DEP_3) | instskip(NEXT) | instid1(VALU_DEP_3)
	v_fmamk_f64 v[50:51], v[42:43], 0xbc91a62633145c00, v[10:11]
	v_add_f64_e32 v[44:45], v[10:11], v[12:13]
	s_delay_alu instid0(VALU_DEP_1) | instskip(NEXT) | instid1(VALU_DEP_3)
	v_add_f64_e64 v[48:49], v[10:11], -v[44:45]
	v_add_f64_e64 v[10:11], v[44:45], -v[50:51]
	s_delay_alu instid0(VALU_DEP_2) | instskip(SKIP_1) | instid1(VALU_DEP_2)
	v_add_f64_e32 v[44:45], v[48:49], v[12:13]
	v_fmamk_f64 v[12:13], v[42:43], 0x3c91a62633145c00, v[12:13]
	v_add_f64_e32 v[10:11], v[10:11], v[44:45]
	s_delay_alu instid0(VALU_DEP_1) | instskip(NEXT) | instid1(VALU_DEP_1)
	v_add_f64_e64 v[12:13], v[10:11], -v[12:13]
	v_fmac_f64_e32 v[12:13], 0xb97b839a252049c0, v[42:43]
	s_delay_alu instid0(VALU_DEP_1) | instskip(NEXT) | instid1(VALU_DEP_1)
	v_add_f64_e32 v[10:11], v[50:51], v[12:13]
	v_add_f64_e64 v[44:45], v[10:11], -v[50:51]
	s_delay_alu instid0(VALU_DEP_1)
	v_add_f64_e64 v[12:13], v[12:13], -v[44:45]
.LBB131_348:                            ;   in Loop: Header=BB131_185 Depth=1
	s_or_b32 exec_lo, exec_lo, s3
                                        ; implicit-def: $vgpr48
                                        ; implicit-def: $vgpr42_vgpr43
                                        ; implicit-def: $vgpr44_vgpr45
	s_and_saveexec_b32 s3, s4
	s_delay_alu instid0(SALU_CYCLE_1)
	s_xor_b32 s4, exec_lo, s3
	s_cbranch_execz .LBB131_350
; %bb.349:                              ;   in Loop: Header=BB131_185 Depth=1
	v_ldexp_f64 v[42:43], |v[4:5]|, 0xffffff80
	v_cmp_le_f64_e64 s3, 0x7b000000, |v[4:5]|
	v_trig_preop_f64 v[44:45], |v[4:5]|, 0
	v_trig_preop_f64 v[48:49], |v[4:5]|, 1
	;; [unrolled: 1-line block ×3, first 2 shown]
	s_delay_alu instid0(VALU_DEP_4) | instskip(NEXT) | instid1(VALU_DEP_1)
	v_dual_cndmask_b32 v43, v46, v43, s3 :: v_dual_cndmask_b32 v42, v4, v42, s3
	v_mul_f64_e32 v[50:51], v[44:45], v[42:43]
	s_delay_alu instid0(VALU_DEP_4) | instskip(NEXT) | instid1(VALU_DEP_4)
	v_mul_f64_e32 v[52:53], v[48:49], v[42:43]
	v_mul_f64_e32 v[64:65], v[58:59], v[42:43]
	s_delay_alu instid0(VALU_DEP_3) | instskip(NEXT) | instid1(VALU_DEP_3)
	v_fma_f64 v[44:45], v[44:45], v[42:43], -v[50:51]
	v_fma_f64 v[48:49], v[48:49], v[42:43], -v[52:53]
	s_delay_alu instid0(VALU_DEP_3) | instskip(NEXT) | instid1(VALU_DEP_3)
	v_fma_f64 v[42:43], v[58:59], v[42:43], -v[64:65]
	v_add_f64_e32 v[54:55], v[52:53], v[44:45]
	s_delay_alu instid0(VALU_DEP_1) | instskip(SKIP_1) | instid1(VALU_DEP_2)
	v_add_f64_e64 v[56:57], v[54:55], -v[52:53]
	v_add_f64_e32 v[62:63], v[50:51], v[54:55]
	v_add_f64_e64 v[60:61], v[54:55], -v[56:57]
	v_add_f64_e64 v[44:45], v[44:45], -v[56:57]
	s_delay_alu instid0(VALU_DEP_3) | instskip(NEXT) | instid1(VALU_DEP_3)
	v_ldexp_f64 v[56:57], v[62:63], -2
	v_add_f64_e64 v[52:53], v[52:53], -v[60:61]
	v_add_f64_e32 v[60:61], v[64:65], v[48:49]
	s_delay_alu instid0(VALU_DEP_3) | instskip(NEXT) | instid1(VALU_DEP_3)
	v_cmp_neq_f64_e64 s3, 0x7ff00000, |v[56:57]|
	v_add_f64_e32 v[44:45], v[44:45], v[52:53]
	v_fract_f64_e32 v[52:53], v[56:57]
	s_delay_alu instid0(VALU_DEP_1) | instskip(NEXT) | instid1(VALU_DEP_1)
	v_ldexp_f64 v[52:53], v[52:53], 2
	v_dual_add_f64 v[50:51], v[62:63], -v[50:51] :: v_dual_cndmask_b32 v53, 0, v53, s3
	s_delay_alu instid0(VALU_DEP_1) | instskip(SKIP_1) | instid1(VALU_DEP_1)
	v_dual_add_f64 v[50:51], v[54:55], -v[50:51] :: v_dual_cndmask_b32 v52, 0, v52, s3
	v_add_f64_e32 v[54:55], v[60:61], v[44:45]
	v_add_f64_e32 v[56:57], v[50:51], v[54:55]
	v_add_f64_e64 v[66:67], v[54:55], -v[60:61]
	s_delay_alu instid0(VALU_DEP_2) | instskip(NEXT) | instid1(VALU_DEP_2)
	v_add_f64_e32 v[62:63], v[56:57], v[52:53]
	v_add_f64_e64 v[72:73], v[54:55], -v[66:67]
	v_add_f64_e64 v[44:45], v[44:45], -v[66:67]
	;; [unrolled: 1-line block ×3, first 2 shown]
	s_delay_alu instid0(VALU_DEP_4) | instskip(SKIP_1) | instid1(VALU_DEP_2)
	v_cmp_gt_f64_e64 s3, 0, v[62:63]
	v_add_f64_e64 v[62:63], v[60:61], -v[64:65]
	v_cndmask_b32_e64 v27, 0, 0x40100000, s3
	s_delay_alu instid0(VALU_DEP_2) | instskip(SKIP_2) | instid1(VALU_DEP_4)
	v_add_f64_e64 v[70:71], v[60:61], -v[62:63]
	v_add_f64_e64 v[48:49], v[48:49], -v[62:63]
	v_add_f64_e64 v[60:61], v[60:61], -v[72:73]
	v_add_f64_e32 v[52:53], v[52:53], v[26:27]
	s_delay_alu instid0(VALU_DEP_4) | instskip(NEXT) | instid1(VALU_DEP_3)
	v_add_f64_e64 v[62:63], v[64:65], -v[70:71]
	v_add_f64_e32 v[44:45], v[44:45], v[60:61]
	s_delay_alu instid0(VALU_DEP_3) | instskip(NEXT) | instid1(VALU_DEP_3)
	v_add_f64_e32 v[68:69], v[56:57], v[52:53]
	v_add_f64_e32 v[48:49], v[48:49], v[62:63]
	s_delay_alu instid0(VALU_DEP_2) | instskip(NEXT) | instid1(VALU_DEP_2)
	v_cvt_i32_f64_e32 v27, v[68:69]
	v_add_f64_e32 v[44:45], v[48:49], v[44:45]
	v_add_f64_e64 v[48:49], v[54:55], -v[50:51]
	s_delay_alu instid0(VALU_DEP_3) | instskip(NEXT) | instid1(VALU_DEP_3)
	v_cvt_f64_i32_e32 v[66:67], v27
	v_add_f64_e32 v[42:43], v[42:43], v[44:45]
	s_delay_alu instid0(VALU_DEP_2) | instskip(NEXT) | instid1(VALU_DEP_2)
	v_add_f64_e64 v[52:53], v[52:53], -v[66:67]
	v_add_f64_e32 v[42:43], v[48:49], v[42:43]
	s_delay_alu instid0(VALU_DEP_2) | instskip(NEXT) | instid1(VALU_DEP_1)
	v_add_f64_e32 v[58:59], v[56:57], v[52:53]
	v_add_f64_e64 v[44:45], v[58:59], -v[52:53]
	v_cmp_le_f64_e64 s3, 0.5, v[58:59]
	s_delay_alu instid0(VALU_DEP_2) | instskip(NEXT) | instid1(VALU_DEP_2)
	v_add_f64_e64 v[44:45], v[56:57], -v[44:45]
	v_add_co_ci_u32_e64 v48, null, 0, v27, s3
	v_cndmask_b32_e64 v27, 0, 0x3ff00000, s3
	s_delay_alu instid0(VALU_DEP_3) | instskip(NEXT) | instid1(VALU_DEP_2)
	v_add_f64_e32 v[42:43], v[42:43], v[44:45]
	v_add_f64_e64 v[44:45], v[58:59], -v[26:27]
	s_delay_alu instid0(VALU_DEP_1) | instskip(NEXT) | instid1(VALU_DEP_1)
	v_add_f64_e32 v[50:51], v[44:45], v[42:43]
	v_mul_f64_e32 v[52:53], 0x3ff921fb54442d18, v[50:51]
	v_add_f64_e64 v[44:45], v[50:51], -v[44:45]
	s_delay_alu instid0(VALU_DEP_2) | instskip(NEXT) | instid1(VALU_DEP_2)
	v_fma_f64 v[54:55], v[50:51], s[14:15], -v[52:53]
	v_add_f64_e64 v[42:43], v[42:43], -v[44:45]
	s_delay_alu instid0(VALU_DEP_2) | instskip(NEXT) | instid1(VALU_DEP_1)
	v_fmac_f64_e32 v[54:55], 0x3c91a62633145c07, v[50:51]
	v_fmac_f64_e32 v[54:55], 0x3ff921fb54442d18, v[42:43]
	s_delay_alu instid0(VALU_DEP_1) | instskip(NEXT) | instid1(VALU_DEP_1)
	v_add_f64_e32 v[42:43], v[52:53], v[54:55]
	v_add_f64_e64 v[44:45], v[42:43], -v[52:53]
	s_delay_alu instid0(VALU_DEP_1)
	v_add_f64_e64 v[44:45], v[54:55], -v[44:45]
	s_and_not1_saveexec_b32 s3, s4
	s_cbranch_execnz .LBB131_351
	s_branch .LBB131_352
.LBB131_350:                            ;   in Loop: Header=BB131_185 Depth=1
	s_and_not1_saveexec_b32 s3, s4
	s_cbranch_execz .LBB131_352
.LBB131_351:                            ;   in Loop: Header=BB131_185 Depth=1
	v_mul_f64_e64 v[42:43], |v[4:5]|, s[16:17]
	s_delay_alu instid0(VALU_DEP_1) | instskip(NEXT) | instid1(VALU_DEP_1)
	v_rndne_f64_e32 v[48:49], v[42:43]
	v_fma_f64 v[42:43], v[48:49], s[22:23], |v[4:5]|
	v_mul_f64_e32 v[44:45], 0xbc91a62633145c00, v[48:49]
	s_delay_alu instid0(VALU_DEP_2) | instskip(NEXT) | instid1(VALU_DEP_2)
	v_fmamk_f64 v[54:55], v[48:49], 0xbc91a62633145c00, v[42:43]
	v_add_f64_e32 v[50:51], v[42:43], v[44:45]
	s_delay_alu instid0(VALU_DEP_1) | instskip(NEXT) | instid1(VALU_DEP_3)
	v_add_f64_e64 v[52:53], v[42:43], -v[50:51]
	v_add_f64_e64 v[42:43], v[50:51], -v[54:55]
	s_delay_alu instid0(VALU_DEP_2) | instskip(SKIP_1) | instid1(VALU_DEP_2)
	v_add_f64_e32 v[50:51], v[52:53], v[44:45]
	v_fmamk_f64 v[44:45], v[48:49], 0x3c91a62633145c00, v[44:45]
	v_add_f64_e32 v[42:43], v[42:43], v[50:51]
	s_delay_alu instid0(VALU_DEP_1) | instskip(NEXT) | instid1(VALU_DEP_1)
	v_add_f64_e64 v[44:45], v[42:43], -v[44:45]
	v_fmac_f64_e32 v[44:45], 0xb97b839a252049c0, v[48:49]
	v_cvt_i32_f64_e32 v48, v[48:49]
	s_delay_alu instid0(VALU_DEP_2) | instskip(NEXT) | instid1(VALU_DEP_1)
	v_add_f64_e32 v[42:43], v[54:55], v[44:45]
	v_add_f64_e64 v[50:51], v[42:43], -v[54:55]
	s_delay_alu instid0(VALU_DEP_1)
	v_add_f64_e64 v[44:45], v[44:45], -v[50:51]
.LBB131_352:                            ;   in Loop: Header=BB131_185 Depth=1
	s_or_b32 exec_lo, exec_lo, s3
	v_add_f64_e32 v[2:3], 0xc0937be319ba0da4, v[2:3]
	v_mul_f64_e32 v[52:53], v[10:11], v[10:11]
	s_delay_alu instid0(VALU_DEP_3)
	v_mul_f64_e32 v[66:67], 0.5, v[12:13]
	v_cmp_class_f64_e64 s4, v[4:5], 0x1f8
	v_mul_f64_e32 v[54:55], v[42:43], v[42:43]
	v_mul_f64_e32 v[50:51], 0x3ff71547652b82fe, v[2:3]
	v_cmp_nlt_f64_e64 s5, 0x40900000, v[2:3]
	v_cmp_ngt_f64_e64 s6, 0xc090cc00, v[2:3]
	s_delay_alu instid0(VALU_DEP_3) | instskip(NEXT) | instid1(VALU_DEP_1)
	v_rndne_f64_e32 v[50:51], v[50:51]
	v_fmamk_f64 v[60:61], v[50:51], 0xbfe62e42fefa39ef, v[2:3]
	v_and_b32_e32 v2, 1, v48
	v_mul_f64_e32 v[56:57], 0.5, v[52:53]
	v_fmamk_f64 v[72:73], v[52:53], 0x3de5e0b2f9a43bb8, v[32:33]
	v_cvt_i32_f64_e32 v27, v[50:51]
	s_delay_alu instid0(VALU_DEP_4) | instskip(SKIP_4) | instid1(VALU_DEP_1)
	v_cmp_eq_u32_e64 s7, 0, v2
	v_fmac_f64_e32 v[60:61], 0xbc7abc9e3b39803f, v[50:51]
	v_mul_f64_e64 v[68:69], v[10:11], -v[52:53]
	v_mul_f64_e32 v[76:77], 0.5, v[44:45]
	v_fmaak_f64 v[72:73], v[52:53], v[72:73], 0x3ec71de3796cde01
	v_fmaak_f64 v[72:73], v[52:53], v[72:73], 0xbf2a01a019e83e5c
	s_delay_alu instid0(VALU_DEP_1) | instskip(SKIP_2) | instid1(VALU_DEP_3)
	v_fmaak_f64 v[72:73], v[52:53], v[72:73], 0x3f81111111110bb3
	v_add_f64_e64 v[62:63], -v[56:57], 1.0
	v_fmamk_f64 v[74:75], v[60:61], 0x3e5ade156a5dcb37, v[28:29]
	v_fmac_f64_e32 v[66:67], v[68:69], v[72:73]
	s_delay_alu instid0(VALU_DEP_2) | instskip(NEXT) | instid1(VALU_DEP_1)
	v_fmaak_f64 v[74:75], v[60:61], v[74:75], 0x3ec71dee623fde64
	v_fmaak_f64 v[74:75], v[60:61], v[74:75], 0x3efa01997c89e6b0
	s_delay_alu instid0(VALU_DEP_1) | instskip(SKIP_2) | instid1(VALU_DEP_2)
	v_fmaak_f64 v[74:75], v[60:61], v[74:75], 0x3f2a01a014761f6e
	v_add_f64_e64 v[70:71], -v[62:63], 1.0
	v_fma_f64 v[66:67], v[52:53], v[66:67], -v[12:13]
	v_add_f64_e64 v[56:57], v[70:71], -v[56:57]
	s_delay_alu instid0(VALU_DEP_4) | instskip(NEXT) | instid1(VALU_DEP_3)
	v_fmaak_f64 v[70:71], v[60:61], v[74:75], 0x3f56c16c1852b7b0
	v_fmac_f64_e32 v[66:67], 0xbfc5555555555555, v[68:69]
	s_delay_alu instid0(VALU_DEP_2) | instskip(NEXT) | instid1(VALU_DEP_1)
	v_fmaak_f64 v[70:71], v[60:61], v[70:71], 0x3f81111111122322
	v_fmaak_f64 v[70:71], v[60:61], v[70:71], 0x3fa55555555502a1
	s_delay_alu instid0(VALU_DEP_1) | instskip(NEXT) | instid1(VALU_DEP_1)
	v_fmaak_f64 v[70:71], v[60:61], v[70:71], 0x3fc5555555555511
	v_fmaak_f64 v[70:71], v[60:61], v[70:71], 0x3fe000000000000b
	v_fma_f64 v[12:13], v[10:11], -v[12:13], v[56:57]
	s_delay_alu instid0(VALU_DEP_2) | instskip(SKIP_1) | instid1(VALU_DEP_2)
	v_fma_f64 v[70:71], v[60:61], v[70:71], 1.0
	v_add_f64_e64 v[10:11], v[10:11], -v[66:67]
	v_fma_f64 v[50:51], v[60:61], v[70:71], 1.0
	s_delay_alu instid0(VALU_DEP_2) | instskip(SKIP_2) | instid1(VALU_DEP_1)
	v_xor_b32_e32 v3, 0x80000000, v11
	v_lshlrev_b32_e32 v11, 30, v48
	v_fmamk_f64 v[82:83], v[54:55], 0x3de5e0b2f9a43bb8, v[32:33]
	v_fmaak_f64 v[72:73], v[54:55], v[82:83], 0x3ec71de3796cde01
	s_delay_alu instid0(VALU_DEP_1) | instskip(NEXT) | instid1(VALU_DEP_1)
	v_fmaak_f64 v[72:73], v[54:55], v[72:73], 0xbf2a01a019e83e5c
	v_fmaak_f64 v[72:73], v[54:55], v[72:73], 0x3f81111111110bb3
	v_ldexp_f64 v[50:51], v[50:51], v27
	v_dual_mul_f64 v[74:75], v[52:53], v[52:53] :: v_dual_bitop2_b32 v27, 1, v47 bitop3:0x40
	s_delay_alu instid0(VALU_DEP_1) | instskip(NEXT) | instid1(VALU_DEP_3)
	v_cmp_eq_u32_e64 s3, 0, v27
	v_cndmask_b32_e64 v4, 0x7ff00000, v51, s5
	v_mul_f64_e64 v[78:79], v[42:43], -v[54:55]
	s_delay_alu instid0(VALU_DEP_1) | instskip(SKIP_1) | instid1(VALU_DEP_1)
	v_fmac_f64_e32 v[76:77], v[78:79], v[72:73]
	v_fmamk_f64 v[72:73], v[52:53], 0xbda907db46cc5e42, v[30:31]
	v_fmaak_f64 v[56:57], v[52:53], v[72:73], 0xbe927e4fa17f65f6
	v_mul_f64_e32 v[72:73], v[54:55], v[54:55]
	s_delay_alu instid0(VALU_DEP_2) | instskip(NEXT) | instid1(VALU_DEP_1)
	v_fmaak_f64 v[56:57], v[52:53], v[56:57], 0x3efa01a019f4ec90
	v_fmaak_f64 v[56:57], v[52:53], v[56:57], 0xbf56c16c16c16967
	s_delay_alu instid0(VALU_DEP_1) | instskip(SKIP_1) | instid1(VALU_DEP_2)
	v_fmaak_f64 v[52:53], v[52:53], v[56:57], 0x3fa5555555555555
	v_fma_f64 v[56:57], v[54:55], v[76:77], -v[44:45]
	v_fmac_f64_e32 v[12:13], v[74:75], v[52:53]
	s_delay_alu instid0(VALU_DEP_1) | instskip(NEXT) | instid1(VALU_DEP_1)
	v_add_f64_e32 v[12:13], v[62:63], v[12:13]
	v_dual_mul_f64 v[58:59], 0.5, v[54:55] :: v_dual_cndmask_b32 v10, v10, v12, s3
	s_delay_alu instid0(VALU_DEP_1) | instskip(NEXT) | instid1(VALU_DEP_3)
	v_add_f64_e64 v[64:65], -v[58:59], 1.0
	v_dual_lshlrev_b32 v12, 30, v47 :: v_dual_cndmask_b32 v2, v3, v13, s3
	v_cndmask_b32_e64 v13, 0, v4, s6
	v_fmac_f64_e32 v[56:57], 0xbfc5555555555555, v[78:79]
	v_xor_b32_e32 v3, v11, v5
	s_and_b32 s3, s6, s5
	v_bitop3_b32 v12, v2, v12, 0x80000000 bitop3:0x78
	v_cndmask_b32_e64 v2, 0, v10, s4
	v_cndmask_b32_e64 v10, 0, v50, s3
	v_add_f64_e64 v[80:81], -v[64:65], 1.0
	s_delay_alu instid0(VALU_DEP_1) | instskip(SKIP_1) | instid1(VALU_DEP_2)
	v_add_f64_e64 v[58:59], v[80:81], -v[58:59]
	v_fmamk_f64 v[80:81], v[54:55], 0xbda907db46cc5e42, v[30:31]
	v_fma_f64 v[44:45], v[42:43], -v[44:45], v[58:59]
	s_delay_alu instid0(VALU_DEP_2) | instskip(SKIP_1) | instid1(VALU_DEP_2)
	v_fmaak_f64 v[58:59], v[54:55], v[80:81], 0xbe927e4fa17f65f6
	v_add_f64_e64 v[42:43], v[42:43], -v[56:57]
	v_fmaak_f64 v[52:53], v[54:55], v[58:59], 0x3efa01a019f4ec90
	s_delay_alu instid0(VALU_DEP_1) | instskip(NEXT) | instid1(VALU_DEP_1)
	v_fmaak_f64 v[52:53], v[54:55], v[52:53], 0xbf56c16c16c16967
	v_fmaak_f64 v[52:53], v[54:55], v[52:53], 0x3fa5555555555555
	s_delay_alu instid0(VALU_DEP_1) | instskip(NEXT) | instid1(VALU_DEP_1)
	v_fmac_f64_e32 v[44:45], v[72:73], v[52:53]
	v_add_f64_e32 v[44:45], v[64:65], v[44:45]
	s_delay_alu instid0(VALU_DEP_1) | instskip(NEXT) | instid1(VALU_DEP_1)
	v_dual_cndmask_b32 v11, v45, v43, s7 :: v_dual_cndmask_b32 v5, v44, v42, s7
	v_bitop3_b32 v27, v11, v3, 0x80000000 bitop3:0x78
	v_cndmask_b32_e64 v3, 0x7ff80000, v12, s4
	s_delay_alu instid0(VALU_DEP_3) | instskip(SKIP_3) | instid1(VALU_DEP_3)
	v_cndmask_b32_e64 v4, 0, v5, s4
	v_and_or_b32 v11, v13, s28, 0x7fe00000
	v_lshrrev_b32_e32 v12, 20, v13
	v_cndmask_b32_e64 v5, 0x7ff80000, v27, s4
	v_mul_f64_e32 v[2:3], v[10:11], v[2:3]
	s_delay_alu instid0(VALU_DEP_2) | instskip(NEXT) | instid1(VALU_DEP_4)
	v_mul_f64_e32 v[4:5], v[10:11], v[4:5]
	v_add_nc_u32_e32 v10, 0xffffff09, v12
	v_mov_b32_e32 v12, v26
	s_delay_alu instid0(VALU_DEP_2) | instskip(NEXT) | instid1(VALU_DEP_1)
	v_lshrrev_b16 v11, 15, v10
	v_add_nc_u16 v11, v10, v11
	s_delay_alu instid0(VALU_DEP_1) | instskip(NEXT) | instid1(VALU_DEP_1)
	v_ashrrev_i16 v11, 1, v11
	v_bfe_i32 v11, v11, 0, 16
	s_delay_alu instid0(VALU_DEP_1) | instskip(SKIP_1) | instid1(VALU_DEP_2)
	v_lshl_add_u32 v27, v11, 20, 0x3ff00000
	v_sub_nc_u32_e32 v10, v10, v11
	v_mul_f64_e32 v[2:3], v[2:3], v[26:27]
	v_mul_f64_e32 v[4:5], v[4:5], v[26:27]
	s_delay_alu instid0(VALU_DEP_3) | instskip(NEXT) | instid1(VALU_DEP_1)
	v_lshl_add_u32 v13, v10, 20, 0x3ff00000
	v_mul_f64_e32 v[10:11], v[2:3], v[12:13]
	s_delay_alu instid0(VALU_DEP_3)
	v_mul_f64_e32 v[12:13], v[4:5], v[12:13]
.LBB131_353:                            ;   in Loop: Header=BB131_185 Depth=1
	s_or_b32 exec_lo, exec_lo, s33
                                        ; implicit-def: $vgpr2_vgpr3
                                        ; implicit-def: $vgpr27
.LBB131_354:                            ;   in Loop: Header=BB131_185 Depth=1
	s_and_not1_saveexec_b32 s5, s31
	s_cbranch_execz .LBB131_360
; %bb.355:                              ;   in Loop: Header=BB131_185 Depth=1
	v_cmp_ne_u32_e64 s3, 0, v2
	v_cmp_ne_u32_e64 s4, 0x7ff00000, v27
                                        ; implicit-def: $vgpr12_vgpr13
	s_or_b32 s3, s3, s4
	s_delay_alu instid0(SALU_CYCLE_1) | instskip(NEXT) | instid1(SALU_CYCLE_1)
	s_and_saveexec_b32 s4, s3
	s_xor_b32 s3, exec_lo, s4
; %bb.356:                              ;   in Loop: Header=BB131_185 Depth=1
	v_add_f64_e64 v[12:13], v[4:5], -v[4:5]
                                        ; implicit-def: $vgpr2_vgpr3
; %bb.357:                              ;   in Loop: Header=BB131_185 Depth=1
	s_or_saveexec_b32 s4, s3
	s_delay_alu instid0(VALU_DEP_1)
	v_mov_b64_e32 v[10:11], v[12:13]
	s_xor_b32 exec_lo, exec_lo, s4
	s_cbranch_execz .LBB131_359
; %bb.358:                              ;   in Loop: Header=BB131_185 Depth=1
	v_cmp_lt_i64_e64 s3, -1, v[2:3]
	s_delay_alu instid0(VALU_DEP_1) | instskip(NEXT) | instid1(VALU_DEP_1)
	v_dual_add_f64 v[4:5], v[4:5], -v[4:5] :: v_dual_cndmask_b32 v11, 0, v3, s3
	v_dual_cndmask_b32 v10, 0, v2, s3 :: v_dual_cndmask_b32 v13, 0, v5, s3
	s_delay_alu instid0(VALU_DEP_2)
	v_cndmask_b32_e64 v12, 0, v4, s3
.LBB131_359:                            ;   in Loop: Header=BB131_185 Depth=1
	s_or_b32 exec_lo, exec_lo, s4
.LBB131_360:                            ;   in Loop: Header=BB131_185 Depth=1
	s_delay_alu instid0(SALU_CYCLE_1)
	s_or_b32 exec_lo, exec_lo, s5
                                        ; implicit-def: $vgpr4_vgpr5
                                        ; implicit-def: $vgpr46
.LBB131_361:                            ;   in Loop: Header=BB131_185 Depth=1
	s_and_not1_saveexec_b32 s6, s30
	s_cbranch_execz .LBB131_371
; %bb.362:                              ;   in Loop: Header=BB131_185 Depth=1
	v_cmp_ngt_f64_e64 s4, 0x41d00000, |v[4:5]|
                                        ; implicit-def: $vgpr44
                                        ; implicit-def: $vgpr2_vgpr3
                                        ; implicit-def: $vgpr10_vgpr11
	s_and_saveexec_b32 s3, s4
	s_delay_alu instid0(SALU_CYCLE_1)
	s_xor_b32 s5, exec_lo, s3
	s_cbranch_execz .LBB131_364
; %bb.363:                              ;   in Loop: Header=BB131_185 Depth=1
	v_ldexp_f64 v[2:3], |v[4:5]|, 0xffffff80
	v_cmp_le_f64_e64 s3, 0x7b000000, |v[4:5]|
	v_trig_preop_f64 v[10:11], |v[4:5]|, 0
	v_trig_preop_f64 v[12:13], |v[4:5]|, 1
	;; [unrolled: 1-line block ×3, first 2 shown]
	s_delay_alu instid0(VALU_DEP_4) | instskip(NEXT) | instid1(VALU_DEP_1)
	v_dual_cndmask_b32 v3, v46, v3, s3 :: v_dual_cndmask_b32 v2, v4, v2, s3
	v_mul_f64_e32 v[42:43], v[10:11], v[2:3]
	s_delay_alu instid0(VALU_DEP_4) | instskip(NEXT) | instid1(VALU_DEP_4)
	v_mul_f64_e32 v[44:45], v[12:13], v[2:3]
	v_mul_f64_e32 v[58:59], v[52:53], v[2:3]
	s_delay_alu instid0(VALU_DEP_3) | instskip(NEXT) | instid1(VALU_DEP_3)
	v_fma_f64 v[10:11], v[10:11], v[2:3], -v[42:43]
	v_fma_f64 v[12:13], v[12:13], v[2:3], -v[44:45]
	s_delay_alu instid0(VALU_DEP_3) | instskip(NEXT) | instid1(VALU_DEP_3)
	v_fma_f64 v[2:3], v[52:53], v[2:3], -v[58:59]
	v_add_f64_e32 v[48:49], v[44:45], v[10:11]
	s_delay_alu instid0(VALU_DEP_1) | instskip(SKIP_1) | instid1(VALU_DEP_2)
	v_add_f64_e64 v[50:51], v[48:49], -v[44:45]
	v_add_f64_e32 v[56:57], v[42:43], v[48:49]
	v_add_f64_e64 v[54:55], v[48:49], -v[50:51]
	v_add_f64_e64 v[10:11], v[10:11], -v[50:51]
	s_delay_alu instid0(VALU_DEP_3) | instskip(NEXT) | instid1(VALU_DEP_3)
	v_ldexp_f64 v[50:51], v[56:57], -2
	v_add_f64_e64 v[44:45], v[44:45], -v[54:55]
	v_add_f64_e32 v[54:55], v[58:59], v[12:13]
	s_delay_alu instid0(VALU_DEP_3) | instskip(NEXT) | instid1(VALU_DEP_3)
	v_cmp_neq_f64_e64 s3, 0x7ff00000, |v[50:51]|
	v_add_f64_e32 v[10:11], v[10:11], v[44:45]
	v_fract_f64_e32 v[44:45], v[50:51]
	s_delay_alu instid0(VALU_DEP_1) | instskip(NEXT) | instid1(VALU_DEP_1)
	v_ldexp_f64 v[44:45], v[44:45], 2
	v_dual_add_f64 v[42:43], v[56:57], -v[42:43] :: v_dual_cndmask_b32 v45, 0, v45, s3
	s_delay_alu instid0(VALU_DEP_1) | instskip(SKIP_1) | instid1(VALU_DEP_1)
	v_dual_add_f64 v[42:43], v[48:49], -v[42:43] :: v_dual_cndmask_b32 v44, 0, v44, s3
	v_add_f64_e32 v[48:49], v[54:55], v[10:11]
	v_add_f64_e32 v[50:51], v[42:43], v[48:49]
	v_add_f64_e64 v[60:61], v[48:49], -v[54:55]
	s_delay_alu instid0(VALU_DEP_2) | instskip(NEXT) | instid1(VALU_DEP_2)
	v_add_f64_e32 v[56:57], v[50:51], v[44:45]
	v_add_f64_e64 v[66:67], v[48:49], -v[60:61]
	v_add_f64_e64 v[10:11], v[10:11], -v[60:61]
	;; [unrolled: 1-line block ×3, first 2 shown]
	s_delay_alu instid0(VALU_DEP_4) | instskip(SKIP_1) | instid1(VALU_DEP_3)
	v_cmp_gt_f64_e64 s3, 0, v[56:57]
	v_add_f64_e64 v[56:57], v[54:55], -v[58:59]
	v_add_f64_e64 v[42:43], v[48:49], -v[42:43]
	s_delay_alu instid0(VALU_DEP_3) | instskip(NEXT) | instid1(VALU_DEP_3)
	v_cndmask_b32_e64 v27, 0, 0x40100000, s3
	v_add_f64_e64 v[64:65], v[54:55], -v[56:57]
	v_add_f64_e64 v[12:13], v[12:13], -v[56:57]
	;; [unrolled: 1-line block ×3, first 2 shown]
	s_delay_alu instid0(VALU_DEP_4) | instskip(NEXT) | instid1(VALU_DEP_4)
	v_add_f64_e32 v[44:45], v[44:45], v[26:27]
	v_add_f64_e64 v[56:57], v[58:59], -v[64:65]
	s_delay_alu instid0(VALU_DEP_3) | instskip(NEXT) | instid1(VALU_DEP_3)
	v_add_f64_e32 v[10:11], v[10:11], v[54:55]
	v_add_f64_e32 v[62:63], v[50:51], v[44:45]
	s_delay_alu instid0(VALU_DEP_3) | instskip(NEXT) | instid1(VALU_DEP_2)
	v_add_f64_e32 v[12:13], v[12:13], v[56:57]
	v_cvt_i32_f64_e32 v27, v[62:63]
	s_delay_alu instid0(VALU_DEP_2) | instskip(NEXT) | instid1(VALU_DEP_2)
	v_add_f64_e32 v[10:11], v[12:13], v[10:11]
	v_cvt_f64_i32_e32 v[60:61], v27
	s_delay_alu instid0(VALU_DEP_2) | instskip(NEXT) | instid1(VALU_DEP_2)
	v_add_f64_e32 v[2:3], v[2:3], v[10:11]
	v_add_f64_e64 v[44:45], v[44:45], -v[60:61]
	s_delay_alu instid0(VALU_DEP_2) | instskip(NEXT) | instid1(VALU_DEP_2)
	v_add_f64_e32 v[2:3], v[42:43], v[2:3]
	v_add_f64_e32 v[12:13], v[50:51], v[44:45]
	s_delay_alu instid0(VALU_DEP_1) | instskip(SKIP_1) | instid1(VALU_DEP_2)
	v_add_f64_e64 v[10:11], v[12:13], -v[44:45]
	v_cmp_le_f64_e64 s3, 0.5, v[12:13]
	v_add_f64_e64 v[10:11], v[50:51], -v[10:11]
	s_delay_alu instid0(VALU_DEP_2) | instskip(SKIP_1) | instid1(VALU_DEP_3)
	v_add_co_ci_u32_e64 v44, null, 0, v27, s3
	v_cndmask_b32_e64 v27, 0, 0x3ff00000, s3
	v_add_f64_e32 v[2:3], v[2:3], v[10:11]
	s_delay_alu instid0(VALU_DEP_2) | instskip(NEXT) | instid1(VALU_DEP_1)
	v_add_f64_e64 v[10:11], v[12:13], -v[26:27]
	v_add_f64_e32 v[12:13], v[10:11], v[2:3]
	s_delay_alu instid0(VALU_DEP_1) | instskip(SKIP_1) | instid1(VALU_DEP_2)
	v_mul_f64_e32 v[42:43], 0x3ff921fb54442d18, v[12:13]
	v_add_f64_e64 v[10:11], v[12:13], -v[10:11]
	v_fma_f64 v[48:49], v[12:13], s[14:15], -v[42:43]
	s_delay_alu instid0(VALU_DEP_2) | instskip(NEXT) | instid1(VALU_DEP_2)
	v_add_f64_e64 v[2:3], v[2:3], -v[10:11]
	v_fmac_f64_e32 v[48:49], 0x3c91a62633145c07, v[12:13]
	s_delay_alu instid0(VALU_DEP_1) | instskip(NEXT) | instid1(VALU_DEP_1)
	v_fmac_f64_e32 v[48:49], 0x3ff921fb54442d18, v[2:3]
	v_add_f64_e32 v[2:3], v[42:43], v[48:49]
	s_delay_alu instid0(VALU_DEP_1) | instskip(NEXT) | instid1(VALU_DEP_1)
	v_add_f64_e64 v[10:11], v[2:3], -v[42:43]
	v_add_f64_e64 v[10:11], v[48:49], -v[10:11]
	s_and_not1_saveexec_b32 s3, s5
	s_cbranch_execz .LBB131_366
	s_branch .LBB131_365
.LBB131_364:                            ;   in Loop: Header=BB131_185 Depth=1
	s_and_not1_saveexec_b32 s3, s5
	s_cbranch_execz .LBB131_366
.LBB131_365:                            ;   in Loop: Header=BB131_185 Depth=1
	v_mul_f64_e64 v[2:3], |v[4:5]|, s[16:17]
	s_delay_alu instid0(VALU_DEP_1) | instskip(NEXT) | instid1(VALU_DEP_1)
	v_rndne_f64_e32 v[12:13], v[2:3]
	v_fma_f64 v[2:3], v[12:13], s[22:23], |v[4:5]|
	v_mul_f64_e32 v[10:11], 0xbc91a62633145c00, v[12:13]
	s_delay_alu instid0(VALU_DEP_2) | instskip(NEXT) | instid1(VALU_DEP_2)
	v_fmamk_f64 v[48:49], v[12:13], 0xbc91a62633145c00, v[2:3]
	v_add_f64_e32 v[42:43], v[2:3], v[10:11]
	s_delay_alu instid0(VALU_DEP_1) | instskip(NEXT) | instid1(VALU_DEP_3)
	v_add_f64_e64 v[44:45], v[2:3], -v[42:43]
	v_add_f64_e64 v[2:3], v[42:43], -v[48:49]
	s_delay_alu instid0(VALU_DEP_2) | instskip(SKIP_2) | instid1(VALU_DEP_3)
	v_add_f64_e32 v[42:43], v[44:45], v[10:11]
	v_fmamk_f64 v[10:11], v[12:13], 0x3c91a62633145c00, v[10:11]
	v_cvt_i32_f64_e32 v44, v[12:13]
	v_add_f64_e32 v[2:3], v[2:3], v[42:43]
	s_delay_alu instid0(VALU_DEP_1) | instskip(NEXT) | instid1(VALU_DEP_1)
	v_add_f64_e64 v[10:11], v[2:3], -v[10:11]
	v_fmac_f64_e32 v[10:11], 0xb97b839a252049c0, v[12:13]
	s_delay_alu instid0(VALU_DEP_1) | instskip(NEXT) | instid1(VALU_DEP_1)
	v_add_f64_e32 v[2:3], v[48:49], v[10:11]
	v_add_f64_e64 v[42:43], v[2:3], -v[48:49]
	s_delay_alu instid0(VALU_DEP_1)
	v_add_f64_e64 v[10:11], v[10:11], -v[42:43]
.LBB131_366:                            ;   in Loop: Header=BB131_185 Depth=1
	s_or_b32 exec_lo, exec_lo, s3
                                        ; implicit-def: $vgpr45
                                        ; implicit-def: $vgpr12_vgpr13
                                        ; implicit-def: $vgpr42_vgpr43
	s_and_saveexec_b32 s3, s4
	s_delay_alu instid0(SALU_CYCLE_1)
	s_xor_b32 s4, exec_lo, s3
	s_cbranch_execz .LBB131_368
; %bb.367:                              ;   in Loop: Header=BB131_185 Depth=1
	v_ldexp_f64 v[12:13], |v[4:5]|, 0xffffff80
	v_cmp_le_f64_e64 s3, 0x7b000000, |v[4:5]|
	v_trig_preop_f64 v[42:43], |v[4:5]|, 0
	v_trig_preop_f64 v[56:57], |v[4:5]|, 2
	s_delay_alu instid0(VALU_DEP_3) | instskip(SKIP_1) | instid1(VALU_DEP_2)
	v_dual_cndmask_b32 v13, v46, v13, s3 :: v_dual_cndmask_b32 v12, v4, v12, s3
	v_trig_preop_f64 v[46:47], |v[4:5]|, 1
	v_mul_f64_e32 v[48:49], v[42:43], v[12:13]
	s_delay_alu instid0(VALU_DEP_4) | instskip(NEXT) | instid1(VALU_DEP_3)
	v_mul_f64_e32 v[62:63], v[56:57], v[12:13]
	v_mul_f64_e32 v[50:51], v[46:47], v[12:13]
	s_delay_alu instid0(VALU_DEP_3) | instskip(NEXT) | instid1(VALU_DEP_2)
	v_fma_f64 v[42:43], v[42:43], v[12:13], -v[48:49]
	v_fma_f64 v[46:47], v[46:47], v[12:13], -v[50:51]
	s_delay_alu instid0(VALU_DEP_4) | instskip(NEXT) | instid1(VALU_DEP_3)
	v_fma_f64 v[12:13], v[56:57], v[12:13], -v[62:63]
	v_add_f64_e32 v[52:53], v[50:51], v[42:43]
	s_delay_alu instid0(VALU_DEP_1) | instskip(SKIP_1) | instid1(VALU_DEP_2)
	v_add_f64_e64 v[54:55], v[52:53], -v[50:51]
	v_add_f64_e32 v[60:61], v[48:49], v[52:53]
	v_add_f64_e64 v[58:59], v[52:53], -v[54:55]
	v_add_f64_e64 v[42:43], v[42:43], -v[54:55]
	s_delay_alu instid0(VALU_DEP_3) | instskip(NEXT) | instid1(VALU_DEP_3)
	v_ldexp_f64 v[54:55], v[60:61], -2
	v_add_f64_e64 v[50:51], v[50:51], -v[58:59]
	v_add_f64_e32 v[58:59], v[62:63], v[46:47]
	s_delay_alu instid0(VALU_DEP_3) | instskip(NEXT) | instid1(VALU_DEP_3)
	v_cmp_neq_f64_e64 s3, 0x7ff00000, |v[54:55]|
	v_add_f64_e32 v[42:43], v[42:43], v[50:51]
	v_fract_f64_e32 v[50:51], v[54:55]
	s_delay_alu instid0(VALU_DEP_1) | instskip(NEXT) | instid1(VALU_DEP_1)
	v_ldexp_f64 v[50:51], v[50:51], 2
	v_dual_add_f64 v[48:49], v[60:61], -v[48:49] :: v_dual_cndmask_b32 v51, 0, v51, s3
	s_delay_alu instid0(VALU_DEP_1) | instskip(SKIP_1) | instid1(VALU_DEP_1)
	v_dual_add_f64 v[48:49], v[52:53], -v[48:49] :: v_dual_cndmask_b32 v50, 0, v50, s3
	v_add_f64_e32 v[52:53], v[58:59], v[42:43]
	v_add_f64_e32 v[54:55], v[48:49], v[52:53]
	v_add_f64_e64 v[64:65], v[52:53], -v[58:59]
	s_delay_alu instid0(VALU_DEP_2) | instskip(NEXT) | instid1(VALU_DEP_2)
	v_add_f64_e32 v[60:61], v[54:55], v[50:51]
	v_add_f64_e64 v[70:71], v[52:53], -v[64:65]
	v_add_f64_e64 v[42:43], v[42:43], -v[64:65]
	;; [unrolled: 1-line block ×3, first 2 shown]
	s_delay_alu instid0(VALU_DEP_4) | instskip(SKIP_1) | instid1(VALU_DEP_3)
	v_cmp_gt_f64_e64 s3, 0, v[60:61]
	v_add_f64_e64 v[60:61], v[58:59], -v[62:63]
	v_add_f64_e64 v[48:49], v[52:53], -v[48:49]
	s_delay_alu instid0(VALU_DEP_3) | instskip(NEXT) | instid1(VALU_DEP_3)
	v_cndmask_b32_e64 v27, 0, 0x40100000, s3
	v_add_f64_e64 v[68:69], v[58:59], -v[60:61]
	v_add_f64_e64 v[46:47], v[46:47], -v[60:61]
	;; [unrolled: 1-line block ×3, first 2 shown]
	s_delay_alu instid0(VALU_DEP_4) | instskip(NEXT) | instid1(VALU_DEP_4)
	v_add_f64_e32 v[50:51], v[50:51], v[26:27]
	v_add_f64_e64 v[60:61], v[62:63], -v[68:69]
	s_delay_alu instid0(VALU_DEP_3) | instskip(NEXT) | instid1(VALU_DEP_3)
	v_add_f64_e32 v[42:43], v[42:43], v[58:59]
	v_add_f64_e32 v[66:67], v[54:55], v[50:51]
	s_delay_alu instid0(VALU_DEP_3) | instskip(NEXT) | instid1(VALU_DEP_2)
	v_add_f64_e32 v[46:47], v[46:47], v[60:61]
	v_cvt_i32_f64_e32 v27, v[66:67]
	s_delay_alu instid0(VALU_DEP_2) | instskip(NEXT) | instid1(VALU_DEP_2)
	v_add_f64_e32 v[42:43], v[46:47], v[42:43]
	v_cvt_f64_i32_e32 v[64:65], v27
	s_delay_alu instid0(VALU_DEP_2) | instskip(NEXT) | instid1(VALU_DEP_2)
	v_add_f64_e32 v[12:13], v[12:13], v[42:43]
	v_add_f64_e64 v[50:51], v[50:51], -v[64:65]
	s_delay_alu instid0(VALU_DEP_2) | instskip(NEXT) | instid1(VALU_DEP_2)
	v_add_f64_e32 v[12:13], v[48:49], v[12:13]
	v_add_f64_e32 v[46:47], v[54:55], v[50:51]
	s_delay_alu instid0(VALU_DEP_1) | instskip(SKIP_1) | instid1(VALU_DEP_2)
	v_add_f64_e64 v[42:43], v[46:47], -v[50:51]
	v_cmp_le_f64_e64 s3, 0.5, v[46:47]
	v_add_f64_e64 v[42:43], v[54:55], -v[42:43]
	s_delay_alu instid0(VALU_DEP_2) | instskip(SKIP_1) | instid1(VALU_DEP_3)
	v_add_co_ci_u32_e64 v45, null, 0, v27, s3
	v_cndmask_b32_e64 v27, 0, 0x3ff00000, s3
	v_add_f64_e32 v[12:13], v[12:13], v[42:43]
	s_delay_alu instid0(VALU_DEP_2) | instskip(NEXT) | instid1(VALU_DEP_1)
	v_add_f64_e64 v[42:43], v[46:47], -v[26:27]
	v_add_f64_e32 v[46:47], v[42:43], v[12:13]
	s_delay_alu instid0(VALU_DEP_1) | instskip(SKIP_1) | instid1(VALU_DEP_2)
	v_mul_f64_e32 v[48:49], 0x3ff921fb54442d18, v[46:47]
	v_add_f64_e64 v[42:43], v[46:47], -v[42:43]
	v_fma_f64 v[50:51], v[46:47], s[14:15], -v[48:49]
	s_delay_alu instid0(VALU_DEP_2) | instskip(NEXT) | instid1(VALU_DEP_2)
	v_add_f64_e64 v[12:13], v[12:13], -v[42:43]
	v_fmac_f64_e32 v[50:51], 0x3c91a62633145c07, v[46:47]
	s_delay_alu instid0(VALU_DEP_1) | instskip(NEXT) | instid1(VALU_DEP_1)
	v_fmac_f64_e32 v[50:51], 0x3ff921fb54442d18, v[12:13]
	v_add_f64_e32 v[12:13], v[48:49], v[50:51]
	s_delay_alu instid0(VALU_DEP_1) | instskip(NEXT) | instid1(VALU_DEP_1)
	v_add_f64_e64 v[42:43], v[12:13], -v[48:49]
	v_add_f64_e64 v[42:43], v[50:51], -v[42:43]
	s_and_not1_saveexec_b32 s3, s4
	s_cbranch_execnz .LBB131_369
	s_branch .LBB131_370
.LBB131_368:                            ;   in Loop: Header=BB131_185 Depth=1
	s_and_not1_saveexec_b32 s3, s4
	s_cbranch_execz .LBB131_370
.LBB131_369:                            ;   in Loop: Header=BB131_185 Depth=1
	v_mul_f64_e64 v[12:13], |v[4:5]|, s[16:17]
	s_delay_alu instid0(VALU_DEP_1) | instskip(NEXT) | instid1(VALU_DEP_1)
	v_rndne_f64_e32 v[46:47], v[12:13]
	v_fma_f64 v[12:13], v[46:47], s[22:23], |v[4:5]|
	v_mul_f64_e32 v[42:43], 0xbc91a62633145c00, v[46:47]
	v_cvt_i32_f64_e32 v45, v[46:47]
	s_delay_alu instid0(VALU_DEP_3) | instskip(NEXT) | instid1(VALU_DEP_3)
	v_fmamk_f64 v[52:53], v[46:47], 0xbc91a62633145c00, v[12:13]
	v_add_f64_e32 v[48:49], v[12:13], v[42:43]
	s_delay_alu instid0(VALU_DEP_1) | instskip(NEXT) | instid1(VALU_DEP_3)
	v_add_f64_e64 v[50:51], v[12:13], -v[48:49]
	v_add_f64_e64 v[12:13], v[48:49], -v[52:53]
	s_delay_alu instid0(VALU_DEP_2) | instskip(SKIP_1) | instid1(VALU_DEP_2)
	v_add_f64_e32 v[48:49], v[50:51], v[42:43]
	v_fmamk_f64 v[42:43], v[46:47], 0x3c91a62633145c00, v[42:43]
	v_add_f64_e32 v[12:13], v[12:13], v[48:49]
	s_delay_alu instid0(VALU_DEP_1) | instskip(NEXT) | instid1(VALU_DEP_1)
	v_add_f64_e64 v[42:43], v[12:13], -v[42:43]
	v_fmac_f64_e32 v[42:43], 0xb97b839a252049c0, v[46:47]
	s_delay_alu instid0(VALU_DEP_1) | instskip(NEXT) | instid1(VALU_DEP_1)
	v_add_f64_e32 v[12:13], v[52:53], v[42:43]
	v_add_f64_e64 v[48:49], v[12:13], -v[52:53]
	s_delay_alu instid0(VALU_DEP_1)
	v_add_f64_e64 v[42:43], v[42:43], -v[48:49]
.LBB131_370:                            ;   in Loop: Header=BB131_185 Depth=1
	s_or_b32 exec_lo, exec_lo, s3
	v_dual_mul_f64 v[46:47], v[2:3], v[2:3] :: v_dual_bitop2_b32 v27, 1, v44 bitop3:0x40
	s_delay_alu instid0(VALU_DEP_2) | instskip(SKIP_1) | instid1(VALU_DEP_4)
	v_mul_f64_e32 v[58:59], 0.5, v[10:11]
	v_cmp_class_f64_e64 s4, v[4:5], 0x1f8
	v_dual_mul_f64 v[66:67], 0.5, v[42:43] :: v_dual_bitop2_b32 v4, 1, v45 bitop3:0x40
	s_delay_alu instid0(VALU_DEP_4) | instskip(NEXT) | instid1(VALU_DEP_2)
	v_cmp_eq_u32_e64 s3, 0, v27
	v_cmp_eq_u32_e64 s5, 0, v4
	v_dual_mul_f64 v[60:61], v[2:3], -v[46:47] :: v_dual_lshlrev_b32 v4, 30, v44
	v_mul_f64_e32 v[50:51], 0.5, v[46:47]
	v_fmamk_f64 v[64:65], v[46:47], 0x3de5e0b2f9a43bb8, v[32:33]
	s_delay_alu instid0(VALU_DEP_1) | instskip(NEXT) | instid1(VALU_DEP_1)
	v_fmaak_f64 v[64:65], v[46:47], v[64:65], 0x3ec71de3796cde01
	v_fmaak_f64 v[64:65], v[46:47], v[64:65], 0xbf2a01a019e83e5c
	s_delay_alu instid0(VALU_DEP_1) | instskip(NEXT) | instid1(VALU_DEP_1)
	v_fmaak_f64 v[64:65], v[46:47], v[64:65], 0x3f81111111110bb3
	v_fmac_f64_e32 v[58:59], v[60:61], v[64:65]
	v_add_f64_e64 v[54:55], -v[50:51], 1.0
	v_mul_f64_e32 v[64:65], v[46:47], v[46:47]
	s_delay_alu instid0(VALU_DEP_3) | instskip(NEXT) | instid1(VALU_DEP_3)
	v_fma_f64 v[58:59], v[46:47], v[58:59], -v[10:11]
	v_add_f64_e64 v[62:63], -v[54:55], 1.0
	s_delay_alu instid0(VALU_DEP_2) | instskip(NEXT) | instid1(VALU_DEP_2)
	v_fmac_f64_e32 v[58:59], 0xbfc5555555555555, v[60:61]
	v_add_f64_e64 v[50:51], v[62:63], -v[50:51]
	s_delay_alu instid0(VALU_DEP_1) | instskip(NEXT) | instid1(VALU_DEP_3)
	v_fma_f64 v[10:11], v[2:3], -v[10:11], v[50:51]
	v_add_f64_e64 v[2:3], v[2:3], -v[58:59]
	v_mul_f64_e32 v[48:49], v[12:13], v[12:13]
	s_delay_alu instid0(VALU_DEP_2) | instskip(NEXT) | instid1(VALU_DEP_2)
	v_xor_b32_e32 v3, 0x80000000, v3
	v_mul_f64_e64 v[68:69], v[12:13], -v[48:49]
	v_fmamk_f64 v[72:73], v[48:49], 0x3de5e0b2f9a43bb8, v[32:33]
	s_delay_alu instid0(VALU_DEP_1) | instskip(NEXT) | instid1(VALU_DEP_1)
	v_fmaak_f64 v[62:63], v[48:49], v[72:73], 0x3ec71de3796cde01
	v_fmaak_f64 v[62:63], v[48:49], v[62:63], 0xbf2a01a019e83e5c
	s_delay_alu instid0(VALU_DEP_1) | instskip(NEXT) | instid1(VALU_DEP_1)
	v_fmaak_f64 v[62:63], v[48:49], v[62:63], 0x3f81111111110bb3
	v_fmac_f64_e32 v[66:67], v[68:69], v[62:63]
	v_fmamk_f64 v[62:63], v[46:47], 0xbda907db46cc5e42, v[30:31]
	s_delay_alu instid0(VALU_DEP_1) | instskip(NEXT) | instid1(VALU_DEP_1)
	v_fmaak_f64 v[50:51], v[46:47], v[62:63], 0xbe927e4fa17f65f6
	v_fmaak_f64 v[50:51], v[46:47], v[50:51], 0x3efa01a019f4ec90
	s_delay_alu instid0(VALU_DEP_1) | instskip(NEXT) | instid1(VALU_DEP_1)
	v_fmaak_f64 v[50:51], v[46:47], v[50:51], 0xbf56c16c16c16967
	v_fmaak_f64 v[46:47], v[46:47], v[50:51], 0x3fa5555555555555
	s_delay_alu instid0(VALU_DEP_1) | instskip(NEXT) | instid1(VALU_DEP_1)
	v_fmac_f64_e32 v[10:11], v[64:65], v[46:47]
	v_add_f64_e32 v[10:11], v[54:55], v[10:11]
	s_delay_alu instid0(VALU_DEP_1) | instskip(NEXT) | instid1(VALU_DEP_2)
	v_dual_mul_f64 v[52:53], 0.5, v[48:49] :: v_dual_cndmask_b32 v2, v2, v10, s3
	v_cndmask_b32_e64 v3, v3, v11, s3
	v_fmamk_f64 v[62:63], v[48:49], 0xbda907db46cc5e42, v[30:31]
	v_dual_fma_f64 v[66:67], v[48:49], v[66:67], -v[42:43] :: v_dual_lshlrev_b32 v10, 30, v45
	s_delay_alu instid0(VALU_DEP_3) | instskip(NEXT) | instid1(VALU_DEP_3)
	v_bitop3_b32 v3, v3, v4, 0x80000000 bitop3:0x78
	v_fmaak_f64 v[50:51], v[48:49], v[62:63], 0xbe927e4fa17f65f6
	s_delay_alu instid0(VALU_DEP_3) | instskip(NEXT) | instid1(VALU_DEP_3)
	v_xor_b32_e32 v5, v10, v5
	v_cndmask_b32_e64 v11, 0x7ff80000, v3, s4
	s_delay_alu instid0(VALU_DEP_3) | instskip(NEXT) | instid1(VALU_DEP_1)
	v_fmaak_f64 v[46:47], v[48:49], v[50:51], 0x3efa01a019f4ec90
	v_fmaak_f64 v[46:47], v[48:49], v[46:47], 0xbf56c16c16c16967
	s_delay_alu instid0(VALU_DEP_1) | instskip(SKIP_2) | instid1(VALU_DEP_2)
	v_fmaak_f64 v[46:47], v[48:49], v[46:47], 0x3fa5555555555555
	v_add_f64_e64 v[56:57], -v[52:53], 1.0
	v_fmac_f64_e32 v[66:67], 0xbfc5555555555555, v[68:69]
	v_add_f64_e64 v[70:71], -v[56:57], 1.0
	s_delay_alu instid0(VALU_DEP_1) | instskip(SKIP_1) | instid1(VALU_DEP_2)
	v_add_f64_e64 v[52:53], v[70:71], -v[52:53]
	v_mul_f64_e32 v[70:71], v[48:49], v[48:49]
	v_fma_f64 v[42:43], v[12:13], -v[42:43], v[52:53]
	v_add_f64_e64 v[12:13], v[12:13], -v[66:67]
	s_delay_alu instid0(VALU_DEP_2) | instskip(NEXT) | instid1(VALU_DEP_1)
	v_fmac_f64_e32 v[42:43], v[70:71], v[46:47]
	v_add_f64_e32 v[42:43], v[56:57], v[42:43]
	s_delay_alu instid0(VALU_DEP_1) | instskip(NEXT) | instid1(VALU_DEP_1)
	v_dual_cndmask_b32 v10, v43, v13, s5 :: v_dual_cndmask_b32 v12, v42, v12, s5
	v_bitop3_b32 v4, v10, v5, 0x80000000 bitop3:0x78
	s_delay_alu instid0(VALU_DEP_2) | instskip(NEXT) | instid1(VALU_DEP_2)
	v_dual_cndmask_b32 v10, 0, v2, s4 :: v_dual_cndmask_b32 v12, 0, v12, s4
	v_cndmask_b32_e64 v13, 0x7ff80000, v4, s4
.LBB131_371:                            ;   in Loop: Header=BB131_185 Depth=1
	s_or_b32 exec_lo, exec_lo, s6
                                        ; implicit-def: $vgpr2_vgpr3
	s_and_not1_saveexec_b32 s5, s29
	s_cbranch_execnz .LBB131_332
.LBB131_372:                            ;   in Loop: Header=BB131_185 Depth=1
	s_or_b32 exec_lo, exec_lo, s5
	s_and_saveexec_b32 s3, vcc_lo
	s_delay_alu instid0(SALU_CYCLE_1)
	s_xor_b32 s3, exec_lo, s3
	s_cbranch_execz .LBB131_333
.LBB131_373:                            ;   in Loop: Header=BB131_185 Depth=1
	v_lshl_add_u64 v[2:3], v[34:35], 4, s[10:11]
	global_store_b128 v[2:3], v[6:9], off
	s_wait_xcnt 0x0
	s_or_b32 exec_lo, exec_lo, s3
	s_and_saveexec_b32 s3, s0
	s_cbranch_execnz .LBB131_334
.LBB131_374:                            ;   in Loop: Header=BB131_185 Depth=1
	s_or_b32 exec_lo, exec_lo, s3
	s_and_saveexec_b32 s0, s1
	s_cbranch_execz .LBB131_335
.LBB131_375:                            ;   in Loop: Header=BB131_185 Depth=1
	v_lshl_add_u64 v[2:3], v[38:39], 4, s[10:11]
	global_store_b128 v[2:3], v[18:21], off
	s_wait_xcnt 0x0
	s_or_b32 exec_lo, exec_lo, s0
	s_and_saveexec_b32 s0, s2
	s_cbranch_execz .LBB131_184
.LBB131_376:                            ;   in Loop: Header=BB131_185 Depth=1
	v_lshl_add_u64 v[2:3], v[40:41], 4, s[10:11]
	global_store_b128 v[2:3], v[10:13], off
	s_branch .LBB131_184
.LBB131_377:
	s_sendmsg sendmsg(MSG_DEALLOC_VGPRS)
	s_endpgm
	.section	.rodata,"a",@progbits
	.p2align	6, 0x0
	.amdhsa_kernel _ZN2at6native12_GLOBAL__N_125multi_tensor_apply_kernelINS1_18TensorListMetadataILi2EEENS1_14UnaryOpFunctorIN3c107complexIdEELi2ELi1ELi1EEEJNS0_3ExpIS8_EEEEEvT_T0_DpT1_
		.amdhsa_group_segment_fixed_size 0
		.amdhsa_private_segment_fixed_size 0
		.amdhsa_kernarg_size 3408
		.amdhsa_user_sgpr_count 2
		.amdhsa_user_sgpr_dispatch_ptr 0
		.amdhsa_user_sgpr_queue_ptr 0
		.amdhsa_user_sgpr_kernarg_segment_ptr 1
		.amdhsa_user_sgpr_dispatch_id 0
		.amdhsa_user_sgpr_kernarg_preload_length 0
		.amdhsa_user_sgpr_kernarg_preload_offset 0
		.amdhsa_user_sgpr_private_segment_size 0
		.amdhsa_wavefront_size32 1
		.amdhsa_uses_dynamic_stack 0
		.amdhsa_enable_private_segment 0
		.amdhsa_system_sgpr_workgroup_id_x 1
		.amdhsa_system_sgpr_workgroup_id_y 0
		.amdhsa_system_sgpr_workgroup_id_z 0
		.amdhsa_system_sgpr_workgroup_info 0
		.amdhsa_system_vgpr_workitem_id 0
		.amdhsa_next_free_vgpr 84
		.amdhsa_next_free_sgpr 34
		.amdhsa_named_barrier_count 0
		.amdhsa_reserve_vcc 1
		.amdhsa_float_round_mode_32 0
		.amdhsa_float_round_mode_16_64 0
		.amdhsa_float_denorm_mode_32 3
		.amdhsa_float_denorm_mode_16_64 3
		.amdhsa_fp16_overflow 0
		.amdhsa_memory_ordered 1
		.amdhsa_forward_progress 1
		.amdhsa_inst_pref_size 255
		.amdhsa_round_robin_scheduling 0
		.amdhsa_exception_fp_ieee_invalid_op 0
		.amdhsa_exception_fp_denorm_src 0
		.amdhsa_exception_fp_ieee_div_zero 0
		.amdhsa_exception_fp_ieee_overflow 0
		.amdhsa_exception_fp_ieee_underflow 0
		.amdhsa_exception_fp_ieee_inexact 0
		.amdhsa_exception_int_div_zero 0
	.end_amdhsa_kernel
	.section	.text._ZN2at6native12_GLOBAL__N_125multi_tensor_apply_kernelINS1_18TensorListMetadataILi2EEENS1_14UnaryOpFunctorIN3c107complexIdEELi2ELi1ELi1EEEJNS0_3ExpIS8_EEEEEvT_T0_DpT1_,"axG",@progbits,_ZN2at6native12_GLOBAL__N_125multi_tensor_apply_kernelINS1_18TensorListMetadataILi2EEENS1_14UnaryOpFunctorIN3c107complexIdEELi2ELi1ELi1EEEJNS0_3ExpIS8_EEEEEvT_T0_DpT1_,comdat
.Lfunc_end131:
	.size	_ZN2at6native12_GLOBAL__N_125multi_tensor_apply_kernelINS1_18TensorListMetadataILi2EEENS1_14UnaryOpFunctorIN3c107complexIdEELi2ELi1ELi1EEEJNS0_3ExpIS8_EEEEEvT_T0_DpT1_, .Lfunc_end131-_ZN2at6native12_GLOBAL__N_125multi_tensor_apply_kernelINS1_18TensorListMetadataILi2EEENS1_14UnaryOpFunctorIN3c107complexIdEELi2ELi1ELi1EEEJNS0_3ExpIS8_EEEEEvT_T0_DpT1_
                                        ; -- End function
	.set _ZN2at6native12_GLOBAL__N_125multi_tensor_apply_kernelINS1_18TensorListMetadataILi2EEENS1_14UnaryOpFunctorIN3c107complexIdEELi2ELi1ELi1EEEJNS0_3ExpIS8_EEEEEvT_T0_DpT1_.num_vgpr, 84
	.set _ZN2at6native12_GLOBAL__N_125multi_tensor_apply_kernelINS1_18TensorListMetadataILi2EEENS1_14UnaryOpFunctorIN3c107complexIdEELi2ELi1ELi1EEEJNS0_3ExpIS8_EEEEEvT_T0_DpT1_.num_agpr, 0
	.set _ZN2at6native12_GLOBAL__N_125multi_tensor_apply_kernelINS1_18TensorListMetadataILi2EEENS1_14UnaryOpFunctorIN3c107complexIdEELi2ELi1ELi1EEEJNS0_3ExpIS8_EEEEEvT_T0_DpT1_.numbered_sgpr, 34
	.set _ZN2at6native12_GLOBAL__N_125multi_tensor_apply_kernelINS1_18TensorListMetadataILi2EEENS1_14UnaryOpFunctorIN3c107complexIdEELi2ELi1ELi1EEEJNS0_3ExpIS8_EEEEEvT_T0_DpT1_.num_named_barrier, 0
	.set _ZN2at6native12_GLOBAL__N_125multi_tensor_apply_kernelINS1_18TensorListMetadataILi2EEENS1_14UnaryOpFunctorIN3c107complexIdEELi2ELi1ELi1EEEJNS0_3ExpIS8_EEEEEvT_T0_DpT1_.private_seg_size, 0
	.set _ZN2at6native12_GLOBAL__N_125multi_tensor_apply_kernelINS1_18TensorListMetadataILi2EEENS1_14UnaryOpFunctorIN3c107complexIdEELi2ELi1ELi1EEEJNS0_3ExpIS8_EEEEEvT_T0_DpT1_.uses_vcc, 1
	.set _ZN2at6native12_GLOBAL__N_125multi_tensor_apply_kernelINS1_18TensorListMetadataILi2EEENS1_14UnaryOpFunctorIN3c107complexIdEELi2ELi1ELi1EEEJNS0_3ExpIS8_EEEEEvT_T0_DpT1_.uses_flat_scratch, 0
	.set _ZN2at6native12_GLOBAL__N_125multi_tensor_apply_kernelINS1_18TensorListMetadataILi2EEENS1_14UnaryOpFunctorIN3c107complexIdEELi2ELi1ELi1EEEJNS0_3ExpIS8_EEEEEvT_T0_DpT1_.has_dyn_sized_stack, 0
	.set _ZN2at6native12_GLOBAL__N_125multi_tensor_apply_kernelINS1_18TensorListMetadataILi2EEENS1_14UnaryOpFunctorIN3c107complexIdEELi2ELi1ELi1EEEJNS0_3ExpIS8_EEEEEvT_T0_DpT1_.has_recursion, 0
	.set _ZN2at6native12_GLOBAL__N_125multi_tensor_apply_kernelINS1_18TensorListMetadataILi2EEENS1_14UnaryOpFunctorIN3c107complexIdEELi2ELi1ELi1EEEJNS0_3ExpIS8_EEEEEvT_T0_DpT1_.has_indirect_call, 0
	.section	.AMDGPU.csdata,"",@progbits
; Kernel info:
; codeLenInByte = 64192
; TotalNumSgprs: 36
; NumVgprs: 84
; ScratchSize: 0
; MemoryBound: 1
; FloatMode: 240
; IeeeMode: 1
; LDSByteSize: 0 bytes/workgroup (compile time only)
; SGPRBlocks: 0
; VGPRBlocks: 5
; NumSGPRsForWavesPerEU: 36
; NumVGPRsForWavesPerEU: 84
; NamedBarCnt: 0
; Occupancy: 10
; WaveLimiterHint : 0
; COMPUTE_PGM_RSRC2:SCRATCH_EN: 0
; COMPUTE_PGM_RSRC2:USER_SGPR: 2
; COMPUTE_PGM_RSRC2:TRAP_HANDLER: 0
; COMPUTE_PGM_RSRC2:TGID_X_EN: 1
; COMPUTE_PGM_RSRC2:TGID_Y_EN: 0
; COMPUTE_PGM_RSRC2:TGID_Z_EN: 0
; COMPUTE_PGM_RSRC2:TIDIG_COMP_CNT: 0
	.section	.text._ZN2at6native12_GLOBAL__N_125multi_tensor_apply_kernelINS1_18TensorListMetadataILi2EEENS1_14UnaryOpFunctorIN3c107complexIfEELi2ELi1ELi1EEEJNS0_3ExpIS8_EEEEEvT_T0_DpT1_,"axG",@progbits,_ZN2at6native12_GLOBAL__N_125multi_tensor_apply_kernelINS1_18TensorListMetadataILi2EEENS1_14UnaryOpFunctorIN3c107complexIfEELi2ELi1ELi1EEEJNS0_3ExpIS8_EEEEEvT_T0_DpT1_,comdat
	.globl	_ZN2at6native12_GLOBAL__N_125multi_tensor_apply_kernelINS1_18TensorListMetadataILi2EEENS1_14UnaryOpFunctorIN3c107complexIfEELi2ELi1ELi1EEEJNS0_3ExpIS8_EEEEEvT_T0_DpT1_ ; -- Begin function _ZN2at6native12_GLOBAL__N_125multi_tensor_apply_kernelINS1_18TensorListMetadataILi2EEENS1_14UnaryOpFunctorIN3c107complexIfEELi2ELi1ELi1EEEJNS0_3ExpIS8_EEEEEvT_T0_DpT1_
	.p2align	8
	.type	_ZN2at6native12_GLOBAL__N_125multi_tensor_apply_kernelINS1_18TensorListMetadataILi2EEENS1_14UnaryOpFunctorIN3c107complexIfEELi2ELi1ELi1EEEJNS0_3ExpIS8_EEEEEvT_T0_DpT1_,@function
_ZN2at6native12_GLOBAL__N_125multi_tensor_apply_kernelINS1_18TensorListMetadataILi2EEENS1_14UnaryOpFunctorIN3c107complexIfEELi2ELi1ELi1EEEJNS0_3ExpIS8_EEEEEvT_T0_DpT1_: ; @_ZN2at6native12_GLOBAL__N_125multi_tensor_apply_kernelINS1_18TensorListMetadataILi2EEENS1_14UnaryOpFunctorIN3c107complexIfEELi2ELi1ELi1EEEJNS0_3ExpIS8_EEEEEvT_T0_DpT1_
; %bb.0:
	s_bfe_u32 s2, ttmp6, 0x4000c
	s_and_b32 s3, ttmp6, 15
	s_add_co_i32 s2, s2, 1
	s_getreg_b32 s4, hwreg(HW_REG_IB_STS2, 6, 4)
	s_mul_i32 s2, ttmp9, s2
	s_delay_alu instid0(SALU_CYCLE_1)
	s_add_co_i32 s3, s3, s2
	s_cmp_eq_u32 s4, 0
	s_cselect_b32 s2, ttmp9, s3
	s_mov_b32 s3, 0
	s_load_u8 s11, s[0:1], s2 offset:0x600
	s_add_nc_u64 s[4:5], s[0:1], s[2:3]
	s_mul_u64 s[6:7], s[2:3], 3
	s_delay_alu instid0(SALU_CYCLE_1)
	s_add_nc_u64 s[4:5], s[4:5], s[6:7]
	s_load_b32 s10, s[4:5], 0x740
	s_wait_kmcnt 0x0
	s_clause 0x2
	s_load_b64 s[6:7], s[0:1], s11 offset:0x0 scale_offset
	s_load_b64 s[8:9], s[0:1], s11 offset:0x200 scale_offset
	;; [unrolled: 1-line block ×3, first 2 shown]
	s_wait_xcnt 0x0
	s_ashr_i32 s11, s10, 31
	s_delay_alu instid0(SALU_CYCLE_1)
	s_lshl_b64 s[4:5], s[10:11], 19
	s_lshl_b64 s[10:11], s[10:11], 16
	s_wait_kmcnt 0x0
	s_add_nc_u64 s[8:9], s[8:9], s[4:5]
	s_add_nc_u64 s[6:7], s[6:7], s[4:5]
	s_and_b32 s4, s12, 3
	s_and_b64 s[14:15], s[8:9], 31
	s_mov_b32 s5, s3
	s_and_b32 s2, s6, 31
	s_or_b64 s[4:5], s[14:15], s[4:5]
	s_delay_alu instid0(SALU_CYCLE_1)
	s_or_b64 s[2:3], s[4:5], s[2:3]
	s_sub_nc_u64 s[4:5], s[12:13], s[10:11]
	s_cmp_eq_u64 s[2:3], 0
	s_mov_b32 s2, -1
	s_cbranch_scc0 .LBB132_177
; %bb.1:
	v_min_i64 v[14:15], 0x10000, s[4:5]
	v_dual_mov_b32 v17, 0 :: v_dual_lshlrev_b32 v16, 2, v0
	s_mov_b32 s20, exec_lo
	s_delay_alu instid0(VALU_DEP_1)
	v_cmpx_lt_i64_e64 v[16:17], v[14:15]
	s_cbranch_execz .LBB132_176
; %bb.2:
	s_load_b32 s2, s[0:1], 0xc5c
	v_dual_mov_b32 v1, v17 :: v_dual_lshlrev_b32 v18, 5, v0
	v_mov_b32_e32 v19, v17
	s_mov_b32 s11, 0
	s_mov_b32 s21, 0x7fffff
	s_delay_alu instid0(VALU_DEP_2)
	v_mov_b64_e32 v[20:21], v[0:1]
	s_mov_b64 s[12:13], 0xfe5163ab
	s_mov_b32 s22, 0xb94c1982
	s_mov_b32 s23, 0x37d75334
	;; [unrolled: 1-line block ×3, first 2 shown]
	s_mov_b64 s[14:15], s[6:7]
	s_mov_b32 s17, s11
	s_mov_b32 s25, s11
	s_mov_b64 s[18:19], s[8:9]
	s_wait_kmcnt 0x0
	s_and_b32 s10, s2, 0xffff
	s_delay_alu instid0(SALU_CYCLE_1)
	s_lshl_b32 s16, s10, 5
	s_branch .LBB132_4
.LBB132_3:                              ;   in Loop: Header=BB132_4 Depth=1
	s_or_b32 exec_lo, exec_lo, s2
	v_add_nc_u64_e32 v[20:21], s[10:11], v[20:21]
	s_add_nc_u64 s[14:15], s[14:15], s[16:17]
	s_delay_alu instid0(VALU_DEP_1) | instskip(NEXT) | instid1(VALU_DEP_1)
	v_lshlrev_b64_e32 v[2:3], 2, v[20:21]
	v_cmp_ge_i64_e32 vcc_lo, v[2:3], v[14:15]
	v_add_nc_u64_e32 v[2:3], s[18:19], v[18:19]
	s_add_nc_u64 s[18:19], s[18:19], s[16:17]
	s_clause 0x1
	global_store_b128 v[2:3], v[6:9], off
	global_store_b128 v[2:3], v[10:13], off offset:16
	s_or_b32 s25, vcc_lo, s25
	s_wait_xcnt 0x0
	s_and_not1_b32 exec_lo, exec_lo, s25
	s_cbranch_execz .LBB132_176
.LBB132_4:                              ; =>This Inner Loop Header: Depth=1
	v_add_nc_u64_e32 v[6:7], s[14:15], v[18:19]
	s_mov_b32 s2, exec_lo
	s_clause 0x1
	global_load_b128 v[10:13], v[6:7], off
	global_load_b128 v[2:5], v[6:7], off offset:16
                                        ; implicit-def: $vgpr7
	s_wait_loadcnt 0x1
	v_and_b32_e32 v1, 0x7fffffff, v11
	s_wait_xcnt 0x0
	s_delay_alu instid0(VALU_DEP_1)
	v_cmpx_ne_u32_e32 0, v1
	s_xor_b32 s26, exec_lo, s2
	s_cbranch_execz .LBB132_44
; %bb.5:                                ;   in Loop: Header=BB132_4 Depth=1
	v_and_b32_e32 v8, 0x7fffffff, v10
                                        ; implicit-def: $vgpr7
	s_mov_b32 s2, exec_lo
	s_delay_alu instid0(VALU_DEP_1)
	v_cmpx_ne_u32_e32 0, v8
	s_xor_b32 s27, exec_lo, s2
	s_cbranch_execz .LBB132_33
; %bb.6:                                ;   in Loop: Header=BB132_4 Depth=1
                                        ; implicit-def: $vgpr7
	s_mov_b32 s2, exec_lo
	v_cmpx_gt_u32_e32 0x7f800000, v1
	s_xor_b32 s28, exec_lo, s2
	s_cbranch_execz .LBB132_28
; %bb.7:                                ;   in Loop: Header=BB132_4 Depth=1
	v_add_nc_u32_e32 v6, 0xbd4e8de8, v10
	s_delay_alu instid0(VALU_DEP_1) | instskip(SKIP_1) | instid1(SALU_CYCLE_1)
	v_cmp_lt_u32_e32 vcc_lo, 0x8e8e5c, v6
                                        ; implicit-def: $vgpr7
	s_and_saveexec_b32 s2, vcc_lo
	s_xor_b32 s29, exec_lo, s2
	s_cbranch_execz .LBB132_17
; %bb.8:                                ;   in Loop: Header=BB132_4 Depth=1
	v_cmp_ngt_f32_e64 s30, 0x48000000, |v11|
                                        ; implicit-def: $vgpr7
                                        ; implicit-def: $vgpr6
	s_and_saveexec_b32 s2, s30
	s_delay_alu instid0(SALU_CYCLE_1)
	s_xor_b32 s31, exec_lo, s2
	s_cbranch_execz .LBB132_10
; %bb.9:                                ;   in Loop: Header=BB132_4 Depth=1
	v_and_or_b32 v16, v1, s21, 0x800000
	v_mov_b32_e32 v29, v17
	s_delay_alu instid0(VALU_DEP_2) | instskip(NEXT) | instid1(VALU_DEP_1)
	v_mul_u64_e32 v[6:7], s[12:13], v[16:17]
	v_dual_mov_b32 v9, v17 :: v_dual_mov_b32 v8, v7
	v_lshrrev_b32_e32 v7, 23, v1
	s_delay_alu instid0(VALU_DEP_2) | instskip(SKIP_1) | instid1(VALU_DEP_3)
	v_mad_nc_u64_u32 v[8:9], 0x3c439041, v16, v[8:9]
	v_mov_b32_e32 v23, v17
	v_add_nc_u32_e32 v7, 0xffffff88, v7
	s_delay_alu instid0(VALU_DEP_1) | instskip(NEXT) | instid1(VALU_DEP_4)
	v_cmp_lt_u32_e32 vcc_lo, 63, v7
	v_mov_b32_e32 v22, v9
	v_cndmask_b32_e64 v9, 0, 0xffffffc0, vcc_lo
	s_delay_alu instid0(VALU_DEP_2) | instskip(NEXT) | instid1(VALU_DEP_1)
	v_mad_nc_u64_u32 v[22:23], 0xdb629599, v16, v[22:23]
	v_dual_mov_b32 v25, v17 :: v_dual_mov_b32 v24, v23
	s_delay_alu instid0(VALU_DEP_1) | instskip(NEXT) | instid1(VALU_DEP_1)
	v_mad_nc_u64_u32 v[24:25], 0xf534ddc0, v16, v[24:25]
	v_dual_mov_b32 v27, v17 :: v_dual_mov_b32 v26, v25
	s_delay_alu instid0(VALU_DEP_2) | instskip(NEXT) | instid1(VALU_DEP_2)
	v_cndmask_b32_e32 v8, v24, v8, vcc_lo
	v_mad_nc_u64_u32 v[26:27], 0xfc2757d1, v16, v[26:27]
	s_delay_alu instid0(VALU_DEP_1) | instskip(NEXT) | instid1(VALU_DEP_1)
	v_mov_b32_e32 v28, v27
	v_mad_nc_u64_u32 v[28:29], 0x4e441529, v16, v[28:29]
	v_add_nc_u32_e32 v7, v9, v7
	s_delay_alu instid0(VALU_DEP_2) | instskip(NEXT) | instid1(VALU_DEP_1)
	v_dual_mov_b32 v31, v17 :: v_dual_mov_b32 v30, v29
	v_mad_nc_u64_u32 v[30:31], 0xa2f9836e, v16, v[30:31]
	s_delay_alu instid0(VALU_DEP_4) | instskip(NEXT) | instid1(VALU_DEP_4)
	v_cndmask_b32_e32 v16, v28, v24, vcc_lo
	v_cmp_lt_u32_e64 s2, 31, v7
	s_delay_alu instid0(VALU_DEP_1) | instskip(NEXT) | instid1(VALU_DEP_1)
	v_cndmask_b32_e64 v9, 0, 0xffffffe0, s2
	v_dual_cndmask_b32 v23, v30, v26, vcc_lo :: v_dual_add_nc_u32 v7, v9, v7
	v_dual_cndmask_b32 v25, v31, v28 :: v_dual_cndmask_b32 v26, v26, v22
	s_delay_alu instid0(VALU_DEP_2) | instskip(NEXT) | instid1(VALU_DEP_1)
	v_cmp_lt_u32_e64 s3, 31, v7
	v_cndmask_b32_e64 v9, 0, 0xffffffe0, s3
	s_delay_alu instid0(VALU_DEP_1) | instskip(NEXT) | instid1(VALU_DEP_4)
	v_dual_add_nc_u32 v7, v9, v7 :: v_dual_cndmask_b32 v9, v23, v16, s2
	v_dual_cndmask_b32 v23, v25, v23, s2 :: v_dual_cndmask_b32 v16, v16, v26, s2
	s_delay_alu instid0(VALU_DEP_2) | instskip(NEXT) | instid1(VALU_DEP_2)
	v_dual_cndmask_b32 v25, v26, v8, s2 :: v_dual_sub_nc_u32 v24, 32, v7
	v_dual_cndmask_b32 v23, v23, v9, s3 :: v_dual_cndmask_b32 v9, v9, v16, s3
	s_delay_alu instid0(VALU_DEP_2) | instskip(SKIP_1) | instid1(VALU_DEP_3)
	v_dual_cndmask_b32 v16, v16, v25, s3 :: v_dual_cndmask_b32 v6, v22, v6, vcc_lo
	v_cmp_eq_u32_e32 vcc_lo, 0, v7
	v_alignbit_b32 v26, v23, v9, v24
	s_delay_alu instid0(VALU_DEP_3) | instskip(NEXT) | instid1(VALU_DEP_2)
	v_alignbit_b32 v22, v9, v16, v24
	v_dual_cndmask_b32 v6, v8, v6, s2 :: v_dual_cndmask_b32 v7, v26, v23, vcc_lo
	s_delay_alu instid0(VALU_DEP_2) | instskip(NEXT) | instid1(VALU_DEP_2)
	v_cndmask_b32_e32 v8, v22, v9, vcc_lo
	v_bfe_u32 v9, v7, 29, 1
	s_delay_alu instid0(VALU_DEP_3) | instskip(NEXT) | instid1(VALU_DEP_3)
	v_cndmask_b32_e64 v6, v25, v6, s3
	v_alignbit_b32 v22, v7, v8, 30
	s_delay_alu instid0(VALU_DEP_3) | instskip(NEXT) | instid1(VALU_DEP_3)
	v_sub_nc_u32_e32 v23, 0, v9
	v_alignbit_b32 v24, v16, v6, v24
	s_delay_alu instid0(VALU_DEP_1) | instskip(NEXT) | instid1(VALU_DEP_1)
	v_dual_cndmask_b32 v16, v24, v16, vcc_lo :: v_dual_bitop2_b32 v22, v22, v23 bitop3:0x14
	v_clz_i32_u32_e32 v24, v22
	s_delay_alu instid0(VALU_DEP_2) | instskip(SKIP_1) | instid1(VALU_DEP_3)
	v_alignbit_b32 v8, v8, v16, 30
	v_alignbit_b32 v6, v16, v6, 30
	v_min_u32_e32 v24, 32, v24
	s_delay_alu instid0(VALU_DEP_3) | instskip(NEXT) | instid1(VALU_DEP_3)
	v_xor_b32_e32 v8, v8, v23
	v_xor_b32_e32 v6, v6, v23
	v_dual_lshrrev_b32 v23, 29, v7 :: v_dual_lshrrev_b32 v7, 30, v7
	s_delay_alu instid0(VALU_DEP_4) | instskip(NEXT) | instid1(VALU_DEP_2)
	v_dual_sub_nc_u32 v16, 31, v24 :: v_dual_lshlrev_b32 v25, 23, v24
	v_add_nc_u32_e32 v7, v9, v7
	s_delay_alu instid0(VALU_DEP_2) | instskip(SKIP_2) | instid1(VALU_DEP_2)
	v_alignbit_b32 v22, v22, v8, v16
	v_alignbit_b32 v6, v8, v6, v16
	v_lshlrev_b32_e32 v8, 31, v23
	v_alignbit_b32 v16, v22, v6, 9
	s_delay_alu instid0(VALU_DEP_2) | instskip(SKIP_1) | instid1(VALU_DEP_3)
	v_dual_lshrrev_b32 v22, 9, v22 :: v_dual_bitop2_b32 v23, 0.5, v8 bitop3:0x54
	v_or_b32_e32 v8, 0x33000000, v8
	v_clz_i32_u32_e32 v26, v16
	s_delay_alu instid0(VALU_DEP_3) | instskip(NEXT) | instid1(VALU_DEP_2)
	v_sub_nc_u32_e32 v23, v23, v25
	v_min_u32_e32 v25, 32, v26
	s_delay_alu instid0(VALU_DEP_1) | instskip(NEXT) | instid1(VALU_DEP_3)
	v_add_lshl_u32 v24, v25, v24, 23
	v_or_b32_e32 v22, v22, v23
	v_not_b32_e32 v23, v25
	s_delay_alu instid0(VALU_DEP_3) | instskip(NEXT) | instid1(VALU_DEP_3)
	v_sub_nc_u32_e32 v8, v8, v24
	v_mul_f32_e32 v26, 0x3fc90fda, v22
	s_delay_alu instid0(VALU_DEP_3) | instskip(NEXT) | instid1(VALU_DEP_2)
	v_alignbit_b32 v6, v16, v6, v23
	v_fma_f32 v16, 0x3fc90fda, v22, -v26
	s_delay_alu instid0(VALU_DEP_2) | instskip(NEXT) | instid1(VALU_DEP_2)
	v_lshrrev_b32_e32 v6, 9, v6
	v_fmac_f32_e32 v16, 0x33a22168, v22
	s_delay_alu instid0(VALU_DEP_2) | instskip(NEXT) | instid1(VALU_DEP_1)
	v_or_b32_e32 v6, v8, v6
	v_fmac_f32_e32 v16, 0x3fc90fda, v6
	s_delay_alu instid0(VALU_DEP_1)
	v_add_f32_e32 v6, v26, v16
	s_and_not1_saveexec_b32 s2, s31
	s_branch .LBB132_11
.LBB132_10:                             ;   in Loop: Header=BB132_4 Depth=1
	s_and_not1_saveexec_b32 s2, s31
.LBB132_11:                             ;   in Loop: Header=BB132_4 Depth=1
	v_mul_f32_e64 v6, 0x3f22f983, |v11|
	s_delay_alu instid0(VALU_DEP_1) | instskip(NEXT) | instid1(VALU_DEP_1)
	v_rndne_f32_e32 v7, v6
	v_fma_f32 v6, 0xbfc90fda, v7, |v11|
	s_delay_alu instid0(VALU_DEP_1) | instskip(NEXT) | instid1(VALU_DEP_1)
	v_fmac_f32_e32 v6, 0xb3a22168, v7
	v_fmac_f32_e32 v6, 0xa7c234c4, v7
	v_cvt_i32_f32_e32 v7, v7
; %bb.12:                               ;   in Loop: Header=BB132_4 Depth=1
	s_or_b32 exec_lo, exec_lo, s2
                                        ; implicit-def: $vgpr9
                                        ; implicit-def: $vgpr8
	s_and_saveexec_b32 s2, s30
	s_delay_alu instid0(SALU_CYCLE_1)
	s_xor_b32 s30, exec_lo, s2
	s_cbranch_execz .LBB132_14
; %bb.13:                               ;   in Loop: Header=BB132_4 Depth=1
	v_and_or_b32 v16, v1, s21, 0x800000
	v_dual_mov_b32 v31, v17 :: v_dual_mov_b32 v33, v17
	s_delay_alu instid0(VALU_DEP_2) | instskip(NEXT) | instid1(VALU_DEP_1)
	v_mul_u64_e32 v[8:9], s[12:13], v[16:17]
	v_dual_mov_b32 v23, v17 :: v_dual_mov_b32 v22, v9
	v_lshrrev_b32_e32 v9, 23, v1
	s_delay_alu instid0(VALU_DEP_2) | instskip(SKIP_1) | instid1(VALU_DEP_3)
	v_mad_nc_u64_u32 v[22:23], 0x3c439041, v16, v[22:23]
	v_mov_b32_e32 v25, v17
	v_add_nc_u32_e32 v9, 0xffffff88, v9
	s_delay_alu instid0(VALU_DEP_1) | instskip(NEXT) | instid1(VALU_DEP_4)
	v_cmp_lt_u32_e32 vcc_lo, 63, v9
	v_mov_b32_e32 v24, v23
	v_cndmask_b32_e64 v23, 0, 0xffffffc0, vcc_lo
	s_delay_alu instid0(VALU_DEP_2) | instskip(NEXT) | instid1(VALU_DEP_2)
	v_mad_nc_u64_u32 v[24:25], 0xdb629599, v16, v[24:25]
	v_dual_mov_b32 v27, v17 :: v_dual_add_nc_u32 v9, v23, v9
	s_delay_alu instid0(VALU_DEP_1) | instskip(NEXT) | instid1(VALU_DEP_3)
	v_cmp_lt_u32_e64 s2, 31, v9
	v_mov_b32_e32 v26, v25
	s_delay_alu instid0(VALU_DEP_2) | instskip(SKIP_1) | instid1(VALU_DEP_3)
	v_cndmask_b32_e64 v23, 0, 0xffffffe0, s2
	v_cndmask_b32_e32 v8, v24, v8, vcc_lo
	v_mad_nc_u64_u32 v[26:27], 0xf534ddc0, v16, v[26:27]
	s_delay_alu instid0(VALU_DEP_1) | instskip(NEXT) | instid1(VALU_DEP_1)
	v_dual_mov_b32 v29, v17 :: v_dual_mov_b32 v28, v27
	v_mad_nc_u64_u32 v[28:29], 0xfc2757d1, v16, v[28:29]
	s_delay_alu instid0(VALU_DEP_1) | instskip(NEXT) | instid1(VALU_DEP_1)
	v_dual_mov_b32 v30, v29 :: v_dual_add_nc_u32 v9, v23, v9
	v_mad_nc_u64_u32 v[30:31], 0x4e441529, v16, v[30:31]
	s_delay_alu instid0(VALU_DEP_1) | instskip(NEXT) | instid1(VALU_DEP_1)
	v_dual_mov_b32 v32, v31 :: v_dual_cndmask_b32 v23, v30, v26
	v_mad_nc_u64_u32 v[32:33], 0xa2f9836e, v16, v[32:33]
	s_delay_alu instid0(VALU_DEP_1) | instskip(SKIP_1) | instid1(VALU_DEP_3)
	v_cndmask_b32_e32 v25, v32, v28, vcc_lo
	v_cmp_lt_u32_e64 s3, 31, v9
	v_dual_cndmask_b32 v27, v33, v30 :: v_dual_cndmask_b32 v28, v28, v24
	s_delay_alu instid0(VALU_DEP_2) | instskip(NEXT) | instid1(VALU_DEP_1)
	v_cndmask_b32_e64 v16, 0, 0xffffffe0, s3
	v_dual_cndmask_b32 v16, v26, v22 :: v_dual_add_nc_u32 v9, v16, v9
	s_delay_alu instid0(VALU_DEP_3) | instskip(NEXT) | instid1(VALU_DEP_2)
	v_dual_cndmask_b32 v22, v25, v23, s2 :: v_dual_cndmask_b32 v25, v27, v25, s2
	v_dual_cndmask_b32 v23, v23, v28, s2 :: v_dual_sub_nc_u32 v26, 32, v9
	s_delay_alu instid0(VALU_DEP_3) | instskip(SKIP_1) | instid1(VALU_DEP_3)
	v_cndmask_b32_e64 v27, v28, v16, s2
	v_cmp_eq_u32_e32 vcc_lo, 0, v9
	v_dual_cndmask_b32 v25, v25, v22, s3 :: v_dual_cndmask_b32 v22, v22, v23, s3
	v_cndmask_b32_e64 v8, v16, v8, s2
	s_delay_alu instid0(VALU_DEP_2) | instskip(NEXT) | instid1(VALU_DEP_1)
	v_alignbit_b32 v28, v25, v22, v26
	v_dual_cndmask_b32 v23, v23, v27, s3 :: v_dual_cndmask_b32 v9, v28, v25, vcc_lo
	s_delay_alu instid0(VALU_DEP_1) | instskip(NEXT) | instid1(VALU_DEP_1)
	v_alignbit_b32 v24, v22, v23, v26
	v_cndmask_b32_e32 v16, v24, v22, vcc_lo
	s_delay_alu instid0(VALU_DEP_3) | instskip(NEXT) | instid1(VALU_DEP_1)
	v_bfe_u32 v22, v9, 29, 1
	v_dual_sub_nc_u32 v25, 0, v22 :: v_dual_cndmask_b32 v8, v27, v8, s3
	s_delay_alu instid0(VALU_DEP_3) | instskip(NEXT) | instid1(VALU_DEP_2)
	v_alignbit_b32 v24, v9, v16, 30
	v_alignbit_b32 v26, v23, v8, v26
	s_delay_alu instid0(VALU_DEP_1) | instskip(NEXT) | instid1(VALU_DEP_1)
	v_dual_cndmask_b32 v23, v26, v23, vcc_lo :: v_dual_bitop2_b32 v24, v24, v25 bitop3:0x14
	v_clz_i32_u32_e32 v26, v24
	s_delay_alu instid0(VALU_DEP_2) | instskip(NEXT) | instid1(VALU_DEP_2)
	v_alignbit_b32 v16, v16, v23, 30
	v_min_u32_e32 v26, 32, v26
	v_alignbit_b32 v8, v23, v8, 30
	s_delay_alu instid0(VALU_DEP_2) | instskip(NEXT) | instid1(VALU_DEP_2)
	v_dual_sub_nc_u32 v23, 31, v26 :: v_dual_bitop2_b32 v16, v16, v25 bitop3:0x14
	v_xor_b32_e32 v8, v8, v25
	v_dual_lshrrev_b32 v25, 29, v9 :: v_dual_lshlrev_b32 v27, 23, v26
	v_lshrrev_b32_e32 v9, 30, v9
	s_delay_alu instid0(VALU_DEP_4) | instskip(NEXT) | instid1(VALU_DEP_4)
	v_alignbit_b32 v24, v24, v16, v23
	v_alignbit_b32 v8, v16, v8, v23
	s_delay_alu instid0(VALU_DEP_4) | instskip(NEXT) | instid1(VALU_DEP_4)
	v_lshlrev_b32_e32 v16, 31, v25
	v_add_nc_u32_e32 v9, v22, v9
	s_delay_alu instid0(VALU_DEP_3) | instskip(NEXT) | instid1(VALU_DEP_3)
	v_alignbit_b32 v23, v24, v8, 9
	v_or_b32_e32 v25, 0.5, v16
	v_lshrrev_b32_e32 v24, 9, v24
	v_or_b32_e32 v16, 0x33000000, v16
	s_delay_alu instid0(VALU_DEP_4) | instskip(NEXT) | instid1(VALU_DEP_4)
	v_clz_i32_u32_e32 v28, v23
	v_sub_nc_u32_e32 v25, v25, v27
	s_delay_alu instid0(VALU_DEP_2) | instskip(NEXT) | instid1(VALU_DEP_2)
	v_min_u32_e32 v27, 32, v28
	v_or_b32_e32 v24, v24, v25
	s_delay_alu instid0(VALU_DEP_2) | instskip(SKIP_1) | instid1(VALU_DEP_2)
	v_not_b32_e32 v25, v27
	v_add_lshl_u32 v26, v27, v26, 23
	v_alignbit_b32 v8, v23, v8, v25
	s_delay_alu instid0(VALU_DEP_1) | instskip(SKIP_1) | instid1(VALU_DEP_2)
	v_dual_sub_nc_u32 v16, v16, v26 :: v_dual_lshrrev_b32 v8, 9, v8
	v_mul_f32_e32 v28, 0x3fc90fda, v24
	v_or_b32_e32 v8, v16, v8
	s_delay_alu instid0(VALU_DEP_2) | instskip(NEXT) | instid1(VALU_DEP_1)
	v_fma_f32 v23, 0x3fc90fda, v24, -v28
	v_fmac_f32_e32 v23, 0x33a22168, v24
	s_delay_alu instid0(VALU_DEP_1) | instskip(NEXT) | instid1(VALU_DEP_1)
	v_fmac_f32_e32 v23, 0x3fc90fda, v8
	v_add_f32_e32 v8, v28, v23
	s_and_not1_saveexec_b32 s2, s30
	s_cbranch_execnz .LBB132_15
	s_branch .LBB132_16
.LBB132_14:                             ;   in Loop: Header=BB132_4 Depth=1
	s_and_not1_saveexec_b32 s2, s30
.LBB132_15:                             ;   in Loop: Header=BB132_4 Depth=1
	v_mul_f32_e64 v8, 0x3f22f983, |v11|
	s_delay_alu instid0(VALU_DEP_1) | instskip(NEXT) | instid1(VALU_DEP_1)
	v_rndne_f32_e32 v9, v8
	v_fma_f32 v8, 0xbfc90fda, v9, |v11|
	s_delay_alu instid0(VALU_DEP_1) | instskip(NEXT) | instid1(VALU_DEP_1)
	v_fmac_f32_e32 v8, 0xb3a22168, v9
	v_fmac_f32_e32 v8, 0xa7c234c4, v9
	v_cvt_i32_f32_e32 v9, v9
.LBB132_16:                             ;   in Loop: Header=BB132_4 Depth=1
	s_or_b32 exec_lo, exec_lo, s2
	v_dual_mul_f32 v22, v6, v6 :: v_dual_bitop2_b32 v23, 1, v7 bitop3:0x40
	s_delay_alu instid0(VALU_DEP_2) | instskip(SKIP_2) | instid1(VALU_DEP_4)
	v_mul_f32_e32 v24, v8, v8
	v_cmp_nlt_f32_e64 s2, 0x42b17218, v10
	v_lshlrev_b32_e32 v7, 30, v7
	v_fmaak_f32 v27, s22, v22, 0x3c0881c4
	v_cmp_eq_u32_e32 vcc_lo, 0, v23
	v_fmaak_f32 v30, s23, v24, 0xbab64f3b
	s_delay_alu instid0(VALU_DEP_3) | instskip(NEXT) | instid1(VALU_DEP_1)
	v_fmaak_f32 v27, v22, v27, 0xbe2aaa9d
	v_dual_mul_f32 v16, 0x3fb8aa3b, v10 :: v_dual_mul_f32 v27, v22, v27
	s_delay_alu instid0(VALU_DEP_1) | instskip(SKIP_1) | instid1(VALU_DEP_3)
	v_rndne_f32_e32 v25, v16
	v_fma_f32 v26, 0x3fb8aa3b, v10, -v16
	v_dual_fmaak_f32 v29, s22, v24, 0x3c0881c4 :: v_dual_fmac_f32 v6, v6, v27
	s_delay_alu instid0(VALU_DEP_3) | instskip(NEXT) | instid1(VALU_DEP_3)
	v_sub_f32_e32 v16, v16, v25
	v_fmac_f32_e32 v26, 0x32a5705f, v10
	s_delay_alu instid0(VALU_DEP_3) | instskip(SKIP_2) | instid1(VALU_DEP_4)
	v_fmaak_f32 v29, v24, v29, 0xbe2aaa9d
	v_fmaak_f32 v28, s23, v22, 0xbab64f3b
	v_cvt_i32_f32_e32 v25, v25
	v_add_f32_e32 v16, v16, v26
	s_delay_alu instid0(VALU_DEP_3) | instskip(NEXT) | instid1(VALU_DEP_2)
	v_dual_mul_f32 v29, v24, v29 :: v_dual_fmaak_f32 v28, v22, v28, 0x3d2aabf7
	v_exp_f32_e32 v16, v16
	s_delay_alu instid0(VALU_DEP_1) | instskip(NEXT) | instid1(VALU_DEP_1)
	v_fmaak_f32 v28, v22, v28, 0xbf000004
	v_fma_f32 v22, v22, v28, 1.0
	s_delay_alu instid0(TRANS32_DEP_1) | instskip(SKIP_1) | instid1(VALU_DEP_3)
	v_ldexp_f32 v16, v16, v25
	v_fmaak_f32 v26, v24, v30, 0x3d2aabf7
	v_dual_fmac_f32 v8, v8, v29 :: v_dual_cndmask_b32 v6, -v6, v22, vcc_lo
	s_delay_alu instid0(VALU_DEP_2) | instskip(NEXT) | instid1(VALU_DEP_2)
	v_fmaak_f32 v26, v24, v26, 0xbf000004
	v_bitop3_b32 v6, v7, v6, 0x80000000 bitop3:0x6c
	s_delay_alu instid0(VALU_DEP_2) | instskip(SKIP_1) | instid1(VALU_DEP_1)
	v_fma_f32 v24, v24, v26, 1.0
	v_dual_lshlrev_b32 v9, 30, v9 :: v_dual_bitop2_b32 v25, 1, v9 bitop3:0x40
	v_cmp_eq_u32_e32 vcc_lo, 0, v25
	s_delay_alu instid0(VALU_DEP_2) | instskip(NEXT) | instid1(VALU_DEP_4)
	v_and_or_b32 v1, 0x80000000, v9, v1
	v_cndmask_b32_e32 v8, v24, v8, vcc_lo
	v_cmp_ngt_f32_e32 vcc_lo, 0xc2ce8ed0, v10
	s_delay_alu instid0(VALU_DEP_2) | instskip(SKIP_2) | instid1(VALU_DEP_2)
	v_xor3_b32 v1, v1, v8, v11
	v_cndmask_b32_e32 v9, 0, v16, vcc_lo
	v_cmp_class_f32_e64 vcc_lo, v11, 0x1f8
	v_cndmask_b32_e64 v7, 0x7f800000, v9, s2
	v_cndmask_b32_e32 v6, 0x7fc00000, v6, vcc_lo
	s_delay_alu instid0(VALU_DEP_1) | instskip(NEXT) | instid1(VALU_DEP_1)
	v_dual_cndmask_b32 v1, 0x7fc00000, v1 :: v_dual_mul_f32 v6, v7, v6
	v_mul_f32_e32 v7, v7, v1
                                        ; implicit-def: $vgpr1
.LBB132_17:                             ;   in Loop: Header=BB132_4 Depth=1
	s_and_not1_saveexec_b32 s29, s29
	s_cbranch_execz .LBB132_20
; %bb.18:                               ;   in Loop: Header=BB132_4 Depth=1
	v_cmp_ngt_f32_e64 s30, 0x48000000, |v11|
                                        ; implicit-def: $vgpr7
                                        ; implicit-def: $vgpr6
	s_and_saveexec_b32 s2, s30
	s_delay_alu instid0(SALU_CYCLE_1)
	s_xor_b32 s31, exec_lo, s2
	s_cbranch_execz .LBB132_21
; %bb.19:                               ;   in Loop: Header=BB132_4 Depth=1
	v_and_or_b32 v16, v1, s21, 0x800000
	v_mov_b32_e32 v29, v17
	s_delay_alu instid0(VALU_DEP_2) | instskip(NEXT) | instid1(VALU_DEP_1)
	v_mul_u64_e32 v[6:7], s[12:13], v[16:17]
	v_dual_mov_b32 v9, v17 :: v_dual_mov_b32 v8, v7
	v_lshrrev_b32_e32 v7, 23, v1
	s_delay_alu instid0(VALU_DEP_2) | instskip(SKIP_1) | instid1(VALU_DEP_3)
	v_mad_nc_u64_u32 v[8:9], 0x3c439041, v16, v[8:9]
	v_mov_b32_e32 v23, v17
	v_add_nc_u32_e32 v7, 0xffffff88, v7
	s_delay_alu instid0(VALU_DEP_1) | instskip(NEXT) | instid1(VALU_DEP_4)
	v_cmp_lt_u32_e32 vcc_lo, 63, v7
	v_mov_b32_e32 v22, v9
	v_cndmask_b32_e64 v9, 0, 0xffffffc0, vcc_lo
	s_delay_alu instid0(VALU_DEP_2) | instskip(NEXT) | instid1(VALU_DEP_1)
	v_mad_nc_u64_u32 v[22:23], 0xdb629599, v16, v[22:23]
	v_dual_mov_b32 v25, v17 :: v_dual_mov_b32 v24, v23
	s_delay_alu instid0(VALU_DEP_1) | instskip(NEXT) | instid1(VALU_DEP_1)
	v_mad_nc_u64_u32 v[24:25], 0xf534ddc0, v16, v[24:25]
	v_dual_mov_b32 v27, v17 :: v_dual_mov_b32 v26, v25
	s_delay_alu instid0(VALU_DEP_2) | instskip(NEXT) | instid1(VALU_DEP_2)
	v_cndmask_b32_e32 v8, v24, v8, vcc_lo
	v_mad_nc_u64_u32 v[26:27], 0xfc2757d1, v16, v[26:27]
	s_delay_alu instid0(VALU_DEP_1) | instskip(NEXT) | instid1(VALU_DEP_1)
	v_mov_b32_e32 v28, v27
	v_mad_nc_u64_u32 v[28:29], 0x4e441529, v16, v[28:29]
	v_add_nc_u32_e32 v7, v9, v7
	s_delay_alu instid0(VALU_DEP_2) | instskip(NEXT) | instid1(VALU_DEP_1)
	v_dual_mov_b32 v31, v17 :: v_dual_mov_b32 v30, v29
	v_mad_nc_u64_u32 v[30:31], 0xa2f9836e, v16, v[30:31]
	s_delay_alu instid0(VALU_DEP_4) | instskip(NEXT) | instid1(VALU_DEP_4)
	v_cndmask_b32_e32 v16, v28, v24, vcc_lo
	v_cmp_lt_u32_e64 s2, 31, v7
	s_delay_alu instid0(VALU_DEP_1) | instskip(NEXT) | instid1(VALU_DEP_1)
	v_cndmask_b32_e64 v9, 0, 0xffffffe0, s2
	v_dual_cndmask_b32 v23, v30, v26, vcc_lo :: v_dual_add_nc_u32 v7, v9, v7
	v_dual_cndmask_b32 v25, v31, v28 :: v_dual_cndmask_b32 v26, v26, v22
	s_delay_alu instid0(VALU_DEP_2) | instskip(NEXT) | instid1(VALU_DEP_1)
	v_cmp_lt_u32_e64 s3, 31, v7
	v_cndmask_b32_e64 v9, 0, 0xffffffe0, s3
	s_delay_alu instid0(VALU_DEP_1) | instskip(NEXT) | instid1(VALU_DEP_4)
	v_dual_add_nc_u32 v7, v9, v7 :: v_dual_cndmask_b32 v9, v23, v16, s2
	v_dual_cndmask_b32 v23, v25, v23, s2 :: v_dual_cndmask_b32 v16, v16, v26, s2
	s_delay_alu instid0(VALU_DEP_2) | instskip(NEXT) | instid1(VALU_DEP_2)
	v_dual_cndmask_b32 v25, v26, v8, s2 :: v_dual_sub_nc_u32 v24, 32, v7
	v_dual_cndmask_b32 v23, v23, v9, s3 :: v_dual_cndmask_b32 v9, v9, v16, s3
	s_delay_alu instid0(VALU_DEP_2) | instskip(SKIP_1) | instid1(VALU_DEP_3)
	v_dual_cndmask_b32 v16, v16, v25, s3 :: v_dual_cndmask_b32 v6, v22, v6, vcc_lo
	v_cmp_eq_u32_e32 vcc_lo, 0, v7
	v_alignbit_b32 v26, v23, v9, v24
	s_delay_alu instid0(VALU_DEP_3) | instskip(NEXT) | instid1(VALU_DEP_2)
	v_alignbit_b32 v22, v9, v16, v24
	v_dual_cndmask_b32 v6, v8, v6, s2 :: v_dual_cndmask_b32 v7, v26, v23, vcc_lo
	s_delay_alu instid0(VALU_DEP_2) | instskip(NEXT) | instid1(VALU_DEP_2)
	v_cndmask_b32_e32 v8, v22, v9, vcc_lo
	v_bfe_u32 v9, v7, 29, 1
	s_delay_alu instid0(VALU_DEP_3) | instskip(NEXT) | instid1(VALU_DEP_3)
	v_cndmask_b32_e64 v6, v25, v6, s3
	v_alignbit_b32 v22, v7, v8, 30
	s_delay_alu instid0(VALU_DEP_3) | instskip(NEXT) | instid1(VALU_DEP_3)
	v_sub_nc_u32_e32 v23, 0, v9
	v_alignbit_b32 v24, v16, v6, v24
	s_delay_alu instid0(VALU_DEP_1) | instskip(NEXT) | instid1(VALU_DEP_1)
	v_dual_cndmask_b32 v16, v24, v16, vcc_lo :: v_dual_bitop2_b32 v22, v22, v23 bitop3:0x14
	v_clz_i32_u32_e32 v24, v22
	s_delay_alu instid0(VALU_DEP_2) | instskip(SKIP_1) | instid1(VALU_DEP_3)
	v_alignbit_b32 v8, v8, v16, 30
	v_alignbit_b32 v6, v16, v6, 30
	v_min_u32_e32 v24, 32, v24
	s_delay_alu instid0(VALU_DEP_3) | instskip(NEXT) | instid1(VALU_DEP_3)
	v_xor_b32_e32 v8, v8, v23
	v_xor_b32_e32 v6, v6, v23
	v_dual_lshrrev_b32 v23, 29, v7 :: v_dual_lshrrev_b32 v7, 30, v7
	s_delay_alu instid0(VALU_DEP_4) | instskip(NEXT) | instid1(VALU_DEP_2)
	v_dual_sub_nc_u32 v16, 31, v24 :: v_dual_lshlrev_b32 v25, 23, v24
	v_add_nc_u32_e32 v7, v9, v7
	s_delay_alu instid0(VALU_DEP_2) | instskip(SKIP_2) | instid1(VALU_DEP_2)
	v_alignbit_b32 v22, v22, v8, v16
	v_alignbit_b32 v6, v8, v6, v16
	v_lshlrev_b32_e32 v8, 31, v23
	v_alignbit_b32 v16, v22, v6, 9
	s_delay_alu instid0(VALU_DEP_2) | instskip(SKIP_1) | instid1(VALU_DEP_3)
	v_dual_lshrrev_b32 v22, 9, v22 :: v_dual_bitop2_b32 v23, 0.5, v8 bitop3:0x54
	v_or_b32_e32 v8, 0x33000000, v8
	v_clz_i32_u32_e32 v26, v16
	s_delay_alu instid0(VALU_DEP_3) | instskip(NEXT) | instid1(VALU_DEP_2)
	v_sub_nc_u32_e32 v23, v23, v25
	v_min_u32_e32 v25, 32, v26
	s_delay_alu instid0(VALU_DEP_1) | instskip(NEXT) | instid1(VALU_DEP_3)
	v_add_lshl_u32 v24, v25, v24, 23
	v_or_b32_e32 v22, v22, v23
	v_not_b32_e32 v23, v25
	s_delay_alu instid0(VALU_DEP_3) | instskip(NEXT) | instid1(VALU_DEP_3)
	v_sub_nc_u32_e32 v8, v8, v24
	v_mul_f32_e32 v26, 0x3fc90fda, v22
	s_delay_alu instid0(VALU_DEP_3) | instskip(NEXT) | instid1(VALU_DEP_2)
	v_alignbit_b32 v6, v16, v6, v23
	v_fma_f32 v16, 0x3fc90fda, v22, -v26
	s_delay_alu instid0(VALU_DEP_2) | instskip(NEXT) | instid1(VALU_DEP_2)
	v_lshrrev_b32_e32 v6, 9, v6
	v_fmac_f32_e32 v16, 0x33a22168, v22
	s_delay_alu instid0(VALU_DEP_2) | instskip(NEXT) | instid1(VALU_DEP_1)
	v_or_b32_e32 v6, v8, v6
	v_fmac_f32_e32 v16, 0x3fc90fda, v6
	s_delay_alu instid0(VALU_DEP_1)
	v_add_f32_e32 v6, v26, v16
	s_and_not1_saveexec_b32 s2, s31
	s_branch .LBB132_22
.LBB132_20:                             ;   in Loop: Header=BB132_4 Depth=1
	s_or_b32 exec_lo, exec_lo, s29
                                        ; implicit-def: $vgpr8
	s_and_not1_saveexec_b32 s2, s28
	s_cbranch_execnz .LBB132_29
	s_branch .LBB132_32
.LBB132_21:                             ;   in Loop: Header=BB132_4 Depth=1
	s_and_not1_saveexec_b32 s2, s31
.LBB132_22:                             ;   in Loop: Header=BB132_4 Depth=1
	v_mul_f32_e64 v6, 0x3f22f983, |v11|
	s_delay_alu instid0(VALU_DEP_1) | instskip(NEXT) | instid1(VALU_DEP_1)
	v_rndne_f32_e32 v7, v6
	v_fma_f32 v6, 0xbfc90fda, v7, |v11|
	s_delay_alu instid0(VALU_DEP_1) | instskip(NEXT) | instid1(VALU_DEP_1)
	v_fmac_f32_e32 v6, 0xb3a22168, v7
	v_fmac_f32_e32 v6, 0xa7c234c4, v7
	v_cvt_i32_f32_e32 v7, v7
; %bb.23:                               ;   in Loop: Header=BB132_4 Depth=1
	s_or_b32 exec_lo, exec_lo, s2
                                        ; implicit-def: $vgpr9
                                        ; implicit-def: $vgpr8
	s_and_saveexec_b32 s2, s30
	s_delay_alu instid0(SALU_CYCLE_1)
	s_xor_b32 s30, exec_lo, s2
	s_cbranch_execz .LBB132_25
; %bb.24:                               ;   in Loop: Header=BB132_4 Depth=1
	v_and_or_b32 v16, v1, s21, 0x800000
	v_dual_mov_b32 v31, v17 :: v_dual_mov_b32 v33, v17
	s_delay_alu instid0(VALU_DEP_2) | instskip(NEXT) | instid1(VALU_DEP_1)
	v_mul_u64_e32 v[8:9], s[12:13], v[16:17]
	v_dual_mov_b32 v23, v17 :: v_dual_mov_b32 v22, v9
	v_lshrrev_b32_e32 v9, 23, v1
	s_delay_alu instid0(VALU_DEP_2) | instskip(SKIP_1) | instid1(VALU_DEP_3)
	v_mad_nc_u64_u32 v[22:23], 0x3c439041, v16, v[22:23]
	v_mov_b32_e32 v25, v17
	v_add_nc_u32_e32 v9, 0xffffff88, v9
	s_delay_alu instid0(VALU_DEP_1) | instskip(NEXT) | instid1(VALU_DEP_4)
	v_cmp_lt_u32_e32 vcc_lo, 63, v9
	v_mov_b32_e32 v24, v23
	v_cndmask_b32_e64 v23, 0, 0xffffffc0, vcc_lo
	s_delay_alu instid0(VALU_DEP_2) | instskip(NEXT) | instid1(VALU_DEP_2)
	v_mad_nc_u64_u32 v[24:25], 0xdb629599, v16, v[24:25]
	v_dual_mov_b32 v27, v17 :: v_dual_add_nc_u32 v9, v23, v9
	s_delay_alu instid0(VALU_DEP_1) | instskip(NEXT) | instid1(VALU_DEP_3)
	v_cmp_lt_u32_e64 s2, 31, v9
	v_mov_b32_e32 v26, v25
	s_delay_alu instid0(VALU_DEP_2) | instskip(SKIP_1) | instid1(VALU_DEP_3)
	v_cndmask_b32_e64 v23, 0, 0xffffffe0, s2
	v_cndmask_b32_e32 v8, v24, v8, vcc_lo
	v_mad_nc_u64_u32 v[26:27], 0xf534ddc0, v16, v[26:27]
	s_delay_alu instid0(VALU_DEP_1) | instskip(NEXT) | instid1(VALU_DEP_1)
	v_dual_mov_b32 v29, v17 :: v_dual_mov_b32 v28, v27
	v_mad_nc_u64_u32 v[28:29], 0xfc2757d1, v16, v[28:29]
	s_delay_alu instid0(VALU_DEP_1) | instskip(NEXT) | instid1(VALU_DEP_1)
	v_dual_mov_b32 v30, v29 :: v_dual_add_nc_u32 v9, v23, v9
	v_mad_nc_u64_u32 v[30:31], 0x4e441529, v16, v[30:31]
	s_delay_alu instid0(VALU_DEP_1) | instskip(NEXT) | instid1(VALU_DEP_1)
	v_dual_mov_b32 v32, v31 :: v_dual_cndmask_b32 v23, v30, v26
	v_mad_nc_u64_u32 v[32:33], 0xa2f9836e, v16, v[32:33]
	s_delay_alu instid0(VALU_DEP_1) | instskip(SKIP_1) | instid1(VALU_DEP_3)
	v_cndmask_b32_e32 v25, v32, v28, vcc_lo
	v_cmp_lt_u32_e64 s3, 31, v9
	v_dual_cndmask_b32 v27, v33, v30 :: v_dual_cndmask_b32 v28, v28, v24
	s_delay_alu instid0(VALU_DEP_2) | instskip(NEXT) | instid1(VALU_DEP_1)
	v_cndmask_b32_e64 v16, 0, 0xffffffe0, s3
	v_dual_cndmask_b32 v16, v26, v22 :: v_dual_add_nc_u32 v9, v16, v9
	s_delay_alu instid0(VALU_DEP_3) | instskip(NEXT) | instid1(VALU_DEP_2)
	v_dual_cndmask_b32 v22, v25, v23, s2 :: v_dual_cndmask_b32 v25, v27, v25, s2
	v_dual_cndmask_b32 v23, v23, v28, s2 :: v_dual_sub_nc_u32 v26, 32, v9
	s_delay_alu instid0(VALU_DEP_3) | instskip(SKIP_1) | instid1(VALU_DEP_3)
	v_cndmask_b32_e64 v27, v28, v16, s2
	v_cmp_eq_u32_e32 vcc_lo, 0, v9
	v_dual_cndmask_b32 v25, v25, v22, s3 :: v_dual_cndmask_b32 v22, v22, v23, s3
	v_cndmask_b32_e64 v8, v16, v8, s2
	s_delay_alu instid0(VALU_DEP_2) | instskip(NEXT) | instid1(VALU_DEP_1)
	v_alignbit_b32 v28, v25, v22, v26
	v_dual_cndmask_b32 v23, v23, v27, s3 :: v_dual_cndmask_b32 v9, v28, v25, vcc_lo
	s_delay_alu instid0(VALU_DEP_1) | instskip(NEXT) | instid1(VALU_DEP_1)
	v_alignbit_b32 v24, v22, v23, v26
	v_cndmask_b32_e32 v16, v24, v22, vcc_lo
	s_delay_alu instid0(VALU_DEP_3) | instskip(NEXT) | instid1(VALU_DEP_1)
	v_bfe_u32 v22, v9, 29, 1
	v_dual_sub_nc_u32 v25, 0, v22 :: v_dual_cndmask_b32 v8, v27, v8, s3
	s_delay_alu instid0(VALU_DEP_3) | instskip(NEXT) | instid1(VALU_DEP_2)
	v_alignbit_b32 v24, v9, v16, 30
	v_alignbit_b32 v26, v23, v8, v26
	s_delay_alu instid0(VALU_DEP_1) | instskip(NEXT) | instid1(VALU_DEP_1)
	v_dual_cndmask_b32 v23, v26, v23, vcc_lo :: v_dual_bitop2_b32 v24, v24, v25 bitop3:0x14
	v_clz_i32_u32_e32 v26, v24
	s_delay_alu instid0(VALU_DEP_2) | instskip(NEXT) | instid1(VALU_DEP_2)
	v_alignbit_b32 v16, v16, v23, 30
	v_min_u32_e32 v26, 32, v26
	v_alignbit_b32 v8, v23, v8, 30
	s_delay_alu instid0(VALU_DEP_2) | instskip(NEXT) | instid1(VALU_DEP_2)
	v_dual_sub_nc_u32 v23, 31, v26 :: v_dual_bitop2_b32 v16, v16, v25 bitop3:0x14
	v_xor_b32_e32 v8, v8, v25
	v_dual_lshrrev_b32 v25, 29, v9 :: v_dual_lshlrev_b32 v27, 23, v26
	v_lshrrev_b32_e32 v9, 30, v9
	s_delay_alu instid0(VALU_DEP_4) | instskip(NEXT) | instid1(VALU_DEP_4)
	v_alignbit_b32 v24, v24, v16, v23
	v_alignbit_b32 v8, v16, v8, v23
	s_delay_alu instid0(VALU_DEP_4) | instskip(NEXT) | instid1(VALU_DEP_4)
	v_lshlrev_b32_e32 v16, 31, v25
	v_add_nc_u32_e32 v9, v22, v9
	s_delay_alu instid0(VALU_DEP_3) | instskip(NEXT) | instid1(VALU_DEP_3)
	v_alignbit_b32 v23, v24, v8, 9
	v_or_b32_e32 v25, 0.5, v16
	v_lshrrev_b32_e32 v24, 9, v24
	v_or_b32_e32 v16, 0x33000000, v16
	s_delay_alu instid0(VALU_DEP_4) | instskip(NEXT) | instid1(VALU_DEP_4)
	v_clz_i32_u32_e32 v28, v23
	v_sub_nc_u32_e32 v25, v25, v27
	s_delay_alu instid0(VALU_DEP_2) | instskip(NEXT) | instid1(VALU_DEP_2)
	v_min_u32_e32 v27, 32, v28
	v_or_b32_e32 v24, v24, v25
	s_delay_alu instid0(VALU_DEP_2) | instskip(SKIP_1) | instid1(VALU_DEP_2)
	v_not_b32_e32 v25, v27
	v_add_lshl_u32 v26, v27, v26, 23
	v_alignbit_b32 v8, v23, v8, v25
	s_delay_alu instid0(VALU_DEP_1) | instskip(SKIP_1) | instid1(VALU_DEP_2)
	v_dual_sub_nc_u32 v16, v16, v26 :: v_dual_lshrrev_b32 v8, 9, v8
	v_mul_f32_e32 v28, 0x3fc90fda, v24
	v_or_b32_e32 v8, v16, v8
	s_delay_alu instid0(VALU_DEP_2) | instskip(NEXT) | instid1(VALU_DEP_1)
	v_fma_f32 v23, 0x3fc90fda, v24, -v28
	v_fmac_f32_e32 v23, 0x33a22168, v24
	s_delay_alu instid0(VALU_DEP_1) | instskip(NEXT) | instid1(VALU_DEP_1)
	v_fmac_f32_e32 v23, 0x3fc90fda, v8
	v_add_f32_e32 v8, v28, v23
	s_and_not1_saveexec_b32 s2, s30
	s_cbranch_execnz .LBB132_26
	s_branch .LBB132_27
.LBB132_25:                             ;   in Loop: Header=BB132_4 Depth=1
	s_and_not1_saveexec_b32 s2, s30
.LBB132_26:                             ;   in Loop: Header=BB132_4 Depth=1
	v_mul_f32_e64 v8, 0x3f22f983, |v11|
	s_delay_alu instid0(VALU_DEP_1) | instskip(NEXT) | instid1(VALU_DEP_1)
	v_rndne_f32_e32 v9, v8
	v_fma_f32 v8, 0xbfc90fda, v9, |v11|
	s_delay_alu instid0(VALU_DEP_1) | instskip(NEXT) | instid1(VALU_DEP_1)
	v_fmac_f32_e32 v8, 0xb3a22168, v9
	v_fmac_f32_e32 v8, 0xa7c234c4, v9
	v_cvt_i32_f32_e32 v9, v9
.LBB132_27:                             ;   in Loop: Header=BB132_4 Depth=1
	s_or_b32 exec_lo, exec_lo, s2
	v_add_f32_e32 v16, 0xc322e3bc, v10
	s_delay_alu instid0(VALU_DEP_2) | instskip(NEXT) | instid1(VALU_DEP_2)
	v_dual_mul_f32 v25, v6, v6 :: v_dual_bitop2_b32 v26, 1, v9 bitop3:0x40
	v_mul_f32_e32 v22, 0x3fb8aa3b, v16
	s_delay_alu instid0(VALU_DEP_1) | instskip(SKIP_1) | instid1(VALU_DEP_2)
	v_fma_f32 v23, 0x3fb8aa3b, v16, -v22
	v_rndne_f32_e32 v24, v22
	v_fmac_f32_e32 v23, 0x32a5705f, v16
	s_delay_alu instid0(VALU_DEP_2) | instskip(NEXT) | instid1(VALU_DEP_1)
	v_sub_f32_e32 v22, v22, v24
	v_add_f32_e32 v22, v22, v23
	v_cvt_i32_f32_e32 v23, v24
	v_dual_lshlrev_b32 v24, 30, v7 :: v_dual_bitop2_b32 v7, 1, v7 bitop3:0x40
	s_delay_alu instid0(VALU_DEP_3) | instskip(SKIP_1) | instid1(TRANS32_DEP_1)
	v_exp_f32_e32 v22, v22
	v_nop
	v_ldexp_f32 v22, v22, v23
	v_mul_f32_e32 v23, v8, v8
	v_cmp_ngt_f32_e32 vcc_lo, 0xc2ce8ed0, v16
	v_lshlrev_b32_e32 v9, 30, v9
	v_fmaak_f32 v28, s22, v25, 0x3c0881c4
	v_fmaak_f32 v27, s23, v25, 0xbab64f3b
	;; [unrolled: 1-line block ×3, first 2 shown]
	v_cndmask_b32_e32 v22, 0, v22, vcc_lo
	v_cmp_nlt_f32_e32 vcc_lo, 0x42b17218, v16
	v_and_or_b32 v1, 0x80000000, v9, v1
	s_delay_alu instid0(VALU_DEP_4) | instskip(NEXT) | instid1(VALU_DEP_4)
	v_fmaak_f32 v29, v23, v29, 0xbe2aaa9d
	v_cndmask_b32_e32 v16, 0x7f800000, v22, vcc_lo
	v_fmaak_f32 v22, s23, v23, 0xbab64f3b
	v_fmaak_f32 v9, v25, v27, 0x3d2aabf7
	s_delay_alu instid0(VALU_DEP_4) | instskip(SKIP_3) | instid1(VALU_DEP_3)
	v_mul_f32_e32 v29, v23, v29
	v_fmaak_f32 v27, v25, v28, 0xbe2aaa9d
	v_cmp_eq_u32_e32 vcc_lo, 0, v7
	v_fmaak_f32 v22, v23, v22, 0x3d2aabf7
	v_dual_fmac_f32 v8, v8, v29 :: v_dual_mul_f32 v27, v25, v27
	v_dual_fmaak_f32 v9, v25, v9, 0xbf000004 :: v_dual_lshrrev_b32 v28, 23, v16
	s_delay_alu instid0(VALU_DEP_3) | instskip(NEXT) | instid1(VALU_DEP_3)
	v_fmaak_f32 v22, v23, v22, 0xbf000004
	v_fmac_f32_e32 v6, v6, v27
	s_delay_alu instid0(VALU_DEP_3) | instskip(NEXT) | instid1(VALU_DEP_4)
	v_subrev_nc_u32_e32 v28, 19, v28
	v_fma_f32 v9, v25, v9, 1.0
	s_delay_alu instid0(VALU_DEP_4) | instskip(NEXT) | instid1(VALU_DEP_3)
	v_fma_f32 v22, v23, v22, 1.0
	v_lshrrev_b16 v25, 15, v28
	s_delay_alu instid0(VALU_DEP_1) | instskip(NEXT) | instid1(VALU_DEP_1)
	v_add_nc_u16 v7, v28, v25
	v_ashrrev_i16 v7, 1, v7
	s_delay_alu instid0(VALU_DEP_1) | instskip(SKIP_2) | instid1(VALU_DEP_3)
	v_bfe_i32 v7, v7, 0, 16
	v_cndmask_b32_e64 v6, -v6, v9, vcc_lo
	v_cmp_eq_u32_e32 vcc_lo, 0, v26
	v_lshl_add_u32 v9, v7, 23, 1.0
	v_dual_cndmask_b32 v8, v22, v8 :: v_dual_sub_nc_u32 v7, v28, v7
	s_delay_alu instid0(VALU_DEP_4) | instskip(SKIP_1) | instid1(VALU_DEP_3)
	v_bitop3_b32 v6, v24, v6, 0x80000000 bitop3:0x6c
	v_cmp_class_f32_e64 vcc_lo, v11, 0x1f8
	v_lshl_add_u32 v7, v7, 23, 1.0
	s_delay_alu instid0(VALU_DEP_4) | instskip(SKIP_1) | instid1(VALU_DEP_2)
	v_xor3_b32 v1, v1, v8, v11
	v_and_or_b32 v8, 0x7fffff, v16, s24
	v_cndmask_b32_e32 v1, 0x7fc00000, v1, vcc_lo
	s_delay_alu instid0(VALU_DEP_1) | instskip(NEXT) | instid1(VALU_DEP_1)
	v_dual_cndmask_b32 v6, 0x7fc00000, v6 :: v_dual_mul_f32 v1, v1, v8
	v_dual_mul_f32 v6, v6, v8 :: v_dual_mul_f32 v1, v1, v9
	s_delay_alu instid0(VALU_DEP_1) | instskip(NEXT) | instid1(VALU_DEP_1)
	v_mul_f32_e32 v6, v6, v9
	v_dual_mul_f32 v6, v6, v7 :: v_dual_mul_f32 v7, v1, v7
	s_or_b32 exec_lo, exec_lo, s29
                                        ; implicit-def: $vgpr8
.LBB132_28:                             ;   in Loop: Header=BB132_4 Depth=1
	s_and_not1_saveexec_b32 s2, s28
	s_cbranch_execz .LBB132_32
.LBB132_29:                             ;   in Loop: Header=BB132_4 Depth=1
	v_sub_f32_e32 v7, v11, v11
	s_mov_b32 s3, exec_lo
	v_cmpx_ne_u32_e32 0x7f800000, v8
	s_xor_b32 s3, exec_lo, s3
	s_delay_alu instid0(SALU_CYCLE_1)
	s_or_saveexec_b32 s3, s3
	v_mov_b32_e32 v6, v7
	s_xor_b32 exec_lo, exec_lo, s3
; %bb.30:                               ;   in Loop: Header=BB132_4 Depth=1
	v_cmp_lt_i32_e32 vcc_lo, -1, v10
	v_dual_cndmask_b32 v6, 0, v10 :: v_dual_cndmask_b32 v7, 0, v7
; %bb.31:                               ;   in Loop: Header=BB132_4 Depth=1
	s_or_b32 exec_lo, exec_lo, s3
.LBB132_32:                             ;   in Loop: Header=BB132_4 Depth=1
	s_delay_alu instid0(SALU_CYCLE_1)
	s_or_b32 exec_lo, exec_lo, s2
                                        ; implicit-def: $vgpr1
.LBB132_33:                             ;   in Loop: Header=BB132_4 Depth=1
	s_and_not1_saveexec_b32 s27, s27
	s_cbranch_execz .LBB132_43
; %bb.34:                               ;   in Loop: Header=BB132_4 Depth=1
	v_lshrrev_b32_e32 v6, 23, v1
	v_cmp_ngt_f32_e64 s28, 0x48000000, |v11|
	v_and_or_b32 v16, v1, s21, 0x800000
                                        ; implicit-def: $vgpr7
	s_delay_alu instid0(VALU_DEP_3) | instskip(SKIP_1) | instid1(SALU_CYCLE_1)
	v_add_nc_u32_e32 v8, 0xffffff88, v6
                                        ; implicit-def: $vgpr6
	s_and_saveexec_b32 s2, s28
	s_xor_b32 s29, exec_lo, s2
	s_cbranch_execz .LBB132_36
; %bb.35:                               ;   in Loop: Header=BB132_4 Depth=1
	v_mul_u64_e32 v[6:7], s[12:13], v[16:17]
	v_mov_b32_e32 v23, v17
	v_cmp_lt_u32_e32 vcc_lo, 63, v8
	s_delay_alu instid0(VALU_DEP_3) | instskip(SKIP_1) | instid1(VALU_DEP_2)
	v_dual_mov_b32 v33, v17 :: v_dual_mov_b32 v22, v7
	v_cndmask_b32_e64 v7, 0, 0xffffffc0, vcc_lo
	v_mad_nc_u64_u32 v[22:23], 0x3c439041, v16, v[22:23]
	s_delay_alu instid0(VALU_DEP_2) | instskip(NEXT) | instid1(VALU_DEP_1)
	v_dual_mov_b32 v25, v17 :: v_dual_add_nc_u32 v7, v7, v8
	v_cmp_lt_u32_e64 s2, 31, v7
	s_delay_alu instid0(VALU_DEP_3) | instskip(NEXT) | instid1(VALU_DEP_2)
	v_mov_b32_e32 v24, v23
	v_cndmask_b32_e64 v9, 0, 0xffffffe0, s2
	s_delay_alu instid0(VALU_DEP_2) | instskip(SKIP_1) | instid1(VALU_DEP_3)
	v_mad_nc_u64_u32 v[24:25], 0xdb629599, v16, v[24:25]
	v_mov_b32_e32 v27, v17
	v_add_nc_u32_e32 v7, v9, v7
	s_delay_alu instid0(VALU_DEP_1) | instskip(NEXT) | instid1(VALU_DEP_4)
	v_cmp_lt_u32_e64 s3, 31, v7
	v_mov_b32_e32 v26, v25
	s_delay_alu instid0(VALU_DEP_2) | instskip(SKIP_1) | instid1(VALU_DEP_3)
	v_cndmask_b32_e64 v9, 0, 0xffffffe0, s3
	v_cndmask_b32_e32 v6, v24, v6, vcc_lo
	v_mad_nc_u64_u32 v[26:27], 0xf534ddc0, v16, v[26:27]
	v_mov_b32_e32 v29, v17
	s_delay_alu instid0(VALU_DEP_2) | instskip(NEXT) | instid1(VALU_DEP_1)
	v_dual_add_nc_u32 v7, v9, v7 :: v_dual_cndmask_b32 v9, v26, v22, vcc_lo
	v_dual_mov_b32 v28, v27 :: v_dual_cndmask_b32 v6, v9, v6, s2
	s_delay_alu instid0(VALU_DEP_1) | instskip(NEXT) | instid1(VALU_DEP_1)
	v_mad_nc_u64_u32 v[28:29], 0xfc2757d1, v16, v[28:29]
	v_dual_mov_b32 v31, v17 :: v_dual_mov_b32 v30, v29
	s_delay_alu instid0(VALU_DEP_1) | instskip(NEXT) | instid1(VALU_DEP_1)
	v_mad_nc_u64_u32 v[30:31], 0x4e441529, v16, v[30:31]
	v_mov_b32_e32 v32, v31
	s_delay_alu instid0(VALU_DEP_1) | instskip(NEXT) | instid1(VALU_DEP_3)
	v_mad_nc_u64_u32 v[32:33], 0xa2f9836e, v16, v[32:33]
	v_dual_cndmask_b32 v23, v30, v26 :: v_dual_sub_nc_u32 v26, 32, v7
	s_delay_alu instid0(VALU_DEP_2) | instskip(SKIP_2) | instid1(VALU_DEP_3)
	v_dual_cndmask_b32 v25, v32, v28, vcc_lo :: v_dual_cndmask_b32 v27, v33, v30, vcc_lo
	v_cndmask_b32_e32 v28, v28, v24, vcc_lo
	v_cmp_eq_u32_e32 vcc_lo, 0, v7
	v_dual_cndmask_b32 v22, v25, v23, s2 :: v_dual_cndmask_b32 v25, v27, v25, s2
	s_delay_alu instid0(VALU_DEP_3) | instskip(NEXT) | instid1(VALU_DEP_1)
	v_dual_cndmask_b32 v23, v23, v28, s2 :: v_dual_cndmask_b32 v27, v28, v9, s2
	v_dual_cndmask_b32 v25, v25, v22, s3 :: v_dual_cndmask_b32 v22, v22, v23, s3
	s_delay_alu instid0(VALU_DEP_1) | instskip(NEXT) | instid1(VALU_DEP_1)
	v_alignbit_b32 v28, v25, v22, v26
	v_dual_cndmask_b32 v23, v23, v27, s3 :: v_dual_cndmask_b32 v7, v28, v25, vcc_lo
	s_delay_alu instid0(VALU_DEP_1) | instskip(NEXT) | instid1(VALU_DEP_1)
	v_alignbit_b32 v24, v22, v23, v26
	v_cndmask_b32_e32 v9, v24, v22, vcc_lo
	s_delay_alu instid0(VALU_DEP_3) | instskip(NEXT) | instid1(VALU_DEP_1)
	v_bfe_u32 v22, v7, 29, 1
	v_sub_nc_u32_e32 v25, 0, v22
	s_delay_alu instid0(VALU_DEP_3) | instskip(NEXT) | instid1(VALU_DEP_1)
	v_alignbit_b32 v24, v7, v9, 30
	v_dual_cndmask_b32 v6, v27, v6, s3 :: v_dual_bitop2_b32 v24, v24, v25 bitop3:0x14
	s_delay_alu instid0(VALU_DEP_1) | instskip(NEXT) | instid1(VALU_DEP_1)
	v_alignbit_b32 v26, v23, v6, v26
	v_cndmask_b32_e32 v23, v26, v23, vcc_lo
	s_delay_alu instid0(VALU_DEP_3) | instskip(NEXT) | instid1(VALU_DEP_2)
	v_clz_i32_u32_e32 v26, v24
	v_alignbit_b32 v9, v9, v23, 30
	s_delay_alu instid0(VALU_DEP_2) | instskip(SKIP_1) | instid1(VALU_DEP_2)
	v_min_u32_e32 v26, 32, v26
	v_alignbit_b32 v6, v23, v6, 30
	v_dual_sub_nc_u32 v23, 31, v26 :: v_dual_bitop2_b32 v9, v9, v25 bitop3:0x14
	s_delay_alu instid0(VALU_DEP_2) | instskip(SKIP_1) | instid1(VALU_DEP_3)
	v_dual_lshrrev_b32 v25, 29, v7 :: v_dual_bitop2_b32 v6, v6, v25 bitop3:0x14
	v_dual_lshlrev_b32 v27, 23, v26 :: v_dual_lshrrev_b32 v7, 30, v7
	v_alignbit_b32 v24, v24, v9, v23
	s_delay_alu instid0(VALU_DEP_3) | instskip(NEXT) | instid1(VALU_DEP_3)
	v_alignbit_b32 v6, v9, v6, v23
	v_dual_lshlrev_b32 v9, 31, v25 :: v_dual_add_nc_u32 v7, v22, v7
	s_delay_alu instid0(VALU_DEP_2) | instskip(NEXT) | instid1(VALU_DEP_2)
	v_alignbit_b32 v23, v24, v6, 9
	v_dual_lshrrev_b32 v24, 9, v24 :: v_dual_bitop2_b32 v25, 0.5, v9 bitop3:0x54
	v_or_b32_e32 v9, 0x33000000, v9
	s_delay_alu instid0(VALU_DEP_3) | instskip(NEXT) | instid1(VALU_DEP_3)
	v_clz_i32_u32_e32 v28, v23
	v_sub_nc_u32_e32 v25, v25, v27
	s_delay_alu instid0(VALU_DEP_2) | instskip(NEXT) | instid1(VALU_DEP_1)
	v_min_u32_e32 v27, 32, v28
	v_add_lshl_u32 v26, v27, v26, 23
	s_delay_alu instid0(VALU_DEP_3) | instskip(SKIP_1) | instid1(VALU_DEP_2)
	v_or_b32_e32 v24, v24, v25
	v_not_b32_e32 v25, v27
	v_dual_mul_f32 v28, 0x3fc90fda, v24 :: v_dual_sub_nc_u32 v9, v9, v26
	s_delay_alu instid0(VALU_DEP_2) | instskip(NEXT) | instid1(VALU_DEP_2)
	v_alignbit_b32 v6, v23, v6, v25
	v_fma_f32 v23, 0x3fc90fda, v24, -v28
	s_delay_alu instid0(VALU_DEP_1) | instskip(NEXT) | instid1(VALU_DEP_1)
	v_dual_fmac_f32 v23, 0x33a22168, v24 :: v_dual_lshrrev_b32 v6, 9, v6
	v_or_b32_e32 v6, v9, v6
	s_delay_alu instid0(VALU_DEP_1) | instskip(NEXT) | instid1(VALU_DEP_1)
	v_fmac_f32_e32 v23, 0x3fc90fda, v6
	v_add_f32_e32 v6, v28, v23
.LBB132_36:                             ;   in Loop: Header=BB132_4 Depth=1
	s_or_saveexec_b32 s2, s29
	v_mul_f32_e64 v9, 0x3f22f983, |v11|
	s_delay_alu instid0(VALU_DEP_1)
	v_rndne_f32_e32 v23, v9
	s_xor_b32 exec_lo, exec_lo, s2
; %bb.37:                               ;   in Loop: Header=BB132_4 Depth=1
	s_delay_alu instid0(VALU_DEP_1) | instskip(SKIP_1) | instid1(VALU_DEP_2)
	v_fma_f32 v6, 0xbfc90fda, v23, |v11|
	v_cvt_i32_f32_e32 v7, v23
	v_fmac_f32_e32 v6, 0xb3a22168, v23
	s_delay_alu instid0(VALU_DEP_1)
	v_fmac_f32_e32 v6, 0xa7c234c4, v23
; %bb.38:                               ;   in Loop: Header=BB132_4 Depth=1
	s_or_b32 exec_lo, exec_lo, s2
                                        ; implicit-def: $vgpr22
                                        ; implicit-def: $vgpr9
	s_and_saveexec_b32 s2, s28
	s_delay_alu instid0(SALU_CYCLE_1)
	s_xor_b32 s28, exec_lo, s2
	s_cbranch_execz .LBB132_40
; %bb.39:                               ;   in Loop: Header=BB132_4 Depth=1
	v_mul_u64_e32 v[22:23], s[12:13], v[16:17]
	v_mov_b32_e32 v25, v17
	v_cmp_lt_u32_e32 vcc_lo, 63, v8
	v_cndmask_b32_e64 v9, 0, 0xffffffc0, vcc_lo
	s_delay_alu instid0(VALU_DEP_4) | instskip(NEXT) | instid1(VALU_DEP_1)
	v_mov_b32_e32 v24, v23
	v_mad_nc_u64_u32 v[24:25], 0x3c439041, v16, v[24:25]
	s_delay_alu instid0(VALU_DEP_1) | instskip(NEXT) | instid1(VALU_DEP_1)
	v_dual_mov_b32 v27, v17 :: v_dual_mov_b32 v26, v25
	v_mad_nc_u64_u32 v[26:27], 0xdb629599, v16, v[26:27]
	s_delay_alu instid0(VALU_DEP_1) | instskip(NEXT) | instid1(VALU_DEP_1)
	v_dual_mov_b32 v29, v17 :: v_dual_mov_b32 v28, v27
	;; [unrolled: 3-line block ×3, first 2 shown]
	v_mad_nc_u64_u32 v[30:31], 0xfc2757d1, v16, v[30:31]
	v_mov_b32_e32 v33, v17
	s_delay_alu instid0(VALU_DEP_2) | instskip(NEXT) | instid1(VALU_DEP_3)
	v_dual_mov_b32 v32, v31 :: v_dual_add_nc_u32 v23, v9, v8
	v_cndmask_b32_e32 v27, v30, v26, vcc_lo
	s_delay_alu instid0(VALU_DEP_2) | instskip(NEXT) | instid1(VALU_DEP_1)
	v_mad_nc_u64_u32 v[32:33], 0x4e441529, v16, v[32:33]
	v_dual_mov_b32 v9, v17 :: v_dual_mov_b32 v8, v33
	s_delay_alu instid0(VALU_DEP_1) | instskip(NEXT) | instid1(VALU_DEP_1)
	v_mad_nc_u64_u32 v[8:9], 0xa2f9836e, v16, v[8:9]
	v_cndmask_b32_e32 v8, v8, v30, vcc_lo
	v_cmp_lt_u32_e64 s2, 31, v23
	s_delay_alu instid0(VALU_DEP_3) | instskip(NEXT) | instid1(VALU_DEP_2)
	v_cndmask_b32_e32 v9, v9, v32, vcc_lo
	v_cndmask_b32_e64 v25, 0, 0xffffffe0, s2
	s_delay_alu instid0(VALU_DEP_1) | instskip(NEXT) | instid1(VALU_DEP_1)
	v_dual_cndmask_b32 v25, v32, v28 :: v_dual_add_nc_u32 v16, v25, v23
	v_cmp_lt_u32_e64 s3, 31, v16
	s_delay_alu instid0(VALU_DEP_1) | instskip(NEXT) | instid1(VALU_DEP_1)
	v_cndmask_b32_e64 v23, 0, 0xffffffe0, s3
	v_add_nc_u32_e32 v16, v23, v16
	v_cndmask_b32_e32 v23, v28, v24, vcc_lo
	v_dual_cndmask_b32 v24, v8, v25, s2 :: v_dual_cndmask_b32 v8, v9, v8, s2
	s_delay_alu instid0(VALU_DEP_3) | instskip(NEXT) | instid1(VALU_DEP_2)
	v_dual_cndmask_b32 v9, v25, v27, s2 :: v_dual_sub_nc_u32 v25, 32, v16
	v_dual_cndmask_b32 v27, v27, v23, s2 :: v_dual_cndmask_b32 v8, v8, v24, s3
	s_delay_alu instid0(VALU_DEP_1) | instskip(NEXT) | instid1(VALU_DEP_1)
	v_dual_cndmask_b32 v24, v24, v9, s3 :: v_dual_cndmask_b32 v9, v9, v27, s3
	v_alignbit_b32 v28, v8, v24, v25
	v_cndmask_b32_e32 v22, v26, v22, vcc_lo
	v_cmp_eq_u32_e32 vcc_lo, 0, v16
	s_delay_alu instid0(VALU_DEP_4) | instskip(NEXT) | instid1(VALU_DEP_3)
	v_alignbit_b32 v26, v24, v9, v25
	v_dual_cndmask_b32 v8, v28, v8, vcc_lo :: v_dual_cndmask_b32 v16, v23, v22, s2
	s_delay_alu instid0(VALU_DEP_2) | instskip(NEXT) | instid1(VALU_DEP_2)
	v_cndmask_b32_e32 v22, v26, v24, vcc_lo
	v_bfe_u32 v23, v8, 29, 1
	s_delay_alu instid0(VALU_DEP_3) | instskip(NEXT) | instid1(VALU_DEP_3)
	v_cndmask_b32_e64 v16, v27, v16, s3
	v_alignbit_b32 v24, v8, v22, 30
	s_delay_alu instid0(VALU_DEP_3) | instskip(NEXT) | instid1(VALU_DEP_3)
	v_sub_nc_u32_e32 v26, 0, v23
	v_alignbit_b32 v25, v9, v16, v25
	s_delay_alu instid0(VALU_DEP_1) | instskip(NEXT) | instid1(VALU_DEP_1)
	v_dual_cndmask_b32 v9, v25, v9, vcc_lo :: v_dual_bitop2_b32 v24, v24, v26 bitop3:0x14
	v_clz_i32_u32_e32 v25, v24
	s_delay_alu instid0(VALU_DEP_2) | instskip(SKIP_1) | instid1(VALU_DEP_3)
	v_alignbit_b32 v22, v22, v9, 30
	v_alignbit_b32 v9, v9, v16, 30
	v_min_u32_e32 v25, 32, v25
	s_delay_alu instid0(VALU_DEP_3) | instskip(NEXT) | instid1(VALU_DEP_3)
	v_xor_b32_e32 v16, v22, v26
	v_dual_lshrrev_b32 v26, 29, v8 :: v_dual_bitop2_b32 v9, v9, v26 bitop3:0x14
	s_delay_alu instid0(VALU_DEP_3) | instskip(SKIP_1) | instid1(VALU_DEP_2)
	v_dual_lshrrev_b32 v8, 30, v8 :: v_dual_sub_nc_u32 v22, 31, v25
	v_lshlrev_b32_e32 v27, 23, v25
	v_alignbit_b32 v24, v24, v16, v22
	s_delay_alu instid0(VALU_DEP_4) | instskip(SKIP_1) | instid1(VALU_DEP_2)
	v_alignbit_b32 v9, v16, v9, v22
	v_lshlrev_b32_e32 v16, 31, v26
	v_alignbit_b32 v22, v24, v9, 9
	s_delay_alu instid0(VALU_DEP_2) | instskip(SKIP_2) | instid1(VALU_DEP_4)
	v_or_b32_e32 v26, 0.5, v16
	v_lshrrev_b32_e32 v24, 9, v24
	v_or_b32_e32 v16, 0x33000000, v16
	v_clz_i32_u32_e32 v28, v22
	s_delay_alu instid0(VALU_DEP_4) | instskip(NEXT) | instid1(VALU_DEP_2)
	v_sub_nc_u32_e32 v26, v26, v27
	v_min_u32_e32 v27, 32, v28
	s_delay_alu instid0(VALU_DEP_2) | instskip(NEXT) | instid1(VALU_DEP_2)
	v_or_b32_e32 v24, v24, v26
	v_not_b32_e32 v26, v27
	v_add_lshl_u32 v25, v27, v25, 23
	s_delay_alu instid0(VALU_DEP_2) | instskip(NEXT) | instid1(VALU_DEP_2)
	v_alignbit_b32 v9, v22, v9, v26
	v_sub_nc_u32_e32 v16, v16, v25
	s_delay_alu instid0(VALU_DEP_2) | instskip(NEXT) | instid1(VALU_DEP_1)
	v_dual_mul_f32 v28, 0x3fc90fda, v24 :: v_dual_lshrrev_b32 v9, 9, v9
	v_or_b32_e32 v9, v16, v9
	s_delay_alu instid0(VALU_DEP_2) | instskip(NEXT) | instid1(VALU_DEP_1)
	v_fma_f32 v22, 0x3fc90fda, v24, -v28
	v_fmac_f32_e32 v22, 0x33a22168, v24
	s_delay_alu instid0(VALU_DEP_1) | instskip(NEXT) | instid1(VALU_DEP_1)
	v_fmac_f32_e32 v22, 0x3fc90fda, v9
	v_dual_add_f32 v9, v28, v22 :: v_dual_add_nc_u32 v22, v23, v8
                                        ; implicit-def: $vgpr23
	s_and_not1_saveexec_b32 s2, s28
	s_cbranch_execnz .LBB132_41
	s_branch .LBB132_42
.LBB132_40:                             ;   in Loop: Header=BB132_4 Depth=1
	s_and_not1_saveexec_b32 s2, s28
.LBB132_41:                             ;   in Loop: Header=BB132_4 Depth=1
	v_fma_f32 v9, 0xbfc90fda, v23, |v11|
	v_cvt_i32_f32_e32 v22, v23
	s_delay_alu instid0(VALU_DEP_2) | instskip(NEXT) | instid1(VALU_DEP_1)
	v_fmac_f32_e32 v9, 0xb3a22168, v23
	v_fmac_f32_e32 v9, 0xa7c234c4, v23
.LBB132_42:                             ;   in Loop: Header=BB132_4 Depth=1
	s_or_b32 exec_lo, exec_lo, s2
	s_delay_alu instid0(VALU_DEP_1) | instskip(SKIP_1) | instid1(VALU_DEP_2)
	v_dual_mul_f32 v8, v6, v6 :: v_dual_mul_f32 v16, v9, v9
	v_dual_lshlrev_b32 v7, 30, v7 :: v_dual_bitop2_b32 v23, 1, v7 bitop3:0x40
	v_fmaak_f32 v26, s22, v16, 0x3c0881c4
	v_fmaak_f32 v27, s23, v16, 0xbab64f3b
	s_delay_alu instid0(VALU_DEP_3) | instskip(NEXT) | instid1(VALU_DEP_3)
	v_cmp_eq_u32_e32 vcc_lo, 0, v23
	v_fmaak_f32 v26, v16, v26, 0xbe2aaa9d
	s_delay_alu instid0(VALU_DEP_1) | instskip(NEXT) | instid1(VALU_DEP_1)
	v_dual_fmaak_f32 v25, s23, v8, 0xbab64f3b :: v_dual_mul_f32 v26, v16, v26
	v_dual_fmaak_f32 v24, s22, v8, 0x3c0881c4 :: v_dual_fmac_f32 v9, v9, v26
	s_delay_alu instid0(VALU_DEP_1) | instskip(NEXT) | instid1(VALU_DEP_1)
	v_fmaak_f32 v24, v8, v24, 0xbe2aaa9d
	v_dual_fmaak_f32 v25, v8, v25, 0x3d2aabf7 :: v_dual_mul_f32 v24, v8, v24
	s_delay_alu instid0(VALU_DEP_1) | instskip(NEXT) | instid1(VALU_DEP_1)
	v_dual_fmaak_f32 v25, v8, v25, 0xbf000004 :: v_dual_fmac_f32 v6, v6, v24
	v_fma_f32 v8, v8, v25, 1.0
	v_dual_lshlrev_b32 v22, 30, v22 :: v_dual_bitop2_b32 v28, 1, v22 bitop3:0x40
	v_fmaak_f32 v27, v16, v27, 0x3d2aabf7
	s_delay_alu instid0(VALU_DEP_3) | instskip(NEXT) | instid1(VALU_DEP_3)
	v_cndmask_b32_e64 v6, -v6, v8, vcc_lo
	v_cmp_eq_u32_e32 vcc_lo, 0, v28
	s_delay_alu instid0(VALU_DEP_4) | instskip(NEXT) | instid1(VALU_DEP_4)
	v_and_or_b32 v1, 0x80000000, v22, v1
	v_fmaak_f32 v27, v16, v27, 0xbf000004
	s_delay_alu instid0(VALU_DEP_4) | instskip(NEXT) | instid1(VALU_DEP_2)
	v_bitop3_b32 v6, v7, v6, 0x80000000 bitop3:0x6c
	v_fma_f32 v16, v16, v27, 1.0
	s_delay_alu instid0(VALU_DEP_1) | instskip(SKIP_1) | instid1(VALU_DEP_2)
	v_cndmask_b32_e32 v8, v16, v9, vcc_lo
	v_cmp_class_f32_e64 vcc_lo, v11, 0x1f8
	v_xor3_b32 v1, v1, v8, v11
	v_cndmask_b32_e32 v6, 0x7fc00000, v6, vcc_lo
	s_delay_alu instid0(VALU_DEP_2)
	v_cndmask_b32_e32 v7, 0x7fc00000, v1, vcc_lo
.LBB132_43:                             ;   in Loop: Header=BB132_4 Depth=1
	s_or_b32 exec_lo, exec_lo, s27
.LBB132_44:                             ;   in Loop: Header=BB132_4 Depth=1
	s_and_not1_saveexec_b32 s2, s26
	s_cbranch_execz .LBB132_46
; %bb.45:                               ;   in Loop: Header=BB132_4 Depth=1
	v_mul_f32_e32 v1, 0x3fb8aa3b, v10
	v_cmp_ngt_f32_e32 vcc_lo, 0xc2ce8ed0, v10
	s_delay_alu instid0(VALU_DEP_2) | instskip(SKIP_1) | instid1(VALU_DEP_2)
	v_rndne_f32_e32 v6, v1
	v_fma_f32 v7, 0x3fb8aa3b, v10, -v1
	v_sub_f32_e32 v1, v1, v6
	s_delay_alu instid0(VALU_DEP_2) | instskip(SKIP_1) | instid1(VALU_DEP_2)
	v_fmac_f32_e32 v7, 0x32a5705f, v10
	v_cvt_i32_f32_e32 v6, v6
	v_dual_add_f32 v1, v1, v7 :: v_dual_mov_b32 v7, v11
	s_delay_alu instid0(VALU_DEP_1) | instskip(SKIP_1) | instid1(TRANS32_DEP_1)
	v_exp_f32_e32 v1, v1
	v_nop
	v_ldexp_f32 v1, v1, v6
	s_delay_alu instid0(VALU_DEP_1) | instskip(SKIP_1) | instid1(VALU_DEP_2)
	v_cndmask_b32_e32 v1, 0, v1, vcc_lo
	v_cmp_nlt_f32_e32 vcc_lo, 0x42b17218, v10
	v_cndmask_b32_e32 v6, 0x7f800000, v1, vcc_lo
.LBB132_46:                             ;   in Loop: Header=BB132_4 Depth=1
	s_or_b32 exec_lo, exec_lo, s2
	v_and_b32_e32 v1, 0x7fffffff, v13
	s_mov_b32 s2, exec_lo
	s_delay_alu instid0(VALU_DEP_1)
	v_cmpx_ne_u32_e32 0, v1
	s_xor_b32 s26, exec_lo, s2
	s_cbranch_execz .LBB132_88
; %bb.47:                               ;   in Loop: Header=BB132_4 Depth=1
	v_and_b32_e32 v10, 0x7fffffff, v12
	s_mov_b32 s2, exec_lo
	s_delay_alu instid0(VALU_DEP_1)
	v_cmpx_ne_u32_e32 0, v10
	s_xor_b32 s27, exec_lo, s2
	s_cbranch_execz .LBB132_77
; %bb.48:                               ;   in Loop: Header=BB132_4 Depth=1
	s_mov_b32 s2, exec_lo
	v_cmpx_gt_u32_e32 0x7f800000, v1
	s_xor_b32 s28, exec_lo, s2
	s_cbranch_execz .LBB132_70
; %bb.49:                               ;   in Loop: Header=BB132_4 Depth=1
	v_add_nc_u32_e32 v8, 0xbd4e8de8, v12
	s_mov_b32 s2, exec_lo
	s_delay_alu instid0(VALU_DEP_1)
	v_cmpx_lt_u32_e32 0x8e8e5c, v8
	s_xor_b32 s29, exec_lo, s2
	s_cbranch_execz .LBB132_59
; %bb.50:                               ;   in Loop: Header=BB132_4 Depth=1
	v_cmp_ngt_f32_e64 s30, 0x48000000, |v13|
                                        ; implicit-def: $vgpr9
                                        ; implicit-def: $vgpr8
	s_and_saveexec_b32 s2, s30
	s_delay_alu instid0(SALU_CYCLE_1)
	s_xor_b32 s31, exec_lo, s2
	s_cbranch_execz .LBB132_52
; %bb.51:                               ;   in Loop: Header=BB132_4 Depth=1
	v_and_or_b32 v16, v1, s21, 0x800000
	v_dual_mov_b32 v29, v17 :: v_dual_mov_b32 v31, v17
	s_delay_alu instid0(VALU_DEP_2) | instskip(NEXT) | instid1(VALU_DEP_1)
	v_mul_u64_e32 v[8:9], s[12:13], v[16:17]
	v_dual_mov_b32 v11, v17 :: v_dual_mov_b32 v10, v9
	v_lshrrev_b32_e32 v9, 23, v1
	s_delay_alu instid0(VALU_DEP_2) | instskip(SKIP_1) | instid1(VALU_DEP_3)
	v_mad_nc_u64_u32 v[10:11], 0x3c439041, v16, v[10:11]
	v_mov_b32_e32 v23, v17
	v_add_nc_u32_e32 v9, 0xffffff88, v9
	s_delay_alu instid0(VALU_DEP_1) | instskip(NEXT) | instid1(VALU_DEP_4)
	v_cmp_lt_u32_e32 vcc_lo, 63, v9
	v_mov_b32_e32 v22, v11
	v_cndmask_b32_e64 v11, 0, 0xffffffc0, vcc_lo
	s_delay_alu instid0(VALU_DEP_2) | instskip(NEXT) | instid1(VALU_DEP_2)
	v_mad_nc_u64_u32 v[22:23], 0xdb629599, v16, v[22:23]
	v_dual_mov_b32 v25, v17 :: v_dual_add_nc_u32 v9, v11, v9
	s_delay_alu instid0(VALU_DEP_1) | instskip(NEXT) | instid1(VALU_DEP_3)
	v_cmp_lt_u32_e64 s2, 31, v9
	v_mov_b32_e32 v24, v23
	s_delay_alu instid0(VALU_DEP_2) | instskip(NEXT) | instid1(VALU_DEP_2)
	v_cndmask_b32_e64 v11, 0, 0xffffffe0, s2
	v_mad_nc_u64_u32 v[24:25], 0xf534ddc0, v16, v[24:25]
	s_delay_alu instid0(VALU_DEP_2) | instskip(NEXT) | instid1(VALU_DEP_1)
	v_dual_mov_b32 v27, v17 :: v_dual_add_nc_u32 v9, v11, v9
	v_cmp_lt_u32_e64 s3, 31, v9
	s_delay_alu instid0(VALU_DEP_3) | instskip(NEXT) | instid1(VALU_DEP_2)
	v_mov_b32_e32 v26, v25
	v_cndmask_b32_e64 v11, 0, 0xffffffe0, s3
	v_cndmask_b32_e32 v10, v24, v10, vcc_lo
	s_delay_alu instid0(VALU_DEP_3) | instskip(NEXT) | instid1(VALU_DEP_3)
	v_mad_nc_u64_u32 v[26:27], 0xfc2757d1, v16, v[26:27]
	v_add_nc_u32_e32 v9, v11, v9
	s_delay_alu instid0(VALU_DEP_2) | instskip(NEXT) | instid1(VALU_DEP_1)
	v_mov_b32_e32 v28, v27
	v_mad_nc_u64_u32 v[28:29], 0x4e441529, v16, v[28:29]
	s_delay_alu instid0(VALU_DEP_1) | instskip(NEXT) | instid1(VALU_DEP_1)
	v_mov_b32_e32 v30, v29
	v_mad_nc_u64_u32 v[30:31], 0xa2f9836e, v16, v[30:31]
	s_delay_alu instid0(VALU_DEP_3) | instskip(NEXT) | instid1(VALU_DEP_2)
	v_dual_cndmask_b32 v16, v28, v24, vcc_lo :: v_dual_sub_nc_u32 v24, 32, v9
	v_dual_cndmask_b32 v23, v30, v26, vcc_lo :: v_dual_cndmask_b32 v25, v31, v28, vcc_lo
	s_delay_alu instid0(VALU_DEP_1) | instskip(NEXT) | instid1(VALU_DEP_1)
	v_dual_cndmask_b32 v26, v26, v22, vcc_lo :: v_dual_cndmask_b32 v11, v23, v16, s2
	v_dual_cndmask_b32 v23, v25, v23, s2 :: v_dual_cndmask_b32 v16, v16, v26, s2
	s_delay_alu instid0(VALU_DEP_1) | instskip(NEXT) | instid1(VALU_DEP_1)
	v_dual_cndmask_b32 v25, v26, v10, s2 :: v_dual_cndmask_b32 v23, v23, v11, s3
	v_dual_cndmask_b32 v11, v11, v16, s3 :: v_dual_cndmask_b32 v16, v16, v25, s3
	v_cndmask_b32_e32 v8, v22, v8, vcc_lo
	v_cmp_eq_u32_e32 vcc_lo, 0, v9
	s_delay_alu instid0(VALU_DEP_3) | instskip(NEXT) | instid1(VALU_DEP_4)
	v_alignbit_b32 v26, v23, v11, v24
	v_alignbit_b32 v22, v11, v16, v24
	s_delay_alu instid0(VALU_DEP_4) | instskip(NEXT) | instid1(VALU_DEP_3)
	v_cndmask_b32_e64 v8, v10, v8, s2
	v_cndmask_b32_e32 v9, v26, v23, vcc_lo
	s_delay_alu instid0(VALU_DEP_2) | instskip(NEXT) | instid1(VALU_DEP_2)
	v_dual_cndmask_b32 v10, v22, v11, vcc_lo :: v_dual_cndmask_b32 v8, v25, v8, s3
	v_bfe_u32 v11, v9, 29, 1
	s_delay_alu instid0(VALU_DEP_2) | instskip(NEXT) | instid1(VALU_DEP_3)
	v_alignbit_b32 v22, v9, v10, 30
	v_alignbit_b32 v24, v16, v8, v24
	s_delay_alu instid0(VALU_DEP_1) | instskip(NEXT) | instid1(VALU_DEP_1)
	v_dual_cndmask_b32 v16, v24, v16 :: v_dual_sub_nc_u32 v23, 0, v11
	v_xor_b32_e32 v22, v22, v23
	s_delay_alu instid0(VALU_DEP_2) | instskip(SKIP_1) | instid1(VALU_DEP_3)
	v_alignbit_b32 v10, v10, v16, 30
	v_alignbit_b32 v8, v16, v8, 30
	v_clz_i32_u32_e32 v24, v22
	s_delay_alu instid0(VALU_DEP_2) | instskip(NEXT) | instid1(VALU_DEP_2)
	v_xor_b32_e32 v8, v8, v23
	v_min_u32_e32 v24, 32, v24
	v_dual_lshrrev_b32 v23, 29, v9 :: v_dual_bitop2_b32 v10, v10, v23 bitop3:0x14
	s_delay_alu instid0(VALU_DEP_2) | instskip(NEXT) | instid1(VALU_DEP_1)
	v_dual_lshrrev_b32 v9, 30, v9 :: v_dual_sub_nc_u32 v16, 31, v24
	v_dual_lshlrev_b32 v25, 23, v24 :: v_dual_add_nc_u32 v9, v11, v9
	s_delay_alu instid0(VALU_DEP_2) | instskip(SKIP_2) | instid1(VALU_DEP_2)
	v_alignbit_b32 v22, v22, v10, v16
	v_alignbit_b32 v8, v10, v8, v16
	v_lshlrev_b32_e32 v10, 31, v23
	v_alignbit_b32 v16, v22, v8, 9
	s_delay_alu instid0(VALU_DEP_2) | instskip(SKIP_2) | instid1(VALU_DEP_4)
	v_or_b32_e32 v23, 0.5, v10
	v_lshrrev_b32_e32 v22, 9, v22
	v_or_b32_e32 v10, 0x33000000, v10
	v_clz_i32_u32_e32 v26, v16
	s_delay_alu instid0(VALU_DEP_4) | instskip(NEXT) | instid1(VALU_DEP_2)
	v_sub_nc_u32_e32 v23, v23, v25
	v_min_u32_e32 v25, 32, v26
	s_delay_alu instid0(VALU_DEP_2) | instskip(NEXT) | instid1(VALU_DEP_2)
	v_or_b32_e32 v22, v22, v23
	v_not_b32_e32 v23, v25
	v_add_lshl_u32 v24, v25, v24, 23
	s_delay_alu instid0(VALU_DEP_2) | instskip(NEXT) | instid1(VALU_DEP_2)
	v_alignbit_b32 v8, v16, v8, v23
	v_sub_nc_u32_e32 v10, v10, v24
	s_delay_alu instid0(VALU_DEP_2) | instskip(SKIP_1) | instid1(VALU_DEP_2)
	v_lshrrev_b32_e32 v8, 9, v8
	v_mul_f32_e32 v26, 0x3fc90fda, v22
	v_or_b32_e32 v8, v10, v8
	s_delay_alu instid0(VALU_DEP_2) | instskip(NEXT) | instid1(VALU_DEP_1)
	v_fma_f32 v16, 0x3fc90fda, v22, -v26
	v_fmac_f32_e32 v16, 0x33a22168, v22
	s_delay_alu instid0(VALU_DEP_1) | instskip(NEXT) | instid1(VALU_DEP_1)
	v_fmac_f32_e32 v16, 0x3fc90fda, v8
	v_add_f32_e32 v8, v26, v16
	s_and_not1_saveexec_b32 s2, s31
	s_branch .LBB132_53
.LBB132_52:                             ;   in Loop: Header=BB132_4 Depth=1
	s_and_not1_saveexec_b32 s2, s31
.LBB132_53:                             ;   in Loop: Header=BB132_4 Depth=1
	v_mul_f32_e64 v8, 0x3f22f983, |v13|
	s_delay_alu instid0(VALU_DEP_1) | instskip(NEXT) | instid1(VALU_DEP_1)
	v_rndne_f32_e32 v9, v8
	v_fma_f32 v8, 0xbfc90fda, v9, |v13|
	s_delay_alu instid0(VALU_DEP_1) | instskip(NEXT) | instid1(VALU_DEP_1)
	v_fmac_f32_e32 v8, 0xb3a22168, v9
	v_fmac_f32_e32 v8, 0xa7c234c4, v9
	v_cvt_i32_f32_e32 v9, v9
; %bb.54:                               ;   in Loop: Header=BB132_4 Depth=1
	s_or_b32 exec_lo, exec_lo, s2
                                        ; implicit-def: $vgpr11
                                        ; implicit-def: $vgpr10
	s_and_saveexec_b32 s2, s30
	s_delay_alu instid0(SALU_CYCLE_1)
	s_xor_b32 s30, exec_lo, s2
	s_cbranch_execz .LBB132_56
; %bb.55:                               ;   in Loop: Header=BB132_4 Depth=1
	v_and_or_b32 v16, v1, s21, 0x800000
	v_dual_mov_b32 v31, v17 :: v_dual_mov_b32 v33, v17
	s_delay_alu instid0(VALU_DEP_2) | instskip(NEXT) | instid1(VALU_DEP_1)
	v_mul_u64_e32 v[10:11], s[12:13], v[16:17]
	v_dual_mov_b32 v23, v17 :: v_dual_mov_b32 v22, v11
	v_lshrrev_b32_e32 v11, 23, v1
	s_delay_alu instid0(VALU_DEP_2) | instskip(SKIP_1) | instid1(VALU_DEP_3)
	v_mad_nc_u64_u32 v[22:23], 0x3c439041, v16, v[22:23]
	v_mov_b32_e32 v25, v17
	v_add_nc_u32_e32 v11, 0xffffff88, v11
	s_delay_alu instid0(VALU_DEP_1) | instskip(NEXT) | instid1(VALU_DEP_4)
	v_cmp_lt_u32_e32 vcc_lo, 63, v11
	v_mov_b32_e32 v24, v23
	v_cndmask_b32_e64 v23, 0, 0xffffffc0, vcc_lo
	s_delay_alu instid0(VALU_DEP_2) | instskip(NEXT) | instid1(VALU_DEP_2)
	v_mad_nc_u64_u32 v[24:25], 0xdb629599, v16, v[24:25]
	v_dual_mov_b32 v27, v17 :: v_dual_add_nc_u32 v11, v23, v11
	s_delay_alu instid0(VALU_DEP_1) | instskip(NEXT) | instid1(VALU_DEP_3)
	v_cmp_lt_u32_e64 s2, 31, v11
	v_mov_b32_e32 v26, v25
	s_delay_alu instid0(VALU_DEP_2) | instskip(SKIP_1) | instid1(VALU_DEP_3)
	v_cndmask_b32_e64 v23, 0, 0xffffffe0, s2
	v_cndmask_b32_e32 v10, v24, v10, vcc_lo
	v_mad_nc_u64_u32 v[26:27], 0xf534ddc0, v16, v[26:27]
	s_delay_alu instid0(VALU_DEP_1) | instskip(NEXT) | instid1(VALU_DEP_1)
	v_dual_mov_b32 v29, v17 :: v_dual_mov_b32 v28, v27
	v_mad_nc_u64_u32 v[28:29], 0xfc2757d1, v16, v[28:29]
	s_delay_alu instid0(VALU_DEP_1) | instskip(NEXT) | instid1(VALU_DEP_1)
	v_dual_mov_b32 v30, v29 :: v_dual_add_nc_u32 v11, v23, v11
	v_mad_nc_u64_u32 v[30:31], 0x4e441529, v16, v[30:31]
	s_delay_alu instid0(VALU_DEP_1) | instskip(NEXT) | instid1(VALU_DEP_1)
	v_dual_mov_b32 v32, v31 :: v_dual_cndmask_b32 v23, v30, v26
	v_mad_nc_u64_u32 v[32:33], 0xa2f9836e, v16, v[32:33]
	s_delay_alu instid0(VALU_DEP_1) | instskip(SKIP_1) | instid1(VALU_DEP_3)
	v_cndmask_b32_e32 v25, v32, v28, vcc_lo
	v_cmp_lt_u32_e64 s3, 31, v11
	v_dual_cndmask_b32 v27, v33, v30 :: v_dual_cndmask_b32 v28, v28, v24
	s_delay_alu instid0(VALU_DEP_2) | instskip(NEXT) | instid1(VALU_DEP_1)
	v_cndmask_b32_e64 v16, 0, 0xffffffe0, s3
	v_dual_cndmask_b32 v16, v26, v22 :: v_dual_add_nc_u32 v11, v16, v11
	s_delay_alu instid0(VALU_DEP_3) | instskip(NEXT) | instid1(VALU_DEP_2)
	v_dual_cndmask_b32 v22, v25, v23, s2 :: v_dual_cndmask_b32 v25, v27, v25, s2
	v_dual_cndmask_b32 v23, v23, v28, s2 :: v_dual_sub_nc_u32 v26, 32, v11
	s_delay_alu instid0(VALU_DEP_3) | instskip(SKIP_1) | instid1(VALU_DEP_3)
	v_cndmask_b32_e64 v27, v28, v16, s2
	v_cmp_eq_u32_e32 vcc_lo, 0, v11
	v_dual_cndmask_b32 v25, v25, v22, s3 :: v_dual_cndmask_b32 v22, v22, v23, s3
	s_delay_alu instid0(VALU_DEP_1) | instskip(NEXT) | instid1(VALU_DEP_1)
	v_alignbit_b32 v28, v25, v22, v26
	v_dual_cndmask_b32 v23, v23, v27, s3 :: v_dual_cndmask_b32 v11, v28, v25, vcc_lo
	s_delay_alu instid0(VALU_DEP_1) | instskip(SKIP_1) | instid1(VALU_DEP_2)
	v_alignbit_b32 v24, v22, v23, v26
	v_cndmask_b32_e64 v10, v16, v10, s2
	v_cndmask_b32_e32 v16, v24, v22, vcc_lo
	s_delay_alu instid0(VALU_DEP_4) | instskip(NEXT) | instid1(VALU_DEP_1)
	v_bfe_u32 v22, v11, 29, 1
	v_sub_nc_u32_e32 v25, 0, v22
	s_delay_alu instid0(VALU_DEP_3) | instskip(NEXT) | instid1(VALU_DEP_1)
	v_alignbit_b32 v24, v11, v16, 30
	v_dual_cndmask_b32 v10, v27, v10, s3 :: v_dual_bitop2_b32 v24, v24, v25 bitop3:0x14
	s_delay_alu instid0(VALU_DEP_1) | instskip(NEXT) | instid1(VALU_DEP_1)
	v_alignbit_b32 v26, v23, v10, v26
	v_cndmask_b32_e32 v23, v26, v23, vcc_lo
	s_delay_alu instid0(VALU_DEP_3) | instskip(NEXT) | instid1(VALU_DEP_2)
	v_clz_i32_u32_e32 v26, v24
	v_alignbit_b32 v16, v16, v23, 30
	s_delay_alu instid0(VALU_DEP_2) | instskip(SKIP_1) | instid1(VALU_DEP_2)
	v_min_u32_e32 v26, 32, v26
	v_alignbit_b32 v10, v23, v10, 30
	v_dual_sub_nc_u32 v23, 31, v26 :: v_dual_bitop2_b32 v16, v16, v25 bitop3:0x14
	s_delay_alu instid0(VALU_DEP_2) | instskip(SKIP_1) | instid1(VALU_DEP_3)
	v_dual_lshrrev_b32 v25, 29, v11 :: v_dual_bitop2_b32 v10, v10, v25 bitop3:0x14
	v_dual_lshlrev_b32 v27, 23, v26 :: v_dual_lshrrev_b32 v11, 30, v11
	v_alignbit_b32 v24, v24, v16, v23
	s_delay_alu instid0(VALU_DEP_3) | instskip(NEXT) | instid1(VALU_DEP_3)
	v_alignbit_b32 v10, v16, v10, v23
	v_dual_lshlrev_b32 v16, 31, v25 :: v_dual_add_nc_u32 v11, v22, v11
	s_delay_alu instid0(VALU_DEP_2) | instskip(NEXT) | instid1(VALU_DEP_2)
	v_alignbit_b32 v23, v24, v10, 9
	v_or_b32_e32 v25, 0.5, v16
	v_lshrrev_b32_e32 v24, 9, v24
	v_or_b32_e32 v16, 0x33000000, v16
	s_delay_alu instid0(VALU_DEP_4) | instskip(NEXT) | instid1(VALU_DEP_4)
	v_clz_i32_u32_e32 v28, v23
	v_sub_nc_u32_e32 v25, v25, v27
	s_delay_alu instid0(VALU_DEP_2) | instskip(NEXT) | instid1(VALU_DEP_2)
	v_min_u32_e32 v27, 32, v28
	v_or_b32_e32 v24, v24, v25
	s_delay_alu instid0(VALU_DEP_2) | instskip(SKIP_1) | instid1(VALU_DEP_2)
	v_not_b32_e32 v25, v27
	v_add_lshl_u32 v26, v27, v26, 23
	v_alignbit_b32 v10, v23, v10, v25
	s_delay_alu instid0(VALU_DEP_2) | instskip(NEXT) | instid1(VALU_DEP_2)
	v_sub_nc_u32_e32 v16, v16, v26
	v_lshrrev_b32_e32 v10, 9, v10
	s_delay_alu instid0(VALU_DEP_1) | instskip(SKIP_1) | instid1(VALU_DEP_1)
	v_or_b32_e32 v10, v16, v10
	v_mul_f32_e32 v28, 0x3fc90fda, v24
	v_fma_f32 v23, 0x3fc90fda, v24, -v28
	s_delay_alu instid0(VALU_DEP_1) | instskip(NEXT) | instid1(VALU_DEP_1)
	v_fmac_f32_e32 v23, 0x33a22168, v24
	v_fmac_f32_e32 v23, 0x3fc90fda, v10
	s_delay_alu instid0(VALU_DEP_1)
	v_add_f32_e32 v10, v28, v23
	s_and_not1_saveexec_b32 s2, s30
	s_cbranch_execnz .LBB132_57
	s_branch .LBB132_58
.LBB132_56:                             ;   in Loop: Header=BB132_4 Depth=1
	s_and_not1_saveexec_b32 s2, s30
.LBB132_57:                             ;   in Loop: Header=BB132_4 Depth=1
	v_mul_f32_e64 v10, 0x3f22f983, |v13|
	s_delay_alu instid0(VALU_DEP_1) | instskip(NEXT) | instid1(VALU_DEP_1)
	v_rndne_f32_e32 v11, v10
	v_fma_f32 v10, 0xbfc90fda, v11, |v13|
	s_delay_alu instid0(VALU_DEP_1) | instskip(NEXT) | instid1(VALU_DEP_1)
	v_fmac_f32_e32 v10, 0xb3a22168, v11
	v_fmac_f32_e32 v10, 0xa7c234c4, v11
	v_cvt_i32_f32_e32 v11, v11
.LBB132_58:                             ;   in Loop: Header=BB132_4 Depth=1
	s_or_b32 exec_lo, exec_lo, s2
	v_dual_mul_f32 v22, v8, v8 :: v_dual_bitop2_b32 v23, 1, v9 bitop3:0x40
	v_cmp_nlt_f32_e64 s2, 0x42b17218, v12
	v_lshlrev_b32_e32 v9, 30, v9
	s_delay_alu instid0(VALU_DEP_3) | instskip(NEXT) | instid1(VALU_DEP_4)
	v_fmaak_f32 v27, s22, v22, 0x3c0881c4
	v_cmp_eq_u32_e32 vcc_lo, 0, v23
	s_delay_alu instid0(VALU_DEP_2) | instskip(NEXT) | instid1(VALU_DEP_1)
	v_fmaak_f32 v27, v22, v27, 0xbe2aaa9d
	v_dual_mul_f32 v16, 0x3fb8aa3b, v12 :: v_dual_mul_f32 v27, v22, v27
	s_delay_alu instid0(VALU_DEP_1) | instskip(SKIP_1) | instid1(VALU_DEP_3)
	v_rndne_f32_e32 v25, v16
	v_fma_f32 v26, 0x3fb8aa3b, v12, -v16
	v_dual_mul_f32 v24, v10, v10 :: v_dual_fmac_f32 v8, v8, v27
	s_delay_alu instid0(VALU_DEP_3) | instskip(NEXT) | instid1(VALU_DEP_3)
	v_sub_f32_e32 v16, v16, v25
	v_fmac_f32_e32 v26, 0x32a5705f, v12
	s_delay_alu instid0(VALU_DEP_3) | instskip(SKIP_2) | instid1(VALU_DEP_4)
	v_fmaak_f32 v29, s22, v24, 0x3c0881c4
	v_fmaak_f32 v30, s23, v24, 0xbab64f3b
	v_cvt_i32_f32_e32 v25, v25
	v_add_f32_e32 v16, v16, v26
	s_delay_alu instid0(VALU_DEP_4) | instskip(SKIP_1) | instid1(VALU_DEP_3)
	v_fmaak_f32 v29, v24, v29, 0xbe2aaa9d
	v_fmaak_f32 v28, s23, v22, 0xbab64f3b
	v_exp_f32_e32 v16, v16
	s_delay_alu instid0(VALU_DEP_1) | instskip(NEXT) | instid1(VALU_DEP_1)
	v_dual_mul_f32 v29, v24, v29 :: v_dual_fmaak_f32 v28, v22, v28, 0x3d2aabf7
	v_fmac_f32_e32 v10, v10, v29
	s_delay_alu instid0(VALU_DEP_2) | instskip(NEXT) | instid1(TRANS32_DEP_1)
	v_fmaak_f32 v28, v22, v28, 0xbf000004
	v_ldexp_f32 v16, v16, v25
	v_fmaak_f32 v26, v24, v30, 0x3d2aabf7
	s_delay_alu instid0(VALU_DEP_3) | instskip(SKIP_1) | instid1(VALU_DEP_3)
	v_fma_f32 v22, v22, v28, 1.0
	v_and_b32_e32 v25, 1, v11
	v_dual_fmaak_f32 v26, v24, v26, 0xbf000004 :: v_dual_lshlrev_b32 v11, 30, v11
	s_delay_alu instid0(VALU_DEP_3) | instskip(NEXT) | instid1(VALU_DEP_3)
	v_cndmask_b32_e64 v8, -v8, v22, vcc_lo
	v_cmp_eq_u32_e32 vcc_lo, 0, v25
	s_delay_alu instid0(VALU_DEP_3) | instskip(NEXT) | instid1(VALU_DEP_4)
	v_fma_f32 v24, v24, v26, 1.0
	v_and_or_b32 v1, 0x80000000, v11, v1
	s_delay_alu instid0(VALU_DEP_4) | instskip(NEXT) | instid1(VALU_DEP_3)
	v_bitop3_b32 v8, v9, v8, 0x80000000 bitop3:0x6c
	v_cndmask_b32_e32 v10, v24, v10, vcc_lo
	v_cmp_ngt_f32_e32 vcc_lo, 0xc2ce8ed0, v12
	s_delay_alu instid0(VALU_DEP_2) | instskip(SKIP_2) | instid1(VALU_DEP_2)
	v_xor3_b32 v1, v1, v10, v13
	v_cndmask_b32_e32 v11, 0, v16, vcc_lo
	v_cmp_class_f32_e64 vcc_lo, v13, 0x1f8
	v_cndmask_b32_e64 v9, 0x7f800000, v11, s2
	v_cndmask_b32_e32 v8, 0x7fc00000, v8, vcc_lo
	v_cndmask_b32_e32 v1, 0x7fc00000, v1, vcc_lo
                                        ; implicit-def: $vgpr10_vgpr11_vgpr12_vgpr13
	s_delay_alu instid0(VALU_DEP_1)
	v_dual_mul_f32 v8, v9, v8 :: v_dual_mul_f32 v9, v9, v1
                                        ; implicit-def: $vgpr1
.LBB132_59:                             ;   in Loop: Header=BB132_4 Depth=1
	s_and_not1_saveexec_b32 s29, s29
	s_cbranch_execz .LBB132_69
; %bb.60:                               ;   in Loop: Header=BB132_4 Depth=1
	v_cmp_ngt_f32_e64 s30, 0x48000000, |v13|
                                        ; implicit-def: $vgpr9
                                        ; implicit-def: $vgpr8
	s_and_saveexec_b32 s2, s30
	s_delay_alu instid0(SALU_CYCLE_1)
	s_xor_b32 s31, exec_lo, s2
	s_cbranch_execz .LBB132_62
; %bb.61:                               ;   in Loop: Header=BB132_4 Depth=1
	v_and_or_b32 v16, v1, s21, 0x800000
	v_dual_mov_b32 v29, v17 :: v_dual_mov_b32 v31, v17
	s_delay_alu instid0(VALU_DEP_2) | instskip(NEXT) | instid1(VALU_DEP_1)
	v_mul_u64_e32 v[8:9], s[12:13], v[16:17]
	v_dual_mov_b32 v11, v17 :: v_dual_mov_b32 v10, v9
	v_lshrrev_b32_e32 v9, 23, v1
	s_delay_alu instid0(VALU_DEP_2) | instskip(SKIP_1) | instid1(VALU_DEP_3)
	v_mad_nc_u64_u32 v[10:11], 0x3c439041, v16, v[10:11]
	v_mov_b32_e32 v23, v17
	v_add_nc_u32_e32 v9, 0xffffff88, v9
	s_delay_alu instid0(VALU_DEP_1) | instskip(NEXT) | instid1(VALU_DEP_4)
	v_cmp_lt_u32_e32 vcc_lo, 63, v9
	v_mov_b32_e32 v22, v11
	v_cndmask_b32_e64 v11, 0, 0xffffffc0, vcc_lo
	s_delay_alu instid0(VALU_DEP_2) | instskip(NEXT) | instid1(VALU_DEP_2)
	v_mad_nc_u64_u32 v[22:23], 0xdb629599, v16, v[22:23]
	v_dual_mov_b32 v25, v17 :: v_dual_add_nc_u32 v9, v11, v9
	s_delay_alu instid0(VALU_DEP_1) | instskip(NEXT) | instid1(VALU_DEP_3)
	v_cmp_lt_u32_e64 s2, 31, v9
	v_mov_b32_e32 v24, v23
	s_delay_alu instid0(VALU_DEP_2) | instskip(NEXT) | instid1(VALU_DEP_2)
	v_cndmask_b32_e64 v11, 0, 0xffffffe0, s2
	v_mad_nc_u64_u32 v[24:25], 0xf534ddc0, v16, v[24:25]
	s_delay_alu instid0(VALU_DEP_2) | instskip(NEXT) | instid1(VALU_DEP_1)
	v_dual_mov_b32 v27, v17 :: v_dual_add_nc_u32 v9, v11, v9
	v_cmp_lt_u32_e64 s3, 31, v9
	s_delay_alu instid0(VALU_DEP_3) | instskip(NEXT) | instid1(VALU_DEP_2)
	v_mov_b32_e32 v26, v25
	v_cndmask_b32_e64 v11, 0, 0xffffffe0, s3
	v_cndmask_b32_e32 v10, v24, v10, vcc_lo
	s_delay_alu instid0(VALU_DEP_3) | instskip(NEXT) | instid1(VALU_DEP_3)
	v_mad_nc_u64_u32 v[26:27], 0xfc2757d1, v16, v[26:27]
	v_add_nc_u32_e32 v9, v11, v9
	s_delay_alu instid0(VALU_DEP_2) | instskip(NEXT) | instid1(VALU_DEP_1)
	v_mov_b32_e32 v28, v27
	v_mad_nc_u64_u32 v[28:29], 0x4e441529, v16, v[28:29]
	s_delay_alu instid0(VALU_DEP_1) | instskip(NEXT) | instid1(VALU_DEP_1)
	v_mov_b32_e32 v30, v29
	v_mad_nc_u64_u32 v[30:31], 0xa2f9836e, v16, v[30:31]
	s_delay_alu instid0(VALU_DEP_3) | instskip(NEXT) | instid1(VALU_DEP_2)
	v_dual_cndmask_b32 v16, v28, v24, vcc_lo :: v_dual_sub_nc_u32 v24, 32, v9
	v_dual_cndmask_b32 v23, v30, v26, vcc_lo :: v_dual_cndmask_b32 v25, v31, v28, vcc_lo
	s_delay_alu instid0(VALU_DEP_1) | instskip(NEXT) | instid1(VALU_DEP_1)
	v_dual_cndmask_b32 v26, v26, v22, vcc_lo :: v_dual_cndmask_b32 v11, v23, v16, s2
	v_dual_cndmask_b32 v23, v25, v23, s2 :: v_dual_cndmask_b32 v16, v16, v26, s2
	s_delay_alu instid0(VALU_DEP_1) | instskip(NEXT) | instid1(VALU_DEP_1)
	v_dual_cndmask_b32 v25, v26, v10, s2 :: v_dual_cndmask_b32 v23, v23, v11, s3
	v_dual_cndmask_b32 v11, v11, v16, s3 :: v_dual_cndmask_b32 v16, v16, v25, s3
	v_cndmask_b32_e32 v8, v22, v8, vcc_lo
	v_cmp_eq_u32_e32 vcc_lo, 0, v9
	s_delay_alu instid0(VALU_DEP_3) | instskip(NEXT) | instid1(VALU_DEP_4)
	v_alignbit_b32 v26, v23, v11, v24
	v_alignbit_b32 v22, v11, v16, v24
	s_delay_alu instid0(VALU_DEP_4) | instskip(NEXT) | instid1(VALU_DEP_3)
	v_cndmask_b32_e64 v8, v10, v8, s2
	v_cndmask_b32_e32 v9, v26, v23, vcc_lo
	s_delay_alu instid0(VALU_DEP_2) | instskip(NEXT) | instid1(VALU_DEP_2)
	v_dual_cndmask_b32 v10, v22, v11, vcc_lo :: v_dual_cndmask_b32 v8, v25, v8, s3
	v_bfe_u32 v11, v9, 29, 1
	s_delay_alu instid0(VALU_DEP_2) | instskip(NEXT) | instid1(VALU_DEP_3)
	v_alignbit_b32 v22, v9, v10, 30
	v_alignbit_b32 v24, v16, v8, v24
	s_delay_alu instid0(VALU_DEP_1) | instskip(NEXT) | instid1(VALU_DEP_1)
	v_dual_cndmask_b32 v16, v24, v16 :: v_dual_sub_nc_u32 v23, 0, v11
	v_xor_b32_e32 v22, v22, v23
	s_delay_alu instid0(VALU_DEP_2) | instskip(SKIP_1) | instid1(VALU_DEP_3)
	v_alignbit_b32 v10, v10, v16, 30
	v_alignbit_b32 v8, v16, v8, 30
	v_clz_i32_u32_e32 v24, v22
	s_delay_alu instid0(VALU_DEP_2) | instskip(NEXT) | instid1(VALU_DEP_2)
	v_xor_b32_e32 v8, v8, v23
	v_min_u32_e32 v24, 32, v24
	v_dual_lshrrev_b32 v23, 29, v9 :: v_dual_bitop2_b32 v10, v10, v23 bitop3:0x14
	s_delay_alu instid0(VALU_DEP_2) | instskip(NEXT) | instid1(VALU_DEP_1)
	v_dual_lshrrev_b32 v9, 30, v9 :: v_dual_sub_nc_u32 v16, 31, v24
	v_dual_lshlrev_b32 v25, 23, v24 :: v_dual_add_nc_u32 v9, v11, v9
	s_delay_alu instid0(VALU_DEP_2) | instskip(SKIP_2) | instid1(VALU_DEP_2)
	v_alignbit_b32 v22, v22, v10, v16
	v_alignbit_b32 v8, v10, v8, v16
	v_lshlrev_b32_e32 v10, 31, v23
	v_alignbit_b32 v16, v22, v8, 9
	s_delay_alu instid0(VALU_DEP_2) | instskip(SKIP_2) | instid1(VALU_DEP_4)
	v_or_b32_e32 v23, 0.5, v10
	v_lshrrev_b32_e32 v22, 9, v22
	v_or_b32_e32 v10, 0x33000000, v10
	v_clz_i32_u32_e32 v26, v16
	s_delay_alu instid0(VALU_DEP_4) | instskip(NEXT) | instid1(VALU_DEP_2)
	v_sub_nc_u32_e32 v23, v23, v25
	v_min_u32_e32 v25, 32, v26
	s_delay_alu instid0(VALU_DEP_2) | instskip(NEXT) | instid1(VALU_DEP_2)
	v_or_b32_e32 v22, v22, v23
	v_not_b32_e32 v23, v25
	v_add_lshl_u32 v24, v25, v24, 23
	s_delay_alu instid0(VALU_DEP_2) | instskip(NEXT) | instid1(VALU_DEP_2)
	v_alignbit_b32 v8, v16, v8, v23
	v_sub_nc_u32_e32 v10, v10, v24
	s_delay_alu instid0(VALU_DEP_2) | instskip(SKIP_1) | instid1(VALU_DEP_2)
	v_lshrrev_b32_e32 v8, 9, v8
	v_mul_f32_e32 v26, 0x3fc90fda, v22
	v_or_b32_e32 v8, v10, v8
	s_delay_alu instid0(VALU_DEP_2) | instskip(NEXT) | instid1(VALU_DEP_1)
	v_fma_f32 v16, 0x3fc90fda, v22, -v26
	v_fmac_f32_e32 v16, 0x33a22168, v22
	s_delay_alu instid0(VALU_DEP_1) | instskip(NEXT) | instid1(VALU_DEP_1)
	v_fmac_f32_e32 v16, 0x3fc90fda, v8
	v_add_f32_e32 v8, v26, v16
	s_and_not1_saveexec_b32 s2, s31
	s_branch .LBB132_63
.LBB132_62:                             ;   in Loop: Header=BB132_4 Depth=1
	s_and_not1_saveexec_b32 s2, s31
.LBB132_63:                             ;   in Loop: Header=BB132_4 Depth=1
	v_mul_f32_e64 v8, 0x3f22f983, |v13|
	s_delay_alu instid0(VALU_DEP_1) | instskip(NEXT) | instid1(VALU_DEP_1)
	v_rndne_f32_e32 v9, v8
	v_fma_f32 v8, 0xbfc90fda, v9, |v13|
	s_delay_alu instid0(VALU_DEP_1) | instskip(NEXT) | instid1(VALU_DEP_1)
	v_fmac_f32_e32 v8, 0xb3a22168, v9
	v_fmac_f32_e32 v8, 0xa7c234c4, v9
	v_cvt_i32_f32_e32 v9, v9
; %bb.64:                               ;   in Loop: Header=BB132_4 Depth=1
	s_or_b32 exec_lo, exec_lo, s2
                                        ; implicit-def: $vgpr11
                                        ; implicit-def: $vgpr10
	s_and_saveexec_b32 s2, s30
	s_delay_alu instid0(SALU_CYCLE_1)
	s_xor_b32 s30, exec_lo, s2
	s_cbranch_execz .LBB132_66
; %bb.65:                               ;   in Loop: Header=BB132_4 Depth=1
	v_and_or_b32 v16, v1, s21, 0x800000
	v_dual_mov_b32 v31, v17 :: v_dual_mov_b32 v33, v17
	s_delay_alu instid0(VALU_DEP_2) | instskip(NEXT) | instid1(VALU_DEP_1)
	v_mul_u64_e32 v[10:11], s[12:13], v[16:17]
	v_dual_mov_b32 v23, v17 :: v_dual_mov_b32 v22, v11
	v_lshrrev_b32_e32 v11, 23, v1
	s_delay_alu instid0(VALU_DEP_2) | instskip(SKIP_1) | instid1(VALU_DEP_3)
	v_mad_nc_u64_u32 v[22:23], 0x3c439041, v16, v[22:23]
	v_mov_b32_e32 v25, v17
	v_add_nc_u32_e32 v11, 0xffffff88, v11
	s_delay_alu instid0(VALU_DEP_1) | instskip(NEXT) | instid1(VALU_DEP_4)
	v_cmp_lt_u32_e32 vcc_lo, 63, v11
	v_mov_b32_e32 v24, v23
	v_cndmask_b32_e64 v23, 0, 0xffffffc0, vcc_lo
	s_delay_alu instid0(VALU_DEP_2) | instskip(NEXT) | instid1(VALU_DEP_2)
	v_mad_nc_u64_u32 v[24:25], 0xdb629599, v16, v[24:25]
	v_dual_mov_b32 v27, v17 :: v_dual_add_nc_u32 v11, v23, v11
	s_delay_alu instid0(VALU_DEP_1) | instskip(NEXT) | instid1(VALU_DEP_3)
	v_cmp_lt_u32_e64 s2, 31, v11
	v_mov_b32_e32 v26, v25
	s_delay_alu instid0(VALU_DEP_2) | instskip(SKIP_1) | instid1(VALU_DEP_3)
	v_cndmask_b32_e64 v23, 0, 0xffffffe0, s2
	v_cndmask_b32_e32 v10, v24, v10, vcc_lo
	v_mad_nc_u64_u32 v[26:27], 0xf534ddc0, v16, v[26:27]
	s_delay_alu instid0(VALU_DEP_1) | instskip(NEXT) | instid1(VALU_DEP_1)
	v_dual_mov_b32 v29, v17 :: v_dual_mov_b32 v28, v27
	v_mad_nc_u64_u32 v[28:29], 0xfc2757d1, v16, v[28:29]
	s_delay_alu instid0(VALU_DEP_1) | instskip(NEXT) | instid1(VALU_DEP_1)
	v_dual_mov_b32 v30, v29 :: v_dual_add_nc_u32 v11, v23, v11
	v_mad_nc_u64_u32 v[30:31], 0x4e441529, v16, v[30:31]
	s_delay_alu instid0(VALU_DEP_1) | instskip(NEXT) | instid1(VALU_DEP_1)
	v_dual_mov_b32 v32, v31 :: v_dual_cndmask_b32 v23, v30, v26
	v_mad_nc_u64_u32 v[32:33], 0xa2f9836e, v16, v[32:33]
	s_delay_alu instid0(VALU_DEP_1) | instskip(SKIP_1) | instid1(VALU_DEP_3)
	v_cndmask_b32_e32 v25, v32, v28, vcc_lo
	v_cmp_lt_u32_e64 s3, 31, v11
	v_dual_cndmask_b32 v27, v33, v30 :: v_dual_cndmask_b32 v28, v28, v24
	s_delay_alu instid0(VALU_DEP_2) | instskip(NEXT) | instid1(VALU_DEP_1)
	v_cndmask_b32_e64 v16, 0, 0xffffffe0, s3
	v_dual_cndmask_b32 v16, v26, v22 :: v_dual_add_nc_u32 v11, v16, v11
	s_delay_alu instid0(VALU_DEP_3) | instskip(NEXT) | instid1(VALU_DEP_2)
	v_dual_cndmask_b32 v22, v25, v23, s2 :: v_dual_cndmask_b32 v25, v27, v25, s2
	v_dual_cndmask_b32 v23, v23, v28, s2 :: v_dual_sub_nc_u32 v26, 32, v11
	s_delay_alu instid0(VALU_DEP_3) | instskip(SKIP_1) | instid1(VALU_DEP_3)
	v_cndmask_b32_e64 v27, v28, v16, s2
	v_cmp_eq_u32_e32 vcc_lo, 0, v11
	v_dual_cndmask_b32 v25, v25, v22, s3 :: v_dual_cndmask_b32 v22, v22, v23, s3
	s_delay_alu instid0(VALU_DEP_1) | instskip(NEXT) | instid1(VALU_DEP_1)
	v_alignbit_b32 v28, v25, v22, v26
	v_dual_cndmask_b32 v23, v23, v27, s3 :: v_dual_cndmask_b32 v11, v28, v25, vcc_lo
	s_delay_alu instid0(VALU_DEP_1) | instskip(SKIP_1) | instid1(VALU_DEP_2)
	v_alignbit_b32 v24, v22, v23, v26
	v_cndmask_b32_e64 v10, v16, v10, s2
	v_cndmask_b32_e32 v16, v24, v22, vcc_lo
	s_delay_alu instid0(VALU_DEP_4) | instskip(NEXT) | instid1(VALU_DEP_1)
	v_bfe_u32 v22, v11, 29, 1
	v_sub_nc_u32_e32 v25, 0, v22
	s_delay_alu instid0(VALU_DEP_3) | instskip(NEXT) | instid1(VALU_DEP_1)
	v_alignbit_b32 v24, v11, v16, 30
	v_dual_cndmask_b32 v10, v27, v10, s3 :: v_dual_bitop2_b32 v24, v24, v25 bitop3:0x14
	s_delay_alu instid0(VALU_DEP_1) | instskip(NEXT) | instid1(VALU_DEP_1)
	v_alignbit_b32 v26, v23, v10, v26
	v_cndmask_b32_e32 v23, v26, v23, vcc_lo
	s_delay_alu instid0(VALU_DEP_3) | instskip(NEXT) | instid1(VALU_DEP_2)
	v_clz_i32_u32_e32 v26, v24
	v_alignbit_b32 v16, v16, v23, 30
	s_delay_alu instid0(VALU_DEP_2) | instskip(SKIP_1) | instid1(VALU_DEP_2)
	v_min_u32_e32 v26, 32, v26
	v_alignbit_b32 v10, v23, v10, 30
	v_dual_sub_nc_u32 v23, 31, v26 :: v_dual_bitop2_b32 v16, v16, v25 bitop3:0x14
	s_delay_alu instid0(VALU_DEP_2) | instskip(SKIP_1) | instid1(VALU_DEP_3)
	v_dual_lshrrev_b32 v25, 29, v11 :: v_dual_bitop2_b32 v10, v10, v25 bitop3:0x14
	v_dual_lshlrev_b32 v27, 23, v26 :: v_dual_lshrrev_b32 v11, 30, v11
	v_alignbit_b32 v24, v24, v16, v23
	s_delay_alu instid0(VALU_DEP_3) | instskip(NEXT) | instid1(VALU_DEP_3)
	v_alignbit_b32 v10, v16, v10, v23
	v_dual_lshlrev_b32 v16, 31, v25 :: v_dual_add_nc_u32 v11, v22, v11
	s_delay_alu instid0(VALU_DEP_2) | instskip(NEXT) | instid1(VALU_DEP_2)
	v_alignbit_b32 v23, v24, v10, 9
	v_or_b32_e32 v25, 0.5, v16
	v_lshrrev_b32_e32 v24, 9, v24
	v_or_b32_e32 v16, 0x33000000, v16
	s_delay_alu instid0(VALU_DEP_4) | instskip(NEXT) | instid1(VALU_DEP_4)
	v_clz_i32_u32_e32 v28, v23
	v_sub_nc_u32_e32 v25, v25, v27
	s_delay_alu instid0(VALU_DEP_2) | instskip(NEXT) | instid1(VALU_DEP_2)
	v_min_u32_e32 v27, 32, v28
	v_or_b32_e32 v24, v24, v25
	s_delay_alu instid0(VALU_DEP_2) | instskip(SKIP_1) | instid1(VALU_DEP_2)
	v_not_b32_e32 v25, v27
	v_add_lshl_u32 v26, v27, v26, 23
	v_alignbit_b32 v10, v23, v10, v25
	s_delay_alu instid0(VALU_DEP_2) | instskip(NEXT) | instid1(VALU_DEP_2)
	v_sub_nc_u32_e32 v16, v16, v26
	v_lshrrev_b32_e32 v10, 9, v10
	s_delay_alu instid0(VALU_DEP_1) | instskip(SKIP_1) | instid1(VALU_DEP_1)
	v_or_b32_e32 v10, v16, v10
	v_mul_f32_e32 v28, 0x3fc90fda, v24
	v_fma_f32 v23, 0x3fc90fda, v24, -v28
	s_delay_alu instid0(VALU_DEP_1) | instskip(NEXT) | instid1(VALU_DEP_1)
	v_fmac_f32_e32 v23, 0x33a22168, v24
	v_fmac_f32_e32 v23, 0x3fc90fda, v10
	s_delay_alu instid0(VALU_DEP_1)
	v_add_f32_e32 v10, v28, v23
	s_and_not1_saveexec_b32 s2, s30
	s_cbranch_execnz .LBB132_67
	s_branch .LBB132_68
.LBB132_66:                             ;   in Loop: Header=BB132_4 Depth=1
	s_and_not1_saveexec_b32 s2, s30
.LBB132_67:                             ;   in Loop: Header=BB132_4 Depth=1
	v_mul_f32_e64 v10, 0x3f22f983, |v13|
	s_delay_alu instid0(VALU_DEP_1) | instskip(NEXT) | instid1(VALU_DEP_1)
	v_rndne_f32_e32 v11, v10
	v_fma_f32 v10, 0xbfc90fda, v11, |v13|
	s_delay_alu instid0(VALU_DEP_1) | instskip(NEXT) | instid1(VALU_DEP_1)
	v_fmac_f32_e32 v10, 0xb3a22168, v11
	v_fmac_f32_e32 v10, 0xa7c234c4, v11
	v_cvt_i32_f32_e32 v11, v11
.LBB132_68:                             ;   in Loop: Header=BB132_4 Depth=1
	s_or_b32 exec_lo, exec_lo, s2
	v_add_f32_e32 v12, 0xc322e3bc, v12
	s_delay_alu instid0(VALU_DEP_2) | instskip(NEXT) | instid1(VALU_DEP_2)
	v_dual_mul_f32 v24, v8, v8 :: v_dual_bitop2_b32 v25, 1, v11 bitop3:0x40
	v_dual_mul_f32 v16, 0x3fb8aa3b, v12 :: v_dual_lshlrev_b32 v11, 30, v11
	s_delay_alu instid0(VALU_DEP_2) | instskip(NEXT) | instid1(VALU_DEP_2)
	v_fmaak_f32 v27, s22, v24, 0x3c0881c4
	v_and_or_b32 v1, 0x80000000, v11, v1
	s_delay_alu instid0(VALU_DEP_3) | instskip(SKIP_1) | instid1(VALU_DEP_2)
	v_fma_f32 v22, 0x3fb8aa3b, v12, -v16
	v_rndne_f32_e32 v23, v16
	v_fmac_f32_e32 v22, 0x32a5705f, v12
	s_delay_alu instid0(VALU_DEP_2) | instskip(NEXT) | instid1(VALU_DEP_1)
	v_sub_f32_e32 v16, v16, v23
	v_add_f32_e32 v16, v16, v22
	v_cvt_i32_f32_e32 v22, v23
	v_lshlrev_b32_e32 v23, 30, v9
	v_cmp_ngt_f32_e32 vcc_lo, 0xc2ce8ed0, v12
	v_and_b32_e32 v9, 1, v9
	v_exp_f32_e32 v16, v16
	v_nop
	s_delay_alu instid0(TRANS32_DEP_1) | instskip(SKIP_2) | instid1(VALU_DEP_3)
	v_ldexp_f32 v16, v16, v22
	v_mul_f32_e32 v22, v10, v10
	v_fmaak_f32 v26, s23, v24, 0xbab64f3b
	v_cndmask_b32_e32 v16, 0, v16, vcc_lo
	v_cmp_nlt_f32_e32 vcc_lo, 0x42b17218, v12
	s_delay_alu instid0(VALU_DEP_3) | instskip(SKIP_1) | instid1(VALU_DEP_4)
	v_fmaak_f32 v11, v24, v26, 0x3d2aabf7
	v_fmaak_f32 v26, v24, v27, 0xbe2aaa9d
	v_cndmask_b32_e32 v12, 0x7f800000, v16, vcc_lo
	s_delay_alu instid0(VALU_DEP_2) | instskip(SKIP_1) | instid1(VALU_DEP_3)
	v_dual_fmaak_f32 v11, v24, v11, 0xbf000004 :: v_dual_mul_f32 v26, v24, v26
	v_cmp_eq_u32_e32 vcc_lo, 0, v9
	v_lshrrev_b32_e32 v27, 23, v12
	s_delay_alu instid0(VALU_DEP_3) | instskip(NEXT) | instid1(VALU_DEP_4)
	v_fma_f32 v11, v24, v11, 1.0
	v_fmac_f32_e32 v8, v8, v26
	s_delay_alu instid0(VALU_DEP_3) | instskip(NEXT) | instid1(VALU_DEP_2)
	v_subrev_nc_u32_e32 v27, 19, v27
	v_cndmask_b32_e64 v8, -v8, v11, vcc_lo
	v_cmp_eq_u32_e32 vcc_lo, 0, v25
	s_delay_alu instid0(VALU_DEP_3) | instskip(NEXT) | instid1(VALU_DEP_3)
	v_lshrrev_b16 v24, 15, v27
	v_bitop3_b32 v8, v23, v8, 0x80000000 bitop3:0x6c
	s_delay_alu instid0(VALU_DEP_2) | instskip(NEXT) | instid1(VALU_DEP_1)
	v_add_nc_u16 v9, v27, v24
	v_ashrrev_i16 v9, 1, v9
	s_delay_alu instid0(VALU_DEP_1) | instskip(NEXT) | instid1(VALU_DEP_1)
	v_bfe_i32 v9, v9, 0, 16
	v_lshl_add_u32 v11, v9, 23, 1.0
	v_dual_fmaak_f32 v28, s22, v22, 0x3c0881c4 :: v_dual_sub_nc_u32 v9, v27, v9
	s_delay_alu instid0(VALU_DEP_1) | instskip(SKIP_1) | instid1(VALU_DEP_3)
	v_lshl_add_u32 v9, v9, 23, 1.0
	v_fmaak_f32 v16, s23, v22, 0xbab64f3b
	v_fmaak_f32 v28, v22, v28, 0xbe2aaa9d
	s_delay_alu instid0(VALU_DEP_2) | instskip(NEXT) | instid1(VALU_DEP_1)
	v_fmaak_f32 v16, v22, v16, 0x3d2aabf7
	v_fmaak_f32 v16, v22, v16, 0xbf000004
	s_delay_alu instid0(VALU_DEP_1) | instskip(NEXT) | instid1(VALU_DEP_4)
	v_fma_f32 v16, v22, v16, 1.0
	v_mul_f32_e32 v28, v22, v28
	s_delay_alu instid0(VALU_DEP_1) | instskip(NEXT) | instid1(VALU_DEP_1)
	v_fmac_f32_e32 v10, v10, v28
	v_cndmask_b32_e32 v10, v16, v10, vcc_lo
	v_cmp_class_f32_e64 vcc_lo, v13, 0x1f8
	s_delay_alu instid0(VALU_DEP_2) | instskip(SKIP_2) | instid1(VALU_DEP_1)
	v_xor3_b32 v1, v1, v10, v13
	v_cndmask_b32_e32 v8, 0x7fc00000, v8, vcc_lo
	v_and_or_b32 v10, 0x7fffff, v12, s24
	v_dual_cndmask_b32 v1, 0x7fc00000, v1 :: v_dual_mul_f32 v8, v8, v10
	s_delay_alu instid0(VALU_DEP_1) | instskip(NEXT) | instid1(VALU_DEP_1)
	v_dual_mul_f32 v1, v1, v10 :: v_dual_mul_f32 v8, v8, v11
	v_dual_mul_f32 v1, v1, v11 :: v_dual_mul_f32 v8, v8, v9
	s_delay_alu instid0(VALU_DEP_1)
	v_mul_f32_e32 v9, v1, v9
.LBB132_69:                             ;   in Loop: Header=BB132_4 Depth=1
	s_or_b32 exec_lo, exec_lo, s29
                                        ; implicit-def: $vgpr10_vgpr11_vgpr12_vgpr13
                                        ; implicit-def: $vgpr10
.LBB132_70:                             ;   in Loop: Header=BB132_4 Depth=1
	s_and_not1_saveexec_b32 s2, s28
	s_cbranch_execz .LBB132_76
; %bb.71:                               ;   in Loop: Header=BB132_4 Depth=1
	v_sub_f32_e32 v9, v13, v13
	s_mov_b32 s3, exec_lo
	v_cmpx_ne_u32_e32 0x7f800000, v10
	s_xor_b32 s3, exec_lo, s3
; %bb.72:                               ;   in Loop: Header=BB132_4 Depth=1
                                        ; implicit-def: $vgpr10_vgpr11_vgpr12_vgpr13
; %bb.73:                               ;   in Loop: Header=BB132_4 Depth=1
	s_delay_alu instid0(SALU_CYCLE_1)
	s_or_saveexec_b32 s3, s3
	v_mov_b32_e32 v8, v9
	s_xor_b32 exec_lo, exec_lo, s3
; %bb.74:                               ;   in Loop: Header=BB132_4 Depth=1
	v_cmp_lt_i32_e32 vcc_lo, -1, v12
	v_dual_cndmask_b32 v8, 0, v12 :: v_dual_cndmask_b32 v9, 0, v9
; %bb.75:                               ;   in Loop: Header=BB132_4 Depth=1
	s_or_b32 exec_lo, exec_lo, s3
.LBB132_76:                             ;   in Loop: Header=BB132_4 Depth=1
	s_delay_alu instid0(SALU_CYCLE_1)
	s_or_b32 exec_lo, exec_lo, s2
                                        ; implicit-def: $vgpr10_vgpr11_vgpr12_vgpr13
                                        ; implicit-def: $vgpr1
.LBB132_77:                             ;   in Loop: Header=BB132_4 Depth=1
	s_and_not1_saveexec_b32 s27, s27
	s_cbranch_execz .LBB132_87
; %bb.78:                               ;   in Loop: Header=BB132_4 Depth=1
	v_lshrrev_b32_e32 v8, 23, v1
	v_cmp_ngt_f32_e64 s28, 0x48000000, |v13|
	v_and_or_b32 v16, v1, s21, 0x800000
                                        ; implicit-def: $vgpr9
	s_delay_alu instid0(VALU_DEP_3) | instskip(SKIP_1) | instid1(SALU_CYCLE_1)
	v_add_nc_u32_e32 v10, 0xffffff88, v8
                                        ; implicit-def: $vgpr8
	s_and_saveexec_b32 s2, s28
	s_xor_b32 s29, exec_lo, s2
	s_cbranch_execz .LBB132_80
; %bb.79:                               ;   in Loop: Header=BB132_4 Depth=1
	v_mul_u64_e32 v[8:9], s[12:13], v[16:17]
	v_mov_b32_e32 v23, v17
	v_cmp_lt_u32_e32 vcc_lo, 63, v10
	s_delay_alu instid0(VALU_DEP_3) | instskip(SKIP_1) | instid1(VALU_DEP_2)
	v_mov_b32_e32 v22, v9
	v_cndmask_b32_e64 v9, 0, 0xffffffc0, vcc_lo
	v_mad_nc_u64_u32 v[22:23], 0x3c439041, v16, v[22:23]
	s_delay_alu instid0(VALU_DEP_1) | instskip(NEXT) | instid1(VALU_DEP_1)
	v_dual_mov_b32 v25, v17 :: v_dual_mov_b32 v24, v23
	v_mad_nc_u64_u32 v[24:25], 0xdb629599, v16, v[24:25]
	s_delay_alu instid0(VALU_DEP_1) | instskip(NEXT) | instid1(VALU_DEP_2)
	v_dual_mov_b32 v27, v17 :: v_dual_mov_b32 v26, v25
	v_cndmask_b32_e32 v8, v24, v8, vcc_lo
	s_delay_alu instid0(VALU_DEP_2) | instskip(NEXT) | instid1(VALU_DEP_1)
	v_mad_nc_u64_u32 v[26:27], 0xf534ddc0, v16, v[26:27]
	v_dual_mov_b32 v29, v17 :: v_dual_mov_b32 v28, v27
	s_delay_alu instid0(VALU_DEP_1) | instskip(NEXT) | instid1(VALU_DEP_1)
	v_mad_nc_u64_u32 v[28:29], 0xfc2757d1, v16, v[28:29]
	v_dual_mov_b32 v31, v17 :: v_dual_mov_b32 v30, v29
	s_delay_alu instid0(VALU_DEP_2) | instskip(NEXT) | instid1(VALU_DEP_2)
	v_cndmask_b32_e32 v27, v28, v24, vcc_lo
	v_mad_nc_u64_u32 v[30:31], 0x4e441529, v16, v[30:31]
	s_delay_alu instid0(VALU_DEP_1) | instskip(NEXT) | instid1(VALU_DEP_1)
	v_dual_mov_b32 v32, v31 :: v_dual_add_nc_u32 v9, v9, v10
	v_cmp_lt_u32_e64 s2, 31, v9
	s_delay_alu instid0(VALU_DEP_1) | instskip(NEXT) | instid1(VALU_DEP_1)
	v_cndmask_b32_e64 v11, 0, 0xffffffe0, s2
	v_dual_mov_b32 v33, v17 :: v_dual_add_nc_u32 v9, v11, v9
	s_delay_alu instid0(VALU_DEP_1) | instskip(SKIP_1) | instid1(VALU_DEP_3)
	v_mad_nc_u64_u32 v[32:33], 0xa2f9836e, v16, v[32:33]
	v_cndmask_b32_e32 v12, v30, v26, vcc_lo
	v_cmp_lt_u32_e64 s3, 31, v9
	s_delay_alu instid0(VALU_DEP_1) | instskip(NEXT) | instid1(VALU_DEP_4)
	v_cndmask_b32_e64 v11, 0, 0xffffffe0, s3
	v_dual_cndmask_b32 v23, v32, v28, vcc_lo :: v_dual_cndmask_b32 v25, v33, v30, vcc_lo
	s_delay_alu instid0(VALU_DEP_2) | instskip(NEXT) | instid1(VALU_DEP_2)
	v_dual_add_nc_u32 v9, v11, v9 :: v_dual_cndmask_b32 v11, v26, v22, vcc_lo
	v_dual_cndmask_b32 v22, v23, v12, s2 :: v_dual_cndmask_b32 v23, v25, v23, s2
	s_delay_alu instid0(VALU_DEP_2) | instskip(NEXT) | instid1(VALU_DEP_3)
	v_dual_cndmask_b32 v12, v12, v27, s2 :: v_dual_sub_nc_u32 v25, 32, v9
	v_cndmask_b32_e64 v26, v27, v11, s2
	v_cmp_eq_u32_e32 vcc_lo, 0, v9
	s_delay_alu instid0(VALU_DEP_3) | instskip(NEXT) | instid1(VALU_DEP_1)
	v_dual_cndmask_b32 v23, v23, v22, s3 :: v_dual_cndmask_b32 v22, v22, v12, s3
	v_alignbit_b32 v27, v23, v22, v25
	s_delay_alu instid0(VALU_DEP_1) | instskip(NEXT) | instid1(VALU_DEP_1)
	v_dual_cndmask_b32 v12, v12, v26, s3 :: v_dual_cndmask_b32 v9, v27, v23, vcc_lo
	v_alignbit_b32 v24, v22, v12, v25
	s_delay_alu instid0(VALU_DEP_1) | instskip(NEXT) | instid1(VALU_DEP_3)
	v_dual_cndmask_b32 v8, v11, v8, s2 :: v_dual_cndmask_b32 v11, v24, v22, vcc_lo
	v_bfe_u32 v22, v9, 29, 1
	s_delay_alu instid0(VALU_DEP_2) | instskip(NEXT) | instid1(VALU_DEP_3)
	v_cndmask_b32_e64 v8, v26, v8, s3
	v_alignbit_b32 v23, v9, v11, 30
	s_delay_alu instid0(VALU_DEP_3) | instskip(NEXT) | instid1(VALU_DEP_3)
	v_sub_nc_u32_e32 v24, 0, v22
	v_alignbit_b32 v25, v12, v8, v25
	s_delay_alu instid0(VALU_DEP_2) | instskip(NEXT) | instid1(VALU_DEP_2)
	v_xor_b32_e32 v23, v23, v24
	v_cndmask_b32_e32 v12, v25, v12, vcc_lo
	s_delay_alu instid0(VALU_DEP_2) | instskip(NEXT) | instid1(VALU_DEP_2)
	v_clz_i32_u32_e32 v25, v23
	v_alignbit_b32 v11, v11, v12, 30
	v_alignbit_b32 v8, v12, v8, 30
	s_delay_alu instid0(VALU_DEP_3) | instskip(NEXT) | instid1(VALU_DEP_3)
	v_min_u32_e32 v25, 32, v25
	v_xor_b32_e32 v11, v11, v24
	s_delay_alu instid0(VALU_DEP_3) | instskip(SKIP_1) | instid1(VALU_DEP_4)
	v_dual_lshrrev_b32 v24, 29, v9 :: v_dual_bitop2_b32 v8, v8, v24 bitop3:0x14
	v_lshrrev_b32_e32 v9, 30, v9
	v_dual_sub_nc_u32 v12, 31, v25 :: v_dual_lshlrev_b32 v26, 23, v25
	s_delay_alu instid0(VALU_DEP_2) | instskip(NEXT) | instid1(VALU_DEP_2)
	v_add_nc_u32_e32 v9, v22, v9
	v_alignbit_b32 v23, v23, v11, v12
	v_alignbit_b32 v8, v11, v8, v12
	v_lshlrev_b32_e32 v11, 31, v24
	s_delay_alu instid0(VALU_DEP_2) | instskip(NEXT) | instid1(VALU_DEP_2)
	v_alignbit_b32 v12, v23, v8, 9
	v_or_b32_e32 v24, 0.5, v11
	v_lshrrev_b32_e32 v23, 9, v23
	v_or_b32_e32 v11, 0x33000000, v11
	s_delay_alu instid0(VALU_DEP_4) | instskip(NEXT) | instid1(VALU_DEP_4)
	v_clz_i32_u32_e32 v27, v12
	v_sub_nc_u32_e32 v24, v24, v26
	s_delay_alu instid0(VALU_DEP_2) | instskip(NEXT) | instid1(VALU_DEP_2)
	v_min_u32_e32 v26, 32, v27
	v_or_b32_e32 v23, v23, v24
	s_delay_alu instid0(VALU_DEP_2) | instskip(SKIP_1) | instid1(VALU_DEP_2)
	v_not_b32_e32 v24, v26
	v_add_lshl_u32 v25, v26, v25, 23
	v_alignbit_b32 v8, v12, v8, v24
	s_delay_alu instid0(VALU_DEP_4) | instskip(NEXT) | instid1(VALU_DEP_2)
	v_mul_f32_e32 v27, 0x3fc90fda, v23
	v_dual_sub_nc_u32 v11, v11, v25 :: v_dual_lshrrev_b32 v8, 9, v8
	s_delay_alu instid0(VALU_DEP_2) | instskip(NEXT) | instid1(VALU_DEP_2)
	v_fma_f32 v12, 0x3fc90fda, v23, -v27
	v_or_b32_e32 v8, v11, v8
	s_delay_alu instid0(VALU_DEP_2) | instskip(NEXT) | instid1(VALU_DEP_1)
	v_fmac_f32_e32 v12, 0x33a22168, v23
	v_fmac_f32_e32 v12, 0x3fc90fda, v8
	s_delay_alu instid0(VALU_DEP_1)
	v_add_f32_e32 v8, v27, v12
.LBB132_80:                             ;   in Loop: Header=BB132_4 Depth=1
	s_or_saveexec_b32 s2, s29
	v_mul_f32_e64 v11, 0x3f22f983, |v13|
	s_delay_alu instid0(VALU_DEP_1)
	v_rndne_f32_e32 v22, v11
	s_xor_b32 exec_lo, exec_lo, s2
; %bb.81:                               ;   in Loop: Header=BB132_4 Depth=1
	s_delay_alu instid0(VALU_DEP_1) | instskip(SKIP_1) | instid1(VALU_DEP_2)
	v_fma_f32 v8, 0xbfc90fda, v22, |v13|
	v_cvt_i32_f32_e32 v9, v22
	v_fmac_f32_e32 v8, 0xb3a22168, v22
	s_delay_alu instid0(VALU_DEP_1)
	v_fmac_f32_e32 v8, 0xa7c234c4, v22
; %bb.82:                               ;   in Loop: Header=BB132_4 Depth=1
	s_or_b32 exec_lo, exec_lo, s2
                                        ; implicit-def: $vgpr12
                                        ; implicit-def: $vgpr11
	s_and_saveexec_b32 s2, s28
	s_delay_alu instid0(SALU_CYCLE_1)
	s_xor_b32 s28, exec_lo, s2
	s_cbranch_execz .LBB132_84
; %bb.83:                               ;   in Loop: Header=BB132_4 Depth=1
	v_mul_u64_e32 v[22:23], s[12:13], v[16:17]
	v_mov_b32_e32 v25, v17
	v_cmp_lt_u32_e32 vcc_lo, 63, v10
	v_cndmask_b32_e64 v11, 0, 0xffffffc0, vcc_lo
	s_delay_alu instid0(VALU_DEP_1) | instskip(NEXT) | instid1(VALU_DEP_1)
	v_dual_mov_b32 v11, v17 :: v_dual_add_nc_u32 v12, v11, v10
	v_cmp_lt_u32_e64 s2, 31, v12
	v_mov_b32_e32 v24, v23
	s_delay_alu instid0(VALU_DEP_2) | instskip(NEXT) | instid1(VALU_DEP_2)
	v_cndmask_b32_e64 v23, 0, 0xffffffe0, s2
	v_mad_nc_u64_u32 v[24:25], 0x3c439041, v16, v[24:25]
	s_delay_alu instid0(VALU_DEP_2) | instskip(NEXT) | instid1(VALU_DEP_1)
	v_dual_mov_b32 v27, v17 :: v_dual_add_nc_u32 v12, v23, v12
	v_cmp_lt_u32_e64 s3, 31, v12
	s_delay_alu instid0(VALU_DEP_3) | instskip(NEXT) | instid1(VALU_DEP_1)
	v_mov_b32_e32 v26, v25
	v_mad_nc_u64_u32 v[26:27], 0xdb629599, v16, v[26:27]
	s_delay_alu instid0(VALU_DEP_1) | instskip(NEXT) | instid1(VALU_DEP_1)
	v_dual_mov_b32 v29, v17 :: v_dual_mov_b32 v28, v27
	v_mad_nc_u64_u32 v[28:29], 0xf534ddc0, v16, v[28:29]
	s_delay_alu instid0(VALU_DEP_1) | instskip(NEXT) | instid1(VALU_DEP_1)
	v_dual_mov_b32 v31, v17 :: v_dual_mov_b32 v30, v29
	v_mad_nc_u64_u32 v[30:31], 0xfc2757d1, v16, v[30:31]
	s_delay_alu instid0(VALU_DEP_1) | instskip(NEXT) | instid1(VALU_DEP_2)
	v_dual_mov_b32 v33, v17 :: v_dual_mov_b32 v32, v31
	v_cndmask_b32_e32 v25, v30, v26, vcc_lo
	s_delay_alu instid0(VALU_DEP_2) | instskip(NEXT) | instid1(VALU_DEP_1)
	v_mad_nc_u64_u32 v[32:33], 0x4e441529, v16, v[32:33]
	v_mov_b32_e32 v10, v33
	s_delay_alu instid0(VALU_DEP_1) | instskip(SKIP_1) | instid1(VALU_DEP_2)
	v_mad_nc_u64_u32 v[10:11], 0xa2f9836e, v16, v[10:11]
	v_cndmask_b32_e64 v16, 0, 0xffffffe0, s3
	v_dual_cndmask_b32 v23, v32, v28 :: v_dual_cndmask_b32 v10, v10, v30
	s_delay_alu instid0(VALU_DEP_3) | instskip(NEXT) | instid1(VALU_DEP_3)
	v_cndmask_b32_e32 v11, v11, v32, vcc_lo
	v_add_nc_u32_e32 v12, v16, v12
	s_delay_alu instid0(VALU_DEP_3) | instskip(NEXT) | instid1(VALU_DEP_3)
	v_dual_cndmask_b32 v16, v28, v24, vcc_lo :: v_dual_cndmask_b32 v24, v10, v23, s2
	v_cndmask_b32_e64 v10, v11, v10, s2
	s_delay_alu instid0(VALU_DEP_3) | instskip(NEXT) | instid1(VALU_DEP_3)
	v_dual_cndmask_b32 v11, v23, v25, s2 :: v_dual_sub_nc_u32 v23, 32, v12
	v_cndmask_b32_e64 v25, v25, v16, s2
	s_delay_alu instid0(VALU_DEP_2) | instskip(NEXT) | instid1(VALU_DEP_2)
	v_dual_cndmask_b32 v10, v10, v24, s3 :: v_dual_cndmask_b32 v24, v24, v11, s3
	v_dual_cndmask_b32 v22, v26, v22, vcc_lo :: v_dual_cndmask_b32 v11, v11, v25, s3
	v_cmp_eq_u32_e32 vcc_lo, 0, v12
	s_delay_alu instid0(VALU_DEP_3) | instskip(NEXT) | instid1(VALU_DEP_3)
	v_alignbit_b32 v27, v10, v24, v23
	v_cndmask_b32_e64 v12, v16, v22, s2
	s_delay_alu instid0(VALU_DEP_4) | instskip(NEXT) | instid1(VALU_DEP_2)
	v_alignbit_b32 v26, v24, v11, v23
	v_dual_cndmask_b32 v10, v27, v10, vcc_lo :: v_dual_cndmask_b32 v12, v25, v12, s3
	s_delay_alu instid0(VALU_DEP_2) | instskip(NEXT) | instid1(VALU_DEP_2)
	v_cndmask_b32_e32 v16, v26, v24, vcc_lo
	v_bfe_u32 v22, v10, 29, 1
	s_delay_alu instid0(VALU_DEP_3) | instskip(NEXT) | instid1(VALU_DEP_3)
	v_alignbit_b32 v23, v11, v12, v23
	v_alignbit_b32 v24, v10, v16, 30
	s_delay_alu instid0(VALU_DEP_2) | instskip(NEXT) | instid1(VALU_DEP_1)
	v_dual_sub_nc_u32 v25, 0, v22 :: v_dual_cndmask_b32 v11, v23, v11, vcc_lo
	v_xor_b32_e32 v24, v24, v25
	s_delay_alu instid0(VALU_DEP_2) | instskip(SKIP_1) | instid1(VALU_DEP_3)
	v_alignbit_b32 v16, v16, v11, 30
	v_alignbit_b32 v11, v11, v12, 30
	v_clz_i32_u32_e32 v23, v24
	s_delay_alu instid0(VALU_DEP_2) | instskip(NEXT) | instid1(VALU_DEP_2)
	v_xor_b32_e32 v11, v11, v25
	v_min_u32_e32 v23, 32, v23
	v_dual_lshrrev_b32 v25, 29, v10 :: v_dual_bitop2_b32 v12, v16, v25 bitop3:0x14
	s_delay_alu instid0(VALU_DEP_2) | instskip(SKIP_1) | instid1(VALU_DEP_2)
	v_dual_lshrrev_b32 v10, 30, v10 :: v_dual_sub_nc_u32 v16, 31, v23
	v_lshlrev_b32_e32 v26, 23, v23
	v_alignbit_b32 v24, v24, v12, v16
	v_alignbit_b32 v11, v12, v11, v16
	v_lshlrev_b32_e32 v12, 31, v25
	s_delay_alu instid0(VALU_DEP_2) | instskip(NEXT) | instid1(VALU_DEP_2)
	v_alignbit_b32 v16, v24, v11, 9
	v_or_b32_e32 v25, 0.5, v12
	v_lshrrev_b32_e32 v24, 9, v24
	v_or_b32_e32 v12, 0x33000000, v12
	s_delay_alu instid0(VALU_DEP_4) | instskip(NEXT) | instid1(VALU_DEP_4)
	v_clz_i32_u32_e32 v27, v16
	v_sub_nc_u32_e32 v25, v25, v26
	s_delay_alu instid0(VALU_DEP_2) | instskip(NEXT) | instid1(VALU_DEP_2)
	v_min_u32_e32 v26, 32, v27
	v_or_b32_e32 v24, v24, v25
	s_delay_alu instid0(VALU_DEP_2) | instskip(SKIP_1) | instid1(VALU_DEP_2)
	v_not_b32_e32 v25, v26
	v_add_lshl_u32 v23, v26, v23, 23
	v_alignbit_b32 v11, v16, v11, v25
	s_delay_alu instid0(VALU_DEP_2) | instskip(NEXT) | instid1(VALU_DEP_2)
	v_sub_nc_u32_e32 v12, v12, v23
	v_lshrrev_b32_e32 v11, 9, v11
	s_delay_alu instid0(VALU_DEP_1) | instskip(SKIP_1) | instid1(VALU_DEP_1)
	v_or_b32_e32 v11, v12, v11
	v_dual_mul_f32 v27, 0x3fc90fda, v24 :: v_dual_add_nc_u32 v12, v22, v10
                                        ; implicit-def: $vgpr22
	v_fma_f32 v16, 0x3fc90fda, v24, -v27
	s_delay_alu instid0(VALU_DEP_1) | instskip(NEXT) | instid1(VALU_DEP_1)
	v_fmac_f32_e32 v16, 0x33a22168, v24
	v_fmac_f32_e32 v16, 0x3fc90fda, v11
	s_delay_alu instid0(VALU_DEP_1)
	v_add_f32_e32 v11, v27, v16
	s_and_not1_saveexec_b32 s2, s28
	s_cbranch_execnz .LBB132_85
	s_branch .LBB132_86
.LBB132_84:                             ;   in Loop: Header=BB132_4 Depth=1
	s_and_not1_saveexec_b32 s2, s28
.LBB132_85:                             ;   in Loop: Header=BB132_4 Depth=1
	v_fma_f32 v11, 0xbfc90fda, v22, |v13|
	v_cvt_i32_f32_e32 v12, v22
	s_delay_alu instid0(VALU_DEP_2) | instskip(NEXT) | instid1(VALU_DEP_1)
	v_fmac_f32_e32 v11, 0xb3a22168, v22
	v_fmac_f32_e32 v11, 0xa7c234c4, v22
.LBB132_86:                             ;   in Loop: Header=BB132_4 Depth=1
	s_or_b32 exec_lo, exec_lo, s2
	s_delay_alu instid0(VALU_DEP_1) | instskip(SKIP_1) | instid1(VALU_DEP_2)
	v_dual_mul_f32 v10, v8, v8 :: v_dual_mul_f32 v16, v11, v11
	v_dual_lshlrev_b32 v9, 30, v9 :: v_dual_bitop2_b32 v22, 1, v9 bitop3:0x40
	v_fmaak_f32 v23, s22, v10, 0x3c0881c4
	s_delay_alu instid0(VALU_DEP_2) | instskip(SKIP_1) | instid1(VALU_DEP_3)
	v_cmp_eq_u32_e32 vcc_lo, 0, v22
	v_dual_lshlrev_b32 v12, 30, v12 :: v_dual_bitop2_b32 v27, 1, v12 bitop3:0x40
	v_fmaak_f32 v23, v10, v23, 0xbe2aaa9d
	v_fmaak_f32 v24, s23, v10, 0xbab64f3b
	s_delay_alu instid0(VALU_DEP_3) | instskip(NEXT) | instid1(VALU_DEP_3)
	v_and_or_b32 v1, 0x80000000, v12, v1
	v_mul_f32_e32 v23, v10, v23
	s_delay_alu instid0(VALU_DEP_1) | instskip(NEXT) | instid1(VALU_DEP_1)
	v_dual_fmaak_f32 v25, s22, v16, 0x3c0881c4 :: v_dual_fmac_f32 v8, v8, v23
	v_fmaak_f32 v25, v16, v25, 0xbe2aaa9d
	s_delay_alu instid0(VALU_DEP_1) | instskip(SKIP_1) | instid1(VALU_DEP_2)
	v_dual_fmaak_f32 v26, s23, v16, 0xbab64f3b :: v_dual_mul_f32 v25, v16, v25
	v_fmaak_f32 v24, v10, v24, 0x3d2aabf7
	v_dual_fmaak_f32 v26, v16, v26, 0x3d2aabf7 :: v_dual_fmac_f32 v11, v11, v25
	s_delay_alu instid0(VALU_DEP_2) | instskip(NEXT) | instid1(VALU_DEP_2)
	v_fmaak_f32 v24, v10, v24, 0xbf000004
	v_fmaak_f32 v26, v16, v26, 0xbf000004
	s_delay_alu instid0(VALU_DEP_2) | instskip(NEXT) | instid1(VALU_DEP_2)
	v_fma_f32 v10, v10, v24, 1.0
	v_fma_f32 v16, v16, v26, 1.0
	s_delay_alu instid0(VALU_DEP_2) | instskip(SKIP_1) | instid1(VALU_DEP_2)
	v_cndmask_b32_e64 v8, -v8, v10, vcc_lo
	v_cmp_eq_u32_e32 vcc_lo, 0, v27
	v_bitop3_b32 v8, v9, v8, 0x80000000 bitop3:0x6c
	s_delay_alu instid0(VALU_DEP_4) | instskip(SKIP_1) | instid1(VALU_DEP_2)
	v_cndmask_b32_e32 v10, v16, v11, vcc_lo
	v_cmp_class_f32_e64 vcc_lo, v13, 0x1f8
	v_xor3_b32 v1, v1, v10, v13
	s_delay_alu instid0(VALU_DEP_4) | instskip(NEXT) | instid1(VALU_DEP_2)
	v_cndmask_b32_e32 v8, 0x7fc00000, v8, vcc_lo
	v_cndmask_b32_e32 v9, 0x7fc00000, v1, vcc_lo
.LBB132_87:                             ;   in Loop: Header=BB132_4 Depth=1
	s_or_b32 exec_lo, exec_lo, s27
                                        ; implicit-def: $vgpr10_vgpr11_vgpr12_vgpr13
.LBB132_88:                             ;   in Loop: Header=BB132_4 Depth=1
	s_and_not1_saveexec_b32 s2, s26
	s_cbranch_execz .LBB132_90
; %bb.89:                               ;   in Loop: Header=BB132_4 Depth=1
	v_mul_f32_e32 v1, 0x3fb8aa3b, v12
	v_cmp_ngt_f32_e32 vcc_lo, 0xc2ce8ed0, v12
	s_delay_alu instid0(VALU_DEP_2) | instskip(SKIP_1) | instid1(VALU_DEP_2)
	v_rndne_f32_e32 v8, v1
	v_fma_f32 v9, 0x3fb8aa3b, v12, -v1
	v_sub_f32_e32 v1, v1, v8
	s_delay_alu instid0(VALU_DEP_2) | instskip(SKIP_1) | instid1(VALU_DEP_2)
	v_fmac_f32_e32 v9, 0x32a5705f, v12
	v_cvt_i32_f32_e32 v8, v8
	v_add_f32_e32 v1, v1, v9
	v_mov_b32_e32 v9, v13
	s_delay_alu instid0(VALU_DEP_2) | instskip(SKIP_1) | instid1(TRANS32_DEP_1)
	v_exp_f32_e32 v1, v1
	v_nop
	v_ldexp_f32 v1, v1, v8
	s_delay_alu instid0(VALU_DEP_1) | instskip(SKIP_1) | instid1(VALU_DEP_2)
	v_cndmask_b32_e32 v1, 0, v1, vcc_lo
	v_cmp_nlt_f32_e32 vcc_lo, 0x42b17218, v12
	v_cndmask_b32_e32 v8, 0x7f800000, v1, vcc_lo
.LBB132_90:                             ;   in Loop: Header=BB132_4 Depth=1
	s_or_b32 exec_lo, exec_lo, s2
	s_wait_loadcnt 0x0
	v_and_b32_e32 v1, 0x7fffffff, v3
                                        ; implicit-def: $vgpr11
	s_mov_b32 s2, exec_lo
	s_delay_alu instid0(VALU_DEP_1)
	v_cmpx_ne_u32_e32 0, v1
	s_xor_b32 s26, exec_lo, s2
	s_cbranch_execz .LBB132_130
; %bb.91:                               ;   in Loop: Header=BB132_4 Depth=1
	v_and_b32_e32 v12, 0x7fffffff, v2
                                        ; implicit-def: $vgpr11
	s_mov_b32 s2, exec_lo
	s_delay_alu instid0(VALU_DEP_1)
	v_cmpx_ne_u32_e32 0, v12
	s_xor_b32 s27, exec_lo, s2
	s_cbranch_execz .LBB132_119
; %bb.92:                               ;   in Loop: Header=BB132_4 Depth=1
                                        ; implicit-def: $vgpr11
	s_mov_b32 s2, exec_lo
	v_cmpx_gt_u32_e32 0x7f800000, v1
	s_xor_b32 s28, exec_lo, s2
	s_cbranch_execz .LBB132_114
; %bb.93:                               ;   in Loop: Header=BB132_4 Depth=1
	v_add_nc_u32_e32 v10, 0xbd4e8de8, v2
	s_delay_alu instid0(VALU_DEP_1) | instskip(SKIP_1) | instid1(SALU_CYCLE_1)
	v_cmp_lt_u32_e32 vcc_lo, 0x8e8e5c, v10
                                        ; implicit-def: $vgpr11
	s_and_saveexec_b32 s2, vcc_lo
	s_xor_b32 s29, exec_lo, s2
	s_cbranch_execz .LBB132_103
; %bb.94:                               ;   in Loop: Header=BB132_4 Depth=1
	v_cmp_ngt_f32_e64 s30, 0x48000000, |v3|
                                        ; implicit-def: $vgpr11
                                        ; implicit-def: $vgpr10
	s_and_saveexec_b32 s2, s30
	s_delay_alu instid0(SALU_CYCLE_1)
	s_xor_b32 s31, exec_lo, s2
	s_cbranch_execz .LBB132_96
; %bb.95:                               ;   in Loop: Header=BB132_4 Depth=1
	v_and_or_b32 v16, v1, s21, 0x800000
	v_mov_b32_e32 v29, v17
	s_delay_alu instid0(VALU_DEP_2) | instskip(NEXT) | instid1(VALU_DEP_1)
	v_mul_u64_e32 v[10:11], s[12:13], v[16:17]
	v_dual_mov_b32 v13, v17 :: v_dual_mov_b32 v12, v11
	v_lshrrev_b32_e32 v11, 23, v1
	s_delay_alu instid0(VALU_DEP_2) | instskip(SKIP_1) | instid1(VALU_DEP_3)
	v_mad_nc_u64_u32 v[12:13], 0x3c439041, v16, v[12:13]
	v_mov_b32_e32 v23, v17
	v_add_nc_u32_e32 v11, 0xffffff88, v11
	s_delay_alu instid0(VALU_DEP_1) | instskip(NEXT) | instid1(VALU_DEP_4)
	v_cmp_lt_u32_e32 vcc_lo, 63, v11
	v_mov_b32_e32 v22, v13
	v_cndmask_b32_e64 v13, 0, 0xffffffc0, vcc_lo
	s_delay_alu instid0(VALU_DEP_2) | instskip(NEXT) | instid1(VALU_DEP_1)
	v_mad_nc_u64_u32 v[22:23], 0xdb629599, v16, v[22:23]
	v_dual_mov_b32 v25, v17 :: v_dual_mov_b32 v24, v23
	s_delay_alu instid0(VALU_DEP_1) | instskip(NEXT) | instid1(VALU_DEP_1)
	v_mad_nc_u64_u32 v[24:25], 0xf534ddc0, v16, v[24:25]
	v_dual_mov_b32 v27, v17 :: v_dual_mov_b32 v26, v25
	s_delay_alu instid0(VALU_DEP_2) | instskip(NEXT) | instid1(VALU_DEP_2)
	v_cndmask_b32_e32 v12, v24, v12, vcc_lo
	v_mad_nc_u64_u32 v[26:27], 0xfc2757d1, v16, v[26:27]
	s_delay_alu instid0(VALU_DEP_1) | instskip(NEXT) | instid1(VALU_DEP_1)
	v_mov_b32_e32 v28, v27
	v_mad_nc_u64_u32 v[28:29], 0x4e441529, v16, v[28:29]
	v_add_nc_u32_e32 v11, v13, v11
	s_delay_alu instid0(VALU_DEP_2) | instskip(NEXT) | instid1(VALU_DEP_1)
	v_dual_mov_b32 v31, v17 :: v_dual_mov_b32 v30, v29
	v_mad_nc_u64_u32 v[30:31], 0xa2f9836e, v16, v[30:31]
	s_delay_alu instid0(VALU_DEP_4) | instskip(NEXT) | instid1(VALU_DEP_4)
	v_cndmask_b32_e32 v16, v28, v24, vcc_lo
	v_cmp_lt_u32_e64 s2, 31, v11
	s_delay_alu instid0(VALU_DEP_1) | instskip(NEXT) | instid1(VALU_DEP_1)
	v_cndmask_b32_e64 v13, 0, 0xffffffe0, s2
	v_dual_cndmask_b32 v23, v30, v26, vcc_lo :: v_dual_add_nc_u32 v11, v13, v11
	v_dual_cndmask_b32 v25, v31, v28 :: v_dual_cndmask_b32 v26, v26, v22
	s_delay_alu instid0(VALU_DEP_2) | instskip(NEXT) | instid1(VALU_DEP_1)
	v_cmp_lt_u32_e64 s3, 31, v11
	v_cndmask_b32_e64 v13, 0, 0xffffffe0, s3
	s_delay_alu instid0(VALU_DEP_1) | instskip(NEXT) | instid1(VALU_DEP_4)
	v_dual_add_nc_u32 v11, v13, v11 :: v_dual_cndmask_b32 v13, v23, v16, s2
	v_dual_cndmask_b32 v23, v25, v23, s2 :: v_dual_cndmask_b32 v16, v16, v26, s2
	s_delay_alu instid0(VALU_DEP_2) | instskip(NEXT) | instid1(VALU_DEP_2)
	v_dual_cndmask_b32 v25, v26, v12, s2 :: v_dual_sub_nc_u32 v24, 32, v11
	v_dual_cndmask_b32 v23, v23, v13, s3 :: v_dual_cndmask_b32 v13, v13, v16, s3
	s_delay_alu instid0(VALU_DEP_2) | instskip(SKIP_1) | instid1(VALU_DEP_3)
	v_dual_cndmask_b32 v16, v16, v25, s3 :: v_dual_cndmask_b32 v10, v22, v10, vcc_lo
	v_cmp_eq_u32_e32 vcc_lo, 0, v11
	v_alignbit_b32 v26, v23, v13, v24
	s_delay_alu instid0(VALU_DEP_3) | instskip(NEXT) | instid1(VALU_DEP_2)
	v_alignbit_b32 v22, v13, v16, v24
	v_dual_cndmask_b32 v10, v12, v10, s2 :: v_dual_cndmask_b32 v11, v26, v23, vcc_lo
	s_delay_alu instid0(VALU_DEP_2) | instskip(NEXT) | instid1(VALU_DEP_2)
	v_cndmask_b32_e32 v12, v22, v13, vcc_lo
	v_bfe_u32 v13, v11, 29, 1
	s_delay_alu instid0(VALU_DEP_3) | instskip(NEXT) | instid1(VALU_DEP_3)
	v_cndmask_b32_e64 v10, v25, v10, s3
	v_alignbit_b32 v22, v11, v12, 30
	s_delay_alu instid0(VALU_DEP_3) | instskip(NEXT) | instid1(VALU_DEP_3)
	v_sub_nc_u32_e32 v23, 0, v13
	v_alignbit_b32 v24, v16, v10, v24
	s_delay_alu instid0(VALU_DEP_1) | instskip(NEXT) | instid1(VALU_DEP_1)
	v_dual_cndmask_b32 v16, v24, v16, vcc_lo :: v_dual_bitop2_b32 v22, v22, v23 bitop3:0x14
	v_clz_i32_u32_e32 v24, v22
	s_delay_alu instid0(VALU_DEP_2) | instskip(SKIP_1) | instid1(VALU_DEP_3)
	v_alignbit_b32 v12, v12, v16, 30
	v_alignbit_b32 v10, v16, v10, 30
	v_min_u32_e32 v24, 32, v24
	s_delay_alu instid0(VALU_DEP_3) | instskip(NEXT) | instid1(VALU_DEP_3)
	v_xor_b32_e32 v12, v12, v23
	v_xor_b32_e32 v10, v10, v23
	v_dual_lshrrev_b32 v23, 29, v11 :: v_dual_lshrrev_b32 v11, 30, v11
	s_delay_alu instid0(VALU_DEP_4) | instskip(NEXT) | instid1(VALU_DEP_2)
	v_dual_sub_nc_u32 v16, 31, v24 :: v_dual_lshlrev_b32 v25, 23, v24
	v_add_nc_u32_e32 v11, v13, v11
	s_delay_alu instid0(VALU_DEP_2) | instskip(SKIP_2) | instid1(VALU_DEP_2)
	v_alignbit_b32 v22, v22, v12, v16
	v_alignbit_b32 v10, v12, v10, v16
	v_lshlrev_b32_e32 v12, 31, v23
	v_alignbit_b32 v16, v22, v10, 9
	s_delay_alu instid0(VALU_DEP_2) | instskip(SKIP_1) | instid1(VALU_DEP_3)
	v_dual_lshrrev_b32 v22, 9, v22 :: v_dual_bitop2_b32 v23, 0.5, v12 bitop3:0x54
	v_or_b32_e32 v12, 0x33000000, v12
	v_clz_i32_u32_e32 v26, v16
	s_delay_alu instid0(VALU_DEP_3) | instskip(NEXT) | instid1(VALU_DEP_2)
	v_sub_nc_u32_e32 v23, v23, v25
	v_min_u32_e32 v25, 32, v26
	s_delay_alu instid0(VALU_DEP_1) | instskip(NEXT) | instid1(VALU_DEP_3)
	v_add_lshl_u32 v24, v25, v24, 23
	v_or_b32_e32 v22, v22, v23
	v_not_b32_e32 v23, v25
	s_delay_alu instid0(VALU_DEP_3) | instskip(NEXT) | instid1(VALU_DEP_3)
	v_sub_nc_u32_e32 v12, v12, v24
	v_mul_f32_e32 v26, 0x3fc90fda, v22
	s_delay_alu instid0(VALU_DEP_3) | instskip(NEXT) | instid1(VALU_DEP_2)
	v_alignbit_b32 v10, v16, v10, v23
	v_fma_f32 v16, 0x3fc90fda, v22, -v26
	s_delay_alu instid0(VALU_DEP_2) | instskip(NEXT) | instid1(VALU_DEP_2)
	v_lshrrev_b32_e32 v10, 9, v10
	v_fmac_f32_e32 v16, 0x33a22168, v22
	s_delay_alu instid0(VALU_DEP_2) | instskip(NEXT) | instid1(VALU_DEP_1)
	v_or_b32_e32 v10, v12, v10
	v_fmac_f32_e32 v16, 0x3fc90fda, v10
	s_delay_alu instid0(VALU_DEP_1)
	v_add_f32_e32 v10, v26, v16
	s_and_not1_saveexec_b32 s2, s31
	s_branch .LBB132_97
.LBB132_96:                             ;   in Loop: Header=BB132_4 Depth=1
	s_and_not1_saveexec_b32 s2, s31
.LBB132_97:                             ;   in Loop: Header=BB132_4 Depth=1
	v_mul_f32_e64 v10, 0x3f22f983, |v3|
	s_delay_alu instid0(VALU_DEP_1) | instskip(NEXT) | instid1(VALU_DEP_1)
	v_rndne_f32_e32 v11, v10
	v_fma_f32 v10, 0xbfc90fda, v11, |v3|
	s_delay_alu instid0(VALU_DEP_1) | instskip(NEXT) | instid1(VALU_DEP_1)
	v_fmac_f32_e32 v10, 0xb3a22168, v11
	v_fmac_f32_e32 v10, 0xa7c234c4, v11
	v_cvt_i32_f32_e32 v11, v11
; %bb.98:                               ;   in Loop: Header=BB132_4 Depth=1
	s_or_b32 exec_lo, exec_lo, s2
                                        ; implicit-def: $vgpr13
                                        ; implicit-def: $vgpr12
	s_and_saveexec_b32 s2, s30
	s_delay_alu instid0(SALU_CYCLE_1)
	s_xor_b32 s30, exec_lo, s2
	s_cbranch_execz .LBB132_100
; %bb.99:                               ;   in Loop: Header=BB132_4 Depth=1
	v_and_or_b32 v16, v1, s21, 0x800000
	v_dual_mov_b32 v31, v17 :: v_dual_mov_b32 v33, v17
	s_delay_alu instid0(VALU_DEP_2) | instskip(NEXT) | instid1(VALU_DEP_1)
	v_mul_u64_e32 v[12:13], s[12:13], v[16:17]
	v_dual_mov_b32 v23, v17 :: v_dual_mov_b32 v22, v13
	v_lshrrev_b32_e32 v13, 23, v1
	s_delay_alu instid0(VALU_DEP_2) | instskip(SKIP_1) | instid1(VALU_DEP_3)
	v_mad_nc_u64_u32 v[22:23], 0x3c439041, v16, v[22:23]
	v_mov_b32_e32 v25, v17
	v_add_nc_u32_e32 v13, 0xffffff88, v13
	s_delay_alu instid0(VALU_DEP_1) | instskip(NEXT) | instid1(VALU_DEP_4)
	v_cmp_lt_u32_e32 vcc_lo, 63, v13
	v_mov_b32_e32 v24, v23
	v_cndmask_b32_e64 v23, 0, 0xffffffc0, vcc_lo
	s_delay_alu instid0(VALU_DEP_2) | instskip(NEXT) | instid1(VALU_DEP_2)
	v_mad_nc_u64_u32 v[24:25], 0xdb629599, v16, v[24:25]
	v_dual_mov_b32 v27, v17 :: v_dual_add_nc_u32 v13, v23, v13
	s_delay_alu instid0(VALU_DEP_1) | instskip(NEXT) | instid1(VALU_DEP_3)
	v_cmp_lt_u32_e64 s2, 31, v13
	v_mov_b32_e32 v26, v25
	s_delay_alu instid0(VALU_DEP_2) | instskip(SKIP_1) | instid1(VALU_DEP_3)
	v_cndmask_b32_e64 v23, 0, 0xffffffe0, s2
	v_cndmask_b32_e32 v12, v24, v12, vcc_lo
	v_mad_nc_u64_u32 v[26:27], 0xf534ddc0, v16, v[26:27]
	s_delay_alu instid0(VALU_DEP_1) | instskip(NEXT) | instid1(VALU_DEP_1)
	v_dual_mov_b32 v29, v17 :: v_dual_mov_b32 v28, v27
	v_mad_nc_u64_u32 v[28:29], 0xfc2757d1, v16, v[28:29]
	s_delay_alu instid0(VALU_DEP_1) | instskip(NEXT) | instid1(VALU_DEP_1)
	v_dual_mov_b32 v30, v29 :: v_dual_add_nc_u32 v13, v23, v13
	v_mad_nc_u64_u32 v[30:31], 0x4e441529, v16, v[30:31]
	s_delay_alu instid0(VALU_DEP_1) | instskip(NEXT) | instid1(VALU_DEP_1)
	v_dual_mov_b32 v32, v31 :: v_dual_cndmask_b32 v23, v30, v26
	v_mad_nc_u64_u32 v[32:33], 0xa2f9836e, v16, v[32:33]
	s_delay_alu instid0(VALU_DEP_1) | instskip(SKIP_1) | instid1(VALU_DEP_3)
	v_cndmask_b32_e32 v25, v32, v28, vcc_lo
	v_cmp_lt_u32_e64 s3, 31, v13
	v_dual_cndmask_b32 v27, v33, v30 :: v_dual_cndmask_b32 v28, v28, v24
	s_delay_alu instid0(VALU_DEP_2) | instskip(NEXT) | instid1(VALU_DEP_1)
	v_cndmask_b32_e64 v16, 0, 0xffffffe0, s3
	v_dual_cndmask_b32 v16, v26, v22 :: v_dual_add_nc_u32 v13, v16, v13
	s_delay_alu instid0(VALU_DEP_3) | instskip(NEXT) | instid1(VALU_DEP_2)
	v_dual_cndmask_b32 v22, v25, v23, s2 :: v_dual_cndmask_b32 v25, v27, v25, s2
	v_dual_cndmask_b32 v23, v23, v28, s2 :: v_dual_sub_nc_u32 v26, 32, v13
	s_delay_alu instid0(VALU_DEP_3) | instskip(SKIP_1) | instid1(VALU_DEP_3)
	v_cndmask_b32_e64 v27, v28, v16, s2
	v_cmp_eq_u32_e32 vcc_lo, 0, v13
	v_dual_cndmask_b32 v25, v25, v22, s3 :: v_dual_cndmask_b32 v22, v22, v23, s3
	v_cndmask_b32_e64 v12, v16, v12, s2
	s_delay_alu instid0(VALU_DEP_2) | instskip(NEXT) | instid1(VALU_DEP_1)
	v_alignbit_b32 v28, v25, v22, v26
	v_dual_cndmask_b32 v23, v23, v27, s3 :: v_dual_cndmask_b32 v13, v28, v25, vcc_lo
	s_delay_alu instid0(VALU_DEP_1) | instskip(NEXT) | instid1(VALU_DEP_1)
	v_alignbit_b32 v24, v22, v23, v26
	v_cndmask_b32_e32 v16, v24, v22, vcc_lo
	s_delay_alu instid0(VALU_DEP_3) | instskip(NEXT) | instid1(VALU_DEP_1)
	v_bfe_u32 v22, v13, 29, 1
	v_dual_sub_nc_u32 v25, 0, v22 :: v_dual_cndmask_b32 v12, v27, v12, s3
	s_delay_alu instid0(VALU_DEP_3) | instskip(NEXT) | instid1(VALU_DEP_2)
	v_alignbit_b32 v24, v13, v16, 30
	v_alignbit_b32 v26, v23, v12, v26
	s_delay_alu instid0(VALU_DEP_1) | instskip(NEXT) | instid1(VALU_DEP_1)
	v_dual_cndmask_b32 v23, v26, v23, vcc_lo :: v_dual_bitop2_b32 v24, v24, v25 bitop3:0x14
	v_clz_i32_u32_e32 v26, v24
	s_delay_alu instid0(VALU_DEP_2) | instskip(NEXT) | instid1(VALU_DEP_2)
	v_alignbit_b32 v16, v16, v23, 30
	v_min_u32_e32 v26, 32, v26
	v_alignbit_b32 v12, v23, v12, 30
	s_delay_alu instid0(VALU_DEP_2) | instskip(NEXT) | instid1(VALU_DEP_2)
	v_dual_sub_nc_u32 v23, 31, v26 :: v_dual_bitop2_b32 v16, v16, v25 bitop3:0x14
	v_xor_b32_e32 v12, v12, v25
	v_dual_lshrrev_b32 v25, 29, v13 :: v_dual_lshlrev_b32 v27, 23, v26
	v_lshrrev_b32_e32 v13, 30, v13
	s_delay_alu instid0(VALU_DEP_4) | instskip(NEXT) | instid1(VALU_DEP_4)
	v_alignbit_b32 v24, v24, v16, v23
	v_alignbit_b32 v12, v16, v12, v23
	s_delay_alu instid0(VALU_DEP_4) | instskip(NEXT) | instid1(VALU_DEP_4)
	v_lshlrev_b32_e32 v16, 31, v25
	v_add_nc_u32_e32 v13, v22, v13
	s_delay_alu instid0(VALU_DEP_3) | instskip(NEXT) | instid1(VALU_DEP_3)
	v_alignbit_b32 v23, v24, v12, 9
	v_or_b32_e32 v25, 0.5, v16
	v_lshrrev_b32_e32 v24, 9, v24
	v_or_b32_e32 v16, 0x33000000, v16
	s_delay_alu instid0(VALU_DEP_4) | instskip(NEXT) | instid1(VALU_DEP_4)
	v_clz_i32_u32_e32 v28, v23
	v_sub_nc_u32_e32 v25, v25, v27
	s_delay_alu instid0(VALU_DEP_2) | instskip(NEXT) | instid1(VALU_DEP_2)
	v_min_u32_e32 v27, 32, v28
	v_or_b32_e32 v24, v24, v25
	s_delay_alu instid0(VALU_DEP_2) | instskip(SKIP_1) | instid1(VALU_DEP_2)
	v_not_b32_e32 v25, v27
	v_add_lshl_u32 v26, v27, v26, 23
	v_alignbit_b32 v12, v23, v12, v25
	s_delay_alu instid0(VALU_DEP_1) | instskip(SKIP_1) | instid1(VALU_DEP_2)
	v_dual_sub_nc_u32 v16, v16, v26 :: v_dual_lshrrev_b32 v12, 9, v12
	v_mul_f32_e32 v28, 0x3fc90fda, v24
	v_or_b32_e32 v12, v16, v12
	s_delay_alu instid0(VALU_DEP_2) | instskip(NEXT) | instid1(VALU_DEP_1)
	v_fma_f32 v23, 0x3fc90fda, v24, -v28
	v_fmac_f32_e32 v23, 0x33a22168, v24
	s_delay_alu instid0(VALU_DEP_1) | instskip(NEXT) | instid1(VALU_DEP_1)
	v_fmac_f32_e32 v23, 0x3fc90fda, v12
	v_add_f32_e32 v12, v28, v23
	s_and_not1_saveexec_b32 s2, s30
	s_cbranch_execnz .LBB132_101
	s_branch .LBB132_102
.LBB132_100:                            ;   in Loop: Header=BB132_4 Depth=1
	s_and_not1_saveexec_b32 s2, s30
.LBB132_101:                            ;   in Loop: Header=BB132_4 Depth=1
	v_mul_f32_e64 v12, 0x3f22f983, |v3|
	s_delay_alu instid0(VALU_DEP_1) | instskip(NEXT) | instid1(VALU_DEP_1)
	v_rndne_f32_e32 v13, v12
	v_fma_f32 v12, 0xbfc90fda, v13, |v3|
	s_delay_alu instid0(VALU_DEP_1) | instskip(NEXT) | instid1(VALU_DEP_1)
	v_fmac_f32_e32 v12, 0xb3a22168, v13
	v_fmac_f32_e32 v12, 0xa7c234c4, v13
	v_cvt_i32_f32_e32 v13, v13
.LBB132_102:                            ;   in Loop: Header=BB132_4 Depth=1
	s_or_b32 exec_lo, exec_lo, s2
	v_dual_mul_f32 v22, v10, v10 :: v_dual_bitop2_b32 v23, 1, v11 bitop3:0x40
	s_delay_alu instid0(VALU_DEP_2) | instskip(SKIP_2) | instid1(VALU_DEP_4)
	v_mul_f32_e32 v24, v12, v12
	v_cmp_nlt_f32_e64 s2, 0x42b17218, v2
	v_lshlrev_b32_e32 v11, 30, v11
	v_fmaak_f32 v27, s22, v22, 0x3c0881c4
	v_cmp_eq_u32_e32 vcc_lo, 0, v23
	v_fmaak_f32 v30, s23, v24, 0xbab64f3b
	s_delay_alu instid0(VALU_DEP_3) | instskip(NEXT) | instid1(VALU_DEP_1)
	v_fmaak_f32 v27, v22, v27, 0xbe2aaa9d
	v_dual_mul_f32 v16, 0x3fb8aa3b, v2 :: v_dual_mul_f32 v27, v22, v27
	s_delay_alu instid0(VALU_DEP_1) | instskip(SKIP_1) | instid1(VALU_DEP_3)
	v_rndne_f32_e32 v25, v16
	v_fma_f32 v26, 0x3fb8aa3b, v2, -v16
	v_dual_fmaak_f32 v29, s22, v24, 0x3c0881c4 :: v_dual_fmac_f32 v10, v10, v27
	s_delay_alu instid0(VALU_DEP_3) | instskip(NEXT) | instid1(VALU_DEP_3)
	v_sub_f32_e32 v16, v16, v25
	v_fmac_f32_e32 v26, 0x32a5705f, v2
	s_delay_alu instid0(VALU_DEP_3) | instskip(SKIP_2) | instid1(VALU_DEP_4)
	v_fmaak_f32 v29, v24, v29, 0xbe2aaa9d
	v_fmaak_f32 v28, s23, v22, 0xbab64f3b
	v_cvt_i32_f32_e32 v25, v25
	v_add_f32_e32 v16, v16, v26
	s_delay_alu instid0(VALU_DEP_3) | instskip(NEXT) | instid1(VALU_DEP_2)
	v_dual_mul_f32 v29, v24, v29 :: v_dual_fmaak_f32 v28, v22, v28, 0x3d2aabf7
	v_exp_f32_e32 v16, v16
	s_delay_alu instid0(VALU_DEP_1) | instskip(NEXT) | instid1(VALU_DEP_1)
	v_fmaak_f32 v28, v22, v28, 0xbf000004
	v_fma_f32 v22, v22, v28, 1.0
	s_delay_alu instid0(TRANS32_DEP_1) | instskip(SKIP_1) | instid1(VALU_DEP_3)
	v_ldexp_f32 v16, v16, v25
	v_fmaak_f32 v26, v24, v30, 0x3d2aabf7
	v_dual_fmac_f32 v12, v12, v29 :: v_dual_cndmask_b32 v10, -v10, v22, vcc_lo
	s_delay_alu instid0(VALU_DEP_2) | instskip(NEXT) | instid1(VALU_DEP_2)
	v_fmaak_f32 v26, v24, v26, 0xbf000004
	v_bitop3_b32 v10, v11, v10, 0x80000000 bitop3:0x6c
	s_delay_alu instid0(VALU_DEP_2) | instskip(SKIP_1) | instid1(VALU_DEP_1)
	v_fma_f32 v24, v24, v26, 1.0
	v_dual_lshlrev_b32 v13, 30, v13 :: v_dual_bitop2_b32 v25, 1, v13 bitop3:0x40
	v_cmp_eq_u32_e32 vcc_lo, 0, v25
	s_delay_alu instid0(VALU_DEP_2) | instskip(NEXT) | instid1(VALU_DEP_4)
	v_and_or_b32 v1, 0x80000000, v13, v1
	v_cndmask_b32_e32 v12, v24, v12, vcc_lo
	v_cmp_ngt_f32_e32 vcc_lo, 0xc2ce8ed0, v2
	s_delay_alu instid0(VALU_DEP_2) | instskip(SKIP_2) | instid1(VALU_DEP_2)
	v_xor3_b32 v1, v1, v12, v3
	v_cndmask_b32_e32 v13, 0, v16, vcc_lo
	v_cmp_class_f32_e64 vcc_lo, v3, 0x1f8
	v_cndmask_b32_e64 v11, 0x7f800000, v13, s2
	v_cndmask_b32_e32 v10, 0x7fc00000, v10, vcc_lo
	s_delay_alu instid0(VALU_DEP_1) | instskip(NEXT) | instid1(VALU_DEP_1)
	v_dual_cndmask_b32 v1, 0x7fc00000, v1 :: v_dual_mul_f32 v10, v11, v10
	v_mul_f32_e32 v11, v11, v1
                                        ; implicit-def: $vgpr1
.LBB132_103:                            ;   in Loop: Header=BB132_4 Depth=1
	s_and_not1_saveexec_b32 s29, s29
	s_cbranch_execz .LBB132_113
; %bb.104:                              ;   in Loop: Header=BB132_4 Depth=1
	v_cmp_ngt_f32_e64 s30, 0x48000000, |v3|
                                        ; implicit-def: $vgpr11
                                        ; implicit-def: $vgpr10
	s_and_saveexec_b32 s2, s30
	s_delay_alu instid0(SALU_CYCLE_1)
	s_xor_b32 s31, exec_lo, s2
	s_cbranch_execz .LBB132_106
; %bb.105:                              ;   in Loop: Header=BB132_4 Depth=1
	v_and_or_b32 v16, v1, s21, 0x800000
	v_mov_b32_e32 v29, v17
	s_delay_alu instid0(VALU_DEP_2) | instskip(NEXT) | instid1(VALU_DEP_1)
	v_mul_u64_e32 v[10:11], s[12:13], v[16:17]
	v_dual_mov_b32 v13, v17 :: v_dual_mov_b32 v12, v11
	v_lshrrev_b32_e32 v11, 23, v1
	s_delay_alu instid0(VALU_DEP_2) | instskip(SKIP_1) | instid1(VALU_DEP_3)
	v_mad_nc_u64_u32 v[12:13], 0x3c439041, v16, v[12:13]
	v_mov_b32_e32 v23, v17
	v_add_nc_u32_e32 v11, 0xffffff88, v11
	s_delay_alu instid0(VALU_DEP_1) | instskip(NEXT) | instid1(VALU_DEP_4)
	v_cmp_lt_u32_e32 vcc_lo, 63, v11
	v_mov_b32_e32 v22, v13
	v_cndmask_b32_e64 v13, 0, 0xffffffc0, vcc_lo
	s_delay_alu instid0(VALU_DEP_2) | instskip(NEXT) | instid1(VALU_DEP_1)
	v_mad_nc_u64_u32 v[22:23], 0xdb629599, v16, v[22:23]
	v_dual_mov_b32 v25, v17 :: v_dual_mov_b32 v24, v23
	s_delay_alu instid0(VALU_DEP_1) | instskip(NEXT) | instid1(VALU_DEP_1)
	v_mad_nc_u64_u32 v[24:25], 0xf534ddc0, v16, v[24:25]
	v_dual_mov_b32 v27, v17 :: v_dual_mov_b32 v26, v25
	s_delay_alu instid0(VALU_DEP_2) | instskip(NEXT) | instid1(VALU_DEP_2)
	v_cndmask_b32_e32 v12, v24, v12, vcc_lo
	v_mad_nc_u64_u32 v[26:27], 0xfc2757d1, v16, v[26:27]
	s_delay_alu instid0(VALU_DEP_1) | instskip(NEXT) | instid1(VALU_DEP_1)
	v_mov_b32_e32 v28, v27
	v_mad_nc_u64_u32 v[28:29], 0x4e441529, v16, v[28:29]
	v_add_nc_u32_e32 v11, v13, v11
	s_delay_alu instid0(VALU_DEP_2) | instskip(NEXT) | instid1(VALU_DEP_1)
	v_dual_mov_b32 v31, v17 :: v_dual_mov_b32 v30, v29
	v_mad_nc_u64_u32 v[30:31], 0xa2f9836e, v16, v[30:31]
	s_delay_alu instid0(VALU_DEP_4) | instskip(NEXT) | instid1(VALU_DEP_4)
	v_cndmask_b32_e32 v16, v28, v24, vcc_lo
	v_cmp_lt_u32_e64 s2, 31, v11
	s_delay_alu instid0(VALU_DEP_1) | instskip(NEXT) | instid1(VALU_DEP_1)
	v_cndmask_b32_e64 v13, 0, 0xffffffe0, s2
	v_dual_cndmask_b32 v23, v30, v26, vcc_lo :: v_dual_add_nc_u32 v11, v13, v11
	v_dual_cndmask_b32 v25, v31, v28 :: v_dual_cndmask_b32 v26, v26, v22
	s_delay_alu instid0(VALU_DEP_2) | instskip(NEXT) | instid1(VALU_DEP_1)
	v_cmp_lt_u32_e64 s3, 31, v11
	v_cndmask_b32_e64 v13, 0, 0xffffffe0, s3
	s_delay_alu instid0(VALU_DEP_1) | instskip(NEXT) | instid1(VALU_DEP_4)
	v_dual_add_nc_u32 v11, v13, v11 :: v_dual_cndmask_b32 v13, v23, v16, s2
	v_dual_cndmask_b32 v23, v25, v23, s2 :: v_dual_cndmask_b32 v16, v16, v26, s2
	s_delay_alu instid0(VALU_DEP_2) | instskip(NEXT) | instid1(VALU_DEP_2)
	v_dual_cndmask_b32 v25, v26, v12, s2 :: v_dual_sub_nc_u32 v24, 32, v11
	v_dual_cndmask_b32 v23, v23, v13, s3 :: v_dual_cndmask_b32 v13, v13, v16, s3
	s_delay_alu instid0(VALU_DEP_2) | instskip(SKIP_1) | instid1(VALU_DEP_3)
	v_dual_cndmask_b32 v16, v16, v25, s3 :: v_dual_cndmask_b32 v10, v22, v10, vcc_lo
	v_cmp_eq_u32_e32 vcc_lo, 0, v11
	v_alignbit_b32 v26, v23, v13, v24
	s_delay_alu instid0(VALU_DEP_3) | instskip(NEXT) | instid1(VALU_DEP_2)
	v_alignbit_b32 v22, v13, v16, v24
	v_dual_cndmask_b32 v10, v12, v10, s2 :: v_dual_cndmask_b32 v11, v26, v23, vcc_lo
	s_delay_alu instid0(VALU_DEP_2) | instskip(NEXT) | instid1(VALU_DEP_2)
	v_cndmask_b32_e32 v12, v22, v13, vcc_lo
	v_bfe_u32 v13, v11, 29, 1
	s_delay_alu instid0(VALU_DEP_3) | instskip(NEXT) | instid1(VALU_DEP_3)
	v_cndmask_b32_e64 v10, v25, v10, s3
	v_alignbit_b32 v22, v11, v12, 30
	s_delay_alu instid0(VALU_DEP_3) | instskip(NEXT) | instid1(VALU_DEP_3)
	v_sub_nc_u32_e32 v23, 0, v13
	v_alignbit_b32 v24, v16, v10, v24
	s_delay_alu instid0(VALU_DEP_1) | instskip(NEXT) | instid1(VALU_DEP_1)
	v_dual_cndmask_b32 v16, v24, v16, vcc_lo :: v_dual_bitop2_b32 v22, v22, v23 bitop3:0x14
	v_clz_i32_u32_e32 v24, v22
	s_delay_alu instid0(VALU_DEP_2) | instskip(SKIP_1) | instid1(VALU_DEP_3)
	v_alignbit_b32 v12, v12, v16, 30
	v_alignbit_b32 v10, v16, v10, 30
	v_min_u32_e32 v24, 32, v24
	s_delay_alu instid0(VALU_DEP_3) | instskip(NEXT) | instid1(VALU_DEP_3)
	v_xor_b32_e32 v12, v12, v23
	v_xor_b32_e32 v10, v10, v23
	v_dual_lshrrev_b32 v23, 29, v11 :: v_dual_lshrrev_b32 v11, 30, v11
	s_delay_alu instid0(VALU_DEP_4) | instskip(NEXT) | instid1(VALU_DEP_2)
	v_dual_sub_nc_u32 v16, 31, v24 :: v_dual_lshlrev_b32 v25, 23, v24
	v_add_nc_u32_e32 v11, v13, v11
	s_delay_alu instid0(VALU_DEP_2) | instskip(SKIP_2) | instid1(VALU_DEP_2)
	v_alignbit_b32 v22, v22, v12, v16
	v_alignbit_b32 v10, v12, v10, v16
	v_lshlrev_b32_e32 v12, 31, v23
	v_alignbit_b32 v16, v22, v10, 9
	s_delay_alu instid0(VALU_DEP_2) | instskip(SKIP_1) | instid1(VALU_DEP_3)
	v_dual_lshrrev_b32 v22, 9, v22 :: v_dual_bitop2_b32 v23, 0.5, v12 bitop3:0x54
	v_or_b32_e32 v12, 0x33000000, v12
	v_clz_i32_u32_e32 v26, v16
	s_delay_alu instid0(VALU_DEP_3) | instskip(NEXT) | instid1(VALU_DEP_2)
	v_sub_nc_u32_e32 v23, v23, v25
	v_min_u32_e32 v25, 32, v26
	s_delay_alu instid0(VALU_DEP_1) | instskip(NEXT) | instid1(VALU_DEP_3)
	v_add_lshl_u32 v24, v25, v24, 23
	v_or_b32_e32 v22, v22, v23
	v_not_b32_e32 v23, v25
	s_delay_alu instid0(VALU_DEP_3) | instskip(NEXT) | instid1(VALU_DEP_3)
	v_sub_nc_u32_e32 v12, v12, v24
	v_mul_f32_e32 v26, 0x3fc90fda, v22
	s_delay_alu instid0(VALU_DEP_3) | instskip(NEXT) | instid1(VALU_DEP_2)
	v_alignbit_b32 v10, v16, v10, v23
	v_fma_f32 v16, 0x3fc90fda, v22, -v26
	s_delay_alu instid0(VALU_DEP_2) | instskip(NEXT) | instid1(VALU_DEP_2)
	v_lshrrev_b32_e32 v10, 9, v10
	v_fmac_f32_e32 v16, 0x33a22168, v22
	s_delay_alu instid0(VALU_DEP_2) | instskip(NEXT) | instid1(VALU_DEP_1)
	v_or_b32_e32 v10, v12, v10
	v_fmac_f32_e32 v16, 0x3fc90fda, v10
	s_delay_alu instid0(VALU_DEP_1)
	v_add_f32_e32 v10, v26, v16
	s_and_not1_saveexec_b32 s2, s31
	s_branch .LBB132_107
.LBB132_106:                            ;   in Loop: Header=BB132_4 Depth=1
	s_and_not1_saveexec_b32 s2, s31
.LBB132_107:                            ;   in Loop: Header=BB132_4 Depth=1
	v_mul_f32_e64 v10, 0x3f22f983, |v3|
	s_delay_alu instid0(VALU_DEP_1) | instskip(NEXT) | instid1(VALU_DEP_1)
	v_rndne_f32_e32 v11, v10
	v_fma_f32 v10, 0xbfc90fda, v11, |v3|
	s_delay_alu instid0(VALU_DEP_1) | instskip(NEXT) | instid1(VALU_DEP_1)
	v_fmac_f32_e32 v10, 0xb3a22168, v11
	v_fmac_f32_e32 v10, 0xa7c234c4, v11
	v_cvt_i32_f32_e32 v11, v11
; %bb.108:                              ;   in Loop: Header=BB132_4 Depth=1
	s_or_b32 exec_lo, exec_lo, s2
                                        ; implicit-def: $vgpr13
                                        ; implicit-def: $vgpr12
	s_and_saveexec_b32 s2, s30
	s_delay_alu instid0(SALU_CYCLE_1)
	s_xor_b32 s30, exec_lo, s2
	s_cbranch_execz .LBB132_110
; %bb.109:                              ;   in Loop: Header=BB132_4 Depth=1
	v_and_or_b32 v16, v1, s21, 0x800000
	v_dual_mov_b32 v31, v17 :: v_dual_mov_b32 v33, v17
	s_delay_alu instid0(VALU_DEP_2) | instskip(NEXT) | instid1(VALU_DEP_1)
	v_mul_u64_e32 v[12:13], s[12:13], v[16:17]
	v_dual_mov_b32 v23, v17 :: v_dual_mov_b32 v22, v13
	v_lshrrev_b32_e32 v13, 23, v1
	s_delay_alu instid0(VALU_DEP_2) | instskip(SKIP_1) | instid1(VALU_DEP_3)
	v_mad_nc_u64_u32 v[22:23], 0x3c439041, v16, v[22:23]
	v_mov_b32_e32 v25, v17
	v_add_nc_u32_e32 v13, 0xffffff88, v13
	s_delay_alu instid0(VALU_DEP_1) | instskip(NEXT) | instid1(VALU_DEP_4)
	v_cmp_lt_u32_e32 vcc_lo, 63, v13
	v_mov_b32_e32 v24, v23
	v_cndmask_b32_e64 v23, 0, 0xffffffc0, vcc_lo
	s_delay_alu instid0(VALU_DEP_2) | instskip(NEXT) | instid1(VALU_DEP_2)
	v_mad_nc_u64_u32 v[24:25], 0xdb629599, v16, v[24:25]
	v_dual_mov_b32 v27, v17 :: v_dual_add_nc_u32 v13, v23, v13
	s_delay_alu instid0(VALU_DEP_1) | instskip(NEXT) | instid1(VALU_DEP_3)
	v_cmp_lt_u32_e64 s2, 31, v13
	v_mov_b32_e32 v26, v25
	s_delay_alu instid0(VALU_DEP_2) | instskip(SKIP_1) | instid1(VALU_DEP_3)
	v_cndmask_b32_e64 v23, 0, 0xffffffe0, s2
	v_cndmask_b32_e32 v12, v24, v12, vcc_lo
	v_mad_nc_u64_u32 v[26:27], 0xf534ddc0, v16, v[26:27]
	s_delay_alu instid0(VALU_DEP_1) | instskip(NEXT) | instid1(VALU_DEP_1)
	v_dual_mov_b32 v29, v17 :: v_dual_mov_b32 v28, v27
	v_mad_nc_u64_u32 v[28:29], 0xfc2757d1, v16, v[28:29]
	s_delay_alu instid0(VALU_DEP_1) | instskip(NEXT) | instid1(VALU_DEP_1)
	v_dual_mov_b32 v30, v29 :: v_dual_add_nc_u32 v13, v23, v13
	v_mad_nc_u64_u32 v[30:31], 0x4e441529, v16, v[30:31]
	s_delay_alu instid0(VALU_DEP_1) | instskip(NEXT) | instid1(VALU_DEP_1)
	v_dual_mov_b32 v32, v31 :: v_dual_cndmask_b32 v23, v30, v26
	v_mad_nc_u64_u32 v[32:33], 0xa2f9836e, v16, v[32:33]
	s_delay_alu instid0(VALU_DEP_1) | instskip(SKIP_1) | instid1(VALU_DEP_3)
	v_cndmask_b32_e32 v25, v32, v28, vcc_lo
	v_cmp_lt_u32_e64 s3, 31, v13
	v_dual_cndmask_b32 v27, v33, v30 :: v_dual_cndmask_b32 v28, v28, v24
	s_delay_alu instid0(VALU_DEP_2) | instskip(NEXT) | instid1(VALU_DEP_1)
	v_cndmask_b32_e64 v16, 0, 0xffffffe0, s3
	v_dual_cndmask_b32 v16, v26, v22 :: v_dual_add_nc_u32 v13, v16, v13
	s_delay_alu instid0(VALU_DEP_3) | instskip(NEXT) | instid1(VALU_DEP_2)
	v_dual_cndmask_b32 v22, v25, v23, s2 :: v_dual_cndmask_b32 v25, v27, v25, s2
	v_dual_cndmask_b32 v23, v23, v28, s2 :: v_dual_sub_nc_u32 v26, 32, v13
	s_delay_alu instid0(VALU_DEP_3) | instskip(SKIP_1) | instid1(VALU_DEP_3)
	v_cndmask_b32_e64 v27, v28, v16, s2
	v_cmp_eq_u32_e32 vcc_lo, 0, v13
	v_dual_cndmask_b32 v25, v25, v22, s3 :: v_dual_cndmask_b32 v22, v22, v23, s3
	v_cndmask_b32_e64 v12, v16, v12, s2
	s_delay_alu instid0(VALU_DEP_2) | instskip(NEXT) | instid1(VALU_DEP_1)
	v_alignbit_b32 v28, v25, v22, v26
	v_dual_cndmask_b32 v23, v23, v27, s3 :: v_dual_cndmask_b32 v13, v28, v25, vcc_lo
	s_delay_alu instid0(VALU_DEP_1) | instskip(NEXT) | instid1(VALU_DEP_1)
	v_alignbit_b32 v24, v22, v23, v26
	v_cndmask_b32_e32 v16, v24, v22, vcc_lo
	s_delay_alu instid0(VALU_DEP_3) | instskip(NEXT) | instid1(VALU_DEP_1)
	v_bfe_u32 v22, v13, 29, 1
	v_dual_sub_nc_u32 v25, 0, v22 :: v_dual_cndmask_b32 v12, v27, v12, s3
	s_delay_alu instid0(VALU_DEP_3) | instskip(NEXT) | instid1(VALU_DEP_2)
	v_alignbit_b32 v24, v13, v16, 30
	v_alignbit_b32 v26, v23, v12, v26
	s_delay_alu instid0(VALU_DEP_1) | instskip(NEXT) | instid1(VALU_DEP_1)
	v_dual_cndmask_b32 v23, v26, v23, vcc_lo :: v_dual_bitop2_b32 v24, v24, v25 bitop3:0x14
	v_clz_i32_u32_e32 v26, v24
	s_delay_alu instid0(VALU_DEP_2) | instskip(NEXT) | instid1(VALU_DEP_2)
	v_alignbit_b32 v16, v16, v23, 30
	v_min_u32_e32 v26, 32, v26
	v_alignbit_b32 v12, v23, v12, 30
	s_delay_alu instid0(VALU_DEP_2) | instskip(NEXT) | instid1(VALU_DEP_2)
	v_dual_sub_nc_u32 v23, 31, v26 :: v_dual_bitop2_b32 v16, v16, v25 bitop3:0x14
	v_xor_b32_e32 v12, v12, v25
	v_dual_lshrrev_b32 v25, 29, v13 :: v_dual_lshlrev_b32 v27, 23, v26
	v_lshrrev_b32_e32 v13, 30, v13
	s_delay_alu instid0(VALU_DEP_4) | instskip(NEXT) | instid1(VALU_DEP_4)
	v_alignbit_b32 v24, v24, v16, v23
	v_alignbit_b32 v12, v16, v12, v23
	s_delay_alu instid0(VALU_DEP_4) | instskip(NEXT) | instid1(VALU_DEP_4)
	v_lshlrev_b32_e32 v16, 31, v25
	v_add_nc_u32_e32 v13, v22, v13
	s_delay_alu instid0(VALU_DEP_3) | instskip(NEXT) | instid1(VALU_DEP_3)
	v_alignbit_b32 v23, v24, v12, 9
	v_or_b32_e32 v25, 0.5, v16
	v_lshrrev_b32_e32 v24, 9, v24
	v_or_b32_e32 v16, 0x33000000, v16
	s_delay_alu instid0(VALU_DEP_4) | instskip(NEXT) | instid1(VALU_DEP_4)
	v_clz_i32_u32_e32 v28, v23
	v_sub_nc_u32_e32 v25, v25, v27
	s_delay_alu instid0(VALU_DEP_2) | instskip(NEXT) | instid1(VALU_DEP_2)
	v_min_u32_e32 v27, 32, v28
	v_or_b32_e32 v24, v24, v25
	s_delay_alu instid0(VALU_DEP_2) | instskip(SKIP_1) | instid1(VALU_DEP_2)
	v_not_b32_e32 v25, v27
	v_add_lshl_u32 v26, v27, v26, 23
	v_alignbit_b32 v12, v23, v12, v25
	s_delay_alu instid0(VALU_DEP_1) | instskip(SKIP_1) | instid1(VALU_DEP_2)
	v_dual_sub_nc_u32 v16, v16, v26 :: v_dual_lshrrev_b32 v12, 9, v12
	v_mul_f32_e32 v28, 0x3fc90fda, v24
	v_or_b32_e32 v12, v16, v12
	s_delay_alu instid0(VALU_DEP_2) | instskip(NEXT) | instid1(VALU_DEP_1)
	v_fma_f32 v23, 0x3fc90fda, v24, -v28
	v_fmac_f32_e32 v23, 0x33a22168, v24
	s_delay_alu instid0(VALU_DEP_1) | instskip(NEXT) | instid1(VALU_DEP_1)
	v_fmac_f32_e32 v23, 0x3fc90fda, v12
	v_add_f32_e32 v12, v28, v23
	s_and_not1_saveexec_b32 s2, s30
	s_cbranch_execnz .LBB132_111
	s_branch .LBB132_112
.LBB132_110:                            ;   in Loop: Header=BB132_4 Depth=1
	s_and_not1_saveexec_b32 s2, s30
.LBB132_111:                            ;   in Loop: Header=BB132_4 Depth=1
	v_mul_f32_e64 v12, 0x3f22f983, |v3|
	s_delay_alu instid0(VALU_DEP_1) | instskip(NEXT) | instid1(VALU_DEP_1)
	v_rndne_f32_e32 v13, v12
	v_fma_f32 v12, 0xbfc90fda, v13, |v3|
	s_delay_alu instid0(VALU_DEP_1) | instskip(NEXT) | instid1(VALU_DEP_1)
	v_fmac_f32_e32 v12, 0xb3a22168, v13
	v_fmac_f32_e32 v12, 0xa7c234c4, v13
	v_cvt_i32_f32_e32 v13, v13
.LBB132_112:                            ;   in Loop: Header=BB132_4 Depth=1
	s_or_b32 exec_lo, exec_lo, s2
	v_add_f32_e32 v16, 0xc322e3bc, v2
	s_delay_alu instid0(VALU_DEP_2) | instskip(NEXT) | instid1(VALU_DEP_2)
	v_dual_mul_f32 v25, v10, v10 :: v_dual_bitop2_b32 v26, 1, v13 bitop3:0x40
	v_mul_f32_e32 v22, 0x3fb8aa3b, v16
	s_delay_alu instid0(VALU_DEP_1) | instskip(SKIP_1) | instid1(VALU_DEP_2)
	v_fma_f32 v23, 0x3fb8aa3b, v16, -v22
	v_rndne_f32_e32 v24, v22
	v_fmac_f32_e32 v23, 0x32a5705f, v16
	s_delay_alu instid0(VALU_DEP_2) | instskip(NEXT) | instid1(VALU_DEP_1)
	v_sub_f32_e32 v22, v22, v24
	v_add_f32_e32 v22, v22, v23
	v_cvt_i32_f32_e32 v23, v24
	v_dual_lshlrev_b32 v24, 30, v11 :: v_dual_bitop2_b32 v11, 1, v11 bitop3:0x40
	s_delay_alu instid0(VALU_DEP_3) | instskip(SKIP_1) | instid1(TRANS32_DEP_1)
	v_exp_f32_e32 v22, v22
	v_nop
	v_ldexp_f32 v22, v22, v23
	v_mul_f32_e32 v23, v12, v12
	v_cmp_ngt_f32_e32 vcc_lo, 0xc2ce8ed0, v16
	v_lshlrev_b32_e32 v13, 30, v13
	v_fmaak_f32 v28, s22, v25, 0x3c0881c4
	v_fmaak_f32 v27, s23, v25, 0xbab64f3b
	v_fmaak_f32 v29, s22, v23, 0x3c0881c4
	v_cndmask_b32_e32 v22, 0, v22, vcc_lo
	v_cmp_nlt_f32_e32 vcc_lo, 0x42b17218, v16
	v_and_or_b32 v1, 0x80000000, v13, v1
	s_delay_alu instid0(VALU_DEP_4) | instskip(NEXT) | instid1(VALU_DEP_4)
	v_fmaak_f32 v29, v23, v29, 0xbe2aaa9d
	v_cndmask_b32_e32 v16, 0x7f800000, v22, vcc_lo
	v_fmaak_f32 v22, s23, v23, 0xbab64f3b
	v_fmaak_f32 v13, v25, v27, 0x3d2aabf7
	s_delay_alu instid0(VALU_DEP_4) | instskip(SKIP_3) | instid1(VALU_DEP_3)
	v_mul_f32_e32 v29, v23, v29
	v_fmaak_f32 v27, v25, v28, 0xbe2aaa9d
	v_cmp_eq_u32_e32 vcc_lo, 0, v11
	v_fmaak_f32 v22, v23, v22, 0x3d2aabf7
	v_dual_fmac_f32 v12, v12, v29 :: v_dual_mul_f32 v27, v25, v27
	v_dual_fmaak_f32 v13, v25, v13, 0xbf000004 :: v_dual_lshrrev_b32 v28, 23, v16
	s_delay_alu instid0(VALU_DEP_3) | instskip(NEXT) | instid1(VALU_DEP_3)
	v_fmaak_f32 v22, v23, v22, 0xbf000004
	v_fmac_f32_e32 v10, v10, v27
	s_delay_alu instid0(VALU_DEP_3) | instskip(NEXT) | instid1(VALU_DEP_4)
	v_subrev_nc_u32_e32 v28, 19, v28
	v_fma_f32 v13, v25, v13, 1.0
	s_delay_alu instid0(VALU_DEP_4) | instskip(NEXT) | instid1(VALU_DEP_3)
	v_fma_f32 v22, v23, v22, 1.0
	v_lshrrev_b16 v25, 15, v28
	s_delay_alu instid0(VALU_DEP_1) | instskip(NEXT) | instid1(VALU_DEP_1)
	v_add_nc_u16 v11, v28, v25
	v_ashrrev_i16 v11, 1, v11
	s_delay_alu instid0(VALU_DEP_1) | instskip(SKIP_2) | instid1(VALU_DEP_3)
	v_bfe_i32 v11, v11, 0, 16
	v_cndmask_b32_e64 v10, -v10, v13, vcc_lo
	v_cmp_eq_u32_e32 vcc_lo, 0, v26
	v_lshl_add_u32 v13, v11, 23, 1.0
	v_dual_cndmask_b32 v12, v22, v12 :: v_dual_sub_nc_u32 v11, v28, v11
	s_delay_alu instid0(VALU_DEP_4) | instskip(SKIP_1) | instid1(VALU_DEP_3)
	v_bitop3_b32 v10, v24, v10, 0x80000000 bitop3:0x6c
	v_cmp_class_f32_e64 vcc_lo, v3, 0x1f8
	v_lshl_add_u32 v11, v11, 23, 1.0
	s_delay_alu instid0(VALU_DEP_4) | instskip(SKIP_1) | instid1(VALU_DEP_2)
	v_xor3_b32 v1, v1, v12, v3
	v_and_or_b32 v12, 0x7fffff, v16, s24
	v_cndmask_b32_e32 v1, 0x7fc00000, v1, vcc_lo
	s_delay_alu instid0(VALU_DEP_1) | instskip(NEXT) | instid1(VALU_DEP_1)
	v_dual_cndmask_b32 v10, 0x7fc00000, v10 :: v_dual_mul_f32 v1, v1, v12
	v_dual_mul_f32 v10, v10, v12 :: v_dual_mul_f32 v1, v1, v13
	s_delay_alu instid0(VALU_DEP_1) | instskip(NEXT) | instid1(VALU_DEP_1)
	v_mul_f32_e32 v10, v10, v13
	v_dual_mul_f32 v10, v10, v11 :: v_dual_mul_f32 v11, v1, v11
.LBB132_113:                            ;   in Loop: Header=BB132_4 Depth=1
	s_or_b32 exec_lo, exec_lo, s29
                                        ; implicit-def: $vgpr12
.LBB132_114:                            ;   in Loop: Header=BB132_4 Depth=1
	s_and_not1_saveexec_b32 s2, s28
	s_cbranch_execz .LBB132_118
; %bb.115:                              ;   in Loop: Header=BB132_4 Depth=1
	v_sub_f32_e32 v11, v3, v3
	s_mov_b32 s3, exec_lo
	v_cmpx_ne_u32_e32 0x7f800000, v12
	s_xor_b32 s3, exec_lo, s3
	s_delay_alu instid0(SALU_CYCLE_1)
	s_or_saveexec_b32 s3, s3
	v_mov_b32_e32 v10, v11
	s_xor_b32 exec_lo, exec_lo, s3
; %bb.116:                              ;   in Loop: Header=BB132_4 Depth=1
	v_cmp_lt_i32_e32 vcc_lo, -1, v2
	v_dual_cndmask_b32 v10, 0, v2 :: v_dual_cndmask_b32 v11, 0, v11
; %bb.117:                              ;   in Loop: Header=BB132_4 Depth=1
	s_or_b32 exec_lo, exec_lo, s3
.LBB132_118:                            ;   in Loop: Header=BB132_4 Depth=1
	s_delay_alu instid0(SALU_CYCLE_1)
	s_or_b32 exec_lo, exec_lo, s2
                                        ; implicit-def: $vgpr1
.LBB132_119:                            ;   in Loop: Header=BB132_4 Depth=1
	s_and_not1_saveexec_b32 s27, s27
	s_cbranch_execz .LBB132_129
; %bb.120:                              ;   in Loop: Header=BB132_4 Depth=1
	v_lshrrev_b32_e32 v10, 23, v1
	v_cmp_ngt_f32_e64 s28, 0x48000000, |v3|
	v_and_or_b32 v16, v1, s21, 0x800000
                                        ; implicit-def: $vgpr11
	s_delay_alu instid0(VALU_DEP_3) | instskip(SKIP_1) | instid1(SALU_CYCLE_1)
	v_add_nc_u32_e32 v12, 0xffffff88, v10
                                        ; implicit-def: $vgpr10
	s_and_saveexec_b32 s2, s28
	s_xor_b32 s29, exec_lo, s2
	s_cbranch_execz .LBB132_122
; %bb.121:                              ;   in Loop: Header=BB132_4 Depth=1
	v_mul_u64_e32 v[10:11], s[12:13], v[16:17]
	v_mov_b32_e32 v23, v17
	v_cmp_lt_u32_e32 vcc_lo, 63, v12
	s_delay_alu instid0(VALU_DEP_3) | instskip(SKIP_1) | instid1(VALU_DEP_2)
	v_dual_mov_b32 v33, v17 :: v_dual_mov_b32 v22, v11
	v_cndmask_b32_e64 v11, 0, 0xffffffc0, vcc_lo
	v_mad_nc_u64_u32 v[22:23], 0x3c439041, v16, v[22:23]
	s_delay_alu instid0(VALU_DEP_2) | instskip(NEXT) | instid1(VALU_DEP_1)
	v_dual_mov_b32 v25, v17 :: v_dual_add_nc_u32 v11, v11, v12
	v_cmp_lt_u32_e64 s2, 31, v11
	s_delay_alu instid0(VALU_DEP_3) | instskip(NEXT) | instid1(VALU_DEP_2)
	v_mov_b32_e32 v24, v23
	v_cndmask_b32_e64 v13, 0, 0xffffffe0, s2
	s_delay_alu instid0(VALU_DEP_2) | instskip(SKIP_1) | instid1(VALU_DEP_3)
	v_mad_nc_u64_u32 v[24:25], 0xdb629599, v16, v[24:25]
	v_mov_b32_e32 v27, v17
	v_add_nc_u32_e32 v11, v13, v11
	s_delay_alu instid0(VALU_DEP_1) | instskip(NEXT) | instid1(VALU_DEP_4)
	v_cmp_lt_u32_e64 s3, 31, v11
	v_mov_b32_e32 v26, v25
	s_delay_alu instid0(VALU_DEP_2) | instskip(SKIP_1) | instid1(VALU_DEP_3)
	v_cndmask_b32_e64 v13, 0, 0xffffffe0, s3
	v_cndmask_b32_e32 v10, v24, v10, vcc_lo
	v_mad_nc_u64_u32 v[26:27], 0xf534ddc0, v16, v[26:27]
	v_mov_b32_e32 v29, v17
	s_delay_alu instid0(VALU_DEP_2) | instskip(NEXT) | instid1(VALU_DEP_1)
	v_dual_add_nc_u32 v11, v13, v11 :: v_dual_cndmask_b32 v13, v26, v22, vcc_lo
	v_dual_mov_b32 v28, v27 :: v_dual_cndmask_b32 v10, v13, v10, s2
	s_delay_alu instid0(VALU_DEP_1) | instskip(NEXT) | instid1(VALU_DEP_1)
	v_mad_nc_u64_u32 v[28:29], 0xfc2757d1, v16, v[28:29]
	v_dual_mov_b32 v31, v17 :: v_dual_mov_b32 v30, v29
	s_delay_alu instid0(VALU_DEP_1) | instskip(NEXT) | instid1(VALU_DEP_1)
	v_mad_nc_u64_u32 v[30:31], 0x4e441529, v16, v[30:31]
	v_mov_b32_e32 v32, v31
	s_delay_alu instid0(VALU_DEP_1) | instskip(NEXT) | instid1(VALU_DEP_3)
	v_mad_nc_u64_u32 v[32:33], 0xa2f9836e, v16, v[32:33]
	v_dual_cndmask_b32 v23, v30, v26 :: v_dual_sub_nc_u32 v26, 32, v11
	s_delay_alu instid0(VALU_DEP_2) | instskip(SKIP_2) | instid1(VALU_DEP_3)
	v_dual_cndmask_b32 v25, v32, v28, vcc_lo :: v_dual_cndmask_b32 v27, v33, v30, vcc_lo
	v_cndmask_b32_e32 v28, v28, v24, vcc_lo
	v_cmp_eq_u32_e32 vcc_lo, 0, v11
	v_dual_cndmask_b32 v22, v25, v23, s2 :: v_dual_cndmask_b32 v25, v27, v25, s2
	s_delay_alu instid0(VALU_DEP_3) | instskip(NEXT) | instid1(VALU_DEP_1)
	v_dual_cndmask_b32 v23, v23, v28, s2 :: v_dual_cndmask_b32 v27, v28, v13, s2
	v_dual_cndmask_b32 v25, v25, v22, s3 :: v_dual_cndmask_b32 v22, v22, v23, s3
	s_delay_alu instid0(VALU_DEP_1) | instskip(NEXT) | instid1(VALU_DEP_1)
	v_alignbit_b32 v28, v25, v22, v26
	v_dual_cndmask_b32 v23, v23, v27, s3 :: v_dual_cndmask_b32 v11, v28, v25, vcc_lo
	s_delay_alu instid0(VALU_DEP_1) | instskip(NEXT) | instid1(VALU_DEP_1)
	v_alignbit_b32 v24, v22, v23, v26
	v_cndmask_b32_e32 v13, v24, v22, vcc_lo
	s_delay_alu instid0(VALU_DEP_3) | instskip(NEXT) | instid1(VALU_DEP_1)
	v_bfe_u32 v22, v11, 29, 1
	v_sub_nc_u32_e32 v25, 0, v22
	s_delay_alu instid0(VALU_DEP_3) | instskip(NEXT) | instid1(VALU_DEP_1)
	v_alignbit_b32 v24, v11, v13, 30
	v_dual_cndmask_b32 v10, v27, v10, s3 :: v_dual_bitop2_b32 v24, v24, v25 bitop3:0x14
	s_delay_alu instid0(VALU_DEP_1) | instskip(NEXT) | instid1(VALU_DEP_1)
	v_alignbit_b32 v26, v23, v10, v26
	v_cndmask_b32_e32 v23, v26, v23, vcc_lo
	s_delay_alu instid0(VALU_DEP_3) | instskip(NEXT) | instid1(VALU_DEP_2)
	v_clz_i32_u32_e32 v26, v24
	v_alignbit_b32 v13, v13, v23, 30
	s_delay_alu instid0(VALU_DEP_2) | instskip(SKIP_1) | instid1(VALU_DEP_2)
	v_min_u32_e32 v26, 32, v26
	v_alignbit_b32 v10, v23, v10, 30
	v_dual_sub_nc_u32 v23, 31, v26 :: v_dual_bitop2_b32 v13, v13, v25 bitop3:0x14
	s_delay_alu instid0(VALU_DEP_2) | instskip(SKIP_1) | instid1(VALU_DEP_3)
	v_dual_lshrrev_b32 v25, 29, v11 :: v_dual_bitop2_b32 v10, v10, v25 bitop3:0x14
	v_dual_lshlrev_b32 v27, 23, v26 :: v_dual_lshrrev_b32 v11, 30, v11
	v_alignbit_b32 v24, v24, v13, v23
	s_delay_alu instid0(VALU_DEP_3) | instskip(NEXT) | instid1(VALU_DEP_3)
	v_alignbit_b32 v10, v13, v10, v23
	v_dual_lshlrev_b32 v13, 31, v25 :: v_dual_add_nc_u32 v11, v22, v11
	s_delay_alu instid0(VALU_DEP_2) | instskip(NEXT) | instid1(VALU_DEP_2)
	v_alignbit_b32 v23, v24, v10, 9
	v_dual_lshrrev_b32 v24, 9, v24 :: v_dual_bitop2_b32 v25, 0.5, v13 bitop3:0x54
	v_or_b32_e32 v13, 0x33000000, v13
	s_delay_alu instid0(VALU_DEP_3) | instskip(NEXT) | instid1(VALU_DEP_3)
	v_clz_i32_u32_e32 v28, v23
	v_sub_nc_u32_e32 v25, v25, v27
	s_delay_alu instid0(VALU_DEP_2) | instskip(NEXT) | instid1(VALU_DEP_1)
	v_min_u32_e32 v27, 32, v28
	v_add_lshl_u32 v26, v27, v26, 23
	s_delay_alu instid0(VALU_DEP_3) | instskip(SKIP_1) | instid1(VALU_DEP_2)
	v_or_b32_e32 v24, v24, v25
	v_not_b32_e32 v25, v27
	v_dual_mul_f32 v28, 0x3fc90fda, v24 :: v_dual_sub_nc_u32 v13, v13, v26
	s_delay_alu instid0(VALU_DEP_2) | instskip(NEXT) | instid1(VALU_DEP_2)
	v_alignbit_b32 v10, v23, v10, v25
	v_fma_f32 v23, 0x3fc90fda, v24, -v28
	s_delay_alu instid0(VALU_DEP_1) | instskip(NEXT) | instid1(VALU_DEP_1)
	v_dual_fmac_f32 v23, 0x33a22168, v24 :: v_dual_lshrrev_b32 v10, 9, v10
	v_or_b32_e32 v10, v13, v10
	s_delay_alu instid0(VALU_DEP_1) | instskip(NEXT) | instid1(VALU_DEP_1)
	v_fmac_f32_e32 v23, 0x3fc90fda, v10
	v_add_f32_e32 v10, v28, v23
.LBB132_122:                            ;   in Loop: Header=BB132_4 Depth=1
	s_or_saveexec_b32 s2, s29
	v_mul_f32_e64 v13, 0x3f22f983, |v3|
	s_delay_alu instid0(VALU_DEP_1)
	v_rndne_f32_e32 v23, v13
	s_xor_b32 exec_lo, exec_lo, s2
; %bb.123:                              ;   in Loop: Header=BB132_4 Depth=1
	s_delay_alu instid0(VALU_DEP_1) | instskip(SKIP_1) | instid1(VALU_DEP_2)
	v_fma_f32 v10, 0xbfc90fda, v23, |v3|
	v_cvt_i32_f32_e32 v11, v23
	v_fmac_f32_e32 v10, 0xb3a22168, v23
	s_delay_alu instid0(VALU_DEP_1)
	v_fmac_f32_e32 v10, 0xa7c234c4, v23
; %bb.124:                              ;   in Loop: Header=BB132_4 Depth=1
	s_or_b32 exec_lo, exec_lo, s2
                                        ; implicit-def: $vgpr22
                                        ; implicit-def: $vgpr13
	s_and_saveexec_b32 s2, s28
	s_delay_alu instid0(SALU_CYCLE_1)
	s_xor_b32 s28, exec_lo, s2
	s_cbranch_execz .LBB132_126
; %bb.125:                              ;   in Loop: Header=BB132_4 Depth=1
	v_mul_u64_e32 v[22:23], s[12:13], v[16:17]
	v_mov_b32_e32 v25, v17
	v_cmp_lt_u32_e32 vcc_lo, 63, v12
	v_cndmask_b32_e64 v13, 0, 0xffffffc0, vcc_lo
	s_delay_alu instid0(VALU_DEP_4) | instskip(NEXT) | instid1(VALU_DEP_1)
	v_mov_b32_e32 v24, v23
	v_mad_nc_u64_u32 v[24:25], 0x3c439041, v16, v[24:25]
	s_delay_alu instid0(VALU_DEP_1) | instskip(NEXT) | instid1(VALU_DEP_1)
	v_dual_mov_b32 v27, v17 :: v_dual_mov_b32 v26, v25
	v_mad_nc_u64_u32 v[26:27], 0xdb629599, v16, v[26:27]
	s_delay_alu instid0(VALU_DEP_1) | instskip(NEXT) | instid1(VALU_DEP_1)
	v_dual_mov_b32 v29, v17 :: v_dual_mov_b32 v28, v27
	;; [unrolled: 3-line block ×3, first 2 shown]
	v_mad_nc_u64_u32 v[30:31], 0xfc2757d1, v16, v[30:31]
	v_mov_b32_e32 v33, v17
	s_delay_alu instid0(VALU_DEP_2) | instskip(NEXT) | instid1(VALU_DEP_3)
	v_dual_mov_b32 v32, v31 :: v_dual_add_nc_u32 v23, v13, v12
	v_cndmask_b32_e32 v27, v30, v26, vcc_lo
	s_delay_alu instid0(VALU_DEP_2) | instskip(NEXT) | instid1(VALU_DEP_1)
	v_mad_nc_u64_u32 v[32:33], 0x4e441529, v16, v[32:33]
	v_dual_mov_b32 v13, v17 :: v_dual_mov_b32 v12, v33
	s_delay_alu instid0(VALU_DEP_1) | instskip(NEXT) | instid1(VALU_DEP_1)
	v_mad_nc_u64_u32 v[12:13], 0xa2f9836e, v16, v[12:13]
	v_cndmask_b32_e32 v12, v12, v30, vcc_lo
	v_cmp_lt_u32_e64 s2, 31, v23
	s_delay_alu instid0(VALU_DEP_3) | instskip(NEXT) | instid1(VALU_DEP_2)
	v_cndmask_b32_e32 v13, v13, v32, vcc_lo
	v_cndmask_b32_e64 v25, 0, 0xffffffe0, s2
	s_delay_alu instid0(VALU_DEP_1) | instskip(NEXT) | instid1(VALU_DEP_1)
	v_dual_cndmask_b32 v25, v32, v28 :: v_dual_add_nc_u32 v16, v25, v23
	v_cmp_lt_u32_e64 s3, 31, v16
	s_delay_alu instid0(VALU_DEP_1) | instskip(NEXT) | instid1(VALU_DEP_1)
	v_cndmask_b32_e64 v23, 0, 0xffffffe0, s3
	v_add_nc_u32_e32 v16, v23, v16
	v_cndmask_b32_e32 v23, v28, v24, vcc_lo
	v_dual_cndmask_b32 v24, v12, v25, s2 :: v_dual_cndmask_b32 v12, v13, v12, s2
	s_delay_alu instid0(VALU_DEP_3) | instskip(NEXT) | instid1(VALU_DEP_2)
	v_dual_cndmask_b32 v13, v25, v27, s2 :: v_dual_sub_nc_u32 v25, 32, v16
	v_dual_cndmask_b32 v27, v27, v23, s2 :: v_dual_cndmask_b32 v12, v12, v24, s3
	s_delay_alu instid0(VALU_DEP_1) | instskip(NEXT) | instid1(VALU_DEP_1)
	v_dual_cndmask_b32 v24, v24, v13, s3 :: v_dual_cndmask_b32 v13, v13, v27, s3
	v_alignbit_b32 v28, v12, v24, v25
	v_cndmask_b32_e32 v22, v26, v22, vcc_lo
	v_cmp_eq_u32_e32 vcc_lo, 0, v16
	s_delay_alu instid0(VALU_DEP_4) | instskip(NEXT) | instid1(VALU_DEP_3)
	v_alignbit_b32 v26, v24, v13, v25
	v_dual_cndmask_b32 v12, v28, v12, vcc_lo :: v_dual_cndmask_b32 v16, v23, v22, s2
	s_delay_alu instid0(VALU_DEP_2) | instskip(NEXT) | instid1(VALU_DEP_2)
	v_cndmask_b32_e32 v22, v26, v24, vcc_lo
	v_bfe_u32 v23, v12, 29, 1
	s_delay_alu instid0(VALU_DEP_3) | instskip(NEXT) | instid1(VALU_DEP_3)
	v_cndmask_b32_e64 v16, v27, v16, s3
	v_alignbit_b32 v24, v12, v22, 30
	s_delay_alu instid0(VALU_DEP_3) | instskip(NEXT) | instid1(VALU_DEP_3)
	v_sub_nc_u32_e32 v26, 0, v23
	v_alignbit_b32 v25, v13, v16, v25
	s_delay_alu instid0(VALU_DEP_1) | instskip(NEXT) | instid1(VALU_DEP_1)
	v_dual_cndmask_b32 v13, v25, v13, vcc_lo :: v_dual_bitop2_b32 v24, v24, v26 bitop3:0x14
	v_clz_i32_u32_e32 v25, v24
	s_delay_alu instid0(VALU_DEP_2) | instskip(SKIP_1) | instid1(VALU_DEP_3)
	v_alignbit_b32 v22, v22, v13, 30
	v_alignbit_b32 v13, v13, v16, 30
	v_min_u32_e32 v25, 32, v25
	s_delay_alu instid0(VALU_DEP_3) | instskip(NEXT) | instid1(VALU_DEP_3)
	v_xor_b32_e32 v16, v22, v26
	v_dual_lshrrev_b32 v26, 29, v12 :: v_dual_bitop2_b32 v13, v13, v26 bitop3:0x14
	s_delay_alu instid0(VALU_DEP_3) | instskip(SKIP_1) | instid1(VALU_DEP_2)
	v_dual_lshrrev_b32 v12, 30, v12 :: v_dual_sub_nc_u32 v22, 31, v25
	v_lshlrev_b32_e32 v27, 23, v25
	v_alignbit_b32 v24, v24, v16, v22
	s_delay_alu instid0(VALU_DEP_4) | instskip(SKIP_1) | instid1(VALU_DEP_2)
	v_alignbit_b32 v13, v16, v13, v22
	v_lshlrev_b32_e32 v16, 31, v26
	v_alignbit_b32 v22, v24, v13, 9
	s_delay_alu instid0(VALU_DEP_2) | instskip(SKIP_2) | instid1(VALU_DEP_4)
	v_or_b32_e32 v26, 0.5, v16
	v_lshrrev_b32_e32 v24, 9, v24
	v_or_b32_e32 v16, 0x33000000, v16
	v_clz_i32_u32_e32 v28, v22
	s_delay_alu instid0(VALU_DEP_4) | instskip(NEXT) | instid1(VALU_DEP_2)
	v_sub_nc_u32_e32 v26, v26, v27
	v_min_u32_e32 v27, 32, v28
	s_delay_alu instid0(VALU_DEP_2) | instskip(NEXT) | instid1(VALU_DEP_2)
	v_or_b32_e32 v24, v24, v26
	v_not_b32_e32 v26, v27
	v_add_lshl_u32 v25, v27, v25, 23
	s_delay_alu instid0(VALU_DEP_2) | instskip(NEXT) | instid1(VALU_DEP_2)
	v_alignbit_b32 v13, v22, v13, v26
	v_sub_nc_u32_e32 v16, v16, v25
	s_delay_alu instid0(VALU_DEP_2) | instskip(NEXT) | instid1(VALU_DEP_1)
	v_dual_mul_f32 v28, 0x3fc90fda, v24 :: v_dual_lshrrev_b32 v13, 9, v13
	v_or_b32_e32 v13, v16, v13
	s_delay_alu instid0(VALU_DEP_2) | instskip(NEXT) | instid1(VALU_DEP_1)
	v_fma_f32 v22, 0x3fc90fda, v24, -v28
	v_fmac_f32_e32 v22, 0x33a22168, v24
	s_delay_alu instid0(VALU_DEP_1) | instskip(NEXT) | instid1(VALU_DEP_1)
	v_fmac_f32_e32 v22, 0x3fc90fda, v13
	v_dual_add_f32 v13, v28, v22 :: v_dual_add_nc_u32 v22, v23, v12
                                        ; implicit-def: $vgpr23
	s_and_not1_saveexec_b32 s2, s28
	s_cbranch_execnz .LBB132_127
	s_branch .LBB132_128
.LBB132_126:                            ;   in Loop: Header=BB132_4 Depth=1
	s_and_not1_saveexec_b32 s2, s28
.LBB132_127:                            ;   in Loop: Header=BB132_4 Depth=1
	v_fma_f32 v13, 0xbfc90fda, v23, |v3|
	v_cvt_i32_f32_e32 v22, v23
	s_delay_alu instid0(VALU_DEP_2) | instskip(NEXT) | instid1(VALU_DEP_1)
	v_fmac_f32_e32 v13, 0xb3a22168, v23
	v_fmac_f32_e32 v13, 0xa7c234c4, v23
.LBB132_128:                            ;   in Loop: Header=BB132_4 Depth=1
	s_or_b32 exec_lo, exec_lo, s2
	s_delay_alu instid0(VALU_DEP_1) | instskip(SKIP_1) | instid1(VALU_DEP_2)
	v_dual_mul_f32 v12, v10, v10 :: v_dual_mul_f32 v16, v13, v13
	v_dual_lshlrev_b32 v11, 30, v11 :: v_dual_bitop2_b32 v23, 1, v11 bitop3:0x40
	v_fmaak_f32 v26, s22, v16, 0x3c0881c4
	v_fmaak_f32 v27, s23, v16, 0xbab64f3b
	s_delay_alu instid0(VALU_DEP_3) | instskip(NEXT) | instid1(VALU_DEP_3)
	v_cmp_eq_u32_e32 vcc_lo, 0, v23
	v_fmaak_f32 v26, v16, v26, 0xbe2aaa9d
	s_delay_alu instid0(VALU_DEP_1) | instskip(NEXT) | instid1(VALU_DEP_1)
	v_dual_fmaak_f32 v25, s23, v12, 0xbab64f3b :: v_dual_mul_f32 v26, v16, v26
	v_dual_fmaak_f32 v24, s22, v12, 0x3c0881c4 :: v_dual_fmac_f32 v13, v13, v26
	s_delay_alu instid0(VALU_DEP_1) | instskip(NEXT) | instid1(VALU_DEP_1)
	v_fmaak_f32 v24, v12, v24, 0xbe2aaa9d
	v_dual_fmaak_f32 v25, v12, v25, 0x3d2aabf7 :: v_dual_mul_f32 v24, v12, v24
	s_delay_alu instid0(VALU_DEP_1) | instskip(NEXT) | instid1(VALU_DEP_1)
	v_dual_fmaak_f32 v25, v12, v25, 0xbf000004 :: v_dual_fmac_f32 v10, v10, v24
	v_fma_f32 v12, v12, v25, 1.0
	v_dual_lshlrev_b32 v22, 30, v22 :: v_dual_bitop2_b32 v28, 1, v22 bitop3:0x40
	v_fmaak_f32 v27, v16, v27, 0x3d2aabf7
	s_delay_alu instid0(VALU_DEP_3) | instskip(NEXT) | instid1(VALU_DEP_3)
	v_cndmask_b32_e64 v10, -v10, v12, vcc_lo
	v_cmp_eq_u32_e32 vcc_lo, 0, v28
	s_delay_alu instid0(VALU_DEP_4) | instskip(NEXT) | instid1(VALU_DEP_4)
	v_and_or_b32 v1, 0x80000000, v22, v1
	v_fmaak_f32 v27, v16, v27, 0xbf000004
	s_delay_alu instid0(VALU_DEP_4) | instskip(NEXT) | instid1(VALU_DEP_2)
	v_bitop3_b32 v10, v11, v10, 0x80000000 bitop3:0x6c
	v_fma_f32 v16, v16, v27, 1.0
	s_delay_alu instid0(VALU_DEP_1) | instskip(SKIP_1) | instid1(VALU_DEP_2)
	v_cndmask_b32_e32 v12, v16, v13, vcc_lo
	v_cmp_class_f32_e64 vcc_lo, v3, 0x1f8
	v_xor3_b32 v1, v1, v12, v3
	v_cndmask_b32_e32 v10, 0x7fc00000, v10, vcc_lo
	s_delay_alu instid0(VALU_DEP_2)
	v_cndmask_b32_e32 v11, 0x7fc00000, v1, vcc_lo
.LBB132_129:                            ;   in Loop: Header=BB132_4 Depth=1
	s_or_b32 exec_lo, exec_lo, s27
.LBB132_130:                            ;   in Loop: Header=BB132_4 Depth=1
	s_and_not1_saveexec_b32 s2, s26
	s_cbranch_execz .LBB132_132
; %bb.131:                              ;   in Loop: Header=BB132_4 Depth=1
	v_mul_f32_e32 v1, 0x3fb8aa3b, v2
	v_cmp_ngt_f32_e32 vcc_lo, 0xc2ce8ed0, v2
	s_delay_alu instid0(VALU_DEP_2) | instskip(SKIP_1) | instid1(VALU_DEP_2)
	v_rndne_f32_e32 v10, v1
	v_fma_f32 v11, 0x3fb8aa3b, v2, -v1
	v_sub_f32_e32 v1, v1, v10
	s_delay_alu instid0(VALU_DEP_2) | instskip(SKIP_1) | instid1(VALU_DEP_2)
	v_fmac_f32_e32 v11, 0x32a5705f, v2
	v_cvt_i32_f32_e32 v10, v10
	v_dual_add_f32 v1, v1, v11 :: v_dual_mov_b32 v11, v3
	s_delay_alu instid0(VALU_DEP_1) | instskip(SKIP_1) | instid1(TRANS32_DEP_1)
	v_exp_f32_e32 v1, v1
	v_nop
	v_ldexp_f32 v1, v1, v10
	s_delay_alu instid0(VALU_DEP_1) | instskip(SKIP_1) | instid1(VALU_DEP_2)
	v_cndmask_b32_e32 v1, 0, v1, vcc_lo
	v_cmp_nlt_f32_e32 vcc_lo, 0x42b17218, v2
	v_cndmask_b32_e32 v10, 0x7f800000, v1, vcc_lo
.LBB132_132:                            ;   in Loop: Header=BB132_4 Depth=1
	s_or_b32 exec_lo, exec_lo, s2
	v_and_b32_e32 v1, 0x7fffffff, v5
	s_mov_b32 s2, exec_lo
	s_delay_alu instid0(VALU_DEP_1)
	v_cmpx_ne_u32_e32 0, v1
	s_xor_b32 s26, exec_lo, s2
	s_cbranch_execz .LBB132_174
; %bb.133:                              ;   in Loop: Header=BB132_4 Depth=1
	v_and_b32_e32 v2, 0x7fffffff, v4
	s_mov_b32 s2, exec_lo
	s_delay_alu instid0(VALU_DEP_1)
	v_cmpx_ne_u32_e32 0, v2
	s_xor_b32 s27, exec_lo, s2
	s_cbranch_execz .LBB132_163
; %bb.134:                              ;   in Loop: Header=BB132_4 Depth=1
	s_mov_b32 s2, exec_lo
	v_cmpx_gt_u32_e32 0x7f800000, v1
	s_xor_b32 s28, exec_lo, s2
	s_cbranch_execz .LBB132_156
; %bb.135:                              ;   in Loop: Header=BB132_4 Depth=1
	v_add_nc_u32_e32 v2, 0xbd4e8de8, v4
	s_mov_b32 s2, exec_lo
	s_delay_alu instid0(VALU_DEP_1)
	v_cmpx_lt_u32_e32 0x8e8e5c, v2
	s_xor_b32 s29, exec_lo, s2
	s_cbranch_execz .LBB132_145
; %bb.136:                              ;   in Loop: Header=BB132_4 Depth=1
	v_cmp_ngt_f32_e64 s30, 0x48000000, |v5|
                                        ; implicit-def: $vgpr3
                                        ; implicit-def: $vgpr2
	s_and_saveexec_b32 s2, s30
	s_delay_alu instid0(SALU_CYCLE_1)
	s_xor_b32 s31, exec_lo, s2
	s_cbranch_execz .LBB132_138
; %bb.137:                              ;   in Loop: Header=BB132_4 Depth=1
	v_and_or_b32 v16, v1, s21, 0x800000
	v_mov_b32_e32 v29, v17
	s_delay_alu instid0(VALU_DEP_2) | instskip(NEXT) | instid1(VALU_DEP_1)
	v_mul_u64_e32 v[2:3], s[12:13], v[16:17]
	v_dual_mov_b32 v13, v17 :: v_dual_mov_b32 v12, v3
	v_lshrrev_b32_e32 v3, 23, v1
	s_delay_alu instid0(VALU_DEP_2) | instskip(SKIP_1) | instid1(VALU_DEP_3)
	v_mad_nc_u64_u32 v[12:13], 0x3c439041, v16, v[12:13]
	v_mov_b32_e32 v23, v17
	v_add_nc_u32_e32 v3, 0xffffff88, v3
	s_delay_alu instid0(VALU_DEP_1) | instskip(NEXT) | instid1(VALU_DEP_4)
	v_cmp_lt_u32_e32 vcc_lo, 63, v3
	v_mov_b32_e32 v22, v13
	v_cndmask_b32_e64 v13, 0, 0xffffffc0, vcc_lo
	s_delay_alu instid0(VALU_DEP_2) | instskip(NEXT) | instid1(VALU_DEP_1)
	v_mad_nc_u64_u32 v[22:23], 0xdb629599, v16, v[22:23]
	v_dual_mov_b32 v25, v17 :: v_dual_mov_b32 v24, v23
	s_delay_alu instid0(VALU_DEP_1) | instskip(NEXT) | instid1(VALU_DEP_1)
	v_mad_nc_u64_u32 v[24:25], 0xf534ddc0, v16, v[24:25]
	v_dual_mov_b32 v27, v17 :: v_dual_mov_b32 v26, v25
	s_delay_alu instid0(VALU_DEP_2) | instskip(NEXT) | instid1(VALU_DEP_2)
	v_cndmask_b32_e32 v12, v24, v12, vcc_lo
	v_mad_nc_u64_u32 v[26:27], 0xfc2757d1, v16, v[26:27]
	s_delay_alu instid0(VALU_DEP_1) | instskip(NEXT) | instid1(VALU_DEP_1)
	v_mov_b32_e32 v28, v27
	v_mad_nc_u64_u32 v[28:29], 0x4e441529, v16, v[28:29]
	v_add_nc_u32_e32 v3, v13, v3
	s_delay_alu instid0(VALU_DEP_2) | instskip(NEXT) | instid1(VALU_DEP_1)
	v_dual_mov_b32 v31, v17 :: v_dual_mov_b32 v30, v29
	v_mad_nc_u64_u32 v[30:31], 0xa2f9836e, v16, v[30:31]
	s_delay_alu instid0(VALU_DEP_4) | instskip(NEXT) | instid1(VALU_DEP_4)
	v_cndmask_b32_e32 v16, v28, v24, vcc_lo
	v_cmp_lt_u32_e64 s2, 31, v3
	s_delay_alu instid0(VALU_DEP_1) | instskip(NEXT) | instid1(VALU_DEP_1)
	v_cndmask_b32_e64 v13, 0, 0xffffffe0, s2
	v_dual_cndmask_b32 v23, v30, v26, vcc_lo :: v_dual_add_nc_u32 v3, v13, v3
	v_dual_cndmask_b32 v25, v31, v28 :: v_dual_cndmask_b32 v26, v26, v22
	s_delay_alu instid0(VALU_DEP_2) | instskip(NEXT) | instid1(VALU_DEP_1)
	v_cmp_lt_u32_e64 s3, 31, v3
	v_cndmask_b32_e64 v13, 0, 0xffffffe0, s3
	s_delay_alu instid0(VALU_DEP_1) | instskip(NEXT) | instid1(VALU_DEP_4)
	v_dual_add_nc_u32 v3, v13, v3 :: v_dual_cndmask_b32 v13, v23, v16, s2
	v_dual_cndmask_b32 v23, v25, v23, s2 :: v_dual_cndmask_b32 v16, v16, v26, s2
	s_delay_alu instid0(VALU_DEP_2) | instskip(NEXT) | instid1(VALU_DEP_2)
	v_dual_cndmask_b32 v25, v26, v12, s2 :: v_dual_sub_nc_u32 v24, 32, v3
	v_dual_cndmask_b32 v23, v23, v13, s3 :: v_dual_cndmask_b32 v13, v13, v16, s3
	s_delay_alu instid0(VALU_DEP_2) | instskip(SKIP_1) | instid1(VALU_DEP_3)
	v_dual_cndmask_b32 v16, v16, v25, s3 :: v_dual_cndmask_b32 v2, v22, v2, vcc_lo
	v_cmp_eq_u32_e32 vcc_lo, 0, v3
	v_alignbit_b32 v26, v23, v13, v24
	s_delay_alu instid0(VALU_DEP_3) | instskip(NEXT) | instid1(VALU_DEP_2)
	v_alignbit_b32 v22, v13, v16, v24
	v_dual_cndmask_b32 v2, v12, v2, s2 :: v_dual_cndmask_b32 v3, v26, v23, vcc_lo
	s_delay_alu instid0(VALU_DEP_2) | instskip(NEXT) | instid1(VALU_DEP_2)
	v_cndmask_b32_e32 v12, v22, v13, vcc_lo
	v_bfe_u32 v13, v3, 29, 1
	s_delay_alu instid0(VALU_DEP_3) | instskip(NEXT) | instid1(VALU_DEP_3)
	v_cndmask_b32_e64 v2, v25, v2, s3
	v_alignbit_b32 v22, v3, v12, 30
	s_delay_alu instid0(VALU_DEP_3) | instskip(NEXT) | instid1(VALU_DEP_3)
	v_sub_nc_u32_e32 v23, 0, v13
	v_alignbit_b32 v24, v16, v2, v24
	s_delay_alu instid0(VALU_DEP_1) | instskip(NEXT) | instid1(VALU_DEP_1)
	v_dual_cndmask_b32 v16, v24, v16, vcc_lo :: v_dual_bitop2_b32 v22, v22, v23 bitop3:0x14
	v_clz_i32_u32_e32 v24, v22
	s_delay_alu instid0(VALU_DEP_2) | instskip(SKIP_1) | instid1(VALU_DEP_3)
	v_alignbit_b32 v12, v12, v16, 30
	v_alignbit_b32 v2, v16, v2, 30
	v_min_u32_e32 v24, 32, v24
	s_delay_alu instid0(VALU_DEP_3) | instskip(NEXT) | instid1(VALU_DEP_3)
	v_xor_b32_e32 v12, v12, v23
	v_xor_b32_e32 v2, v2, v23
	v_dual_lshrrev_b32 v23, 29, v3 :: v_dual_lshrrev_b32 v3, 30, v3
	s_delay_alu instid0(VALU_DEP_4) | instskip(NEXT) | instid1(VALU_DEP_2)
	v_dual_sub_nc_u32 v16, 31, v24 :: v_dual_lshlrev_b32 v25, 23, v24
	v_add_nc_u32_e32 v3, v13, v3
	s_delay_alu instid0(VALU_DEP_2) | instskip(SKIP_2) | instid1(VALU_DEP_2)
	v_alignbit_b32 v22, v22, v12, v16
	v_alignbit_b32 v2, v12, v2, v16
	v_lshlrev_b32_e32 v12, 31, v23
	v_alignbit_b32 v16, v22, v2, 9
	s_delay_alu instid0(VALU_DEP_2) | instskip(SKIP_1) | instid1(VALU_DEP_3)
	v_dual_lshrrev_b32 v22, 9, v22 :: v_dual_bitop2_b32 v23, 0.5, v12 bitop3:0x54
	v_or_b32_e32 v12, 0x33000000, v12
	v_clz_i32_u32_e32 v26, v16
	s_delay_alu instid0(VALU_DEP_3) | instskip(NEXT) | instid1(VALU_DEP_2)
	v_sub_nc_u32_e32 v23, v23, v25
	v_min_u32_e32 v25, 32, v26
	s_delay_alu instid0(VALU_DEP_1) | instskip(NEXT) | instid1(VALU_DEP_3)
	v_add_lshl_u32 v24, v25, v24, 23
	v_or_b32_e32 v22, v22, v23
	v_not_b32_e32 v23, v25
	s_delay_alu instid0(VALU_DEP_3) | instskip(NEXT) | instid1(VALU_DEP_3)
	v_sub_nc_u32_e32 v12, v12, v24
	v_mul_f32_e32 v26, 0x3fc90fda, v22
	s_delay_alu instid0(VALU_DEP_3) | instskip(NEXT) | instid1(VALU_DEP_2)
	v_alignbit_b32 v2, v16, v2, v23
	v_fma_f32 v16, 0x3fc90fda, v22, -v26
	s_delay_alu instid0(VALU_DEP_2) | instskip(NEXT) | instid1(VALU_DEP_2)
	v_lshrrev_b32_e32 v2, 9, v2
	v_fmac_f32_e32 v16, 0x33a22168, v22
	s_delay_alu instid0(VALU_DEP_2) | instskip(NEXT) | instid1(VALU_DEP_1)
	v_or_b32_e32 v2, v12, v2
	v_fmac_f32_e32 v16, 0x3fc90fda, v2
	s_delay_alu instid0(VALU_DEP_1)
	v_add_f32_e32 v2, v26, v16
	s_and_not1_saveexec_b32 s2, s31
	s_branch .LBB132_139
.LBB132_138:                            ;   in Loop: Header=BB132_4 Depth=1
	s_and_not1_saveexec_b32 s2, s31
.LBB132_139:                            ;   in Loop: Header=BB132_4 Depth=1
	v_mul_f32_e64 v2, 0x3f22f983, |v5|
	s_delay_alu instid0(VALU_DEP_1) | instskip(NEXT) | instid1(VALU_DEP_1)
	v_rndne_f32_e32 v3, v2
	v_fma_f32 v2, 0xbfc90fda, v3, |v5|
	s_delay_alu instid0(VALU_DEP_1) | instskip(NEXT) | instid1(VALU_DEP_1)
	v_fmac_f32_e32 v2, 0xb3a22168, v3
	v_fmac_f32_e32 v2, 0xa7c234c4, v3
	v_cvt_i32_f32_e32 v3, v3
; %bb.140:                              ;   in Loop: Header=BB132_4 Depth=1
	s_or_b32 exec_lo, exec_lo, s2
                                        ; implicit-def: $vgpr13
                                        ; implicit-def: $vgpr12
	s_and_saveexec_b32 s2, s30
	s_delay_alu instid0(SALU_CYCLE_1)
	s_xor_b32 s30, exec_lo, s2
	s_cbranch_execz .LBB132_142
; %bb.141:                              ;   in Loop: Header=BB132_4 Depth=1
	v_and_or_b32 v16, v1, s21, 0x800000
	v_dual_mov_b32 v31, v17 :: v_dual_mov_b32 v33, v17
	s_delay_alu instid0(VALU_DEP_2) | instskip(NEXT) | instid1(VALU_DEP_1)
	v_mul_u64_e32 v[12:13], s[12:13], v[16:17]
	v_dual_mov_b32 v23, v17 :: v_dual_mov_b32 v22, v13
	v_lshrrev_b32_e32 v13, 23, v1
	s_delay_alu instid0(VALU_DEP_2) | instskip(SKIP_1) | instid1(VALU_DEP_3)
	v_mad_nc_u64_u32 v[22:23], 0x3c439041, v16, v[22:23]
	v_mov_b32_e32 v25, v17
	v_add_nc_u32_e32 v13, 0xffffff88, v13
	s_delay_alu instid0(VALU_DEP_1) | instskip(NEXT) | instid1(VALU_DEP_4)
	v_cmp_lt_u32_e32 vcc_lo, 63, v13
	v_mov_b32_e32 v24, v23
	v_cndmask_b32_e64 v23, 0, 0xffffffc0, vcc_lo
	s_delay_alu instid0(VALU_DEP_2) | instskip(NEXT) | instid1(VALU_DEP_2)
	v_mad_nc_u64_u32 v[24:25], 0xdb629599, v16, v[24:25]
	v_dual_mov_b32 v27, v17 :: v_dual_add_nc_u32 v13, v23, v13
	s_delay_alu instid0(VALU_DEP_1) | instskip(NEXT) | instid1(VALU_DEP_3)
	v_cmp_lt_u32_e64 s2, 31, v13
	v_mov_b32_e32 v26, v25
	s_delay_alu instid0(VALU_DEP_2) | instskip(SKIP_1) | instid1(VALU_DEP_3)
	v_cndmask_b32_e64 v23, 0, 0xffffffe0, s2
	v_cndmask_b32_e32 v12, v24, v12, vcc_lo
	v_mad_nc_u64_u32 v[26:27], 0xf534ddc0, v16, v[26:27]
	s_delay_alu instid0(VALU_DEP_1) | instskip(NEXT) | instid1(VALU_DEP_1)
	v_dual_mov_b32 v29, v17 :: v_dual_mov_b32 v28, v27
	v_mad_nc_u64_u32 v[28:29], 0xfc2757d1, v16, v[28:29]
	s_delay_alu instid0(VALU_DEP_1) | instskip(NEXT) | instid1(VALU_DEP_1)
	v_dual_mov_b32 v30, v29 :: v_dual_add_nc_u32 v13, v23, v13
	v_mad_nc_u64_u32 v[30:31], 0x4e441529, v16, v[30:31]
	s_delay_alu instid0(VALU_DEP_1) | instskip(NEXT) | instid1(VALU_DEP_1)
	v_dual_mov_b32 v32, v31 :: v_dual_cndmask_b32 v23, v30, v26
	v_mad_nc_u64_u32 v[32:33], 0xa2f9836e, v16, v[32:33]
	s_delay_alu instid0(VALU_DEP_1) | instskip(SKIP_1) | instid1(VALU_DEP_3)
	v_cndmask_b32_e32 v25, v32, v28, vcc_lo
	v_cmp_lt_u32_e64 s3, 31, v13
	v_dual_cndmask_b32 v27, v33, v30 :: v_dual_cndmask_b32 v28, v28, v24
	s_delay_alu instid0(VALU_DEP_2) | instskip(NEXT) | instid1(VALU_DEP_1)
	v_cndmask_b32_e64 v16, 0, 0xffffffe0, s3
	v_dual_cndmask_b32 v16, v26, v22 :: v_dual_add_nc_u32 v13, v16, v13
	s_delay_alu instid0(VALU_DEP_3) | instskip(NEXT) | instid1(VALU_DEP_2)
	v_dual_cndmask_b32 v22, v25, v23, s2 :: v_dual_cndmask_b32 v25, v27, v25, s2
	v_dual_cndmask_b32 v23, v23, v28, s2 :: v_dual_sub_nc_u32 v26, 32, v13
	s_delay_alu instid0(VALU_DEP_3) | instskip(SKIP_1) | instid1(VALU_DEP_3)
	v_cndmask_b32_e64 v27, v28, v16, s2
	v_cmp_eq_u32_e32 vcc_lo, 0, v13
	v_dual_cndmask_b32 v25, v25, v22, s3 :: v_dual_cndmask_b32 v22, v22, v23, s3
	v_cndmask_b32_e64 v12, v16, v12, s2
	s_delay_alu instid0(VALU_DEP_2) | instskip(NEXT) | instid1(VALU_DEP_1)
	v_alignbit_b32 v28, v25, v22, v26
	v_dual_cndmask_b32 v23, v23, v27, s3 :: v_dual_cndmask_b32 v13, v28, v25, vcc_lo
	s_delay_alu instid0(VALU_DEP_1) | instskip(NEXT) | instid1(VALU_DEP_1)
	v_alignbit_b32 v24, v22, v23, v26
	v_cndmask_b32_e32 v16, v24, v22, vcc_lo
	s_delay_alu instid0(VALU_DEP_3) | instskip(NEXT) | instid1(VALU_DEP_1)
	v_bfe_u32 v22, v13, 29, 1
	v_dual_sub_nc_u32 v25, 0, v22 :: v_dual_cndmask_b32 v12, v27, v12, s3
	s_delay_alu instid0(VALU_DEP_3) | instskip(NEXT) | instid1(VALU_DEP_2)
	v_alignbit_b32 v24, v13, v16, 30
	v_alignbit_b32 v26, v23, v12, v26
	s_delay_alu instid0(VALU_DEP_1) | instskip(NEXT) | instid1(VALU_DEP_1)
	v_dual_cndmask_b32 v23, v26, v23, vcc_lo :: v_dual_bitop2_b32 v24, v24, v25 bitop3:0x14
	v_clz_i32_u32_e32 v26, v24
	s_delay_alu instid0(VALU_DEP_2) | instskip(NEXT) | instid1(VALU_DEP_2)
	v_alignbit_b32 v16, v16, v23, 30
	v_min_u32_e32 v26, 32, v26
	v_alignbit_b32 v12, v23, v12, 30
	s_delay_alu instid0(VALU_DEP_2) | instskip(NEXT) | instid1(VALU_DEP_2)
	v_dual_sub_nc_u32 v23, 31, v26 :: v_dual_bitop2_b32 v16, v16, v25 bitop3:0x14
	v_xor_b32_e32 v12, v12, v25
	v_dual_lshrrev_b32 v25, 29, v13 :: v_dual_lshlrev_b32 v27, 23, v26
	v_lshrrev_b32_e32 v13, 30, v13
	s_delay_alu instid0(VALU_DEP_4) | instskip(NEXT) | instid1(VALU_DEP_4)
	v_alignbit_b32 v24, v24, v16, v23
	v_alignbit_b32 v12, v16, v12, v23
	s_delay_alu instid0(VALU_DEP_4) | instskip(NEXT) | instid1(VALU_DEP_4)
	v_lshlrev_b32_e32 v16, 31, v25
	v_add_nc_u32_e32 v13, v22, v13
	s_delay_alu instid0(VALU_DEP_3) | instskip(NEXT) | instid1(VALU_DEP_3)
	v_alignbit_b32 v23, v24, v12, 9
	v_or_b32_e32 v25, 0.5, v16
	v_lshrrev_b32_e32 v24, 9, v24
	v_or_b32_e32 v16, 0x33000000, v16
	s_delay_alu instid0(VALU_DEP_4) | instskip(NEXT) | instid1(VALU_DEP_4)
	v_clz_i32_u32_e32 v28, v23
	v_sub_nc_u32_e32 v25, v25, v27
	s_delay_alu instid0(VALU_DEP_2) | instskip(NEXT) | instid1(VALU_DEP_2)
	v_min_u32_e32 v27, 32, v28
	v_or_b32_e32 v24, v24, v25
	s_delay_alu instid0(VALU_DEP_2) | instskip(SKIP_1) | instid1(VALU_DEP_2)
	v_not_b32_e32 v25, v27
	v_add_lshl_u32 v26, v27, v26, 23
	v_alignbit_b32 v12, v23, v12, v25
	s_delay_alu instid0(VALU_DEP_1) | instskip(SKIP_1) | instid1(VALU_DEP_2)
	v_dual_sub_nc_u32 v16, v16, v26 :: v_dual_lshrrev_b32 v12, 9, v12
	v_mul_f32_e32 v28, 0x3fc90fda, v24
	v_or_b32_e32 v12, v16, v12
	s_delay_alu instid0(VALU_DEP_2) | instskip(NEXT) | instid1(VALU_DEP_1)
	v_fma_f32 v23, 0x3fc90fda, v24, -v28
	v_fmac_f32_e32 v23, 0x33a22168, v24
	s_delay_alu instid0(VALU_DEP_1) | instskip(NEXT) | instid1(VALU_DEP_1)
	v_fmac_f32_e32 v23, 0x3fc90fda, v12
	v_add_f32_e32 v12, v28, v23
	s_and_not1_saveexec_b32 s2, s30
	s_cbranch_execnz .LBB132_143
	s_branch .LBB132_144
.LBB132_142:                            ;   in Loop: Header=BB132_4 Depth=1
	s_and_not1_saveexec_b32 s2, s30
.LBB132_143:                            ;   in Loop: Header=BB132_4 Depth=1
	v_mul_f32_e64 v12, 0x3f22f983, |v5|
	s_delay_alu instid0(VALU_DEP_1) | instskip(NEXT) | instid1(VALU_DEP_1)
	v_rndne_f32_e32 v13, v12
	v_fma_f32 v12, 0xbfc90fda, v13, |v5|
	s_delay_alu instid0(VALU_DEP_1) | instskip(NEXT) | instid1(VALU_DEP_1)
	v_fmac_f32_e32 v12, 0xb3a22168, v13
	v_fmac_f32_e32 v12, 0xa7c234c4, v13
	v_cvt_i32_f32_e32 v13, v13
.LBB132_144:                            ;   in Loop: Header=BB132_4 Depth=1
	s_or_b32 exec_lo, exec_lo, s2
	v_dual_mul_f32 v22, v2, v2 :: v_dual_bitop2_b32 v23, 1, v3 bitop3:0x40
	s_delay_alu instid0(VALU_DEP_2) | instskip(SKIP_2) | instid1(VALU_DEP_4)
	v_mul_f32_e32 v24, v12, v12
	v_cmp_nlt_f32_e64 s2, 0x42b17218, v4
	v_lshlrev_b32_e32 v3, 30, v3
	v_fmaak_f32 v27, s22, v22, 0x3c0881c4
	v_cmp_eq_u32_e32 vcc_lo, 0, v23
	v_fmaak_f32 v30, s23, v24, 0xbab64f3b
	s_delay_alu instid0(VALU_DEP_3) | instskip(NEXT) | instid1(VALU_DEP_1)
	v_fmaak_f32 v27, v22, v27, 0xbe2aaa9d
	v_dual_mul_f32 v16, 0x3fb8aa3b, v4 :: v_dual_mul_f32 v27, v22, v27
	s_delay_alu instid0(VALU_DEP_1) | instskip(SKIP_1) | instid1(VALU_DEP_3)
	v_rndne_f32_e32 v25, v16
	v_fma_f32 v26, 0x3fb8aa3b, v4, -v16
	v_dual_fmaak_f32 v29, s22, v24, 0x3c0881c4 :: v_dual_fmac_f32 v2, v2, v27
	s_delay_alu instid0(VALU_DEP_3) | instskip(NEXT) | instid1(VALU_DEP_3)
	v_sub_f32_e32 v16, v16, v25
	v_fmac_f32_e32 v26, 0x32a5705f, v4
	s_delay_alu instid0(VALU_DEP_3) | instskip(SKIP_2) | instid1(VALU_DEP_4)
	v_fmaak_f32 v29, v24, v29, 0xbe2aaa9d
	v_fmaak_f32 v28, s23, v22, 0xbab64f3b
	v_cvt_i32_f32_e32 v25, v25
	v_add_f32_e32 v16, v16, v26
	s_delay_alu instid0(VALU_DEP_3) | instskip(NEXT) | instid1(VALU_DEP_2)
	v_dual_mul_f32 v29, v24, v29 :: v_dual_fmaak_f32 v28, v22, v28, 0x3d2aabf7
	v_exp_f32_e32 v16, v16
	s_delay_alu instid0(VALU_DEP_1) | instskip(NEXT) | instid1(VALU_DEP_1)
	v_fmaak_f32 v28, v22, v28, 0xbf000004
	v_fma_f32 v22, v22, v28, 1.0
	s_delay_alu instid0(TRANS32_DEP_1) | instskip(SKIP_1) | instid1(VALU_DEP_3)
	v_ldexp_f32 v16, v16, v25
	v_fmaak_f32 v26, v24, v30, 0x3d2aabf7
	v_dual_fmac_f32 v12, v12, v29 :: v_dual_cndmask_b32 v2, -v2, v22, vcc_lo
	s_delay_alu instid0(VALU_DEP_2) | instskip(NEXT) | instid1(VALU_DEP_2)
	v_fmaak_f32 v26, v24, v26, 0xbf000004
	v_bitop3_b32 v2, v3, v2, 0x80000000 bitop3:0x6c
	s_delay_alu instid0(VALU_DEP_2) | instskip(SKIP_1) | instid1(VALU_DEP_1)
	v_fma_f32 v24, v24, v26, 1.0
	v_dual_lshlrev_b32 v13, 30, v13 :: v_dual_bitop2_b32 v25, 1, v13 bitop3:0x40
	v_cmp_eq_u32_e32 vcc_lo, 0, v25
	s_delay_alu instid0(VALU_DEP_2) | instskip(NEXT) | instid1(VALU_DEP_4)
	v_and_or_b32 v1, 0x80000000, v13, v1
	v_cndmask_b32_e32 v12, v24, v12, vcc_lo
	v_cmp_ngt_f32_e32 vcc_lo, 0xc2ce8ed0, v4
	s_delay_alu instid0(VALU_DEP_2) | instskip(SKIP_2) | instid1(VALU_DEP_2)
	v_xor3_b32 v1, v1, v12, v5
	v_cndmask_b32_e32 v13, 0, v16, vcc_lo
	v_cmp_class_f32_e64 vcc_lo, v5, 0x1f8
	v_cndmask_b32_e64 v3, 0x7f800000, v13, s2
	v_cndmask_b32_e32 v2, 0x7fc00000, v2, vcc_lo
	s_delay_alu instid0(VALU_DEP_1) | instskip(NEXT) | instid1(VALU_DEP_1)
	v_dual_cndmask_b32 v1, 0x7fc00000, v1 :: v_dual_mul_f32 v12, v3, v2
	v_mul_f32_e32 v13, v3, v1
                                        ; implicit-def: $vgpr2_vgpr3_vgpr4_vgpr5
                                        ; implicit-def: $vgpr1
.LBB132_145:                            ;   in Loop: Header=BB132_4 Depth=1
	s_and_not1_saveexec_b32 s29, s29
	s_cbranch_execz .LBB132_155
; %bb.146:                              ;   in Loop: Header=BB132_4 Depth=1
	v_cmp_ngt_f32_e64 s30, 0x48000000, |v5|
                                        ; implicit-def: $vgpr3
                                        ; implicit-def: $vgpr2
	s_and_saveexec_b32 s2, s30
	s_delay_alu instid0(SALU_CYCLE_1)
	s_xor_b32 s31, exec_lo, s2
	s_cbranch_execz .LBB132_148
; %bb.147:                              ;   in Loop: Header=BB132_4 Depth=1
	v_and_or_b32 v16, v1, s21, 0x800000
	v_mov_b32_e32 v29, v17
	s_delay_alu instid0(VALU_DEP_2) | instskip(NEXT) | instid1(VALU_DEP_1)
	v_mul_u64_e32 v[2:3], s[12:13], v[16:17]
	v_dual_mov_b32 v13, v17 :: v_dual_mov_b32 v12, v3
	v_lshrrev_b32_e32 v3, 23, v1
	s_delay_alu instid0(VALU_DEP_2) | instskip(SKIP_1) | instid1(VALU_DEP_3)
	v_mad_nc_u64_u32 v[12:13], 0x3c439041, v16, v[12:13]
	v_mov_b32_e32 v23, v17
	v_add_nc_u32_e32 v3, 0xffffff88, v3
	s_delay_alu instid0(VALU_DEP_1) | instskip(NEXT) | instid1(VALU_DEP_4)
	v_cmp_lt_u32_e32 vcc_lo, 63, v3
	v_mov_b32_e32 v22, v13
	v_cndmask_b32_e64 v13, 0, 0xffffffc0, vcc_lo
	s_delay_alu instid0(VALU_DEP_2) | instskip(NEXT) | instid1(VALU_DEP_1)
	v_mad_nc_u64_u32 v[22:23], 0xdb629599, v16, v[22:23]
	v_dual_mov_b32 v25, v17 :: v_dual_mov_b32 v24, v23
	s_delay_alu instid0(VALU_DEP_1) | instskip(NEXT) | instid1(VALU_DEP_1)
	v_mad_nc_u64_u32 v[24:25], 0xf534ddc0, v16, v[24:25]
	v_dual_mov_b32 v27, v17 :: v_dual_mov_b32 v26, v25
	s_delay_alu instid0(VALU_DEP_2) | instskip(NEXT) | instid1(VALU_DEP_2)
	v_cndmask_b32_e32 v12, v24, v12, vcc_lo
	v_mad_nc_u64_u32 v[26:27], 0xfc2757d1, v16, v[26:27]
	s_delay_alu instid0(VALU_DEP_1) | instskip(NEXT) | instid1(VALU_DEP_1)
	v_mov_b32_e32 v28, v27
	v_mad_nc_u64_u32 v[28:29], 0x4e441529, v16, v[28:29]
	v_add_nc_u32_e32 v3, v13, v3
	s_delay_alu instid0(VALU_DEP_2) | instskip(NEXT) | instid1(VALU_DEP_1)
	v_dual_mov_b32 v31, v17 :: v_dual_mov_b32 v30, v29
	v_mad_nc_u64_u32 v[30:31], 0xa2f9836e, v16, v[30:31]
	s_delay_alu instid0(VALU_DEP_4) | instskip(NEXT) | instid1(VALU_DEP_4)
	v_cndmask_b32_e32 v16, v28, v24, vcc_lo
	v_cmp_lt_u32_e64 s2, 31, v3
	s_delay_alu instid0(VALU_DEP_1) | instskip(NEXT) | instid1(VALU_DEP_1)
	v_cndmask_b32_e64 v13, 0, 0xffffffe0, s2
	v_dual_cndmask_b32 v23, v30, v26, vcc_lo :: v_dual_add_nc_u32 v3, v13, v3
	v_dual_cndmask_b32 v25, v31, v28 :: v_dual_cndmask_b32 v26, v26, v22
	s_delay_alu instid0(VALU_DEP_2) | instskip(NEXT) | instid1(VALU_DEP_1)
	v_cmp_lt_u32_e64 s3, 31, v3
	v_cndmask_b32_e64 v13, 0, 0xffffffe0, s3
	s_delay_alu instid0(VALU_DEP_1) | instskip(NEXT) | instid1(VALU_DEP_4)
	v_dual_add_nc_u32 v3, v13, v3 :: v_dual_cndmask_b32 v13, v23, v16, s2
	v_dual_cndmask_b32 v23, v25, v23, s2 :: v_dual_cndmask_b32 v16, v16, v26, s2
	s_delay_alu instid0(VALU_DEP_2) | instskip(NEXT) | instid1(VALU_DEP_2)
	v_dual_cndmask_b32 v25, v26, v12, s2 :: v_dual_sub_nc_u32 v24, 32, v3
	v_dual_cndmask_b32 v23, v23, v13, s3 :: v_dual_cndmask_b32 v13, v13, v16, s3
	s_delay_alu instid0(VALU_DEP_2) | instskip(SKIP_1) | instid1(VALU_DEP_3)
	v_dual_cndmask_b32 v16, v16, v25, s3 :: v_dual_cndmask_b32 v2, v22, v2, vcc_lo
	v_cmp_eq_u32_e32 vcc_lo, 0, v3
	v_alignbit_b32 v26, v23, v13, v24
	s_delay_alu instid0(VALU_DEP_3) | instskip(NEXT) | instid1(VALU_DEP_2)
	v_alignbit_b32 v22, v13, v16, v24
	v_dual_cndmask_b32 v2, v12, v2, s2 :: v_dual_cndmask_b32 v3, v26, v23, vcc_lo
	s_delay_alu instid0(VALU_DEP_2) | instskip(NEXT) | instid1(VALU_DEP_2)
	v_cndmask_b32_e32 v12, v22, v13, vcc_lo
	v_bfe_u32 v13, v3, 29, 1
	s_delay_alu instid0(VALU_DEP_3) | instskip(NEXT) | instid1(VALU_DEP_3)
	v_cndmask_b32_e64 v2, v25, v2, s3
	v_alignbit_b32 v22, v3, v12, 30
	s_delay_alu instid0(VALU_DEP_3) | instskip(NEXT) | instid1(VALU_DEP_3)
	v_sub_nc_u32_e32 v23, 0, v13
	v_alignbit_b32 v24, v16, v2, v24
	s_delay_alu instid0(VALU_DEP_1) | instskip(NEXT) | instid1(VALU_DEP_1)
	v_dual_cndmask_b32 v16, v24, v16, vcc_lo :: v_dual_bitop2_b32 v22, v22, v23 bitop3:0x14
	v_clz_i32_u32_e32 v24, v22
	s_delay_alu instid0(VALU_DEP_2) | instskip(SKIP_1) | instid1(VALU_DEP_3)
	v_alignbit_b32 v12, v12, v16, 30
	v_alignbit_b32 v2, v16, v2, 30
	v_min_u32_e32 v24, 32, v24
	s_delay_alu instid0(VALU_DEP_3) | instskip(NEXT) | instid1(VALU_DEP_3)
	v_xor_b32_e32 v12, v12, v23
	v_xor_b32_e32 v2, v2, v23
	v_dual_lshrrev_b32 v23, 29, v3 :: v_dual_lshrrev_b32 v3, 30, v3
	s_delay_alu instid0(VALU_DEP_4) | instskip(NEXT) | instid1(VALU_DEP_2)
	v_dual_sub_nc_u32 v16, 31, v24 :: v_dual_lshlrev_b32 v25, 23, v24
	v_add_nc_u32_e32 v3, v13, v3
	s_delay_alu instid0(VALU_DEP_2) | instskip(SKIP_2) | instid1(VALU_DEP_2)
	v_alignbit_b32 v22, v22, v12, v16
	v_alignbit_b32 v2, v12, v2, v16
	v_lshlrev_b32_e32 v12, 31, v23
	v_alignbit_b32 v16, v22, v2, 9
	s_delay_alu instid0(VALU_DEP_2) | instskip(SKIP_1) | instid1(VALU_DEP_3)
	v_dual_lshrrev_b32 v22, 9, v22 :: v_dual_bitop2_b32 v23, 0.5, v12 bitop3:0x54
	v_or_b32_e32 v12, 0x33000000, v12
	v_clz_i32_u32_e32 v26, v16
	s_delay_alu instid0(VALU_DEP_3) | instskip(NEXT) | instid1(VALU_DEP_2)
	v_sub_nc_u32_e32 v23, v23, v25
	v_min_u32_e32 v25, 32, v26
	s_delay_alu instid0(VALU_DEP_1) | instskip(NEXT) | instid1(VALU_DEP_3)
	v_add_lshl_u32 v24, v25, v24, 23
	v_or_b32_e32 v22, v22, v23
	v_not_b32_e32 v23, v25
	s_delay_alu instid0(VALU_DEP_3) | instskip(NEXT) | instid1(VALU_DEP_3)
	v_sub_nc_u32_e32 v12, v12, v24
	v_mul_f32_e32 v26, 0x3fc90fda, v22
	s_delay_alu instid0(VALU_DEP_3) | instskip(NEXT) | instid1(VALU_DEP_2)
	v_alignbit_b32 v2, v16, v2, v23
	v_fma_f32 v16, 0x3fc90fda, v22, -v26
	s_delay_alu instid0(VALU_DEP_2) | instskip(NEXT) | instid1(VALU_DEP_2)
	v_lshrrev_b32_e32 v2, 9, v2
	v_fmac_f32_e32 v16, 0x33a22168, v22
	s_delay_alu instid0(VALU_DEP_2) | instskip(NEXT) | instid1(VALU_DEP_1)
	v_or_b32_e32 v2, v12, v2
	v_fmac_f32_e32 v16, 0x3fc90fda, v2
	s_delay_alu instid0(VALU_DEP_1)
	v_add_f32_e32 v2, v26, v16
	s_and_not1_saveexec_b32 s2, s31
	s_branch .LBB132_149
.LBB132_148:                            ;   in Loop: Header=BB132_4 Depth=1
	s_and_not1_saveexec_b32 s2, s31
.LBB132_149:                            ;   in Loop: Header=BB132_4 Depth=1
	v_mul_f32_e64 v2, 0x3f22f983, |v5|
	s_delay_alu instid0(VALU_DEP_1) | instskip(NEXT) | instid1(VALU_DEP_1)
	v_rndne_f32_e32 v3, v2
	v_fma_f32 v2, 0xbfc90fda, v3, |v5|
	s_delay_alu instid0(VALU_DEP_1) | instskip(NEXT) | instid1(VALU_DEP_1)
	v_fmac_f32_e32 v2, 0xb3a22168, v3
	v_fmac_f32_e32 v2, 0xa7c234c4, v3
	v_cvt_i32_f32_e32 v3, v3
; %bb.150:                              ;   in Loop: Header=BB132_4 Depth=1
	s_or_b32 exec_lo, exec_lo, s2
                                        ; implicit-def: $vgpr13
                                        ; implicit-def: $vgpr12
	s_and_saveexec_b32 s2, s30
	s_delay_alu instid0(SALU_CYCLE_1)
	s_xor_b32 s30, exec_lo, s2
	s_cbranch_execz .LBB132_152
; %bb.151:                              ;   in Loop: Header=BB132_4 Depth=1
	v_and_or_b32 v16, v1, s21, 0x800000
	v_dual_mov_b32 v31, v17 :: v_dual_mov_b32 v33, v17
	s_delay_alu instid0(VALU_DEP_2) | instskip(NEXT) | instid1(VALU_DEP_1)
	v_mul_u64_e32 v[12:13], s[12:13], v[16:17]
	v_dual_mov_b32 v23, v17 :: v_dual_mov_b32 v22, v13
	v_lshrrev_b32_e32 v13, 23, v1
	s_delay_alu instid0(VALU_DEP_2) | instskip(SKIP_1) | instid1(VALU_DEP_3)
	v_mad_nc_u64_u32 v[22:23], 0x3c439041, v16, v[22:23]
	v_mov_b32_e32 v25, v17
	v_add_nc_u32_e32 v13, 0xffffff88, v13
	s_delay_alu instid0(VALU_DEP_1) | instskip(NEXT) | instid1(VALU_DEP_4)
	v_cmp_lt_u32_e32 vcc_lo, 63, v13
	v_mov_b32_e32 v24, v23
	v_cndmask_b32_e64 v23, 0, 0xffffffc0, vcc_lo
	s_delay_alu instid0(VALU_DEP_2) | instskip(NEXT) | instid1(VALU_DEP_2)
	v_mad_nc_u64_u32 v[24:25], 0xdb629599, v16, v[24:25]
	v_dual_mov_b32 v27, v17 :: v_dual_add_nc_u32 v13, v23, v13
	s_delay_alu instid0(VALU_DEP_1) | instskip(NEXT) | instid1(VALU_DEP_3)
	v_cmp_lt_u32_e64 s2, 31, v13
	v_mov_b32_e32 v26, v25
	s_delay_alu instid0(VALU_DEP_2) | instskip(SKIP_1) | instid1(VALU_DEP_3)
	v_cndmask_b32_e64 v23, 0, 0xffffffe0, s2
	v_cndmask_b32_e32 v12, v24, v12, vcc_lo
	v_mad_nc_u64_u32 v[26:27], 0xf534ddc0, v16, v[26:27]
	s_delay_alu instid0(VALU_DEP_1) | instskip(NEXT) | instid1(VALU_DEP_1)
	v_dual_mov_b32 v29, v17 :: v_dual_mov_b32 v28, v27
	v_mad_nc_u64_u32 v[28:29], 0xfc2757d1, v16, v[28:29]
	s_delay_alu instid0(VALU_DEP_1) | instskip(NEXT) | instid1(VALU_DEP_1)
	v_dual_mov_b32 v30, v29 :: v_dual_add_nc_u32 v13, v23, v13
	v_mad_nc_u64_u32 v[30:31], 0x4e441529, v16, v[30:31]
	s_delay_alu instid0(VALU_DEP_1) | instskip(NEXT) | instid1(VALU_DEP_1)
	v_dual_mov_b32 v32, v31 :: v_dual_cndmask_b32 v23, v30, v26
	v_mad_nc_u64_u32 v[32:33], 0xa2f9836e, v16, v[32:33]
	s_delay_alu instid0(VALU_DEP_1) | instskip(SKIP_1) | instid1(VALU_DEP_3)
	v_cndmask_b32_e32 v25, v32, v28, vcc_lo
	v_cmp_lt_u32_e64 s3, 31, v13
	v_dual_cndmask_b32 v27, v33, v30 :: v_dual_cndmask_b32 v28, v28, v24
	s_delay_alu instid0(VALU_DEP_2) | instskip(NEXT) | instid1(VALU_DEP_1)
	v_cndmask_b32_e64 v16, 0, 0xffffffe0, s3
	v_dual_cndmask_b32 v16, v26, v22 :: v_dual_add_nc_u32 v13, v16, v13
	s_delay_alu instid0(VALU_DEP_3) | instskip(NEXT) | instid1(VALU_DEP_2)
	v_dual_cndmask_b32 v22, v25, v23, s2 :: v_dual_cndmask_b32 v25, v27, v25, s2
	v_dual_cndmask_b32 v23, v23, v28, s2 :: v_dual_sub_nc_u32 v26, 32, v13
	s_delay_alu instid0(VALU_DEP_3) | instskip(SKIP_1) | instid1(VALU_DEP_3)
	v_cndmask_b32_e64 v27, v28, v16, s2
	v_cmp_eq_u32_e32 vcc_lo, 0, v13
	v_dual_cndmask_b32 v25, v25, v22, s3 :: v_dual_cndmask_b32 v22, v22, v23, s3
	v_cndmask_b32_e64 v12, v16, v12, s2
	s_delay_alu instid0(VALU_DEP_2) | instskip(NEXT) | instid1(VALU_DEP_1)
	v_alignbit_b32 v28, v25, v22, v26
	v_dual_cndmask_b32 v23, v23, v27, s3 :: v_dual_cndmask_b32 v13, v28, v25, vcc_lo
	s_delay_alu instid0(VALU_DEP_1) | instskip(NEXT) | instid1(VALU_DEP_1)
	v_alignbit_b32 v24, v22, v23, v26
	v_cndmask_b32_e32 v16, v24, v22, vcc_lo
	s_delay_alu instid0(VALU_DEP_3) | instskip(NEXT) | instid1(VALU_DEP_1)
	v_bfe_u32 v22, v13, 29, 1
	v_dual_sub_nc_u32 v25, 0, v22 :: v_dual_cndmask_b32 v12, v27, v12, s3
	s_delay_alu instid0(VALU_DEP_3) | instskip(NEXT) | instid1(VALU_DEP_2)
	v_alignbit_b32 v24, v13, v16, 30
	v_alignbit_b32 v26, v23, v12, v26
	s_delay_alu instid0(VALU_DEP_1) | instskip(NEXT) | instid1(VALU_DEP_1)
	v_dual_cndmask_b32 v23, v26, v23, vcc_lo :: v_dual_bitop2_b32 v24, v24, v25 bitop3:0x14
	v_clz_i32_u32_e32 v26, v24
	s_delay_alu instid0(VALU_DEP_2) | instskip(NEXT) | instid1(VALU_DEP_2)
	v_alignbit_b32 v16, v16, v23, 30
	v_min_u32_e32 v26, 32, v26
	v_alignbit_b32 v12, v23, v12, 30
	s_delay_alu instid0(VALU_DEP_2) | instskip(NEXT) | instid1(VALU_DEP_2)
	v_dual_sub_nc_u32 v23, 31, v26 :: v_dual_bitop2_b32 v16, v16, v25 bitop3:0x14
	v_xor_b32_e32 v12, v12, v25
	v_dual_lshrrev_b32 v25, 29, v13 :: v_dual_lshlrev_b32 v27, 23, v26
	v_lshrrev_b32_e32 v13, 30, v13
	s_delay_alu instid0(VALU_DEP_4) | instskip(NEXT) | instid1(VALU_DEP_4)
	v_alignbit_b32 v24, v24, v16, v23
	v_alignbit_b32 v12, v16, v12, v23
	s_delay_alu instid0(VALU_DEP_4) | instskip(NEXT) | instid1(VALU_DEP_4)
	v_lshlrev_b32_e32 v16, 31, v25
	v_add_nc_u32_e32 v13, v22, v13
	s_delay_alu instid0(VALU_DEP_3) | instskip(NEXT) | instid1(VALU_DEP_3)
	v_alignbit_b32 v23, v24, v12, 9
	v_or_b32_e32 v25, 0.5, v16
	v_lshrrev_b32_e32 v24, 9, v24
	v_or_b32_e32 v16, 0x33000000, v16
	s_delay_alu instid0(VALU_DEP_4) | instskip(NEXT) | instid1(VALU_DEP_4)
	v_clz_i32_u32_e32 v28, v23
	v_sub_nc_u32_e32 v25, v25, v27
	s_delay_alu instid0(VALU_DEP_2) | instskip(NEXT) | instid1(VALU_DEP_2)
	v_min_u32_e32 v27, 32, v28
	v_or_b32_e32 v24, v24, v25
	s_delay_alu instid0(VALU_DEP_2) | instskip(SKIP_1) | instid1(VALU_DEP_2)
	v_not_b32_e32 v25, v27
	v_add_lshl_u32 v26, v27, v26, 23
	v_alignbit_b32 v12, v23, v12, v25
	s_delay_alu instid0(VALU_DEP_1) | instskip(SKIP_1) | instid1(VALU_DEP_2)
	v_dual_sub_nc_u32 v16, v16, v26 :: v_dual_lshrrev_b32 v12, 9, v12
	v_mul_f32_e32 v28, 0x3fc90fda, v24
	v_or_b32_e32 v12, v16, v12
	s_delay_alu instid0(VALU_DEP_2) | instskip(NEXT) | instid1(VALU_DEP_1)
	v_fma_f32 v23, 0x3fc90fda, v24, -v28
	v_fmac_f32_e32 v23, 0x33a22168, v24
	s_delay_alu instid0(VALU_DEP_1) | instskip(NEXT) | instid1(VALU_DEP_1)
	v_fmac_f32_e32 v23, 0x3fc90fda, v12
	v_add_f32_e32 v12, v28, v23
	s_and_not1_saveexec_b32 s2, s30
	s_cbranch_execnz .LBB132_153
	s_branch .LBB132_154
.LBB132_152:                            ;   in Loop: Header=BB132_4 Depth=1
	s_and_not1_saveexec_b32 s2, s30
.LBB132_153:                            ;   in Loop: Header=BB132_4 Depth=1
	v_mul_f32_e64 v12, 0x3f22f983, |v5|
	s_delay_alu instid0(VALU_DEP_1) | instskip(NEXT) | instid1(VALU_DEP_1)
	v_rndne_f32_e32 v13, v12
	v_fma_f32 v12, 0xbfc90fda, v13, |v5|
	s_delay_alu instid0(VALU_DEP_1) | instskip(NEXT) | instid1(VALU_DEP_1)
	v_fmac_f32_e32 v12, 0xb3a22168, v13
	v_fmac_f32_e32 v12, 0xa7c234c4, v13
	v_cvt_i32_f32_e32 v13, v13
.LBB132_154:                            ;   in Loop: Header=BB132_4 Depth=1
	s_or_b32 exec_lo, exec_lo, s2
	v_add_f32_e32 v4, 0xc322e3bc, v4
	s_delay_alu instid0(VALU_DEP_2) | instskip(SKIP_1) | instid1(VALU_DEP_3)
	v_dual_lshlrev_b32 v13, 30, v13 :: v_dual_bitop2_b32 v25, 1, v13 bitop3:0x40
	v_mul_f32_e32 v24, v2, v2
	v_mul_f32_e32 v16, 0x3fb8aa3b, v4
	s_delay_alu instid0(VALU_DEP_3) | instskip(NEXT) | instid1(VALU_DEP_3)
	v_and_or_b32 v1, 0x80000000, v13, v1
	v_fmaak_f32 v26, s23, v24, 0xbab64f3b
	v_fmaak_f32 v27, s22, v24, 0x3c0881c4
	s_delay_alu instid0(VALU_DEP_4) | instskip(SKIP_1) | instid1(VALU_DEP_4)
	v_fma_f32 v22, 0x3fb8aa3b, v4, -v16
	v_rndne_f32_e32 v23, v16
	v_fmaak_f32 v13, v24, v26, 0x3d2aabf7
	s_delay_alu instid0(VALU_DEP_4) | instskip(NEXT) | instid1(VALU_DEP_4)
	v_fmaak_f32 v26, v24, v27, 0xbe2aaa9d
	v_fmac_f32_e32 v22, 0x32a5705f, v4
	s_delay_alu instid0(VALU_DEP_4) | instskip(NEXT) | instid1(VALU_DEP_1)
	v_sub_f32_e32 v16, v16, v23
	v_add_f32_e32 v16, v16, v22
	v_cvt_i32_f32_e32 v22, v23
	v_dual_lshlrev_b32 v23, 30, v3 :: v_dual_bitop2_b32 v3, 1, v3 bitop3:0x40
	v_cmp_ngt_f32_e32 vcc_lo, 0xc2ce8ed0, v4
	s_delay_alu instid0(VALU_DEP_4) | instskip(SKIP_1) | instid1(TRANS32_DEP_1)
	v_exp_f32_e32 v16, v16
	v_nop
	v_ldexp_f32 v16, v16, v22
	s_delay_alu instid0(VALU_DEP_1) | instskip(SKIP_1) | instid1(VALU_DEP_2)
	v_cndmask_b32_e32 v16, 0, v16, vcc_lo
	v_cmp_nlt_f32_e32 vcc_lo, 0x42b17218, v4
	v_cndmask_b32_e32 v4, 0x7f800000, v16, vcc_lo
	v_cmp_eq_u32_e32 vcc_lo, 0, v3
	v_mul_f32_e32 v26, v24, v26
	v_mul_f32_e32 v22, v12, v12
	s_delay_alu instid0(VALU_DEP_4) | instskip(SKIP_1) | instid1(VALU_DEP_4)
	v_lshrrev_b32_e32 v27, 23, v4
	v_and_or_b32 v4, 0x7fffff, v4, s24
	v_fmac_f32_e32 v2, v2, v26
	s_delay_alu instid0(VALU_DEP_4) | instskip(SKIP_2) | instid1(VALU_DEP_3)
	v_fmaak_f32 v28, s22, v22, 0x3c0881c4
	v_fmaak_f32 v16, s23, v22, 0xbab64f3b
	v_subrev_nc_u32_e32 v27, 19, v27
	v_fmaak_f32 v28, v22, v28, 0xbe2aaa9d
	s_delay_alu instid0(VALU_DEP_3) | instskip(NEXT) | instid1(VALU_DEP_2)
	v_fmaak_f32 v16, v22, v16, 0x3d2aabf7
	v_dual_fmaak_f32 v13, v24, v13, 0xbf000004 :: v_dual_mul_f32 v28, v22, v28
	s_delay_alu instid0(VALU_DEP_2) | instskip(NEXT) | instid1(VALU_DEP_2)
	v_fmaak_f32 v16, v22, v16, 0xbf000004
	v_fma_f32 v13, v24, v13, 1.0
	v_lshrrev_b16 v24, 15, v27
	s_delay_alu instid0(VALU_DEP_4) | instskip(NEXT) | instid1(VALU_DEP_4)
	v_fmac_f32_e32 v12, v12, v28
	v_fma_f32 v16, v22, v16, 1.0
	s_delay_alu instid0(VALU_DEP_4) | instskip(SKIP_2) | instid1(VALU_DEP_3)
	v_cndmask_b32_e64 v2, -v2, v13, vcc_lo
	v_cmp_eq_u32_e32 vcc_lo, 0, v25
	v_add_nc_u16 v3, v27, v24
	v_bitop3_b32 v2, v23, v2, 0x80000000 bitop3:0x6c
	v_cndmask_b32_e32 v12, v16, v12, vcc_lo
	s_delay_alu instid0(VALU_DEP_3) | instskip(SKIP_1) | instid1(VALU_DEP_3)
	v_ashrrev_i16 v3, 1, v3
	v_cmp_class_f32_e64 vcc_lo, v5, 0x1f8
	v_xor3_b32 v1, v1, v12, v5
	s_delay_alu instid0(VALU_DEP_3) | instskip(SKIP_1) | instid1(VALU_DEP_3)
	v_bfe_i32 v3, v3, 0, 16
	v_cndmask_b32_e32 v2, 0x7fc00000, v2, vcc_lo
	v_cndmask_b32_e32 v1, 0x7fc00000, v1, vcc_lo
	s_delay_alu instid0(VALU_DEP_3) | instskip(NEXT) | instid1(VALU_DEP_3)
	v_lshl_add_u32 v5, v3, 23, 1.0
	v_dual_mul_f32 v2, v2, v4 :: v_dual_sub_nc_u32 v3, v27, v3
	s_delay_alu instid0(VALU_DEP_1) | instskip(NEXT) | instid1(VALU_DEP_2)
	v_dual_mul_f32 v1, v1, v4 :: v_dual_mul_f32 v2, v2, v5
	v_lshl_add_u32 v3, v3, 23, 1.0
	s_delay_alu instid0(VALU_DEP_1) | instskip(NEXT) | instid1(VALU_DEP_1)
	v_dual_mul_f32 v1, v1, v5 :: v_dual_mul_f32 v12, v2, v3
	v_mul_f32_e32 v13, v1, v3
.LBB132_155:                            ;   in Loop: Header=BB132_4 Depth=1
	s_or_b32 exec_lo, exec_lo, s29
                                        ; implicit-def: $vgpr2_vgpr3_vgpr4_vgpr5
                                        ; implicit-def: $vgpr2
.LBB132_156:                            ;   in Loop: Header=BB132_4 Depth=1
	s_and_not1_saveexec_b32 s2, s28
	s_cbranch_execz .LBB132_162
; %bb.157:                              ;   in Loop: Header=BB132_4 Depth=1
	v_sub_f32_e32 v13, v5, v5
	s_mov_b32 s3, exec_lo
	v_cmpx_ne_u32_e32 0x7f800000, v2
	s_xor_b32 s3, exec_lo, s3
; %bb.158:                              ;   in Loop: Header=BB132_4 Depth=1
                                        ; implicit-def: $vgpr2_vgpr3_vgpr4_vgpr5
; %bb.159:                              ;   in Loop: Header=BB132_4 Depth=1
	s_delay_alu instid0(SALU_CYCLE_1)
	s_or_saveexec_b32 s3, s3
	v_mov_b32_e32 v12, v13
	s_xor_b32 exec_lo, exec_lo, s3
; %bb.160:                              ;   in Loop: Header=BB132_4 Depth=1
	v_cmp_lt_i32_e32 vcc_lo, -1, v4
	v_dual_cndmask_b32 v12, 0, v4 :: v_dual_cndmask_b32 v13, 0, v13
; %bb.161:                              ;   in Loop: Header=BB132_4 Depth=1
	s_or_b32 exec_lo, exec_lo, s3
.LBB132_162:                            ;   in Loop: Header=BB132_4 Depth=1
	s_delay_alu instid0(SALU_CYCLE_1)
	s_or_b32 exec_lo, exec_lo, s2
                                        ; implicit-def: $vgpr2_vgpr3_vgpr4_vgpr5
                                        ; implicit-def: $vgpr1
.LBB132_163:                            ;   in Loop: Header=BB132_4 Depth=1
	s_and_not1_saveexec_b32 s27, s27
	s_cbranch_execz .LBB132_173
; %bb.164:                              ;   in Loop: Header=BB132_4 Depth=1
	v_lshrrev_b32_e32 v2, 23, v1
	v_cmp_ngt_f32_e64 s28, 0x48000000, |v5|
	v_and_or_b32 v16, v1, s21, 0x800000
                                        ; implicit-def: $vgpr3
	s_delay_alu instid0(VALU_DEP_3) | instskip(SKIP_1) | instid1(SALU_CYCLE_1)
	v_add_nc_u32_e32 v4, 0xffffff88, v2
                                        ; implicit-def: $vgpr2
	s_and_saveexec_b32 s2, s28
	s_xor_b32 s29, exec_lo, s2
	s_cbranch_execz .LBB132_166
; %bb.165:                              ;   in Loop: Header=BB132_4 Depth=1
	v_mul_u64_e32 v[2:3], s[12:13], v[16:17]
	v_mov_b32_e32 v13, v17
	v_cmp_lt_u32_e32 vcc_lo, 63, v4
	s_delay_alu instid0(VALU_DEP_3) | instskip(SKIP_1) | instid1(VALU_DEP_2)
	v_dual_mov_b32 v31, v17 :: v_dual_mov_b32 v12, v3
	v_cndmask_b32_e64 v3, 0, 0xffffffc0, vcc_lo
	v_mad_nc_u64_u32 v[12:13], 0x3c439041, v16, v[12:13]
	s_delay_alu instid0(VALU_DEP_2) | instskip(NEXT) | instid1(VALU_DEP_1)
	v_dual_mov_b32 v23, v17 :: v_dual_add_nc_u32 v3, v3, v4
	v_cmp_lt_u32_e64 s2, 31, v3
	s_delay_alu instid0(VALU_DEP_3) | instskip(NEXT) | instid1(VALU_DEP_2)
	v_mov_b32_e32 v22, v13
	v_cndmask_b32_e64 v13, 0, 0xffffffe0, s2
	s_delay_alu instid0(VALU_DEP_2) | instskip(NEXT) | instid1(VALU_DEP_1)
	v_mad_nc_u64_u32 v[22:23], 0xdb629599, v16, v[22:23]
	v_dual_mov_b32 v25, v17 :: v_dual_mov_b32 v24, v23
	s_delay_alu instid0(VALU_DEP_1) | instskip(NEXT) | instid1(VALU_DEP_1)
	v_mad_nc_u64_u32 v[24:25], 0xf534ddc0, v16, v[24:25]
	v_dual_mov_b32 v27, v17 :: v_dual_mov_b32 v26, v25
	s_delay_alu instid0(VALU_DEP_2) | instskip(NEXT) | instid1(VALU_DEP_2)
	v_cndmask_b32_e32 v12, v24, v12, vcc_lo
	v_mad_nc_u64_u32 v[26:27], 0xfc2757d1, v16, v[26:27]
	s_delay_alu instid0(VALU_DEP_1) | instskip(NEXT) | instid1(VALU_DEP_1)
	v_dual_mov_b32 v29, v17 :: v_dual_mov_b32 v28, v27
	v_mad_nc_u64_u32 v[28:29], 0x4e441529, v16, v[28:29]
	s_delay_alu instid0(VALU_DEP_1) | instskip(NEXT) | instid1(VALU_DEP_1)
	v_dual_mov_b32 v30, v29 :: v_dual_cndmask_b32 v23, v28, v24
	v_mad_nc_u64_u32 v[30:31], 0xa2f9836e, v16, v[30:31]
	s_delay_alu instid0(VALU_DEP_1) | instskip(NEXT) | instid1(VALU_DEP_1)
	v_dual_add_nc_u32 v3, v13, v3 :: v_dual_cndmask_b32 v25, v30, v26, vcc_lo
	v_cmp_lt_u32_e64 s3, 31, v3
	s_delay_alu instid0(VALU_DEP_3) | instskip(NEXT) | instid1(VALU_DEP_2)
	v_dual_cndmask_b32 v27, v31, v28 :: v_dual_cndmask_b32 v26, v26, v22
	v_cndmask_b32_e64 v13, 0, 0xffffffe0, s3
	s_delay_alu instid0(VALU_DEP_1) | instskip(NEXT) | instid1(VALU_DEP_3)
	v_dual_cndmask_b32 v24, v27, v25, s2 :: v_dual_add_nc_u32 v3, v13, v3
	v_dual_cndmask_b32 v13, v25, v23, s2 :: v_dual_cndmask_b32 v23, v23, v26, s2
	s_delay_alu instid0(VALU_DEP_2) | instskip(NEXT) | instid1(VALU_DEP_2)
	v_dual_cndmask_b32 v26, v26, v12, s2 :: v_dual_sub_nc_u32 v25, 32, v3
	v_dual_cndmask_b32 v24, v24, v13, s3 :: v_dual_cndmask_b32 v13, v13, v23, s3
	s_delay_alu instid0(VALU_DEP_2) | instskip(NEXT) | instid1(VALU_DEP_2)
	v_cndmask_b32_e64 v23, v23, v26, s3
	v_alignbit_b32 v27, v24, v13, v25
	v_cndmask_b32_e32 v2, v22, v2, vcc_lo
	v_cmp_eq_u32_e32 vcc_lo, 0, v3
	s_delay_alu instid0(VALU_DEP_4) | instskip(NEXT) | instid1(VALU_DEP_3)
	v_alignbit_b32 v22, v13, v23, v25
	v_dual_cndmask_b32 v3, v27, v24, vcc_lo :: v_dual_cndmask_b32 v2, v12, v2, s2
	s_delay_alu instid0(VALU_DEP_2) | instskip(NEXT) | instid1(VALU_DEP_2)
	v_cndmask_b32_e32 v12, v22, v13, vcc_lo
	v_bfe_u32 v13, v3, 29, 1
	s_delay_alu instid0(VALU_DEP_3) | instskip(NEXT) | instid1(VALU_DEP_3)
	v_cndmask_b32_e64 v2, v26, v2, s3
	v_alignbit_b32 v22, v3, v12, 30
	s_delay_alu instid0(VALU_DEP_3) | instskip(NEXT) | instid1(VALU_DEP_3)
	v_sub_nc_u32_e32 v24, 0, v13
	v_alignbit_b32 v25, v23, v2, v25
	s_delay_alu instid0(VALU_DEP_1) | instskip(NEXT) | instid1(VALU_DEP_1)
	v_dual_cndmask_b32 v23, v25, v23, vcc_lo :: v_dual_bitop2_b32 v22, v22, v24 bitop3:0x14
	v_clz_i32_u32_e32 v25, v22
	s_delay_alu instid0(VALU_DEP_2) | instskip(SKIP_1) | instid1(VALU_DEP_3)
	v_alignbit_b32 v12, v12, v23, 30
	v_alignbit_b32 v2, v23, v2, 30
	v_min_u32_e32 v25, 32, v25
	s_delay_alu instid0(VALU_DEP_3) | instskip(NEXT) | instid1(VALU_DEP_3)
	v_xor_b32_e32 v12, v12, v24
	v_dual_lshrrev_b32 v24, 29, v3 :: v_dual_bitop2_b32 v2, v2, v24 bitop3:0x14
	s_delay_alu instid0(VALU_DEP_3) | instskip(NEXT) | instid1(VALU_DEP_1)
	v_dual_lshrrev_b32 v3, 30, v3 :: v_dual_sub_nc_u32 v23, 31, v25
	v_dual_lshlrev_b32 v26, 23, v25 :: v_dual_add_nc_u32 v3, v13, v3
	s_delay_alu instid0(VALU_DEP_2) | instskip(NEXT) | instid1(VALU_DEP_4)
	v_alignbit_b32 v22, v22, v12, v23
	v_alignbit_b32 v2, v12, v2, v23
	v_lshlrev_b32_e32 v12, 31, v24
	s_delay_alu instid0(VALU_DEP_2) | instskip(NEXT) | instid1(VALU_DEP_2)
	v_alignbit_b32 v23, v22, v2, 9
	v_dual_lshrrev_b32 v22, 9, v22 :: v_dual_bitop2_b32 v24, 0.5, v12 bitop3:0x54
	v_or_b32_e32 v12, 0x33000000, v12
	s_delay_alu instid0(VALU_DEP_3) | instskip(NEXT) | instid1(VALU_DEP_3)
	v_clz_i32_u32_e32 v27, v23
	v_sub_nc_u32_e32 v24, v24, v26
	s_delay_alu instid0(VALU_DEP_2) | instskip(NEXT) | instid1(VALU_DEP_1)
	v_min_u32_e32 v26, 32, v27
	v_add_lshl_u32 v25, v26, v25, 23
	s_delay_alu instid0(VALU_DEP_3) | instskip(SKIP_1) | instid1(VALU_DEP_2)
	v_or_b32_e32 v22, v22, v24
	v_not_b32_e32 v24, v26
	v_dual_mul_f32 v27, 0x3fc90fda, v22 :: v_dual_sub_nc_u32 v12, v12, v25
	s_delay_alu instid0(VALU_DEP_2) | instskip(NEXT) | instid1(VALU_DEP_2)
	v_alignbit_b32 v2, v23, v2, v24
	v_fma_f32 v23, 0x3fc90fda, v22, -v27
	s_delay_alu instid0(VALU_DEP_2) | instskip(NEXT) | instid1(VALU_DEP_2)
	v_lshrrev_b32_e32 v2, 9, v2
	v_fmac_f32_e32 v23, 0x33a22168, v22
	s_delay_alu instid0(VALU_DEP_2) | instskip(NEXT) | instid1(VALU_DEP_1)
	v_or_b32_e32 v2, v12, v2
	v_fmac_f32_e32 v23, 0x3fc90fda, v2
	s_delay_alu instid0(VALU_DEP_1)
	v_add_f32_e32 v2, v27, v23
.LBB132_166:                            ;   in Loop: Header=BB132_4 Depth=1
	s_or_saveexec_b32 s2, s29
	v_mul_f32_e64 v12, 0x3f22f983, |v5|
	s_delay_alu instid0(VALU_DEP_1)
	v_rndne_f32_e32 v22, v12
	s_xor_b32 exec_lo, exec_lo, s2
; %bb.167:                              ;   in Loop: Header=BB132_4 Depth=1
	s_delay_alu instid0(VALU_DEP_1) | instskip(SKIP_1) | instid1(VALU_DEP_2)
	v_fma_f32 v2, 0xbfc90fda, v22, |v5|
	v_cvt_i32_f32_e32 v3, v22
	v_fmac_f32_e32 v2, 0xb3a22168, v22
	s_delay_alu instid0(VALU_DEP_1)
	v_fmac_f32_e32 v2, 0xa7c234c4, v22
; %bb.168:                              ;   in Loop: Header=BB132_4 Depth=1
	s_or_b32 exec_lo, exec_lo, s2
                                        ; implicit-def: $vgpr13
                                        ; implicit-def: $vgpr12
	s_and_saveexec_b32 s2, s28
	s_delay_alu instid0(SALU_CYCLE_1)
	s_xor_b32 s28, exec_lo, s2
	s_cbranch_execz .LBB132_170
; %bb.169:                              ;   in Loop: Header=BB132_4 Depth=1
	v_mul_u64_e32 v[12:13], s[12:13], v[16:17]
	v_mov_b32_e32 v23, v17
	v_cmp_lt_u32_e32 vcc_lo, 63, v4
	s_delay_alu instid0(VALU_DEP_3) | instskip(SKIP_1) | instid1(VALU_DEP_2)
	v_mov_b32_e32 v22, v13
	v_cndmask_b32_e64 v13, 0, 0xffffffc0, vcc_lo
	v_mad_nc_u64_u32 v[22:23], 0x3c439041, v16, v[22:23]
	s_delay_alu instid0(VALU_DEP_1) | instskip(NEXT) | instid1(VALU_DEP_1)
	v_dual_mov_b32 v25, v17 :: v_dual_mov_b32 v24, v23
	v_mad_nc_u64_u32 v[24:25], 0xdb629599, v16, v[24:25]
	s_delay_alu instid0(VALU_DEP_1) | instskip(NEXT) | instid1(VALU_DEP_1)
	v_dual_mov_b32 v27, v17 :: v_dual_mov_b32 v26, v25
	;; [unrolled: 3-line block ×4, first 2 shown]
	v_mad_nc_u64_u32 v[30:31], 0x4e441529, v16, v[30:31]
	v_add_nc_u32_e32 v4, v13, v4
	s_delay_alu instid0(VALU_DEP_2) | instskip(NEXT) | instid1(VALU_DEP_2)
	v_dual_mov_b32 v33, v17 :: v_dual_mov_b32 v32, v31
	v_cmp_lt_u32_e64 s2, 31, v4
	s_delay_alu instid0(VALU_DEP_2) | instskip(NEXT) | instid1(VALU_DEP_2)
	v_mad_nc_u64_u32 v[32:33], 0xa2f9836e, v16, v[32:33]
	v_cndmask_b32_e64 v13, 0, 0xffffffe0, s2
	s_delay_alu instid0(VALU_DEP_1) | instskip(NEXT) | instid1(VALU_DEP_1)
	v_dual_cndmask_b32 v16, v30, v26, vcc_lo :: v_dual_add_nc_u32 v4, v13, v4
	v_cmp_lt_u32_e64 s3, 31, v4
	s_delay_alu instid0(VALU_DEP_4) | instskip(SKIP_1) | instid1(VALU_DEP_3)
	v_dual_cndmask_b32 v23, v32, v28, vcc_lo :: v_dual_cndmask_b32 v25, v33, v30, vcc_lo
	v_cndmask_b32_e32 v27, v28, v24, vcc_lo
	v_cndmask_b32_e64 v13, 0, 0xffffffe0, s3
	s_delay_alu instid0(VALU_DEP_1) | instskip(NEXT) | instid1(VALU_DEP_4)
	v_dual_cndmask_b32 v13, v26, v22 :: v_dual_add_nc_u32 v4, v13, v4
	v_dual_cndmask_b32 v22, v23, v16, s2 :: v_dual_cndmask_b32 v23, v25, v23, s2
	s_delay_alu instid0(VALU_DEP_2) | instskip(NEXT) | instid1(VALU_DEP_3)
	v_dual_cndmask_b32 v16, v16, v27, s2 :: v_dual_sub_nc_u32 v25, 32, v4
	v_cndmask_b32_e64 v26, v27, v13, s2
	s_delay_alu instid0(VALU_DEP_2) | instskip(NEXT) | instid1(VALU_DEP_2)
	v_dual_cndmask_b32 v23, v23, v22, s3 :: v_dual_cndmask_b32 v22, v22, v16, s3
	v_cndmask_b32_e64 v16, v16, v26, s3
	s_delay_alu instid0(VALU_DEP_2) | instskip(SKIP_2) | instid1(VALU_DEP_4)
	v_alignbit_b32 v27, v23, v22, v25
	v_cndmask_b32_e32 v12, v24, v12, vcc_lo
	v_cmp_eq_u32_e32 vcc_lo, 0, v4
	v_alignbit_b32 v24, v22, v16, v25
	s_delay_alu instid0(VALU_DEP_3) | instskip(NEXT) | instid1(VALU_DEP_2)
	v_dual_cndmask_b32 v4, v27, v23, vcc_lo :: v_dual_cndmask_b32 v12, v13, v12, s2
	v_cndmask_b32_e32 v13, v24, v22, vcc_lo
	s_delay_alu instid0(VALU_DEP_2) | instskip(NEXT) | instid1(VALU_DEP_3)
	v_bfe_u32 v22, v4, 29, 1
	v_cndmask_b32_e64 v12, v26, v12, s3
	s_delay_alu instid0(VALU_DEP_3) | instskip(NEXT) | instid1(VALU_DEP_3)
	v_alignbit_b32 v23, v4, v13, 30
	v_sub_nc_u32_e32 v24, 0, v22
	s_delay_alu instid0(VALU_DEP_3) | instskip(NEXT) | instid1(VALU_DEP_2)
	v_alignbit_b32 v25, v16, v12, v25
	v_xor_b32_e32 v23, v23, v24
	s_delay_alu instid0(VALU_DEP_2) | instskip(NEXT) | instid1(VALU_DEP_2)
	v_cndmask_b32_e32 v16, v25, v16, vcc_lo
	v_clz_i32_u32_e32 v25, v23
	s_delay_alu instid0(VALU_DEP_2) | instskip(SKIP_1) | instid1(VALU_DEP_3)
	v_alignbit_b32 v13, v13, v16, 30
	v_alignbit_b32 v12, v16, v12, 30
	v_min_u32_e32 v25, 32, v25
	s_delay_alu instid0(VALU_DEP_3) | instskip(NEXT) | instid1(VALU_DEP_2)
	v_xor_b32_e32 v13, v13, v24
	v_dual_sub_nc_u32 v16, 31, v25 :: v_dual_bitop2_b32 v12, v12, v24 bitop3:0x14
	v_lshlrev_b32_e32 v26, 23, v25
	s_delay_alu instid0(VALU_DEP_2) | instskip(SKIP_1) | instid1(VALU_DEP_4)
	v_alignbit_b32 v23, v23, v13, v16
	v_lshrrev_b32_e32 v24, 29, v4
	v_alignbit_b32 v12, v13, v12, v16
	v_lshrrev_b32_e32 v4, 30, v4
	s_delay_alu instid0(VALU_DEP_2) | instskip(NEXT) | instid1(VALU_DEP_4)
	v_alignbit_b32 v16, v23, v12, 9
	v_dual_lshrrev_b32 v23, 9, v23 :: v_dual_lshlrev_b32 v13, 31, v24
	s_delay_alu instid0(VALU_DEP_2) | instskip(NEXT) | instid1(VALU_DEP_2)
	v_clz_i32_u32_e32 v27, v16
	v_or_b32_e32 v24, 0.5, v13
	v_or_b32_e32 v13, 0x33000000, v13
	s_delay_alu instid0(VALU_DEP_2) | instskip(NEXT) | instid1(VALU_DEP_4)
	v_sub_nc_u32_e32 v24, v24, v26
	v_min_u32_e32 v26, 32, v27
	s_delay_alu instid0(VALU_DEP_1) | instskip(NEXT) | instid1(VALU_DEP_3)
	v_add_lshl_u32 v25, v26, v25, 23
	v_or_b32_e32 v23, v23, v24
	v_not_b32_e32 v24, v26
	s_delay_alu instid0(VALU_DEP_3) | instskip(NEXT) | instid1(VALU_DEP_3)
	v_sub_nc_u32_e32 v13, v13, v25
	v_mul_f32_e32 v27, 0x3fc90fda, v23
	s_delay_alu instid0(VALU_DEP_3) | instskip(NEXT) | instid1(VALU_DEP_2)
	v_alignbit_b32 v12, v16, v12, v24
	v_fma_f32 v16, 0x3fc90fda, v23, -v27
	s_delay_alu instid0(VALU_DEP_2) | instskip(NEXT) | instid1(VALU_DEP_2)
	v_lshrrev_b32_e32 v12, 9, v12
	v_fmac_f32_e32 v16, 0x33a22168, v23
	s_delay_alu instid0(VALU_DEP_2) | instskip(SKIP_1) | instid1(VALU_DEP_2)
	v_or_b32_e32 v12, v13, v12
	v_add_nc_u32_e32 v13, v22, v4
                                        ; implicit-def: $vgpr22
	v_fmac_f32_e32 v16, 0x3fc90fda, v12
	s_delay_alu instid0(VALU_DEP_1)
	v_add_f32_e32 v12, v27, v16
	s_and_not1_saveexec_b32 s2, s28
	s_cbranch_execnz .LBB132_171
	s_branch .LBB132_172
.LBB132_170:                            ;   in Loop: Header=BB132_4 Depth=1
	s_and_not1_saveexec_b32 s2, s28
.LBB132_171:                            ;   in Loop: Header=BB132_4 Depth=1
	v_fma_f32 v12, 0xbfc90fda, v22, |v5|
	v_cvt_i32_f32_e32 v13, v22
	s_delay_alu instid0(VALU_DEP_2) | instskip(NEXT) | instid1(VALU_DEP_1)
	v_fmac_f32_e32 v12, 0xb3a22168, v22
	v_fmac_f32_e32 v12, 0xa7c234c4, v22
.LBB132_172:                            ;   in Loop: Header=BB132_4 Depth=1
	s_or_b32 exec_lo, exec_lo, s2
	s_delay_alu instid0(VALU_DEP_1) | instskip(SKIP_1) | instid1(VALU_DEP_2)
	v_dual_mul_f32 v4, v2, v2 :: v_dual_mul_f32 v16, v12, v12
	v_dual_lshlrev_b32 v3, 30, v3 :: v_dual_bitop2_b32 v22, 1, v3 bitop3:0x40
	v_fmaak_f32 v25, s22, v16, 0x3c0881c4
	s_delay_alu instid0(VALU_DEP_2) | instskip(NEXT) | instid1(VALU_DEP_2)
	v_cmp_eq_u32_e32 vcc_lo, 0, v22
	v_fmaak_f32 v25, v16, v25, 0xbe2aaa9d
	s_delay_alu instid0(VALU_DEP_1) | instskip(SKIP_1) | instid1(VALU_DEP_2)
	v_dual_fmaak_f32 v26, s23, v16, 0xbab64f3b :: v_dual_mul_f32 v25, v16, v25
	v_fmaak_f32 v23, s22, v4, 0x3c0881c4
	v_fmaak_f32 v26, v16, v26, 0x3d2aabf7
	s_delay_alu instid0(VALU_DEP_3) | instskip(NEXT) | instid1(VALU_DEP_3)
	v_fmac_f32_e32 v12, v12, v25
	v_fmaak_f32 v23, v4, v23, 0xbe2aaa9d
	v_fmaak_f32 v24, s23, v4, 0xbab64f3b
	s_delay_alu instid0(VALU_DEP_4) | instskip(NEXT) | instid1(VALU_DEP_2)
	v_fmaak_f32 v26, v16, v26, 0xbf000004
	v_dual_mul_f32 v23, v4, v23 :: v_dual_fmaak_f32 v24, v4, v24, 0x3d2aabf7
	s_delay_alu instid0(VALU_DEP_2) | instskip(NEXT) | instid1(VALU_DEP_2)
	v_fma_f32 v16, v16, v26, 1.0
	v_dual_fmac_f32 v2, v2, v23 :: v_dual_bitop2_b32 v27, 1, v13 bitop3:0x40
	s_delay_alu instid0(VALU_DEP_3) | instskip(NEXT) | instid1(VALU_DEP_1)
	v_dual_fmaak_f32 v24, v4, v24, 0xbf000004 :: v_dual_lshlrev_b32 v13, 30, v13
	v_and_or_b32 v1, 0x80000000, v13, v1
	s_delay_alu instid0(VALU_DEP_2) | instskip(NEXT) | instid1(VALU_DEP_1)
	v_fma_f32 v4, v4, v24, 1.0
	v_cndmask_b32_e64 v2, -v2, v4, vcc_lo
	v_cmp_eq_u32_e32 vcc_lo, 0, v27
	s_delay_alu instid0(VALU_DEP_2) | instskip(SKIP_2) | instid1(VALU_DEP_2)
	v_bitop3_b32 v2, v3, v2, 0x80000000 bitop3:0x6c
	v_cndmask_b32_e32 v4, v16, v12, vcc_lo
	v_cmp_class_f32_e64 vcc_lo, v5, 0x1f8
	v_xor3_b32 v1, v1, v4, v5
	s_delay_alu instid0(VALU_DEP_4) | instskip(NEXT) | instid1(VALU_DEP_2)
	v_cndmask_b32_e32 v12, 0x7fc00000, v2, vcc_lo
	v_cndmask_b32_e32 v13, 0x7fc00000, v1, vcc_lo
.LBB132_173:                            ;   in Loop: Header=BB132_4 Depth=1
	s_or_b32 exec_lo, exec_lo, s27
                                        ; implicit-def: $vgpr2_vgpr3_vgpr4_vgpr5
.LBB132_174:                            ;   in Loop: Header=BB132_4 Depth=1
	s_and_not1_saveexec_b32 s2, s26
	s_cbranch_execz .LBB132_3
; %bb.175:                              ;   in Loop: Header=BB132_4 Depth=1
	v_mul_f32_e32 v1, 0x3fb8aa3b, v4
	v_cmp_ngt_f32_e32 vcc_lo, 0xc2ce8ed0, v4
	v_mov_b32_e32 v13, v5
	s_delay_alu instid0(VALU_DEP_3) | instskip(SKIP_1) | instid1(VALU_DEP_2)
	v_rndne_f32_e32 v2, v1
	v_fma_f32 v3, 0x3fb8aa3b, v4, -v1
	v_sub_f32_e32 v1, v1, v2
	s_delay_alu instid0(VALU_DEP_2) | instskip(SKIP_1) | instid1(VALU_DEP_2)
	v_fmac_f32_e32 v3, 0x32a5705f, v4
	v_cvt_i32_f32_e32 v2, v2
	v_add_f32_e32 v1, v1, v3
	s_delay_alu instid0(VALU_DEP_1) | instskip(SKIP_1) | instid1(TRANS32_DEP_1)
	v_exp_f32_e32 v1, v1
	v_nop
	v_ldexp_f32 v1, v1, v2
	s_delay_alu instid0(VALU_DEP_1) | instskip(SKIP_1) | instid1(VALU_DEP_2)
	v_cndmask_b32_e32 v1, 0, v1, vcc_lo
	v_cmp_nlt_f32_e32 vcc_lo, 0x42b17218, v4
	v_cndmask_b32_e32 v12, 0x7f800000, v1, vcc_lo
	s_branch .LBB132_3
.LBB132_176:
	s_or_b32 exec_lo, exec_lo, s20
	s_mov_b32 s2, 0
.LBB132_177:
	s_delay_alu instid0(SALU_CYCLE_1)
	s_and_not1_b32 vcc_lo, exec_lo, s2
	s_cbranch_vccnz .LBB132_373
; %bb.178:
	v_cmp_lt_i64_e64 s2, s[4:5], 1
	s_and_b32 vcc_lo, exec_lo, s2
	s_cbranch_vccnz .LBB132_373
; %bb.179:
	v_min_i64 v[2:3], 0x10000, s[4:5]
	v_min_u64 v[4:5], 0x10000, s[4:5]
	s_load_b32 s0, s[0:1], 0xc5c
	v_mov_b32_e32 v7, 0
	s_mov_b32 s11, 0
	s_mov_b64 s[18:19], 0xfe5163ab
	s_mov_b32 s13, s11
	s_mov_b32 s15, s11
	v_mov_b32_e32 v1, v7
	s_mov_b32 s17, s11
	s_mov_b64 s[20:21], 0
	s_mov_b32 s22, 0x7fffff
	s_mov_b32 s23, 0xb94c1982
	s_mov_b32 s24, 0x37d75334
	s_mov_b32 s25, 0x7f000000
	s_wait_kmcnt 0x0
	s_and_b32 s10, s0, 0xffff
	s_delay_alu instid0(SALU_CYCLE_1)
	s_lshl_b32 s12, s10, 1
	s_mul_i32 s14, s10, 3
	s_lshl_b32 s16, s10, 2
	s_branch .LBB132_181
.LBB132_180:                            ;   in Loop: Header=BB132_181 Depth=1
	s_wait_xcnt 0x0
	s_or_b32 exec_lo, exec_lo, s0
	s_add_nc_u64 s[20:21], s[20:21], s[16:17]
	s_delay_alu instid0(SALU_CYCLE_1)
	v_cmp_ge_i64_e32 vcc_lo, s[20:21], v[2:3]
	s_cbranch_vccnz .LBB132_373
.LBB132_181:                            ; =>This Inner Loop Header: Depth=1
	v_add_nc_u64_e32 v[8:9], s[20:21], v[0:1]
	v_dual_mov_b32 v22, 0 :: v_dual_mov_b32 v23, 0
	s_delay_alu instid0(VALU_DEP_2)
	v_cmp_lt_u64_e32 vcc_lo, v[8:9], v[4:5]
	s_wait_xcnt 0x0
	s_and_saveexec_b32 s0, vcc_lo
	s_cbranch_execz .LBB132_183
; %bb.182:                              ;   in Loop: Header=BB132_181 Depth=1
	v_lshl_add_u64 v[10:11], v[8:9], 3, s[6:7]
	global_load_b64 v[22:23], v[10:11], off
.LBB132_183:                            ;   in Loop: Header=BB132_181 Depth=1
	s_wait_xcnt 0x0
	s_or_b32 exec_lo, exec_lo, s0
	v_add_nc_u64_e32 v[10:11], s[10:11], v[8:9]
	v_dual_mov_b32 v20, 0 :: v_dual_mov_b32 v24, 0
	v_mov_b32_e32 v25, 0
	s_delay_alu instid0(VALU_DEP_3)
	v_cmp_lt_u64_e64 s0, v[10:11], v[4:5]
	s_and_saveexec_b32 s1, s0
	s_cbranch_execz .LBB132_185
; %bb.184:                              ;   in Loop: Header=BB132_181 Depth=1
	v_lshl_add_u64 v[12:13], v[10:11], 3, s[6:7]
	global_load_b64 v[24:25], v[12:13], off
.LBB132_185:                            ;   in Loop: Header=BB132_181 Depth=1
	s_wait_xcnt 0x0
	s_or_b32 exec_lo, exec_lo, s1
	v_add_nc_u64_e32 v[12:13], s[12:13], v[8:9]
	v_mov_b32_e32 v21, 0
	s_delay_alu instid0(VALU_DEP_2)
	v_cmp_lt_u64_e64 s1, v[12:13], v[4:5]
	s_and_saveexec_b32 s2, s1
	s_cbranch_execz .LBB132_187
; %bb.186:                              ;   in Loop: Header=BB132_181 Depth=1
	v_lshl_add_u64 v[14:15], v[12:13], 3, s[6:7]
	global_load_b64 v[20:21], v[14:15], off
.LBB132_187:                            ;   in Loop: Header=BB132_181 Depth=1
	s_wait_xcnt 0x0
	s_or_b32 exec_lo, exec_lo, s2
	v_add_nc_u64_e32 v[14:15], s[14:15], v[8:9]
	v_dual_mov_b32 v16, 0 :: v_dual_mov_b32 v17, 0
	s_delay_alu instid0(VALU_DEP_2)
	v_cmp_lt_u64_e64 s2, v[14:15], v[4:5]
	s_and_saveexec_b32 s3, s2
	s_cbranch_execz .LBB132_189
; %bb.188:                              ;   in Loop: Header=BB132_181 Depth=1
	v_lshl_add_u64 v[16:17], v[14:15], 3, s[6:7]
	global_load_b64 v[16:17], v[16:17], off
.LBB132_189:                            ;   in Loop: Header=BB132_181 Depth=1
	s_wait_xcnt 0x0
	s_or_b32 exec_lo, exec_lo, s3
	s_wait_loadcnt 0x0
	v_and_b32_e32 v26, 0x7fffffff, v23
                                        ; implicit-def: $vgpr19
	s_mov_b32 s4, exec_lo
	s_delay_alu instid0(VALU_DEP_1)
	v_cmpx_ne_u32_e32 0, v26
	s_xor_b32 s26, exec_lo, s4
	s_cbranch_execz .LBB132_230
; %bb.190:                              ;   in Loop: Header=BB132_181 Depth=1
	v_and_b32_e32 v6, 0x7fffffff, v22
                                        ; implicit-def: $vgpr19
	s_mov_b32 s4, exec_lo
	s_delay_alu instid0(VALU_DEP_1)
	v_cmpx_ne_u32_e32 0, v6
	s_xor_b32 s27, exec_lo, s4
	s_cbranch_execz .LBB132_219
; %bb.191:                              ;   in Loop: Header=BB132_181 Depth=1
                                        ; implicit-def: $vgpr19
	s_mov_b32 s4, exec_lo
	v_cmpx_gt_u32_e32 0x7f800000, v26
	s_xor_b32 s28, exec_lo, s4
	s_cbranch_execz .LBB132_212
; %bb.192:                              ;   in Loop: Header=BB132_181 Depth=1
	v_add_nc_u32_e32 v6, 0xbd4e8de8, v22
                                        ; implicit-def: $vgpr19
	s_mov_b32 s4, exec_lo
	s_delay_alu instid0(VALU_DEP_1)
	v_cmpx_lt_u32_e32 0x8e8e5c, v6
	s_xor_b32 s29, exec_lo, s4
	s_cbranch_execz .LBB132_202
; %bb.193:                              ;   in Loop: Header=BB132_181 Depth=1
	v_cmp_ngt_f32_e64 s30, 0x48000000, |v23|
                                        ; implicit-def: $vgpr19
                                        ; implicit-def: $vgpr18
	s_and_saveexec_b32 s3, s30
	s_delay_alu instid0(SALU_CYCLE_1)
	s_xor_b32 s31, exec_lo, s3
	s_cbranch_execz .LBB132_195
; %bb.194:                              ;   in Loop: Header=BB132_181 Depth=1
	v_and_or_b32 v6, v26, s22, 0x800000
	v_mov_b32_e32 v37, v7
	s_delay_alu instid0(VALU_DEP_2) | instskip(NEXT) | instid1(VALU_DEP_1)
	v_mul_u64_e32 v[18:19], s[18:19], v[6:7]
	v_dual_mov_b32 v29, v7 :: v_dual_mov_b32 v28, v19
	v_lshrrev_b32_e32 v19, 23, v26
	s_delay_alu instid0(VALU_DEP_2) | instskip(SKIP_1) | instid1(VALU_DEP_3)
	v_mad_nc_u64_u32 v[28:29], 0x3c439041, v6, v[28:29]
	v_mov_b32_e32 v31, v7
	v_add_nc_u32_e32 v19, 0xffffff88, v19
	s_delay_alu instid0(VALU_DEP_1) | instskip(NEXT) | instid1(VALU_DEP_4)
	v_cmp_lt_u32_e64 s3, 63, v19
	v_mov_b32_e32 v30, v29
	s_delay_alu instid0(VALU_DEP_2) | instskip(NEXT) | instid1(VALU_DEP_2)
	v_cndmask_b32_e64 v27, 0, 0xffffffc0, s3
	v_mad_nc_u64_u32 v[30:31], 0xdb629599, v6, v[30:31]
	s_delay_alu instid0(VALU_DEP_1) | instskip(NEXT) | instid1(VALU_DEP_2)
	v_dual_mov_b32 v33, v7 :: v_dual_mov_b32 v32, v31
	v_cndmask_b32_e64 v18, v30, v18, s3
	s_delay_alu instid0(VALU_DEP_2) | instskip(NEXT) | instid1(VALU_DEP_1)
	v_mad_nc_u64_u32 v[32:33], 0xf534ddc0, v6, v[32:33]
	v_dual_mov_b32 v35, v7 :: v_dual_mov_b32 v34, v33
	s_delay_alu instid0(VALU_DEP_1) | instskip(NEXT) | instid1(VALU_DEP_1)
	v_mad_nc_u64_u32 v[34:35], 0xfc2757d1, v6, v[34:35]
	v_dual_mov_b32 v36, v35 :: v_dual_cndmask_b32 v33, v34, v30, s3
	s_delay_alu instid0(VALU_DEP_1) | instskip(SKIP_1) | instid1(VALU_DEP_2)
	v_mad_nc_u64_u32 v[36:37], 0x4e441529, v6, v[36:37]
	v_add_nc_u32_e32 v19, v27, v19
	v_dual_mov_b32 v39, v7 :: v_dual_mov_b32 v38, v37
	s_delay_alu instid0(VALU_DEP_2) | instskip(NEXT) | instid1(VALU_DEP_2)
	v_cmp_lt_u32_e64 s4, 31, v19
	v_mad_nc_u64_u32 v[38:39], 0xa2f9836e, v6, v[38:39]
	s_delay_alu instid0(VALU_DEP_2) | instskip(NEXT) | instid1(VALU_DEP_1)
	v_cndmask_b32_e64 v27, 0, 0xffffffe0, s4
	v_dual_add_nc_u32 v6, v27, v19 :: v_dual_cndmask_b32 v27, v36, v32, s3
	s_delay_alu instid0(VALU_DEP_3) | instskip(NEXT) | instid1(VALU_DEP_2)
	v_cndmask_b32_e64 v29, v38, v34, s3
	v_cmp_lt_u32_e64 s5, 31, v6
	v_cndmask_b32_e64 v31, v39, v36, s3
	s_delay_alu instid0(VALU_DEP_2) | instskip(NEXT) | instid1(VALU_DEP_1)
	v_cndmask_b32_e64 v19, 0, 0xffffffe0, s5
	v_dual_add_nc_u32 v6, v19, v6 :: v_dual_cndmask_b32 v19, v32, v28, s3
	s_delay_alu instid0(VALU_DEP_3) | instskip(NEXT) | instid1(VALU_DEP_2)
	v_dual_cndmask_b32 v28, v29, v27, s4 :: v_dual_cndmask_b32 v29, v31, v29, s4
	v_dual_cndmask_b32 v27, v27, v33, s4 :: v_dual_sub_nc_u32 v31, 32, v6
	s_delay_alu instid0(VALU_DEP_3) | instskip(SKIP_1) | instid1(VALU_DEP_3)
	v_cndmask_b32_e64 v32, v33, v19, s4
	v_cmp_eq_u32_e64 s3, 0, v6
	v_dual_cndmask_b32 v29, v29, v28, s5 :: v_dual_cndmask_b32 v28, v28, v27, s5
	s_delay_alu instid0(VALU_DEP_1) | instskip(NEXT) | instid1(VALU_DEP_1)
	v_alignbit_b32 v33, v29, v28, v31
	v_dual_cndmask_b32 v27, v27, v32, s5 :: v_dual_cndmask_b32 v6, v33, v29, s3
	s_delay_alu instid0(VALU_DEP_1) | instskip(NEXT) | instid1(VALU_DEP_1)
	v_alignbit_b32 v30, v28, v27, v31
	v_dual_cndmask_b32 v18, v19, v18, s4 :: v_dual_cndmask_b32 v19, v30, v28, s3
	s_delay_alu instid0(VALU_DEP_3) | instskip(NEXT) | instid1(VALU_DEP_2)
	v_bfe_u32 v28, v6, 29, 1
	v_cndmask_b32_e64 v18, v32, v18, s5
	s_delay_alu instid0(VALU_DEP_3) | instskip(NEXT) | instid1(VALU_DEP_3)
	v_alignbit_b32 v29, v6, v19, 30
	v_sub_nc_u32_e32 v30, 0, v28
	s_delay_alu instid0(VALU_DEP_3) | instskip(NEXT) | instid1(VALU_DEP_1)
	v_alignbit_b32 v31, v27, v18, v31
	v_dual_cndmask_b32 v27, v31, v27, s3 :: v_dual_bitop2_b32 v29, v29, v30 bitop3:0x14
	s_delay_alu instid0(VALU_DEP_1) | instskip(NEXT) | instid1(VALU_DEP_2)
	v_clz_i32_u32_e32 v31, v29
	v_alignbit_b32 v19, v19, v27, 30
	v_alignbit_b32 v18, v27, v18, 30
	s_delay_alu instid0(VALU_DEP_3) | instskip(NEXT) | instid1(VALU_DEP_3)
	v_min_u32_e32 v31, 32, v31
	v_xor_b32_e32 v19, v19, v30
	s_delay_alu instid0(VALU_DEP_3) | instskip(NEXT) | instid1(VALU_DEP_3)
	v_xor_b32_e32 v18, v18, v30
	v_dual_lshrrev_b32 v30, 29, v6 :: v_dual_lshlrev_b32 v32, 23, v31
	v_sub_nc_u32_e32 v27, 31, v31
	s_delay_alu instid0(VALU_DEP_1) | instskip(NEXT) | instid1(VALU_DEP_4)
	v_alignbit_b32 v29, v29, v19, v27
	v_alignbit_b32 v18, v19, v18, v27
	s_delay_alu instid0(VALU_DEP_4) | instskip(NEXT) | instid1(VALU_DEP_2)
	v_lshlrev_b32_e32 v19, 31, v30
	v_alignbit_b32 v27, v29, v18, 9
	s_delay_alu instid0(VALU_DEP_2) | instskip(SKIP_1) | instid1(VALU_DEP_3)
	v_dual_lshrrev_b32 v29, 9, v29 :: v_dual_bitop2_b32 v30, 0.5, v19 bitop3:0x54
	v_or_b32_e32 v19, 0x33000000, v19
	v_clz_i32_u32_e32 v33, v27
	s_delay_alu instid0(VALU_DEP_3) | instskip(NEXT) | instid1(VALU_DEP_2)
	v_sub_nc_u32_e32 v30, v30, v32
	v_min_u32_e32 v32, 32, v33
	s_delay_alu instid0(VALU_DEP_1) | instskip(NEXT) | instid1(VALU_DEP_3)
	v_add_lshl_u32 v31, v32, v31, 23
	v_or_b32_e32 v29, v29, v30
	v_not_b32_e32 v30, v32
	s_delay_alu instid0(VALU_DEP_3) | instskip(NEXT) | instid1(VALU_DEP_3)
	v_sub_nc_u32_e32 v19, v19, v31
	v_mul_f32_e32 v33, 0x3fc90fda, v29
	s_delay_alu instid0(VALU_DEP_3) | instskip(NEXT) | instid1(VALU_DEP_2)
	v_alignbit_b32 v18, v27, v18, v30
	v_fma_f32 v27, 0x3fc90fda, v29, -v33
	s_delay_alu instid0(VALU_DEP_1) | instskip(NEXT) | instid1(VALU_DEP_1)
	v_dual_fmac_f32 v27, 0x33a22168, v29 :: v_dual_lshrrev_b32 v18, 9, v18
	v_or_b32_e32 v18, v19, v18
	s_delay_alu instid0(VALU_DEP_1) | instskip(NEXT) | instid1(VALU_DEP_1)
	v_fmac_f32_e32 v27, 0x3fc90fda, v18
	v_dual_lshrrev_b32 v6, 30, v6 :: v_dual_add_f32 v18, v33, v27
	s_delay_alu instid0(VALU_DEP_1)
	v_add_nc_u32_e32 v19, v28, v6
	s_and_not1_saveexec_b32 s3, s31
	s_branch .LBB132_196
.LBB132_195:                            ;   in Loop: Header=BB132_181 Depth=1
	s_and_not1_saveexec_b32 s3, s31
.LBB132_196:                            ;   in Loop: Header=BB132_181 Depth=1
	v_mul_f32_e64 v6, 0x3f22f983, |v23|
	s_delay_alu instid0(VALU_DEP_1) | instskip(NEXT) | instid1(VALU_DEP_1)
	v_rndne_f32_e32 v6, v6
	v_fma_f32 v18, 0xbfc90fda, v6, |v23|
	v_cvt_i32_f32_e32 v19, v6
	s_delay_alu instid0(VALU_DEP_2) | instskip(NEXT) | instid1(VALU_DEP_1)
	v_fmac_f32_e32 v18, 0xb3a22168, v6
	v_fmac_f32_e32 v18, 0xa7c234c4, v6
; %bb.197:                              ;   in Loop: Header=BB132_181 Depth=1
	s_or_b32 exec_lo, exec_lo, s3
                                        ; implicit-def: $vgpr27
                                        ; implicit-def: $vgpr6
	s_and_saveexec_b32 s3, s30
	s_delay_alu instid0(SALU_CYCLE_1)
	s_xor_b32 s30, exec_lo, s3
	s_cbranch_execz .LBB132_199
; %bb.198:                              ;   in Loop: Header=BB132_181 Depth=1
	v_and_or_b32 v6, v26, s22, 0x800000
	v_dual_lshrrev_b32 v27, 23, v26 :: v_dual_mov_b32 v39, v7
	v_mov_b32_e32 v41, v7
	s_delay_alu instid0(VALU_DEP_3) | instskip(SKIP_1) | instid1(VALU_DEP_4)
	v_mul_u64_e32 v[28:29], s[18:19], v[6:7]
	v_mov_b32_e32 v31, v7
	v_add_nc_u32_e32 v27, 0xffffff88, v27
	s_delay_alu instid0(VALU_DEP_1) | instskip(NEXT) | instid1(VALU_DEP_4)
	v_cmp_lt_u32_e64 s3, 63, v27
	v_mov_b32_e32 v30, v29
	s_delay_alu instid0(VALU_DEP_2) | instskip(NEXT) | instid1(VALU_DEP_2)
	v_cndmask_b32_e64 v29, 0, 0xffffffc0, s3
	v_mad_nc_u64_u32 v[30:31], 0x3c439041, v6, v[30:31]
	s_delay_alu instid0(VALU_DEP_2) | instskip(NEXT) | instid1(VALU_DEP_1)
	v_dual_mov_b32 v33, v7 :: v_dual_add_nc_u32 v27, v29, v27
	v_cmp_lt_u32_e64 s4, 31, v27
	s_delay_alu instid0(VALU_DEP_3) | instskip(NEXT) | instid1(VALU_DEP_2)
	v_mov_b32_e32 v32, v31
	v_cndmask_b32_e64 v29, 0, 0xffffffe0, s4
	s_delay_alu instid0(VALU_DEP_2) | instskip(NEXT) | instid1(VALU_DEP_1)
	v_mad_nc_u64_u32 v[32:33], 0xdb629599, v6, v[32:33]
	v_dual_mov_b32 v35, v7 :: v_dual_mov_b32 v34, v33
	s_delay_alu instid0(VALU_DEP_2) | instskip(NEXT) | instid1(VALU_DEP_2)
	v_cndmask_b32_e64 v28, v32, v28, s3
	v_mad_nc_u64_u32 v[34:35], 0xf534ddc0, v6, v[34:35]
	s_delay_alu instid0(VALU_DEP_1) | instskip(NEXT) | instid1(VALU_DEP_1)
	v_dual_mov_b32 v37, v7 :: v_dual_mov_b32 v36, v35
	v_mad_nc_u64_u32 v[36:37], 0xfc2757d1, v6, v[36:37]
	s_delay_alu instid0(VALU_DEP_1) | instskip(NEXT) | instid1(VALU_DEP_1)
	v_dual_mov_b32 v38, v37 :: v_dual_cndmask_b32 v35, v36, v32, s3
	v_mad_nc_u64_u32 v[38:39], 0x4e441529, v6, v[38:39]
	s_delay_alu instid0(VALU_DEP_1) | instskip(NEXT) | instid1(VALU_DEP_1)
	v_mov_b32_e32 v40, v39
	v_mad_nc_u64_u32 v[40:41], 0xa2f9836e, v6, v[40:41]
	s_delay_alu instid0(VALU_DEP_3) | instskip(NEXT) | instid1(VALU_DEP_1)
	v_dual_add_nc_u32 v6, v29, v27 :: v_dual_cndmask_b32 v29, v38, v34, s3
	v_cmp_lt_u32_e64 s5, 31, v6
	s_delay_alu instid0(VALU_DEP_1) | instskip(NEXT) | instid1(VALU_DEP_4)
	v_cndmask_b32_e64 v27, 0, 0xffffffe0, s5
	v_dual_cndmask_b32 v31, v40, v36, s3 :: v_dual_cndmask_b32 v33, v41, v38, s3
	s_delay_alu instid0(VALU_DEP_2) | instskip(NEXT) | instid1(VALU_DEP_2)
	v_add_nc_u32_e32 v6, v27, v6
	v_dual_cndmask_b32 v27, v34, v30, s3 :: v_dual_cndmask_b32 v30, v31, v29, s4
	s_delay_alu instid0(VALU_DEP_3) | instskip(NEXT) | instid1(VALU_DEP_3)
	v_cndmask_b32_e64 v31, v33, v31, s4
	v_dual_cndmask_b32 v29, v29, v35, s4 :: v_dual_sub_nc_u32 v33, 32, v6
	s_delay_alu instid0(VALU_DEP_3) | instskip(SKIP_1) | instid1(VALU_DEP_3)
	v_cndmask_b32_e64 v34, v35, v27, s4
	v_cmp_eq_u32_e64 s3, 0, v6
	v_dual_cndmask_b32 v31, v31, v30, s5 :: v_dual_cndmask_b32 v30, v30, v29, s5
	s_delay_alu instid0(VALU_DEP_1) | instskip(NEXT) | instid1(VALU_DEP_1)
	v_alignbit_b32 v35, v31, v30, v33
	v_dual_cndmask_b32 v29, v29, v34, s5 :: v_dual_cndmask_b32 v6, v35, v31, s3
	s_delay_alu instid0(VALU_DEP_1) | instskip(NEXT) | instid1(VALU_DEP_1)
	v_alignbit_b32 v32, v30, v29, v33
	v_dual_cndmask_b32 v27, v27, v28, s4 :: v_dual_cndmask_b32 v28, v32, v30, s3
	s_delay_alu instid0(VALU_DEP_3) | instskip(NEXT) | instid1(VALU_DEP_2)
	v_bfe_u32 v30, v6, 29, 1
	v_cndmask_b32_e64 v27, v34, v27, s5
	s_delay_alu instid0(VALU_DEP_3) | instskip(NEXT) | instid1(VALU_DEP_3)
	v_alignbit_b32 v31, v6, v28, 30
	v_sub_nc_u32_e32 v32, 0, v30
	s_delay_alu instid0(VALU_DEP_3) | instskip(NEXT) | instid1(VALU_DEP_1)
	v_alignbit_b32 v33, v29, v27, v33
	v_dual_cndmask_b32 v29, v33, v29, s3 :: v_dual_bitop2_b32 v31, v31, v32 bitop3:0x14
	s_delay_alu instid0(VALU_DEP_1) | instskip(NEXT) | instid1(VALU_DEP_2)
	v_clz_i32_u32_e32 v33, v31
	v_alignbit_b32 v28, v28, v29, 30
	v_alignbit_b32 v27, v29, v27, 30
	s_delay_alu instid0(VALU_DEP_3) | instskip(NEXT) | instid1(VALU_DEP_3)
	v_min_u32_e32 v33, 32, v33
	v_xor_b32_e32 v28, v28, v32
	s_delay_alu instid0(VALU_DEP_3) | instskip(NEXT) | instid1(VALU_DEP_3)
	v_dual_lshrrev_b32 v32, 29, v6 :: v_dual_bitop2_b32 v27, v27, v32 bitop3:0x14
	v_dual_sub_nc_u32 v29, 31, v33 :: v_dual_lshlrev_b32 v34, 23, v33
	s_delay_alu instid0(VALU_DEP_1) | instskip(NEXT) | instid1(VALU_DEP_3)
	v_alignbit_b32 v31, v31, v28, v29
	v_alignbit_b32 v27, v28, v27, v29
	s_delay_alu instid0(VALU_DEP_4) | instskip(NEXT) | instid1(VALU_DEP_2)
	v_lshlrev_b32_e32 v28, 31, v32
	v_alignbit_b32 v29, v31, v27, 9
	s_delay_alu instid0(VALU_DEP_2) | instskip(SKIP_1) | instid1(VALU_DEP_3)
	v_dual_lshrrev_b32 v31, 9, v31 :: v_dual_bitop2_b32 v32, 0.5, v28 bitop3:0x54
	v_or_b32_e32 v28, 0x33000000, v28
	v_clz_i32_u32_e32 v35, v29
	s_delay_alu instid0(VALU_DEP_3) | instskip(NEXT) | instid1(VALU_DEP_2)
	v_sub_nc_u32_e32 v32, v32, v34
	v_min_u32_e32 v34, 32, v35
	s_delay_alu instid0(VALU_DEP_1) | instskip(NEXT) | instid1(VALU_DEP_3)
	v_add_lshl_u32 v33, v34, v33, 23
	v_or_b32_e32 v31, v31, v32
	v_not_b32_e32 v32, v34
	s_delay_alu instid0(VALU_DEP_2) | instskip(NEXT) | instid1(VALU_DEP_2)
	v_dual_mul_f32 v35, 0x3fc90fda, v31 :: v_dual_sub_nc_u32 v28, v28, v33
	v_alignbit_b32 v27, v29, v27, v32
	s_delay_alu instid0(VALU_DEP_2) | instskip(NEXT) | instid1(VALU_DEP_2)
	v_fma_f32 v29, 0x3fc90fda, v31, -v35
	v_lshrrev_b32_e32 v27, 9, v27
	s_delay_alu instid0(VALU_DEP_2) | instskip(NEXT) | instid1(VALU_DEP_2)
	v_fmac_f32_e32 v29, 0x33a22168, v31
	v_or_b32_e32 v27, v28, v27
	s_delay_alu instid0(VALU_DEP_1) | instskip(NEXT) | instid1(VALU_DEP_1)
	v_fmac_f32_e32 v29, 0x3fc90fda, v27
	v_dual_add_f32 v6, v35, v29 :: v_dual_lshrrev_b32 v27, 30, v6
	s_delay_alu instid0(VALU_DEP_1)
	v_add_nc_u32_e32 v27, v30, v27
	s_and_not1_saveexec_b32 s3, s30
	s_cbranch_execnz .LBB132_200
	s_branch .LBB132_201
.LBB132_199:                            ;   in Loop: Header=BB132_181 Depth=1
	s_and_not1_saveexec_b32 s3, s30
.LBB132_200:                            ;   in Loop: Header=BB132_181 Depth=1
	v_mul_f32_e64 v6, 0x3f22f983, |v23|
	s_delay_alu instid0(VALU_DEP_1) | instskip(NEXT) | instid1(VALU_DEP_1)
	v_rndne_f32_e32 v27, v6
	v_fma_f32 v6, 0xbfc90fda, v27, |v23|
	s_delay_alu instid0(VALU_DEP_1) | instskip(NEXT) | instid1(VALU_DEP_1)
	v_fmac_f32_e32 v6, 0xb3a22168, v27
	v_fmac_f32_e32 v6, 0xa7c234c4, v27
	v_cvt_i32_f32_e32 v27, v27
.LBB132_201:                            ;   in Loop: Header=BB132_181 Depth=1
	s_or_b32 exec_lo, exec_lo, s3
	v_mul_f32_e32 v28, 0x3fb8aa3b, v22
	v_dual_mul_f32 v29, v18, v18 :: v_dual_bitop2_b32 v30, 1, v19 bitop3:0x40
	v_mul_f32_e32 v31, v6, v6
	v_cmp_nlt_f32_e64 s4, 0x42b17218, v22
	s_delay_alu instid0(VALU_DEP_4) | instskip(SKIP_3) | instid1(VALU_DEP_4)
	v_rndne_f32_e32 v32, v28
	v_fma_f32 v33, 0x3fb8aa3b, v22, -v28
	v_fmaak_f32 v34, s23, v29, 0x3c0881c4
	v_fmaak_f32 v36, s23, v31, 0x3c0881c4
	v_dual_fmaak_f32 v35, s24, v29, 0xbab64f3b :: v_dual_sub_f32 v28, v28, v32
	s_delay_alu instid0(VALU_DEP_3) | instskip(NEXT) | instid1(VALU_DEP_3)
	v_dual_fmaak_f32 v34, v29, v34, 0xbe2aaa9d :: v_dual_lshlrev_b32 v19, 30, v19
	v_fmaak_f32 v36, v31, v36, 0xbe2aaa9d
	v_fmac_f32_e32 v33, 0x32a5705f, v22
	s_delay_alu instid0(VALU_DEP_4) | instskip(SKIP_1) | instid1(VALU_DEP_4)
	v_fmaak_f32 v35, v29, v35, 0x3d2aabf7
	v_cvt_i32_f32_e32 v32, v32
	v_dual_mul_f32 v34, v29, v34 :: v_dual_mul_f32 v36, v31, v36
	s_delay_alu instid0(VALU_DEP_4) | instskip(NEXT) | instid1(VALU_DEP_2)
	v_dual_fmaak_f32 v37, s24, v31, 0xbab64f3b :: v_dual_add_f32 v28, v28, v33
	v_dual_fmaak_f32 v35, v29, v35, 0xbf000004 :: v_dual_fmac_f32 v18, v18, v34
	s_delay_alu instid0(VALU_DEP_2) | instskip(NEXT) | instid1(VALU_DEP_3)
	v_dual_fmac_f32 v6, v6, v36 :: v_dual_fmaak_f32 v33, v31, v37, 0x3d2aabf7
	v_exp_f32_e32 v28, v28
	s_delay_alu instid0(VALU_DEP_2) | instskip(SKIP_1) | instid1(VALU_DEP_3)
	v_fma_f32 v29, v29, v35, 1.0
	v_cmp_eq_u32_e64 s3, 0, v30
	v_fmaak_f32 v33, v31, v33, 0xbf000004
	s_delay_alu instid0(TRANS32_DEP_1) | instskip(NEXT) | instid1(VALU_DEP_3)
	v_ldexp_f32 v28, v28, v32
	v_dual_cndmask_b32 v18, -v18, v29, s3 :: v_dual_bitop2_b32 v32, 1, v27 bitop3:0x40
	s_delay_alu instid0(VALU_DEP_3) | instskip(SKIP_1) | instid1(VALU_DEP_3)
	v_fma_f32 v31, v31, v33, 1.0
	v_lshlrev_b32_e32 v27, 30, v27
	v_cmp_eq_u32_e64 s3, 0, v32
	s_delay_alu instid0(VALU_DEP_4) | instskip(NEXT) | instid1(VALU_DEP_3)
	v_bitop3_b32 v18, v19, v18, 0x80000000 bitop3:0x6c
	v_and_or_b32 v26, 0x80000000, v27, v26
	s_delay_alu instid0(VALU_DEP_3) | instskip(SKIP_1) | instid1(VALU_DEP_1)
	v_cndmask_b32_e64 v6, v31, v6, s3
	v_cmp_ngt_f32_e64 s3, 0xc2ce8ed0, v22
	v_cndmask_b32_e64 v27, 0, v28, s3
	v_cmp_class_f32_e64 s3, v23, 0x1f8
	s_delay_alu instid0(VALU_DEP_4) | instskip(NEXT) | instid1(VALU_DEP_3)
	v_xor3_b32 v6, v26, v6, v23
                                        ; implicit-def: $vgpr23
                                        ; implicit-def: $vgpr26
	v_cndmask_b32_e64 v19, 0x7f800000, v27, s4
	s_delay_alu instid0(VALU_DEP_3) | instskip(NEXT) | instid1(VALU_DEP_3)
	v_cndmask_b32_e64 v18, 0x7fc00000, v18, s3
	v_cndmask_b32_e64 v6, 0x7fc00000, v6, s3
	s_delay_alu instid0(VALU_DEP_2) | instskip(NEXT) | instid1(VALU_DEP_2)
	v_mul_f32_e32 v18, v19, v18
	v_mul_f32_e32 v19, v19, v6
.LBB132_202:                            ;   in Loop: Header=BB132_181 Depth=1
	s_and_not1_saveexec_b32 s29, s29
	s_cbranch_execz .LBB132_238
; %bb.203:                              ;   in Loop: Header=BB132_181 Depth=1
	v_cmp_ngt_f32_e64 s30, 0x48000000, |v23|
                                        ; implicit-def: $vgpr19
                                        ; implicit-def: $vgpr18
	s_and_saveexec_b32 s3, s30
	s_delay_alu instid0(SALU_CYCLE_1)
	s_xor_b32 s31, exec_lo, s3
	s_cbranch_execz .LBB132_205
; %bb.204:                              ;   in Loop: Header=BB132_181 Depth=1
	v_and_or_b32 v6, v26, s22, 0x800000
	v_mov_b32_e32 v37, v7
	s_delay_alu instid0(VALU_DEP_2) | instskip(NEXT) | instid1(VALU_DEP_1)
	v_mul_u64_e32 v[18:19], s[18:19], v[6:7]
	v_dual_mov_b32 v29, v7 :: v_dual_mov_b32 v28, v19
	v_lshrrev_b32_e32 v19, 23, v26
	s_delay_alu instid0(VALU_DEP_2) | instskip(SKIP_1) | instid1(VALU_DEP_3)
	v_mad_nc_u64_u32 v[28:29], 0x3c439041, v6, v[28:29]
	v_mov_b32_e32 v31, v7
	v_add_nc_u32_e32 v19, 0xffffff88, v19
	s_delay_alu instid0(VALU_DEP_1) | instskip(NEXT) | instid1(VALU_DEP_4)
	v_cmp_lt_u32_e64 s3, 63, v19
	v_mov_b32_e32 v30, v29
	s_delay_alu instid0(VALU_DEP_2) | instskip(NEXT) | instid1(VALU_DEP_2)
	v_cndmask_b32_e64 v27, 0, 0xffffffc0, s3
	v_mad_nc_u64_u32 v[30:31], 0xdb629599, v6, v[30:31]
	s_delay_alu instid0(VALU_DEP_1) | instskip(NEXT) | instid1(VALU_DEP_2)
	v_dual_mov_b32 v33, v7 :: v_dual_mov_b32 v32, v31
	v_cndmask_b32_e64 v18, v30, v18, s3
	s_delay_alu instid0(VALU_DEP_2) | instskip(NEXT) | instid1(VALU_DEP_1)
	v_mad_nc_u64_u32 v[32:33], 0xf534ddc0, v6, v[32:33]
	v_dual_mov_b32 v35, v7 :: v_dual_mov_b32 v34, v33
	s_delay_alu instid0(VALU_DEP_1) | instskip(NEXT) | instid1(VALU_DEP_1)
	v_mad_nc_u64_u32 v[34:35], 0xfc2757d1, v6, v[34:35]
	v_dual_mov_b32 v36, v35 :: v_dual_cndmask_b32 v33, v34, v30, s3
	s_delay_alu instid0(VALU_DEP_1) | instskip(SKIP_1) | instid1(VALU_DEP_2)
	v_mad_nc_u64_u32 v[36:37], 0x4e441529, v6, v[36:37]
	v_add_nc_u32_e32 v19, v27, v19
	v_dual_mov_b32 v39, v7 :: v_dual_mov_b32 v38, v37
	s_delay_alu instid0(VALU_DEP_2) | instskip(NEXT) | instid1(VALU_DEP_2)
	v_cmp_lt_u32_e64 s4, 31, v19
	v_mad_nc_u64_u32 v[38:39], 0xa2f9836e, v6, v[38:39]
	s_delay_alu instid0(VALU_DEP_2) | instskip(NEXT) | instid1(VALU_DEP_1)
	v_cndmask_b32_e64 v27, 0, 0xffffffe0, s4
	v_dual_add_nc_u32 v6, v27, v19 :: v_dual_cndmask_b32 v27, v36, v32, s3
	s_delay_alu instid0(VALU_DEP_3) | instskip(NEXT) | instid1(VALU_DEP_2)
	v_cndmask_b32_e64 v29, v38, v34, s3
	v_cmp_lt_u32_e64 s5, 31, v6
	v_cndmask_b32_e64 v31, v39, v36, s3
	s_delay_alu instid0(VALU_DEP_2) | instskip(NEXT) | instid1(VALU_DEP_1)
	v_cndmask_b32_e64 v19, 0, 0xffffffe0, s5
	v_dual_add_nc_u32 v6, v19, v6 :: v_dual_cndmask_b32 v19, v32, v28, s3
	s_delay_alu instid0(VALU_DEP_3) | instskip(NEXT) | instid1(VALU_DEP_2)
	v_dual_cndmask_b32 v28, v29, v27, s4 :: v_dual_cndmask_b32 v29, v31, v29, s4
	v_dual_cndmask_b32 v27, v27, v33, s4 :: v_dual_sub_nc_u32 v31, 32, v6
	s_delay_alu instid0(VALU_DEP_3) | instskip(SKIP_1) | instid1(VALU_DEP_3)
	v_cndmask_b32_e64 v32, v33, v19, s4
	v_cmp_eq_u32_e64 s3, 0, v6
	v_dual_cndmask_b32 v29, v29, v28, s5 :: v_dual_cndmask_b32 v28, v28, v27, s5
	s_delay_alu instid0(VALU_DEP_1) | instskip(NEXT) | instid1(VALU_DEP_1)
	v_alignbit_b32 v33, v29, v28, v31
	v_dual_cndmask_b32 v27, v27, v32, s5 :: v_dual_cndmask_b32 v6, v33, v29, s3
	s_delay_alu instid0(VALU_DEP_1) | instskip(NEXT) | instid1(VALU_DEP_1)
	v_alignbit_b32 v30, v28, v27, v31
	v_dual_cndmask_b32 v18, v19, v18, s4 :: v_dual_cndmask_b32 v19, v30, v28, s3
	s_delay_alu instid0(VALU_DEP_3) | instskip(NEXT) | instid1(VALU_DEP_2)
	v_bfe_u32 v28, v6, 29, 1
	v_cndmask_b32_e64 v18, v32, v18, s5
	s_delay_alu instid0(VALU_DEP_3) | instskip(NEXT) | instid1(VALU_DEP_3)
	v_alignbit_b32 v29, v6, v19, 30
	v_sub_nc_u32_e32 v30, 0, v28
	s_delay_alu instid0(VALU_DEP_3) | instskip(NEXT) | instid1(VALU_DEP_1)
	v_alignbit_b32 v31, v27, v18, v31
	v_dual_cndmask_b32 v27, v31, v27, s3 :: v_dual_bitop2_b32 v29, v29, v30 bitop3:0x14
	s_delay_alu instid0(VALU_DEP_1) | instskip(NEXT) | instid1(VALU_DEP_2)
	v_clz_i32_u32_e32 v31, v29
	v_alignbit_b32 v19, v19, v27, 30
	v_alignbit_b32 v18, v27, v18, 30
	s_delay_alu instid0(VALU_DEP_3) | instskip(NEXT) | instid1(VALU_DEP_3)
	v_min_u32_e32 v31, 32, v31
	v_xor_b32_e32 v19, v19, v30
	s_delay_alu instid0(VALU_DEP_3) | instskip(NEXT) | instid1(VALU_DEP_3)
	v_xor_b32_e32 v18, v18, v30
	v_dual_lshrrev_b32 v30, 29, v6 :: v_dual_lshlrev_b32 v32, 23, v31
	v_sub_nc_u32_e32 v27, 31, v31
	s_delay_alu instid0(VALU_DEP_1) | instskip(NEXT) | instid1(VALU_DEP_4)
	v_alignbit_b32 v29, v29, v19, v27
	v_alignbit_b32 v18, v19, v18, v27
	s_delay_alu instid0(VALU_DEP_4) | instskip(NEXT) | instid1(VALU_DEP_2)
	v_lshlrev_b32_e32 v19, 31, v30
	v_alignbit_b32 v27, v29, v18, 9
	s_delay_alu instid0(VALU_DEP_2) | instskip(SKIP_1) | instid1(VALU_DEP_3)
	v_dual_lshrrev_b32 v29, 9, v29 :: v_dual_bitop2_b32 v30, 0.5, v19 bitop3:0x54
	v_or_b32_e32 v19, 0x33000000, v19
	v_clz_i32_u32_e32 v33, v27
	s_delay_alu instid0(VALU_DEP_3) | instskip(NEXT) | instid1(VALU_DEP_2)
	v_sub_nc_u32_e32 v30, v30, v32
	v_min_u32_e32 v32, 32, v33
	s_delay_alu instid0(VALU_DEP_1) | instskip(NEXT) | instid1(VALU_DEP_3)
	v_add_lshl_u32 v31, v32, v31, 23
	v_or_b32_e32 v29, v29, v30
	v_not_b32_e32 v30, v32
	s_delay_alu instid0(VALU_DEP_3) | instskip(NEXT) | instid1(VALU_DEP_3)
	v_sub_nc_u32_e32 v19, v19, v31
	v_mul_f32_e32 v33, 0x3fc90fda, v29
	s_delay_alu instid0(VALU_DEP_3) | instskip(NEXT) | instid1(VALU_DEP_2)
	v_alignbit_b32 v18, v27, v18, v30
	v_fma_f32 v27, 0x3fc90fda, v29, -v33
	s_delay_alu instid0(VALU_DEP_1) | instskip(NEXT) | instid1(VALU_DEP_1)
	v_dual_fmac_f32 v27, 0x33a22168, v29 :: v_dual_lshrrev_b32 v18, 9, v18
	v_or_b32_e32 v18, v19, v18
	s_delay_alu instid0(VALU_DEP_1) | instskip(NEXT) | instid1(VALU_DEP_1)
	v_fmac_f32_e32 v27, 0x3fc90fda, v18
	v_dual_lshrrev_b32 v6, 30, v6 :: v_dual_add_f32 v18, v33, v27
	s_delay_alu instid0(VALU_DEP_1)
	v_add_nc_u32_e32 v19, v28, v6
	s_and_not1_saveexec_b32 s3, s31
	s_branch .LBB132_206
.LBB132_205:                            ;   in Loop: Header=BB132_181 Depth=1
	s_and_not1_saveexec_b32 s3, s31
.LBB132_206:                            ;   in Loop: Header=BB132_181 Depth=1
	v_mul_f32_e64 v6, 0x3f22f983, |v23|
	s_delay_alu instid0(VALU_DEP_1) | instskip(NEXT) | instid1(VALU_DEP_1)
	v_rndne_f32_e32 v6, v6
	v_fma_f32 v18, 0xbfc90fda, v6, |v23|
	v_cvt_i32_f32_e32 v19, v6
	s_delay_alu instid0(VALU_DEP_2) | instskip(NEXT) | instid1(VALU_DEP_1)
	v_fmac_f32_e32 v18, 0xb3a22168, v6
	v_fmac_f32_e32 v18, 0xa7c234c4, v6
; %bb.207:                              ;   in Loop: Header=BB132_181 Depth=1
	s_or_b32 exec_lo, exec_lo, s3
                                        ; implicit-def: $vgpr27
                                        ; implicit-def: $vgpr6
	s_and_saveexec_b32 s3, s30
	s_delay_alu instid0(SALU_CYCLE_1)
	s_xor_b32 s30, exec_lo, s3
	s_cbranch_execz .LBB132_209
; %bb.208:                              ;   in Loop: Header=BB132_181 Depth=1
	v_and_or_b32 v6, v26, s22, 0x800000
	v_dual_lshrrev_b32 v27, 23, v26 :: v_dual_mov_b32 v39, v7
	v_mov_b32_e32 v41, v7
	s_delay_alu instid0(VALU_DEP_3) | instskip(SKIP_1) | instid1(VALU_DEP_4)
	v_mul_u64_e32 v[28:29], s[18:19], v[6:7]
	v_mov_b32_e32 v31, v7
	v_add_nc_u32_e32 v27, 0xffffff88, v27
	s_delay_alu instid0(VALU_DEP_1) | instskip(NEXT) | instid1(VALU_DEP_4)
	v_cmp_lt_u32_e64 s3, 63, v27
	v_mov_b32_e32 v30, v29
	s_delay_alu instid0(VALU_DEP_2) | instskip(NEXT) | instid1(VALU_DEP_2)
	v_cndmask_b32_e64 v29, 0, 0xffffffc0, s3
	v_mad_nc_u64_u32 v[30:31], 0x3c439041, v6, v[30:31]
	s_delay_alu instid0(VALU_DEP_2) | instskip(NEXT) | instid1(VALU_DEP_1)
	v_dual_mov_b32 v33, v7 :: v_dual_add_nc_u32 v27, v29, v27
	v_cmp_lt_u32_e64 s4, 31, v27
	s_delay_alu instid0(VALU_DEP_3) | instskip(NEXT) | instid1(VALU_DEP_2)
	v_mov_b32_e32 v32, v31
	v_cndmask_b32_e64 v29, 0, 0xffffffe0, s4
	s_delay_alu instid0(VALU_DEP_2) | instskip(NEXT) | instid1(VALU_DEP_1)
	v_mad_nc_u64_u32 v[32:33], 0xdb629599, v6, v[32:33]
	v_dual_mov_b32 v35, v7 :: v_dual_mov_b32 v34, v33
	s_delay_alu instid0(VALU_DEP_2) | instskip(NEXT) | instid1(VALU_DEP_2)
	v_cndmask_b32_e64 v28, v32, v28, s3
	v_mad_nc_u64_u32 v[34:35], 0xf534ddc0, v6, v[34:35]
	s_delay_alu instid0(VALU_DEP_1) | instskip(NEXT) | instid1(VALU_DEP_1)
	v_dual_mov_b32 v37, v7 :: v_dual_mov_b32 v36, v35
	v_mad_nc_u64_u32 v[36:37], 0xfc2757d1, v6, v[36:37]
	s_delay_alu instid0(VALU_DEP_1) | instskip(NEXT) | instid1(VALU_DEP_1)
	v_dual_mov_b32 v38, v37 :: v_dual_cndmask_b32 v35, v36, v32, s3
	v_mad_nc_u64_u32 v[38:39], 0x4e441529, v6, v[38:39]
	s_delay_alu instid0(VALU_DEP_1) | instskip(NEXT) | instid1(VALU_DEP_1)
	v_mov_b32_e32 v40, v39
	v_mad_nc_u64_u32 v[40:41], 0xa2f9836e, v6, v[40:41]
	s_delay_alu instid0(VALU_DEP_3) | instskip(NEXT) | instid1(VALU_DEP_1)
	v_dual_add_nc_u32 v6, v29, v27 :: v_dual_cndmask_b32 v29, v38, v34, s3
	v_cmp_lt_u32_e64 s5, 31, v6
	s_delay_alu instid0(VALU_DEP_1) | instskip(NEXT) | instid1(VALU_DEP_4)
	v_cndmask_b32_e64 v27, 0, 0xffffffe0, s5
	v_dual_cndmask_b32 v31, v40, v36, s3 :: v_dual_cndmask_b32 v33, v41, v38, s3
	s_delay_alu instid0(VALU_DEP_2) | instskip(NEXT) | instid1(VALU_DEP_2)
	v_add_nc_u32_e32 v6, v27, v6
	v_dual_cndmask_b32 v27, v34, v30, s3 :: v_dual_cndmask_b32 v30, v31, v29, s4
	s_delay_alu instid0(VALU_DEP_3) | instskip(NEXT) | instid1(VALU_DEP_3)
	v_cndmask_b32_e64 v31, v33, v31, s4
	v_dual_cndmask_b32 v29, v29, v35, s4 :: v_dual_sub_nc_u32 v33, 32, v6
	s_delay_alu instid0(VALU_DEP_3) | instskip(SKIP_1) | instid1(VALU_DEP_3)
	v_cndmask_b32_e64 v34, v35, v27, s4
	v_cmp_eq_u32_e64 s3, 0, v6
	v_dual_cndmask_b32 v31, v31, v30, s5 :: v_dual_cndmask_b32 v30, v30, v29, s5
	s_delay_alu instid0(VALU_DEP_1) | instskip(NEXT) | instid1(VALU_DEP_1)
	v_alignbit_b32 v35, v31, v30, v33
	v_dual_cndmask_b32 v29, v29, v34, s5 :: v_dual_cndmask_b32 v6, v35, v31, s3
	s_delay_alu instid0(VALU_DEP_1) | instskip(NEXT) | instid1(VALU_DEP_1)
	v_alignbit_b32 v32, v30, v29, v33
	v_dual_cndmask_b32 v27, v27, v28, s4 :: v_dual_cndmask_b32 v28, v32, v30, s3
	s_delay_alu instid0(VALU_DEP_3) | instskip(NEXT) | instid1(VALU_DEP_2)
	v_bfe_u32 v30, v6, 29, 1
	v_cndmask_b32_e64 v27, v34, v27, s5
	s_delay_alu instid0(VALU_DEP_3) | instskip(NEXT) | instid1(VALU_DEP_3)
	v_alignbit_b32 v31, v6, v28, 30
	v_sub_nc_u32_e32 v32, 0, v30
	s_delay_alu instid0(VALU_DEP_3) | instskip(NEXT) | instid1(VALU_DEP_1)
	v_alignbit_b32 v33, v29, v27, v33
	v_dual_cndmask_b32 v29, v33, v29, s3 :: v_dual_bitop2_b32 v31, v31, v32 bitop3:0x14
	s_delay_alu instid0(VALU_DEP_1) | instskip(NEXT) | instid1(VALU_DEP_2)
	v_clz_i32_u32_e32 v33, v31
	v_alignbit_b32 v28, v28, v29, 30
	v_alignbit_b32 v27, v29, v27, 30
	s_delay_alu instid0(VALU_DEP_3) | instskip(NEXT) | instid1(VALU_DEP_3)
	v_min_u32_e32 v33, 32, v33
	v_xor_b32_e32 v28, v28, v32
	s_delay_alu instid0(VALU_DEP_3) | instskip(NEXT) | instid1(VALU_DEP_3)
	v_dual_lshrrev_b32 v32, 29, v6 :: v_dual_bitop2_b32 v27, v27, v32 bitop3:0x14
	v_dual_sub_nc_u32 v29, 31, v33 :: v_dual_lshlrev_b32 v34, 23, v33
	s_delay_alu instid0(VALU_DEP_1) | instskip(NEXT) | instid1(VALU_DEP_3)
	v_alignbit_b32 v31, v31, v28, v29
	v_alignbit_b32 v27, v28, v27, v29
	s_delay_alu instid0(VALU_DEP_4) | instskip(NEXT) | instid1(VALU_DEP_2)
	v_lshlrev_b32_e32 v28, 31, v32
	v_alignbit_b32 v29, v31, v27, 9
	s_delay_alu instid0(VALU_DEP_2) | instskip(SKIP_1) | instid1(VALU_DEP_3)
	v_dual_lshrrev_b32 v31, 9, v31 :: v_dual_bitop2_b32 v32, 0.5, v28 bitop3:0x54
	v_or_b32_e32 v28, 0x33000000, v28
	v_clz_i32_u32_e32 v35, v29
	s_delay_alu instid0(VALU_DEP_3) | instskip(NEXT) | instid1(VALU_DEP_2)
	v_sub_nc_u32_e32 v32, v32, v34
	v_min_u32_e32 v34, 32, v35
	s_delay_alu instid0(VALU_DEP_1) | instskip(NEXT) | instid1(VALU_DEP_3)
	v_add_lshl_u32 v33, v34, v33, 23
	v_or_b32_e32 v31, v31, v32
	v_not_b32_e32 v32, v34
	s_delay_alu instid0(VALU_DEP_2) | instskip(NEXT) | instid1(VALU_DEP_2)
	v_dual_mul_f32 v35, 0x3fc90fda, v31 :: v_dual_sub_nc_u32 v28, v28, v33
	v_alignbit_b32 v27, v29, v27, v32
	s_delay_alu instid0(VALU_DEP_2) | instskip(NEXT) | instid1(VALU_DEP_2)
	v_fma_f32 v29, 0x3fc90fda, v31, -v35
	v_lshrrev_b32_e32 v27, 9, v27
	s_delay_alu instid0(VALU_DEP_2) | instskip(NEXT) | instid1(VALU_DEP_2)
	v_fmac_f32_e32 v29, 0x33a22168, v31
	v_or_b32_e32 v27, v28, v27
	s_delay_alu instid0(VALU_DEP_1) | instskip(NEXT) | instid1(VALU_DEP_1)
	v_fmac_f32_e32 v29, 0x3fc90fda, v27
	v_dual_add_f32 v6, v35, v29 :: v_dual_lshrrev_b32 v27, 30, v6
	s_delay_alu instid0(VALU_DEP_1)
	v_add_nc_u32_e32 v27, v30, v27
	s_and_not1_saveexec_b32 s3, s30
	s_cbranch_execnz .LBB132_210
	s_branch .LBB132_211
.LBB132_209:                            ;   in Loop: Header=BB132_181 Depth=1
	s_and_not1_saveexec_b32 s3, s30
.LBB132_210:                            ;   in Loop: Header=BB132_181 Depth=1
	v_mul_f32_e64 v6, 0x3f22f983, |v23|
	s_delay_alu instid0(VALU_DEP_1) | instskip(NEXT) | instid1(VALU_DEP_1)
	v_rndne_f32_e32 v27, v6
	v_fma_f32 v6, 0xbfc90fda, v27, |v23|
	s_delay_alu instid0(VALU_DEP_1) | instskip(NEXT) | instid1(VALU_DEP_1)
	v_fmac_f32_e32 v6, 0xb3a22168, v27
	v_fmac_f32_e32 v6, 0xa7c234c4, v27
	v_cvt_i32_f32_e32 v27, v27
.LBB132_211:                            ;   in Loop: Header=BB132_181 Depth=1
	s_or_b32 exec_lo, exec_lo, s3
	s_delay_alu instid0(VALU_DEP_1) | instskip(SKIP_1) | instid1(VALU_DEP_2)
	v_dual_mul_f32 v31, v18, v18 :: v_dual_bitop2_b32 v32, 1, v27 bitop3:0x40
	v_dual_add_f32 v22, 0xc322e3bc, v22 :: v_dual_lshlrev_b32 v27, 30, v27
	v_fmaak_f32 v33, s24, v31, 0xbab64f3b
	v_fmaak_f32 v34, s23, v31, 0x3c0881c4
	s_delay_alu instid0(VALU_DEP_3) | instskip(NEXT) | instid1(VALU_DEP_4)
	v_cmp_ngt_f32_e64 s3, 0xc2ce8ed0, v22
	v_and_or_b32 v26, 0x80000000, v27, v26
	s_delay_alu instid0(VALU_DEP_4) | instskip(NEXT) | instid1(VALU_DEP_4)
	v_fmaak_f32 v27, v31, v33, 0x3d2aabf7
	v_fmaak_f32 v33, v31, v34, 0xbe2aaa9d
	s_delay_alu instid0(VALU_DEP_1) | instskip(NEXT) | instid1(VALU_DEP_1)
	v_dual_mul_f32 v28, 0x3fb8aa3b, v22 :: v_dual_mul_f32 v33, v31, v33
	v_fma_f32 v29, 0x3fb8aa3b, v22, -v28
	v_rndne_f32_e32 v30, v28
	s_delay_alu instid0(VALU_DEP_2) | instskip(NEXT) | instid1(VALU_DEP_2)
	v_dual_fmac_f32 v18, v18, v33 :: v_dual_fmac_f32 v29, 0x32a5705f, v22
	v_sub_f32_e32 v28, v28, v30
	s_delay_alu instid0(VALU_DEP_1) | instskip(SKIP_2) | instid1(VALU_DEP_3)
	v_add_f32_e32 v28, v28, v29
	v_cvt_i32_f32_e32 v29, v30
	v_dual_lshlrev_b32 v30, 30, v19 :: v_dual_bitop2_b32 v19, 1, v19 bitop3:0x40
	v_exp_f32_e32 v28, v28
	v_nop
	s_delay_alu instid0(TRANS32_DEP_1) | instskip(NEXT) | instid1(VALU_DEP_1)
	v_ldexp_f32 v28, v28, v29
	v_dual_mul_f32 v29, v6, v6 :: v_dual_cndmask_b32 v28, 0, v28, s3
	v_cmp_nlt_f32_e64 s3, 0x42b17218, v22
	s_delay_alu instid0(VALU_DEP_2) | instskip(NEXT) | instid1(VALU_DEP_2)
	v_fmaak_f32 v35, s23, v29, 0x3c0881c4
	v_cndmask_b32_e64 v22, 0x7f800000, v28, s3
	v_fmaak_f32 v28, s24, v29, 0xbab64f3b
	s_delay_alu instid0(VALU_DEP_3) | instskip(SKIP_1) | instid1(VALU_DEP_4)
	v_fmaak_f32 v35, v29, v35, 0xbe2aaa9d
	v_cmp_eq_u32_e64 s3, 0, v19
	v_lshrrev_b32_e32 v34, 23, v22
	s_delay_alu instid0(VALU_DEP_4) | instskip(SKIP_2) | instid1(VALU_DEP_4)
	v_fmaak_f32 v28, v29, v28, 0x3d2aabf7
	v_fmaak_f32 v27, v31, v27, 0xbf000004
	v_and_or_b32 v22, 0x7fffff, v22, s25
	v_subrev_nc_u32_e32 v34, 19, v34
	s_delay_alu instid0(VALU_DEP_4) | instskip(NEXT) | instid1(VALU_DEP_4)
	v_fmaak_f32 v28, v29, v28, 0xbf000004
	v_fma_f32 v27, v31, v27, 1.0
	s_delay_alu instid0(VALU_DEP_3) | instskip(NEXT) | instid1(VALU_DEP_3)
	v_lshrrev_b16 v31, 15, v34
	v_fma_f32 v28, v29, v28, 1.0
	s_delay_alu instid0(VALU_DEP_3) | instskip(SKIP_3) | instid1(VALU_DEP_4)
	v_cndmask_b32_e64 v18, -v18, v27, s3
	v_cmp_eq_u32_e64 s3, 0, v32
	v_mul_f32_e32 v35, v29, v35
	v_add_nc_u16 v19, v34, v31
	v_bitop3_b32 v18, v30, v18, 0x80000000 bitop3:0x6c
	s_delay_alu instid0(VALU_DEP_3) | instskip(NEXT) | instid1(VALU_DEP_3)
	v_fmac_f32_e32 v6, v6, v35
	v_ashrrev_i16 v19, 1, v19
	s_delay_alu instid0(VALU_DEP_2) | instskip(SKIP_1) | instid1(VALU_DEP_3)
	v_cndmask_b32_e64 v6, v28, v6, s3
	v_cmp_class_f32_e64 s3, v23, 0x1f8
	v_bfe_i32 v19, v19, 0, 16
	s_delay_alu instid0(VALU_DEP_3) | instskip(NEXT) | instid1(VALU_DEP_3)
	v_xor3_b32 v6, v26, v6, v23
	v_cndmask_b32_e64 v18, 0x7fc00000, v18, s3
	s_delay_alu instid0(VALU_DEP_3) | instskip(SKIP_1) | instid1(VALU_DEP_4)
	v_lshl_add_u32 v23, v19, 23, 1.0
	v_sub_nc_u32_e32 v19, v34, v19
	v_cndmask_b32_e64 v6, 0x7fc00000, v6, s3
	s_delay_alu instid0(VALU_DEP_4) | instskip(NEXT) | instid1(VALU_DEP_3)
	v_mul_f32_e32 v18, v18, v22
	v_lshl_add_u32 v19, v19, 23, 1.0
	s_delay_alu instid0(VALU_DEP_3) | instskip(NEXT) | instid1(VALU_DEP_3)
	v_mul_f32_e32 v6, v6, v22
	v_mul_f32_e32 v18, v18, v23
	s_delay_alu instid0(VALU_DEP_2) | instskip(NEXT) | instid1(VALU_DEP_2)
	v_mul_f32_e32 v6, v6, v23
	v_mul_f32_e32 v18, v18, v19
	s_delay_alu instid0(VALU_DEP_2)
	v_mul_f32_e32 v19, v6, v19
	s_or_b32 exec_lo, exec_lo, s29
                                        ; implicit-def: $vgpr22
                                        ; implicit-def: $vgpr6
.LBB132_212:                            ;   in Loop: Header=BB132_181 Depth=1
	s_and_not1_saveexec_b32 s4, s28
	s_cbranch_execz .LBB132_218
.LBB132_213:                            ;   in Loop: Header=BB132_181 Depth=1
	v_cmp_ne_u32_e64 s3, 0x7f800000, v6
                                        ; implicit-def: $vgpr19
	s_and_saveexec_b32 s5, s3
	s_delay_alu instid0(SALU_CYCLE_1)
	s_xor_b32 s3, exec_lo, s5
; %bb.214:                              ;   in Loop: Header=BB132_181 Depth=1
	v_sub_f32_e32 v19, v23, v23
                                        ; implicit-def: $vgpr22
; %bb.215:                              ;   in Loop: Header=BB132_181 Depth=1
	s_or_saveexec_b32 s5, s3
	s_delay_alu instid0(VALU_DEP_1)
	v_mov_b32_e32 v18, v19
	s_xor_b32 exec_lo, exec_lo, s5
; %bb.216:                              ;   in Loop: Header=BB132_181 Depth=1
	v_cmp_lt_i32_e64 s3, -1, v22
	s_delay_alu instid0(VALU_DEP_1) | instskip(NEXT) | instid1(VALU_DEP_1)
	v_dual_sub_f32 v6, v23, v23 :: v_dual_cndmask_b32 v18, 0, v22, s3
	v_cndmask_b32_e64 v19, 0, v6, s3
; %bb.217:                              ;   in Loop: Header=BB132_181 Depth=1
	s_or_b32 exec_lo, exec_lo, s5
.LBB132_218:                            ;   in Loop: Header=BB132_181 Depth=1
	s_delay_alu instid0(SALU_CYCLE_1)
	s_or_b32 exec_lo, exec_lo, s4
                                        ; implicit-def: $vgpr23
                                        ; implicit-def: $vgpr26
.LBB132_219:                            ;   in Loop: Header=BB132_181 Depth=1
	s_and_not1_saveexec_b32 s27, s27
	s_cbranch_execz .LBB132_229
; %bb.220:                              ;   in Loop: Header=BB132_181 Depth=1
	v_cmp_ngt_f32_e64 s28, 0x48000000, |v23|
                                        ; implicit-def: $vgpr19
                                        ; implicit-def: $vgpr18
	s_and_saveexec_b32 s3, s28
	s_delay_alu instid0(SALU_CYCLE_1)
	s_xor_b32 s29, exec_lo, s3
	s_cbranch_execz .LBB132_222
; %bb.221:                              ;   in Loop: Header=BB132_181 Depth=1
	v_and_or_b32 v6, v26, s22, 0x800000
	v_dual_mov_b32 v37, v7 :: v_dual_mov_b32 v39, v7
	s_delay_alu instid0(VALU_DEP_2) | instskip(NEXT) | instid1(VALU_DEP_1)
	v_mul_u64_e32 v[18:19], s[18:19], v[6:7]
	v_dual_mov_b32 v29, v7 :: v_dual_mov_b32 v28, v19
	v_lshrrev_b32_e32 v19, 23, v26
	s_delay_alu instid0(VALU_DEP_2) | instskip(SKIP_1) | instid1(VALU_DEP_3)
	v_mad_nc_u64_u32 v[28:29], 0x3c439041, v6, v[28:29]
	v_mov_b32_e32 v31, v7
	v_add_nc_u32_e32 v19, 0xffffff88, v19
	s_delay_alu instid0(VALU_DEP_1) | instskip(NEXT) | instid1(VALU_DEP_4)
	v_cmp_lt_u32_e64 s3, 63, v19
	v_mov_b32_e32 v30, v29
	s_delay_alu instid0(VALU_DEP_2) | instskip(NEXT) | instid1(VALU_DEP_2)
	v_cndmask_b32_e64 v22, 0, 0xffffffc0, s3
	v_mad_nc_u64_u32 v[30:31], 0xdb629599, v6, v[30:31]
	s_delay_alu instid0(VALU_DEP_2) | instskip(NEXT) | instid1(VALU_DEP_1)
	v_dual_mov_b32 v33, v7 :: v_dual_add_nc_u32 v19, v22, v19
	v_cmp_lt_u32_e64 s4, 31, v19
	s_delay_alu instid0(VALU_DEP_3) | instskip(NEXT) | instid1(VALU_DEP_2)
	v_mov_b32_e32 v32, v31
	v_cndmask_b32_e64 v22, 0, 0xffffffe0, s4
	s_delay_alu instid0(VALU_DEP_2) | instskip(NEXT) | instid1(VALU_DEP_1)
	v_mad_nc_u64_u32 v[32:33], 0xf534ddc0, v6, v[32:33]
	v_dual_mov_b32 v35, v7 :: v_dual_mov_b32 v34, v33
	s_delay_alu instid0(VALU_DEP_1) | instskip(NEXT) | instid1(VALU_DEP_1)
	v_mad_nc_u64_u32 v[34:35], 0xfc2757d1, v6, v[34:35]
	v_dual_mov_b32 v36, v35 :: v_dual_cndmask_b32 v31, v34, v30, s3
	s_delay_alu instid0(VALU_DEP_1) | instskip(NEXT) | instid1(VALU_DEP_1)
	v_mad_nc_u64_u32 v[36:37], 0x4e441529, v6, v[36:37]
	v_mov_b32_e32 v38, v37
	s_delay_alu instid0(VALU_DEP_1) | instskip(NEXT) | instid1(VALU_DEP_3)
	v_mad_nc_u64_u32 v[38:39], 0xa2f9836e, v6, v[38:39]
	v_dual_add_nc_u32 v6, v22, v19 :: v_dual_cndmask_b32 v22, v36, v32, s3
	s_delay_alu instid0(VALU_DEP_1) | instskip(NEXT) | instid1(VALU_DEP_1)
	v_cmp_lt_u32_e64 s5, 31, v6
	v_cndmask_b32_e64 v19, 0, 0xffffffe0, s5
	s_delay_alu instid0(VALU_DEP_4) | instskip(NEXT) | instid1(VALU_DEP_2)
	v_dual_cndmask_b32 v27, v38, v34, s3 :: v_dual_cndmask_b32 v29, v39, v36, s3
	v_dual_add_nc_u32 v6, v19, v6 :: v_dual_cndmask_b32 v19, v32, v28, s3
	s_delay_alu instid0(VALU_DEP_2) | instskip(NEXT) | instid1(VALU_DEP_2)
	v_dual_cndmask_b32 v28, v27, v22, s4 :: v_dual_cndmask_b32 v27, v29, v27, s4
	v_dual_cndmask_b32 v22, v22, v31, s4 :: v_dual_sub_nc_u32 v29, 32, v6
	s_delay_alu instid0(VALU_DEP_3) | instskip(NEXT) | instid1(VALU_DEP_2)
	v_cndmask_b32_e64 v31, v31, v19, s4
	v_dual_cndmask_b32 v27, v27, v28, s5 :: v_dual_cndmask_b32 v28, v28, v22, s5
	s_delay_alu instid0(VALU_DEP_2) | instskip(NEXT) | instid1(VALU_DEP_2)
	v_cndmask_b32_e64 v22, v22, v31, s5
	v_alignbit_b32 v32, v27, v28, v29
	v_cndmask_b32_e64 v18, v30, v18, s3
	v_cmp_eq_u32_e64 s3, 0, v6
	s_delay_alu instid0(VALU_DEP_4) | instskip(NEXT) | instid1(VALU_DEP_2)
	v_alignbit_b32 v30, v28, v22, v29
	v_dual_cndmask_b32 v6, v32, v27, s3 :: v_dual_cndmask_b32 v18, v19, v18, s4
	s_delay_alu instid0(VALU_DEP_2) | instskip(NEXT) | instid1(VALU_DEP_2)
	v_cndmask_b32_e64 v19, v30, v28, s3
	v_bfe_u32 v27, v6, 29, 1
	s_delay_alu instid0(VALU_DEP_3) | instskip(NEXT) | instid1(VALU_DEP_3)
	v_cndmask_b32_e64 v18, v31, v18, s5
	v_alignbit_b32 v28, v6, v19, 30
	s_delay_alu instid0(VALU_DEP_3) | instskip(NEXT) | instid1(VALU_DEP_3)
	v_sub_nc_u32_e32 v30, 0, v27
	v_alignbit_b32 v29, v22, v18, v29
	s_delay_alu instid0(VALU_DEP_2) | instskip(NEXT) | instid1(VALU_DEP_2)
	v_xor_b32_e32 v28, v28, v30
	v_cndmask_b32_e64 v22, v29, v22, s3
	s_delay_alu instid0(VALU_DEP_2) | instskip(NEXT) | instid1(VALU_DEP_2)
	v_clz_i32_u32_e32 v29, v28
	v_alignbit_b32 v19, v19, v22, 30
	v_alignbit_b32 v18, v22, v18, 30
	s_delay_alu instid0(VALU_DEP_3) | instskip(NEXT) | instid1(VALU_DEP_3)
	v_min_u32_e32 v29, 32, v29
	v_xor_b32_e32 v19, v19, v30
	s_delay_alu instid0(VALU_DEP_2) | instskip(SKIP_1) | instid1(VALU_DEP_2)
	v_dual_sub_nc_u32 v22, 31, v29 :: v_dual_bitop2_b32 v18, v18, v30 bitop3:0x14
	v_lshlrev_b32_e32 v31, 23, v29
	v_alignbit_b32 v28, v28, v19, v22
	v_lshrrev_b32_e32 v30, 29, v6
	s_delay_alu instid0(VALU_DEP_4) | instskip(SKIP_1) | instid1(VALU_DEP_2)
	v_alignbit_b32 v18, v19, v18, v22
	v_lshrrev_b32_e32 v6, 30, v6
	v_alignbit_b32 v22, v28, v18, 9
	s_delay_alu instid0(VALU_DEP_4) | instskip(NEXT) | instid1(VALU_DEP_2)
	v_dual_lshrrev_b32 v28, 9, v28 :: v_dual_lshlrev_b32 v19, 31, v30
	v_clz_i32_u32_e32 v32, v22
	s_delay_alu instid0(VALU_DEP_2) | instskip(SKIP_1) | instid1(VALU_DEP_2)
	v_or_b32_e32 v30, 0.5, v19
	v_or_b32_e32 v19, 0x33000000, v19
	v_sub_nc_u32_e32 v30, v30, v31
	s_delay_alu instid0(VALU_DEP_4) | instskip(NEXT) | instid1(VALU_DEP_1)
	v_min_u32_e32 v31, 32, v32
	v_add_lshl_u32 v29, v31, v29, 23
	s_delay_alu instid0(VALU_DEP_1) | instskip(SKIP_1) | instid1(VALU_DEP_2)
	v_dual_sub_nc_u32 v19, v19, v29 :: v_dual_bitop2_b32 v28, v28, v30 bitop3:0x54
	v_not_b32_e32 v30, v31
	v_mul_f32_e32 v32, 0x3fc90fda, v28
	s_delay_alu instid0(VALU_DEP_2) | instskip(NEXT) | instid1(VALU_DEP_1)
	v_alignbit_b32 v18, v22, v18, v30
	v_lshrrev_b32_e32 v18, 9, v18
	s_delay_alu instid0(VALU_DEP_1) | instskip(SKIP_2) | instid1(VALU_DEP_1)
	v_or_b32_e32 v18, v19, v18
	v_add_nc_u32_e32 v19, v27, v6
	v_fma_f32 v22, 0x3fc90fda, v28, -v32
	v_fmac_f32_e32 v22, 0x33a22168, v28
	s_delay_alu instid0(VALU_DEP_1) | instskip(NEXT) | instid1(VALU_DEP_1)
	v_fmac_f32_e32 v22, 0x3fc90fda, v18
	v_add_f32_e32 v18, v32, v22
	s_and_not1_saveexec_b32 s3, s29
	s_branch .LBB132_223
.LBB132_222:                            ;   in Loop: Header=BB132_181 Depth=1
	s_and_not1_saveexec_b32 s3, s29
.LBB132_223:                            ;   in Loop: Header=BB132_181 Depth=1
	v_mul_f32_e64 v6, 0x3f22f983, |v23|
	s_delay_alu instid0(VALU_DEP_1) | instskip(NEXT) | instid1(VALU_DEP_1)
	v_rndne_f32_e32 v6, v6
	v_fma_f32 v18, 0xbfc90fda, v6, |v23|
	v_cvt_i32_f32_e32 v19, v6
	s_delay_alu instid0(VALU_DEP_2) | instskip(NEXT) | instid1(VALU_DEP_1)
	v_fmac_f32_e32 v18, 0xb3a22168, v6
	v_fmac_f32_e32 v18, 0xa7c234c4, v6
; %bb.224:                              ;   in Loop: Header=BB132_181 Depth=1
	s_or_b32 exec_lo, exec_lo, s3
                                        ; implicit-def: $vgpr22
                                        ; implicit-def: $vgpr6
	s_and_saveexec_b32 s3, s28
	s_delay_alu instid0(SALU_CYCLE_1)
	s_xor_b32 s28, exec_lo, s3
	s_cbranch_execz .LBB132_226
; %bb.225:                              ;   in Loop: Header=BB132_181 Depth=1
	v_and_or_b32 v6, v26, s22, 0x800000
	v_dual_mov_b32 v39, v7 :: v_dual_lshrrev_b32 v22, 23, v26
	v_mov_b32_e32 v41, v7
	s_delay_alu instid0(VALU_DEP_3) | instskip(NEXT) | instid1(VALU_DEP_3)
	v_mul_u64_e32 v[28:29], s[18:19], v[6:7]
	v_dual_mov_b32 v31, v7 :: v_dual_add_nc_u32 v22, 0xffffff88, v22
	s_delay_alu instid0(VALU_DEP_1) | instskip(NEXT) | instid1(VALU_DEP_1)
	v_cmp_lt_u32_e64 s3, 63, v22
	v_cndmask_b32_e64 v27, 0, 0xffffffc0, s3
	s_delay_alu instid0(VALU_DEP_1) | instskip(NEXT) | instid1(VALU_DEP_1)
	v_add_nc_u32_e32 v22, v27, v22
	v_cmp_lt_u32_e64 s4, 31, v22
	s_delay_alu instid0(VALU_DEP_1) | instskip(SKIP_1) | instid1(VALU_DEP_1)
	v_cndmask_b32_e64 v27, 0, 0xffffffe0, s4
	v_mov_b32_e32 v30, v29
	v_mad_nc_u64_u32 v[30:31], 0x3c439041, v6, v[30:31]
	s_delay_alu instid0(VALU_DEP_1) | instskip(NEXT) | instid1(VALU_DEP_1)
	v_dual_mov_b32 v33, v7 :: v_dual_mov_b32 v32, v31
	v_mad_nc_u64_u32 v[32:33], 0xdb629599, v6, v[32:33]
	s_delay_alu instid0(VALU_DEP_1) | instskip(NEXT) | instid1(VALU_DEP_1)
	v_dual_mov_b32 v35, v7 :: v_dual_mov_b32 v34, v33
	v_mad_nc_u64_u32 v[34:35], 0xf534ddc0, v6, v[34:35]
	s_delay_alu instid0(VALU_DEP_1) | instskip(NEXT) | instid1(VALU_DEP_1)
	v_dual_mov_b32 v37, v7 :: v_dual_mov_b32 v36, v35
	v_mad_nc_u64_u32 v[36:37], 0xfc2757d1, v6, v[36:37]
	s_delay_alu instid0(VALU_DEP_1) | instskip(NEXT) | instid1(VALU_DEP_1)
	v_dual_mov_b32 v38, v37 :: v_dual_cndmask_b32 v33, v36, v32, s3
	v_mad_nc_u64_u32 v[38:39], 0x4e441529, v6, v[38:39]
	s_delay_alu instid0(VALU_DEP_1) | instskip(NEXT) | instid1(VALU_DEP_1)
	v_mov_b32_e32 v40, v39
	v_mad_nc_u64_u32 v[40:41], 0xa2f9836e, v6, v[40:41]
	v_add_nc_u32_e32 v6, v27, v22
	s_delay_alu instid0(VALU_DEP_2) | instskip(NEXT) | instid1(VALU_DEP_2)
	v_dual_cndmask_b32 v27, v38, v34, s3 :: v_dual_cndmask_b32 v29, v40, v36, s3
	v_cmp_lt_u32_e64 s5, 31, v6
	s_delay_alu instid0(VALU_DEP_4) | instskip(NEXT) | instid1(VALU_DEP_2)
	v_cndmask_b32_e64 v31, v41, v38, s3
	v_cndmask_b32_e64 v22, 0, 0xffffffe0, s5
	s_delay_alu instid0(VALU_DEP_1) | instskip(SKIP_1) | instid1(VALU_DEP_4)
	v_add_nc_u32_e32 v6, v22, v6
	v_dual_cndmask_b32 v22, v34, v30, s3 :: v_dual_cndmask_b32 v30, v29, v27, s4
	v_cndmask_b32_e64 v29, v31, v29, s4
	s_delay_alu instid0(VALU_DEP_3) | instskip(NEXT) | instid1(VALU_DEP_3)
	v_dual_cndmask_b32 v27, v27, v33, s4 :: v_dual_sub_nc_u32 v31, 32, v6
	v_cndmask_b32_e64 v33, v33, v22, s4
	s_delay_alu instid0(VALU_DEP_2) | instskip(NEXT) | instid1(VALU_DEP_2)
	v_dual_cndmask_b32 v29, v29, v30, s5 :: v_dual_cndmask_b32 v30, v30, v27, s5
	v_cndmask_b32_e64 v27, v27, v33, s5
	s_delay_alu instid0(VALU_DEP_2) | instskip(SKIP_2) | instid1(VALU_DEP_4)
	v_alignbit_b32 v34, v29, v30, v31
	v_cndmask_b32_e64 v28, v32, v28, s3
	v_cmp_eq_u32_e64 s3, 0, v6
	v_alignbit_b32 v32, v30, v27, v31
	s_delay_alu instid0(VALU_DEP_2) | instskip(NEXT) | instid1(VALU_DEP_2)
	v_cndmask_b32_e64 v6, v34, v29, s3
	v_dual_cndmask_b32 v22, v22, v28, s4 :: v_dual_cndmask_b32 v28, v32, v30, s3
	s_delay_alu instid0(VALU_DEP_2) | instskip(NEXT) | instid1(VALU_DEP_2)
	v_bfe_u32 v29, v6, 29, 1
	v_cndmask_b32_e64 v22, v33, v22, s5
	s_delay_alu instid0(VALU_DEP_3) | instskip(NEXT) | instid1(VALU_DEP_3)
	v_alignbit_b32 v30, v6, v28, 30
	v_sub_nc_u32_e32 v32, 0, v29
	s_delay_alu instid0(VALU_DEP_3) | instskip(NEXT) | instid1(VALU_DEP_1)
	v_alignbit_b32 v31, v27, v22, v31
	v_dual_cndmask_b32 v27, v31, v27, s3 :: v_dual_bitop2_b32 v30, v30, v32 bitop3:0x14
	s_delay_alu instid0(VALU_DEP_1) | instskip(NEXT) | instid1(VALU_DEP_2)
	v_clz_i32_u32_e32 v31, v30
	v_alignbit_b32 v28, v28, v27, 30
	v_alignbit_b32 v22, v27, v22, 30
	s_delay_alu instid0(VALU_DEP_3) | instskip(NEXT) | instid1(VALU_DEP_3)
	v_min_u32_e32 v31, 32, v31
	v_xor_b32_e32 v27, v28, v32
	s_delay_alu instid0(VALU_DEP_3) | instskip(NEXT) | instid1(VALU_DEP_3)
	v_dual_lshrrev_b32 v32, 29, v6 :: v_dual_bitop2_b32 v22, v22, v32 bitop3:0x14
	v_dual_sub_nc_u32 v28, 31, v31 :: v_dual_lshlrev_b32 v33, 23, v31
	s_delay_alu instid0(VALU_DEP_1) | instskip(NEXT) | instid1(VALU_DEP_3)
	v_alignbit_b32 v30, v30, v27, v28
	v_alignbit_b32 v22, v27, v22, v28
	s_delay_alu instid0(VALU_DEP_4) | instskip(NEXT) | instid1(VALU_DEP_2)
	v_lshlrev_b32_e32 v27, 31, v32
	v_alignbit_b32 v28, v30, v22, 9
	s_delay_alu instid0(VALU_DEP_2) | instskip(SKIP_1) | instid1(VALU_DEP_3)
	v_dual_lshrrev_b32 v30, 9, v30 :: v_dual_bitop2_b32 v32, 0.5, v27 bitop3:0x54
	v_or_b32_e32 v27, 0x33000000, v27
	v_clz_i32_u32_e32 v34, v28
	s_delay_alu instid0(VALU_DEP_3) | instskip(NEXT) | instid1(VALU_DEP_2)
	v_sub_nc_u32_e32 v32, v32, v33
	v_min_u32_e32 v33, 32, v34
	s_delay_alu instid0(VALU_DEP_1) | instskip(NEXT) | instid1(VALU_DEP_1)
	v_add_lshl_u32 v31, v33, v31, 23
	v_dual_sub_nc_u32 v27, v27, v31 :: v_dual_bitop2_b32 v30, v30, v32 bitop3:0x54
	v_not_b32_e32 v32, v33
	s_delay_alu instid0(VALU_DEP_1) | instskip(NEXT) | instid1(VALU_DEP_1)
	v_alignbit_b32 v22, v28, v22, v32
	v_lshrrev_b32_e32 v22, 9, v22
	s_delay_alu instid0(VALU_DEP_4) | instskip(NEXT) | instid1(VALU_DEP_2)
	v_mul_f32_e32 v34, 0x3fc90fda, v30
	v_or_b32_e32 v22, v27, v22
	s_delay_alu instid0(VALU_DEP_2) | instskip(NEXT) | instid1(VALU_DEP_1)
	v_fma_f32 v28, 0x3fc90fda, v30, -v34
	v_fmac_f32_e32 v28, 0x33a22168, v30
	s_delay_alu instid0(VALU_DEP_1) | instskip(NEXT) | instid1(VALU_DEP_1)
	v_fmac_f32_e32 v28, 0x3fc90fda, v22
	v_dual_lshrrev_b32 v22, 30, v6 :: v_dual_add_f32 v6, v34, v28
	s_delay_alu instid0(VALU_DEP_1)
	v_add_nc_u32_e32 v22, v29, v22
	s_and_not1_saveexec_b32 s3, s28
	s_cbranch_execnz .LBB132_227
	s_branch .LBB132_228
.LBB132_226:                            ;   in Loop: Header=BB132_181 Depth=1
	s_and_not1_saveexec_b32 s3, s28
.LBB132_227:                            ;   in Loop: Header=BB132_181 Depth=1
	v_mul_f32_e64 v6, 0x3f22f983, |v23|
	s_delay_alu instid0(VALU_DEP_1) | instskip(NEXT) | instid1(VALU_DEP_1)
	v_rndne_f32_e32 v22, v6
	v_fma_f32 v6, 0xbfc90fda, v22, |v23|
	s_delay_alu instid0(VALU_DEP_1) | instskip(NEXT) | instid1(VALU_DEP_1)
	v_fmac_f32_e32 v6, 0xb3a22168, v22
	v_fmac_f32_e32 v6, 0xa7c234c4, v22
	v_cvt_i32_f32_e32 v22, v22
.LBB132_228:                            ;   in Loop: Header=BB132_181 Depth=1
	s_or_b32 exec_lo, exec_lo, s3
	v_dual_mul_f32 v27, v18, v18 :: v_dual_bitop2_b32 v29, 1, v19 bitop3:0x40
	s_delay_alu instid0(VALU_DEP_3) | instskip(NEXT) | instid1(VALU_DEP_2)
	v_dual_mul_f32 v28, v6, v6 :: v_dual_lshlrev_b32 v19, 30, v19
	v_fmaak_f32 v30, s23, v27, 0x3c0881c4
	v_fmaak_f32 v31, s24, v27, 0xbab64f3b
	s_delay_alu instid0(VALU_DEP_3) | instskip(SKIP_1) | instid1(VALU_DEP_4)
	v_fmaak_f32 v32, s23, v28, 0x3c0881c4
	v_cmp_eq_u32_e64 s3, 0, v29
	v_fmaak_f32 v30, v27, v30, 0xbe2aaa9d
	v_fmaak_f32 v33, s24, v28, 0xbab64f3b
	s_delay_alu instid0(VALU_DEP_4) | instskip(NEXT) | instid1(VALU_DEP_3)
	v_fmaak_f32 v32, v28, v32, 0xbe2aaa9d
	v_dual_fmaak_f32 v31, v27, v31, 0x3d2aabf7 :: v_dual_mul_f32 v30, v27, v30
	s_delay_alu instid0(VALU_DEP_2) | instskip(NEXT) | instid1(VALU_DEP_2)
	v_dual_fmaak_f32 v33, v28, v33, 0x3d2aabf7 :: v_dual_mul_f32 v32, v28, v32
	v_fmaak_f32 v31, v27, v31, 0xbf000004
	v_dual_lshlrev_b32 v22, 30, v22 :: v_dual_bitop2_b32 v34, 1, v22 bitop3:0x40
	s_delay_alu instid0(VALU_DEP_3) | instskip(NEXT) | instid1(VALU_DEP_3)
	v_dual_fmaak_f32 v33, v28, v33, 0xbf000004 :: v_dual_fmac_f32 v18, v18, v30
	v_fma_f32 v27, v27, v31, 1.0
	v_fmac_f32_e32 v6, v6, v32
	s_delay_alu instid0(VALU_DEP_4) | instskip(NEXT) | instid1(VALU_DEP_4)
	v_and_or_b32 v22, 0x80000000, v22, v26
	v_fma_f32 v28, v28, v33, 1.0
	s_delay_alu instid0(VALU_DEP_4) | instskip(SKIP_1) | instid1(VALU_DEP_1)
	v_cndmask_b32_e64 v18, -v18, v27, s3
	v_cmp_eq_u32_e64 s3, 0, v34
	v_cndmask_b32_e64 v6, v28, v6, s3
	s_delay_alu instid0(VALU_DEP_3) | instskip(SKIP_1) | instid1(VALU_DEP_3)
	v_bitop3_b32 v18, v19, v18, 0x80000000 bitop3:0x6c
	v_cmp_class_f32_e64 s3, v23, 0x1f8
	v_xor3_b32 v6, v22, v6, v23
	s_delay_alu instid0(VALU_DEP_2) | instskip(NEXT) | instid1(VALU_DEP_2)
	v_cndmask_b32_e64 v18, 0x7fc00000, v18, s3
	v_cndmask_b32_e64 v19, 0x7fc00000, v6, s3
.LBB132_229:                            ;   in Loop: Header=BB132_181 Depth=1
	s_or_b32 exec_lo, exec_lo, s27
                                        ; implicit-def: $vgpr22
.LBB132_230:                            ;   in Loop: Header=BB132_181 Depth=1
	s_and_not1_saveexec_b32 s4, s26
	s_cbranch_execz .LBB132_232
; %bb.231:                              ;   in Loop: Header=BB132_181 Depth=1
	v_mul_f32_e32 v6, 0x3fb8aa3b, v22
	v_cmp_ngt_f32_e64 s3, 0xc2ce8ed0, v22
	s_delay_alu instid0(VALU_DEP_2) | instskip(SKIP_1) | instid1(VALU_DEP_2)
	v_rndne_f32_e32 v18, v6
	v_fma_f32 v19, 0x3fb8aa3b, v22, -v6
	v_sub_f32_e32 v6, v6, v18
	s_delay_alu instid0(VALU_DEP_2) | instskip(SKIP_1) | instid1(VALU_DEP_2)
	v_fmac_f32_e32 v19, 0x32a5705f, v22
	v_cvt_i32_f32_e32 v18, v18
	v_dual_add_f32 v6, v6, v19 :: v_dual_mov_b32 v19, v23
	s_delay_alu instid0(VALU_DEP_1) | instskip(SKIP_1) | instid1(TRANS32_DEP_1)
	v_exp_f32_e32 v6, v6
	v_nop
	v_ldexp_f32 v6, v6, v18
	s_delay_alu instid0(VALU_DEP_1) | instskip(SKIP_1) | instid1(VALU_DEP_1)
	v_cndmask_b32_e64 v6, 0, v6, s3
	v_cmp_nlt_f32_e64 s3, 0x42b17218, v22
	v_cndmask_b32_e64 v18, 0x7f800000, v6, s3
.LBB132_232:                            ;   in Loop: Header=BB132_181 Depth=1
	s_or_b32 exec_lo, exec_lo, s4
	v_and_b32_e32 v26, 0x7fffffff, v25
                                        ; implicit-def: $vgpr23
	s_mov_b32 s4, exec_lo
	s_delay_alu instid0(VALU_DEP_1)
	v_cmpx_ne_u32_e32 0, v26
	s_xor_b32 s26, exec_lo, s4
	s_cbranch_execz .LBB132_275
; %bb.233:                              ;   in Loop: Header=BB132_181 Depth=1
	v_and_b32_e32 v6, 0x7fffffff, v24
                                        ; implicit-def: $vgpr23
	s_mov_b32 s4, exec_lo
	s_delay_alu instid0(VALU_DEP_1)
	v_cmpx_ne_u32_e32 0, v6
	s_xor_b32 s27, exec_lo, s4
	s_cbranch_execz .LBB132_264
; %bb.234:                              ;   in Loop: Header=BB132_181 Depth=1
                                        ; implicit-def: $vgpr23
	s_mov_b32 s4, exec_lo
	v_cmpx_gt_u32_e32 0x7f800000, v26
	s_xor_b32 s28, exec_lo, s4
	s_cbranch_execz .LBB132_257
; %bb.235:                              ;   in Loop: Header=BB132_181 Depth=1
	v_add_nc_u32_e32 v6, 0xbd4e8de8, v24
                                        ; implicit-def: $vgpr23
	s_mov_b32 s4, exec_lo
	s_delay_alu instid0(VALU_DEP_1)
	v_cmpx_lt_u32_e32 0x8e8e5c, v6
	s_xor_b32 s29, exec_lo, s4
	s_cbranch_execz .LBB132_246
; %bb.236:                              ;   in Loop: Header=BB132_181 Depth=1
	v_cmp_ngt_f32_e64 s30, 0x48000000, |v25|
                                        ; implicit-def: $vgpr23
                                        ; implicit-def: $vgpr22
	s_and_saveexec_b32 s3, s30
	s_delay_alu instid0(SALU_CYCLE_1)
	s_xor_b32 s31, exec_lo, s3
	s_cbranch_execz .LBB132_239
; %bb.237:                              ;   in Loop: Header=BB132_181 Depth=1
	v_and_or_b32 v6, v26, s22, 0x800000
	v_mov_b32_e32 v37, v7
	s_delay_alu instid0(VALU_DEP_2) | instskip(NEXT) | instid1(VALU_DEP_1)
	v_mul_u64_e32 v[22:23], s[18:19], v[6:7]
	v_dual_mov_b32 v29, v7 :: v_dual_mov_b32 v28, v23
	v_lshrrev_b32_e32 v23, 23, v26
	s_delay_alu instid0(VALU_DEP_2) | instskip(SKIP_1) | instid1(VALU_DEP_3)
	v_mad_nc_u64_u32 v[28:29], 0x3c439041, v6, v[28:29]
	v_mov_b32_e32 v31, v7
	v_add_nc_u32_e32 v23, 0xffffff88, v23
	s_delay_alu instid0(VALU_DEP_1) | instskip(NEXT) | instid1(VALU_DEP_4)
	v_cmp_lt_u32_e64 s3, 63, v23
	v_mov_b32_e32 v30, v29
	s_delay_alu instid0(VALU_DEP_2) | instskip(NEXT) | instid1(VALU_DEP_2)
	v_cndmask_b32_e64 v27, 0, 0xffffffc0, s3
	v_mad_nc_u64_u32 v[30:31], 0xdb629599, v6, v[30:31]
	s_delay_alu instid0(VALU_DEP_1) | instskip(NEXT) | instid1(VALU_DEP_2)
	v_dual_mov_b32 v33, v7 :: v_dual_mov_b32 v32, v31
	v_cndmask_b32_e64 v22, v30, v22, s3
	s_delay_alu instid0(VALU_DEP_2) | instskip(NEXT) | instid1(VALU_DEP_1)
	v_mad_nc_u64_u32 v[32:33], 0xf534ddc0, v6, v[32:33]
	v_dual_mov_b32 v35, v7 :: v_dual_mov_b32 v34, v33
	s_delay_alu instid0(VALU_DEP_1) | instskip(NEXT) | instid1(VALU_DEP_1)
	v_mad_nc_u64_u32 v[34:35], 0xfc2757d1, v6, v[34:35]
	v_dual_mov_b32 v36, v35 :: v_dual_cndmask_b32 v33, v34, v30, s3
	s_delay_alu instid0(VALU_DEP_1) | instskip(SKIP_1) | instid1(VALU_DEP_2)
	v_mad_nc_u64_u32 v[36:37], 0x4e441529, v6, v[36:37]
	v_add_nc_u32_e32 v23, v27, v23
	v_dual_mov_b32 v39, v7 :: v_dual_mov_b32 v38, v37
	s_delay_alu instid0(VALU_DEP_2) | instskip(NEXT) | instid1(VALU_DEP_2)
	v_cmp_lt_u32_e64 s4, 31, v23
	v_mad_nc_u64_u32 v[38:39], 0xa2f9836e, v6, v[38:39]
	s_delay_alu instid0(VALU_DEP_2) | instskip(NEXT) | instid1(VALU_DEP_1)
	v_cndmask_b32_e64 v27, 0, 0xffffffe0, s4
	v_dual_add_nc_u32 v6, v27, v23 :: v_dual_cndmask_b32 v27, v36, v32, s3
	s_delay_alu instid0(VALU_DEP_3) | instskip(NEXT) | instid1(VALU_DEP_2)
	v_cndmask_b32_e64 v29, v38, v34, s3
	v_cmp_lt_u32_e64 s5, 31, v6
	v_cndmask_b32_e64 v31, v39, v36, s3
	s_delay_alu instid0(VALU_DEP_2) | instskip(NEXT) | instid1(VALU_DEP_1)
	v_cndmask_b32_e64 v23, 0, 0xffffffe0, s5
	v_dual_add_nc_u32 v6, v23, v6 :: v_dual_cndmask_b32 v23, v32, v28, s3
	s_delay_alu instid0(VALU_DEP_3) | instskip(NEXT) | instid1(VALU_DEP_2)
	v_dual_cndmask_b32 v28, v29, v27, s4 :: v_dual_cndmask_b32 v29, v31, v29, s4
	v_dual_cndmask_b32 v27, v27, v33, s4 :: v_dual_sub_nc_u32 v31, 32, v6
	s_delay_alu instid0(VALU_DEP_3) | instskip(SKIP_1) | instid1(VALU_DEP_3)
	v_cndmask_b32_e64 v32, v33, v23, s4
	v_cmp_eq_u32_e64 s3, 0, v6
	v_dual_cndmask_b32 v29, v29, v28, s5 :: v_dual_cndmask_b32 v28, v28, v27, s5
	s_delay_alu instid0(VALU_DEP_1) | instskip(NEXT) | instid1(VALU_DEP_1)
	v_alignbit_b32 v33, v29, v28, v31
	v_dual_cndmask_b32 v27, v27, v32, s5 :: v_dual_cndmask_b32 v6, v33, v29, s3
	s_delay_alu instid0(VALU_DEP_1) | instskip(NEXT) | instid1(VALU_DEP_1)
	v_alignbit_b32 v30, v28, v27, v31
	v_dual_cndmask_b32 v22, v23, v22, s4 :: v_dual_cndmask_b32 v23, v30, v28, s3
	s_delay_alu instid0(VALU_DEP_3) | instskip(NEXT) | instid1(VALU_DEP_2)
	v_bfe_u32 v28, v6, 29, 1
	v_cndmask_b32_e64 v22, v32, v22, s5
	s_delay_alu instid0(VALU_DEP_3) | instskip(NEXT) | instid1(VALU_DEP_3)
	v_alignbit_b32 v29, v6, v23, 30
	v_sub_nc_u32_e32 v30, 0, v28
	s_delay_alu instid0(VALU_DEP_3) | instskip(NEXT) | instid1(VALU_DEP_1)
	v_alignbit_b32 v31, v27, v22, v31
	v_dual_cndmask_b32 v27, v31, v27, s3 :: v_dual_bitop2_b32 v29, v29, v30 bitop3:0x14
	s_delay_alu instid0(VALU_DEP_1) | instskip(NEXT) | instid1(VALU_DEP_2)
	v_clz_i32_u32_e32 v31, v29
	v_alignbit_b32 v23, v23, v27, 30
	v_alignbit_b32 v22, v27, v22, 30
	s_delay_alu instid0(VALU_DEP_3) | instskip(NEXT) | instid1(VALU_DEP_3)
	v_min_u32_e32 v31, 32, v31
	v_xor_b32_e32 v23, v23, v30
	s_delay_alu instid0(VALU_DEP_3) | instskip(NEXT) | instid1(VALU_DEP_3)
	v_xor_b32_e32 v22, v22, v30
	v_dual_lshrrev_b32 v30, 29, v6 :: v_dual_lshlrev_b32 v32, 23, v31
	v_sub_nc_u32_e32 v27, 31, v31
	s_delay_alu instid0(VALU_DEP_1) | instskip(NEXT) | instid1(VALU_DEP_4)
	v_alignbit_b32 v29, v29, v23, v27
	v_alignbit_b32 v22, v23, v22, v27
	s_delay_alu instid0(VALU_DEP_4) | instskip(NEXT) | instid1(VALU_DEP_2)
	v_lshlrev_b32_e32 v23, 31, v30
	v_alignbit_b32 v27, v29, v22, 9
	s_delay_alu instid0(VALU_DEP_2) | instskip(SKIP_1) | instid1(VALU_DEP_3)
	v_dual_lshrrev_b32 v29, 9, v29 :: v_dual_bitop2_b32 v30, 0.5, v23 bitop3:0x54
	v_or_b32_e32 v23, 0x33000000, v23
	v_clz_i32_u32_e32 v33, v27
	s_delay_alu instid0(VALU_DEP_3) | instskip(NEXT) | instid1(VALU_DEP_2)
	v_sub_nc_u32_e32 v30, v30, v32
	v_min_u32_e32 v32, 32, v33
	s_delay_alu instid0(VALU_DEP_1) | instskip(NEXT) | instid1(VALU_DEP_3)
	v_add_lshl_u32 v31, v32, v31, 23
	v_or_b32_e32 v29, v29, v30
	v_not_b32_e32 v30, v32
	s_delay_alu instid0(VALU_DEP_3) | instskip(NEXT) | instid1(VALU_DEP_3)
	v_sub_nc_u32_e32 v23, v23, v31
	v_mul_f32_e32 v33, 0x3fc90fda, v29
	s_delay_alu instid0(VALU_DEP_3) | instskip(NEXT) | instid1(VALU_DEP_2)
	v_alignbit_b32 v22, v27, v22, v30
	v_fma_f32 v27, 0x3fc90fda, v29, -v33
	s_delay_alu instid0(VALU_DEP_1) | instskip(NEXT) | instid1(VALU_DEP_1)
	v_dual_fmac_f32 v27, 0x33a22168, v29 :: v_dual_lshrrev_b32 v22, 9, v22
	v_or_b32_e32 v22, v23, v22
	s_delay_alu instid0(VALU_DEP_1) | instskip(NEXT) | instid1(VALU_DEP_1)
	v_fmac_f32_e32 v27, 0x3fc90fda, v22
	v_dual_lshrrev_b32 v6, 30, v6 :: v_dual_add_f32 v22, v33, v27
	s_delay_alu instid0(VALU_DEP_1)
	v_add_nc_u32_e32 v23, v28, v6
	s_and_not1_saveexec_b32 s3, s31
	s_branch .LBB132_240
.LBB132_238:                            ;   in Loop: Header=BB132_181 Depth=1
	s_or_b32 exec_lo, exec_lo, s29
                                        ; implicit-def: $vgpr22
                                        ; implicit-def: $vgpr6
	s_and_not1_saveexec_b32 s4, s28
	s_cbranch_execnz .LBB132_213
	s_branch .LBB132_218
.LBB132_239:                            ;   in Loop: Header=BB132_181 Depth=1
	s_and_not1_saveexec_b32 s3, s31
.LBB132_240:                            ;   in Loop: Header=BB132_181 Depth=1
	v_mul_f32_e64 v6, 0x3f22f983, |v25|
	s_delay_alu instid0(VALU_DEP_1) | instskip(NEXT) | instid1(VALU_DEP_1)
	v_rndne_f32_e32 v6, v6
	v_fma_f32 v22, 0xbfc90fda, v6, |v25|
	v_cvt_i32_f32_e32 v23, v6
	s_delay_alu instid0(VALU_DEP_2) | instskip(NEXT) | instid1(VALU_DEP_1)
	v_fmac_f32_e32 v22, 0xb3a22168, v6
	v_fmac_f32_e32 v22, 0xa7c234c4, v6
; %bb.241:                              ;   in Loop: Header=BB132_181 Depth=1
	s_or_b32 exec_lo, exec_lo, s3
                                        ; implicit-def: $vgpr27
                                        ; implicit-def: $vgpr6
	s_and_saveexec_b32 s3, s30
	s_delay_alu instid0(SALU_CYCLE_1)
	s_xor_b32 s30, exec_lo, s3
	s_cbranch_execz .LBB132_243
; %bb.242:                              ;   in Loop: Header=BB132_181 Depth=1
	v_and_or_b32 v6, v26, s22, 0x800000
	v_dual_lshrrev_b32 v27, 23, v26 :: v_dual_mov_b32 v39, v7
	v_mov_b32_e32 v41, v7
	s_delay_alu instid0(VALU_DEP_3) | instskip(SKIP_1) | instid1(VALU_DEP_4)
	v_mul_u64_e32 v[28:29], s[18:19], v[6:7]
	v_mov_b32_e32 v31, v7
	v_add_nc_u32_e32 v27, 0xffffff88, v27
	s_delay_alu instid0(VALU_DEP_1) | instskip(NEXT) | instid1(VALU_DEP_4)
	v_cmp_lt_u32_e64 s3, 63, v27
	v_mov_b32_e32 v30, v29
	s_delay_alu instid0(VALU_DEP_2) | instskip(NEXT) | instid1(VALU_DEP_2)
	v_cndmask_b32_e64 v29, 0, 0xffffffc0, s3
	v_mad_nc_u64_u32 v[30:31], 0x3c439041, v6, v[30:31]
	s_delay_alu instid0(VALU_DEP_2) | instskip(NEXT) | instid1(VALU_DEP_1)
	v_dual_mov_b32 v33, v7 :: v_dual_add_nc_u32 v27, v29, v27
	v_cmp_lt_u32_e64 s4, 31, v27
	s_delay_alu instid0(VALU_DEP_3) | instskip(NEXT) | instid1(VALU_DEP_2)
	v_mov_b32_e32 v32, v31
	v_cndmask_b32_e64 v29, 0, 0xffffffe0, s4
	s_delay_alu instid0(VALU_DEP_2) | instskip(NEXT) | instid1(VALU_DEP_1)
	v_mad_nc_u64_u32 v[32:33], 0xdb629599, v6, v[32:33]
	v_dual_mov_b32 v35, v7 :: v_dual_mov_b32 v34, v33
	s_delay_alu instid0(VALU_DEP_2) | instskip(NEXT) | instid1(VALU_DEP_2)
	v_cndmask_b32_e64 v28, v32, v28, s3
	v_mad_nc_u64_u32 v[34:35], 0xf534ddc0, v6, v[34:35]
	s_delay_alu instid0(VALU_DEP_1) | instskip(NEXT) | instid1(VALU_DEP_1)
	v_dual_mov_b32 v37, v7 :: v_dual_mov_b32 v36, v35
	v_mad_nc_u64_u32 v[36:37], 0xfc2757d1, v6, v[36:37]
	s_delay_alu instid0(VALU_DEP_1) | instskip(NEXT) | instid1(VALU_DEP_1)
	v_dual_mov_b32 v38, v37 :: v_dual_cndmask_b32 v35, v36, v32, s3
	v_mad_nc_u64_u32 v[38:39], 0x4e441529, v6, v[38:39]
	s_delay_alu instid0(VALU_DEP_1) | instskip(NEXT) | instid1(VALU_DEP_1)
	v_mov_b32_e32 v40, v39
	v_mad_nc_u64_u32 v[40:41], 0xa2f9836e, v6, v[40:41]
	s_delay_alu instid0(VALU_DEP_3) | instskip(NEXT) | instid1(VALU_DEP_1)
	v_dual_add_nc_u32 v6, v29, v27 :: v_dual_cndmask_b32 v29, v38, v34, s3
	v_cmp_lt_u32_e64 s5, 31, v6
	s_delay_alu instid0(VALU_DEP_1) | instskip(NEXT) | instid1(VALU_DEP_4)
	v_cndmask_b32_e64 v27, 0, 0xffffffe0, s5
	v_dual_cndmask_b32 v31, v40, v36, s3 :: v_dual_cndmask_b32 v33, v41, v38, s3
	s_delay_alu instid0(VALU_DEP_2) | instskip(NEXT) | instid1(VALU_DEP_2)
	v_add_nc_u32_e32 v6, v27, v6
	v_dual_cndmask_b32 v27, v34, v30, s3 :: v_dual_cndmask_b32 v30, v31, v29, s4
	s_delay_alu instid0(VALU_DEP_3) | instskip(NEXT) | instid1(VALU_DEP_3)
	v_cndmask_b32_e64 v31, v33, v31, s4
	v_dual_cndmask_b32 v29, v29, v35, s4 :: v_dual_sub_nc_u32 v33, 32, v6
	s_delay_alu instid0(VALU_DEP_3) | instskip(SKIP_1) | instid1(VALU_DEP_3)
	v_cndmask_b32_e64 v34, v35, v27, s4
	v_cmp_eq_u32_e64 s3, 0, v6
	v_dual_cndmask_b32 v31, v31, v30, s5 :: v_dual_cndmask_b32 v30, v30, v29, s5
	s_delay_alu instid0(VALU_DEP_1) | instskip(NEXT) | instid1(VALU_DEP_1)
	v_alignbit_b32 v35, v31, v30, v33
	v_dual_cndmask_b32 v29, v29, v34, s5 :: v_dual_cndmask_b32 v6, v35, v31, s3
	s_delay_alu instid0(VALU_DEP_1) | instskip(NEXT) | instid1(VALU_DEP_1)
	v_alignbit_b32 v32, v30, v29, v33
	v_dual_cndmask_b32 v27, v27, v28, s4 :: v_dual_cndmask_b32 v28, v32, v30, s3
	s_delay_alu instid0(VALU_DEP_3) | instskip(NEXT) | instid1(VALU_DEP_2)
	v_bfe_u32 v30, v6, 29, 1
	v_cndmask_b32_e64 v27, v34, v27, s5
	s_delay_alu instid0(VALU_DEP_3) | instskip(NEXT) | instid1(VALU_DEP_3)
	v_alignbit_b32 v31, v6, v28, 30
	v_sub_nc_u32_e32 v32, 0, v30
	s_delay_alu instid0(VALU_DEP_3) | instskip(NEXT) | instid1(VALU_DEP_1)
	v_alignbit_b32 v33, v29, v27, v33
	v_dual_cndmask_b32 v29, v33, v29, s3 :: v_dual_bitop2_b32 v31, v31, v32 bitop3:0x14
	s_delay_alu instid0(VALU_DEP_1) | instskip(NEXT) | instid1(VALU_DEP_2)
	v_clz_i32_u32_e32 v33, v31
	v_alignbit_b32 v28, v28, v29, 30
	v_alignbit_b32 v27, v29, v27, 30
	s_delay_alu instid0(VALU_DEP_3) | instskip(NEXT) | instid1(VALU_DEP_3)
	v_min_u32_e32 v33, 32, v33
	v_xor_b32_e32 v28, v28, v32
	s_delay_alu instid0(VALU_DEP_3) | instskip(NEXT) | instid1(VALU_DEP_3)
	v_dual_lshrrev_b32 v32, 29, v6 :: v_dual_bitop2_b32 v27, v27, v32 bitop3:0x14
	v_dual_sub_nc_u32 v29, 31, v33 :: v_dual_lshlrev_b32 v34, 23, v33
	s_delay_alu instid0(VALU_DEP_1) | instskip(NEXT) | instid1(VALU_DEP_3)
	v_alignbit_b32 v31, v31, v28, v29
	v_alignbit_b32 v27, v28, v27, v29
	s_delay_alu instid0(VALU_DEP_4) | instskip(NEXT) | instid1(VALU_DEP_2)
	v_lshlrev_b32_e32 v28, 31, v32
	v_alignbit_b32 v29, v31, v27, 9
	s_delay_alu instid0(VALU_DEP_2) | instskip(SKIP_1) | instid1(VALU_DEP_3)
	v_dual_lshrrev_b32 v31, 9, v31 :: v_dual_bitop2_b32 v32, 0.5, v28 bitop3:0x54
	v_or_b32_e32 v28, 0x33000000, v28
	v_clz_i32_u32_e32 v35, v29
	s_delay_alu instid0(VALU_DEP_3) | instskip(NEXT) | instid1(VALU_DEP_2)
	v_sub_nc_u32_e32 v32, v32, v34
	v_min_u32_e32 v34, 32, v35
	s_delay_alu instid0(VALU_DEP_1) | instskip(NEXT) | instid1(VALU_DEP_3)
	v_add_lshl_u32 v33, v34, v33, 23
	v_or_b32_e32 v31, v31, v32
	v_not_b32_e32 v32, v34
	s_delay_alu instid0(VALU_DEP_2) | instskip(NEXT) | instid1(VALU_DEP_2)
	v_dual_mul_f32 v35, 0x3fc90fda, v31 :: v_dual_sub_nc_u32 v28, v28, v33
	v_alignbit_b32 v27, v29, v27, v32
	s_delay_alu instid0(VALU_DEP_2) | instskip(NEXT) | instid1(VALU_DEP_2)
	v_fma_f32 v29, 0x3fc90fda, v31, -v35
	v_lshrrev_b32_e32 v27, 9, v27
	s_delay_alu instid0(VALU_DEP_2) | instskip(NEXT) | instid1(VALU_DEP_2)
	v_fmac_f32_e32 v29, 0x33a22168, v31
	v_or_b32_e32 v27, v28, v27
	s_delay_alu instid0(VALU_DEP_1) | instskip(NEXT) | instid1(VALU_DEP_1)
	v_fmac_f32_e32 v29, 0x3fc90fda, v27
	v_dual_add_f32 v6, v35, v29 :: v_dual_lshrrev_b32 v27, 30, v6
	s_delay_alu instid0(VALU_DEP_1)
	v_add_nc_u32_e32 v27, v30, v27
	s_and_not1_saveexec_b32 s3, s30
	s_cbranch_execnz .LBB132_244
	s_branch .LBB132_245
.LBB132_243:                            ;   in Loop: Header=BB132_181 Depth=1
	s_and_not1_saveexec_b32 s3, s30
.LBB132_244:                            ;   in Loop: Header=BB132_181 Depth=1
	v_mul_f32_e64 v6, 0x3f22f983, |v25|
	s_delay_alu instid0(VALU_DEP_1) | instskip(NEXT) | instid1(VALU_DEP_1)
	v_rndne_f32_e32 v27, v6
	v_fma_f32 v6, 0xbfc90fda, v27, |v25|
	s_delay_alu instid0(VALU_DEP_1) | instskip(NEXT) | instid1(VALU_DEP_1)
	v_fmac_f32_e32 v6, 0xb3a22168, v27
	v_fmac_f32_e32 v6, 0xa7c234c4, v27
	v_cvt_i32_f32_e32 v27, v27
.LBB132_245:                            ;   in Loop: Header=BB132_181 Depth=1
	s_or_b32 exec_lo, exec_lo, s3
	v_dual_mul_f32 v28, 0x3fb8aa3b, v24 :: v_dual_mul_f32 v29, v22, v22
	s_delay_alu instid0(VALU_DEP_3) | instskip(SKIP_1) | instid1(VALU_DEP_3)
	v_dual_mul_f32 v31, v6, v6 :: v_dual_bitop2_b32 v30, 1, v23 bitop3:0x40
	v_cmp_nlt_f32_e64 s4, 0x42b17218, v24
	v_rndne_f32_e32 v32, v28
	v_fma_f32 v33, 0x3fb8aa3b, v24, -v28
	v_fmaak_f32 v35, s24, v29, 0xbab64f3b
	v_fmaak_f32 v34, s23, v29, 0x3c0881c4
	;; [unrolled: 1-line block ×3, first 2 shown]
	v_sub_f32_e32 v28, v28, v32
	v_fmac_f32_e32 v33, 0x32a5705f, v24
	v_fmaak_f32 v37, s24, v31, 0xbab64f3b
	v_cvt_i32_f32_e32 v32, v32
	v_fmaak_f32 v36, v31, v36, 0xbe2aaa9d
	s_delay_alu instid0(VALU_DEP_4) | instskip(SKIP_1) | instid1(VALU_DEP_3)
	v_dual_fmaak_f32 v35, v29, v35, 0x3d2aabf7 :: v_dual_add_f32 v28, v28, v33
	v_cmp_eq_u32_e64 s3, 0, v30
	v_dual_mul_f32 v36, v31, v36 :: v_dual_lshlrev_b32 v23, 30, v23
	s_delay_alu instid0(VALU_DEP_3) | instskip(NEXT) | instid1(VALU_DEP_4)
	v_fmaak_f32 v35, v29, v35, 0xbf000004
	v_exp_f32_e32 v28, v28
	s_delay_alu instid0(VALU_DEP_2) | instskip(NEXT) | instid1(TRANS32_DEP_1)
	v_fmac_f32_e32 v6, v6, v36
	v_ldexp_f32 v28, v28, v32
	v_dual_lshlrev_b32 v27, 30, v27 :: v_dual_bitop2_b32 v32, 1, v27 bitop3:0x40
	v_fmaak_f32 v34, v29, v34, 0xbe2aaa9d
	s_delay_alu instid0(VALU_DEP_2) | instskip(NEXT) | instid1(VALU_DEP_2)
	v_and_or_b32 v26, 0x80000000, v27, v26
	v_dual_mul_f32 v34, v29, v34 :: v_dual_fmaak_f32 v33, v31, v37, 0x3d2aabf7
	v_fma_f32 v29, v29, v35, 1.0
	s_delay_alu instid0(VALU_DEP_2) | instskip(NEXT) | instid1(VALU_DEP_1)
	v_dual_fmac_f32 v22, v22, v34 :: v_dual_fmaak_f32 v33, v31, v33, 0xbf000004
	v_cndmask_b32_e64 v22, -v22, v29, s3
	s_delay_alu instid0(VALU_DEP_2) | instskip(SKIP_1) | instid1(VALU_DEP_3)
	v_fma_f32 v31, v31, v33, 1.0
	v_cmp_eq_u32_e64 s3, 0, v32
	v_bitop3_b32 v22, v23, v22, 0x80000000 bitop3:0x6c
	s_delay_alu instid0(VALU_DEP_2) | instskip(SKIP_1) | instid1(VALU_DEP_1)
	v_cndmask_b32_e64 v6, v31, v6, s3
	v_cmp_ngt_f32_e64 s3, 0xc2ce8ed0, v24
	v_cndmask_b32_e64 v27, 0, v28, s3
	v_cmp_class_f32_e64 s3, v25, 0x1f8
	s_delay_alu instid0(VALU_DEP_4) | instskip(NEXT) | instid1(VALU_DEP_3)
	v_xor3_b32 v6, v26, v6, v25
                                        ; implicit-def: $vgpr25
                                        ; implicit-def: $vgpr26
	v_cndmask_b32_e64 v23, 0x7f800000, v27, s4
	s_delay_alu instid0(VALU_DEP_3) | instskip(NEXT) | instid1(VALU_DEP_3)
	v_cndmask_b32_e64 v22, 0x7fc00000, v22, s3
	v_cndmask_b32_e64 v6, 0x7fc00000, v6, s3
	s_delay_alu instid0(VALU_DEP_2) | instskip(NEXT) | instid1(VALU_DEP_2)
	v_mul_f32_e32 v22, v23, v22
	v_mul_f32_e32 v23, v23, v6
.LBB132_246:                            ;   in Loop: Header=BB132_181 Depth=1
	s_and_not1_saveexec_b32 s29, s29
	s_cbranch_execz .LBB132_256
; %bb.247:                              ;   in Loop: Header=BB132_181 Depth=1
	v_cmp_ngt_f32_e64 s30, 0x48000000, |v25|
                                        ; implicit-def: $vgpr23
                                        ; implicit-def: $vgpr22
	s_and_saveexec_b32 s3, s30
	s_delay_alu instid0(SALU_CYCLE_1)
	s_xor_b32 s31, exec_lo, s3
	s_cbranch_execz .LBB132_249
; %bb.248:                              ;   in Loop: Header=BB132_181 Depth=1
	v_and_or_b32 v6, v26, s22, 0x800000
	v_mov_b32_e32 v37, v7
	s_delay_alu instid0(VALU_DEP_2) | instskip(NEXT) | instid1(VALU_DEP_1)
	v_mul_u64_e32 v[22:23], s[18:19], v[6:7]
	v_dual_mov_b32 v29, v7 :: v_dual_mov_b32 v28, v23
	v_lshrrev_b32_e32 v23, 23, v26
	s_delay_alu instid0(VALU_DEP_2) | instskip(SKIP_1) | instid1(VALU_DEP_3)
	v_mad_nc_u64_u32 v[28:29], 0x3c439041, v6, v[28:29]
	v_mov_b32_e32 v31, v7
	v_add_nc_u32_e32 v23, 0xffffff88, v23
	s_delay_alu instid0(VALU_DEP_1) | instskip(NEXT) | instid1(VALU_DEP_4)
	v_cmp_lt_u32_e64 s3, 63, v23
	v_mov_b32_e32 v30, v29
	s_delay_alu instid0(VALU_DEP_2) | instskip(NEXT) | instid1(VALU_DEP_2)
	v_cndmask_b32_e64 v27, 0, 0xffffffc0, s3
	v_mad_nc_u64_u32 v[30:31], 0xdb629599, v6, v[30:31]
	s_delay_alu instid0(VALU_DEP_1) | instskip(NEXT) | instid1(VALU_DEP_2)
	v_dual_mov_b32 v33, v7 :: v_dual_mov_b32 v32, v31
	v_cndmask_b32_e64 v22, v30, v22, s3
	s_delay_alu instid0(VALU_DEP_2) | instskip(NEXT) | instid1(VALU_DEP_1)
	v_mad_nc_u64_u32 v[32:33], 0xf534ddc0, v6, v[32:33]
	v_dual_mov_b32 v35, v7 :: v_dual_mov_b32 v34, v33
	s_delay_alu instid0(VALU_DEP_1) | instskip(NEXT) | instid1(VALU_DEP_1)
	v_mad_nc_u64_u32 v[34:35], 0xfc2757d1, v6, v[34:35]
	v_dual_mov_b32 v36, v35 :: v_dual_cndmask_b32 v33, v34, v30, s3
	s_delay_alu instid0(VALU_DEP_1) | instskip(SKIP_1) | instid1(VALU_DEP_2)
	v_mad_nc_u64_u32 v[36:37], 0x4e441529, v6, v[36:37]
	v_add_nc_u32_e32 v23, v27, v23
	v_dual_mov_b32 v39, v7 :: v_dual_mov_b32 v38, v37
	s_delay_alu instid0(VALU_DEP_2) | instskip(NEXT) | instid1(VALU_DEP_2)
	v_cmp_lt_u32_e64 s4, 31, v23
	v_mad_nc_u64_u32 v[38:39], 0xa2f9836e, v6, v[38:39]
	s_delay_alu instid0(VALU_DEP_2) | instskip(NEXT) | instid1(VALU_DEP_1)
	v_cndmask_b32_e64 v27, 0, 0xffffffe0, s4
	v_dual_add_nc_u32 v6, v27, v23 :: v_dual_cndmask_b32 v27, v36, v32, s3
	s_delay_alu instid0(VALU_DEP_3) | instskip(NEXT) | instid1(VALU_DEP_2)
	v_cndmask_b32_e64 v29, v38, v34, s3
	v_cmp_lt_u32_e64 s5, 31, v6
	v_cndmask_b32_e64 v31, v39, v36, s3
	s_delay_alu instid0(VALU_DEP_2) | instskip(NEXT) | instid1(VALU_DEP_1)
	v_cndmask_b32_e64 v23, 0, 0xffffffe0, s5
	v_dual_add_nc_u32 v6, v23, v6 :: v_dual_cndmask_b32 v23, v32, v28, s3
	s_delay_alu instid0(VALU_DEP_3) | instskip(NEXT) | instid1(VALU_DEP_2)
	v_dual_cndmask_b32 v28, v29, v27, s4 :: v_dual_cndmask_b32 v29, v31, v29, s4
	v_dual_cndmask_b32 v27, v27, v33, s4 :: v_dual_sub_nc_u32 v31, 32, v6
	s_delay_alu instid0(VALU_DEP_3) | instskip(SKIP_1) | instid1(VALU_DEP_3)
	v_cndmask_b32_e64 v32, v33, v23, s4
	v_cmp_eq_u32_e64 s3, 0, v6
	v_dual_cndmask_b32 v29, v29, v28, s5 :: v_dual_cndmask_b32 v28, v28, v27, s5
	s_delay_alu instid0(VALU_DEP_1) | instskip(NEXT) | instid1(VALU_DEP_1)
	v_alignbit_b32 v33, v29, v28, v31
	v_dual_cndmask_b32 v27, v27, v32, s5 :: v_dual_cndmask_b32 v6, v33, v29, s3
	s_delay_alu instid0(VALU_DEP_1) | instskip(NEXT) | instid1(VALU_DEP_1)
	v_alignbit_b32 v30, v28, v27, v31
	v_dual_cndmask_b32 v22, v23, v22, s4 :: v_dual_cndmask_b32 v23, v30, v28, s3
	s_delay_alu instid0(VALU_DEP_3) | instskip(NEXT) | instid1(VALU_DEP_2)
	v_bfe_u32 v28, v6, 29, 1
	v_cndmask_b32_e64 v22, v32, v22, s5
	s_delay_alu instid0(VALU_DEP_3) | instskip(NEXT) | instid1(VALU_DEP_3)
	v_alignbit_b32 v29, v6, v23, 30
	v_sub_nc_u32_e32 v30, 0, v28
	s_delay_alu instid0(VALU_DEP_3) | instskip(NEXT) | instid1(VALU_DEP_1)
	v_alignbit_b32 v31, v27, v22, v31
	v_dual_cndmask_b32 v27, v31, v27, s3 :: v_dual_bitop2_b32 v29, v29, v30 bitop3:0x14
	s_delay_alu instid0(VALU_DEP_1) | instskip(NEXT) | instid1(VALU_DEP_2)
	v_clz_i32_u32_e32 v31, v29
	v_alignbit_b32 v23, v23, v27, 30
	v_alignbit_b32 v22, v27, v22, 30
	s_delay_alu instid0(VALU_DEP_3) | instskip(NEXT) | instid1(VALU_DEP_3)
	v_min_u32_e32 v31, 32, v31
	v_xor_b32_e32 v23, v23, v30
	s_delay_alu instid0(VALU_DEP_3) | instskip(NEXT) | instid1(VALU_DEP_3)
	v_xor_b32_e32 v22, v22, v30
	v_dual_lshrrev_b32 v30, 29, v6 :: v_dual_lshlrev_b32 v32, 23, v31
	v_sub_nc_u32_e32 v27, 31, v31
	s_delay_alu instid0(VALU_DEP_1) | instskip(NEXT) | instid1(VALU_DEP_4)
	v_alignbit_b32 v29, v29, v23, v27
	v_alignbit_b32 v22, v23, v22, v27
	s_delay_alu instid0(VALU_DEP_4) | instskip(NEXT) | instid1(VALU_DEP_2)
	v_lshlrev_b32_e32 v23, 31, v30
	v_alignbit_b32 v27, v29, v22, 9
	s_delay_alu instid0(VALU_DEP_2) | instskip(SKIP_1) | instid1(VALU_DEP_3)
	v_dual_lshrrev_b32 v29, 9, v29 :: v_dual_bitop2_b32 v30, 0.5, v23 bitop3:0x54
	v_or_b32_e32 v23, 0x33000000, v23
	v_clz_i32_u32_e32 v33, v27
	s_delay_alu instid0(VALU_DEP_3) | instskip(NEXT) | instid1(VALU_DEP_2)
	v_sub_nc_u32_e32 v30, v30, v32
	v_min_u32_e32 v32, 32, v33
	s_delay_alu instid0(VALU_DEP_1) | instskip(NEXT) | instid1(VALU_DEP_3)
	v_add_lshl_u32 v31, v32, v31, 23
	v_or_b32_e32 v29, v29, v30
	v_not_b32_e32 v30, v32
	s_delay_alu instid0(VALU_DEP_3) | instskip(NEXT) | instid1(VALU_DEP_3)
	v_sub_nc_u32_e32 v23, v23, v31
	v_mul_f32_e32 v33, 0x3fc90fda, v29
	s_delay_alu instid0(VALU_DEP_3) | instskip(NEXT) | instid1(VALU_DEP_2)
	v_alignbit_b32 v22, v27, v22, v30
	v_fma_f32 v27, 0x3fc90fda, v29, -v33
	s_delay_alu instid0(VALU_DEP_1) | instskip(NEXT) | instid1(VALU_DEP_1)
	v_dual_fmac_f32 v27, 0x33a22168, v29 :: v_dual_lshrrev_b32 v22, 9, v22
	v_or_b32_e32 v22, v23, v22
	s_delay_alu instid0(VALU_DEP_1) | instskip(NEXT) | instid1(VALU_DEP_1)
	v_fmac_f32_e32 v27, 0x3fc90fda, v22
	v_dual_lshrrev_b32 v6, 30, v6 :: v_dual_add_f32 v22, v33, v27
	s_delay_alu instid0(VALU_DEP_1)
	v_add_nc_u32_e32 v23, v28, v6
	s_and_not1_saveexec_b32 s3, s31
	s_branch .LBB132_250
.LBB132_249:                            ;   in Loop: Header=BB132_181 Depth=1
	s_and_not1_saveexec_b32 s3, s31
.LBB132_250:                            ;   in Loop: Header=BB132_181 Depth=1
	v_mul_f32_e64 v6, 0x3f22f983, |v25|
	s_delay_alu instid0(VALU_DEP_1) | instskip(NEXT) | instid1(VALU_DEP_1)
	v_rndne_f32_e32 v6, v6
	v_fma_f32 v22, 0xbfc90fda, v6, |v25|
	v_cvt_i32_f32_e32 v23, v6
	s_delay_alu instid0(VALU_DEP_2) | instskip(NEXT) | instid1(VALU_DEP_1)
	v_fmac_f32_e32 v22, 0xb3a22168, v6
	v_fmac_f32_e32 v22, 0xa7c234c4, v6
; %bb.251:                              ;   in Loop: Header=BB132_181 Depth=1
	s_or_b32 exec_lo, exec_lo, s3
                                        ; implicit-def: $vgpr27
                                        ; implicit-def: $vgpr6
	s_and_saveexec_b32 s3, s30
	s_delay_alu instid0(SALU_CYCLE_1)
	s_xor_b32 s30, exec_lo, s3
	s_cbranch_execz .LBB132_253
; %bb.252:                              ;   in Loop: Header=BB132_181 Depth=1
	v_and_or_b32 v6, v26, s22, 0x800000
	v_dual_lshrrev_b32 v27, 23, v26 :: v_dual_mov_b32 v39, v7
	v_mov_b32_e32 v41, v7
	s_delay_alu instid0(VALU_DEP_3) | instskip(SKIP_1) | instid1(VALU_DEP_4)
	v_mul_u64_e32 v[28:29], s[18:19], v[6:7]
	v_mov_b32_e32 v31, v7
	v_add_nc_u32_e32 v27, 0xffffff88, v27
	s_delay_alu instid0(VALU_DEP_1) | instskip(NEXT) | instid1(VALU_DEP_4)
	v_cmp_lt_u32_e64 s3, 63, v27
	v_mov_b32_e32 v30, v29
	s_delay_alu instid0(VALU_DEP_2) | instskip(NEXT) | instid1(VALU_DEP_2)
	v_cndmask_b32_e64 v29, 0, 0xffffffc0, s3
	v_mad_nc_u64_u32 v[30:31], 0x3c439041, v6, v[30:31]
	s_delay_alu instid0(VALU_DEP_2) | instskip(NEXT) | instid1(VALU_DEP_1)
	v_dual_mov_b32 v33, v7 :: v_dual_add_nc_u32 v27, v29, v27
	v_cmp_lt_u32_e64 s4, 31, v27
	s_delay_alu instid0(VALU_DEP_3) | instskip(NEXT) | instid1(VALU_DEP_2)
	v_mov_b32_e32 v32, v31
	v_cndmask_b32_e64 v29, 0, 0xffffffe0, s4
	s_delay_alu instid0(VALU_DEP_2) | instskip(NEXT) | instid1(VALU_DEP_1)
	v_mad_nc_u64_u32 v[32:33], 0xdb629599, v6, v[32:33]
	v_dual_mov_b32 v35, v7 :: v_dual_mov_b32 v34, v33
	s_delay_alu instid0(VALU_DEP_2) | instskip(NEXT) | instid1(VALU_DEP_2)
	v_cndmask_b32_e64 v28, v32, v28, s3
	v_mad_nc_u64_u32 v[34:35], 0xf534ddc0, v6, v[34:35]
	s_delay_alu instid0(VALU_DEP_1) | instskip(NEXT) | instid1(VALU_DEP_1)
	v_dual_mov_b32 v37, v7 :: v_dual_mov_b32 v36, v35
	v_mad_nc_u64_u32 v[36:37], 0xfc2757d1, v6, v[36:37]
	s_delay_alu instid0(VALU_DEP_1) | instskip(NEXT) | instid1(VALU_DEP_1)
	v_dual_mov_b32 v38, v37 :: v_dual_cndmask_b32 v35, v36, v32, s3
	v_mad_nc_u64_u32 v[38:39], 0x4e441529, v6, v[38:39]
	s_delay_alu instid0(VALU_DEP_1) | instskip(NEXT) | instid1(VALU_DEP_1)
	v_mov_b32_e32 v40, v39
	v_mad_nc_u64_u32 v[40:41], 0xa2f9836e, v6, v[40:41]
	s_delay_alu instid0(VALU_DEP_3) | instskip(NEXT) | instid1(VALU_DEP_1)
	v_dual_add_nc_u32 v6, v29, v27 :: v_dual_cndmask_b32 v29, v38, v34, s3
	v_cmp_lt_u32_e64 s5, 31, v6
	s_delay_alu instid0(VALU_DEP_1) | instskip(NEXT) | instid1(VALU_DEP_4)
	v_cndmask_b32_e64 v27, 0, 0xffffffe0, s5
	v_dual_cndmask_b32 v31, v40, v36, s3 :: v_dual_cndmask_b32 v33, v41, v38, s3
	s_delay_alu instid0(VALU_DEP_2) | instskip(NEXT) | instid1(VALU_DEP_2)
	v_add_nc_u32_e32 v6, v27, v6
	v_dual_cndmask_b32 v27, v34, v30, s3 :: v_dual_cndmask_b32 v30, v31, v29, s4
	s_delay_alu instid0(VALU_DEP_3) | instskip(NEXT) | instid1(VALU_DEP_3)
	v_cndmask_b32_e64 v31, v33, v31, s4
	v_dual_cndmask_b32 v29, v29, v35, s4 :: v_dual_sub_nc_u32 v33, 32, v6
	s_delay_alu instid0(VALU_DEP_3) | instskip(SKIP_1) | instid1(VALU_DEP_3)
	v_cndmask_b32_e64 v34, v35, v27, s4
	v_cmp_eq_u32_e64 s3, 0, v6
	v_dual_cndmask_b32 v31, v31, v30, s5 :: v_dual_cndmask_b32 v30, v30, v29, s5
	s_delay_alu instid0(VALU_DEP_1) | instskip(NEXT) | instid1(VALU_DEP_1)
	v_alignbit_b32 v35, v31, v30, v33
	v_dual_cndmask_b32 v29, v29, v34, s5 :: v_dual_cndmask_b32 v6, v35, v31, s3
	s_delay_alu instid0(VALU_DEP_1) | instskip(NEXT) | instid1(VALU_DEP_1)
	v_alignbit_b32 v32, v30, v29, v33
	v_dual_cndmask_b32 v27, v27, v28, s4 :: v_dual_cndmask_b32 v28, v32, v30, s3
	s_delay_alu instid0(VALU_DEP_3) | instskip(NEXT) | instid1(VALU_DEP_2)
	v_bfe_u32 v30, v6, 29, 1
	v_cndmask_b32_e64 v27, v34, v27, s5
	s_delay_alu instid0(VALU_DEP_3) | instskip(NEXT) | instid1(VALU_DEP_3)
	v_alignbit_b32 v31, v6, v28, 30
	v_sub_nc_u32_e32 v32, 0, v30
	s_delay_alu instid0(VALU_DEP_3) | instskip(NEXT) | instid1(VALU_DEP_1)
	v_alignbit_b32 v33, v29, v27, v33
	v_dual_cndmask_b32 v29, v33, v29, s3 :: v_dual_bitop2_b32 v31, v31, v32 bitop3:0x14
	s_delay_alu instid0(VALU_DEP_1) | instskip(NEXT) | instid1(VALU_DEP_2)
	v_clz_i32_u32_e32 v33, v31
	v_alignbit_b32 v28, v28, v29, 30
	v_alignbit_b32 v27, v29, v27, 30
	s_delay_alu instid0(VALU_DEP_3) | instskip(NEXT) | instid1(VALU_DEP_3)
	v_min_u32_e32 v33, 32, v33
	v_xor_b32_e32 v28, v28, v32
	s_delay_alu instid0(VALU_DEP_3) | instskip(NEXT) | instid1(VALU_DEP_3)
	v_dual_lshrrev_b32 v32, 29, v6 :: v_dual_bitop2_b32 v27, v27, v32 bitop3:0x14
	v_dual_sub_nc_u32 v29, 31, v33 :: v_dual_lshlrev_b32 v34, 23, v33
	s_delay_alu instid0(VALU_DEP_1) | instskip(NEXT) | instid1(VALU_DEP_3)
	v_alignbit_b32 v31, v31, v28, v29
	v_alignbit_b32 v27, v28, v27, v29
	s_delay_alu instid0(VALU_DEP_4) | instskip(NEXT) | instid1(VALU_DEP_2)
	v_lshlrev_b32_e32 v28, 31, v32
	v_alignbit_b32 v29, v31, v27, 9
	s_delay_alu instid0(VALU_DEP_2) | instskip(SKIP_1) | instid1(VALU_DEP_3)
	v_dual_lshrrev_b32 v31, 9, v31 :: v_dual_bitop2_b32 v32, 0.5, v28 bitop3:0x54
	v_or_b32_e32 v28, 0x33000000, v28
	v_clz_i32_u32_e32 v35, v29
	s_delay_alu instid0(VALU_DEP_3) | instskip(NEXT) | instid1(VALU_DEP_2)
	v_sub_nc_u32_e32 v32, v32, v34
	v_min_u32_e32 v34, 32, v35
	s_delay_alu instid0(VALU_DEP_1) | instskip(NEXT) | instid1(VALU_DEP_3)
	v_add_lshl_u32 v33, v34, v33, 23
	v_or_b32_e32 v31, v31, v32
	v_not_b32_e32 v32, v34
	s_delay_alu instid0(VALU_DEP_2) | instskip(NEXT) | instid1(VALU_DEP_2)
	v_dual_mul_f32 v35, 0x3fc90fda, v31 :: v_dual_sub_nc_u32 v28, v28, v33
	v_alignbit_b32 v27, v29, v27, v32
	s_delay_alu instid0(VALU_DEP_2) | instskip(NEXT) | instid1(VALU_DEP_2)
	v_fma_f32 v29, 0x3fc90fda, v31, -v35
	v_lshrrev_b32_e32 v27, 9, v27
	s_delay_alu instid0(VALU_DEP_2) | instskip(NEXT) | instid1(VALU_DEP_2)
	v_fmac_f32_e32 v29, 0x33a22168, v31
	v_or_b32_e32 v27, v28, v27
	s_delay_alu instid0(VALU_DEP_1) | instskip(NEXT) | instid1(VALU_DEP_1)
	v_fmac_f32_e32 v29, 0x3fc90fda, v27
	v_dual_add_f32 v6, v35, v29 :: v_dual_lshrrev_b32 v27, 30, v6
	s_delay_alu instid0(VALU_DEP_1)
	v_add_nc_u32_e32 v27, v30, v27
	s_and_not1_saveexec_b32 s3, s30
	s_cbranch_execnz .LBB132_254
	s_branch .LBB132_255
.LBB132_253:                            ;   in Loop: Header=BB132_181 Depth=1
	s_and_not1_saveexec_b32 s3, s30
.LBB132_254:                            ;   in Loop: Header=BB132_181 Depth=1
	v_mul_f32_e64 v6, 0x3f22f983, |v25|
	s_delay_alu instid0(VALU_DEP_1) | instskip(NEXT) | instid1(VALU_DEP_1)
	v_rndne_f32_e32 v27, v6
	v_fma_f32 v6, 0xbfc90fda, v27, |v25|
	s_delay_alu instid0(VALU_DEP_1) | instskip(NEXT) | instid1(VALU_DEP_1)
	v_fmac_f32_e32 v6, 0xb3a22168, v27
	v_fmac_f32_e32 v6, 0xa7c234c4, v27
	v_cvt_i32_f32_e32 v27, v27
.LBB132_255:                            ;   in Loop: Header=BB132_181 Depth=1
	s_or_b32 exec_lo, exec_lo, s3
	v_dual_add_f32 v24, 0xc322e3bc, v24 :: v_dual_mul_f32 v31, v22, v22
	s_delay_alu instid0(VALU_DEP_2) | instskip(NEXT) | instid1(VALU_DEP_2)
	v_dual_lshlrev_b32 v27, 30, v27 :: v_dual_bitop2_b32 v32, 1, v27 bitop3:0x40
	v_mul_f32_e32 v28, 0x3fb8aa3b, v24
	v_cmp_ngt_f32_e64 s3, 0xc2ce8ed0, v24
	s_delay_alu instid0(VALU_DEP_3) | instskip(NEXT) | instid1(VALU_DEP_3)
	v_and_or_b32 v26, 0x80000000, v27, v26
	v_fma_f32 v29, 0x3fb8aa3b, v24, -v28
	v_rndne_f32_e32 v30, v28
	s_delay_alu instid0(VALU_DEP_1) | instskip(NEXT) | instid1(VALU_DEP_1)
	v_dual_fmac_f32 v29, 0x32a5705f, v24 :: v_dual_sub_f32 v28, v28, v30
	v_add_f32_e32 v28, v28, v29
	v_cvt_i32_f32_e32 v29, v30
	v_lshlrev_b32_e32 v30, 30, v23
	s_delay_alu instid0(VALU_DEP_3) | instskip(SKIP_1) | instid1(TRANS32_DEP_1)
	v_exp_f32_e32 v28, v28
	v_nop
	v_ldexp_f32 v28, v28, v29
	v_dual_mul_f32 v29, v6, v6 :: v_dual_fmaak_f32 v34, s23, v31, 0x3c0881c4
	v_and_b32_e32 v23, 1, v23
	v_fmaak_f32 v33, s24, v31, 0xbab64f3b
	s_delay_alu instid0(VALU_DEP_4) | instskip(NEXT) | instid1(VALU_DEP_4)
	v_cndmask_b32_e64 v28, 0, v28, s3
	v_fmaak_f32 v35, s23, v29, 0x3c0881c4
	v_cmp_nlt_f32_e64 s3, 0x42b17218, v24
	s_delay_alu instid0(VALU_DEP_2) | instskip(NEXT) | instid1(VALU_DEP_2)
	v_fmaak_f32 v35, v29, v35, 0xbe2aaa9d
	v_cndmask_b32_e64 v24, 0x7f800000, v28, s3
	v_fmaak_f32 v28, s24, v29, 0xbab64f3b
	v_fmaak_f32 v27, v31, v33, 0x3d2aabf7
	v_cmp_eq_u32_e64 s3, 0, v23
	v_mul_f32_e32 v35, v29, v35
	v_dual_fmaak_f32 v33, v31, v34, 0xbe2aaa9d :: v_dual_lshrrev_b32 v34, 23, v24
	v_and_or_b32 v24, 0x7fffff, v24, s25
	s_delay_alu instid0(VALU_DEP_3) | instskip(NEXT) | instid1(VALU_DEP_3)
	v_fmac_f32_e32 v6, v6, v35
	v_dual_fmaak_f32 v28, v29, v28, 0x3d2aabf7 :: v_dual_mul_f32 v33, v31, v33
	v_fmaak_f32 v27, v31, v27, 0xbf000004
	v_subrev_nc_u32_e32 v34, 19, v34
	s_delay_alu instid0(VALU_DEP_3) | instskip(NEXT) | instid1(VALU_DEP_4)
	v_fmaak_f32 v28, v29, v28, 0xbf000004
	v_fmac_f32_e32 v22, v22, v33
	s_delay_alu instid0(VALU_DEP_4) | instskip(NEXT) | instid1(VALU_DEP_4)
	v_fma_f32 v27, v31, v27, 1.0
	v_lshrrev_b16 v31, 15, v34
	s_delay_alu instid0(VALU_DEP_4) | instskip(NEXT) | instid1(VALU_DEP_3)
	v_fma_f32 v28, v29, v28, 1.0
	v_cndmask_b32_e64 v22, -v22, v27, s3
	v_cmp_eq_u32_e64 s3, 0, v32
	s_delay_alu instid0(VALU_DEP_4) | instskip(NEXT) | instid1(VALU_DEP_3)
	v_add_nc_u16 v23, v34, v31
	v_bitop3_b32 v22, v30, v22, 0x80000000 bitop3:0x6c
	s_delay_alu instid0(VALU_DEP_3) | instskip(NEXT) | instid1(VALU_DEP_3)
	v_cndmask_b32_e64 v6, v28, v6, s3
	v_ashrrev_i16 v23, 1, v23
	v_cmp_class_f32_e64 s3, v25, 0x1f8
	s_delay_alu instid0(VALU_DEP_3) | instskip(NEXT) | instid1(VALU_DEP_3)
	v_xor3_b32 v6, v26, v6, v25
	v_bfe_i32 v23, v23, 0, 16
	s_delay_alu instid0(VALU_DEP_3) | instskip(NEXT) | instid1(VALU_DEP_3)
	v_cndmask_b32_e64 v22, 0x7fc00000, v22, s3
	v_cndmask_b32_e64 v6, 0x7fc00000, v6, s3
	s_delay_alu instid0(VALU_DEP_3) | instskip(NEXT) | instid1(VALU_DEP_3)
	v_lshl_add_u32 v25, v23, 23, 1.0
	v_mul_f32_e32 v22, v22, v24
	v_sub_nc_u32_e32 v23, v34, v23
	s_delay_alu instid0(VALU_DEP_4) | instskip(NEXT) | instid1(VALU_DEP_3)
	v_mul_f32_e32 v6, v6, v24
	v_mul_f32_e32 v22, v22, v25
	s_delay_alu instid0(VALU_DEP_3) | instskip(NEXT) | instid1(VALU_DEP_3)
	v_lshl_add_u32 v23, v23, 23, 1.0
	v_mul_f32_e32 v6, v6, v25
	s_delay_alu instid0(VALU_DEP_2) | instskip(NEXT) | instid1(VALU_DEP_2)
	v_mul_f32_e32 v22, v22, v23
	v_mul_f32_e32 v23, v6, v23
.LBB132_256:                            ;   in Loop: Header=BB132_181 Depth=1
	s_or_b32 exec_lo, exec_lo, s29
                                        ; implicit-def: $vgpr24
                                        ; implicit-def: $vgpr6
.LBB132_257:                            ;   in Loop: Header=BB132_181 Depth=1
	s_and_not1_saveexec_b32 s4, s28
	s_cbranch_execz .LBB132_263
; %bb.258:                              ;   in Loop: Header=BB132_181 Depth=1
	v_cmp_ne_u32_e64 s3, 0x7f800000, v6
                                        ; implicit-def: $vgpr23
	s_and_saveexec_b32 s5, s3
	s_delay_alu instid0(SALU_CYCLE_1)
	s_xor_b32 s3, exec_lo, s5
; %bb.259:                              ;   in Loop: Header=BB132_181 Depth=1
	v_sub_f32_e32 v23, v25, v25
                                        ; implicit-def: $vgpr24
; %bb.260:                              ;   in Loop: Header=BB132_181 Depth=1
	s_or_saveexec_b32 s5, s3
	s_delay_alu instid0(VALU_DEP_1)
	v_mov_b32_e32 v22, v23
	s_xor_b32 exec_lo, exec_lo, s5
; %bb.261:                              ;   in Loop: Header=BB132_181 Depth=1
	v_cmp_lt_i32_e64 s3, -1, v24
	s_delay_alu instid0(VALU_DEP_1) | instskip(NEXT) | instid1(VALU_DEP_1)
	v_dual_sub_f32 v6, v25, v25 :: v_dual_cndmask_b32 v22, 0, v24, s3
	v_cndmask_b32_e64 v23, 0, v6, s3
; %bb.262:                              ;   in Loop: Header=BB132_181 Depth=1
	s_or_b32 exec_lo, exec_lo, s5
.LBB132_263:                            ;   in Loop: Header=BB132_181 Depth=1
	s_delay_alu instid0(SALU_CYCLE_1)
	s_or_b32 exec_lo, exec_lo, s4
                                        ; implicit-def: $vgpr25
                                        ; implicit-def: $vgpr26
.LBB132_264:                            ;   in Loop: Header=BB132_181 Depth=1
	s_and_not1_saveexec_b32 s27, s27
	s_cbranch_execz .LBB132_274
; %bb.265:                              ;   in Loop: Header=BB132_181 Depth=1
	v_cmp_ngt_f32_e64 s28, 0x48000000, |v25|
                                        ; implicit-def: $vgpr23
                                        ; implicit-def: $vgpr22
	s_and_saveexec_b32 s3, s28
	s_delay_alu instid0(SALU_CYCLE_1)
	s_xor_b32 s29, exec_lo, s3
	s_cbranch_execz .LBB132_267
; %bb.266:                              ;   in Loop: Header=BB132_181 Depth=1
	v_and_or_b32 v6, v26, s22, 0x800000
	v_dual_mov_b32 v37, v7 :: v_dual_mov_b32 v39, v7
	s_delay_alu instid0(VALU_DEP_2) | instskip(NEXT) | instid1(VALU_DEP_1)
	v_mul_u64_e32 v[22:23], s[18:19], v[6:7]
	v_dual_mov_b32 v29, v7 :: v_dual_mov_b32 v28, v23
	v_lshrrev_b32_e32 v23, 23, v26
	s_delay_alu instid0(VALU_DEP_2) | instskip(SKIP_1) | instid1(VALU_DEP_3)
	v_mad_nc_u64_u32 v[28:29], 0x3c439041, v6, v[28:29]
	v_mov_b32_e32 v31, v7
	v_add_nc_u32_e32 v23, 0xffffff88, v23
	s_delay_alu instid0(VALU_DEP_1) | instskip(NEXT) | instid1(VALU_DEP_4)
	v_cmp_lt_u32_e64 s3, 63, v23
	v_mov_b32_e32 v30, v29
	s_delay_alu instid0(VALU_DEP_2) | instskip(NEXT) | instid1(VALU_DEP_2)
	v_cndmask_b32_e64 v24, 0, 0xffffffc0, s3
	v_mad_nc_u64_u32 v[30:31], 0xdb629599, v6, v[30:31]
	s_delay_alu instid0(VALU_DEP_2) | instskip(NEXT) | instid1(VALU_DEP_1)
	v_dual_mov_b32 v33, v7 :: v_dual_add_nc_u32 v23, v24, v23
	v_cmp_lt_u32_e64 s4, 31, v23
	s_delay_alu instid0(VALU_DEP_3) | instskip(NEXT) | instid1(VALU_DEP_2)
	v_mov_b32_e32 v32, v31
	v_cndmask_b32_e64 v24, 0, 0xffffffe0, s4
	s_delay_alu instid0(VALU_DEP_2) | instskip(NEXT) | instid1(VALU_DEP_1)
	v_mad_nc_u64_u32 v[32:33], 0xf534ddc0, v6, v[32:33]
	v_dual_mov_b32 v35, v7 :: v_dual_mov_b32 v34, v33
	s_delay_alu instid0(VALU_DEP_1) | instskip(NEXT) | instid1(VALU_DEP_1)
	v_mad_nc_u64_u32 v[34:35], 0xfc2757d1, v6, v[34:35]
	v_dual_mov_b32 v36, v35 :: v_dual_cndmask_b32 v31, v34, v30, s3
	s_delay_alu instid0(VALU_DEP_1) | instskip(NEXT) | instid1(VALU_DEP_1)
	v_mad_nc_u64_u32 v[36:37], 0x4e441529, v6, v[36:37]
	v_mov_b32_e32 v38, v37
	s_delay_alu instid0(VALU_DEP_1) | instskip(SKIP_1) | instid1(VALU_DEP_4)
	v_mad_nc_u64_u32 v[38:39], 0xa2f9836e, v6, v[38:39]
	v_add_nc_u32_e32 v6, v24, v23
	v_cndmask_b32_e64 v24, v36, v32, s3
	s_delay_alu instid0(VALU_DEP_2) | instskip(NEXT) | instid1(VALU_DEP_1)
	v_cmp_lt_u32_e64 s5, 31, v6
	v_cndmask_b32_e64 v23, 0, 0xffffffe0, s5
	v_dual_cndmask_b32 v27, v38, v34, s3 :: v_dual_cndmask_b32 v29, v39, v36, s3
	s_delay_alu instid0(VALU_DEP_2) | instskip(NEXT) | instid1(VALU_DEP_2)
	v_dual_add_nc_u32 v6, v23, v6 :: v_dual_cndmask_b32 v23, v32, v28, s3
	v_dual_cndmask_b32 v28, v27, v24, s4 :: v_dual_cndmask_b32 v27, v29, v27, s4
	s_delay_alu instid0(VALU_DEP_2) | instskip(NEXT) | instid1(VALU_DEP_3)
	v_dual_cndmask_b32 v24, v24, v31, s4 :: v_dual_sub_nc_u32 v29, 32, v6
	v_cndmask_b32_e64 v31, v31, v23, s4
	s_delay_alu instid0(VALU_DEP_3) | instskip(NEXT) | instid1(VALU_DEP_3)
	v_cndmask_b32_e64 v27, v27, v28, s5
	v_cndmask_b32_e64 v28, v28, v24, s5
	s_delay_alu instid0(VALU_DEP_3) | instskip(NEXT) | instid1(VALU_DEP_2)
	v_cndmask_b32_e64 v24, v24, v31, s5
	v_alignbit_b32 v32, v27, v28, v29
	v_cndmask_b32_e64 v22, v30, v22, s3
	v_cmp_eq_u32_e64 s3, 0, v6
	s_delay_alu instid0(VALU_DEP_4) | instskip(NEXT) | instid1(VALU_DEP_2)
	v_alignbit_b32 v30, v28, v24, v29
	v_dual_cndmask_b32 v6, v32, v27, s3 :: v_dual_cndmask_b32 v22, v23, v22, s4
	s_delay_alu instid0(VALU_DEP_2) | instskip(NEXT) | instid1(VALU_DEP_2)
	v_cndmask_b32_e64 v23, v30, v28, s3
	v_bfe_u32 v27, v6, 29, 1
	s_delay_alu instid0(VALU_DEP_3) | instskip(NEXT) | instid1(VALU_DEP_3)
	v_cndmask_b32_e64 v22, v31, v22, s5
	v_alignbit_b32 v28, v6, v23, 30
	s_delay_alu instid0(VALU_DEP_3) | instskip(NEXT) | instid1(VALU_DEP_3)
	v_sub_nc_u32_e32 v30, 0, v27
	v_alignbit_b32 v29, v24, v22, v29
	s_delay_alu instid0(VALU_DEP_1) | instskip(NEXT) | instid1(VALU_DEP_1)
	v_dual_cndmask_b32 v24, v29, v24, s3 :: v_dual_bitop2_b32 v28, v28, v30 bitop3:0x14
	v_clz_i32_u32_e32 v29, v28
	s_delay_alu instid0(VALU_DEP_2) | instskip(SKIP_1) | instid1(VALU_DEP_3)
	v_alignbit_b32 v23, v23, v24, 30
	v_alignbit_b32 v22, v24, v22, 30
	v_min_u32_e32 v29, 32, v29
	s_delay_alu instid0(VALU_DEP_3) | instskip(NEXT) | instid1(VALU_DEP_3)
	v_xor_b32_e32 v23, v23, v30
	v_xor_b32_e32 v22, v22, v30
	v_dual_lshrrev_b32 v30, 29, v6 :: v_dual_lshrrev_b32 v6, 30, v6
	s_delay_alu instid0(VALU_DEP_4) | instskip(NEXT) | instid1(VALU_DEP_1)
	v_dual_sub_nc_u32 v24, 31, v29 :: v_dual_lshlrev_b32 v31, 23, v29
	v_alignbit_b32 v28, v28, v23, v24
	s_delay_alu instid0(VALU_DEP_4) | instskip(NEXT) | instid1(VALU_DEP_4)
	v_alignbit_b32 v22, v23, v22, v24
	v_lshlrev_b32_e32 v23, 31, v30
	s_delay_alu instid0(VALU_DEP_2) | instskip(NEXT) | instid1(VALU_DEP_2)
	v_alignbit_b32 v24, v28, v22, 9
	v_dual_lshrrev_b32 v28, 9, v28 :: v_dual_bitop2_b32 v30, 0.5, v23 bitop3:0x54
	v_or_b32_e32 v23, 0x33000000, v23
	s_delay_alu instid0(VALU_DEP_3) | instskip(NEXT) | instid1(VALU_DEP_3)
	v_clz_i32_u32_e32 v32, v24
	v_sub_nc_u32_e32 v30, v30, v31
	s_delay_alu instid0(VALU_DEP_2) | instskip(NEXT) | instid1(VALU_DEP_1)
	v_min_u32_e32 v31, 32, v32
	v_add_lshl_u32 v29, v31, v29, 23
	s_delay_alu instid0(VALU_DEP_1) | instskip(SKIP_1) | instid1(VALU_DEP_2)
	v_dual_sub_nc_u32 v23, v23, v29 :: v_dual_bitop2_b32 v28, v28, v30 bitop3:0x54
	v_not_b32_e32 v30, v31
	v_mul_f32_e32 v32, 0x3fc90fda, v28
	s_delay_alu instid0(VALU_DEP_2) | instskip(NEXT) | instid1(VALU_DEP_1)
	v_alignbit_b32 v22, v24, v22, v30
	v_lshrrev_b32_e32 v22, 9, v22
	s_delay_alu instid0(VALU_DEP_1) | instskip(SKIP_2) | instid1(VALU_DEP_1)
	v_or_b32_e32 v22, v23, v22
	v_add_nc_u32_e32 v23, v27, v6
	v_fma_f32 v24, 0x3fc90fda, v28, -v32
	v_fmac_f32_e32 v24, 0x33a22168, v28
	s_delay_alu instid0(VALU_DEP_1) | instskip(NEXT) | instid1(VALU_DEP_1)
	v_fmac_f32_e32 v24, 0x3fc90fda, v22
	v_add_f32_e32 v22, v32, v24
	s_and_not1_saveexec_b32 s3, s29
	s_branch .LBB132_268
.LBB132_267:                            ;   in Loop: Header=BB132_181 Depth=1
	s_and_not1_saveexec_b32 s3, s29
.LBB132_268:                            ;   in Loop: Header=BB132_181 Depth=1
	v_mul_f32_e64 v6, 0x3f22f983, |v25|
	s_delay_alu instid0(VALU_DEP_1) | instskip(NEXT) | instid1(VALU_DEP_1)
	v_rndne_f32_e32 v6, v6
	v_fma_f32 v22, 0xbfc90fda, v6, |v25|
	v_cvt_i32_f32_e32 v23, v6
	s_delay_alu instid0(VALU_DEP_2) | instskip(NEXT) | instid1(VALU_DEP_1)
	v_fmac_f32_e32 v22, 0xb3a22168, v6
	v_fmac_f32_e32 v22, 0xa7c234c4, v6
; %bb.269:                              ;   in Loop: Header=BB132_181 Depth=1
	s_or_b32 exec_lo, exec_lo, s3
                                        ; implicit-def: $vgpr24
                                        ; implicit-def: $vgpr6
	s_and_saveexec_b32 s3, s28
	s_delay_alu instid0(SALU_CYCLE_1)
	s_xor_b32 s28, exec_lo, s3
	s_cbranch_execz .LBB132_271
; %bb.270:                              ;   in Loop: Header=BB132_181 Depth=1
	v_and_or_b32 v6, v26, s22, 0x800000
	v_dual_mov_b32 v39, v7 :: v_dual_lshrrev_b32 v24, 23, v26
	v_mov_b32_e32 v41, v7
	s_delay_alu instid0(VALU_DEP_3) | instskip(NEXT) | instid1(VALU_DEP_3)
	v_mul_u64_e32 v[28:29], s[18:19], v[6:7]
	v_dual_mov_b32 v31, v7 :: v_dual_add_nc_u32 v24, 0xffffff88, v24
	s_delay_alu instid0(VALU_DEP_1) | instskip(NEXT) | instid1(VALU_DEP_1)
	v_cmp_lt_u32_e64 s3, 63, v24
	v_cndmask_b32_e64 v27, 0, 0xffffffc0, s3
	s_delay_alu instid0(VALU_DEP_1) | instskip(NEXT) | instid1(VALU_DEP_1)
	v_add_nc_u32_e32 v24, v27, v24
	v_cmp_lt_u32_e64 s4, 31, v24
	s_delay_alu instid0(VALU_DEP_1) | instskip(SKIP_1) | instid1(VALU_DEP_1)
	v_cndmask_b32_e64 v27, 0, 0xffffffe0, s4
	v_mov_b32_e32 v30, v29
	v_mad_nc_u64_u32 v[30:31], 0x3c439041, v6, v[30:31]
	s_delay_alu instid0(VALU_DEP_1) | instskip(NEXT) | instid1(VALU_DEP_1)
	v_dual_mov_b32 v33, v7 :: v_dual_mov_b32 v32, v31
	v_mad_nc_u64_u32 v[32:33], 0xdb629599, v6, v[32:33]
	s_delay_alu instid0(VALU_DEP_1) | instskip(NEXT) | instid1(VALU_DEP_1)
	v_dual_mov_b32 v35, v7 :: v_dual_mov_b32 v34, v33
	;; [unrolled: 3-line block ×3, first 2 shown]
	v_mad_nc_u64_u32 v[36:37], 0xfc2757d1, v6, v[36:37]
	s_delay_alu instid0(VALU_DEP_1) | instskip(NEXT) | instid1(VALU_DEP_1)
	v_mov_b32_e32 v38, v37
	v_mad_nc_u64_u32 v[38:39], 0x4e441529, v6, v[38:39]
	s_delay_alu instid0(VALU_DEP_1) | instskip(NEXT) | instid1(VALU_DEP_1)
	v_mov_b32_e32 v40, v39
	v_mad_nc_u64_u32 v[40:41], 0xa2f9836e, v6, v[40:41]
	s_delay_alu instid0(VALU_DEP_3) | instskip(NEXT) | instid1(VALU_DEP_2)
	v_dual_add_nc_u32 v6, v27, v24 :: v_dual_cndmask_b32 v27, v38, v34, s3
	v_cndmask_b32_e64 v31, v41, v38, s3
	s_delay_alu instid0(VALU_DEP_2) | instskip(NEXT) | instid1(VALU_DEP_4)
	v_cmp_lt_u32_e64 s5, 31, v6
	v_cndmask_b32_e64 v29, v40, v36, s3
	v_cndmask_b32_e64 v33, v36, v32, s3
	s_delay_alu instid0(VALU_DEP_3) | instskip(NEXT) | instid1(VALU_DEP_1)
	v_cndmask_b32_e64 v24, 0, 0xffffffe0, s5
	v_add_nc_u32_e32 v6, v24, v6
	s_delay_alu instid0(VALU_DEP_4) | instskip(SKIP_1) | instid1(VALU_DEP_3)
	v_dual_cndmask_b32 v24, v34, v30, s3 :: v_dual_cndmask_b32 v30, v29, v27, s4
	v_cndmask_b32_e64 v29, v31, v29, s4
	v_dual_cndmask_b32 v27, v27, v33, s4 :: v_dual_sub_nc_u32 v31, 32, v6
	s_delay_alu instid0(VALU_DEP_3) | instskip(NEXT) | instid1(VALU_DEP_2)
	v_cndmask_b32_e64 v33, v33, v24, s4
	v_dual_cndmask_b32 v29, v29, v30, s5 :: v_dual_cndmask_b32 v30, v30, v27, s5
	s_delay_alu instid0(VALU_DEP_2) | instskip(NEXT) | instid1(VALU_DEP_2)
	v_cndmask_b32_e64 v27, v27, v33, s5
	v_alignbit_b32 v34, v29, v30, v31
	v_cndmask_b32_e64 v28, v32, v28, s3
	v_cmp_eq_u32_e64 s3, 0, v6
	s_delay_alu instid0(VALU_DEP_4) | instskip(NEXT) | instid1(VALU_DEP_2)
	v_alignbit_b32 v32, v30, v27, v31
	v_cndmask_b32_e64 v6, v34, v29, s3
	s_delay_alu instid0(VALU_DEP_1) | instskip(SKIP_1) | instid1(VALU_DEP_2)
	v_bfe_u32 v29, v6, 29, 1
	v_cndmask_b32_e64 v24, v24, v28, s4
	v_dual_cndmask_b32 v28, v32, v30, s3 :: v_dual_sub_nc_u32 v32, 0, v29
	s_delay_alu instid0(VALU_DEP_2) | instskip(NEXT) | instid1(VALU_DEP_2)
	v_cndmask_b32_e64 v24, v33, v24, s5
	v_alignbit_b32 v30, v6, v28, 30
	s_delay_alu instid0(VALU_DEP_2) | instskip(NEXT) | instid1(VALU_DEP_1)
	v_alignbit_b32 v31, v27, v24, v31
	v_dual_cndmask_b32 v27, v31, v27, s3 :: v_dual_bitop2_b32 v30, v30, v32 bitop3:0x14
	s_delay_alu instid0(VALU_DEP_1) | instskip(NEXT) | instid1(VALU_DEP_2)
	v_clz_i32_u32_e32 v31, v30
	v_alignbit_b32 v28, v28, v27, 30
	s_delay_alu instid0(VALU_DEP_2) | instskip(SKIP_1) | instid1(VALU_DEP_2)
	v_min_u32_e32 v31, 32, v31
	v_alignbit_b32 v24, v27, v24, 30
	v_dual_sub_nc_u32 v28, 31, v31 :: v_dual_bitop2_b32 v27, v28, v32 bitop3:0x14
	s_delay_alu instid0(VALU_DEP_2) | instskip(SKIP_1) | instid1(VALU_DEP_3)
	v_dual_lshrrev_b32 v32, 29, v6 :: v_dual_bitop2_b32 v24, v24, v32 bitop3:0x14
	v_lshlrev_b32_e32 v33, 23, v31
	v_alignbit_b32 v30, v30, v27, v28
	s_delay_alu instid0(VALU_DEP_3) | instskip(NEXT) | instid1(VALU_DEP_4)
	v_alignbit_b32 v24, v27, v24, v28
	v_lshlrev_b32_e32 v27, 31, v32
	s_delay_alu instid0(VALU_DEP_2) | instskip(NEXT) | instid1(VALU_DEP_2)
	v_alignbit_b32 v28, v30, v24, 9
	v_dual_lshrrev_b32 v30, 9, v30 :: v_dual_bitop2_b32 v32, 0.5, v27 bitop3:0x54
	v_or_b32_e32 v27, 0x33000000, v27
	s_delay_alu instid0(VALU_DEP_3) | instskip(NEXT) | instid1(VALU_DEP_3)
	v_clz_i32_u32_e32 v34, v28
	v_sub_nc_u32_e32 v32, v32, v33
	s_delay_alu instid0(VALU_DEP_2) | instskip(NEXT) | instid1(VALU_DEP_1)
	v_min_u32_e32 v33, 32, v34
	v_add_lshl_u32 v31, v33, v31, 23
	s_delay_alu instid0(VALU_DEP_1) | instskip(SKIP_1) | instid1(VALU_DEP_2)
	v_dual_sub_nc_u32 v27, v27, v31 :: v_dual_bitop2_b32 v30, v30, v32 bitop3:0x54
	v_not_b32_e32 v32, v33
	v_mul_f32_e32 v34, 0x3fc90fda, v30
	s_delay_alu instid0(VALU_DEP_2) | instskip(NEXT) | instid1(VALU_DEP_2)
	v_alignbit_b32 v24, v28, v24, v32
	v_fma_f32 v28, 0x3fc90fda, v30, -v34
	s_delay_alu instid0(VALU_DEP_2) | instskip(NEXT) | instid1(VALU_DEP_2)
	v_lshrrev_b32_e32 v24, 9, v24
	v_fmac_f32_e32 v28, 0x33a22168, v30
	s_delay_alu instid0(VALU_DEP_2) | instskip(NEXT) | instid1(VALU_DEP_1)
	v_or_b32_e32 v24, v27, v24
	v_fmac_f32_e32 v28, 0x3fc90fda, v24
	s_delay_alu instid0(VALU_DEP_1) | instskip(NEXT) | instid1(VALU_DEP_1)
	v_dual_lshrrev_b32 v24, 30, v6 :: v_dual_add_f32 v6, v34, v28
	v_add_nc_u32_e32 v24, v29, v24
	s_and_not1_saveexec_b32 s3, s28
	s_cbranch_execnz .LBB132_272
	s_branch .LBB132_273
.LBB132_271:                            ;   in Loop: Header=BB132_181 Depth=1
	s_and_not1_saveexec_b32 s3, s28
.LBB132_272:                            ;   in Loop: Header=BB132_181 Depth=1
	v_mul_f32_e64 v6, 0x3f22f983, |v25|
	s_delay_alu instid0(VALU_DEP_1) | instskip(NEXT) | instid1(VALU_DEP_1)
	v_rndne_f32_e32 v24, v6
	v_fma_f32 v6, 0xbfc90fda, v24, |v25|
	s_delay_alu instid0(VALU_DEP_1) | instskip(NEXT) | instid1(VALU_DEP_1)
	v_fmac_f32_e32 v6, 0xb3a22168, v24
	v_fmac_f32_e32 v6, 0xa7c234c4, v24
	v_cvt_i32_f32_e32 v24, v24
.LBB132_273:                            ;   in Loop: Header=BB132_181 Depth=1
	s_or_b32 exec_lo, exec_lo, s3
	v_dual_mul_f32 v27, v22, v22 :: v_dual_bitop2_b32 v29, 1, v23 bitop3:0x40
	s_delay_alu instid0(VALU_DEP_3) | instskip(NEXT) | instid1(VALU_DEP_2)
	v_dual_mul_f32 v28, v6, v6 :: v_dual_lshlrev_b32 v23, 30, v23
	v_fmaak_f32 v30, s23, v27, 0x3c0881c4
	v_fmaak_f32 v31, s24, v27, 0xbab64f3b
	s_delay_alu instid0(VALU_DEP_3) | instskip(SKIP_1) | instid1(VALU_DEP_4)
	v_fmaak_f32 v32, s23, v28, 0x3c0881c4
	v_cmp_eq_u32_e64 s3, 0, v29
	v_fmaak_f32 v30, v27, v30, 0xbe2aaa9d
	v_fmaak_f32 v33, s24, v28, 0xbab64f3b
	s_delay_alu instid0(VALU_DEP_4) | instskip(NEXT) | instid1(VALU_DEP_3)
	v_fmaak_f32 v32, v28, v32, 0xbe2aaa9d
	v_dual_fmaak_f32 v31, v27, v31, 0x3d2aabf7 :: v_dual_mul_f32 v30, v27, v30
	s_delay_alu instid0(VALU_DEP_2) | instskip(NEXT) | instid1(VALU_DEP_2)
	v_dual_fmaak_f32 v33, v28, v33, 0x3d2aabf7 :: v_dual_mul_f32 v32, v28, v32
	v_fmaak_f32 v31, v27, v31, 0xbf000004
	s_delay_alu instid0(VALU_DEP_3) | instskip(NEXT) | instid1(VALU_DEP_3)
	v_dual_fmac_f32 v22, v22, v30 :: v_dual_bitop2_b32 v34, 1, v24 bitop3:0x40
	v_dual_fmaak_f32 v33, v28, v33, 0xbf000004 :: v_dual_lshlrev_b32 v24, 30, v24
	s_delay_alu instid0(VALU_DEP_4) | instskip(NEXT) | instid1(VALU_DEP_4)
	v_fmac_f32_e32 v6, v6, v32
	v_fma_f32 v27, v27, v31, 1.0
	s_delay_alu instid0(VALU_DEP_3) | instskip(NEXT) | instid1(VALU_DEP_4)
	v_and_or_b32 v24, 0x80000000, v24, v26
	v_fma_f32 v28, v28, v33, 1.0
	s_delay_alu instid0(VALU_DEP_3) | instskip(SKIP_1) | instid1(VALU_DEP_1)
	v_cndmask_b32_e64 v22, -v22, v27, s3
	v_cmp_eq_u32_e64 s3, 0, v34
	v_cndmask_b32_e64 v6, v28, v6, s3
	s_delay_alu instid0(VALU_DEP_3) | instskip(SKIP_1) | instid1(VALU_DEP_3)
	v_bitop3_b32 v22, v23, v22, 0x80000000 bitop3:0x6c
	v_cmp_class_f32_e64 s3, v25, 0x1f8
	v_xor3_b32 v6, v24, v6, v25
	s_delay_alu instid0(VALU_DEP_2) | instskip(NEXT) | instid1(VALU_DEP_2)
	v_cndmask_b32_e64 v22, 0x7fc00000, v22, s3
	v_cndmask_b32_e64 v23, 0x7fc00000, v6, s3
.LBB132_274:                            ;   in Loop: Header=BB132_181 Depth=1
	s_or_b32 exec_lo, exec_lo, s27
                                        ; implicit-def: $vgpr24
.LBB132_275:                            ;   in Loop: Header=BB132_181 Depth=1
	s_and_not1_saveexec_b32 s4, s26
	s_cbranch_execz .LBB132_277
; %bb.276:                              ;   in Loop: Header=BB132_181 Depth=1
	v_mul_f32_e32 v6, 0x3fb8aa3b, v24
	v_cmp_ngt_f32_e64 s3, 0xc2ce8ed0, v24
	s_delay_alu instid0(VALU_DEP_2) | instskip(SKIP_1) | instid1(VALU_DEP_1)
	v_rndne_f32_e32 v22, v6
	v_fma_f32 v23, 0x3fb8aa3b, v24, -v6
	v_dual_sub_f32 v6, v6, v22 :: v_dual_fmac_f32 v23, 0x32a5705f, v24
	v_cvt_i32_f32_e32 v22, v22
	s_delay_alu instid0(VALU_DEP_2) | instskip(NEXT) | instid1(VALU_DEP_1)
	v_dual_add_f32 v6, v6, v23 :: v_dual_mov_b32 v23, v25
	v_exp_f32_e32 v6, v6
	v_nop
	s_delay_alu instid0(TRANS32_DEP_1) | instskip(NEXT) | instid1(VALU_DEP_1)
	v_ldexp_f32 v6, v6, v22
	v_cndmask_b32_e64 v6, 0, v6, s3
	v_cmp_nlt_f32_e64 s3, 0x42b17218, v24
	s_delay_alu instid0(VALU_DEP_1)
	v_cndmask_b32_e64 v22, 0x7f800000, v6, s3
.LBB132_277:                            ;   in Loop: Header=BB132_181 Depth=1
	s_or_b32 exec_lo, exec_lo, s4
	v_and_b32_e32 v26, 0x7fffffff, v21
                                        ; implicit-def: $vgpr25
	s_mov_b32 s4, exec_lo
	s_delay_alu instid0(VALU_DEP_1)
	v_cmpx_ne_u32_e32 0, v26
	s_xor_b32 s26, exec_lo, s4
	s_cbranch_execz .LBB132_319
; %bb.278:                              ;   in Loop: Header=BB132_181 Depth=1
	v_and_b32_e32 v6, 0x7fffffff, v20
                                        ; implicit-def: $vgpr25
	s_mov_b32 s4, exec_lo
	s_delay_alu instid0(VALU_DEP_1)
	v_cmpx_ne_u32_e32 0, v6
	s_xor_b32 s27, exec_lo, s4
	s_cbranch_execz .LBB132_308
; %bb.279:                              ;   in Loop: Header=BB132_181 Depth=1
                                        ; implicit-def: $vgpr25
	s_mov_b32 s4, exec_lo
	v_cmpx_gt_u32_e32 0x7f800000, v26
	s_xor_b32 s28, exec_lo, s4
	s_cbranch_execz .LBB132_301
; %bb.280:                              ;   in Loop: Header=BB132_181 Depth=1
	v_add_nc_u32_e32 v6, 0xbd4e8de8, v20
                                        ; implicit-def: $vgpr25
	s_mov_b32 s4, exec_lo
	s_delay_alu instid0(VALU_DEP_1)
	v_cmpx_lt_u32_e32 0x8e8e5c, v6
	s_xor_b32 s29, exec_lo, s4
	s_cbranch_execz .LBB132_290
; %bb.281:                              ;   in Loop: Header=BB132_181 Depth=1
	v_cmp_ngt_f32_e64 s30, 0x48000000, |v21|
                                        ; implicit-def: $vgpr25
                                        ; implicit-def: $vgpr24
	s_and_saveexec_b32 s3, s30
	s_delay_alu instid0(SALU_CYCLE_1)
	s_xor_b32 s31, exec_lo, s3
	s_cbranch_execz .LBB132_283
; %bb.282:                              ;   in Loop: Header=BB132_181 Depth=1
	v_and_or_b32 v6, v26, s22, 0x800000
	v_mov_b32_e32 v37, v7
	s_delay_alu instid0(VALU_DEP_2) | instskip(NEXT) | instid1(VALU_DEP_1)
	v_mul_u64_e32 v[24:25], s[18:19], v[6:7]
	v_dual_mov_b32 v29, v7 :: v_dual_mov_b32 v28, v25
	v_lshrrev_b32_e32 v25, 23, v26
	s_delay_alu instid0(VALU_DEP_2) | instskip(SKIP_1) | instid1(VALU_DEP_3)
	v_mad_nc_u64_u32 v[28:29], 0x3c439041, v6, v[28:29]
	v_mov_b32_e32 v31, v7
	v_add_nc_u32_e32 v25, 0xffffff88, v25
	s_delay_alu instid0(VALU_DEP_1) | instskip(NEXT) | instid1(VALU_DEP_4)
	v_cmp_lt_u32_e64 s3, 63, v25
	v_mov_b32_e32 v30, v29
	s_delay_alu instid0(VALU_DEP_2) | instskip(NEXT) | instid1(VALU_DEP_2)
	v_cndmask_b32_e64 v27, 0, 0xffffffc0, s3
	v_mad_nc_u64_u32 v[30:31], 0xdb629599, v6, v[30:31]
	s_delay_alu instid0(VALU_DEP_1) | instskip(NEXT) | instid1(VALU_DEP_2)
	v_dual_mov_b32 v33, v7 :: v_dual_mov_b32 v32, v31
	v_cndmask_b32_e64 v24, v30, v24, s3
	s_delay_alu instid0(VALU_DEP_2) | instskip(NEXT) | instid1(VALU_DEP_1)
	v_mad_nc_u64_u32 v[32:33], 0xf534ddc0, v6, v[32:33]
	v_dual_mov_b32 v35, v7 :: v_dual_mov_b32 v34, v33
	s_delay_alu instid0(VALU_DEP_1) | instskip(NEXT) | instid1(VALU_DEP_1)
	v_mad_nc_u64_u32 v[34:35], 0xfc2757d1, v6, v[34:35]
	v_dual_mov_b32 v36, v35 :: v_dual_cndmask_b32 v33, v34, v30, s3
	s_delay_alu instid0(VALU_DEP_1) | instskip(SKIP_1) | instid1(VALU_DEP_2)
	v_mad_nc_u64_u32 v[36:37], 0x4e441529, v6, v[36:37]
	v_add_nc_u32_e32 v25, v27, v25
	v_dual_mov_b32 v39, v7 :: v_dual_mov_b32 v38, v37
	s_delay_alu instid0(VALU_DEP_2) | instskip(NEXT) | instid1(VALU_DEP_2)
	v_cmp_lt_u32_e64 s4, 31, v25
	v_mad_nc_u64_u32 v[38:39], 0xa2f9836e, v6, v[38:39]
	s_delay_alu instid0(VALU_DEP_2) | instskip(NEXT) | instid1(VALU_DEP_1)
	v_cndmask_b32_e64 v27, 0, 0xffffffe0, s4
	v_dual_add_nc_u32 v6, v27, v25 :: v_dual_cndmask_b32 v27, v36, v32, s3
	s_delay_alu instid0(VALU_DEP_3) | instskip(NEXT) | instid1(VALU_DEP_2)
	v_dual_cndmask_b32 v29, v38, v34, s3 :: v_dual_cndmask_b32 v31, v39, v36, s3
	v_cmp_lt_u32_e64 s5, 31, v6
	s_delay_alu instid0(VALU_DEP_1) | instskip(NEXT) | instid1(VALU_DEP_1)
	v_cndmask_b32_e64 v25, 0, 0xffffffe0, s5
	v_dual_add_nc_u32 v6, v25, v6 :: v_dual_cndmask_b32 v25, v32, v28, s3
	s_delay_alu instid0(VALU_DEP_4) | instskip(NEXT) | instid1(VALU_DEP_2)
	v_dual_cndmask_b32 v28, v29, v27, s4 :: v_dual_cndmask_b32 v29, v31, v29, s4
	v_dual_cndmask_b32 v27, v27, v33, s4 :: v_dual_sub_nc_u32 v31, 32, v6
	s_delay_alu instid0(VALU_DEP_3) | instskip(SKIP_1) | instid1(VALU_DEP_3)
	v_cndmask_b32_e64 v32, v33, v25, s4
	v_cmp_eq_u32_e64 s3, 0, v6
	v_dual_cndmask_b32 v29, v29, v28, s5 :: v_dual_cndmask_b32 v28, v28, v27, s5
	s_delay_alu instid0(VALU_DEP_3) | instskip(SKIP_1) | instid1(VALU_DEP_2)
	v_cndmask_b32_e64 v27, v27, v32, s5
	v_cndmask_b32_e64 v24, v25, v24, s4
	v_alignbit_b32 v30, v28, v27, v31
	s_delay_alu instid0(VALU_DEP_1) | instskip(SKIP_1) | instid1(VALU_DEP_1)
	v_cndmask_b32_e64 v25, v30, v28, s3
	v_alignbit_b32 v33, v29, v28, v31
	v_cndmask_b32_e64 v6, v33, v29, s3
	s_delay_alu instid0(VALU_DEP_1) | instskip(NEXT) | instid1(VALU_DEP_4)
	v_bfe_u32 v28, v6, 29, 1
	v_alignbit_b32 v29, v6, v25, 30
	s_delay_alu instid0(VALU_DEP_2) | instskip(NEXT) | instid1(VALU_DEP_1)
	v_sub_nc_u32_e32 v30, 0, v28
	v_dual_cndmask_b32 v24, v32, v24, s5 :: v_dual_bitop2_b32 v29, v29, v30 bitop3:0x14
	s_delay_alu instid0(VALU_DEP_1) | instskip(NEXT) | instid1(VALU_DEP_1)
	v_alignbit_b32 v31, v27, v24, v31
	v_cndmask_b32_e64 v27, v31, v27, s3
	s_delay_alu instid0(VALU_DEP_3) | instskip(NEXT) | instid1(VALU_DEP_2)
	v_clz_i32_u32_e32 v31, v29
	v_alignbit_b32 v25, v25, v27, 30
	s_delay_alu instid0(VALU_DEP_2) | instskip(NEXT) | instid1(VALU_DEP_2)
	v_min_u32_e32 v31, 32, v31
	v_xor_b32_e32 v25, v25, v30
	v_alignbit_b32 v24, v27, v24, 30
	s_delay_alu instid0(VALU_DEP_3) | instskip(NEXT) | instid1(VALU_DEP_2)
	v_dual_sub_nc_u32 v27, 31, v31 :: v_dual_lshlrev_b32 v32, 23, v31
	v_xor_b32_e32 v24, v24, v30
	v_lshrrev_b32_e32 v30, 29, v6
	s_delay_alu instid0(VALU_DEP_3) | instskip(SKIP_1) | instid1(VALU_DEP_4)
	v_alignbit_b32 v29, v29, v25, v27
	v_lshrrev_b32_e32 v6, 30, v6
	v_alignbit_b32 v24, v25, v24, v27
	s_delay_alu instid0(VALU_DEP_4) | instskip(NEXT) | instid1(VALU_DEP_2)
	v_lshlrev_b32_e32 v25, 31, v30
	v_alignbit_b32 v27, v29, v24, 9
	s_delay_alu instid0(VALU_DEP_2) | instskip(SKIP_2) | instid1(VALU_DEP_4)
	v_or_b32_e32 v30, 0.5, v25
	v_lshrrev_b32_e32 v29, 9, v29
	v_or_b32_e32 v25, 0x33000000, v25
	v_clz_i32_u32_e32 v33, v27
	s_delay_alu instid0(VALU_DEP_4) | instskip(NEXT) | instid1(VALU_DEP_2)
	v_sub_nc_u32_e32 v30, v30, v32
	v_min_u32_e32 v32, 32, v33
	s_delay_alu instid0(VALU_DEP_2) | instskip(NEXT) | instid1(VALU_DEP_2)
	v_or_b32_e32 v29, v29, v30
	v_not_b32_e32 v30, v32
	v_add_lshl_u32 v31, v32, v31, 23
	s_delay_alu instid0(VALU_DEP_2) | instskip(NEXT) | instid1(VALU_DEP_1)
	v_alignbit_b32 v24, v27, v24, v30
	v_dual_sub_nc_u32 v25, v25, v31 :: v_dual_lshrrev_b32 v24, 9, v24
	v_mul_f32_e32 v33, 0x3fc90fda, v29
	s_delay_alu instid0(VALU_DEP_2) | instskip(NEXT) | instid1(VALU_DEP_2)
	v_dual_add_nc_u32 v25, v28, v6 :: v_dual_bitop2_b32 v24, v25, v24 bitop3:0x54
	v_fma_f32 v27, 0x3fc90fda, v29, -v33
	s_delay_alu instid0(VALU_DEP_1) | instskip(NEXT) | instid1(VALU_DEP_1)
	v_fmac_f32_e32 v27, 0x33a22168, v29
	v_fmac_f32_e32 v27, 0x3fc90fda, v24
	s_delay_alu instid0(VALU_DEP_1)
	v_add_f32_e32 v24, v33, v27
	s_and_not1_saveexec_b32 s3, s31
	s_branch .LBB132_284
.LBB132_283:                            ;   in Loop: Header=BB132_181 Depth=1
	s_and_not1_saveexec_b32 s3, s31
.LBB132_284:                            ;   in Loop: Header=BB132_181 Depth=1
	v_mul_f32_e64 v6, 0x3f22f983, |v21|
	s_delay_alu instid0(VALU_DEP_1) | instskip(NEXT) | instid1(VALU_DEP_1)
	v_rndne_f32_e32 v6, v6
	v_fma_f32 v24, 0xbfc90fda, v6, |v21|
	v_cvt_i32_f32_e32 v25, v6
	s_delay_alu instid0(VALU_DEP_2) | instskip(NEXT) | instid1(VALU_DEP_1)
	v_fmac_f32_e32 v24, 0xb3a22168, v6
	v_fmac_f32_e32 v24, 0xa7c234c4, v6
; %bb.285:                              ;   in Loop: Header=BB132_181 Depth=1
	s_or_b32 exec_lo, exec_lo, s3
                                        ; implicit-def: $vgpr27
                                        ; implicit-def: $vgpr6
	s_and_saveexec_b32 s3, s30
	s_delay_alu instid0(SALU_CYCLE_1)
	s_xor_b32 s30, exec_lo, s3
	s_cbranch_execz .LBB132_287
; %bb.286:                              ;   in Loop: Header=BB132_181 Depth=1
	v_and_or_b32 v6, v26, s22, 0x800000
	v_dual_lshrrev_b32 v27, 23, v26 :: v_dual_mov_b32 v39, v7
	v_mov_b32_e32 v41, v7
	s_delay_alu instid0(VALU_DEP_3) | instskip(SKIP_1) | instid1(VALU_DEP_4)
	v_mul_u64_e32 v[28:29], s[18:19], v[6:7]
	v_mov_b32_e32 v31, v7
	v_add_nc_u32_e32 v27, 0xffffff88, v27
	s_delay_alu instid0(VALU_DEP_1) | instskip(NEXT) | instid1(VALU_DEP_4)
	v_cmp_lt_u32_e64 s3, 63, v27
	v_mov_b32_e32 v30, v29
	s_delay_alu instid0(VALU_DEP_2) | instskip(NEXT) | instid1(VALU_DEP_2)
	v_cndmask_b32_e64 v29, 0, 0xffffffc0, s3
	v_mad_nc_u64_u32 v[30:31], 0x3c439041, v6, v[30:31]
	s_delay_alu instid0(VALU_DEP_2) | instskip(NEXT) | instid1(VALU_DEP_1)
	v_dual_mov_b32 v33, v7 :: v_dual_add_nc_u32 v27, v29, v27
	v_cmp_lt_u32_e64 s4, 31, v27
	s_delay_alu instid0(VALU_DEP_3) | instskip(NEXT) | instid1(VALU_DEP_2)
	v_mov_b32_e32 v32, v31
	v_cndmask_b32_e64 v29, 0, 0xffffffe0, s4
	s_delay_alu instid0(VALU_DEP_2) | instskip(NEXT) | instid1(VALU_DEP_1)
	v_mad_nc_u64_u32 v[32:33], 0xdb629599, v6, v[32:33]
	v_dual_mov_b32 v35, v7 :: v_dual_mov_b32 v34, v33
	s_delay_alu instid0(VALU_DEP_2) | instskip(NEXT) | instid1(VALU_DEP_2)
	v_cndmask_b32_e64 v28, v32, v28, s3
	v_mad_nc_u64_u32 v[34:35], 0xf534ddc0, v6, v[34:35]
	s_delay_alu instid0(VALU_DEP_1) | instskip(NEXT) | instid1(VALU_DEP_1)
	v_dual_mov_b32 v37, v7 :: v_dual_mov_b32 v36, v35
	v_mad_nc_u64_u32 v[36:37], 0xfc2757d1, v6, v[36:37]
	s_delay_alu instid0(VALU_DEP_1) | instskip(NEXT) | instid1(VALU_DEP_1)
	v_dual_mov_b32 v38, v37 :: v_dual_cndmask_b32 v35, v36, v32, s3
	v_mad_nc_u64_u32 v[38:39], 0x4e441529, v6, v[38:39]
	s_delay_alu instid0(VALU_DEP_1) | instskip(NEXT) | instid1(VALU_DEP_1)
	v_mov_b32_e32 v40, v39
	v_mad_nc_u64_u32 v[40:41], 0xa2f9836e, v6, v[40:41]
	s_delay_alu instid0(VALU_DEP_3) | instskip(NEXT) | instid1(VALU_DEP_1)
	v_dual_add_nc_u32 v6, v29, v27 :: v_dual_cndmask_b32 v29, v38, v34, s3
	v_cmp_lt_u32_e64 s5, 31, v6
	s_delay_alu instid0(VALU_DEP_1) | instskip(NEXT) | instid1(VALU_DEP_4)
	v_cndmask_b32_e64 v27, 0, 0xffffffe0, s5
	v_dual_cndmask_b32 v31, v40, v36, s3 :: v_dual_cndmask_b32 v33, v41, v38, s3
	s_delay_alu instid0(VALU_DEP_2) | instskip(NEXT) | instid1(VALU_DEP_2)
	v_add_nc_u32_e32 v6, v27, v6
	v_dual_cndmask_b32 v27, v34, v30, s3 :: v_dual_cndmask_b32 v30, v31, v29, s4
	s_delay_alu instid0(VALU_DEP_3) | instskip(NEXT) | instid1(VALU_DEP_3)
	v_cndmask_b32_e64 v31, v33, v31, s4
	v_dual_cndmask_b32 v29, v29, v35, s4 :: v_dual_sub_nc_u32 v33, 32, v6
	s_delay_alu instid0(VALU_DEP_3) | instskip(SKIP_1) | instid1(VALU_DEP_3)
	v_cndmask_b32_e64 v34, v35, v27, s4
	v_cmp_eq_u32_e64 s3, 0, v6
	v_dual_cndmask_b32 v31, v31, v30, s5 :: v_dual_cndmask_b32 v30, v30, v29, s5
	s_delay_alu instid0(VALU_DEP_1) | instskip(NEXT) | instid1(VALU_DEP_1)
	v_alignbit_b32 v35, v31, v30, v33
	v_dual_cndmask_b32 v29, v29, v34, s5 :: v_dual_cndmask_b32 v6, v35, v31, s3
	s_delay_alu instid0(VALU_DEP_1) | instskip(NEXT) | instid1(VALU_DEP_1)
	v_alignbit_b32 v32, v30, v29, v33
	v_dual_cndmask_b32 v27, v27, v28, s4 :: v_dual_cndmask_b32 v28, v32, v30, s3
	s_delay_alu instid0(VALU_DEP_3) | instskip(NEXT) | instid1(VALU_DEP_2)
	v_bfe_u32 v30, v6, 29, 1
	v_cndmask_b32_e64 v27, v34, v27, s5
	s_delay_alu instid0(VALU_DEP_3) | instskip(NEXT) | instid1(VALU_DEP_3)
	v_alignbit_b32 v31, v6, v28, 30
	v_sub_nc_u32_e32 v32, 0, v30
	s_delay_alu instid0(VALU_DEP_3) | instskip(NEXT) | instid1(VALU_DEP_1)
	v_alignbit_b32 v33, v29, v27, v33
	v_dual_cndmask_b32 v29, v33, v29, s3 :: v_dual_bitop2_b32 v31, v31, v32 bitop3:0x14
	s_delay_alu instid0(VALU_DEP_1) | instskip(NEXT) | instid1(VALU_DEP_2)
	v_clz_i32_u32_e32 v33, v31
	v_alignbit_b32 v28, v28, v29, 30
	v_alignbit_b32 v27, v29, v27, 30
	s_delay_alu instid0(VALU_DEP_3) | instskip(NEXT) | instid1(VALU_DEP_3)
	v_min_u32_e32 v33, 32, v33
	v_xor_b32_e32 v28, v28, v32
	s_delay_alu instid0(VALU_DEP_3) | instskip(NEXT) | instid1(VALU_DEP_3)
	v_dual_lshrrev_b32 v32, 29, v6 :: v_dual_bitop2_b32 v27, v27, v32 bitop3:0x14
	v_dual_sub_nc_u32 v29, 31, v33 :: v_dual_lshlrev_b32 v34, 23, v33
	s_delay_alu instid0(VALU_DEP_1) | instskip(NEXT) | instid1(VALU_DEP_3)
	v_alignbit_b32 v31, v31, v28, v29
	v_alignbit_b32 v27, v28, v27, v29
	s_delay_alu instid0(VALU_DEP_4) | instskip(NEXT) | instid1(VALU_DEP_2)
	v_lshlrev_b32_e32 v28, 31, v32
	v_alignbit_b32 v29, v31, v27, 9
	s_delay_alu instid0(VALU_DEP_2) | instskip(SKIP_1) | instid1(VALU_DEP_3)
	v_dual_lshrrev_b32 v31, 9, v31 :: v_dual_bitop2_b32 v32, 0.5, v28 bitop3:0x54
	v_or_b32_e32 v28, 0x33000000, v28
	v_clz_i32_u32_e32 v35, v29
	s_delay_alu instid0(VALU_DEP_3) | instskip(NEXT) | instid1(VALU_DEP_2)
	v_sub_nc_u32_e32 v32, v32, v34
	v_min_u32_e32 v34, 32, v35
	s_delay_alu instid0(VALU_DEP_1) | instskip(NEXT) | instid1(VALU_DEP_3)
	v_add_lshl_u32 v33, v34, v33, 23
	v_or_b32_e32 v31, v31, v32
	v_not_b32_e32 v32, v34
	s_delay_alu instid0(VALU_DEP_2) | instskip(NEXT) | instid1(VALU_DEP_2)
	v_dual_mul_f32 v35, 0x3fc90fda, v31 :: v_dual_sub_nc_u32 v28, v28, v33
	v_alignbit_b32 v27, v29, v27, v32
	s_delay_alu instid0(VALU_DEP_2) | instskip(NEXT) | instid1(VALU_DEP_2)
	v_fma_f32 v29, 0x3fc90fda, v31, -v35
	v_lshrrev_b32_e32 v27, 9, v27
	s_delay_alu instid0(VALU_DEP_2) | instskip(NEXT) | instid1(VALU_DEP_2)
	v_fmac_f32_e32 v29, 0x33a22168, v31
	v_or_b32_e32 v27, v28, v27
	s_delay_alu instid0(VALU_DEP_1) | instskip(NEXT) | instid1(VALU_DEP_1)
	v_fmac_f32_e32 v29, 0x3fc90fda, v27
	v_dual_add_f32 v6, v35, v29 :: v_dual_lshrrev_b32 v27, 30, v6
	s_delay_alu instid0(VALU_DEP_1)
	v_add_nc_u32_e32 v27, v30, v27
	s_and_not1_saveexec_b32 s3, s30
	s_cbranch_execnz .LBB132_288
	s_branch .LBB132_289
.LBB132_287:                            ;   in Loop: Header=BB132_181 Depth=1
	s_and_not1_saveexec_b32 s3, s30
.LBB132_288:                            ;   in Loop: Header=BB132_181 Depth=1
	v_mul_f32_e64 v6, 0x3f22f983, |v21|
	s_delay_alu instid0(VALU_DEP_1) | instskip(NEXT) | instid1(VALU_DEP_1)
	v_rndne_f32_e32 v27, v6
	v_fma_f32 v6, 0xbfc90fda, v27, |v21|
	s_delay_alu instid0(VALU_DEP_1) | instskip(NEXT) | instid1(VALU_DEP_1)
	v_fmac_f32_e32 v6, 0xb3a22168, v27
	v_fmac_f32_e32 v6, 0xa7c234c4, v27
	v_cvt_i32_f32_e32 v27, v27
.LBB132_289:                            ;   in Loop: Header=BB132_181 Depth=1
	s_or_b32 exec_lo, exec_lo, s3
	s_delay_alu instid0(VALU_DEP_2) | instskip(SKIP_2) | instid1(VALU_DEP_3)
	v_dual_mul_f32 v28, 0x3fb8aa3b, v20 :: v_dual_mul_f32 v31, v6, v6
	v_dual_mul_f32 v29, v24, v24 :: v_dual_bitop2_b32 v30, 1, v25 bitop3:0x40
	v_cmp_nlt_f32_e64 s4, 0x42b17218, v20
	v_rndne_f32_e32 v32, v28
	v_fma_f32 v33, 0x3fb8aa3b, v20, -v28
	s_delay_alu instid0(VALU_DEP_4)
	v_fmaak_f32 v35, s24, v29, 0xbab64f3b
	v_fmaak_f32 v34, s23, v29, 0x3c0881c4
	v_dual_fmaak_f32 v36, s23, v31, 0x3c0881c4 :: v_dual_lshlrev_b32 v25, 30, v25
	v_sub_f32_e32 v28, v28, v32
	v_fmac_f32_e32 v33, 0x32a5705f, v20
	v_fmaak_f32 v37, s24, v31, 0xbab64f3b
	v_cvt_i32_f32_e32 v32, v32
	v_fmaak_f32 v36, v31, v36, 0xbe2aaa9d
	s_delay_alu instid0(VALU_DEP_4) | instskip(SKIP_1) | instid1(VALU_DEP_2)
	v_dual_fmaak_f32 v35, v29, v35, 0x3d2aabf7 :: v_dual_add_f32 v28, v28, v33
	v_cmp_eq_u32_e64 s3, 0, v30
	v_dual_mul_f32 v36, v31, v36 :: v_dual_fmaak_f32 v35, v29, v35, 0xbf000004
	s_delay_alu instid0(VALU_DEP_3) | instskip(NEXT) | instid1(VALU_DEP_1)
	v_exp_f32_e32 v28, v28
	v_fmac_f32_e32 v6, v6, v36
	s_delay_alu instid0(TRANS32_DEP_1) | instskip(SKIP_2) | instid1(VALU_DEP_2)
	v_ldexp_f32 v28, v28, v32
	v_dual_lshlrev_b32 v27, 30, v27 :: v_dual_bitop2_b32 v32, 1, v27 bitop3:0x40
	v_fmaak_f32 v34, v29, v34, 0xbe2aaa9d
	v_and_or_b32 v26, 0x80000000, v27, v26
	s_delay_alu instid0(VALU_DEP_2) | instskip(SKIP_1) | instid1(VALU_DEP_2)
	v_dual_mul_f32 v34, v29, v34 :: v_dual_fmaak_f32 v33, v31, v37, 0x3d2aabf7
	v_fma_f32 v29, v29, v35, 1.0
	v_dual_fmac_f32 v24, v24, v34 :: v_dual_fmaak_f32 v33, v31, v33, 0xbf000004
	s_delay_alu instid0(VALU_DEP_1) | instskip(NEXT) | instid1(VALU_DEP_2)
	v_cndmask_b32_e64 v24, -v24, v29, s3
	v_fma_f32 v31, v31, v33, 1.0
	v_cmp_eq_u32_e64 s3, 0, v32
	s_delay_alu instid0(VALU_DEP_3) | instskip(NEXT) | instid1(VALU_DEP_2)
	v_bitop3_b32 v24, v25, v24, 0x80000000 bitop3:0x6c
	v_cndmask_b32_e64 v6, v31, v6, s3
	v_cmp_ngt_f32_e64 s3, 0xc2ce8ed0, v20
	s_delay_alu instid0(VALU_DEP_1) | instskip(SKIP_1) | instid1(VALU_DEP_4)
	v_cndmask_b32_e64 v27, 0, v28, s3
	v_cmp_class_f32_e64 s3, v21, 0x1f8
	v_xor3_b32 v6, v26, v6, v21
                                        ; implicit-def: $vgpr26
	s_delay_alu instid0(VALU_DEP_3) | instskip(NEXT) | instid1(VALU_DEP_3)
	v_cndmask_b32_e64 v20, 0x7f800000, v27, s4
	v_cndmask_b32_e64 v21, 0x7fc00000, v24, s3
	s_delay_alu instid0(VALU_DEP_3) | instskip(NEXT) | instid1(VALU_DEP_1)
	v_cndmask_b32_e64 v6, 0x7fc00000, v6, s3
	v_dual_mul_f32 v24, v20, v21 :: v_dual_mul_f32 v25, v20, v6
                                        ; implicit-def: $vgpr21
.LBB132_290:                            ;   in Loop: Header=BB132_181 Depth=1
	s_and_not1_saveexec_b32 s29, s29
	s_cbranch_execz .LBB132_300
; %bb.291:                              ;   in Loop: Header=BB132_181 Depth=1
	v_cmp_ngt_f32_e64 s30, 0x48000000, |v21|
                                        ; implicit-def: $vgpr25
                                        ; implicit-def: $vgpr24
	s_and_saveexec_b32 s3, s30
	s_delay_alu instid0(SALU_CYCLE_1)
	s_xor_b32 s31, exec_lo, s3
	s_cbranch_execz .LBB132_293
; %bb.292:                              ;   in Loop: Header=BB132_181 Depth=1
	v_and_or_b32 v6, v26, s22, 0x800000
	v_mov_b32_e32 v37, v7
	s_delay_alu instid0(VALU_DEP_2) | instskip(NEXT) | instid1(VALU_DEP_1)
	v_mul_u64_e32 v[24:25], s[18:19], v[6:7]
	v_dual_mov_b32 v29, v7 :: v_dual_mov_b32 v28, v25
	v_lshrrev_b32_e32 v25, 23, v26
	s_delay_alu instid0(VALU_DEP_2) | instskip(SKIP_1) | instid1(VALU_DEP_3)
	v_mad_nc_u64_u32 v[28:29], 0x3c439041, v6, v[28:29]
	v_mov_b32_e32 v31, v7
	v_add_nc_u32_e32 v25, 0xffffff88, v25
	s_delay_alu instid0(VALU_DEP_1) | instskip(NEXT) | instid1(VALU_DEP_4)
	v_cmp_lt_u32_e64 s3, 63, v25
	v_mov_b32_e32 v30, v29
	s_delay_alu instid0(VALU_DEP_2) | instskip(NEXT) | instid1(VALU_DEP_2)
	v_cndmask_b32_e64 v27, 0, 0xffffffc0, s3
	v_mad_nc_u64_u32 v[30:31], 0xdb629599, v6, v[30:31]
	s_delay_alu instid0(VALU_DEP_1) | instskip(NEXT) | instid1(VALU_DEP_2)
	v_dual_mov_b32 v33, v7 :: v_dual_mov_b32 v32, v31
	v_cndmask_b32_e64 v24, v30, v24, s3
	s_delay_alu instid0(VALU_DEP_2) | instskip(NEXT) | instid1(VALU_DEP_1)
	v_mad_nc_u64_u32 v[32:33], 0xf534ddc0, v6, v[32:33]
	v_dual_mov_b32 v35, v7 :: v_dual_mov_b32 v34, v33
	s_delay_alu instid0(VALU_DEP_1) | instskip(NEXT) | instid1(VALU_DEP_1)
	v_mad_nc_u64_u32 v[34:35], 0xfc2757d1, v6, v[34:35]
	v_dual_mov_b32 v36, v35 :: v_dual_cndmask_b32 v33, v34, v30, s3
	s_delay_alu instid0(VALU_DEP_1) | instskip(SKIP_1) | instid1(VALU_DEP_2)
	v_mad_nc_u64_u32 v[36:37], 0x4e441529, v6, v[36:37]
	v_add_nc_u32_e32 v25, v27, v25
	v_dual_mov_b32 v39, v7 :: v_dual_mov_b32 v38, v37
	s_delay_alu instid0(VALU_DEP_2) | instskip(NEXT) | instid1(VALU_DEP_2)
	v_cmp_lt_u32_e64 s4, 31, v25
	v_mad_nc_u64_u32 v[38:39], 0xa2f9836e, v6, v[38:39]
	s_delay_alu instid0(VALU_DEP_2) | instskip(NEXT) | instid1(VALU_DEP_1)
	v_cndmask_b32_e64 v27, 0, 0xffffffe0, s4
	v_dual_add_nc_u32 v6, v27, v25 :: v_dual_cndmask_b32 v27, v36, v32, s3
	s_delay_alu instid0(VALU_DEP_3) | instskip(NEXT) | instid1(VALU_DEP_2)
	v_dual_cndmask_b32 v29, v38, v34, s3 :: v_dual_cndmask_b32 v31, v39, v36, s3
	v_cmp_lt_u32_e64 s5, 31, v6
	s_delay_alu instid0(VALU_DEP_1) | instskip(NEXT) | instid1(VALU_DEP_1)
	v_cndmask_b32_e64 v25, 0, 0xffffffe0, s5
	v_dual_add_nc_u32 v6, v25, v6 :: v_dual_cndmask_b32 v25, v32, v28, s3
	s_delay_alu instid0(VALU_DEP_4) | instskip(NEXT) | instid1(VALU_DEP_2)
	v_dual_cndmask_b32 v28, v29, v27, s4 :: v_dual_cndmask_b32 v29, v31, v29, s4
	v_dual_cndmask_b32 v27, v27, v33, s4 :: v_dual_sub_nc_u32 v31, 32, v6
	s_delay_alu instid0(VALU_DEP_3) | instskip(SKIP_1) | instid1(VALU_DEP_3)
	v_cndmask_b32_e64 v32, v33, v25, s4
	v_cmp_eq_u32_e64 s3, 0, v6
	v_dual_cndmask_b32 v29, v29, v28, s5 :: v_dual_cndmask_b32 v28, v28, v27, s5
	s_delay_alu instid0(VALU_DEP_3) | instskip(SKIP_1) | instid1(VALU_DEP_2)
	v_cndmask_b32_e64 v27, v27, v32, s5
	v_cndmask_b32_e64 v24, v25, v24, s4
	v_alignbit_b32 v30, v28, v27, v31
	s_delay_alu instid0(VALU_DEP_1) | instskip(SKIP_1) | instid1(VALU_DEP_1)
	v_cndmask_b32_e64 v25, v30, v28, s3
	v_alignbit_b32 v33, v29, v28, v31
	v_cndmask_b32_e64 v6, v33, v29, s3
	s_delay_alu instid0(VALU_DEP_1) | instskip(NEXT) | instid1(VALU_DEP_4)
	v_bfe_u32 v28, v6, 29, 1
	v_alignbit_b32 v29, v6, v25, 30
	s_delay_alu instid0(VALU_DEP_2) | instskip(NEXT) | instid1(VALU_DEP_1)
	v_sub_nc_u32_e32 v30, 0, v28
	v_dual_cndmask_b32 v24, v32, v24, s5 :: v_dual_bitop2_b32 v29, v29, v30 bitop3:0x14
	s_delay_alu instid0(VALU_DEP_1) | instskip(NEXT) | instid1(VALU_DEP_1)
	v_alignbit_b32 v31, v27, v24, v31
	v_cndmask_b32_e64 v27, v31, v27, s3
	s_delay_alu instid0(VALU_DEP_3) | instskip(NEXT) | instid1(VALU_DEP_2)
	v_clz_i32_u32_e32 v31, v29
	v_alignbit_b32 v25, v25, v27, 30
	s_delay_alu instid0(VALU_DEP_2) | instskip(NEXT) | instid1(VALU_DEP_2)
	v_min_u32_e32 v31, 32, v31
	v_xor_b32_e32 v25, v25, v30
	v_alignbit_b32 v24, v27, v24, 30
	s_delay_alu instid0(VALU_DEP_3) | instskip(NEXT) | instid1(VALU_DEP_2)
	v_dual_sub_nc_u32 v27, 31, v31 :: v_dual_lshlrev_b32 v32, 23, v31
	v_xor_b32_e32 v24, v24, v30
	v_lshrrev_b32_e32 v30, 29, v6
	s_delay_alu instid0(VALU_DEP_3) | instskip(SKIP_1) | instid1(VALU_DEP_4)
	v_alignbit_b32 v29, v29, v25, v27
	v_lshrrev_b32_e32 v6, 30, v6
	v_alignbit_b32 v24, v25, v24, v27
	s_delay_alu instid0(VALU_DEP_4) | instskip(NEXT) | instid1(VALU_DEP_2)
	v_lshlrev_b32_e32 v25, 31, v30
	v_alignbit_b32 v27, v29, v24, 9
	s_delay_alu instid0(VALU_DEP_2) | instskip(SKIP_2) | instid1(VALU_DEP_4)
	v_or_b32_e32 v30, 0.5, v25
	v_lshrrev_b32_e32 v29, 9, v29
	v_or_b32_e32 v25, 0x33000000, v25
	v_clz_i32_u32_e32 v33, v27
	s_delay_alu instid0(VALU_DEP_4) | instskip(NEXT) | instid1(VALU_DEP_2)
	v_sub_nc_u32_e32 v30, v30, v32
	v_min_u32_e32 v32, 32, v33
	s_delay_alu instid0(VALU_DEP_2) | instskip(NEXT) | instid1(VALU_DEP_2)
	v_or_b32_e32 v29, v29, v30
	v_not_b32_e32 v30, v32
	v_add_lshl_u32 v31, v32, v31, 23
	s_delay_alu instid0(VALU_DEP_2) | instskip(NEXT) | instid1(VALU_DEP_1)
	v_alignbit_b32 v24, v27, v24, v30
	v_dual_sub_nc_u32 v25, v25, v31 :: v_dual_lshrrev_b32 v24, 9, v24
	v_mul_f32_e32 v33, 0x3fc90fda, v29
	s_delay_alu instid0(VALU_DEP_2) | instskip(NEXT) | instid1(VALU_DEP_2)
	v_dual_add_nc_u32 v25, v28, v6 :: v_dual_bitop2_b32 v24, v25, v24 bitop3:0x54
	v_fma_f32 v27, 0x3fc90fda, v29, -v33
	s_delay_alu instid0(VALU_DEP_1) | instskip(NEXT) | instid1(VALU_DEP_1)
	v_fmac_f32_e32 v27, 0x33a22168, v29
	v_fmac_f32_e32 v27, 0x3fc90fda, v24
	s_delay_alu instid0(VALU_DEP_1)
	v_add_f32_e32 v24, v33, v27
	s_and_not1_saveexec_b32 s3, s31
	s_branch .LBB132_294
.LBB132_293:                            ;   in Loop: Header=BB132_181 Depth=1
	s_and_not1_saveexec_b32 s3, s31
.LBB132_294:                            ;   in Loop: Header=BB132_181 Depth=1
	v_mul_f32_e64 v6, 0x3f22f983, |v21|
	s_delay_alu instid0(VALU_DEP_1) | instskip(NEXT) | instid1(VALU_DEP_1)
	v_rndne_f32_e32 v6, v6
	v_fma_f32 v24, 0xbfc90fda, v6, |v21|
	v_cvt_i32_f32_e32 v25, v6
	s_delay_alu instid0(VALU_DEP_2) | instskip(NEXT) | instid1(VALU_DEP_1)
	v_fmac_f32_e32 v24, 0xb3a22168, v6
	v_fmac_f32_e32 v24, 0xa7c234c4, v6
; %bb.295:                              ;   in Loop: Header=BB132_181 Depth=1
	s_or_b32 exec_lo, exec_lo, s3
                                        ; implicit-def: $vgpr27
                                        ; implicit-def: $vgpr6
	s_and_saveexec_b32 s3, s30
	s_delay_alu instid0(SALU_CYCLE_1)
	s_xor_b32 s30, exec_lo, s3
	s_cbranch_execz .LBB132_297
; %bb.296:                              ;   in Loop: Header=BB132_181 Depth=1
	v_and_or_b32 v6, v26, s22, 0x800000
	v_dual_lshrrev_b32 v27, 23, v26 :: v_dual_mov_b32 v39, v7
	v_mov_b32_e32 v41, v7
	s_delay_alu instid0(VALU_DEP_3) | instskip(SKIP_1) | instid1(VALU_DEP_4)
	v_mul_u64_e32 v[28:29], s[18:19], v[6:7]
	v_mov_b32_e32 v31, v7
	v_add_nc_u32_e32 v27, 0xffffff88, v27
	s_delay_alu instid0(VALU_DEP_1) | instskip(NEXT) | instid1(VALU_DEP_4)
	v_cmp_lt_u32_e64 s3, 63, v27
	v_mov_b32_e32 v30, v29
	s_delay_alu instid0(VALU_DEP_2) | instskip(NEXT) | instid1(VALU_DEP_2)
	v_cndmask_b32_e64 v29, 0, 0xffffffc0, s3
	v_mad_nc_u64_u32 v[30:31], 0x3c439041, v6, v[30:31]
	s_delay_alu instid0(VALU_DEP_2) | instskip(NEXT) | instid1(VALU_DEP_1)
	v_dual_mov_b32 v33, v7 :: v_dual_add_nc_u32 v27, v29, v27
	v_cmp_lt_u32_e64 s4, 31, v27
	s_delay_alu instid0(VALU_DEP_3) | instskip(NEXT) | instid1(VALU_DEP_2)
	v_mov_b32_e32 v32, v31
	v_cndmask_b32_e64 v29, 0, 0xffffffe0, s4
	s_delay_alu instid0(VALU_DEP_2) | instskip(NEXT) | instid1(VALU_DEP_1)
	v_mad_nc_u64_u32 v[32:33], 0xdb629599, v6, v[32:33]
	v_dual_mov_b32 v35, v7 :: v_dual_mov_b32 v34, v33
	s_delay_alu instid0(VALU_DEP_2) | instskip(NEXT) | instid1(VALU_DEP_2)
	v_cndmask_b32_e64 v28, v32, v28, s3
	v_mad_nc_u64_u32 v[34:35], 0xf534ddc0, v6, v[34:35]
	s_delay_alu instid0(VALU_DEP_1) | instskip(NEXT) | instid1(VALU_DEP_1)
	v_dual_mov_b32 v37, v7 :: v_dual_mov_b32 v36, v35
	v_mad_nc_u64_u32 v[36:37], 0xfc2757d1, v6, v[36:37]
	s_delay_alu instid0(VALU_DEP_1) | instskip(NEXT) | instid1(VALU_DEP_1)
	v_dual_mov_b32 v38, v37 :: v_dual_cndmask_b32 v35, v36, v32, s3
	v_mad_nc_u64_u32 v[38:39], 0x4e441529, v6, v[38:39]
	s_delay_alu instid0(VALU_DEP_1) | instskip(NEXT) | instid1(VALU_DEP_1)
	v_mov_b32_e32 v40, v39
	v_mad_nc_u64_u32 v[40:41], 0xa2f9836e, v6, v[40:41]
	s_delay_alu instid0(VALU_DEP_3) | instskip(NEXT) | instid1(VALU_DEP_1)
	v_dual_add_nc_u32 v6, v29, v27 :: v_dual_cndmask_b32 v29, v38, v34, s3
	v_cmp_lt_u32_e64 s5, 31, v6
	s_delay_alu instid0(VALU_DEP_1) | instskip(NEXT) | instid1(VALU_DEP_4)
	v_cndmask_b32_e64 v27, 0, 0xffffffe0, s5
	v_dual_cndmask_b32 v31, v40, v36, s3 :: v_dual_cndmask_b32 v33, v41, v38, s3
	s_delay_alu instid0(VALU_DEP_2) | instskip(NEXT) | instid1(VALU_DEP_2)
	v_add_nc_u32_e32 v6, v27, v6
	v_dual_cndmask_b32 v27, v34, v30, s3 :: v_dual_cndmask_b32 v30, v31, v29, s4
	s_delay_alu instid0(VALU_DEP_3) | instskip(NEXT) | instid1(VALU_DEP_3)
	v_cndmask_b32_e64 v31, v33, v31, s4
	v_dual_cndmask_b32 v29, v29, v35, s4 :: v_dual_sub_nc_u32 v33, 32, v6
	s_delay_alu instid0(VALU_DEP_3) | instskip(SKIP_1) | instid1(VALU_DEP_3)
	v_cndmask_b32_e64 v34, v35, v27, s4
	v_cmp_eq_u32_e64 s3, 0, v6
	v_dual_cndmask_b32 v31, v31, v30, s5 :: v_dual_cndmask_b32 v30, v30, v29, s5
	s_delay_alu instid0(VALU_DEP_1) | instskip(NEXT) | instid1(VALU_DEP_1)
	v_alignbit_b32 v35, v31, v30, v33
	v_dual_cndmask_b32 v29, v29, v34, s5 :: v_dual_cndmask_b32 v6, v35, v31, s3
	s_delay_alu instid0(VALU_DEP_1) | instskip(NEXT) | instid1(VALU_DEP_1)
	v_alignbit_b32 v32, v30, v29, v33
	v_dual_cndmask_b32 v27, v27, v28, s4 :: v_dual_cndmask_b32 v28, v32, v30, s3
	s_delay_alu instid0(VALU_DEP_3) | instskip(NEXT) | instid1(VALU_DEP_2)
	v_bfe_u32 v30, v6, 29, 1
	v_cndmask_b32_e64 v27, v34, v27, s5
	s_delay_alu instid0(VALU_DEP_3) | instskip(NEXT) | instid1(VALU_DEP_3)
	v_alignbit_b32 v31, v6, v28, 30
	v_sub_nc_u32_e32 v32, 0, v30
	s_delay_alu instid0(VALU_DEP_3) | instskip(NEXT) | instid1(VALU_DEP_1)
	v_alignbit_b32 v33, v29, v27, v33
	v_dual_cndmask_b32 v29, v33, v29, s3 :: v_dual_bitop2_b32 v31, v31, v32 bitop3:0x14
	s_delay_alu instid0(VALU_DEP_1) | instskip(NEXT) | instid1(VALU_DEP_2)
	v_clz_i32_u32_e32 v33, v31
	v_alignbit_b32 v28, v28, v29, 30
	v_alignbit_b32 v27, v29, v27, 30
	s_delay_alu instid0(VALU_DEP_3) | instskip(NEXT) | instid1(VALU_DEP_3)
	v_min_u32_e32 v33, 32, v33
	v_xor_b32_e32 v28, v28, v32
	s_delay_alu instid0(VALU_DEP_3) | instskip(NEXT) | instid1(VALU_DEP_3)
	v_dual_lshrrev_b32 v32, 29, v6 :: v_dual_bitop2_b32 v27, v27, v32 bitop3:0x14
	v_dual_sub_nc_u32 v29, 31, v33 :: v_dual_lshlrev_b32 v34, 23, v33
	s_delay_alu instid0(VALU_DEP_1) | instskip(NEXT) | instid1(VALU_DEP_3)
	v_alignbit_b32 v31, v31, v28, v29
	v_alignbit_b32 v27, v28, v27, v29
	s_delay_alu instid0(VALU_DEP_4) | instskip(NEXT) | instid1(VALU_DEP_2)
	v_lshlrev_b32_e32 v28, 31, v32
	v_alignbit_b32 v29, v31, v27, 9
	s_delay_alu instid0(VALU_DEP_2) | instskip(SKIP_1) | instid1(VALU_DEP_3)
	v_dual_lshrrev_b32 v31, 9, v31 :: v_dual_bitop2_b32 v32, 0.5, v28 bitop3:0x54
	v_or_b32_e32 v28, 0x33000000, v28
	v_clz_i32_u32_e32 v35, v29
	s_delay_alu instid0(VALU_DEP_3) | instskip(NEXT) | instid1(VALU_DEP_2)
	v_sub_nc_u32_e32 v32, v32, v34
	v_min_u32_e32 v34, 32, v35
	s_delay_alu instid0(VALU_DEP_1) | instskip(NEXT) | instid1(VALU_DEP_3)
	v_add_lshl_u32 v33, v34, v33, 23
	v_or_b32_e32 v31, v31, v32
	v_not_b32_e32 v32, v34
	s_delay_alu instid0(VALU_DEP_2) | instskip(NEXT) | instid1(VALU_DEP_2)
	v_dual_mul_f32 v35, 0x3fc90fda, v31 :: v_dual_sub_nc_u32 v28, v28, v33
	v_alignbit_b32 v27, v29, v27, v32
	s_delay_alu instid0(VALU_DEP_2) | instskip(NEXT) | instid1(VALU_DEP_2)
	v_fma_f32 v29, 0x3fc90fda, v31, -v35
	v_lshrrev_b32_e32 v27, 9, v27
	s_delay_alu instid0(VALU_DEP_2) | instskip(NEXT) | instid1(VALU_DEP_2)
	v_fmac_f32_e32 v29, 0x33a22168, v31
	v_or_b32_e32 v27, v28, v27
	s_delay_alu instid0(VALU_DEP_1) | instskip(NEXT) | instid1(VALU_DEP_1)
	v_fmac_f32_e32 v29, 0x3fc90fda, v27
	v_dual_add_f32 v6, v35, v29 :: v_dual_lshrrev_b32 v27, 30, v6
	s_delay_alu instid0(VALU_DEP_1)
	v_add_nc_u32_e32 v27, v30, v27
	s_and_not1_saveexec_b32 s3, s30
	s_cbranch_execnz .LBB132_298
	s_branch .LBB132_299
.LBB132_297:                            ;   in Loop: Header=BB132_181 Depth=1
	s_and_not1_saveexec_b32 s3, s30
.LBB132_298:                            ;   in Loop: Header=BB132_181 Depth=1
	v_mul_f32_e64 v6, 0x3f22f983, |v21|
	s_delay_alu instid0(VALU_DEP_1) | instskip(NEXT) | instid1(VALU_DEP_1)
	v_rndne_f32_e32 v27, v6
	v_fma_f32 v6, 0xbfc90fda, v27, |v21|
	s_delay_alu instid0(VALU_DEP_1) | instskip(NEXT) | instid1(VALU_DEP_1)
	v_fmac_f32_e32 v6, 0xb3a22168, v27
	v_fmac_f32_e32 v6, 0xa7c234c4, v27
	v_cvt_i32_f32_e32 v27, v27
.LBB132_299:                            ;   in Loop: Header=BB132_181 Depth=1
	s_or_b32 exec_lo, exec_lo, s3
	v_add_f32_e32 v20, 0xc322e3bc, v20
	s_delay_alu instid0(VALU_DEP_2) | instskip(NEXT) | instid1(VALU_DEP_2)
	v_dual_mul_f32 v31, v24, v24 :: v_dual_bitop2_b32 v32, 1, v27 bitop3:0x40
	v_dual_mul_f32 v28, 0x3fb8aa3b, v20 :: v_dual_lshlrev_b32 v27, 30, v27
	s_delay_alu instid0(VALU_DEP_2) | instskip(NEXT) | instid1(VALU_DEP_2)
	v_fmaak_f32 v33, s24, v31, 0xbab64f3b
	v_and_or_b32 v26, 0x80000000, v27, v26
	s_delay_alu instid0(VALU_DEP_3) | instskip(SKIP_1) | instid1(VALU_DEP_4)
	v_fma_f32 v29, 0x3fb8aa3b, v20, -v28
	v_rndne_f32_e32 v30, v28
	v_fmaak_f32 v27, v31, v33, 0x3d2aabf7
	s_delay_alu instid0(VALU_DEP_2) | instskip(NEXT) | instid1(VALU_DEP_1)
	v_dual_fmac_f32 v29, 0x32a5705f, v20 :: v_dual_sub_f32 v28, v28, v30
	v_add_f32_e32 v28, v28, v29
	v_cvt_i32_f32_e32 v29, v30
	v_dual_lshlrev_b32 v30, 30, v25 :: v_dual_bitop2_b32 v25, 1, v25 bitop3:0x40
	s_delay_alu instid0(VALU_DEP_3) | instskip(SKIP_1) | instid1(TRANS32_DEP_1)
	v_exp_f32_e32 v28, v28
	v_nop
	v_ldexp_f32 v28, v28, v29
	v_dual_mul_f32 v29, v6, v6 :: v_dual_fmaak_f32 v34, s23, v31, 0x3c0881c4
	v_cmp_ngt_f32_e64 s3, 0xc2ce8ed0, v20
	s_delay_alu instid0(VALU_DEP_2) | instskip(NEXT) | instid1(VALU_DEP_3)
	v_fmaak_f32 v35, s23, v29, 0x3c0881c4
	v_fmaak_f32 v33, v31, v34, 0xbe2aaa9d
	s_delay_alu instid0(VALU_DEP_3) | instskip(SKIP_1) | instid1(VALU_DEP_3)
	v_cndmask_b32_e64 v28, 0, v28, s3
	v_cmp_nlt_f32_e64 s3, 0x42b17218, v20
	v_mul_f32_e32 v33, v31, v33
	v_fmaak_f32 v35, v29, v35, 0xbe2aaa9d
	s_delay_alu instid0(VALU_DEP_3) | instskip(SKIP_1) | instid1(VALU_DEP_4)
	v_cndmask_b32_e64 v20, 0x7f800000, v28, s3
	v_cmp_eq_u32_e64 s3, 0, v25
	v_fmac_f32_e32 v24, v24, v33
	s_delay_alu instid0(VALU_DEP_4) | instskip(NEXT) | instid1(VALU_DEP_4)
	v_dual_fmaak_f32 v28, s24, v29, 0xbab64f3b :: v_dual_mul_f32 v35, v29, v35
	v_lshrrev_b32_e32 v34, 23, v20
	v_and_or_b32 v20, 0x7fffff, v20, s25
	s_delay_alu instid0(VALU_DEP_3) | instskip(SKIP_1) | instid1(VALU_DEP_4)
	v_fmaak_f32 v28, v29, v28, 0x3d2aabf7
	v_fmaak_f32 v27, v31, v27, 0xbf000004
	v_subrev_nc_u32_e32 v34, 19, v34
	v_fmac_f32_e32 v6, v6, v35
	s_delay_alu instid0(VALU_DEP_4) | instskip(NEXT) | instid1(VALU_DEP_4)
	v_fmaak_f32 v28, v29, v28, 0xbf000004
	v_fma_f32 v27, v31, v27, 1.0
	s_delay_alu instid0(VALU_DEP_4) | instskip(NEXT) | instid1(VALU_DEP_3)
	v_lshrrev_b16 v31, 15, v34
	v_fma_f32 v28, v29, v28, 1.0
	s_delay_alu instid0(VALU_DEP_3) | instskip(SKIP_1) | instid1(VALU_DEP_4)
	v_cndmask_b32_e64 v24, -v24, v27, s3
	v_cmp_eq_u32_e64 s3, 0, v32
	v_add_nc_u16 v25, v34, v31
	s_delay_alu instid0(VALU_DEP_3) | instskip(NEXT) | instid1(VALU_DEP_3)
	v_bitop3_b32 v24, v30, v24, 0x80000000 bitop3:0x6c
	v_cndmask_b32_e64 v6, v28, v6, s3
	s_delay_alu instid0(VALU_DEP_3) | instskip(SKIP_1) | instid1(VALU_DEP_3)
	v_ashrrev_i16 v25, 1, v25
	v_cmp_class_f32_e64 s3, v21, 0x1f8
	v_xor3_b32 v6, v26, v6, v21
	s_delay_alu instid0(VALU_DEP_2) | instskip(NEXT) | instid1(VALU_DEP_4)
	v_cndmask_b32_e64 v21, 0x7fc00000, v24, s3
	v_bfe_i32 v24, v25, 0, 16
	s_delay_alu instid0(VALU_DEP_3) | instskip(NEXT) | instid1(VALU_DEP_3)
	v_cndmask_b32_e64 v6, 0x7fc00000, v6, s3
	v_mul_f32_e32 v21, v21, v20
	s_delay_alu instid0(VALU_DEP_3) | instskip(SKIP_1) | instid1(VALU_DEP_2)
	v_lshl_add_u32 v25, v24, 23, 1.0
	v_sub_nc_u32_e32 v24, v34, v24
	v_dual_mul_f32 v6, v6, v20 :: v_dual_mul_f32 v20, v21, v25
	s_delay_alu instid0(VALU_DEP_2) | instskip(NEXT) | instid1(VALU_DEP_2)
	v_lshl_add_u32 v21, v24, 23, 1.0
	v_mul_f32_e32 v6, v6, v25
	s_delay_alu instid0(VALU_DEP_1)
	v_dual_mul_f32 v24, v20, v21 :: v_dual_mul_f32 v25, v6, v21
.LBB132_300:                            ;   in Loop: Header=BB132_181 Depth=1
	s_or_b32 exec_lo, exec_lo, s29
                                        ; implicit-def: $vgpr20
                                        ; implicit-def: $vgpr6
.LBB132_301:                            ;   in Loop: Header=BB132_181 Depth=1
	s_and_not1_saveexec_b32 s4, s28
	s_cbranch_execz .LBB132_307
; %bb.302:                              ;   in Loop: Header=BB132_181 Depth=1
	v_cmp_ne_u32_e64 s3, 0x7f800000, v6
                                        ; implicit-def: $vgpr25
	s_and_saveexec_b32 s5, s3
	s_delay_alu instid0(SALU_CYCLE_1)
	s_xor_b32 s3, exec_lo, s5
; %bb.303:                              ;   in Loop: Header=BB132_181 Depth=1
	v_sub_f32_e32 v25, v21, v21
                                        ; implicit-def: $vgpr20
; %bb.304:                              ;   in Loop: Header=BB132_181 Depth=1
	s_or_saveexec_b32 s5, s3
	s_delay_alu instid0(VALU_DEP_1)
	v_mov_b32_e32 v24, v25
	s_xor_b32 exec_lo, exec_lo, s5
; %bb.305:                              ;   in Loop: Header=BB132_181 Depth=1
	v_cmp_lt_i32_e64 s3, -1, v20
	s_delay_alu instid0(VALU_DEP_1) | instskip(NEXT) | instid1(VALU_DEP_1)
	v_dual_sub_f32 v6, v21, v21 :: v_dual_cndmask_b32 v24, 0, v20, s3
	v_cndmask_b32_e64 v25, 0, v6, s3
; %bb.306:                              ;   in Loop: Header=BB132_181 Depth=1
	s_or_b32 exec_lo, exec_lo, s5
.LBB132_307:                            ;   in Loop: Header=BB132_181 Depth=1
	s_delay_alu instid0(SALU_CYCLE_1)
	s_or_b32 exec_lo, exec_lo, s4
                                        ; implicit-def: $vgpr21
                                        ; implicit-def: $vgpr26
.LBB132_308:                            ;   in Loop: Header=BB132_181 Depth=1
	s_and_not1_saveexec_b32 s27, s27
	s_cbranch_execz .LBB132_318
; %bb.309:                              ;   in Loop: Header=BB132_181 Depth=1
	v_cmp_ngt_f32_e64 s28, 0x48000000, |v21|
                                        ; implicit-def: $vgpr24
                                        ; implicit-def: $vgpr20
	s_and_saveexec_b32 s3, s28
	s_delay_alu instid0(SALU_CYCLE_1)
	s_xor_b32 s29, exec_lo, s3
	s_cbranch_execz .LBB132_311
; %bb.310:                              ;   in Loop: Header=BB132_181 Depth=1
	v_and_or_b32 v6, v26, s22, 0x800000
	v_dual_mov_b32 v37, v7 :: v_dual_lshrrev_b32 v20, 23, v26
	v_mov_b32_e32 v39, v7
	s_delay_alu instid0(VALU_DEP_3) | instskip(NEXT) | instid1(VALU_DEP_3)
	v_mul_u64_e32 v[24:25], s[18:19], v[6:7]
	v_dual_mov_b32 v29, v7 :: v_dual_add_nc_u32 v20, 0xffffff88, v20
	s_delay_alu instid0(VALU_DEP_1) | instskip(NEXT) | instid1(VALU_DEP_3)
	v_cmp_lt_u32_e64 s3, 63, v20
	v_mov_b32_e32 v28, v25
	s_delay_alu instid0(VALU_DEP_2) | instskip(NEXT) | instid1(VALU_DEP_2)
	v_cndmask_b32_e64 v25, 0, 0xffffffc0, s3
	v_mad_nc_u64_u32 v[28:29], 0x3c439041, v6, v[28:29]
	s_delay_alu instid0(VALU_DEP_2) | instskip(NEXT) | instid1(VALU_DEP_1)
	v_dual_mov_b32 v31, v7 :: v_dual_add_nc_u32 v20, v25, v20
	v_cmp_lt_u32_e64 s4, 31, v20
	s_delay_alu instid0(VALU_DEP_3) | instskip(NEXT) | instid1(VALU_DEP_2)
	v_mov_b32_e32 v30, v29
	v_cndmask_b32_e64 v25, 0, 0xffffffe0, s4
	s_delay_alu instid0(VALU_DEP_2) | instskip(NEXT) | instid1(VALU_DEP_1)
	v_mad_nc_u64_u32 v[30:31], 0xdb629599, v6, v[30:31]
	v_dual_mov_b32 v33, v7 :: v_dual_mov_b32 v32, v31
	s_delay_alu instid0(VALU_DEP_1) | instskip(NEXT) | instid1(VALU_DEP_1)
	v_mad_nc_u64_u32 v[32:33], 0xf534ddc0, v6, v[32:33]
	v_dual_mov_b32 v35, v7 :: v_dual_mov_b32 v34, v33
	s_delay_alu instid0(VALU_DEP_1) | instskip(NEXT) | instid1(VALU_DEP_1)
	v_mad_nc_u64_u32 v[34:35], 0xfc2757d1, v6, v[34:35]
	v_dual_mov_b32 v36, v35 :: v_dual_cndmask_b32 v31, v34, v30, s3
	s_delay_alu instid0(VALU_DEP_1) | instskip(NEXT) | instid1(VALU_DEP_1)
	v_mad_nc_u64_u32 v[36:37], 0x4e441529, v6, v[36:37]
	v_mov_b32_e32 v38, v37
	s_delay_alu instid0(VALU_DEP_1) | instskip(SKIP_1) | instid1(VALU_DEP_2)
	v_mad_nc_u64_u32 v[38:39], 0xa2f9836e, v6, v[38:39]
	v_add_nc_u32_e32 v6, v25, v20
	v_dual_cndmask_b32 v25, v36, v32, s3 :: v_dual_cndmask_b32 v27, v38, v34, s3
	s_delay_alu instid0(VALU_DEP_2) | instskip(NEXT) | instid1(VALU_DEP_4)
	v_cmp_lt_u32_e64 s5, 31, v6
	v_cndmask_b32_e64 v29, v39, v36, s3
	s_delay_alu instid0(VALU_DEP_2) | instskip(NEXT) | instid1(VALU_DEP_1)
	v_cndmask_b32_e64 v20, 0, 0xffffffe0, s5
	v_add_nc_u32_e32 v6, v20, v6
	v_dual_cndmask_b32 v20, v32, v28, s3 :: v_dual_cndmask_b32 v28, v27, v25, s4
	s_delay_alu instid0(VALU_DEP_4) | instskip(NEXT) | instid1(VALU_DEP_3)
	v_cndmask_b32_e64 v27, v29, v27, s4
	v_dual_cndmask_b32 v25, v25, v31, s4 :: v_dual_sub_nc_u32 v29, 32, v6
	s_delay_alu instid0(VALU_DEP_3) | instskip(NEXT) | instid1(VALU_DEP_2)
	v_cndmask_b32_e64 v31, v31, v20, s4
	v_dual_cndmask_b32 v27, v27, v28, s5 :: v_dual_cndmask_b32 v28, v28, v25, s5
	s_delay_alu instid0(VALU_DEP_2) | instskip(NEXT) | instid1(VALU_DEP_2)
	v_cndmask_b32_e64 v25, v25, v31, s5
	v_alignbit_b32 v32, v27, v28, v29
	v_cndmask_b32_e64 v24, v30, v24, s3
	v_cmp_eq_u32_e64 s3, 0, v6
	s_delay_alu instid0(VALU_DEP_4) | instskip(NEXT) | instid1(VALU_DEP_2)
	v_alignbit_b32 v30, v28, v25, v29
	v_cndmask_b32_e64 v6, v32, v27, s3
	s_delay_alu instid0(VALU_DEP_1) | instskip(SKIP_1) | instid1(VALU_DEP_2)
	v_bfe_u32 v27, v6, 29, 1
	v_cndmask_b32_e64 v20, v20, v24, s4
	v_dual_cndmask_b32 v24, v30, v28, s3 :: v_dual_sub_nc_u32 v30, 0, v27
	s_delay_alu instid0(VALU_DEP_2) | instskip(NEXT) | instid1(VALU_DEP_2)
	v_cndmask_b32_e64 v20, v31, v20, s5
	v_alignbit_b32 v28, v6, v24, 30
	s_delay_alu instid0(VALU_DEP_2) | instskip(NEXT) | instid1(VALU_DEP_1)
	v_alignbit_b32 v29, v25, v20, v29
	v_dual_cndmask_b32 v25, v29, v25, s3 :: v_dual_bitop2_b32 v28, v28, v30 bitop3:0x14
	s_delay_alu instid0(VALU_DEP_1) | instskip(NEXT) | instid1(VALU_DEP_2)
	v_clz_i32_u32_e32 v29, v28
	v_alignbit_b32 v24, v24, v25, 30
	s_delay_alu instid0(VALU_DEP_2) | instskip(SKIP_1) | instid1(VALU_DEP_2)
	v_min_u32_e32 v29, 32, v29
	v_alignbit_b32 v20, v25, v20, 30
	v_dual_sub_nc_u32 v25, 31, v29 :: v_dual_bitop2_b32 v24, v24, v30 bitop3:0x14
	s_delay_alu instid0(VALU_DEP_2) | instskip(SKIP_2) | instid1(VALU_DEP_4)
	v_xor_b32_e32 v20, v20, v30
	v_dual_lshrrev_b32 v30, 29, v6 :: v_dual_lshlrev_b32 v31, 23, v29
	v_lshrrev_b32_e32 v6, 30, v6
	v_alignbit_b32 v28, v28, v24, v25
	s_delay_alu instid0(VALU_DEP_4) | instskip(NEXT) | instid1(VALU_DEP_4)
	v_alignbit_b32 v20, v24, v20, v25
	v_lshlrev_b32_e32 v24, 31, v30
	s_delay_alu instid0(VALU_DEP_2) | instskip(NEXT) | instid1(VALU_DEP_2)
	v_alignbit_b32 v25, v28, v20, 9
	v_or_b32_e32 v30, 0.5, v24
	v_lshrrev_b32_e32 v28, 9, v28
	v_or_b32_e32 v24, 0x33000000, v24
	s_delay_alu instid0(VALU_DEP_4) | instskip(NEXT) | instid1(VALU_DEP_4)
	v_clz_i32_u32_e32 v32, v25
	v_sub_nc_u32_e32 v30, v30, v31
	s_delay_alu instid0(VALU_DEP_2) | instskip(NEXT) | instid1(VALU_DEP_2)
	v_min_u32_e32 v31, 32, v32
	v_or_b32_e32 v28, v28, v30
	s_delay_alu instid0(VALU_DEP_2) | instskip(SKIP_1) | instid1(VALU_DEP_2)
	v_not_b32_e32 v30, v31
	v_add_lshl_u32 v29, v31, v29, 23
	v_alignbit_b32 v20, v25, v20, v30
	s_delay_alu instid0(VALU_DEP_1) | instskip(SKIP_1) | instid1(VALU_DEP_2)
	v_dual_sub_nc_u32 v24, v24, v29 :: v_dual_lshrrev_b32 v20, 9, v20
	v_mul_f32_e32 v32, 0x3fc90fda, v28
	v_dual_add_nc_u32 v24, v27, v6 :: v_dual_bitop2_b32 v20, v24, v20 bitop3:0x54
	s_delay_alu instid0(VALU_DEP_2) | instskip(NEXT) | instid1(VALU_DEP_1)
	v_fma_f32 v25, 0x3fc90fda, v28, -v32
	v_fmac_f32_e32 v25, 0x33a22168, v28
	s_delay_alu instid0(VALU_DEP_1) | instskip(NEXT) | instid1(VALU_DEP_1)
	v_fmac_f32_e32 v25, 0x3fc90fda, v20
	v_add_f32_e32 v20, v32, v25
	s_and_not1_saveexec_b32 s3, s29
	s_branch .LBB132_312
.LBB132_311:                            ;   in Loop: Header=BB132_181 Depth=1
	s_and_not1_saveexec_b32 s3, s29
.LBB132_312:                            ;   in Loop: Header=BB132_181 Depth=1
	v_mul_f32_e64 v6, 0x3f22f983, |v21|
	s_delay_alu instid0(VALU_DEP_1) | instskip(NEXT) | instid1(VALU_DEP_1)
	v_rndne_f32_e32 v6, v6
	v_fma_f32 v20, 0xbfc90fda, v6, |v21|
	v_cvt_i32_f32_e32 v24, v6
	s_delay_alu instid0(VALU_DEP_2) | instskip(NEXT) | instid1(VALU_DEP_1)
	v_fmac_f32_e32 v20, 0xb3a22168, v6
	v_fmac_f32_e32 v20, 0xa7c234c4, v6
; %bb.313:                              ;   in Loop: Header=BB132_181 Depth=1
	s_or_b32 exec_lo, exec_lo, s3
                                        ; implicit-def: $vgpr25
                                        ; implicit-def: $vgpr6
	s_and_saveexec_b32 s3, s28
	s_delay_alu instid0(SALU_CYCLE_1)
	s_xor_b32 s28, exec_lo, s3
	s_cbranch_execz .LBB132_315
; %bb.314:                              ;   in Loop: Header=BB132_181 Depth=1
	v_and_or_b32 v6, v26, s22, 0x800000
	v_dual_lshrrev_b32 v25, 23, v26 :: v_dual_mov_b32 v39, v7
	s_delay_alu instid0(VALU_DEP_2) | instskip(SKIP_1) | instid1(VALU_DEP_3)
	v_mul_u64_e32 v[28:29], s[18:19], v[6:7]
	v_mov_b32_e32 v31, v7
	v_add_nc_u32_e32 v25, 0xffffff88, v25
	s_delay_alu instid0(VALU_DEP_1) | instskip(NEXT) | instid1(VALU_DEP_1)
	v_cmp_lt_u32_e64 s3, 63, v25
	v_cndmask_b32_e64 v27, 0, 0xffffffc0, s3
	v_mov_b32_e32 v30, v29
	s_delay_alu instid0(VALU_DEP_1) | instskip(NEXT) | instid1(VALU_DEP_1)
	v_mad_nc_u64_u32 v[30:31], 0x3c439041, v6, v[30:31]
	v_dual_mov_b32 v33, v7 :: v_dual_mov_b32 v32, v31
	s_delay_alu instid0(VALU_DEP_1) | instskip(NEXT) | instid1(VALU_DEP_1)
	v_mad_nc_u64_u32 v[32:33], 0xdb629599, v6, v[32:33]
	v_dual_mov_b32 v35, v7 :: v_dual_mov_b32 v34, v33
	;; [unrolled: 3-line block ×3, first 2 shown]
	s_delay_alu instid0(VALU_DEP_1) | instskip(NEXT) | instid1(VALU_DEP_1)
	v_mad_nc_u64_u32 v[36:37], 0xfc2757d1, v6, v[36:37]
	v_dual_mov_b32 v38, v37 :: v_dual_cndmask_b32 v33, v36, v32, s3
	s_delay_alu instid0(VALU_DEP_1) | instskip(SKIP_2) | instid1(VALU_DEP_2)
	v_mad_nc_u64_u32 v[38:39], 0x4e441529, v6, v[38:39]
	v_add_nc_u32_e32 v25, v27, v25
	v_mov_b32_e32 v41, v7
	v_cmp_lt_u32_e64 s4, 31, v25
	s_delay_alu instid0(VALU_DEP_4) | instskip(NEXT) | instid1(VALU_DEP_2)
	v_mov_b32_e32 v40, v39
	v_cndmask_b32_e64 v27, 0, 0xffffffe0, s4
	s_delay_alu instid0(VALU_DEP_2) | instskip(NEXT) | instid1(VALU_DEP_2)
	v_mad_nc_u64_u32 v[40:41], 0xa2f9836e, v6, v[40:41]
	v_dual_add_nc_u32 v6, v27, v25 :: v_dual_cndmask_b32 v27, v38, v34, s3
	s_delay_alu instid0(VALU_DEP_2) | instskip(NEXT) | instid1(VALU_DEP_2)
	v_dual_cndmask_b32 v29, v40, v36, s3 :: v_dual_cndmask_b32 v31, v41, v38, s3
	v_cmp_lt_u32_e64 s5, 31, v6
	s_delay_alu instid0(VALU_DEP_1) | instskip(NEXT) | instid1(VALU_DEP_1)
	v_cndmask_b32_e64 v25, 0, 0xffffffe0, s5
	v_add_nc_u32_e32 v6, v25, v6
	s_delay_alu instid0(VALU_DEP_4) | instskip(SKIP_1) | instid1(VALU_DEP_3)
	v_dual_cndmask_b32 v25, v34, v30, s3 :: v_dual_cndmask_b32 v30, v29, v27, s4
	v_cndmask_b32_e64 v29, v31, v29, s4
	v_dual_cndmask_b32 v27, v27, v33, s4 :: v_dual_sub_nc_u32 v31, 32, v6
	s_delay_alu instid0(VALU_DEP_3) | instskip(NEXT) | instid1(VALU_DEP_2)
	v_cndmask_b32_e64 v33, v33, v25, s4
	v_dual_cndmask_b32 v29, v29, v30, s5 :: v_dual_cndmask_b32 v30, v30, v27, s5
	s_delay_alu instid0(VALU_DEP_2) | instskip(NEXT) | instid1(VALU_DEP_2)
	v_cndmask_b32_e64 v27, v27, v33, s5
	v_alignbit_b32 v34, v29, v30, v31
	v_cndmask_b32_e64 v28, v32, v28, s3
	v_cmp_eq_u32_e64 s3, 0, v6
	s_delay_alu instid0(VALU_DEP_4) | instskip(NEXT) | instid1(VALU_DEP_2)
	v_alignbit_b32 v32, v30, v27, v31
	v_dual_cndmask_b32 v6, v34, v29, s3 :: v_dual_cndmask_b32 v25, v25, v28, s4
	s_delay_alu instid0(VALU_DEP_2) | instskip(NEXT) | instid1(VALU_DEP_2)
	v_cndmask_b32_e64 v28, v32, v30, s3
	v_bfe_u32 v29, v6, 29, 1
	s_delay_alu instid0(VALU_DEP_2) | instskip(NEXT) | instid1(VALU_DEP_2)
	v_alignbit_b32 v30, v6, v28, 30
	v_sub_nc_u32_e32 v32, 0, v29
	s_delay_alu instid0(VALU_DEP_1) | instskip(NEXT) | instid1(VALU_DEP_1)
	v_dual_cndmask_b32 v25, v33, v25, s5 :: v_dual_bitop2_b32 v30, v30, v32 bitop3:0x14
	v_alignbit_b32 v31, v27, v25, v31
	s_delay_alu instid0(VALU_DEP_1) | instskip(NEXT) | instid1(VALU_DEP_3)
	v_cndmask_b32_e64 v27, v31, v27, s3
	v_clz_i32_u32_e32 v31, v30
	s_delay_alu instid0(VALU_DEP_2) | instskip(NEXT) | instid1(VALU_DEP_2)
	v_alignbit_b32 v28, v28, v27, 30
	v_min_u32_e32 v31, 32, v31
	v_alignbit_b32 v25, v27, v25, 30
	s_delay_alu instid0(VALU_DEP_2) | instskip(NEXT) | instid1(VALU_DEP_2)
	v_dual_sub_nc_u32 v28, 31, v31 :: v_dual_bitop2_b32 v27, v28, v32 bitop3:0x14
	v_dual_lshrrev_b32 v32, 29, v6 :: v_dual_bitop2_b32 v25, v25, v32 bitop3:0x14
	v_lshlrev_b32_e32 v33, 23, v31
	s_delay_alu instid0(VALU_DEP_3) | instskip(NEXT) | instid1(VALU_DEP_3)
	v_alignbit_b32 v30, v30, v27, v28
	v_alignbit_b32 v25, v27, v25, v28
	s_delay_alu instid0(VALU_DEP_4) | instskip(NEXT) | instid1(VALU_DEP_2)
	v_lshlrev_b32_e32 v27, 31, v32
	v_alignbit_b32 v28, v30, v25, 9
	s_delay_alu instid0(VALU_DEP_2) | instskip(SKIP_1) | instid1(VALU_DEP_3)
	v_dual_lshrrev_b32 v30, 9, v30 :: v_dual_bitop2_b32 v32, 0.5, v27 bitop3:0x54
	v_or_b32_e32 v27, 0x33000000, v27
	v_clz_i32_u32_e32 v34, v28
	s_delay_alu instid0(VALU_DEP_3) | instskip(NEXT) | instid1(VALU_DEP_2)
	v_sub_nc_u32_e32 v32, v32, v33
	v_min_u32_e32 v33, 32, v34
	s_delay_alu instid0(VALU_DEP_1) | instskip(NEXT) | instid1(VALU_DEP_1)
	v_add_lshl_u32 v31, v33, v31, 23
	v_dual_sub_nc_u32 v27, v27, v31 :: v_dual_bitop2_b32 v30, v30, v32 bitop3:0x54
	v_not_b32_e32 v32, v33
	s_delay_alu instid0(VALU_DEP_1) | instskip(NEXT) | instid1(VALU_DEP_1)
	v_alignbit_b32 v25, v28, v25, v32
	v_dual_mul_f32 v34, 0x3fc90fda, v30 :: v_dual_lshrrev_b32 v25, 9, v25
	s_delay_alu instid0(VALU_DEP_1) | instskip(NEXT) | instid1(VALU_DEP_2)
	v_or_b32_e32 v25, v27, v25
	v_fma_f32 v28, 0x3fc90fda, v30, -v34
	s_delay_alu instid0(VALU_DEP_1) | instskip(NEXT) | instid1(VALU_DEP_1)
	v_fmac_f32_e32 v28, 0x33a22168, v30
	v_dual_fmac_f32 v28, 0x3fc90fda, v25 :: v_dual_lshrrev_b32 v25, 30, v6
	s_delay_alu instid0(VALU_DEP_1)
	v_dual_add_f32 v6, v34, v28 :: v_dual_add_nc_u32 v25, v29, v25
	s_and_not1_saveexec_b32 s3, s28
	s_cbranch_execnz .LBB132_316
	s_branch .LBB132_317
.LBB132_315:                            ;   in Loop: Header=BB132_181 Depth=1
	s_and_not1_saveexec_b32 s3, s28
.LBB132_316:                            ;   in Loop: Header=BB132_181 Depth=1
	v_mul_f32_e64 v6, 0x3f22f983, |v21|
	s_delay_alu instid0(VALU_DEP_1) | instskip(NEXT) | instid1(VALU_DEP_1)
	v_rndne_f32_e32 v25, v6
	v_fma_f32 v6, 0xbfc90fda, v25, |v21|
	s_delay_alu instid0(VALU_DEP_1) | instskip(NEXT) | instid1(VALU_DEP_1)
	v_fmac_f32_e32 v6, 0xb3a22168, v25
	v_fmac_f32_e32 v6, 0xa7c234c4, v25
	v_cvt_i32_f32_e32 v25, v25
.LBB132_317:                            ;   in Loop: Header=BB132_181 Depth=1
	s_or_b32 exec_lo, exec_lo, s3
	s_delay_alu instid0(VALU_DEP_1) | instskip(SKIP_1) | instid1(VALU_DEP_2)
	v_dual_mul_f32 v27, v20, v20 :: v_dual_mul_f32 v28, v6, v6
	v_dual_lshlrev_b32 v24, 30, v24 :: v_dual_bitop2_b32 v29, 1, v24 bitop3:0x40
	v_fmaak_f32 v30, s23, v27, 0x3c0881c4
	s_delay_alu instid0(VALU_DEP_3) | instskip(NEXT) | instid1(VALU_DEP_3)
	v_fmaak_f32 v32, s23, v28, 0x3c0881c4
	v_cmp_eq_u32_e64 s3, 0, v29
	v_dual_lshlrev_b32 v25, 30, v25 :: v_dual_bitop2_b32 v34, 1, v25 bitop3:0x40
	s_delay_alu instid0(VALU_DEP_4) | instskip(SKIP_2) | instid1(VALU_DEP_4)
	v_fmaak_f32 v30, v27, v30, 0xbe2aaa9d
	v_fmaak_f32 v31, s24, v27, 0xbab64f3b
	;; [unrolled: 1-line block ×3, first 2 shown]
	v_and_or_b32 v25, 0x80000000, v25, v26
	s_delay_alu instid0(VALU_DEP_4) | instskip(NEXT) | instid1(VALU_DEP_3)
	v_dual_mul_f32 v30, v27, v30 :: v_dual_fmaak_f32 v33, s24, v28, 0xbab64f3b
	v_dual_fmaak_f32 v31, v27, v31, 0x3d2aabf7 :: v_dual_mul_f32 v32, v28, v32
	s_delay_alu instid0(VALU_DEP_2) | instskip(NEXT) | instid1(VALU_DEP_3)
	v_fmac_f32_e32 v20, v20, v30
	v_fmaak_f32 v33, v28, v33, 0x3d2aabf7
	s_delay_alu instid0(VALU_DEP_3) | instskip(NEXT) | instid1(VALU_DEP_2)
	v_dual_fmaak_f32 v31, v27, v31, 0xbf000004 :: v_dual_fmac_f32 v6, v6, v32
	v_fmaak_f32 v33, v28, v33, 0xbf000004
	s_delay_alu instid0(VALU_DEP_2) | instskip(NEXT) | instid1(VALU_DEP_2)
	v_fma_f32 v27, v27, v31, 1.0
	v_fma_f32 v28, v28, v33, 1.0
	s_delay_alu instid0(VALU_DEP_2) | instskip(SKIP_1) | instid1(VALU_DEP_2)
	v_cndmask_b32_e64 v20, -v20, v27, s3
	v_cmp_eq_u32_e64 s3, 0, v34
	v_bitop3_b32 v20, v24, v20, 0x80000000 bitop3:0x6c
	s_delay_alu instid0(VALU_DEP_2) | instskip(SKIP_1) | instid1(VALU_DEP_2)
	v_cndmask_b32_e64 v6, v28, v6, s3
	v_cmp_class_f32_e64 s3, v21, 0x1f8
	v_xor3_b32 v6, v25, v6, v21
	s_delay_alu instid0(VALU_DEP_2) | instskip(NEXT) | instid1(VALU_DEP_2)
	v_cndmask_b32_e64 v24, 0x7fc00000, v20, s3
	v_cndmask_b32_e64 v25, 0x7fc00000, v6, s3
.LBB132_318:                            ;   in Loop: Header=BB132_181 Depth=1
	s_or_b32 exec_lo, exec_lo, s27
                                        ; implicit-def: $vgpr20
.LBB132_319:                            ;   in Loop: Header=BB132_181 Depth=1
	s_and_not1_saveexec_b32 s4, s26
	s_cbranch_execz .LBB132_321
; %bb.320:                              ;   in Loop: Header=BB132_181 Depth=1
	v_mul_f32_e32 v6, 0x3fb8aa3b, v20
	v_cmp_ngt_f32_e64 s3, 0xc2ce8ed0, v20
	s_delay_alu instid0(VALU_DEP_2) | instskip(SKIP_1) | instid1(VALU_DEP_2)
	v_rndne_f32_e32 v24, v6
	v_fma_f32 v25, 0x3fb8aa3b, v20, -v6
	v_sub_f32_e32 v6, v6, v24
	s_delay_alu instid0(VALU_DEP_2) | instskip(SKIP_1) | instid1(VALU_DEP_2)
	v_fmac_f32_e32 v25, 0x32a5705f, v20
	v_cvt_i32_f32_e32 v24, v24
	v_dual_add_f32 v6, v6, v25 :: v_dual_mov_b32 v25, v21
	s_delay_alu instid0(VALU_DEP_1) | instskip(SKIP_1) | instid1(TRANS32_DEP_1)
	v_exp_f32_e32 v6, v6
	v_nop
	v_ldexp_f32 v6, v6, v24
	s_delay_alu instid0(VALU_DEP_1) | instskip(SKIP_1) | instid1(VALU_DEP_1)
	v_cndmask_b32_e64 v6, 0, v6, s3
	v_cmp_nlt_f32_e64 s3, 0x42b17218, v20
	v_cndmask_b32_e64 v24, 0x7f800000, v6, s3
.LBB132_321:                            ;   in Loop: Header=BB132_181 Depth=1
	s_or_b32 exec_lo, exec_lo, s4
	v_and_b32_e32 v26, 0x7fffffff, v17
                                        ; implicit-def: $vgpr21
	s_mov_b32 s4, exec_lo
	s_delay_alu instid0(VALU_DEP_1)
	v_cmpx_ne_u32_e32 0, v26
	s_xor_b32 s26, exec_lo, s4
	s_cbranch_execz .LBB132_327
; %bb.322:                              ;   in Loop: Header=BB132_181 Depth=1
	v_and_b32_e32 v6, 0x7fffffff, v16
                                        ; implicit-def: $vgpr21
	s_mov_b32 s4, exec_lo
	s_delay_alu instid0(VALU_DEP_1)
	v_cmpx_ne_u32_e32 0, v6
	s_xor_b32 s27, exec_lo, s4
	s_cbranch_execz .LBB132_357
; %bb.323:                              ;   in Loop: Header=BB132_181 Depth=1
                                        ; implicit-def: $vgpr21
	s_mov_b32 s4, exec_lo
	v_cmpx_gt_u32_e32 0x7f800000, v26
	s_xor_b32 s28, exec_lo, s4
	s_cbranch_execz .LBB132_350
; %bb.324:                              ;   in Loop: Header=BB132_181 Depth=1
	v_add_nc_u32_e32 v6, 0xbd4e8de8, v16
                                        ; implicit-def: $vgpr21
	s_mov_b32 s4, exec_lo
	s_delay_alu instid0(VALU_DEP_1)
	v_cmpx_lt_u32_e32 0x8e8e5c, v6
	s_xor_b32 s29, exec_lo, s4
	s_cbranch_execz .LBB132_339
; %bb.325:                              ;   in Loop: Header=BB132_181 Depth=1
	v_cmp_ngt_f32_e64 s30, 0x48000000, |v17|
                                        ; implicit-def: $vgpr21
                                        ; implicit-def: $vgpr20
	s_and_saveexec_b32 s3, s30
	s_delay_alu instid0(SALU_CYCLE_1)
	s_xor_b32 s31, exec_lo, s3
	s_cbranch_execz .LBB132_332
; %bb.326:                              ;   in Loop: Header=BB132_181 Depth=1
	v_and_or_b32 v6, v26, s22, 0x800000
	v_mov_b32_e32 v37, v7
	s_delay_alu instid0(VALU_DEP_2) | instskip(NEXT) | instid1(VALU_DEP_1)
	v_mul_u64_e32 v[20:21], s[18:19], v[6:7]
	v_dual_mov_b32 v29, v7 :: v_dual_mov_b32 v28, v21
	v_lshrrev_b32_e32 v21, 23, v26
	s_delay_alu instid0(VALU_DEP_2) | instskip(SKIP_1) | instid1(VALU_DEP_3)
	v_mad_nc_u64_u32 v[28:29], 0x3c439041, v6, v[28:29]
	v_mov_b32_e32 v31, v7
	v_add_nc_u32_e32 v21, 0xffffff88, v21
	s_delay_alu instid0(VALU_DEP_1) | instskip(NEXT) | instid1(VALU_DEP_4)
	v_cmp_lt_u32_e64 s3, 63, v21
	v_mov_b32_e32 v30, v29
	s_delay_alu instid0(VALU_DEP_2) | instskip(NEXT) | instid1(VALU_DEP_2)
	v_cndmask_b32_e64 v27, 0, 0xffffffc0, s3
	v_mad_nc_u64_u32 v[30:31], 0xdb629599, v6, v[30:31]
	s_delay_alu instid0(VALU_DEP_1) | instskip(NEXT) | instid1(VALU_DEP_2)
	v_dual_mov_b32 v33, v7 :: v_dual_mov_b32 v32, v31
	v_cndmask_b32_e64 v20, v30, v20, s3
	s_delay_alu instid0(VALU_DEP_2) | instskip(NEXT) | instid1(VALU_DEP_1)
	v_mad_nc_u64_u32 v[32:33], 0xf534ddc0, v6, v[32:33]
	v_dual_mov_b32 v35, v7 :: v_dual_mov_b32 v34, v33
	s_delay_alu instid0(VALU_DEP_1) | instskip(NEXT) | instid1(VALU_DEP_1)
	v_mad_nc_u64_u32 v[34:35], 0xfc2757d1, v6, v[34:35]
	v_dual_mov_b32 v36, v35 :: v_dual_cndmask_b32 v33, v34, v30, s3
	s_delay_alu instid0(VALU_DEP_1) | instskip(SKIP_1) | instid1(VALU_DEP_2)
	v_mad_nc_u64_u32 v[36:37], 0x4e441529, v6, v[36:37]
	v_add_nc_u32_e32 v21, v27, v21
	v_dual_mov_b32 v39, v7 :: v_dual_mov_b32 v38, v37
	s_delay_alu instid0(VALU_DEP_2) | instskip(NEXT) | instid1(VALU_DEP_2)
	v_cmp_lt_u32_e64 s4, 31, v21
	v_mad_nc_u64_u32 v[38:39], 0xa2f9836e, v6, v[38:39]
	s_delay_alu instid0(VALU_DEP_2) | instskip(NEXT) | instid1(VALU_DEP_1)
	v_cndmask_b32_e64 v27, 0, 0xffffffe0, s4
	v_dual_add_nc_u32 v6, v27, v21 :: v_dual_cndmask_b32 v27, v36, v32, s3
	s_delay_alu instid0(VALU_DEP_3) | instskip(NEXT) | instid1(VALU_DEP_2)
	v_dual_cndmask_b32 v29, v38, v34, s3 :: v_dual_cndmask_b32 v31, v39, v36, s3
	v_cmp_lt_u32_e64 s5, 31, v6
	s_delay_alu instid0(VALU_DEP_1) | instskip(NEXT) | instid1(VALU_DEP_1)
	v_cndmask_b32_e64 v21, 0, 0xffffffe0, s5
	v_dual_add_nc_u32 v6, v21, v6 :: v_dual_cndmask_b32 v21, v32, v28, s3
	s_delay_alu instid0(VALU_DEP_4) | instskip(NEXT) | instid1(VALU_DEP_2)
	v_dual_cndmask_b32 v28, v29, v27, s4 :: v_dual_cndmask_b32 v29, v31, v29, s4
	v_dual_cndmask_b32 v27, v27, v33, s4 :: v_dual_sub_nc_u32 v31, 32, v6
	s_delay_alu instid0(VALU_DEP_3) | instskip(SKIP_1) | instid1(VALU_DEP_3)
	v_cndmask_b32_e64 v32, v33, v21, s4
	v_cmp_eq_u32_e64 s3, 0, v6
	v_dual_cndmask_b32 v29, v29, v28, s5 :: v_dual_cndmask_b32 v28, v28, v27, s5
	s_delay_alu instid0(VALU_DEP_3) | instskip(SKIP_1) | instid1(VALU_DEP_2)
	v_cndmask_b32_e64 v27, v27, v32, s5
	v_cndmask_b32_e64 v20, v21, v20, s4
	v_alignbit_b32 v30, v28, v27, v31
	s_delay_alu instid0(VALU_DEP_1) | instskip(SKIP_1) | instid1(VALU_DEP_1)
	v_cndmask_b32_e64 v21, v30, v28, s3
	v_alignbit_b32 v33, v29, v28, v31
	v_cndmask_b32_e64 v6, v33, v29, s3
	s_delay_alu instid0(VALU_DEP_1) | instskip(NEXT) | instid1(VALU_DEP_4)
	v_bfe_u32 v28, v6, 29, 1
	v_alignbit_b32 v29, v6, v21, 30
	s_delay_alu instid0(VALU_DEP_2) | instskip(NEXT) | instid1(VALU_DEP_1)
	v_sub_nc_u32_e32 v30, 0, v28
	v_dual_cndmask_b32 v20, v32, v20, s5 :: v_dual_bitop2_b32 v29, v29, v30 bitop3:0x14
	s_delay_alu instid0(VALU_DEP_1) | instskip(NEXT) | instid1(VALU_DEP_1)
	v_alignbit_b32 v31, v27, v20, v31
	v_cndmask_b32_e64 v27, v31, v27, s3
	s_delay_alu instid0(VALU_DEP_3) | instskip(NEXT) | instid1(VALU_DEP_2)
	v_clz_i32_u32_e32 v31, v29
	v_alignbit_b32 v21, v21, v27, 30
	s_delay_alu instid0(VALU_DEP_2) | instskip(NEXT) | instid1(VALU_DEP_2)
	v_min_u32_e32 v31, 32, v31
	v_xor_b32_e32 v21, v21, v30
	v_alignbit_b32 v20, v27, v20, 30
	s_delay_alu instid0(VALU_DEP_3) | instskip(NEXT) | instid1(VALU_DEP_2)
	v_dual_sub_nc_u32 v27, 31, v31 :: v_dual_lshlrev_b32 v32, 23, v31
	v_xor_b32_e32 v20, v20, v30
	v_lshrrev_b32_e32 v30, 29, v6
	s_delay_alu instid0(VALU_DEP_3) | instskip(SKIP_1) | instid1(VALU_DEP_4)
	v_alignbit_b32 v29, v29, v21, v27
	v_lshrrev_b32_e32 v6, 30, v6
	v_alignbit_b32 v20, v21, v20, v27
	s_delay_alu instid0(VALU_DEP_4) | instskip(NEXT) | instid1(VALU_DEP_2)
	v_lshlrev_b32_e32 v21, 31, v30
	v_alignbit_b32 v27, v29, v20, 9
	s_delay_alu instid0(VALU_DEP_2) | instskip(SKIP_2) | instid1(VALU_DEP_4)
	v_or_b32_e32 v30, 0.5, v21
	v_lshrrev_b32_e32 v29, 9, v29
	v_or_b32_e32 v21, 0x33000000, v21
	v_clz_i32_u32_e32 v33, v27
	s_delay_alu instid0(VALU_DEP_4) | instskip(NEXT) | instid1(VALU_DEP_2)
	v_sub_nc_u32_e32 v30, v30, v32
	v_min_u32_e32 v32, 32, v33
	s_delay_alu instid0(VALU_DEP_2) | instskip(NEXT) | instid1(VALU_DEP_2)
	v_or_b32_e32 v29, v29, v30
	v_not_b32_e32 v30, v32
	v_add_lshl_u32 v31, v32, v31, 23
	s_delay_alu instid0(VALU_DEP_2) | instskip(NEXT) | instid1(VALU_DEP_1)
	v_alignbit_b32 v20, v27, v20, v30
	v_dual_sub_nc_u32 v21, v21, v31 :: v_dual_lshrrev_b32 v20, 9, v20
	v_mul_f32_e32 v33, 0x3fc90fda, v29
	s_delay_alu instid0(VALU_DEP_2) | instskip(NEXT) | instid1(VALU_DEP_2)
	v_dual_add_nc_u32 v21, v28, v6 :: v_dual_bitop2_b32 v20, v21, v20 bitop3:0x54
	v_fma_f32 v27, 0x3fc90fda, v29, -v33
	s_delay_alu instid0(VALU_DEP_1) | instskip(NEXT) | instid1(VALU_DEP_1)
	v_fmac_f32_e32 v27, 0x33a22168, v29
	v_fmac_f32_e32 v27, 0x3fc90fda, v20
	s_delay_alu instid0(VALU_DEP_1)
	v_add_f32_e32 v20, v33, v27
	s_and_not1_saveexec_b32 s3, s31
	s_branch .LBB132_333
.LBB132_327:                            ;   in Loop: Header=BB132_181 Depth=1
	s_and_not1_saveexec_b32 s4, s26
	s_cbranch_execz .LBB132_368
.LBB132_328:                            ;   in Loop: Header=BB132_181 Depth=1
	v_mul_f32_e32 v6, 0x3fb8aa3b, v16
	v_cmp_ngt_f32_e64 s3, 0xc2ce8ed0, v16
	s_delay_alu instid0(VALU_DEP_2) | instskip(SKIP_1) | instid1(VALU_DEP_2)
	v_rndne_f32_e32 v20, v6
	v_fma_f32 v21, 0x3fb8aa3b, v16, -v6
	v_sub_f32_e32 v6, v6, v20
	s_delay_alu instid0(VALU_DEP_2) | instskip(SKIP_1) | instid1(VALU_DEP_2)
	v_fmac_f32_e32 v21, 0x32a5705f, v16
	v_cvt_i32_f32_e32 v20, v20
	v_dual_add_f32 v6, v6, v21 :: v_dual_mov_b32 v21, v17
	s_delay_alu instid0(VALU_DEP_1) | instskip(SKIP_1) | instid1(TRANS32_DEP_1)
	v_exp_f32_e32 v6, v6
	v_nop
	v_ldexp_f32 v6, v6, v20
	s_delay_alu instid0(VALU_DEP_1) | instskip(SKIP_1) | instid1(VALU_DEP_1)
	v_cndmask_b32_e64 v6, 0, v6, s3
	v_cmp_nlt_f32_e64 s3, 0x42b17218, v16
	v_cndmask_b32_e64 v20, 0x7f800000, v6, s3
	s_or_b32 exec_lo, exec_lo, s4
	s_and_saveexec_b32 s3, vcc_lo
	s_delay_alu instid0(SALU_CYCLE_1)
	s_xor_b32 s3, exec_lo, s3
	s_cbranch_execnz .LBB132_369
.LBB132_329:                            ;   in Loop: Header=BB132_181 Depth=1
	s_or_b32 exec_lo, exec_lo, s3
	s_and_saveexec_b32 s3, s0
	s_cbranch_execz .LBB132_370
.LBB132_330:                            ;   in Loop: Header=BB132_181 Depth=1
	v_lshl_add_u64 v[8:9], v[10:11], 3, s[8:9]
	global_store_b64 v[8:9], v[22:23], off
	s_wait_xcnt 0x0
	s_or_b32 exec_lo, exec_lo, s3
	s_and_saveexec_b32 s0, s1
	s_cbranch_execnz .LBB132_371
.LBB132_331:                            ;   in Loop: Header=BB132_181 Depth=1
	s_or_b32 exec_lo, exec_lo, s0
	s_and_saveexec_b32 s0, s2
	s_cbranch_execz .LBB132_180
	s_branch .LBB132_372
.LBB132_332:                            ;   in Loop: Header=BB132_181 Depth=1
	s_and_not1_saveexec_b32 s3, s31
.LBB132_333:                            ;   in Loop: Header=BB132_181 Depth=1
	v_mul_f32_e64 v6, 0x3f22f983, |v17|
	s_delay_alu instid0(VALU_DEP_1) | instskip(NEXT) | instid1(VALU_DEP_1)
	v_rndne_f32_e32 v6, v6
	v_fma_f32 v20, 0xbfc90fda, v6, |v17|
	v_cvt_i32_f32_e32 v21, v6
	s_delay_alu instid0(VALU_DEP_2) | instskip(NEXT) | instid1(VALU_DEP_1)
	v_fmac_f32_e32 v20, 0xb3a22168, v6
	v_fmac_f32_e32 v20, 0xa7c234c4, v6
; %bb.334:                              ;   in Loop: Header=BB132_181 Depth=1
	s_or_b32 exec_lo, exec_lo, s3
                                        ; implicit-def: $vgpr27
                                        ; implicit-def: $vgpr6
	s_and_saveexec_b32 s3, s30
	s_delay_alu instid0(SALU_CYCLE_1)
	s_xor_b32 s30, exec_lo, s3
	s_cbranch_execz .LBB132_336
; %bb.335:                              ;   in Loop: Header=BB132_181 Depth=1
	v_and_or_b32 v6, v26, s22, 0x800000
	v_dual_lshrrev_b32 v27, 23, v26 :: v_dual_mov_b32 v39, v7
	v_mov_b32_e32 v41, v7
	s_delay_alu instid0(VALU_DEP_3) | instskip(SKIP_1) | instid1(VALU_DEP_4)
	v_mul_u64_e32 v[28:29], s[18:19], v[6:7]
	v_mov_b32_e32 v31, v7
	v_add_nc_u32_e32 v27, 0xffffff88, v27
	s_delay_alu instid0(VALU_DEP_1) | instskip(NEXT) | instid1(VALU_DEP_4)
	v_cmp_lt_u32_e64 s3, 63, v27
	v_mov_b32_e32 v30, v29
	s_delay_alu instid0(VALU_DEP_2) | instskip(NEXT) | instid1(VALU_DEP_2)
	v_cndmask_b32_e64 v29, 0, 0xffffffc0, s3
	v_mad_nc_u64_u32 v[30:31], 0x3c439041, v6, v[30:31]
	s_delay_alu instid0(VALU_DEP_2) | instskip(NEXT) | instid1(VALU_DEP_1)
	v_dual_mov_b32 v33, v7 :: v_dual_add_nc_u32 v27, v29, v27
	v_cmp_lt_u32_e64 s4, 31, v27
	s_delay_alu instid0(VALU_DEP_3) | instskip(NEXT) | instid1(VALU_DEP_2)
	v_mov_b32_e32 v32, v31
	v_cndmask_b32_e64 v29, 0, 0xffffffe0, s4
	s_delay_alu instid0(VALU_DEP_2) | instskip(NEXT) | instid1(VALU_DEP_1)
	v_mad_nc_u64_u32 v[32:33], 0xdb629599, v6, v[32:33]
	v_dual_mov_b32 v35, v7 :: v_dual_mov_b32 v34, v33
	s_delay_alu instid0(VALU_DEP_2) | instskip(NEXT) | instid1(VALU_DEP_2)
	v_cndmask_b32_e64 v28, v32, v28, s3
	v_mad_nc_u64_u32 v[34:35], 0xf534ddc0, v6, v[34:35]
	s_delay_alu instid0(VALU_DEP_1) | instskip(NEXT) | instid1(VALU_DEP_1)
	v_dual_mov_b32 v37, v7 :: v_dual_mov_b32 v36, v35
	v_mad_nc_u64_u32 v[36:37], 0xfc2757d1, v6, v[36:37]
	s_delay_alu instid0(VALU_DEP_1) | instskip(NEXT) | instid1(VALU_DEP_1)
	v_dual_mov_b32 v38, v37 :: v_dual_cndmask_b32 v35, v36, v32, s3
	v_mad_nc_u64_u32 v[38:39], 0x4e441529, v6, v[38:39]
	s_delay_alu instid0(VALU_DEP_1) | instskip(NEXT) | instid1(VALU_DEP_1)
	v_mov_b32_e32 v40, v39
	v_mad_nc_u64_u32 v[40:41], 0xa2f9836e, v6, v[40:41]
	s_delay_alu instid0(VALU_DEP_3) | instskip(NEXT) | instid1(VALU_DEP_1)
	v_dual_add_nc_u32 v6, v29, v27 :: v_dual_cndmask_b32 v29, v38, v34, s3
	v_cmp_lt_u32_e64 s5, 31, v6
	s_delay_alu instid0(VALU_DEP_1) | instskip(NEXT) | instid1(VALU_DEP_4)
	v_cndmask_b32_e64 v27, 0, 0xffffffe0, s5
	v_dual_cndmask_b32 v31, v40, v36, s3 :: v_dual_cndmask_b32 v33, v41, v38, s3
	s_delay_alu instid0(VALU_DEP_2) | instskip(NEXT) | instid1(VALU_DEP_2)
	v_add_nc_u32_e32 v6, v27, v6
	v_dual_cndmask_b32 v27, v34, v30, s3 :: v_dual_cndmask_b32 v30, v31, v29, s4
	s_delay_alu instid0(VALU_DEP_3) | instskip(NEXT) | instid1(VALU_DEP_3)
	v_cndmask_b32_e64 v31, v33, v31, s4
	v_dual_cndmask_b32 v29, v29, v35, s4 :: v_dual_sub_nc_u32 v33, 32, v6
	s_delay_alu instid0(VALU_DEP_3) | instskip(SKIP_1) | instid1(VALU_DEP_3)
	v_cndmask_b32_e64 v34, v35, v27, s4
	v_cmp_eq_u32_e64 s3, 0, v6
	v_dual_cndmask_b32 v31, v31, v30, s5 :: v_dual_cndmask_b32 v30, v30, v29, s5
	s_delay_alu instid0(VALU_DEP_1) | instskip(NEXT) | instid1(VALU_DEP_1)
	v_alignbit_b32 v35, v31, v30, v33
	v_dual_cndmask_b32 v29, v29, v34, s5 :: v_dual_cndmask_b32 v6, v35, v31, s3
	s_delay_alu instid0(VALU_DEP_1) | instskip(NEXT) | instid1(VALU_DEP_1)
	v_alignbit_b32 v32, v30, v29, v33
	v_dual_cndmask_b32 v27, v27, v28, s4 :: v_dual_cndmask_b32 v28, v32, v30, s3
	s_delay_alu instid0(VALU_DEP_3) | instskip(NEXT) | instid1(VALU_DEP_2)
	v_bfe_u32 v30, v6, 29, 1
	v_cndmask_b32_e64 v27, v34, v27, s5
	s_delay_alu instid0(VALU_DEP_3) | instskip(NEXT) | instid1(VALU_DEP_3)
	v_alignbit_b32 v31, v6, v28, 30
	v_sub_nc_u32_e32 v32, 0, v30
	s_delay_alu instid0(VALU_DEP_3) | instskip(NEXT) | instid1(VALU_DEP_1)
	v_alignbit_b32 v33, v29, v27, v33
	v_dual_cndmask_b32 v29, v33, v29, s3 :: v_dual_bitop2_b32 v31, v31, v32 bitop3:0x14
	s_delay_alu instid0(VALU_DEP_1) | instskip(NEXT) | instid1(VALU_DEP_2)
	v_clz_i32_u32_e32 v33, v31
	v_alignbit_b32 v28, v28, v29, 30
	v_alignbit_b32 v27, v29, v27, 30
	s_delay_alu instid0(VALU_DEP_3) | instskip(NEXT) | instid1(VALU_DEP_3)
	v_min_u32_e32 v33, 32, v33
	v_xor_b32_e32 v28, v28, v32
	s_delay_alu instid0(VALU_DEP_3) | instskip(NEXT) | instid1(VALU_DEP_3)
	v_dual_lshrrev_b32 v32, 29, v6 :: v_dual_bitop2_b32 v27, v27, v32 bitop3:0x14
	v_dual_sub_nc_u32 v29, 31, v33 :: v_dual_lshlrev_b32 v34, 23, v33
	s_delay_alu instid0(VALU_DEP_1) | instskip(NEXT) | instid1(VALU_DEP_3)
	v_alignbit_b32 v31, v31, v28, v29
	v_alignbit_b32 v27, v28, v27, v29
	s_delay_alu instid0(VALU_DEP_4) | instskip(NEXT) | instid1(VALU_DEP_2)
	v_lshlrev_b32_e32 v28, 31, v32
	v_alignbit_b32 v29, v31, v27, 9
	s_delay_alu instid0(VALU_DEP_2) | instskip(SKIP_1) | instid1(VALU_DEP_3)
	v_dual_lshrrev_b32 v31, 9, v31 :: v_dual_bitop2_b32 v32, 0.5, v28 bitop3:0x54
	v_or_b32_e32 v28, 0x33000000, v28
	v_clz_i32_u32_e32 v35, v29
	s_delay_alu instid0(VALU_DEP_3) | instskip(NEXT) | instid1(VALU_DEP_2)
	v_sub_nc_u32_e32 v32, v32, v34
	v_min_u32_e32 v34, 32, v35
	s_delay_alu instid0(VALU_DEP_1) | instskip(NEXT) | instid1(VALU_DEP_3)
	v_add_lshl_u32 v33, v34, v33, 23
	v_or_b32_e32 v31, v31, v32
	v_not_b32_e32 v32, v34
	s_delay_alu instid0(VALU_DEP_2) | instskip(NEXT) | instid1(VALU_DEP_2)
	v_dual_mul_f32 v35, 0x3fc90fda, v31 :: v_dual_sub_nc_u32 v28, v28, v33
	v_alignbit_b32 v27, v29, v27, v32
	s_delay_alu instid0(VALU_DEP_2) | instskip(NEXT) | instid1(VALU_DEP_2)
	v_fma_f32 v29, 0x3fc90fda, v31, -v35
	v_lshrrev_b32_e32 v27, 9, v27
	s_delay_alu instid0(VALU_DEP_2) | instskip(NEXT) | instid1(VALU_DEP_2)
	v_fmac_f32_e32 v29, 0x33a22168, v31
	v_or_b32_e32 v27, v28, v27
	s_delay_alu instid0(VALU_DEP_1) | instskip(NEXT) | instid1(VALU_DEP_1)
	v_fmac_f32_e32 v29, 0x3fc90fda, v27
	v_dual_add_f32 v6, v35, v29 :: v_dual_lshrrev_b32 v27, 30, v6
	s_delay_alu instid0(VALU_DEP_1)
	v_add_nc_u32_e32 v27, v30, v27
	s_and_not1_saveexec_b32 s3, s30
	s_cbranch_execnz .LBB132_337
	s_branch .LBB132_338
.LBB132_336:                            ;   in Loop: Header=BB132_181 Depth=1
	s_and_not1_saveexec_b32 s3, s30
.LBB132_337:                            ;   in Loop: Header=BB132_181 Depth=1
	v_mul_f32_e64 v6, 0x3f22f983, |v17|
	s_delay_alu instid0(VALU_DEP_1) | instskip(NEXT) | instid1(VALU_DEP_1)
	v_rndne_f32_e32 v27, v6
	v_fma_f32 v6, 0xbfc90fda, v27, |v17|
	s_delay_alu instid0(VALU_DEP_1) | instskip(NEXT) | instid1(VALU_DEP_1)
	v_fmac_f32_e32 v6, 0xb3a22168, v27
	v_fmac_f32_e32 v6, 0xa7c234c4, v27
	v_cvt_i32_f32_e32 v27, v27
.LBB132_338:                            ;   in Loop: Header=BB132_181 Depth=1
	s_or_b32 exec_lo, exec_lo, s3
	s_delay_alu instid0(VALU_DEP_2) | instskip(SKIP_2) | instid1(VALU_DEP_3)
	v_dual_mul_f32 v28, 0x3fb8aa3b, v16 :: v_dual_mul_f32 v31, v6, v6
	v_dual_mul_f32 v29, v20, v20 :: v_dual_bitop2_b32 v30, 1, v21 bitop3:0x40
	v_cmp_nlt_f32_e64 s4, 0x42b17218, v16
	v_rndne_f32_e32 v32, v28
	v_fma_f32 v33, 0x3fb8aa3b, v16, -v28
	s_delay_alu instid0(VALU_DEP_4)
	v_fmaak_f32 v35, s24, v29, 0xbab64f3b
	v_fmaak_f32 v34, s23, v29, 0x3c0881c4
	v_dual_fmaak_f32 v36, s23, v31, 0x3c0881c4 :: v_dual_lshlrev_b32 v21, 30, v21
	v_sub_f32_e32 v28, v28, v32
	v_fmac_f32_e32 v33, 0x32a5705f, v16
	v_fmaak_f32 v37, s24, v31, 0xbab64f3b
	v_cvt_i32_f32_e32 v32, v32
	v_fmaak_f32 v36, v31, v36, 0xbe2aaa9d
	s_delay_alu instid0(VALU_DEP_4) | instskip(SKIP_1) | instid1(VALU_DEP_2)
	v_dual_fmaak_f32 v35, v29, v35, 0x3d2aabf7 :: v_dual_add_f32 v28, v28, v33
	v_cmp_eq_u32_e64 s3, 0, v30
	v_dual_mul_f32 v36, v31, v36 :: v_dual_fmaak_f32 v35, v29, v35, 0xbf000004
	s_delay_alu instid0(VALU_DEP_3) | instskip(NEXT) | instid1(VALU_DEP_1)
	v_exp_f32_e32 v28, v28
	v_fmac_f32_e32 v6, v6, v36
	s_delay_alu instid0(TRANS32_DEP_1) | instskip(SKIP_2) | instid1(VALU_DEP_2)
	v_ldexp_f32 v28, v28, v32
	v_dual_lshlrev_b32 v27, 30, v27 :: v_dual_bitop2_b32 v32, 1, v27 bitop3:0x40
	v_fmaak_f32 v34, v29, v34, 0xbe2aaa9d
	v_and_or_b32 v26, 0x80000000, v27, v26
	s_delay_alu instid0(VALU_DEP_2) | instskip(SKIP_1) | instid1(VALU_DEP_2)
	v_dual_mul_f32 v34, v29, v34 :: v_dual_fmaak_f32 v33, v31, v37, 0x3d2aabf7
	v_fma_f32 v29, v29, v35, 1.0
	v_dual_fmac_f32 v20, v20, v34 :: v_dual_fmaak_f32 v33, v31, v33, 0xbf000004
	s_delay_alu instid0(VALU_DEP_1) | instskip(NEXT) | instid1(VALU_DEP_2)
	v_cndmask_b32_e64 v20, -v20, v29, s3
	v_fma_f32 v31, v31, v33, 1.0
	v_cmp_eq_u32_e64 s3, 0, v32
	s_delay_alu instid0(VALU_DEP_3) | instskip(NEXT) | instid1(VALU_DEP_2)
	v_bitop3_b32 v20, v21, v20, 0x80000000 bitop3:0x6c
	v_cndmask_b32_e64 v6, v31, v6, s3
	v_cmp_ngt_f32_e64 s3, 0xc2ce8ed0, v16
	s_delay_alu instid0(VALU_DEP_1) | instskip(SKIP_1) | instid1(VALU_DEP_4)
	v_cndmask_b32_e64 v27, 0, v28, s3
	v_cmp_class_f32_e64 s3, v17, 0x1f8
	v_xor3_b32 v6, v26, v6, v17
                                        ; implicit-def: $vgpr26
	s_delay_alu instid0(VALU_DEP_3) | instskip(NEXT) | instid1(VALU_DEP_3)
	v_cndmask_b32_e64 v16, 0x7f800000, v27, s4
	v_cndmask_b32_e64 v17, 0x7fc00000, v20, s3
	s_delay_alu instid0(VALU_DEP_3) | instskip(NEXT) | instid1(VALU_DEP_1)
	v_cndmask_b32_e64 v6, 0x7fc00000, v6, s3
	v_dual_mul_f32 v20, v16, v17 :: v_dual_mul_f32 v21, v16, v6
                                        ; implicit-def: $vgpr17
.LBB132_339:                            ;   in Loop: Header=BB132_181 Depth=1
	s_and_not1_saveexec_b32 s29, s29
	s_cbranch_execz .LBB132_349
; %bb.340:                              ;   in Loop: Header=BB132_181 Depth=1
	v_cmp_ngt_f32_e64 s30, 0x48000000, |v17|
                                        ; implicit-def: $vgpr21
                                        ; implicit-def: $vgpr20
	s_and_saveexec_b32 s3, s30
	s_delay_alu instid0(SALU_CYCLE_1)
	s_xor_b32 s31, exec_lo, s3
	s_cbranch_execz .LBB132_342
; %bb.341:                              ;   in Loop: Header=BB132_181 Depth=1
	v_and_or_b32 v6, v26, s22, 0x800000
	v_mov_b32_e32 v37, v7
	s_delay_alu instid0(VALU_DEP_2) | instskip(NEXT) | instid1(VALU_DEP_1)
	v_mul_u64_e32 v[20:21], s[18:19], v[6:7]
	v_dual_mov_b32 v29, v7 :: v_dual_mov_b32 v28, v21
	v_lshrrev_b32_e32 v21, 23, v26
	s_delay_alu instid0(VALU_DEP_2) | instskip(SKIP_1) | instid1(VALU_DEP_3)
	v_mad_nc_u64_u32 v[28:29], 0x3c439041, v6, v[28:29]
	v_mov_b32_e32 v31, v7
	v_add_nc_u32_e32 v21, 0xffffff88, v21
	s_delay_alu instid0(VALU_DEP_1) | instskip(NEXT) | instid1(VALU_DEP_4)
	v_cmp_lt_u32_e64 s3, 63, v21
	v_mov_b32_e32 v30, v29
	s_delay_alu instid0(VALU_DEP_2) | instskip(NEXT) | instid1(VALU_DEP_2)
	v_cndmask_b32_e64 v27, 0, 0xffffffc0, s3
	v_mad_nc_u64_u32 v[30:31], 0xdb629599, v6, v[30:31]
	s_delay_alu instid0(VALU_DEP_1) | instskip(NEXT) | instid1(VALU_DEP_2)
	v_dual_mov_b32 v33, v7 :: v_dual_mov_b32 v32, v31
	v_cndmask_b32_e64 v20, v30, v20, s3
	s_delay_alu instid0(VALU_DEP_2) | instskip(NEXT) | instid1(VALU_DEP_1)
	v_mad_nc_u64_u32 v[32:33], 0xf534ddc0, v6, v[32:33]
	v_dual_mov_b32 v35, v7 :: v_dual_mov_b32 v34, v33
	s_delay_alu instid0(VALU_DEP_1) | instskip(NEXT) | instid1(VALU_DEP_1)
	v_mad_nc_u64_u32 v[34:35], 0xfc2757d1, v6, v[34:35]
	v_dual_mov_b32 v36, v35 :: v_dual_cndmask_b32 v33, v34, v30, s3
	s_delay_alu instid0(VALU_DEP_1) | instskip(SKIP_1) | instid1(VALU_DEP_2)
	v_mad_nc_u64_u32 v[36:37], 0x4e441529, v6, v[36:37]
	v_add_nc_u32_e32 v21, v27, v21
	v_dual_mov_b32 v39, v7 :: v_dual_mov_b32 v38, v37
	s_delay_alu instid0(VALU_DEP_2) | instskip(NEXT) | instid1(VALU_DEP_2)
	v_cmp_lt_u32_e64 s4, 31, v21
	v_mad_nc_u64_u32 v[38:39], 0xa2f9836e, v6, v[38:39]
	s_delay_alu instid0(VALU_DEP_2) | instskip(NEXT) | instid1(VALU_DEP_1)
	v_cndmask_b32_e64 v27, 0, 0xffffffe0, s4
	v_dual_add_nc_u32 v6, v27, v21 :: v_dual_cndmask_b32 v27, v36, v32, s3
	s_delay_alu instid0(VALU_DEP_3) | instskip(NEXT) | instid1(VALU_DEP_2)
	v_dual_cndmask_b32 v29, v38, v34, s3 :: v_dual_cndmask_b32 v31, v39, v36, s3
	v_cmp_lt_u32_e64 s5, 31, v6
	s_delay_alu instid0(VALU_DEP_1) | instskip(NEXT) | instid1(VALU_DEP_1)
	v_cndmask_b32_e64 v21, 0, 0xffffffe0, s5
	v_dual_add_nc_u32 v6, v21, v6 :: v_dual_cndmask_b32 v21, v32, v28, s3
	s_delay_alu instid0(VALU_DEP_4) | instskip(NEXT) | instid1(VALU_DEP_2)
	v_dual_cndmask_b32 v28, v29, v27, s4 :: v_dual_cndmask_b32 v29, v31, v29, s4
	v_dual_cndmask_b32 v27, v27, v33, s4 :: v_dual_sub_nc_u32 v31, 32, v6
	s_delay_alu instid0(VALU_DEP_3) | instskip(SKIP_1) | instid1(VALU_DEP_3)
	v_cndmask_b32_e64 v32, v33, v21, s4
	v_cmp_eq_u32_e64 s3, 0, v6
	v_dual_cndmask_b32 v29, v29, v28, s5 :: v_dual_cndmask_b32 v28, v28, v27, s5
	s_delay_alu instid0(VALU_DEP_3) | instskip(SKIP_1) | instid1(VALU_DEP_2)
	v_cndmask_b32_e64 v27, v27, v32, s5
	v_cndmask_b32_e64 v20, v21, v20, s4
	v_alignbit_b32 v30, v28, v27, v31
	s_delay_alu instid0(VALU_DEP_1) | instskip(SKIP_1) | instid1(VALU_DEP_1)
	v_cndmask_b32_e64 v21, v30, v28, s3
	v_alignbit_b32 v33, v29, v28, v31
	v_cndmask_b32_e64 v6, v33, v29, s3
	s_delay_alu instid0(VALU_DEP_1) | instskip(NEXT) | instid1(VALU_DEP_4)
	v_bfe_u32 v28, v6, 29, 1
	v_alignbit_b32 v29, v6, v21, 30
	s_delay_alu instid0(VALU_DEP_2) | instskip(NEXT) | instid1(VALU_DEP_1)
	v_sub_nc_u32_e32 v30, 0, v28
	v_dual_cndmask_b32 v20, v32, v20, s5 :: v_dual_bitop2_b32 v29, v29, v30 bitop3:0x14
	s_delay_alu instid0(VALU_DEP_1) | instskip(NEXT) | instid1(VALU_DEP_1)
	v_alignbit_b32 v31, v27, v20, v31
	v_cndmask_b32_e64 v27, v31, v27, s3
	s_delay_alu instid0(VALU_DEP_3) | instskip(NEXT) | instid1(VALU_DEP_2)
	v_clz_i32_u32_e32 v31, v29
	v_alignbit_b32 v21, v21, v27, 30
	s_delay_alu instid0(VALU_DEP_2) | instskip(NEXT) | instid1(VALU_DEP_2)
	v_min_u32_e32 v31, 32, v31
	v_xor_b32_e32 v21, v21, v30
	v_alignbit_b32 v20, v27, v20, 30
	s_delay_alu instid0(VALU_DEP_3) | instskip(NEXT) | instid1(VALU_DEP_2)
	v_dual_sub_nc_u32 v27, 31, v31 :: v_dual_lshlrev_b32 v32, 23, v31
	v_xor_b32_e32 v20, v20, v30
	v_lshrrev_b32_e32 v30, 29, v6
	s_delay_alu instid0(VALU_DEP_3) | instskip(SKIP_1) | instid1(VALU_DEP_4)
	v_alignbit_b32 v29, v29, v21, v27
	v_lshrrev_b32_e32 v6, 30, v6
	v_alignbit_b32 v20, v21, v20, v27
	s_delay_alu instid0(VALU_DEP_4) | instskip(NEXT) | instid1(VALU_DEP_2)
	v_lshlrev_b32_e32 v21, 31, v30
	v_alignbit_b32 v27, v29, v20, 9
	s_delay_alu instid0(VALU_DEP_2) | instskip(SKIP_2) | instid1(VALU_DEP_4)
	v_or_b32_e32 v30, 0.5, v21
	v_lshrrev_b32_e32 v29, 9, v29
	v_or_b32_e32 v21, 0x33000000, v21
	v_clz_i32_u32_e32 v33, v27
	s_delay_alu instid0(VALU_DEP_4) | instskip(NEXT) | instid1(VALU_DEP_2)
	v_sub_nc_u32_e32 v30, v30, v32
	v_min_u32_e32 v32, 32, v33
	s_delay_alu instid0(VALU_DEP_2) | instskip(NEXT) | instid1(VALU_DEP_2)
	v_or_b32_e32 v29, v29, v30
	v_not_b32_e32 v30, v32
	v_add_lshl_u32 v31, v32, v31, 23
	s_delay_alu instid0(VALU_DEP_2) | instskip(NEXT) | instid1(VALU_DEP_1)
	v_alignbit_b32 v20, v27, v20, v30
	v_dual_sub_nc_u32 v21, v21, v31 :: v_dual_lshrrev_b32 v20, 9, v20
	v_mul_f32_e32 v33, 0x3fc90fda, v29
	s_delay_alu instid0(VALU_DEP_2) | instskip(NEXT) | instid1(VALU_DEP_2)
	v_dual_add_nc_u32 v21, v28, v6 :: v_dual_bitop2_b32 v20, v21, v20 bitop3:0x54
	v_fma_f32 v27, 0x3fc90fda, v29, -v33
	s_delay_alu instid0(VALU_DEP_1) | instskip(NEXT) | instid1(VALU_DEP_1)
	v_fmac_f32_e32 v27, 0x33a22168, v29
	v_fmac_f32_e32 v27, 0x3fc90fda, v20
	s_delay_alu instid0(VALU_DEP_1)
	v_add_f32_e32 v20, v33, v27
	s_and_not1_saveexec_b32 s3, s31
	s_branch .LBB132_343
.LBB132_342:                            ;   in Loop: Header=BB132_181 Depth=1
	s_and_not1_saveexec_b32 s3, s31
.LBB132_343:                            ;   in Loop: Header=BB132_181 Depth=1
	v_mul_f32_e64 v6, 0x3f22f983, |v17|
	s_delay_alu instid0(VALU_DEP_1) | instskip(NEXT) | instid1(VALU_DEP_1)
	v_rndne_f32_e32 v6, v6
	v_fma_f32 v20, 0xbfc90fda, v6, |v17|
	v_cvt_i32_f32_e32 v21, v6
	s_delay_alu instid0(VALU_DEP_2) | instskip(NEXT) | instid1(VALU_DEP_1)
	v_fmac_f32_e32 v20, 0xb3a22168, v6
	v_fmac_f32_e32 v20, 0xa7c234c4, v6
; %bb.344:                              ;   in Loop: Header=BB132_181 Depth=1
	s_or_b32 exec_lo, exec_lo, s3
                                        ; implicit-def: $vgpr27
                                        ; implicit-def: $vgpr6
	s_and_saveexec_b32 s3, s30
	s_delay_alu instid0(SALU_CYCLE_1)
	s_xor_b32 s30, exec_lo, s3
	s_cbranch_execz .LBB132_346
; %bb.345:                              ;   in Loop: Header=BB132_181 Depth=1
	v_and_or_b32 v6, v26, s22, 0x800000
	v_dual_lshrrev_b32 v27, 23, v26 :: v_dual_mov_b32 v39, v7
	v_mov_b32_e32 v41, v7
	s_delay_alu instid0(VALU_DEP_3) | instskip(SKIP_1) | instid1(VALU_DEP_4)
	v_mul_u64_e32 v[28:29], s[18:19], v[6:7]
	v_mov_b32_e32 v31, v7
	v_add_nc_u32_e32 v27, 0xffffff88, v27
	s_delay_alu instid0(VALU_DEP_1) | instskip(NEXT) | instid1(VALU_DEP_4)
	v_cmp_lt_u32_e64 s3, 63, v27
	v_mov_b32_e32 v30, v29
	s_delay_alu instid0(VALU_DEP_2) | instskip(NEXT) | instid1(VALU_DEP_2)
	v_cndmask_b32_e64 v29, 0, 0xffffffc0, s3
	v_mad_nc_u64_u32 v[30:31], 0x3c439041, v6, v[30:31]
	s_delay_alu instid0(VALU_DEP_2) | instskip(NEXT) | instid1(VALU_DEP_1)
	v_dual_mov_b32 v33, v7 :: v_dual_add_nc_u32 v27, v29, v27
	v_cmp_lt_u32_e64 s4, 31, v27
	s_delay_alu instid0(VALU_DEP_3) | instskip(NEXT) | instid1(VALU_DEP_2)
	v_mov_b32_e32 v32, v31
	v_cndmask_b32_e64 v29, 0, 0xffffffe0, s4
	s_delay_alu instid0(VALU_DEP_2) | instskip(NEXT) | instid1(VALU_DEP_1)
	v_mad_nc_u64_u32 v[32:33], 0xdb629599, v6, v[32:33]
	v_dual_mov_b32 v35, v7 :: v_dual_mov_b32 v34, v33
	s_delay_alu instid0(VALU_DEP_2) | instskip(NEXT) | instid1(VALU_DEP_2)
	v_cndmask_b32_e64 v28, v32, v28, s3
	v_mad_nc_u64_u32 v[34:35], 0xf534ddc0, v6, v[34:35]
	s_delay_alu instid0(VALU_DEP_1) | instskip(NEXT) | instid1(VALU_DEP_1)
	v_dual_mov_b32 v37, v7 :: v_dual_mov_b32 v36, v35
	v_mad_nc_u64_u32 v[36:37], 0xfc2757d1, v6, v[36:37]
	s_delay_alu instid0(VALU_DEP_1) | instskip(NEXT) | instid1(VALU_DEP_1)
	v_dual_mov_b32 v38, v37 :: v_dual_cndmask_b32 v35, v36, v32, s3
	v_mad_nc_u64_u32 v[38:39], 0x4e441529, v6, v[38:39]
	s_delay_alu instid0(VALU_DEP_1) | instskip(NEXT) | instid1(VALU_DEP_1)
	v_mov_b32_e32 v40, v39
	v_mad_nc_u64_u32 v[40:41], 0xa2f9836e, v6, v[40:41]
	s_delay_alu instid0(VALU_DEP_3) | instskip(NEXT) | instid1(VALU_DEP_1)
	v_dual_add_nc_u32 v6, v29, v27 :: v_dual_cndmask_b32 v29, v38, v34, s3
	v_cmp_lt_u32_e64 s5, 31, v6
	s_delay_alu instid0(VALU_DEP_1) | instskip(NEXT) | instid1(VALU_DEP_4)
	v_cndmask_b32_e64 v27, 0, 0xffffffe0, s5
	v_dual_cndmask_b32 v31, v40, v36, s3 :: v_dual_cndmask_b32 v33, v41, v38, s3
	s_delay_alu instid0(VALU_DEP_2) | instskip(NEXT) | instid1(VALU_DEP_2)
	v_add_nc_u32_e32 v6, v27, v6
	v_dual_cndmask_b32 v27, v34, v30, s3 :: v_dual_cndmask_b32 v30, v31, v29, s4
	s_delay_alu instid0(VALU_DEP_3) | instskip(NEXT) | instid1(VALU_DEP_3)
	v_cndmask_b32_e64 v31, v33, v31, s4
	v_dual_cndmask_b32 v29, v29, v35, s4 :: v_dual_sub_nc_u32 v33, 32, v6
	s_delay_alu instid0(VALU_DEP_3) | instskip(SKIP_1) | instid1(VALU_DEP_3)
	v_cndmask_b32_e64 v34, v35, v27, s4
	v_cmp_eq_u32_e64 s3, 0, v6
	v_dual_cndmask_b32 v31, v31, v30, s5 :: v_dual_cndmask_b32 v30, v30, v29, s5
	s_delay_alu instid0(VALU_DEP_1) | instskip(NEXT) | instid1(VALU_DEP_1)
	v_alignbit_b32 v35, v31, v30, v33
	v_dual_cndmask_b32 v29, v29, v34, s5 :: v_dual_cndmask_b32 v6, v35, v31, s3
	s_delay_alu instid0(VALU_DEP_1) | instskip(NEXT) | instid1(VALU_DEP_1)
	v_alignbit_b32 v32, v30, v29, v33
	v_dual_cndmask_b32 v27, v27, v28, s4 :: v_dual_cndmask_b32 v28, v32, v30, s3
	s_delay_alu instid0(VALU_DEP_3) | instskip(NEXT) | instid1(VALU_DEP_2)
	v_bfe_u32 v30, v6, 29, 1
	v_cndmask_b32_e64 v27, v34, v27, s5
	s_delay_alu instid0(VALU_DEP_3) | instskip(NEXT) | instid1(VALU_DEP_3)
	v_alignbit_b32 v31, v6, v28, 30
	v_sub_nc_u32_e32 v32, 0, v30
	s_delay_alu instid0(VALU_DEP_3) | instskip(NEXT) | instid1(VALU_DEP_1)
	v_alignbit_b32 v33, v29, v27, v33
	v_dual_cndmask_b32 v29, v33, v29, s3 :: v_dual_bitop2_b32 v31, v31, v32 bitop3:0x14
	s_delay_alu instid0(VALU_DEP_1) | instskip(NEXT) | instid1(VALU_DEP_2)
	v_clz_i32_u32_e32 v33, v31
	v_alignbit_b32 v28, v28, v29, 30
	v_alignbit_b32 v27, v29, v27, 30
	s_delay_alu instid0(VALU_DEP_3) | instskip(NEXT) | instid1(VALU_DEP_3)
	v_min_u32_e32 v33, 32, v33
	v_xor_b32_e32 v28, v28, v32
	s_delay_alu instid0(VALU_DEP_3) | instskip(NEXT) | instid1(VALU_DEP_3)
	v_dual_lshrrev_b32 v32, 29, v6 :: v_dual_bitop2_b32 v27, v27, v32 bitop3:0x14
	v_dual_sub_nc_u32 v29, 31, v33 :: v_dual_lshlrev_b32 v34, 23, v33
	s_delay_alu instid0(VALU_DEP_1) | instskip(NEXT) | instid1(VALU_DEP_3)
	v_alignbit_b32 v31, v31, v28, v29
	v_alignbit_b32 v27, v28, v27, v29
	s_delay_alu instid0(VALU_DEP_4) | instskip(NEXT) | instid1(VALU_DEP_2)
	v_lshlrev_b32_e32 v28, 31, v32
	v_alignbit_b32 v29, v31, v27, 9
	s_delay_alu instid0(VALU_DEP_2) | instskip(SKIP_1) | instid1(VALU_DEP_3)
	v_dual_lshrrev_b32 v31, 9, v31 :: v_dual_bitop2_b32 v32, 0.5, v28 bitop3:0x54
	v_or_b32_e32 v28, 0x33000000, v28
	v_clz_i32_u32_e32 v35, v29
	s_delay_alu instid0(VALU_DEP_3) | instskip(NEXT) | instid1(VALU_DEP_2)
	v_sub_nc_u32_e32 v32, v32, v34
	v_min_u32_e32 v34, 32, v35
	s_delay_alu instid0(VALU_DEP_1) | instskip(NEXT) | instid1(VALU_DEP_3)
	v_add_lshl_u32 v33, v34, v33, 23
	v_or_b32_e32 v31, v31, v32
	v_not_b32_e32 v32, v34
	s_delay_alu instid0(VALU_DEP_2) | instskip(NEXT) | instid1(VALU_DEP_2)
	v_dual_mul_f32 v35, 0x3fc90fda, v31 :: v_dual_sub_nc_u32 v28, v28, v33
	v_alignbit_b32 v27, v29, v27, v32
	s_delay_alu instid0(VALU_DEP_2) | instskip(NEXT) | instid1(VALU_DEP_2)
	v_fma_f32 v29, 0x3fc90fda, v31, -v35
	v_lshrrev_b32_e32 v27, 9, v27
	s_delay_alu instid0(VALU_DEP_2) | instskip(NEXT) | instid1(VALU_DEP_2)
	v_fmac_f32_e32 v29, 0x33a22168, v31
	v_or_b32_e32 v27, v28, v27
	s_delay_alu instid0(VALU_DEP_1) | instskip(NEXT) | instid1(VALU_DEP_1)
	v_fmac_f32_e32 v29, 0x3fc90fda, v27
	v_dual_add_f32 v6, v35, v29 :: v_dual_lshrrev_b32 v27, 30, v6
	s_delay_alu instid0(VALU_DEP_1)
	v_add_nc_u32_e32 v27, v30, v27
	s_and_not1_saveexec_b32 s3, s30
	s_cbranch_execnz .LBB132_347
	s_branch .LBB132_348
.LBB132_346:                            ;   in Loop: Header=BB132_181 Depth=1
	s_and_not1_saveexec_b32 s3, s30
.LBB132_347:                            ;   in Loop: Header=BB132_181 Depth=1
	v_mul_f32_e64 v6, 0x3f22f983, |v17|
	s_delay_alu instid0(VALU_DEP_1) | instskip(NEXT) | instid1(VALU_DEP_1)
	v_rndne_f32_e32 v27, v6
	v_fma_f32 v6, 0xbfc90fda, v27, |v17|
	s_delay_alu instid0(VALU_DEP_1) | instskip(NEXT) | instid1(VALU_DEP_1)
	v_fmac_f32_e32 v6, 0xb3a22168, v27
	v_fmac_f32_e32 v6, 0xa7c234c4, v27
	v_cvt_i32_f32_e32 v27, v27
.LBB132_348:                            ;   in Loop: Header=BB132_181 Depth=1
	s_or_b32 exec_lo, exec_lo, s3
	v_add_f32_e32 v16, 0xc322e3bc, v16
	s_delay_alu instid0(VALU_DEP_2) | instskip(NEXT) | instid1(VALU_DEP_2)
	v_dual_mul_f32 v31, v20, v20 :: v_dual_bitop2_b32 v32, 1, v27 bitop3:0x40
	v_dual_mul_f32 v28, 0x3fb8aa3b, v16 :: v_dual_lshlrev_b32 v27, 30, v27
	s_delay_alu instid0(VALU_DEP_2) | instskip(NEXT) | instid1(VALU_DEP_2)
	v_fmaak_f32 v33, s24, v31, 0xbab64f3b
	v_and_or_b32 v26, 0x80000000, v27, v26
	s_delay_alu instid0(VALU_DEP_3) | instskip(SKIP_1) | instid1(VALU_DEP_4)
	v_fma_f32 v29, 0x3fb8aa3b, v16, -v28
	v_rndne_f32_e32 v30, v28
	v_fmaak_f32 v27, v31, v33, 0x3d2aabf7
	s_delay_alu instid0(VALU_DEP_2) | instskip(NEXT) | instid1(VALU_DEP_1)
	v_dual_fmac_f32 v29, 0x32a5705f, v16 :: v_dual_sub_f32 v28, v28, v30
	v_add_f32_e32 v28, v28, v29
	v_cvt_i32_f32_e32 v29, v30
	v_dual_lshlrev_b32 v30, 30, v21 :: v_dual_bitop2_b32 v21, 1, v21 bitop3:0x40
	s_delay_alu instid0(VALU_DEP_3) | instskip(SKIP_1) | instid1(TRANS32_DEP_1)
	v_exp_f32_e32 v28, v28
	v_nop
	v_ldexp_f32 v28, v28, v29
	v_dual_mul_f32 v29, v6, v6 :: v_dual_fmaak_f32 v34, s23, v31, 0x3c0881c4
	v_cmp_ngt_f32_e64 s3, 0xc2ce8ed0, v16
	s_delay_alu instid0(VALU_DEP_2) | instskip(NEXT) | instid1(VALU_DEP_3)
	v_fmaak_f32 v35, s23, v29, 0x3c0881c4
	v_fmaak_f32 v33, v31, v34, 0xbe2aaa9d
	s_delay_alu instid0(VALU_DEP_3) | instskip(SKIP_1) | instid1(VALU_DEP_3)
	v_cndmask_b32_e64 v28, 0, v28, s3
	v_cmp_nlt_f32_e64 s3, 0x42b17218, v16
	v_mul_f32_e32 v33, v31, v33
	v_fmaak_f32 v35, v29, v35, 0xbe2aaa9d
	s_delay_alu instid0(VALU_DEP_3) | instskip(SKIP_1) | instid1(VALU_DEP_4)
	v_cndmask_b32_e64 v16, 0x7f800000, v28, s3
	v_cmp_eq_u32_e64 s3, 0, v21
	v_fmac_f32_e32 v20, v20, v33
	s_delay_alu instid0(VALU_DEP_4) | instskip(NEXT) | instid1(VALU_DEP_4)
	v_dual_fmaak_f32 v28, s24, v29, 0xbab64f3b :: v_dual_mul_f32 v35, v29, v35
	v_lshrrev_b32_e32 v34, 23, v16
	v_and_or_b32 v16, 0x7fffff, v16, s25
	s_delay_alu instid0(VALU_DEP_3) | instskip(SKIP_1) | instid1(VALU_DEP_4)
	v_fmaak_f32 v28, v29, v28, 0x3d2aabf7
	v_fmaak_f32 v27, v31, v27, 0xbf000004
	v_subrev_nc_u32_e32 v34, 19, v34
	v_fmac_f32_e32 v6, v6, v35
	s_delay_alu instid0(VALU_DEP_4) | instskip(NEXT) | instid1(VALU_DEP_4)
	v_fmaak_f32 v28, v29, v28, 0xbf000004
	v_fma_f32 v27, v31, v27, 1.0
	s_delay_alu instid0(VALU_DEP_4) | instskip(NEXT) | instid1(VALU_DEP_3)
	v_lshrrev_b16 v31, 15, v34
	v_fma_f32 v28, v29, v28, 1.0
	s_delay_alu instid0(VALU_DEP_3) | instskip(SKIP_1) | instid1(VALU_DEP_4)
	v_cndmask_b32_e64 v20, -v20, v27, s3
	v_cmp_eq_u32_e64 s3, 0, v32
	v_add_nc_u16 v21, v34, v31
	s_delay_alu instid0(VALU_DEP_3) | instskip(NEXT) | instid1(VALU_DEP_3)
	v_bitop3_b32 v20, v30, v20, 0x80000000 bitop3:0x6c
	v_cndmask_b32_e64 v6, v28, v6, s3
	s_delay_alu instid0(VALU_DEP_3) | instskip(SKIP_1) | instid1(VALU_DEP_3)
	v_ashrrev_i16 v21, 1, v21
	v_cmp_class_f32_e64 s3, v17, 0x1f8
	v_xor3_b32 v6, v26, v6, v17
	s_delay_alu instid0(VALU_DEP_2) | instskip(NEXT) | instid1(VALU_DEP_4)
	v_cndmask_b32_e64 v17, 0x7fc00000, v20, s3
	v_bfe_i32 v20, v21, 0, 16
	s_delay_alu instid0(VALU_DEP_3) | instskip(NEXT) | instid1(VALU_DEP_3)
	v_cndmask_b32_e64 v6, 0x7fc00000, v6, s3
	v_mul_f32_e32 v17, v17, v16
	s_delay_alu instid0(VALU_DEP_3) | instskip(SKIP_1) | instid1(VALU_DEP_2)
	v_lshl_add_u32 v21, v20, 23, 1.0
	v_sub_nc_u32_e32 v20, v34, v20
	v_dual_mul_f32 v6, v6, v16 :: v_dual_mul_f32 v16, v17, v21
	s_delay_alu instid0(VALU_DEP_2) | instskip(NEXT) | instid1(VALU_DEP_2)
	v_lshl_add_u32 v17, v20, 23, 1.0
	v_mul_f32_e32 v6, v6, v21
	s_delay_alu instid0(VALU_DEP_1)
	v_dual_mul_f32 v20, v16, v17 :: v_dual_mul_f32 v21, v6, v17
.LBB132_349:                            ;   in Loop: Header=BB132_181 Depth=1
	s_or_b32 exec_lo, exec_lo, s29
                                        ; implicit-def: $vgpr16
                                        ; implicit-def: $vgpr6
.LBB132_350:                            ;   in Loop: Header=BB132_181 Depth=1
	s_and_not1_saveexec_b32 s4, s28
	s_cbranch_execz .LBB132_356
; %bb.351:                              ;   in Loop: Header=BB132_181 Depth=1
	v_cmp_ne_u32_e64 s3, 0x7f800000, v6
                                        ; implicit-def: $vgpr21
	s_and_saveexec_b32 s5, s3
	s_delay_alu instid0(SALU_CYCLE_1)
	s_xor_b32 s3, exec_lo, s5
; %bb.352:                              ;   in Loop: Header=BB132_181 Depth=1
	v_sub_f32_e32 v21, v17, v17
                                        ; implicit-def: $vgpr16
; %bb.353:                              ;   in Loop: Header=BB132_181 Depth=1
	s_or_saveexec_b32 s5, s3
	s_delay_alu instid0(VALU_DEP_1)
	v_mov_b32_e32 v20, v21
	s_xor_b32 exec_lo, exec_lo, s5
; %bb.354:                              ;   in Loop: Header=BB132_181 Depth=1
	v_cmp_lt_i32_e64 s3, -1, v16
	s_delay_alu instid0(VALU_DEP_1) | instskip(NEXT) | instid1(VALU_DEP_1)
	v_dual_sub_f32 v6, v17, v17 :: v_dual_cndmask_b32 v20, 0, v16, s3
	v_cndmask_b32_e64 v21, 0, v6, s3
; %bb.355:                              ;   in Loop: Header=BB132_181 Depth=1
	s_or_b32 exec_lo, exec_lo, s5
.LBB132_356:                            ;   in Loop: Header=BB132_181 Depth=1
	s_delay_alu instid0(SALU_CYCLE_1)
	s_or_b32 exec_lo, exec_lo, s4
                                        ; implicit-def: $vgpr17
                                        ; implicit-def: $vgpr26
.LBB132_357:                            ;   in Loop: Header=BB132_181 Depth=1
	s_and_not1_saveexec_b32 s27, s27
	s_cbranch_execz .LBB132_367
; %bb.358:                              ;   in Loop: Header=BB132_181 Depth=1
	v_cmp_ngt_f32_e64 s28, 0x48000000, |v17|
                                        ; implicit-def: $vgpr20
                                        ; implicit-def: $vgpr16
	s_and_saveexec_b32 s3, s28
	s_delay_alu instid0(SALU_CYCLE_1)
	s_xor_b32 s29, exec_lo, s3
	s_cbranch_execz .LBB132_360
; %bb.359:                              ;   in Loop: Header=BB132_181 Depth=1
	v_and_or_b32 v6, v26, s22, 0x800000
	v_dual_mov_b32 v37, v7 :: v_dual_lshrrev_b32 v16, 23, v26
	v_mov_b32_e32 v39, v7
	s_delay_alu instid0(VALU_DEP_3) | instskip(NEXT) | instid1(VALU_DEP_3)
	v_mul_u64_e32 v[20:21], s[18:19], v[6:7]
	v_dual_mov_b32 v29, v7 :: v_dual_add_nc_u32 v16, 0xffffff88, v16
	s_delay_alu instid0(VALU_DEP_1) | instskip(NEXT) | instid1(VALU_DEP_3)
	v_cmp_lt_u32_e64 s3, 63, v16
	v_mov_b32_e32 v28, v21
	s_delay_alu instid0(VALU_DEP_2) | instskip(NEXT) | instid1(VALU_DEP_2)
	v_cndmask_b32_e64 v21, 0, 0xffffffc0, s3
	v_mad_nc_u64_u32 v[28:29], 0x3c439041, v6, v[28:29]
	s_delay_alu instid0(VALU_DEP_2) | instskip(NEXT) | instid1(VALU_DEP_1)
	v_dual_mov_b32 v31, v7 :: v_dual_add_nc_u32 v16, v21, v16
	v_cmp_lt_u32_e64 s4, 31, v16
	s_delay_alu instid0(VALU_DEP_3) | instskip(NEXT) | instid1(VALU_DEP_2)
	v_mov_b32_e32 v30, v29
	v_cndmask_b32_e64 v21, 0, 0xffffffe0, s4
	s_delay_alu instid0(VALU_DEP_2) | instskip(NEXT) | instid1(VALU_DEP_1)
	v_mad_nc_u64_u32 v[30:31], 0xdb629599, v6, v[30:31]
	v_dual_mov_b32 v33, v7 :: v_dual_mov_b32 v32, v31
	s_delay_alu instid0(VALU_DEP_1) | instskip(NEXT) | instid1(VALU_DEP_1)
	v_mad_nc_u64_u32 v[32:33], 0xf534ddc0, v6, v[32:33]
	v_dual_mov_b32 v35, v7 :: v_dual_mov_b32 v34, v33
	s_delay_alu instid0(VALU_DEP_1) | instskip(NEXT) | instid1(VALU_DEP_1)
	v_mad_nc_u64_u32 v[34:35], 0xfc2757d1, v6, v[34:35]
	v_dual_mov_b32 v36, v35 :: v_dual_cndmask_b32 v31, v34, v30, s3
	s_delay_alu instid0(VALU_DEP_1) | instskip(NEXT) | instid1(VALU_DEP_1)
	v_mad_nc_u64_u32 v[36:37], 0x4e441529, v6, v[36:37]
	v_mov_b32_e32 v38, v37
	s_delay_alu instid0(VALU_DEP_1) | instskip(SKIP_1) | instid1(VALU_DEP_2)
	v_mad_nc_u64_u32 v[38:39], 0xa2f9836e, v6, v[38:39]
	v_add_nc_u32_e32 v6, v21, v16
	v_dual_cndmask_b32 v21, v36, v32, s3 :: v_dual_cndmask_b32 v27, v38, v34, s3
	s_delay_alu instid0(VALU_DEP_2) | instskip(NEXT) | instid1(VALU_DEP_4)
	v_cmp_lt_u32_e64 s5, 31, v6
	v_cndmask_b32_e64 v29, v39, v36, s3
	s_delay_alu instid0(VALU_DEP_2) | instskip(NEXT) | instid1(VALU_DEP_1)
	v_cndmask_b32_e64 v16, 0, 0xffffffe0, s5
	v_add_nc_u32_e32 v6, v16, v6
	v_dual_cndmask_b32 v16, v32, v28, s3 :: v_dual_cndmask_b32 v28, v27, v21, s4
	s_delay_alu instid0(VALU_DEP_4) | instskip(NEXT) | instid1(VALU_DEP_3)
	v_cndmask_b32_e64 v27, v29, v27, s4
	v_dual_cndmask_b32 v21, v21, v31, s4 :: v_dual_sub_nc_u32 v29, 32, v6
	s_delay_alu instid0(VALU_DEP_3) | instskip(NEXT) | instid1(VALU_DEP_2)
	v_cndmask_b32_e64 v31, v31, v16, s4
	v_dual_cndmask_b32 v27, v27, v28, s5 :: v_dual_cndmask_b32 v28, v28, v21, s5
	s_delay_alu instid0(VALU_DEP_2) | instskip(NEXT) | instid1(VALU_DEP_2)
	v_cndmask_b32_e64 v21, v21, v31, s5
	v_alignbit_b32 v32, v27, v28, v29
	v_cndmask_b32_e64 v20, v30, v20, s3
	v_cmp_eq_u32_e64 s3, 0, v6
	s_delay_alu instid0(VALU_DEP_4) | instskip(NEXT) | instid1(VALU_DEP_2)
	v_alignbit_b32 v30, v28, v21, v29
	v_cndmask_b32_e64 v6, v32, v27, s3
	s_delay_alu instid0(VALU_DEP_1) | instskip(SKIP_1) | instid1(VALU_DEP_2)
	v_bfe_u32 v27, v6, 29, 1
	v_cndmask_b32_e64 v16, v16, v20, s4
	v_dual_cndmask_b32 v20, v30, v28, s3 :: v_dual_sub_nc_u32 v30, 0, v27
	s_delay_alu instid0(VALU_DEP_2) | instskip(NEXT) | instid1(VALU_DEP_2)
	v_cndmask_b32_e64 v16, v31, v16, s5
	v_alignbit_b32 v28, v6, v20, 30
	s_delay_alu instid0(VALU_DEP_2) | instskip(NEXT) | instid1(VALU_DEP_1)
	v_alignbit_b32 v29, v21, v16, v29
	v_dual_cndmask_b32 v21, v29, v21, s3 :: v_dual_bitop2_b32 v28, v28, v30 bitop3:0x14
	s_delay_alu instid0(VALU_DEP_1) | instskip(NEXT) | instid1(VALU_DEP_2)
	v_clz_i32_u32_e32 v29, v28
	v_alignbit_b32 v20, v20, v21, 30
	s_delay_alu instid0(VALU_DEP_2) | instskip(SKIP_1) | instid1(VALU_DEP_2)
	v_min_u32_e32 v29, 32, v29
	v_alignbit_b32 v16, v21, v16, 30
	v_dual_sub_nc_u32 v21, 31, v29 :: v_dual_bitop2_b32 v20, v20, v30 bitop3:0x14
	s_delay_alu instid0(VALU_DEP_2) | instskip(SKIP_2) | instid1(VALU_DEP_4)
	v_xor_b32_e32 v16, v16, v30
	v_dual_lshrrev_b32 v30, 29, v6 :: v_dual_lshlrev_b32 v31, 23, v29
	v_lshrrev_b32_e32 v6, 30, v6
	v_alignbit_b32 v28, v28, v20, v21
	s_delay_alu instid0(VALU_DEP_4) | instskip(NEXT) | instid1(VALU_DEP_4)
	v_alignbit_b32 v16, v20, v16, v21
	v_lshlrev_b32_e32 v20, 31, v30
	s_delay_alu instid0(VALU_DEP_2) | instskip(NEXT) | instid1(VALU_DEP_2)
	v_alignbit_b32 v21, v28, v16, 9
	v_or_b32_e32 v30, 0.5, v20
	v_lshrrev_b32_e32 v28, 9, v28
	v_or_b32_e32 v20, 0x33000000, v20
	s_delay_alu instid0(VALU_DEP_4) | instskip(NEXT) | instid1(VALU_DEP_4)
	v_clz_i32_u32_e32 v32, v21
	v_sub_nc_u32_e32 v30, v30, v31
	s_delay_alu instid0(VALU_DEP_2) | instskip(NEXT) | instid1(VALU_DEP_2)
	v_min_u32_e32 v31, 32, v32
	v_or_b32_e32 v28, v28, v30
	s_delay_alu instid0(VALU_DEP_2) | instskip(SKIP_1) | instid1(VALU_DEP_2)
	v_not_b32_e32 v30, v31
	v_add_lshl_u32 v29, v31, v29, 23
	v_alignbit_b32 v16, v21, v16, v30
	s_delay_alu instid0(VALU_DEP_1) | instskip(SKIP_1) | instid1(VALU_DEP_2)
	v_dual_sub_nc_u32 v20, v20, v29 :: v_dual_lshrrev_b32 v16, 9, v16
	v_mul_f32_e32 v32, 0x3fc90fda, v28
	v_dual_add_nc_u32 v20, v27, v6 :: v_dual_bitop2_b32 v16, v20, v16 bitop3:0x54
	s_delay_alu instid0(VALU_DEP_2) | instskip(NEXT) | instid1(VALU_DEP_1)
	v_fma_f32 v21, 0x3fc90fda, v28, -v32
	v_fmac_f32_e32 v21, 0x33a22168, v28
	s_delay_alu instid0(VALU_DEP_1) | instskip(NEXT) | instid1(VALU_DEP_1)
	v_fmac_f32_e32 v21, 0x3fc90fda, v16
	v_add_f32_e32 v16, v32, v21
	s_and_not1_saveexec_b32 s3, s29
	s_branch .LBB132_361
.LBB132_360:                            ;   in Loop: Header=BB132_181 Depth=1
	s_and_not1_saveexec_b32 s3, s29
.LBB132_361:                            ;   in Loop: Header=BB132_181 Depth=1
	v_mul_f32_e64 v6, 0x3f22f983, |v17|
	s_delay_alu instid0(VALU_DEP_1) | instskip(NEXT) | instid1(VALU_DEP_1)
	v_rndne_f32_e32 v6, v6
	v_fma_f32 v16, 0xbfc90fda, v6, |v17|
	v_cvt_i32_f32_e32 v20, v6
	s_delay_alu instid0(VALU_DEP_2) | instskip(NEXT) | instid1(VALU_DEP_1)
	v_fmac_f32_e32 v16, 0xb3a22168, v6
	v_fmac_f32_e32 v16, 0xa7c234c4, v6
; %bb.362:                              ;   in Loop: Header=BB132_181 Depth=1
	s_or_b32 exec_lo, exec_lo, s3
                                        ; implicit-def: $vgpr21
                                        ; implicit-def: $vgpr6
	s_and_saveexec_b32 s3, s28
	s_delay_alu instid0(SALU_CYCLE_1)
	s_xor_b32 s28, exec_lo, s3
	s_cbranch_execz .LBB132_364
; %bb.363:                              ;   in Loop: Header=BB132_181 Depth=1
	v_and_or_b32 v6, v26, s22, 0x800000
	v_dual_lshrrev_b32 v21, 23, v26 :: v_dual_mov_b32 v39, v7
	s_delay_alu instid0(VALU_DEP_2) | instskip(SKIP_1) | instid1(VALU_DEP_3)
	v_mul_u64_e32 v[28:29], s[18:19], v[6:7]
	v_mov_b32_e32 v31, v7
	v_add_nc_u32_e32 v21, 0xffffff88, v21
	s_delay_alu instid0(VALU_DEP_1) | instskip(NEXT) | instid1(VALU_DEP_1)
	v_cmp_lt_u32_e64 s3, 63, v21
	v_cndmask_b32_e64 v27, 0, 0xffffffc0, s3
	v_mov_b32_e32 v30, v29
	s_delay_alu instid0(VALU_DEP_1) | instskip(NEXT) | instid1(VALU_DEP_1)
	v_mad_nc_u64_u32 v[30:31], 0x3c439041, v6, v[30:31]
	v_dual_mov_b32 v33, v7 :: v_dual_mov_b32 v32, v31
	s_delay_alu instid0(VALU_DEP_1) | instskip(NEXT) | instid1(VALU_DEP_1)
	v_mad_nc_u64_u32 v[32:33], 0xdb629599, v6, v[32:33]
	v_dual_mov_b32 v35, v7 :: v_dual_mov_b32 v34, v33
	s_delay_alu instid0(VALU_DEP_1) | instskip(NEXT) | instid1(VALU_DEP_1)
	v_mad_nc_u64_u32 v[34:35], 0xf534ddc0, v6, v[34:35]
	v_dual_mov_b32 v37, v7 :: v_dual_mov_b32 v36, v35
	s_delay_alu instid0(VALU_DEP_1) | instskip(NEXT) | instid1(VALU_DEP_1)
	v_mad_nc_u64_u32 v[36:37], 0xfc2757d1, v6, v[36:37]
	v_dual_mov_b32 v38, v37 :: v_dual_cndmask_b32 v33, v36, v32, s3
	s_delay_alu instid0(VALU_DEP_1) | instskip(SKIP_2) | instid1(VALU_DEP_2)
	v_mad_nc_u64_u32 v[38:39], 0x4e441529, v6, v[38:39]
	v_add_nc_u32_e32 v21, v27, v21
	v_mov_b32_e32 v41, v7
	v_cmp_lt_u32_e64 s4, 31, v21
	s_delay_alu instid0(VALU_DEP_4) | instskip(NEXT) | instid1(VALU_DEP_2)
	v_mov_b32_e32 v40, v39
	v_cndmask_b32_e64 v27, 0, 0xffffffe0, s4
	s_delay_alu instid0(VALU_DEP_2) | instskip(NEXT) | instid1(VALU_DEP_2)
	v_mad_nc_u64_u32 v[40:41], 0xa2f9836e, v6, v[40:41]
	v_dual_add_nc_u32 v6, v27, v21 :: v_dual_cndmask_b32 v27, v38, v34, s3
	s_delay_alu instid0(VALU_DEP_2) | instskip(NEXT) | instid1(VALU_DEP_2)
	v_dual_cndmask_b32 v29, v40, v36, s3 :: v_dual_cndmask_b32 v31, v41, v38, s3
	v_cmp_lt_u32_e64 s5, 31, v6
	s_delay_alu instid0(VALU_DEP_1) | instskip(NEXT) | instid1(VALU_DEP_1)
	v_cndmask_b32_e64 v21, 0, 0xffffffe0, s5
	v_add_nc_u32_e32 v6, v21, v6
	s_delay_alu instid0(VALU_DEP_4) | instskip(SKIP_1) | instid1(VALU_DEP_3)
	v_dual_cndmask_b32 v21, v34, v30, s3 :: v_dual_cndmask_b32 v30, v29, v27, s4
	v_cndmask_b32_e64 v29, v31, v29, s4
	v_dual_cndmask_b32 v27, v27, v33, s4 :: v_dual_sub_nc_u32 v31, 32, v6
	s_delay_alu instid0(VALU_DEP_3) | instskip(NEXT) | instid1(VALU_DEP_2)
	v_cndmask_b32_e64 v33, v33, v21, s4
	v_dual_cndmask_b32 v29, v29, v30, s5 :: v_dual_cndmask_b32 v30, v30, v27, s5
	s_delay_alu instid0(VALU_DEP_2) | instskip(NEXT) | instid1(VALU_DEP_2)
	v_cndmask_b32_e64 v27, v27, v33, s5
	v_alignbit_b32 v34, v29, v30, v31
	v_cndmask_b32_e64 v28, v32, v28, s3
	v_cmp_eq_u32_e64 s3, 0, v6
	s_delay_alu instid0(VALU_DEP_4) | instskip(NEXT) | instid1(VALU_DEP_2)
	v_alignbit_b32 v32, v30, v27, v31
	v_dual_cndmask_b32 v6, v34, v29, s3 :: v_dual_cndmask_b32 v21, v21, v28, s4
	s_delay_alu instid0(VALU_DEP_2) | instskip(NEXT) | instid1(VALU_DEP_2)
	v_cndmask_b32_e64 v28, v32, v30, s3
	v_bfe_u32 v29, v6, 29, 1
	s_delay_alu instid0(VALU_DEP_2) | instskip(NEXT) | instid1(VALU_DEP_2)
	v_alignbit_b32 v30, v6, v28, 30
	v_sub_nc_u32_e32 v32, 0, v29
	s_delay_alu instid0(VALU_DEP_1) | instskip(NEXT) | instid1(VALU_DEP_1)
	v_dual_cndmask_b32 v21, v33, v21, s5 :: v_dual_bitop2_b32 v30, v30, v32 bitop3:0x14
	v_alignbit_b32 v31, v27, v21, v31
	s_delay_alu instid0(VALU_DEP_1) | instskip(NEXT) | instid1(VALU_DEP_3)
	v_cndmask_b32_e64 v27, v31, v27, s3
	v_clz_i32_u32_e32 v31, v30
	s_delay_alu instid0(VALU_DEP_2) | instskip(NEXT) | instid1(VALU_DEP_2)
	v_alignbit_b32 v28, v28, v27, 30
	v_min_u32_e32 v31, 32, v31
	v_alignbit_b32 v21, v27, v21, 30
	s_delay_alu instid0(VALU_DEP_2) | instskip(NEXT) | instid1(VALU_DEP_2)
	v_dual_sub_nc_u32 v28, 31, v31 :: v_dual_bitop2_b32 v27, v28, v32 bitop3:0x14
	v_dual_lshrrev_b32 v32, 29, v6 :: v_dual_bitop2_b32 v21, v21, v32 bitop3:0x14
	v_lshlrev_b32_e32 v33, 23, v31
	s_delay_alu instid0(VALU_DEP_3) | instskip(NEXT) | instid1(VALU_DEP_3)
	v_alignbit_b32 v30, v30, v27, v28
	v_alignbit_b32 v21, v27, v21, v28
	s_delay_alu instid0(VALU_DEP_4) | instskip(NEXT) | instid1(VALU_DEP_2)
	v_lshlrev_b32_e32 v27, 31, v32
	v_alignbit_b32 v28, v30, v21, 9
	s_delay_alu instid0(VALU_DEP_2) | instskip(SKIP_1) | instid1(VALU_DEP_3)
	v_dual_lshrrev_b32 v30, 9, v30 :: v_dual_bitop2_b32 v32, 0.5, v27 bitop3:0x54
	v_or_b32_e32 v27, 0x33000000, v27
	v_clz_i32_u32_e32 v34, v28
	s_delay_alu instid0(VALU_DEP_3) | instskip(NEXT) | instid1(VALU_DEP_2)
	v_sub_nc_u32_e32 v32, v32, v33
	v_min_u32_e32 v33, 32, v34
	s_delay_alu instid0(VALU_DEP_1) | instskip(NEXT) | instid1(VALU_DEP_1)
	v_add_lshl_u32 v31, v33, v31, 23
	v_dual_sub_nc_u32 v27, v27, v31 :: v_dual_bitop2_b32 v30, v30, v32 bitop3:0x54
	v_not_b32_e32 v32, v33
	s_delay_alu instid0(VALU_DEP_1) | instskip(NEXT) | instid1(VALU_DEP_1)
	v_alignbit_b32 v21, v28, v21, v32
	v_dual_mul_f32 v34, 0x3fc90fda, v30 :: v_dual_lshrrev_b32 v21, 9, v21
	s_delay_alu instid0(VALU_DEP_1) | instskip(NEXT) | instid1(VALU_DEP_2)
	v_or_b32_e32 v21, v27, v21
	v_fma_f32 v28, 0x3fc90fda, v30, -v34
	s_delay_alu instid0(VALU_DEP_1) | instskip(NEXT) | instid1(VALU_DEP_1)
	v_fmac_f32_e32 v28, 0x33a22168, v30
	v_dual_fmac_f32 v28, 0x3fc90fda, v21 :: v_dual_lshrrev_b32 v21, 30, v6
	s_delay_alu instid0(VALU_DEP_1)
	v_dual_add_f32 v6, v34, v28 :: v_dual_add_nc_u32 v21, v29, v21
	s_and_not1_saveexec_b32 s3, s28
	s_cbranch_execnz .LBB132_365
	s_branch .LBB132_366
.LBB132_364:                            ;   in Loop: Header=BB132_181 Depth=1
	s_and_not1_saveexec_b32 s3, s28
.LBB132_365:                            ;   in Loop: Header=BB132_181 Depth=1
	v_mul_f32_e64 v6, 0x3f22f983, |v17|
	s_delay_alu instid0(VALU_DEP_1) | instskip(NEXT) | instid1(VALU_DEP_1)
	v_rndne_f32_e32 v21, v6
	v_fma_f32 v6, 0xbfc90fda, v21, |v17|
	s_delay_alu instid0(VALU_DEP_1) | instskip(NEXT) | instid1(VALU_DEP_1)
	v_fmac_f32_e32 v6, 0xb3a22168, v21
	v_fmac_f32_e32 v6, 0xa7c234c4, v21
	v_cvt_i32_f32_e32 v21, v21
.LBB132_366:                            ;   in Loop: Header=BB132_181 Depth=1
	s_or_b32 exec_lo, exec_lo, s3
	s_delay_alu instid0(VALU_DEP_1) | instskip(SKIP_1) | instid1(VALU_DEP_2)
	v_dual_mul_f32 v27, v16, v16 :: v_dual_mul_f32 v28, v6, v6
	v_dual_lshlrev_b32 v20, 30, v20 :: v_dual_bitop2_b32 v29, 1, v20 bitop3:0x40
	v_fmaak_f32 v30, s23, v27, 0x3c0881c4
	s_delay_alu instid0(VALU_DEP_3) | instskip(NEXT) | instid1(VALU_DEP_3)
	v_fmaak_f32 v32, s23, v28, 0x3c0881c4
	v_cmp_eq_u32_e64 s3, 0, v29
	v_dual_lshlrev_b32 v21, 30, v21 :: v_dual_bitop2_b32 v34, 1, v21 bitop3:0x40
	s_delay_alu instid0(VALU_DEP_4) | instskip(SKIP_2) | instid1(VALU_DEP_4)
	v_fmaak_f32 v30, v27, v30, 0xbe2aaa9d
	v_fmaak_f32 v31, s24, v27, 0xbab64f3b
	;; [unrolled: 1-line block ×3, first 2 shown]
	v_and_or_b32 v21, 0x80000000, v21, v26
	s_delay_alu instid0(VALU_DEP_4) | instskip(NEXT) | instid1(VALU_DEP_3)
	v_dual_mul_f32 v30, v27, v30 :: v_dual_fmaak_f32 v33, s24, v28, 0xbab64f3b
	v_dual_fmaak_f32 v31, v27, v31, 0x3d2aabf7 :: v_dual_mul_f32 v32, v28, v32
	s_delay_alu instid0(VALU_DEP_2) | instskip(NEXT) | instid1(VALU_DEP_3)
	v_fmac_f32_e32 v16, v16, v30
	v_fmaak_f32 v33, v28, v33, 0x3d2aabf7
	s_delay_alu instid0(VALU_DEP_3) | instskip(NEXT) | instid1(VALU_DEP_2)
	v_dual_fmaak_f32 v31, v27, v31, 0xbf000004 :: v_dual_fmac_f32 v6, v6, v32
	v_fmaak_f32 v33, v28, v33, 0xbf000004
	s_delay_alu instid0(VALU_DEP_2) | instskip(NEXT) | instid1(VALU_DEP_2)
	v_fma_f32 v27, v27, v31, 1.0
	v_fma_f32 v28, v28, v33, 1.0
	s_delay_alu instid0(VALU_DEP_2) | instskip(SKIP_1) | instid1(VALU_DEP_2)
	v_cndmask_b32_e64 v16, -v16, v27, s3
	v_cmp_eq_u32_e64 s3, 0, v34
	v_bitop3_b32 v16, v20, v16, 0x80000000 bitop3:0x6c
	s_delay_alu instid0(VALU_DEP_2) | instskip(SKIP_1) | instid1(VALU_DEP_2)
	v_cndmask_b32_e64 v6, v28, v6, s3
	v_cmp_class_f32_e64 s3, v17, 0x1f8
	v_xor3_b32 v6, v21, v6, v17
	s_delay_alu instid0(VALU_DEP_2) | instskip(NEXT) | instid1(VALU_DEP_2)
	v_cndmask_b32_e64 v20, 0x7fc00000, v16, s3
	v_cndmask_b32_e64 v21, 0x7fc00000, v6, s3
.LBB132_367:                            ;   in Loop: Header=BB132_181 Depth=1
	s_or_b32 exec_lo, exec_lo, s27
                                        ; implicit-def: $vgpr16
	s_and_not1_saveexec_b32 s4, s26
	s_cbranch_execnz .LBB132_328
.LBB132_368:                            ;   in Loop: Header=BB132_181 Depth=1
	s_or_b32 exec_lo, exec_lo, s4
	s_and_saveexec_b32 s3, vcc_lo
	s_delay_alu instid0(SALU_CYCLE_1)
	s_xor_b32 s3, exec_lo, s3
	s_cbranch_execz .LBB132_329
.LBB132_369:                            ;   in Loop: Header=BB132_181 Depth=1
	v_lshl_add_u64 v[8:9], v[8:9], 3, s[8:9]
	global_store_b64 v[8:9], v[18:19], off
	s_wait_xcnt 0x0
	s_or_b32 exec_lo, exec_lo, s3
	s_and_saveexec_b32 s3, s0
	s_cbranch_execnz .LBB132_330
.LBB132_370:                            ;   in Loop: Header=BB132_181 Depth=1
	s_or_b32 exec_lo, exec_lo, s3
	s_and_saveexec_b32 s0, s1
	s_cbranch_execz .LBB132_331
.LBB132_371:                            ;   in Loop: Header=BB132_181 Depth=1
	v_lshl_add_u64 v[8:9], v[12:13], 3, s[8:9]
	global_store_b64 v[8:9], v[24:25], off
	s_wait_xcnt 0x0
	s_or_b32 exec_lo, exec_lo, s0
	s_and_saveexec_b32 s0, s2
	s_cbranch_execz .LBB132_180
.LBB132_372:                            ;   in Loop: Header=BB132_181 Depth=1
	v_lshl_add_u64 v[8:9], v[14:15], 3, s[8:9]
	global_store_b64 v[8:9], v[20:21], off
	s_branch .LBB132_180
.LBB132_373:
	s_endpgm
	.section	.rodata,"a",@progbits
	.p2align	6, 0x0
	.amdhsa_kernel _ZN2at6native12_GLOBAL__N_125multi_tensor_apply_kernelINS1_18TensorListMetadataILi2EEENS1_14UnaryOpFunctorIN3c107complexIfEELi2ELi1ELi1EEEJNS0_3ExpIS8_EEEEEvT_T0_DpT1_
		.amdhsa_group_segment_fixed_size 0
		.amdhsa_private_segment_fixed_size 0
		.amdhsa_kernarg_size 3408
		.amdhsa_user_sgpr_count 2
		.amdhsa_user_sgpr_dispatch_ptr 0
		.amdhsa_user_sgpr_queue_ptr 0
		.amdhsa_user_sgpr_kernarg_segment_ptr 1
		.amdhsa_user_sgpr_dispatch_id 0
		.amdhsa_user_sgpr_kernarg_preload_length 0
		.amdhsa_user_sgpr_kernarg_preload_offset 0
		.amdhsa_user_sgpr_private_segment_size 0
		.amdhsa_wavefront_size32 1
		.amdhsa_uses_dynamic_stack 0
		.amdhsa_enable_private_segment 0
		.amdhsa_system_sgpr_workgroup_id_x 1
		.amdhsa_system_sgpr_workgroup_id_y 0
		.amdhsa_system_sgpr_workgroup_id_z 0
		.amdhsa_system_sgpr_workgroup_info 0
		.amdhsa_system_vgpr_workitem_id 0
		.amdhsa_next_free_vgpr 42
		.amdhsa_next_free_sgpr 32
		.amdhsa_named_barrier_count 0
		.amdhsa_reserve_vcc 1
		.amdhsa_float_round_mode_32 0
		.amdhsa_float_round_mode_16_64 0
		.amdhsa_float_denorm_mode_32 3
		.amdhsa_float_denorm_mode_16_64 3
		.amdhsa_fp16_overflow 0
		.amdhsa_memory_ordered 1
		.amdhsa_forward_progress 1
		.amdhsa_inst_pref_size 255
		.amdhsa_round_robin_scheduling 0
		.amdhsa_exception_fp_ieee_invalid_op 0
		.amdhsa_exception_fp_denorm_src 0
		.amdhsa_exception_fp_ieee_div_zero 0
		.amdhsa_exception_fp_ieee_overflow 0
		.amdhsa_exception_fp_ieee_underflow 0
		.amdhsa_exception_fp_ieee_inexact 0
		.amdhsa_exception_int_div_zero 0
	.end_amdhsa_kernel
	.section	.text._ZN2at6native12_GLOBAL__N_125multi_tensor_apply_kernelINS1_18TensorListMetadataILi2EEENS1_14UnaryOpFunctorIN3c107complexIfEELi2ELi1ELi1EEEJNS0_3ExpIS8_EEEEEvT_T0_DpT1_,"axG",@progbits,_ZN2at6native12_GLOBAL__N_125multi_tensor_apply_kernelINS1_18TensorListMetadataILi2EEENS1_14UnaryOpFunctorIN3c107complexIfEELi2ELi1ELi1EEEJNS0_3ExpIS8_EEEEEvT_T0_DpT1_,comdat
.Lfunc_end132:
	.size	_ZN2at6native12_GLOBAL__N_125multi_tensor_apply_kernelINS1_18TensorListMetadataILi2EEENS1_14UnaryOpFunctorIN3c107complexIfEELi2ELi1ELi1EEEJNS0_3ExpIS8_EEEEEvT_T0_DpT1_, .Lfunc_end132-_ZN2at6native12_GLOBAL__N_125multi_tensor_apply_kernelINS1_18TensorListMetadataILi2EEENS1_14UnaryOpFunctorIN3c107complexIfEELi2ELi1ELi1EEEJNS0_3ExpIS8_EEEEEvT_T0_DpT1_
                                        ; -- End function
	.set _ZN2at6native12_GLOBAL__N_125multi_tensor_apply_kernelINS1_18TensorListMetadataILi2EEENS1_14UnaryOpFunctorIN3c107complexIfEELi2ELi1ELi1EEEJNS0_3ExpIS8_EEEEEvT_T0_DpT1_.num_vgpr, 42
	.set _ZN2at6native12_GLOBAL__N_125multi_tensor_apply_kernelINS1_18TensorListMetadataILi2EEENS1_14UnaryOpFunctorIN3c107complexIfEELi2ELi1ELi1EEEJNS0_3ExpIS8_EEEEEvT_T0_DpT1_.num_agpr, 0
	.set _ZN2at6native12_GLOBAL__N_125multi_tensor_apply_kernelINS1_18TensorListMetadataILi2EEENS1_14UnaryOpFunctorIN3c107complexIfEELi2ELi1ELi1EEEJNS0_3ExpIS8_EEEEEvT_T0_DpT1_.numbered_sgpr, 32
	.set _ZN2at6native12_GLOBAL__N_125multi_tensor_apply_kernelINS1_18TensorListMetadataILi2EEENS1_14UnaryOpFunctorIN3c107complexIfEELi2ELi1ELi1EEEJNS0_3ExpIS8_EEEEEvT_T0_DpT1_.num_named_barrier, 0
	.set _ZN2at6native12_GLOBAL__N_125multi_tensor_apply_kernelINS1_18TensorListMetadataILi2EEENS1_14UnaryOpFunctorIN3c107complexIfEELi2ELi1ELi1EEEJNS0_3ExpIS8_EEEEEvT_T0_DpT1_.private_seg_size, 0
	.set _ZN2at6native12_GLOBAL__N_125multi_tensor_apply_kernelINS1_18TensorListMetadataILi2EEENS1_14UnaryOpFunctorIN3c107complexIfEELi2ELi1ELi1EEEJNS0_3ExpIS8_EEEEEvT_T0_DpT1_.uses_vcc, 1
	.set _ZN2at6native12_GLOBAL__N_125multi_tensor_apply_kernelINS1_18TensorListMetadataILi2EEENS1_14UnaryOpFunctorIN3c107complexIfEELi2ELi1ELi1EEEJNS0_3ExpIS8_EEEEEvT_T0_DpT1_.uses_flat_scratch, 0
	.set _ZN2at6native12_GLOBAL__N_125multi_tensor_apply_kernelINS1_18TensorListMetadataILi2EEENS1_14UnaryOpFunctorIN3c107complexIfEELi2ELi1ELi1EEEJNS0_3ExpIS8_EEEEEvT_T0_DpT1_.has_dyn_sized_stack, 0
	.set _ZN2at6native12_GLOBAL__N_125multi_tensor_apply_kernelINS1_18TensorListMetadataILi2EEENS1_14UnaryOpFunctorIN3c107complexIfEELi2ELi1ELi1EEEJNS0_3ExpIS8_EEEEEvT_T0_DpT1_.has_recursion, 0
	.set _ZN2at6native12_GLOBAL__N_125multi_tensor_apply_kernelINS1_18TensorListMetadataILi2EEENS1_14UnaryOpFunctorIN3c107complexIfEELi2ELi1ELi1EEEJNS0_3ExpIS8_EEEEEvT_T0_DpT1_.has_indirect_call, 0
	.section	.AMDGPU.csdata,"",@progbits
; Kernel info:
; codeLenInByte = 52064
; TotalNumSgprs: 34
; NumVgprs: 42
; ScratchSize: 0
; MemoryBound: 1
; FloatMode: 240
; IeeeMode: 1
; LDSByteSize: 0 bytes/workgroup (compile time only)
; SGPRBlocks: 0
; VGPRBlocks: 2
; NumSGPRsForWavesPerEU: 34
; NumVGPRsForWavesPerEU: 42
; NamedBarCnt: 0
; Occupancy: 16
; WaveLimiterHint : 0
; COMPUTE_PGM_RSRC2:SCRATCH_EN: 0
; COMPUTE_PGM_RSRC2:USER_SGPR: 2
; COMPUTE_PGM_RSRC2:TRAP_HANDLER: 0
; COMPUTE_PGM_RSRC2:TGID_X_EN: 1
; COMPUTE_PGM_RSRC2:TGID_Y_EN: 0
; COMPUTE_PGM_RSRC2:TGID_Z_EN: 0
; COMPUTE_PGM_RSRC2:TIDIG_COMP_CNT: 0
	.section	.text._ZN2at6native12_GLOBAL__N_125multi_tensor_apply_kernelINS1_18TensorListMetadataILi2EEENS1_14UnaryOpFunctorIN3c104HalfELi2ELi1ELi1EEEJNS0_3ExpIfEEEEEvT_T0_DpT1_,"axG",@progbits,_ZN2at6native12_GLOBAL__N_125multi_tensor_apply_kernelINS1_18TensorListMetadataILi2EEENS1_14UnaryOpFunctorIN3c104HalfELi2ELi1ELi1EEEJNS0_3ExpIfEEEEEvT_T0_DpT1_,comdat
	.globl	_ZN2at6native12_GLOBAL__N_125multi_tensor_apply_kernelINS1_18TensorListMetadataILi2EEENS1_14UnaryOpFunctorIN3c104HalfELi2ELi1ELi1EEEJNS0_3ExpIfEEEEEvT_T0_DpT1_ ; -- Begin function _ZN2at6native12_GLOBAL__N_125multi_tensor_apply_kernelINS1_18TensorListMetadataILi2EEENS1_14UnaryOpFunctorIN3c104HalfELi2ELi1ELi1EEEJNS0_3ExpIfEEEEEvT_T0_DpT1_
	.p2align	8
	.type	_ZN2at6native12_GLOBAL__N_125multi_tensor_apply_kernelINS1_18TensorListMetadataILi2EEENS1_14UnaryOpFunctorIN3c104HalfELi2ELi1ELi1EEEJNS0_3ExpIfEEEEEvT_T0_DpT1_,@function
_ZN2at6native12_GLOBAL__N_125multi_tensor_apply_kernelINS1_18TensorListMetadataILi2EEENS1_14UnaryOpFunctorIN3c104HalfELi2ELi1ELi1EEEJNS0_3ExpIfEEEEEvT_T0_DpT1_: ; @_ZN2at6native12_GLOBAL__N_125multi_tensor_apply_kernelINS1_18TensorListMetadataILi2EEENS1_14UnaryOpFunctorIN3c104HalfELi2ELi1ELi1EEEJNS0_3ExpIfEEEEEvT_T0_DpT1_
; %bb.0:
	s_bfe_u32 s2, ttmp6, 0x4000c
	s_and_b32 s3, ttmp6, 15
	s_add_co_i32 s2, s2, 1
	s_getreg_b32 s4, hwreg(HW_REG_IB_STS2, 6, 4)
	s_mul_i32 s2, ttmp9, s2
	s_delay_alu instid0(SALU_CYCLE_1)
	s_add_co_i32 s3, s3, s2
	s_cmp_eq_u32 s4, 0
	s_cselect_b32 s2, ttmp9, s3
	s_mov_b32 s3, 0
	s_load_u8 s13, s[0:1], s2 offset:0x600
	s_add_nc_u64 s[4:5], s[0:1], s[2:3]
	s_mul_u64 s[6:7], s[2:3], 3
	s_delay_alu instid0(SALU_CYCLE_1)
	s_add_nc_u64 s[4:5], s[4:5], s[6:7]
	s_load_b32 s12, s[4:5], 0x740
	s_wait_kmcnt 0x0
	s_clause 0x2
	s_load_b64 s[8:9], s[0:1], s13 offset:0x0 scale_offset
	s_load_b64 s[10:11], s[0:1], s13 offset:0x200 scale_offset
	s_load_b64 s[14:15], s[0:1], s13 offset:0x400 scale_offset
	s_mov_b32 s5, s3
	s_wait_xcnt 0x0
	s_ashr_i32 s13, s12, 31
	s_delay_alu instid0(SALU_CYCLE_1)
	s_lshl_b64 s[6:7], s[12:13], 17
	s_wait_kmcnt 0x0
	s_and_b64 s[18:19], s[10:11], 7
	s_add_nc_u64 s[16:17], s[8:9], s[6:7]
	s_and_b32 s4, s14, 3
	s_and_b32 s2, s16, 7
	s_or_b64 s[4:5], s[18:19], s[4:5]
	s_lshl_b64 s[12:13], s[12:13], 16
	s_or_b64 s[2:3], s[4:5], s[2:3]
	s_sub_nc_u64 s[12:13], s[14:15], s[12:13]
	s_cmp_eq_u64 s[2:3], 0
	s_mov_b32 s2, -1
	s_cbranch_scc0 .LBB133_5
; %bb.1:
	v_min_i64 v[2:3], 0x10000, s[12:13]
	v_dual_mov_b32 v5, 0 :: v_dual_lshlrev_b32 v4, 2, v0
	s_mov_b32 s5, exec_lo
	s_delay_alu instid0(VALU_DEP_1)
	v_cmpx_lt_i64_e64 v[4:5], v[2:3]
	s_cbranch_execz .LBB133_4
; %bb.2:
	s_load_b32 s2, s[0:1], 0xc5c
	v_dual_mov_b32 v1, v5 :: v_dual_lshlrev_b32 v4, 3, v0
	s_mov_b32 s15, 0
	s_mov_b32 s18, 0x3fb8aa3b
	;; [unrolled: 1-line block ×3, first 2 shown]
	s_delay_alu instid0(VALU_DEP_1)
	v_add_nc_u64_e32 v[4:5], s[6:7], v[4:5]
	v_mov_b64_e32 v[6:7], v[0:1]
	s_mov_b32 s17, s15
	s_mov_b32 s20, s15
	s_wait_kmcnt 0x0
	s_and_b32 s14, s2, 0xffff
	s_delay_alu instid0(SALU_CYCLE_1)
	s_lshl_b32 s16, s14, 3
.LBB133_3:                              ; =>This Inner Loop Header: Depth=1
	v_add_nc_u64_e32 v[8:9], s[8:9], v[4:5]
	v_add_nc_u64_e32 v[6:7], s[14:15], v[6:7]
	global_load_b64 v[8:9], v[8:9], off
	v_lshlrev_b64_e32 v[10:11], 2, v[6:7]
	s_wait_loadcnt 0x0
	v_cvt_f32_f16_e32 v1, v8
	v_dual_lshrrev_b32 v12, 16, v8 :: v_dual_lshrrev_b32 v14, 16, v9
	v_cvt_f32_f16_e32 v13, v9
	s_delay_alu instid0(VALU_DEP_3) | instskip(NEXT) | instid1(VALU_DEP_3)
	v_cmp_ngt_f32_e64 s2, 0xc2ce8ed0, v1
	v_cvt_f32_f16_e32 v12, v12
	s_delay_alu instid0(VALU_DEP_4) | instskip(SKIP_3) | instid1(VALU_DEP_4)
	v_cvt_f32_f16_e32 v14, v14
	v_mul_f32_e32 v15, 0x3fb8aa3b, v1
	v_mul_f32_e32 v16, 0x3fb8aa3b, v13
	v_cmp_ngt_f32_e32 vcc_lo, 0xc2ce8ed0, v13
	v_dual_mul_f32 v19, 0x3fb8aa3b, v12 :: v_dual_mul_f32 v22, 0x3fb8aa3b, v14
	s_delay_alu instid0(VALU_DEP_4)
	v_fma_mix_f32 v17, v8, s18, -v15 op_sel_hi:[1,0,0]
	v_rndne_f32_e32 v18, v15
	v_fma_mix_f32 v20, v9, s18, -v16 op_sel_hi:[1,0,0]
	v_rndne_f32_e32 v21, v16
	v_fma_mix_f32 v25, v9, s18, -v22 op_sel:[1,0,0] op_sel_hi:[1,0,0]
	v_fma_mix_f32 v17, v8, s19, v17 op_sel_hi:[1,0,0]
	v_sub_f32_e32 v15, v15, v18
	v_rndne_f32_e32 v26, v22
	v_rndne_f32_e32 v24, v19
	v_fma_mix_f32 v20, v9, s19, v20 op_sel_hi:[1,0,0]
	v_sub_f32_e32 v16, v16, v21
	s_delay_alu instid0(VALU_DEP_4)
	v_dual_add_f32 v15, v15, v17 :: v_dual_sub_f32 v22, v22, v26
	s_wait_xcnt 0x0
	v_fma_mix_f32 v9, v9, s19, v25 op_sel:[1,0,0] op_sel_hi:[1,0,0]
	v_sub_f32_e32 v17, v19, v24
	v_cvt_i32_f32_e32 v18, v18
	v_exp_f32_e32 v15, v15
	v_fma_mix_f32 v23, v8, s18, -v19 op_sel:[1,0,0] op_sel_hi:[1,0,0]
	v_add_f32_e32 v9, v22, v9
	v_cmp_ngt_f32_e64 s3, 0xc2ce8ed0, v14
	v_cvt_i32_f32_e32 v21, v21
	v_cvt_i32_f32_e32 v19, v24
	v_fma_mix_f32 v8, v8, s19, v23 op_sel:[1,0,0] op_sel_hi:[1,0,0]
	v_exp_f32_e32 v9, v9
	v_ldexp_f32 v15, v15, v18
	v_add_f32_e32 v16, v16, v20
	v_cvt_i32_f32_e32 v20, v26
	v_cmp_nlt_f32_e64 s4, 0x42b17218, v1
	s_delay_alu instid0(VALU_DEP_4) | instskip(NEXT) | instid1(VALU_DEP_4)
	v_cndmask_b32_e64 v15, 0, v15, s2
	v_exp_f32_e32 v16, v16
	s_delay_alu instid0(VALU_DEP_3) | instskip(SKIP_3) | instid1(VALU_DEP_4)
	v_ldexp_f32 v9, v9, v20
	v_add_f32_e32 v8, v17, v8
	v_cmp_ngt_f32_e64 s2, 0xc2ce8ed0, v12
	v_cndmask_b32_e64 v1, 0x7f800000, v15, s4
	v_cndmask_b32_e64 v9, 0, v9, s3
	s_delay_alu instid0(VALU_DEP_4) | instskip(SKIP_1) | instid1(VALU_DEP_1)
	v_exp_f32_e32 v8, v8
	v_ldexp_f32 v16, v16, v21
	v_cndmask_b32_e32 v16, 0, v16, vcc_lo
	s_delay_alu instid0(TRANS32_DEP_1) | instskip(SKIP_1) | instid1(VALU_DEP_2)
	v_ldexp_f32 v8, v8, v19
	v_cmp_nlt_f32_e32 vcc_lo, 0x42b17218, v13
	v_cndmask_b32_e64 v8, 0, v8, s2
	v_cmp_nlt_f32_e64 s2, 0x42b17218, v12
	v_cndmask_b32_e32 v12, 0x7f800000, v16, vcc_lo
	v_cmp_nlt_f32_e32 vcc_lo, 0x42b17218, v14
	s_delay_alu instid0(VALU_DEP_3)
	v_cndmask_b32_e64 v14, 0x7f800000, v8, s2
	v_cndmask_b32_e32 v13, 0x7f800000, v9, vcc_lo
	v_cmp_ge_i64_e32 vcc_lo, v[10:11], v[2:3]
	v_add_nc_u64_e32 v[8:9], s[10:11], v[4:5]
	v_add_nc_u64_e32 v[4:5], s[16:17], v[4:5]
	v_cvt_pk_f16_f32 v10, v1, v14
	v_cvt_pk_f16_f32 v11, v12, v13
	s_or_b32 s20, vcc_lo, s20
	global_store_b64 v[8:9], v[10:11], off
	s_wait_xcnt 0x0
	s_and_not1_b32 exec_lo, exec_lo, s20
	s_cbranch_execnz .LBB133_3
.LBB133_4:
	s_or_b32 exec_lo, exec_lo, s5
	s_mov_b32 s2, 0
.LBB133_5:
	s_delay_alu instid0(SALU_CYCLE_1)
	s_and_not1_b32 vcc_lo, exec_lo, s2
	s_cbranch_vccnz .LBB133_25
; %bb.6:
	v_cmp_lt_i64_e64 s2, s[12:13], 1
	s_and_b32 vcc_lo, exec_lo, s2
	s_cbranch_vccnz .LBB133_25
; %bb.7:
	s_load_b32 s0, s[0:1], 0xc5c
	v_min_i64 v[2:3], 0x10000, s[12:13]
	v_min_u64 v[4:5], 0x10000, s[12:13]
	v_dual_mov_b32 v1, 0 :: v_dual_lshlrev_b32 v10, 1, v0
	s_wait_xcnt 0x0
	s_mov_b32 s1, 0
	s_delay_alu instid0(SALU_CYCLE_1) | instskip(NEXT) | instid1(VALU_DEP_1)
	s_mov_b32 s5, s1
	v_dual_mov_b32 v11, v1 :: v_dual_mov_b32 v27, v1
	s_mov_b32 s3, s1
	s_mov_b32 s13, s1
	s_delay_alu instid0(VALU_DEP_1) | instskip(SKIP_2) | instid1(SALU_CYCLE_1)
	v_add_nc_u64_e32 v[6:7], s[8:9], v[10:11]
	s_wait_kmcnt 0x0
	s_and_b32 s0, s0, 0xffff
	v_add_nc_u64_e32 v[8:9], s[0:1], v[0:1]
	v_mad_nc_u64_u32 v[22:23], s0, 6, v[10:11]
	s_lshl_b32 s4, s0, 2
	s_mul_i32 s12, s0, 3
	v_add_nc_u64_e32 v[18:19], s[4:5], v[10:11]
	s_lshl_b32 s2, s0, 1
	v_add_nc_u64_e32 v[10:11], s[10:11], v[10:11]
	v_lshlrev_b32_e32 v26, 1, v8
	v_add_nc_u64_e32 v[12:13], s[12:13], v[0:1]
	v_add_nc_u64_e32 v[14:15], s[2:3], v[0:1]
	s_mov_b32 s12, 0x3fb8aa3b
	v_add_nc_u64_e32 v[16:17], s[8:9], v[18:19]
	v_add_nc_u64_e32 v[18:19], s[10:11], v[18:19]
	;; [unrolled: 1-line block ×6, first 2 shown]
	s_lshl_b32 s8, s0, 3
	s_mov_b32 s9, s1
	s_mov_b64 s[10:11], 0
	s_mov_b32 s13, 0x32a5705f
	s_branch .LBB133_9
.LBB133_8:                              ;   in Loop: Header=BB133_9 Depth=1
	s_wait_xcnt 0x0
	s_or_b32 exec_lo, exec_lo, s0
	s_add_nc_u64 s[10:11], s[10:11], s[4:5]
	v_add_nc_u64_e32 v[6:7], s[8:9], v[6:7]
	v_cmp_ge_i64_e32 vcc_lo, s[10:11], v[2:3]
	v_add_nc_u64_e32 v[10:11], s[8:9], v[10:11]
	v_add_nc_u64_e32 v[20:21], s[8:9], v[20:21]
	;; [unrolled: 1-line block ×7, first 2 shown]
	s_cbranch_vccnz .LBB133_25
.LBB133_9:                              ; =>This Inner Loop Header: Depth=1
	v_add_nc_u64_e32 v[28:29], s[10:11], v[0:1]
	s_delay_alu instid0(VALU_DEP_1)
	v_cmp_lt_u64_e32 vcc_lo, v[28:29], v[4:5]
	v_dual_mov_b32 v28, 0x3c00 :: v_dual_mov_b32 v29, 0x3c00
	s_and_saveexec_b32 s1, vcc_lo
	s_cbranch_execz .LBB133_11
; %bb.10:                               ;   in Loop: Header=BB133_9 Depth=1
	v_add_nc_u64_e32 v[30:31], s[6:7], v[6:7]
	global_load_u16 v29, v[30:31], off
	s_wait_loadcnt 0x0
	v_cvt_f32_f16_e32 v30, v29
	s_delay_alu instid0(VALU_DEP_1) | instskip(SKIP_1) | instid1(VALU_DEP_2)
	v_mul_f32_e32 v31, 0x3fb8aa3b, v30
	v_cmp_ngt_f32_e64 s0, 0xc2ce8ed0, v30
	v_fma_mix_f32 v32, v29, s12, -v31 op_sel_hi:[1,0,0]
	v_rndne_f32_e32 v33, v31
	s_delay_alu instid0(VALU_DEP_2) | instskip(NEXT) | instid1(VALU_DEP_2)
	v_fma_mix_f32 v29, v29, s13, v32 op_sel_hi:[1,0,0]
	v_sub_f32_e32 v31, v31, v33
	s_delay_alu instid0(VALU_DEP_1) | instskip(SKIP_1) | instid1(VALU_DEP_2)
	v_add_f32_e32 v29, v31, v29
	v_cvt_i32_f32_e32 v31, v33
	v_exp_f32_e32 v29, v29
	v_nop
	s_delay_alu instid0(TRANS32_DEP_1) | instskip(NEXT) | instid1(VALU_DEP_1)
	v_ldexp_f32 v29, v29, v31
	v_cndmask_b32_e64 v29, 0, v29, s0
	v_cmp_nlt_f32_e64 s0, 0x42b17218, v30
	s_delay_alu instid0(VALU_DEP_1) | instskip(NEXT) | instid1(VALU_DEP_1)
	v_cndmask_b32_e64 v29, 0x7f800000, v29, s0
	v_cvt_f16_f32_e32 v29, v29
.LBB133_11:                             ;   in Loop: Header=BB133_9 Depth=1
	s_or_b32 exec_lo, exec_lo, s1
	v_add_nc_u64_e32 v[30:31], s[10:11], v[8:9]
	s_delay_alu instid0(VALU_DEP_1)
	v_cmp_lt_u64_e64 s0, v[30:31], v[4:5]
	s_and_saveexec_b32 s2, s0
	s_cbranch_execz .LBB133_13
; %bb.12:                               ;   in Loop: Header=BB133_9 Depth=1
	v_add_nc_u64_e32 v[30:31], s[6:7], v[24:25]
	global_load_u16 v28, v[30:31], off
	s_wait_loadcnt 0x0
	v_cvt_f32_f16_e32 v30, v28
	s_delay_alu instid0(VALU_DEP_1) | instskip(SKIP_1) | instid1(VALU_DEP_2)
	v_mul_f32_e32 v31, 0x3fb8aa3b, v30
	v_cmp_ngt_f32_e64 s1, 0xc2ce8ed0, v30
	v_fma_mix_f32 v32, v28, s12, -v31 op_sel_hi:[1,0,0]
	v_rndne_f32_e32 v33, v31
	s_delay_alu instid0(VALU_DEP_2) | instskip(NEXT) | instid1(VALU_DEP_2)
	v_fma_mix_f32 v28, v28, s13, v32 op_sel_hi:[1,0,0]
	v_sub_f32_e32 v31, v31, v33
	s_delay_alu instid0(VALU_DEP_1) | instskip(SKIP_1) | instid1(VALU_DEP_2)
	v_add_f32_e32 v28, v31, v28
	v_cvt_i32_f32_e32 v31, v33
	v_exp_f32_e32 v28, v28
	v_nop
	s_delay_alu instid0(TRANS32_DEP_1) | instskip(NEXT) | instid1(VALU_DEP_1)
	v_ldexp_f32 v28, v28, v31
	v_cndmask_b32_e64 v28, 0, v28, s1
	v_cmp_nlt_f32_e64 s1, 0x42b17218, v30
	s_delay_alu instid0(VALU_DEP_1) | instskip(NEXT) | instid1(VALU_DEP_1)
	v_cndmask_b32_e64 v28, 0x7f800000, v28, s1
	v_cvt_f16_f32_e32 v28, v28
.LBB133_13:                             ;   in Loop: Header=BB133_9 Depth=1
	s_or_b32 exec_lo, exec_lo, s2
	v_add_nc_u64_e32 v[30:31], s[10:11], v[14:15]
	s_delay_alu instid0(VALU_DEP_1)
	v_cmp_lt_u64_e64 s1, v[30:31], v[4:5]
	v_dual_mov_b32 v30, 0x3c00 :: v_dual_mov_b32 v31, 0x3c00
	s_and_saveexec_b32 s3, s1
	s_cbranch_execz .LBB133_15
; %bb.14:                               ;   in Loop: Header=BB133_9 Depth=1
	v_add_nc_u64_e32 v[32:33], s[6:7], v[16:17]
	global_load_u16 v31, v[32:33], off
	s_wait_loadcnt 0x0
	v_cvt_f32_f16_e32 v32, v31
	s_delay_alu instid0(VALU_DEP_1) | instskip(SKIP_1) | instid1(VALU_DEP_2)
	v_mul_f32_e32 v33, 0x3fb8aa3b, v32
	v_cmp_ngt_f32_e64 s2, 0xc2ce8ed0, v32
	v_fma_mix_f32 v34, v31, s12, -v33 op_sel_hi:[1,0,0]
	v_rndne_f32_e32 v35, v33
	s_delay_alu instid0(VALU_DEP_2) | instskip(NEXT) | instid1(VALU_DEP_2)
	v_fma_mix_f32 v31, v31, s13, v34 op_sel_hi:[1,0,0]
	v_sub_f32_e32 v33, v33, v35
	s_delay_alu instid0(VALU_DEP_1) | instskip(SKIP_1) | instid1(VALU_DEP_2)
	v_add_f32_e32 v31, v33, v31
	v_cvt_i32_f32_e32 v33, v35
	v_exp_f32_e32 v31, v31
	v_nop
	s_delay_alu instid0(TRANS32_DEP_1) | instskip(NEXT) | instid1(VALU_DEP_1)
	v_ldexp_f32 v31, v31, v33
	v_cndmask_b32_e64 v31, 0, v31, s2
	v_cmp_nlt_f32_e64 s2, 0x42b17218, v32
	s_delay_alu instid0(VALU_DEP_1) | instskip(NEXT) | instid1(VALU_DEP_1)
	v_cndmask_b32_e64 v31, 0x7f800000, v31, s2
	v_cvt_f16_f32_e32 v31, v31
.LBB133_15:                             ;   in Loop: Header=BB133_9 Depth=1
	s_or_b32 exec_lo, exec_lo, s3
	v_add_nc_u64_e32 v[32:33], s[10:11], v[12:13]
	s_delay_alu instid0(VALU_DEP_1)
	v_cmp_lt_u64_e64 s2, v[32:33], v[4:5]
	s_and_saveexec_b32 s14, s2
	s_cbranch_execnz .LBB133_20
; %bb.16:                               ;   in Loop: Header=BB133_9 Depth=1
	s_or_b32 exec_lo, exec_lo, s14
	s_and_saveexec_b32 s3, vcc_lo
	s_cbranch_execnz .LBB133_21
.LBB133_17:                             ;   in Loop: Header=BB133_9 Depth=1
	s_or_b32 exec_lo, exec_lo, s3
	s_and_saveexec_b32 s3, s0
	s_cbranch_execnz .LBB133_22
.LBB133_18:                             ;   in Loop: Header=BB133_9 Depth=1
	s_or_b32 exec_lo, exec_lo, s3
	s_and_saveexec_b32 s0, s1
	s_cbranch_execnz .LBB133_23
.LBB133_19:                             ;   in Loop: Header=BB133_9 Depth=1
	s_or_b32 exec_lo, exec_lo, s0
	s_and_saveexec_b32 s0, s2
	s_cbranch_execz .LBB133_8
	s_branch .LBB133_24
.LBB133_20:                             ;   in Loop: Header=BB133_9 Depth=1
	v_add_nc_u64_e32 v[32:33], s[6:7], v[20:21]
	global_load_u16 v30, v[32:33], off
	s_wait_loadcnt 0x0
	v_cvt_f32_f16_e32 v32, v30
	s_delay_alu instid0(VALU_DEP_1) | instskip(SKIP_1) | instid1(VALU_DEP_2)
	v_mul_f32_e32 v33, 0x3fb8aa3b, v32
	v_cmp_ngt_f32_e64 s3, 0xc2ce8ed0, v32
	v_fma_mix_f32 v34, v30, s12, -v33 op_sel_hi:[1,0,0]
	v_rndne_f32_e32 v35, v33
	s_delay_alu instid0(VALU_DEP_2) | instskip(NEXT) | instid1(VALU_DEP_2)
	v_fma_mix_f32 v30, v30, s13, v34 op_sel_hi:[1,0,0]
	v_sub_f32_e32 v33, v33, v35
	s_delay_alu instid0(VALU_DEP_1) | instskip(SKIP_1) | instid1(VALU_DEP_2)
	v_add_f32_e32 v30, v33, v30
	v_cvt_i32_f32_e32 v33, v35
	v_exp_f32_e32 v30, v30
	v_nop
	s_delay_alu instid0(TRANS32_DEP_1) | instskip(NEXT) | instid1(VALU_DEP_1)
	v_ldexp_f32 v30, v30, v33
	v_cndmask_b32_e64 v30, 0, v30, s3
	v_cmp_nlt_f32_e64 s3, 0x42b17218, v32
	s_delay_alu instid0(VALU_DEP_1) | instskip(NEXT) | instid1(VALU_DEP_1)
	v_cndmask_b32_e64 v30, 0x7f800000, v30, s3
	v_cvt_f16_f32_e32 v30, v30
	s_or_b32 exec_lo, exec_lo, s14
	s_and_saveexec_b32 s3, vcc_lo
	s_cbranch_execz .LBB133_17
.LBB133_21:                             ;   in Loop: Header=BB133_9 Depth=1
	v_add_nc_u64_e32 v[32:33], s[6:7], v[10:11]
	global_store_b16 v[32:33], v29, off
	s_wait_xcnt 0x0
	s_or_b32 exec_lo, exec_lo, s3
	s_and_saveexec_b32 s3, s0
	s_cbranch_execz .LBB133_18
.LBB133_22:                             ;   in Loop: Header=BB133_9 Depth=1
	v_add_nc_u64_e32 v[32:33], s[6:7], v[26:27]
	global_store_b16 v[32:33], v28, off
	s_wait_xcnt 0x0
	s_or_b32 exec_lo, exec_lo, s3
	s_and_saveexec_b32 s0, s1
	s_cbranch_execz .LBB133_19
.LBB133_23:                             ;   in Loop: Header=BB133_9 Depth=1
	v_add_nc_u64_e32 v[28:29], s[6:7], v[18:19]
	global_store_b16 v[28:29], v31, off
	s_wait_xcnt 0x0
	s_or_b32 exec_lo, exec_lo, s0
	s_and_saveexec_b32 s0, s2
	s_cbranch_execz .LBB133_8
.LBB133_24:                             ;   in Loop: Header=BB133_9 Depth=1
	v_add_nc_u64_e32 v[28:29], s[6:7], v[22:23]
	global_store_b16 v[28:29], v30, off
	s_branch .LBB133_8
.LBB133_25:
	s_endpgm
	.section	.rodata,"a",@progbits
	.p2align	6, 0x0
	.amdhsa_kernel _ZN2at6native12_GLOBAL__N_125multi_tensor_apply_kernelINS1_18TensorListMetadataILi2EEENS1_14UnaryOpFunctorIN3c104HalfELi2ELi1ELi1EEEJNS0_3ExpIfEEEEEvT_T0_DpT1_
		.amdhsa_group_segment_fixed_size 0
		.amdhsa_private_segment_fixed_size 0
		.amdhsa_kernarg_size 3408
		.amdhsa_user_sgpr_count 2
		.amdhsa_user_sgpr_dispatch_ptr 0
		.amdhsa_user_sgpr_queue_ptr 0
		.amdhsa_user_sgpr_kernarg_segment_ptr 1
		.amdhsa_user_sgpr_dispatch_id 0
		.amdhsa_user_sgpr_kernarg_preload_length 0
		.amdhsa_user_sgpr_kernarg_preload_offset 0
		.amdhsa_user_sgpr_private_segment_size 0
		.amdhsa_wavefront_size32 1
		.amdhsa_uses_dynamic_stack 0
		.amdhsa_enable_private_segment 0
		.amdhsa_system_sgpr_workgroup_id_x 1
		.amdhsa_system_sgpr_workgroup_id_y 0
		.amdhsa_system_sgpr_workgroup_id_z 0
		.amdhsa_system_sgpr_workgroup_info 0
		.amdhsa_system_vgpr_workitem_id 0
		.amdhsa_next_free_vgpr 36
		.amdhsa_next_free_sgpr 21
		.amdhsa_named_barrier_count 0
		.amdhsa_reserve_vcc 1
		.amdhsa_float_round_mode_32 0
		.amdhsa_float_round_mode_16_64 0
		.amdhsa_float_denorm_mode_32 3
		.amdhsa_float_denorm_mode_16_64 3
		.amdhsa_fp16_overflow 0
		.amdhsa_memory_ordered 1
		.amdhsa_forward_progress 1
		.amdhsa_inst_pref_size 16
		.amdhsa_round_robin_scheduling 0
		.amdhsa_exception_fp_ieee_invalid_op 0
		.amdhsa_exception_fp_denorm_src 0
		.amdhsa_exception_fp_ieee_div_zero 0
		.amdhsa_exception_fp_ieee_overflow 0
		.amdhsa_exception_fp_ieee_underflow 0
		.amdhsa_exception_fp_ieee_inexact 0
		.amdhsa_exception_int_div_zero 0
	.end_amdhsa_kernel
	.section	.text._ZN2at6native12_GLOBAL__N_125multi_tensor_apply_kernelINS1_18TensorListMetadataILi2EEENS1_14UnaryOpFunctorIN3c104HalfELi2ELi1ELi1EEEJNS0_3ExpIfEEEEEvT_T0_DpT1_,"axG",@progbits,_ZN2at6native12_GLOBAL__N_125multi_tensor_apply_kernelINS1_18TensorListMetadataILi2EEENS1_14UnaryOpFunctorIN3c104HalfELi2ELi1ELi1EEEJNS0_3ExpIfEEEEEvT_T0_DpT1_,comdat
.Lfunc_end133:
	.size	_ZN2at6native12_GLOBAL__N_125multi_tensor_apply_kernelINS1_18TensorListMetadataILi2EEENS1_14UnaryOpFunctorIN3c104HalfELi2ELi1ELi1EEEJNS0_3ExpIfEEEEEvT_T0_DpT1_, .Lfunc_end133-_ZN2at6native12_GLOBAL__N_125multi_tensor_apply_kernelINS1_18TensorListMetadataILi2EEENS1_14UnaryOpFunctorIN3c104HalfELi2ELi1ELi1EEEJNS0_3ExpIfEEEEEvT_T0_DpT1_
                                        ; -- End function
	.set _ZN2at6native12_GLOBAL__N_125multi_tensor_apply_kernelINS1_18TensorListMetadataILi2EEENS1_14UnaryOpFunctorIN3c104HalfELi2ELi1ELi1EEEJNS0_3ExpIfEEEEEvT_T0_DpT1_.num_vgpr, 36
	.set _ZN2at6native12_GLOBAL__N_125multi_tensor_apply_kernelINS1_18TensorListMetadataILi2EEENS1_14UnaryOpFunctorIN3c104HalfELi2ELi1ELi1EEEJNS0_3ExpIfEEEEEvT_T0_DpT1_.num_agpr, 0
	.set _ZN2at6native12_GLOBAL__N_125multi_tensor_apply_kernelINS1_18TensorListMetadataILi2EEENS1_14UnaryOpFunctorIN3c104HalfELi2ELi1ELi1EEEJNS0_3ExpIfEEEEEvT_T0_DpT1_.numbered_sgpr, 21
	.set _ZN2at6native12_GLOBAL__N_125multi_tensor_apply_kernelINS1_18TensorListMetadataILi2EEENS1_14UnaryOpFunctorIN3c104HalfELi2ELi1ELi1EEEJNS0_3ExpIfEEEEEvT_T0_DpT1_.num_named_barrier, 0
	.set _ZN2at6native12_GLOBAL__N_125multi_tensor_apply_kernelINS1_18TensorListMetadataILi2EEENS1_14UnaryOpFunctorIN3c104HalfELi2ELi1ELi1EEEJNS0_3ExpIfEEEEEvT_T0_DpT1_.private_seg_size, 0
	.set _ZN2at6native12_GLOBAL__N_125multi_tensor_apply_kernelINS1_18TensorListMetadataILi2EEENS1_14UnaryOpFunctorIN3c104HalfELi2ELi1ELi1EEEJNS0_3ExpIfEEEEEvT_T0_DpT1_.uses_vcc, 1
	.set _ZN2at6native12_GLOBAL__N_125multi_tensor_apply_kernelINS1_18TensorListMetadataILi2EEENS1_14UnaryOpFunctorIN3c104HalfELi2ELi1ELi1EEEJNS0_3ExpIfEEEEEvT_T0_DpT1_.uses_flat_scratch, 0
	.set _ZN2at6native12_GLOBAL__N_125multi_tensor_apply_kernelINS1_18TensorListMetadataILi2EEENS1_14UnaryOpFunctorIN3c104HalfELi2ELi1ELi1EEEJNS0_3ExpIfEEEEEvT_T0_DpT1_.has_dyn_sized_stack, 0
	.set _ZN2at6native12_GLOBAL__N_125multi_tensor_apply_kernelINS1_18TensorListMetadataILi2EEENS1_14UnaryOpFunctorIN3c104HalfELi2ELi1ELi1EEEJNS0_3ExpIfEEEEEvT_T0_DpT1_.has_recursion, 0
	.set _ZN2at6native12_GLOBAL__N_125multi_tensor_apply_kernelINS1_18TensorListMetadataILi2EEENS1_14UnaryOpFunctorIN3c104HalfELi2ELi1ELi1EEEJNS0_3ExpIfEEEEEvT_T0_DpT1_.has_indirect_call, 0
	.section	.AMDGPU.csdata,"",@progbits
; Kernel info:
; codeLenInByte = 1988
; TotalNumSgprs: 23
; NumVgprs: 36
; ScratchSize: 0
; MemoryBound: 0
; FloatMode: 240
; IeeeMode: 1
; LDSByteSize: 0 bytes/workgroup (compile time only)
; SGPRBlocks: 0
; VGPRBlocks: 2
; NumSGPRsForWavesPerEU: 23
; NumVGPRsForWavesPerEU: 36
; NamedBarCnt: 0
; Occupancy: 16
; WaveLimiterHint : 0
; COMPUTE_PGM_RSRC2:SCRATCH_EN: 0
; COMPUTE_PGM_RSRC2:USER_SGPR: 2
; COMPUTE_PGM_RSRC2:TRAP_HANDLER: 0
; COMPUTE_PGM_RSRC2:TGID_X_EN: 1
; COMPUTE_PGM_RSRC2:TGID_Y_EN: 0
; COMPUTE_PGM_RSRC2:TGID_Z_EN: 0
; COMPUTE_PGM_RSRC2:TIDIG_COMP_CNT: 0
	.section	.text._ZN2at6native12_GLOBAL__N_125multi_tensor_apply_kernelINS1_18TensorListMetadataILi2EEENS1_14UnaryOpFunctorIN3c108BFloat16ELi2ELi1ELi1EEEJNS0_3ExpIfEEEEEvT_T0_DpT1_,"axG",@progbits,_ZN2at6native12_GLOBAL__N_125multi_tensor_apply_kernelINS1_18TensorListMetadataILi2EEENS1_14UnaryOpFunctorIN3c108BFloat16ELi2ELi1ELi1EEEJNS0_3ExpIfEEEEEvT_T0_DpT1_,comdat
	.globl	_ZN2at6native12_GLOBAL__N_125multi_tensor_apply_kernelINS1_18TensorListMetadataILi2EEENS1_14UnaryOpFunctorIN3c108BFloat16ELi2ELi1ELi1EEEJNS0_3ExpIfEEEEEvT_T0_DpT1_ ; -- Begin function _ZN2at6native12_GLOBAL__N_125multi_tensor_apply_kernelINS1_18TensorListMetadataILi2EEENS1_14UnaryOpFunctorIN3c108BFloat16ELi2ELi1ELi1EEEJNS0_3ExpIfEEEEEvT_T0_DpT1_
	.p2align	8
	.type	_ZN2at6native12_GLOBAL__N_125multi_tensor_apply_kernelINS1_18TensorListMetadataILi2EEENS1_14UnaryOpFunctorIN3c108BFloat16ELi2ELi1ELi1EEEJNS0_3ExpIfEEEEEvT_T0_DpT1_,@function
_ZN2at6native12_GLOBAL__N_125multi_tensor_apply_kernelINS1_18TensorListMetadataILi2EEENS1_14UnaryOpFunctorIN3c108BFloat16ELi2ELi1ELi1EEEJNS0_3ExpIfEEEEEvT_T0_DpT1_: ; @_ZN2at6native12_GLOBAL__N_125multi_tensor_apply_kernelINS1_18TensorListMetadataILi2EEENS1_14UnaryOpFunctorIN3c108BFloat16ELi2ELi1ELi1EEEJNS0_3ExpIfEEEEEvT_T0_DpT1_
; %bb.0:
	s_bfe_u32 s2, ttmp6, 0x4000c
	s_and_b32 s3, ttmp6, 15
	s_add_co_i32 s2, s2, 1
	s_getreg_b32 s4, hwreg(HW_REG_IB_STS2, 6, 4)
	s_mul_i32 s2, ttmp9, s2
	s_delay_alu instid0(SALU_CYCLE_1)
	s_add_co_i32 s3, s3, s2
	s_cmp_eq_u32 s4, 0
	s_cselect_b32 s2, ttmp9, s3
	s_mov_b32 s3, 0
	s_load_u8 s13, s[0:1], s2 offset:0x600
	s_add_nc_u64 s[4:5], s[0:1], s[2:3]
	s_mul_u64 s[6:7], s[2:3], 3
	s_delay_alu instid0(SALU_CYCLE_1)
	s_add_nc_u64 s[4:5], s[4:5], s[6:7]
	s_load_b32 s12, s[4:5], 0x740
	s_wait_kmcnt 0x0
	s_clause 0x2
	s_load_b64 s[8:9], s[0:1], s13 offset:0x0 scale_offset
	s_load_b64 s[10:11], s[0:1], s13 offset:0x200 scale_offset
	;; [unrolled: 1-line block ×3, first 2 shown]
	s_mov_b32 s5, s3
	s_wait_xcnt 0x0
	s_ashr_i32 s13, s12, 31
	s_delay_alu instid0(SALU_CYCLE_1)
	s_lshl_b64 s[6:7], s[12:13], 17
	s_wait_kmcnt 0x0
	s_and_b64 s[18:19], s[10:11], 7
	s_add_nc_u64 s[16:17], s[8:9], s[6:7]
	s_and_b32 s4, s14, 3
	s_and_b32 s2, s16, 7
	s_or_b64 s[4:5], s[18:19], s[4:5]
	s_lshl_b64 s[12:13], s[12:13], 16
	s_or_b64 s[2:3], s[4:5], s[2:3]
	s_sub_nc_u64 s[12:13], s[14:15], s[12:13]
	s_cmp_eq_u64 s[2:3], 0
	s_mov_b32 s2, -1
	s_cbranch_scc0 .LBB134_5
; %bb.1:
	v_min_i64 v[2:3], 0x10000, s[12:13]
	v_dual_mov_b32 v5, 0 :: v_dual_lshlrev_b32 v4, 2, v0
	s_mov_b32 s5, exec_lo
	s_delay_alu instid0(VALU_DEP_1)
	v_cmpx_lt_i64_e64 v[4:5], v[2:3]
	s_cbranch_execz .LBB134_4
; %bb.2:
	s_load_b32 s2, s[0:1], 0xc5c
	v_dual_mov_b32 v1, v5 :: v_dual_lshlrev_b32 v4, 3, v0
	s_mov_b32 s15, 0
	s_mov_b32 s18, 0x3fb8aa3b
	;; [unrolled: 1-line block ×3, first 2 shown]
	s_delay_alu instid0(VALU_DEP_1)
	v_add_nc_u64_e32 v[4:5], s[6:7], v[4:5]
	v_mov_b64_e32 v[6:7], v[0:1]
	s_mov_b32 s17, s15
	s_mov_b32 s20, s15
	s_wait_kmcnt 0x0
	s_and_b32 s14, s2, 0xffff
	s_delay_alu instid0(SALU_CYCLE_1)
	s_lshl_b32 s16, s14, 3
.LBB134_3:                              ; =>This Inner Loop Header: Depth=1
	v_add_nc_u64_e32 v[8:9], s[8:9], v[4:5]
	v_add_nc_u64_e32 v[6:7], s[14:15], v[6:7]
	global_load_b64 v[8:9], v[8:9], off
	v_lshlrev_b64_e32 v[10:11], 2, v[6:7]
	s_wait_loadcnt 0x0
	v_and_b32_e32 v14, 0xffff0000, v9
	v_lshlrev_b32_e32 v1, 16, v8
	v_and_b32_e32 v12, 0xffff0000, v8
	v_alignbit_b32 v13, v9, v8, 16
	s_delay_alu instid0(VALU_DEP_3) | instskip(NEXT) | instid1(VALU_DEP_3)
	v_dual_mul_f32 v18, 0x3fb8aa3b, v14 :: v_dual_mul_f32 v15, 0x3fb8aa3b, v1
	v_mul_f32_e32 v16, 0x3fb8aa3b, v12
	s_delay_alu instid0(VALU_DEP_3) | instskip(SKIP_1) | instid1(VALU_DEP_4)
	v_and_b32_e32 v17, 0xffff0000, v13
	v_cmp_ngt_f32_e64 s3, 0xc2ce8ed0, v1
	v_rndne_f32_e32 v25, v18
	v_fma_mix_f32_bf16 v19, v8, s18, -v15 op_sel_hi:[1,0,0]
	v_rndne_f32_e32 v20, v15
	v_fma_mix_f32_bf16 v21, v8, s18, -v16 op_sel:[1,0,0] op_sel_hi:[1,0,0]
	v_rndne_f32_e32 v22, v16
	v_mul_f32_e32 v23, 0x3fb8aa3b, v17
	v_fma_mix_f32_bf16 v19, v8, s19, v19 op_sel_hi:[1,0,0]
	v_sub_f32_e32 v15, v15, v20
	v_fma_mix_f32_bf16 v24, v9, s18, -v18 op_sel:[1,0,0] op_sel_hi:[1,0,0]
	s_wait_xcnt 0x0
	v_fma_mix_f32_bf16 v8, v8, s19, v21 op_sel:[1,0,0] op_sel_hi:[1,0,0]
	v_dual_sub_f32 v16, v16, v22 :: v_dual_sub_f32 v18, v18, v25
	v_add_f32_e32 v15, v15, v19
	v_cvt_i32_f32_e32 v21, v22
	v_fma_mix_f32_bf16 v22, v13, s18, -v23 op_sel:[1,0,0] op_sel_hi:[1,0,0]
	v_rndne_f32_e32 v26, v23
	v_add_f32_e32 v8, v16, v8
	v_exp_f32_e32 v15, v15
	v_cvt_i32_f32_e32 v20, v20
	v_fma_mix_f32_bf16 v9, v9, s19, v24 op_sel:[1,0,0] op_sel_hi:[1,0,0]
	v_fma_mix_f32_bf16 v13, v13, s19, v22 op_sel:[1,0,0] op_sel_hi:[1,0,0]
	v_sub_f32_e32 v16, v23, v26
	v_exp_f32_e32 v8, v8
	v_cmp_nlt_f32_e64 s4, 0x42b17218, v1
	v_ldexp_f32 v15, v15, v20
	v_add_f32_e32 v9, v18, v9
	v_add_f32_e32 v13, v16, v13
	v_cvt_i32_f32_e32 v24, v25
	v_cvt_i32_f32_e32 v19, v26
	v_cndmask_b32_e64 v15, 0, v15, s3
	v_exp_f32_e32 v9, v9
	v_exp_f32_e32 v13, v13
	v_ldexp_f32 v8, v8, v21
	v_cmp_ngt_f32_e32 vcc_lo, 0xc2ce8ed0, v12
	v_cndmask_b32_e64 v1, 0x7f800000, v15, s4
	v_cmp_ngt_f32_e64 s2, 0xc2ce8ed0, v14
	v_cmp_ngt_f32_e64 s3, 0xc2ce8ed0, v17
	v_ldexp_f32 v9, v9, v24
	v_cndmask_b32_e32 v8, 0, v8, vcc_lo
	v_cmp_nlt_f32_e32 vcc_lo, 0x42b17218, v12
	v_ldexp_f32 v12, v13, v19
	v_bfe_u32 v13, v1, 16, 1
	v_cndmask_b32_e64 v9, 0, v9, s2
	v_cmp_nlt_f32_e64 s2, 0x42b17218, v14
	v_cndmask_b32_e32 v8, 0x7f800000, v8, vcc_lo
	v_cmp_nlt_f32_e32 vcc_lo, 0x42b17218, v17
	v_add3_u32 v13, v1, v13, 0x7fff
	v_cndmask_b32_e64 v12, 0, v12, s3
	v_cndmask_b32_e64 v9, 0x7f800000, v9, s2
	v_bfe_u32 v14, v8, 16, 1
	v_cmp_o_f32_e64 s2, v1, v1
	s_delay_alu instid0(VALU_DEP_4) | instskip(NEXT) | instid1(VALU_DEP_4)
	v_dual_cndmask_b32 v12, 0x7f800000, v12 :: v_dual_lshrrev_b32 v13, 16, v13
	v_bfe_u32 v15, v9, 16, 1
	s_delay_alu instid0(VALU_DEP_4) | instskip(SKIP_1) | instid1(VALU_DEP_4)
	v_add3_u32 v14, v8, v14, 0x7fff
	v_cmp_o_f32_e32 vcc_lo, v8, v8
	v_cndmask_b32_e64 v13, 0x7fc0, v13, s2
	v_bfe_u32 v16, v12, 16, 1
	v_add3_u32 v15, v9, v15, 0x7fff
	v_and_b32_e32 v14, 0xffff0000, v14
	s_delay_alu instid0(VALU_DEP_3) | instskip(NEXT) | instid1(VALU_DEP_3)
	v_add3_u32 v16, v12, v16, 0x7fff
	v_and_b32_e32 v15, 0xffff0000, v15
	s_delay_alu instid0(VALU_DEP_3) | instskip(SKIP_1) | instid1(VALU_DEP_3)
	v_cndmask_b32_e32 v8, 0x7fc00000, v14, vcc_lo
	v_cmp_o_f32_e32 vcc_lo, v9, v9
	v_dual_cndmask_b32 v14, 0x7fc00000, v15 :: v_dual_lshrrev_b32 v1, 16, v16
	v_cmp_o_f32_e32 vcc_lo, v12, v12
	s_delay_alu instid0(VALU_DEP_4)
	v_or_b32_e32 v12, v13, v8
	v_add_nc_u64_e32 v[8:9], s[10:11], v[4:5]
	v_add_nc_u64_e32 v[4:5], s[16:17], v[4:5]
	v_cndmask_b32_e32 v1, 0x7fc0, v1, vcc_lo
	v_cmp_ge_i64_e32 vcc_lo, v[10:11], v[2:3]
	v_or3_b32 v10, v12, 0, 0
	s_delay_alu instid0(VALU_DEP_3)
	v_or3_b32 v11, 0, v1, v14
	s_or_b32 s20, vcc_lo, s20
	global_store_b64 v[8:9], v[10:11], off
	s_wait_xcnt 0x0
	s_and_not1_b32 exec_lo, exec_lo, s20
	s_cbranch_execnz .LBB134_3
.LBB134_4:
	s_or_b32 exec_lo, exec_lo, s5
	s_mov_b32 s2, 0
.LBB134_5:
	s_delay_alu instid0(SALU_CYCLE_1)
	s_and_not1_b32 vcc_lo, exec_lo, s2
	s_cbranch_vccnz .LBB134_25
; %bb.6:
	v_cmp_lt_i64_e64 s2, s[12:13], 1
	s_and_b32 vcc_lo, exec_lo, s2
	s_cbranch_vccnz .LBB134_25
; %bb.7:
	s_load_b32 s0, s[0:1], 0xc5c
	v_min_i64 v[2:3], 0x10000, s[12:13]
	v_min_u64 v[4:5], 0x10000, s[12:13]
	v_dual_mov_b32 v1, 0 :: v_dual_lshlrev_b32 v10, 1, v0
	s_wait_xcnt 0x0
	s_mov_b32 s1, 0
	s_delay_alu instid0(SALU_CYCLE_1) | instskip(NEXT) | instid1(VALU_DEP_1)
	s_mov_b32 s5, s1
	v_dual_mov_b32 v11, v1 :: v_dual_mov_b32 v27, v1
	s_mov_b32 s3, s1
	s_mov_b32 s13, s1
	s_delay_alu instid0(VALU_DEP_1) | instskip(SKIP_2) | instid1(SALU_CYCLE_1)
	v_add_nc_u64_e32 v[6:7], s[8:9], v[10:11]
	s_wait_kmcnt 0x0
	s_and_b32 s0, s0, 0xffff
	v_add_nc_u64_e32 v[8:9], s[0:1], v[0:1]
	v_mad_nc_u64_u32 v[22:23], s0, 6, v[10:11]
	s_lshl_b32 s4, s0, 2
	s_mul_i32 s12, s0, 3
	v_add_nc_u64_e32 v[18:19], s[4:5], v[10:11]
	s_lshl_b32 s2, s0, 1
	v_add_nc_u64_e32 v[10:11], s[10:11], v[10:11]
	v_lshlrev_b32_e32 v26, 1, v8
	v_add_nc_u64_e32 v[12:13], s[12:13], v[0:1]
	v_add_nc_u64_e32 v[14:15], s[2:3], v[0:1]
	s_mov_b32 s12, 0x3fb8aa3b
	v_add_nc_u64_e32 v[16:17], s[8:9], v[18:19]
	v_add_nc_u64_e32 v[18:19], s[10:11], v[18:19]
	;; [unrolled: 1-line block ×6, first 2 shown]
	s_lshl_b32 s8, s0, 3
	s_mov_b32 s9, s1
	s_mov_b64 s[10:11], 0
	s_mov_b32 s13, 0x32a5705f
	s_branch .LBB134_9
.LBB134_8:                              ;   in Loop: Header=BB134_9 Depth=1
	s_wait_xcnt 0x0
	s_or_b32 exec_lo, exec_lo, s0
	s_add_nc_u64 s[10:11], s[10:11], s[4:5]
	v_add_nc_u64_e32 v[6:7], s[8:9], v[6:7]
	v_cmp_ge_i64_e32 vcc_lo, s[10:11], v[2:3]
	v_add_nc_u64_e32 v[10:11], s[8:9], v[10:11]
	v_add_nc_u64_e32 v[20:21], s[8:9], v[20:21]
	;; [unrolled: 1-line block ×7, first 2 shown]
	s_cbranch_vccnz .LBB134_25
.LBB134_9:                              ; =>This Inner Loop Header: Depth=1
	v_add_nc_u64_e32 v[28:29], s[10:11], v[0:1]
	s_delay_alu instid0(VALU_DEP_1)
	v_cmp_lt_u64_e32 vcc_lo, v[28:29], v[4:5]
	v_dual_mov_b32 v28, 1.0 :: v_dual_mov_b32 v29, 1.0
	s_and_saveexec_b32 s1, vcc_lo
	s_cbranch_execz .LBB134_11
; %bb.10:                               ;   in Loop: Header=BB134_9 Depth=1
	v_add_nc_u64_e32 v[30:31], s[6:7], v[6:7]
	global_load_u16 v29, v[30:31], off
	s_wait_loadcnt 0x0
	v_lshlrev_b32_e32 v30, 16, v29
	s_delay_alu instid0(VALU_DEP_1) | instskip(NEXT) | instid1(VALU_DEP_1)
	v_mul_f32_e32 v31, 0x3fb8aa3b, v30
	v_fma_mix_f32_bf16 v32, v29, s12, -v31 op_sel_hi:[1,0,0]
	v_rndne_f32_e32 v33, v31
	s_delay_alu instid0(VALU_DEP_2) | instskip(NEXT) | instid1(VALU_DEP_2)
	v_fma_mix_f32_bf16 v29, v29, s13, v32 op_sel_hi:[1,0,0]
	v_sub_f32_e32 v31, v31, v33
	s_delay_alu instid0(VALU_DEP_1) | instskip(SKIP_2) | instid1(VALU_DEP_3)
	v_add_f32_e32 v29, v31, v29
	v_cvt_i32_f32_e32 v31, v33
	v_cmp_ngt_f32_e64 s0, 0xc2ce8ed0, v30
	v_exp_f32_e32 v29, v29
	v_nop
	s_delay_alu instid0(TRANS32_DEP_1) | instskip(NEXT) | instid1(VALU_DEP_1)
	v_ldexp_f32 v29, v29, v31
	v_cndmask_b32_e64 v29, 0, v29, s0
	v_cmp_nlt_f32_e64 s0, 0x42b17218, v30
	s_delay_alu instid0(VALU_DEP_1)
	v_cndmask_b32_e64 v29, 0x7f800000, v29, s0
.LBB134_11:                             ;   in Loop: Header=BB134_9 Depth=1
	s_or_b32 exec_lo, exec_lo, s1
	v_add_nc_u64_e32 v[30:31], s[10:11], v[8:9]
	s_delay_alu instid0(VALU_DEP_1)
	v_cmp_lt_u64_e64 s0, v[30:31], v[4:5]
	s_and_saveexec_b32 s2, s0
	s_cbranch_execz .LBB134_13
; %bb.12:                               ;   in Loop: Header=BB134_9 Depth=1
	v_add_nc_u64_e32 v[30:31], s[6:7], v[24:25]
	global_load_u16 v28, v[30:31], off
	s_wait_loadcnt 0x0
	v_lshlrev_b32_e32 v30, 16, v28
	s_delay_alu instid0(VALU_DEP_1) | instskip(NEXT) | instid1(VALU_DEP_1)
	v_mul_f32_e32 v31, 0x3fb8aa3b, v30
	v_fma_mix_f32_bf16 v32, v28, s12, -v31 op_sel_hi:[1,0,0]
	v_rndne_f32_e32 v33, v31
	s_delay_alu instid0(VALU_DEP_2) | instskip(NEXT) | instid1(VALU_DEP_2)
	v_fma_mix_f32_bf16 v28, v28, s13, v32 op_sel_hi:[1,0,0]
	v_sub_f32_e32 v31, v31, v33
	v_cmp_ngt_f32_e64 s1, 0xc2ce8ed0, v30
	s_delay_alu instid0(VALU_DEP_2) | instskip(SKIP_1) | instid1(VALU_DEP_2)
	v_add_f32_e32 v28, v31, v28
	v_cvt_i32_f32_e32 v31, v33
	v_exp_f32_e32 v28, v28
	v_nop
	s_delay_alu instid0(TRANS32_DEP_1) | instskip(NEXT) | instid1(VALU_DEP_1)
	v_ldexp_f32 v28, v28, v31
	v_cndmask_b32_e64 v28, 0, v28, s1
	v_cmp_nlt_f32_e64 s1, 0x42b17218, v30
	s_delay_alu instid0(VALU_DEP_1)
	v_cndmask_b32_e64 v28, 0x7f800000, v28, s1
.LBB134_13:                             ;   in Loop: Header=BB134_9 Depth=1
	s_or_b32 exec_lo, exec_lo, s2
	v_add_nc_u64_e32 v[30:31], s[10:11], v[14:15]
	s_delay_alu instid0(VALU_DEP_1)
	v_cmp_lt_u64_e64 s1, v[30:31], v[4:5]
	v_dual_mov_b32 v30, 1.0 :: v_dual_mov_b32 v31, 1.0
	s_and_saveexec_b32 s3, s1
	s_cbranch_execz .LBB134_15
; %bb.14:                               ;   in Loop: Header=BB134_9 Depth=1
	v_add_nc_u64_e32 v[32:33], s[6:7], v[16:17]
	global_load_u16 v31, v[32:33], off
	s_wait_loadcnt 0x0
	v_lshlrev_b32_e32 v32, 16, v31
	s_delay_alu instid0(VALU_DEP_1) | instskip(NEXT) | instid1(VALU_DEP_1)
	v_mul_f32_e32 v33, 0x3fb8aa3b, v32
	v_fma_mix_f32_bf16 v34, v31, s12, -v33 op_sel_hi:[1,0,0]
	v_rndne_f32_e32 v35, v33
	s_delay_alu instid0(VALU_DEP_2) | instskip(NEXT) | instid1(VALU_DEP_2)
	v_fma_mix_f32_bf16 v31, v31, s13, v34 op_sel_hi:[1,0,0]
	v_sub_f32_e32 v33, v33, v35
	s_delay_alu instid0(VALU_DEP_1) | instskip(SKIP_2) | instid1(VALU_DEP_3)
	v_add_f32_e32 v31, v33, v31
	v_cvt_i32_f32_e32 v33, v35
	v_cmp_ngt_f32_e64 s2, 0xc2ce8ed0, v32
	v_exp_f32_e32 v31, v31
	v_nop
	s_delay_alu instid0(TRANS32_DEP_1) | instskip(NEXT) | instid1(VALU_DEP_1)
	v_ldexp_f32 v31, v31, v33
	v_cndmask_b32_e64 v31, 0, v31, s2
	v_cmp_nlt_f32_e64 s2, 0x42b17218, v32
	s_delay_alu instid0(VALU_DEP_1)
	v_cndmask_b32_e64 v31, 0x7f800000, v31, s2
.LBB134_15:                             ;   in Loop: Header=BB134_9 Depth=1
	s_or_b32 exec_lo, exec_lo, s3
	v_add_nc_u64_e32 v[32:33], s[10:11], v[12:13]
	s_delay_alu instid0(VALU_DEP_1)
	v_cmp_lt_u64_e64 s2, v[32:33], v[4:5]
	s_and_saveexec_b32 s14, s2
	s_cbranch_execnz .LBB134_20
; %bb.16:                               ;   in Loop: Header=BB134_9 Depth=1
	s_or_b32 exec_lo, exec_lo, s14
	s_and_saveexec_b32 s3, vcc_lo
	s_cbranch_execnz .LBB134_21
.LBB134_17:                             ;   in Loop: Header=BB134_9 Depth=1
	s_or_b32 exec_lo, exec_lo, s3
	s_and_saveexec_b32 s3, s0
	s_cbranch_execnz .LBB134_22
.LBB134_18:                             ;   in Loop: Header=BB134_9 Depth=1
	s_or_b32 exec_lo, exec_lo, s3
	s_and_saveexec_b32 s0, s1
	s_cbranch_execnz .LBB134_23
.LBB134_19:                             ;   in Loop: Header=BB134_9 Depth=1
	s_or_b32 exec_lo, exec_lo, s0
	s_and_saveexec_b32 s0, s2
	s_cbranch_execz .LBB134_8
	s_branch .LBB134_24
.LBB134_20:                             ;   in Loop: Header=BB134_9 Depth=1
	v_add_nc_u64_e32 v[32:33], s[6:7], v[20:21]
	global_load_u16 v30, v[32:33], off
	s_wait_loadcnt 0x0
	v_lshlrev_b32_e32 v32, 16, v30
	s_delay_alu instid0(VALU_DEP_1) | instskip(NEXT) | instid1(VALU_DEP_1)
	v_mul_f32_e32 v33, 0x3fb8aa3b, v32
	v_fma_mix_f32_bf16 v34, v30, s12, -v33 op_sel_hi:[1,0,0]
	v_rndne_f32_e32 v35, v33
	s_delay_alu instid0(VALU_DEP_2) | instskip(NEXT) | instid1(VALU_DEP_2)
	v_fma_mix_f32_bf16 v30, v30, s13, v34 op_sel_hi:[1,0,0]
	v_sub_f32_e32 v33, v33, v35
	v_cmp_ngt_f32_e64 s3, 0xc2ce8ed0, v32
	s_delay_alu instid0(VALU_DEP_2) | instskip(SKIP_1) | instid1(VALU_DEP_2)
	v_add_f32_e32 v30, v33, v30
	v_cvt_i32_f32_e32 v33, v35
	v_exp_f32_e32 v30, v30
	v_nop
	s_delay_alu instid0(TRANS32_DEP_1) | instskip(NEXT) | instid1(VALU_DEP_1)
	v_ldexp_f32 v30, v30, v33
	v_cndmask_b32_e64 v30, 0, v30, s3
	v_cmp_nlt_f32_e64 s3, 0x42b17218, v32
	s_delay_alu instid0(VALU_DEP_1)
	v_cndmask_b32_e64 v30, 0x7f800000, v30, s3
	s_or_b32 exec_lo, exec_lo, s14
	s_and_saveexec_b32 s3, vcc_lo
	s_cbranch_execz .LBB134_17
.LBB134_21:                             ;   in Loop: Header=BB134_9 Depth=1
	v_bfe_u32 v32, v29, 16, 1
	v_cmp_o_f32_e32 vcc_lo, v29, v29
	s_delay_alu instid0(VALU_DEP_2) | instskip(NEXT) | instid1(VALU_DEP_1)
	v_add3_u32 v32, v29, v32, 0x7fff
	v_lshrrev_b32_e32 v34, 16, v32
	v_add_nc_u64_e32 v[32:33], s[6:7], v[10:11]
	s_delay_alu instid0(VALU_DEP_2)
	v_cndmask_b32_e32 v29, 0x7fc0, v34, vcc_lo
	global_store_b16 v[32:33], v29, off
	s_wait_xcnt 0x0
	s_or_b32 exec_lo, exec_lo, s3
	s_and_saveexec_b32 s3, s0
	s_cbranch_execz .LBB134_18
.LBB134_22:                             ;   in Loop: Header=BB134_9 Depth=1
	v_bfe_u32 v29, v28, 16, 1
	v_cmp_o_f32_e32 vcc_lo, v28, v28
	v_add_nc_u64_e32 v[32:33], s[6:7], v[26:27]
	s_delay_alu instid0(VALU_DEP_3) | instskip(NEXT) | instid1(VALU_DEP_1)
	v_add3_u32 v29, v28, v29, 0x7fff
	v_lshrrev_b32_e32 v29, 16, v29
	s_delay_alu instid0(VALU_DEP_1)
	v_cndmask_b32_e32 v28, 0x7fc0, v29, vcc_lo
	global_store_b16 v[32:33], v28, off
	s_wait_xcnt 0x0
	s_or_b32 exec_lo, exec_lo, s3
	s_and_saveexec_b32 s0, s1
	s_cbranch_execz .LBB134_19
.LBB134_23:                             ;   in Loop: Header=BB134_9 Depth=1
	v_bfe_u32 v28, v31, 16, 1
	v_cmp_o_f32_e32 vcc_lo, v31, v31
	s_delay_alu instid0(VALU_DEP_2) | instskip(NEXT) | instid1(VALU_DEP_1)
	v_add3_u32 v28, v31, v28, 0x7fff
	v_lshrrev_b32_e32 v32, 16, v28
	v_add_nc_u64_e32 v[28:29], s[6:7], v[18:19]
	s_delay_alu instid0(VALU_DEP_2)
	v_cndmask_b32_e32 v31, 0x7fc0, v32, vcc_lo
	global_store_b16 v[28:29], v31, off
	s_wait_xcnt 0x0
	s_or_b32 exec_lo, exec_lo, s0
	s_and_saveexec_b32 s0, s2
	s_cbranch_execz .LBB134_8
.LBB134_24:                             ;   in Loop: Header=BB134_9 Depth=1
	v_bfe_u32 v28, v30, 16, 1
	v_cmp_o_f32_e32 vcc_lo, v30, v30
	s_delay_alu instid0(VALU_DEP_2) | instskip(NEXT) | instid1(VALU_DEP_1)
	v_add3_u32 v28, v30, v28, 0x7fff
	v_lshrrev_b32_e32 v31, 16, v28
	v_add_nc_u64_e32 v[28:29], s[6:7], v[22:23]
	s_delay_alu instid0(VALU_DEP_2)
	v_cndmask_b32_e32 v30, 0x7fc0, v31, vcc_lo
	global_store_b16 v[28:29], v30, off
	s_branch .LBB134_8
.LBB134_25:
	s_endpgm
	.section	.rodata,"a",@progbits
	.p2align	6, 0x0
	.amdhsa_kernel _ZN2at6native12_GLOBAL__N_125multi_tensor_apply_kernelINS1_18TensorListMetadataILi2EEENS1_14UnaryOpFunctorIN3c108BFloat16ELi2ELi1ELi1EEEJNS0_3ExpIfEEEEEvT_T0_DpT1_
		.amdhsa_group_segment_fixed_size 0
		.amdhsa_private_segment_fixed_size 0
		.amdhsa_kernarg_size 3408
		.amdhsa_user_sgpr_count 2
		.amdhsa_user_sgpr_dispatch_ptr 0
		.amdhsa_user_sgpr_queue_ptr 0
		.amdhsa_user_sgpr_kernarg_segment_ptr 1
		.amdhsa_user_sgpr_dispatch_id 0
		.amdhsa_user_sgpr_kernarg_preload_length 0
		.amdhsa_user_sgpr_kernarg_preload_offset 0
		.amdhsa_user_sgpr_private_segment_size 0
		.amdhsa_wavefront_size32 1
		.amdhsa_uses_dynamic_stack 0
		.amdhsa_enable_private_segment 0
		.amdhsa_system_sgpr_workgroup_id_x 1
		.amdhsa_system_sgpr_workgroup_id_y 0
		.amdhsa_system_sgpr_workgroup_id_z 0
		.amdhsa_system_sgpr_workgroup_info 0
		.amdhsa_system_vgpr_workitem_id 0
		.amdhsa_next_free_vgpr 36
		.amdhsa_next_free_sgpr 21
		.amdhsa_named_barrier_count 0
		.amdhsa_reserve_vcc 1
		.amdhsa_float_round_mode_32 0
		.amdhsa_float_round_mode_16_64 0
		.amdhsa_float_denorm_mode_32 3
		.amdhsa_float_denorm_mode_16_64 3
		.amdhsa_fp16_overflow 0
		.amdhsa_memory_ordered 1
		.amdhsa_forward_progress 1
		.amdhsa_inst_pref_size 19
		.amdhsa_round_robin_scheduling 0
		.amdhsa_exception_fp_ieee_invalid_op 0
		.amdhsa_exception_fp_denorm_src 0
		.amdhsa_exception_fp_ieee_div_zero 0
		.amdhsa_exception_fp_ieee_overflow 0
		.amdhsa_exception_fp_ieee_underflow 0
		.amdhsa_exception_fp_ieee_inexact 0
		.amdhsa_exception_int_div_zero 0
	.end_amdhsa_kernel
	.section	.text._ZN2at6native12_GLOBAL__N_125multi_tensor_apply_kernelINS1_18TensorListMetadataILi2EEENS1_14UnaryOpFunctorIN3c108BFloat16ELi2ELi1ELi1EEEJNS0_3ExpIfEEEEEvT_T0_DpT1_,"axG",@progbits,_ZN2at6native12_GLOBAL__N_125multi_tensor_apply_kernelINS1_18TensorListMetadataILi2EEENS1_14UnaryOpFunctorIN3c108BFloat16ELi2ELi1ELi1EEEJNS0_3ExpIfEEEEEvT_T0_DpT1_,comdat
.Lfunc_end134:
	.size	_ZN2at6native12_GLOBAL__N_125multi_tensor_apply_kernelINS1_18TensorListMetadataILi2EEENS1_14UnaryOpFunctorIN3c108BFloat16ELi2ELi1ELi1EEEJNS0_3ExpIfEEEEEvT_T0_DpT1_, .Lfunc_end134-_ZN2at6native12_GLOBAL__N_125multi_tensor_apply_kernelINS1_18TensorListMetadataILi2EEENS1_14UnaryOpFunctorIN3c108BFloat16ELi2ELi1ELi1EEEJNS0_3ExpIfEEEEEvT_T0_DpT1_
                                        ; -- End function
	.set _ZN2at6native12_GLOBAL__N_125multi_tensor_apply_kernelINS1_18TensorListMetadataILi2EEENS1_14UnaryOpFunctorIN3c108BFloat16ELi2ELi1ELi1EEEJNS0_3ExpIfEEEEEvT_T0_DpT1_.num_vgpr, 36
	.set _ZN2at6native12_GLOBAL__N_125multi_tensor_apply_kernelINS1_18TensorListMetadataILi2EEENS1_14UnaryOpFunctorIN3c108BFloat16ELi2ELi1ELi1EEEJNS0_3ExpIfEEEEEvT_T0_DpT1_.num_agpr, 0
	.set _ZN2at6native12_GLOBAL__N_125multi_tensor_apply_kernelINS1_18TensorListMetadataILi2EEENS1_14UnaryOpFunctorIN3c108BFloat16ELi2ELi1ELi1EEEJNS0_3ExpIfEEEEEvT_T0_DpT1_.numbered_sgpr, 21
	.set _ZN2at6native12_GLOBAL__N_125multi_tensor_apply_kernelINS1_18TensorListMetadataILi2EEENS1_14UnaryOpFunctorIN3c108BFloat16ELi2ELi1ELi1EEEJNS0_3ExpIfEEEEEvT_T0_DpT1_.num_named_barrier, 0
	.set _ZN2at6native12_GLOBAL__N_125multi_tensor_apply_kernelINS1_18TensorListMetadataILi2EEENS1_14UnaryOpFunctorIN3c108BFloat16ELi2ELi1ELi1EEEJNS0_3ExpIfEEEEEvT_T0_DpT1_.private_seg_size, 0
	.set _ZN2at6native12_GLOBAL__N_125multi_tensor_apply_kernelINS1_18TensorListMetadataILi2EEENS1_14UnaryOpFunctorIN3c108BFloat16ELi2ELi1ELi1EEEJNS0_3ExpIfEEEEEvT_T0_DpT1_.uses_vcc, 1
	.set _ZN2at6native12_GLOBAL__N_125multi_tensor_apply_kernelINS1_18TensorListMetadataILi2EEENS1_14UnaryOpFunctorIN3c108BFloat16ELi2ELi1ELi1EEEJNS0_3ExpIfEEEEEvT_T0_DpT1_.uses_flat_scratch, 0
	.set _ZN2at6native12_GLOBAL__N_125multi_tensor_apply_kernelINS1_18TensorListMetadataILi2EEENS1_14UnaryOpFunctorIN3c108BFloat16ELi2ELi1ELi1EEEJNS0_3ExpIfEEEEEvT_T0_DpT1_.has_dyn_sized_stack, 0
	.set _ZN2at6native12_GLOBAL__N_125multi_tensor_apply_kernelINS1_18TensorListMetadataILi2EEENS1_14UnaryOpFunctorIN3c108BFloat16ELi2ELi1ELi1EEEJNS0_3ExpIfEEEEEvT_T0_DpT1_.has_recursion, 0
	.set _ZN2at6native12_GLOBAL__N_125multi_tensor_apply_kernelINS1_18TensorListMetadataILi2EEENS1_14UnaryOpFunctorIN3c108BFloat16ELi2ELi1ELi1EEEJNS0_3ExpIfEEEEEvT_T0_DpT1_.has_indirect_call, 0
	.section	.AMDGPU.csdata,"",@progbits
; Kernel info:
; codeLenInByte = 2312
; TotalNumSgprs: 23
; NumVgprs: 36
; ScratchSize: 0
; MemoryBound: 0
; FloatMode: 240
; IeeeMode: 1
; LDSByteSize: 0 bytes/workgroup (compile time only)
; SGPRBlocks: 0
; VGPRBlocks: 2
; NumSGPRsForWavesPerEU: 23
; NumVGPRsForWavesPerEU: 36
; NamedBarCnt: 0
; Occupancy: 16
; WaveLimiterHint : 0
; COMPUTE_PGM_RSRC2:SCRATCH_EN: 0
; COMPUTE_PGM_RSRC2:USER_SGPR: 2
; COMPUTE_PGM_RSRC2:TRAP_HANDLER: 0
; COMPUTE_PGM_RSRC2:TGID_X_EN: 1
; COMPUTE_PGM_RSRC2:TGID_Y_EN: 0
; COMPUTE_PGM_RSRC2:TGID_Z_EN: 0
; COMPUTE_PGM_RSRC2:TIDIG_COMP_CNT: 0
	.section	.text._ZN2at6native12_GLOBAL__N_125multi_tensor_apply_kernelINS1_18TensorListMetadataILi1EEENS1_14UnaryOpFunctorIdLi1ELi1ELi0EEEJNS0_3ExpIdEEEEEvT_T0_DpT1_,"axG",@progbits,_ZN2at6native12_GLOBAL__N_125multi_tensor_apply_kernelINS1_18TensorListMetadataILi1EEENS1_14UnaryOpFunctorIdLi1ELi1ELi0EEEJNS0_3ExpIdEEEEEvT_T0_DpT1_,comdat
	.globl	_ZN2at6native12_GLOBAL__N_125multi_tensor_apply_kernelINS1_18TensorListMetadataILi1EEENS1_14UnaryOpFunctorIdLi1ELi1ELi0EEEJNS0_3ExpIdEEEEEvT_T0_DpT1_ ; -- Begin function _ZN2at6native12_GLOBAL__N_125multi_tensor_apply_kernelINS1_18TensorListMetadataILi1EEENS1_14UnaryOpFunctorIdLi1ELi1ELi0EEEJNS0_3ExpIdEEEEEvT_T0_DpT1_
	.p2align	8
	.type	_ZN2at6native12_GLOBAL__N_125multi_tensor_apply_kernelINS1_18TensorListMetadataILi1EEENS1_14UnaryOpFunctorIdLi1ELi1ELi0EEEJNS0_3ExpIdEEEEEvT_T0_DpT1_,@function
_ZN2at6native12_GLOBAL__N_125multi_tensor_apply_kernelINS1_18TensorListMetadataILi1EEENS1_14UnaryOpFunctorIdLi1ELi1ELi0EEEJNS0_3ExpIdEEEEEvT_T0_DpT1_: ; @_ZN2at6native12_GLOBAL__N_125multi_tensor_apply_kernelINS1_18TensorListMetadataILi1EEENS1_14UnaryOpFunctorIdLi1ELi1ELi0EEEJNS0_3ExpIdEEEEEvT_T0_DpT1_
; %bb.0:
	s_bfe_u32 s2, ttmp6, 0x4000c
	s_and_b32 s3, ttmp6, 15
	s_add_co_i32 s2, s2, 1
	s_getreg_b32 s4, hwreg(HW_REG_IB_STS2, 6, 4)
	s_mul_i32 s2, ttmp9, s2
	s_delay_alu instid0(SALU_CYCLE_1)
	s_add_co_i32 s3, s3, s2
	s_cmp_eq_u32 s4, 0
	s_cselect_b32 s2, ttmp9, s3
	s_mov_b32 s3, 0
	s_load_u8 s8, s[0:1], s2 offset:0x6e0
	s_add_nc_u64 s[4:5], s[0:1], s[2:3]
	s_mul_u64 s[6:7], s[2:3], 3
	s_delay_alu instid0(SALU_CYCLE_1)
	s_add_nc_u64 s[4:5], s[4:5], s[6:7]
	s_load_b32 s10, s[4:5], 0x820
	s_wait_kmcnt 0x0
	s_clause 0x1
	s_load_b64 s[6:7], s[0:1], s8 offset:0x0 scale_offset
	s_load_b64 s[12:13], s[0:1], s8 offset:0x370 scale_offset
	s_ashr_i32 s11, s10, 31
	s_wait_kmcnt 0x0
	s_and_b64 s[4:5], s[6:7], 31
	s_and_b32 s2, s12, 3
	s_lshl_b64 s[8:9], s[10:11], 19
	s_or_b64 s[2:3], s[4:5], s[2:3]
	s_lshl_b64 s[4:5], s[10:11], 16
	s_cmp_eq_u64 s[2:3], 0
	s_sub_nc_u64 s[10:11], s[12:13], s[4:5]
	s_cbranch_scc1 .LBB135_21
; %bb.1:
	v_cmp_lt_i64_e64 s2, s[10:11], 1
	s_and_b32 vcc_lo, exec_lo, s2
	s_cbranch_vccnz .LBB135_20
; %bb.2:
	s_load_b32 s4, s[0:1], 0xd3c
	v_min_i64 v[2:3], 0x10000, s[10:11]
	v_min_u64 v[4:5], 0x10000, s[10:11]
	v_dual_mov_b32 v1, 0 :: v_dual_lshlrev_b32 v8, 3, v0
	s_mov_b32 s19, 0
	s_add_nc_u64 s[2:3], s[6:7], s[8:9]
	s_mov_b32 s5, s19
	s_delay_alu instid0(VALU_DEP_1) | instskip(SKIP_3) | instid1(VALU_DEP_2)
	v_dual_mov_b32 v9, v1 :: v_dual_mov_b32 v15, v1
	s_mov_b32 s17, s19
	v_mov_b64_e32 v[16:17], 0x3e928af3fca7ab0c
	s_mov_b32 s13, s19
	v_add_nc_u64_e32 v[8:9], s[2:3], v[8:9]
	s_mov_b32 s15, s19
	s_mov_b64 s[20:21], 0
                                        ; implicit-def: $vgpr18_vgpr19
                                        ; implicit-def: $vgpr18_vgpr19
	;; [unrolled: 1-line block ×8, first 2 shown]
	s_wait_kmcnt 0x0
	s_and_b32 s18, s4, 0xffff
	s_delay_alu instid0(SALU_CYCLE_1)
	v_add_nc_u64_e32 v[6:7], s[18:19], v[0:1]
	s_lshl_b32 s4, s18, 1
	s_mul_i32 s16, s18, 3
	v_add_nc_u64_e32 v[12:13], s[4:5], v[0:1]
	v_add_nc_u64_e32 v[10:11], s[16:17], v[0:1]
	s_lshl_b32 s12, s18, 2
	s_lshl_b32 s14, s18, 5
	v_lshlrev_b32_e32 v14, 3, v6
	s_mul_u64 s[16:17], s[18:19], 24
	s_lshl_b32 s18, s18, 4
	s_delay_alu instid0(VALU_DEP_1)
	v_add_nc_u64_e32 v[14:15], s[2:3], v[14:15]
	s_branch .LBB135_4
.LBB135_3:                              ;   in Loop: Header=BB135_4 Depth=1
	s_wait_xcnt 0x0
	s_or_b32 exec_lo, exec_lo, s3
	s_add_nc_u64 s[20:21], s[20:21], s[12:13]
	v_add_nc_u64_e32 v[8:9], s[14:15], v[8:9]
	v_cmp_lt_i64_e32 vcc_lo, s[20:21], v[2:3]
	v_add_nc_u64_e32 v[14:15], s[14:15], v[14:15]
	s_cbranch_vccz .LBB135_20
.LBB135_4:                              ; =>This Inner Loop Header: Depth=1
	s_wait_loadcnt 0x0
	v_add_nc_u64_e32 v[18:19], s[20:21], v[0:1]
	v_mov_b64_e32 v[26:27], 0
	v_mov_b64_e32 v[28:29], 0
	s_delay_alu instid0(VALU_DEP_3)
	v_cmp_lt_u64_e64 s4, v[18:19], v[4:5]
	s_and_saveexec_b32 s2, s4
	s_cbranch_execz .LBB135_6
; %bb.5:                                ;   in Loop: Header=BB135_4 Depth=1
	global_load_b64 v[28:29], v[8:9], off
.LBB135_6:                              ;   in Loop: Header=BB135_4 Depth=1
	s_wait_xcnt 0x0
	s_or_b32 exec_lo, exec_lo, s2
	v_add_nc_u64_e32 v[18:19], s[20:21], v[6:7]
	s_delay_alu instid0(VALU_DEP_1)
	v_cmp_lt_u64_e64 s3, v[18:19], v[4:5]
	s_and_saveexec_b32 s2, s3
	s_cbranch_execz .LBB135_8
; %bb.7:                                ;   in Loop: Header=BB135_4 Depth=1
	global_load_b64 v[26:27], v[14:15], off
.LBB135_8:                              ;   in Loop: Header=BB135_4 Depth=1
	s_wait_xcnt 0x0
	s_or_b32 exec_lo, exec_lo, s2
	v_add_nc_u64_e32 v[20:21], s[20:21], v[12:13]
	v_mov_b64_e32 v[18:19], 0
	v_add_nc_u64_e32 v[22:23], s[18:19], v[8:9]
	v_mov_b64_e32 v[24:25], 0
	s_delay_alu instid0(VALU_DEP_4)
	v_cmp_lt_u64_e64 s2, v[20:21], v[4:5]
	s_and_saveexec_b32 s5, s2
	s_cbranch_execz .LBB135_10
; %bb.9:                                ;   in Loop: Header=BB135_4 Depth=1
	global_load_b64 v[24:25], v[22:23], off
.LBB135_10:                             ;   in Loop: Header=BB135_4 Depth=1
	s_wait_xcnt 0x0
	s_or_b32 exec_lo, exec_lo, s5
	v_add_nc_u64_e32 v[20:21], s[20:21], v[10:11]
	s_delay_alu instid0(VALU_DEP_1)
	v_cmp_lt_u64_e32 vcc_lo, v[20:21], v[4:5]
	v_add_nc_u64_e32 v[20:21], s[16:17], v[8:9]
	s_and_saveexec_b32 s5, vcc_lo
	s_cbranch_execnz .LBB135_15
; %bb.11:                               ;   in Loop: Header=BB135_4 Depth=1
	s_or_b32 exec_lo, exec_lo, s5
	s_and_saveexec_b32 s22, s4
	s_cbranch_execnz .LBB135_16
.LBB135_12:                             ;   in Loop: Header=BB135_4 Depth=1
	s_or_b32 exec_lo, exec_lo, s22
	s_and_saveexec_b32 s5, s3
	s_cbranch_execnz .LBB135_17
.LBB135_13:                             ;   in Loop: Header=BB135_4 Depth=1
	s_or_b32 exec_lo, exec_lo, s5
	s_and_saveexec_b32 s4, s2
	s_cbranch_execnz .LBB135_18
.LBB135_14:                             ;   in Loop: Header=BB135_4 Depth=1
	s_or_b32 exec_lo, exec_lo, s4
	s_and_saveexec_b32 s3, vcc_lo
	s_cbranch_execz .LBB135_3
	s_branch .LBB135_19
.LBB135_15:                             ;   in Loop: Header=BB135_4 Depth=1
	global_load_b64 v[18:19], v[20:21], off
	s_wait_xcnt 0x0
	s_or_b32 exec_lo, exec_lo, s5
	s_and_saveexec_b32 s22, s4
	s_cbranch_execz .LBB135_12
.LBB135_16:                             ;   in Loop: Header=BB135_4 Depth=1
	s_wait_loadcnt 0x0
	v_mul_f64_e32 v[30:31], 0x3ff71547652b82fe, v[28:29]
	v_cmp_nlt_f64_e64 s4, 0x40900000, v[28:29]
	v_cmp_ngt_f64_e64 s5, 0xc090cc00, v[28:29]
	s_delay_alu instid0(VALU_DEP_3) | instskip(NEXT) | instid1(VALU_DEP_1)
	v_rndne_f64_e32 v[30:31], v[30:31]
	v_fmamk_f64 v[32:33], v[30:31], 0xbfe62e42fefa39ef, v[28:29]
	v_cvt_i32_f64_e32 v36, v[30:31]
	s_delay_alu instid0(VALU_DEP_2) | instskip(NEXT) | instid1(VALU_DEP_1)
	v_fmac_f64_e32 v[32:33], 0xbc7abc9e3b39803f, v[30:31]
	v_fmamk_f64 v[34:35], v[32:33], 0x3e5ade156a5dcb37, v[16:17]
	s_delay_alu instid0(VALU_DEP_1) | instskip(NEXT) | instid1(VALU_DEP_1)
	v_fmaak_f64 v[34:35], v[32:33], v[34:35], 0x3ec71dee623fde64
	v_fmaak_f64 v[34:35], v[32:33], v[34:35], 0x3efa01997c89e6b0
	s_delay_alu instid0(VALU_DEP_1) | instskip(NEXT) | instid1(VALU_DEP_1)
	v_fmaak_f64 v[34:35], v[32:33], v[34:35], 0x3f2a01a014761f6e
	v_fmaak_f64 v[34:35], v[32:33], v[34:35], 0x3f56c16c1852b7b0
	;; [unrolled: 3-line block ×4, first 2 shown]
	s_delay_alu instid0(VALU_DEP_1) | instskip(NEXT) | instid1(VALU_DEP_1)
	v_fma_f64 v[34:35], v[32:33], v[34:35], 1.0
	v_fma_f64 v[30:31], v[32:33], v[34:35], 1.0
	s_delay_alu instid0(VALU_DEP_1) | instskip(NEXT) | instid1(VALU_DEP_1)
	v_ldexp_f64 v[30:31], v[30:31], v36
	v_cndmask_b32_e64 v31, 0x7ff00000, v31, s4
	s_and_b32 s4, s5, s4
	s_delay_alu instid0(VALU_DEP_1) | instid1(SALU_CYCLE_1)
	v_dual_cndmask_b32 v28, 0, v30, s4 :: v_dual_cndmask_b32 v29, 0, v31, s5
	global_store_b64 v[8:9], v[28:29], off
	s_wait_xcnt 0x0
	s_or_b32 exec_lo, exec_lo, s22
	s_and_saveexec_b32 s5, s3
	s_cbranch_execz .LBB135_13
.LBB135_17:                             ;   in Loop: Header=BB135_4 Depth=1
	s_wait_loadcnt 0x0
	v_mul_f64_e32 v[28:29], 0x3ff71547652b82fe, v[26:27]
	v_cmp_nlt_f64_e64 s3, 0x40900000, v[26:27]
	v_cmp_ngt_f64_e64 s4, 0xc090cc00, v[26:27]
	s_delay_alu instid0(VALU_DEP_3) | instskip(NEXT) | instid1(VALU_DEP_1)
	v_rndne_f64_e32 v[28:29], v[28:29]
	v_fmamk_f64 v[30:31], v[28:29], 0xbfe62e42fefa39ef, v[26:27]
	v_cvt_i32_f64_e32 v34, v[28:29]
	s_delay_alu instid0(VALU_DEP_2) | instskip(NEXT) | instid1(VALU_DEP_1)
	v_fmac_f64_e32 v[30:31], 0xbc7abc9e3b39803f, v[28:29]
	v_fmamk_f64 v[32:33], v[30:31], 0x3e5ade156a5dcb37, v[16:17]
	s_delay_alu instid0(VALU_DEP_1) | instskip(NEXT) | instid1(VALU_DEP_1)
	v_fmaak_f64 v[32:33], v[30:31], v[32:33], 0x3ec71dee623fde64
	v_fmaak_f64 v[32:33], v[30:31], v[32:33], 0x3efa01997c89e6b0
	s_delay_alu instid0(VALU_DEP_1) | instskip(NEXT) | instid1(VALU_DEP_1)
	v_fmaak_f64 v[32:33], v[30:31], v[32:33], 0x3f2a01a014761f6e
	v_fmaak_f64 v[32:33], v[30:31], v[32:33], 0x3f56c16c1852b7b0
	;; [unrolled: 3-line block ×4, first 2 shown]
	s_delay_alu instid0(VALU_DEP_1) | instskip(NEXT) | instid1(VALU_DEP_1)
	v_fma_f64 v[32:33], v[30:31], v[32:33], 1.0
	v_fma_f64 v[28:29], v[30:31], v[32:33], 1.0
	s_delay_alu instid0(VALU_DEP_1) | instskip(NEXT) | instid1(VALU_DEP_1)
	v_ldexp_f64 v[28:29], v[28:29], v34
	v_cndmask_b32_e64 v29, 0x7ff00000, v29, s3
	s_and_b32 s3, s4, s3
	s_delay_alu instid0(VALU_DEP_1) | instid1(SALU_CYCLE_1)
	v_dual_cndmask_b32 v26, 0, v28, s3 :: v_dual_cndmask_b32 v27, 0, v29, s4
	global_store_b64 v[14:15], v[26:27], off
	s_wait_xcnt 0x0
	s_or_b32 exec_lo, exec_lo, s5
	s_and_saveexec_b32 s4, s2
	s_cbranch_execz .LBB135_14
.LBB135_18:                             ;   in Loop: Header=BB135_4 Depth=1
	s_wait_loadcnt 0x0
	v_mul_f64_e32 v[26:27], 0x3ff71547652b82fe, v[24:25]
	v_cmp_nlt_f64_e64 s2, 0x40900000, v[24:25]
	v_cmp_ngt_f64_e64 s3, 0xc090cc00, v[24:25]
	s_delay_alu instid0(VALU_DEP_3) | instskip(NEXT) | instid1(VALU_DEP_1)
	v_rndne_f64_e32 v[26:27], v[26:27]
	v_fmamk_f64 v[28:29], v[26:27], 0xbfe62e42fefa39ef, v[24:25]
	v_cvt_i32_f64_e32 v32, v[26:27]
	s_delay_alu instid0(VALU_DEP_2) | instskip(NEXT) | instid1(VALU_DEP_1)
	v_fmac_f64_e32 v[28:29], 0xbc7abc9e3b39803f, v[26:27]
	v_fmamk_f64 v[30:31], v[28:29], 0x3e5ade156a5dcb37, v[16:17]
	s_delay_alu instid0(VALU_DEP_1) | instskip(NEXT) | instid1(VALU_DEP_1)
	v_fmaak_f64 v[30:31], v[28:29], v[30:31], 0x3ec71dee623fde64
	v_fmaak_f64 v[30:31], v[28:29], v[30:31], 0x3efa01997c89e6b0
	s_delay_alu instid0(VALU_DEP_1) | instskip(NEXT) | instid1(VALU_DEP_1)
	v_fmaak_f64 v[30:31], v[28:29], v[30:31], 0x3f2a01a014761f6e
	v_fmaak_f64 v[30:31], v[28:29], v[30:31], 0x3f56c16c1852b7b0
	;; [unrolled: 3-line block ×4, first 2 shown]
	s_delay_alu instid0(VALU_DEP_1) | instskip(NEXT) | instid1(VALU_DEP_1)
	v_fma_f64 v[30:31], v[28:29], v[30:31], 1.0
	v_fma_f64 v[26:27], v[28:29], v[30:31], 1.0
	s_delay_alu instid0(VALU_DEP_1) | instskip(NEXT) | instid1(VALU_DEP_1)
	v_ldexp_f64 v[26:27], v[26:27], v32
	v_cndmask_b32_e64 v27, 0x7ff00000, v27, s2
	s_and_b32 s2, s3, s2
	s_delay_alu instid0(VALU_DEP_1) | instid1(SALU_CYCLE_1)
	v_dual_cndmask_b32 v24, 0, v26, s2 :: v_dual_cndmask_b32 v25, 0, v27, s3
	global_store_b64 v[22:23], v[24:25], off
	s_wait_xcnt 0x0
	s_or_b32 exec_lo, exec_lo, s4
	s_and_saveexec_b32 s3, vcc_lo
	s_cbranch_execz .LBB135_3
.LBB135_19:                             ;   in Loop: Header=BB135_4 Depth=1
	s_wait_loadcnt 0x0
	v_mul_f64_e32 v[22:23], 0x3ff71547652b82fe, v[18:19]
	v_cmp_nlt_f64_e32 vcc_lo, 0x40900000, v[18:19]
	v_cmp_ngt_f64_e64 s2, 0xc090cc00, v[18:19]
	s_delay_alu instid0(VALU_DEP_3) | instskip(NEXT) | instid1(VALU_DEP_1)
	v_rndne_f64_e32 v[22:23], v[22:23]
	v_fmamk_f64 v[24:25], v[22:23], 0xbfe62e42fefa39ef, v[18:19]
	v_cvt_i32_f64_e32 v28, v[22:23]
	s_delay_alu instid0(VALU_DEP_2) | instskip(NEXT) | instid1(VALU_DEP_1)
	v_fmac_f64_e32 v[24:25], 0xbc7abc9e3b39803f, v[22:23]
	v_fmamk_f64 v[26:27], v[24:25], 0x3e5ade156a5dcb37, v[16:17]
	s_delay_alu instid0(VALU_DEP_1) | instskip(NEXT) | instid1(VALU_DEP_1)
	v_fmaak_f64 v[26:27], v[24:25], v[26:27], 0x3ec71dee623fde64
	v_fmaak_f64 v[26:27], v[24:25], v[26:27], 0x3efa01997c89e6b0
	s_delay_alu instid0(VALU_DEP_1) | instskip(NEXT) | instid1(VALU_DEP_1)
	v_fmaak_f64 v[26:27], v[24:25], v[26:27], 0x3f2a01a014761f6e
	v_fmaak_f64 v[26:27], v[24:25], v[26:27], 0x3f56c16c1852b7b0
	;; [unrolled: 3-line block ×4, first 2 shown]
	s_delay_alu instid0(VALU_DEP_1) | instskip(NEXT) | instid1(VALU_DEP_1)
	v_fma_f64 v[26:27], v[24:25], v[26:27], 1.0
	v_fma_f64 v[22:23], v[24:25], v[26:27], 1.0
	s_delay_alu instid0(VALU_DEP_1) | instskip(NEXT) | instid1(VALU_DEP_1)
	v_ldexp_f64 v[22:23], v[22:23], v28
	v_cndmask_b32_e32 v23, 0x7ff00000, v23, vcc_lo
	s_and_b32 vcc_lo, s2, vcc_lo
	s_delay_alu instid0(VALU_DEP_1) | instid1(SALU_CYCLE_1)
	v_dual_cndmask_b32 v18, 0, v22, vcc_lo :: v_dual_cndmask_b32 v19, 0, v23, s2
	global_store_b64 v[20:21], v[18:19], off
	s_branch .LBB135_3
.LBB135_20:
	s_cbranch_execz .LBB135_22
	s_branch .LBB135_25
.LBB135_21:
.LBB135_22:
	v_min_i64 v[2:3], 0x10000, s[10:11]
	v_dual_mov_b32 v5, 0 :: v_dual_lshlrev_b32 v4, 2, v0
	s_mov_b32 s2, exec_lo
	s_delay_alu instid0(VALU_DEP_1)
	v_cmpx_lt_i64_e64 v[4:5], v[2:3]
	s_cbranch_execz .LBB135_25
; %bb.23:
	s_load_b32 s2, s[0:1], 0xd3c
	v_dual_mov_b32 v1, v5 :: v_dual_lshlrev_b32 v4, 5, v0
	s_wait_xcnt 0x0
	s_add_nc_u64 s[0:1], s[6:7], s[8:9]
	s_mov_b32 s9, 0
                                        ; implicit-def: $vgpr8_vgpr9
                                        ; implicit-def: $vgpr8_vgpr9
	;; [unrolled: 1-line block ×8, first 2 shown]
	s_delay_alu instid0(VALU_DEP_1) | instskip(SKIP_3) | instid1(VALU_DEP_2)
	v_add_nc_u64_e32 v[6:7], s[0:1], v[4:5]
	v_mov_b64_e32 v[4:5], 0x3e928af3fca7ab0c
	s_mov_b32 s11, s9
	s_mov_b32 s7, s9
	v_add_nc_u64_e32 v[6:7], 16, v[6:7]
	s_wait_kmcnt 0x0
	s_and_b32 s8, s2, 0xffff
	s_delay_alu instid0(SALU_CYCLE_1)
	s_lshl_b32 s10, s8, 5
.LBB135_24:                             ; =>This Inner Loop Header: Depth=1
	s_clause 0x1
	global_load_b128 v[8:11], v[6:7], off offset:-16
	global_load_b128 v[12:15], v[6:7], off
	v_add_nc_u64_e32 v[0:1], s[8:9], v[0:1]
	s_wait_loadcnt 0x1
	v_mul_f64_e32 v[16:17], 0x3ff71547652b82fe, v[8:9]
	v_mul_f64_e32 v[18:19], 0x3ff71547652b82fe, v[10:11]
	s_wait_loadcnt 0x0
	v_mul_f64_e32 v[20:21], 0x3ff71547652b82fe, v[12:13]
	v_mul_f64_e32 v[22:23], 0x3ff71547652b82fe, v[14:15]
	v_cmp_nlt_f64_e32 vcc_lo, 0x40900000, v[8:9]
	v_cmp_nlt_f64_e64 s1, 0x40900000, v[10:11]
	v_cmp_nlt_f64_e64 s3, 0x40900000, v[12:13]
	v_cmp_ngt_f64_e64 s0, 0xc090cc00, v[8:9]
	v_cmp_nlt_f64_e64 s5, 0x40900000, v[14:15]
	v_cmp_ngt_f64_e64 s2, 0xc090cc00, v[10:11]
	v_cmp_ngt_f64_e64 s4, 0xc090cc00, v[12:13]
	;; [unrolled: 1-line block ×3, first 2 shown]
	v_rndne_f64_e32 v[16:17], v[16:17]
	v_rndne_f64_e32 v[18:19], v[18:19]
	;; [unrolled: 1-line block ×4, first 2 shown]
	s_delay_alu instid0(VALU_DEP_4) | instskip(NEXT) | instid1(VALU_DEP_4)
	v_fmamk_f64 v[24:25], v[16:17], 0xbfe62e42fefa39ef, v[8:9]
	v_fmamk_f64 v[26:27], v[18:19], 0xbfe62e42fefa39ef, v[10:11]
	s_delay_alu instid0(VALU_DEP_4) | instskip(NEXT) | instid1(VALU_DEP_4)
	v_fmamk_f64 v[28:29], v[20:21], 0xbfe62e42fefa39ef, v[12:13]
	v_fmamk_f64 v[30:31], v[22:23], 0xbfe62e42fefa39ef, v[14:15]
	v_cvt_i32_f64_e32 v40, v[16:17]
	v_fmac_f64_e32 v[24:25], 0xbc7abc9e3b39803f, v[16:17]
	v_fmac_f64_e32 v[26:27], 0xbc7abc9e3b39803f, v[18:19]
	;; [unrolled: 1-line block ×4, first 2 shown]
	s_delay_alu instid0(VALU_DEP_4) | instskip(NEXT) | instid1(VALU_DEP_4)
	v_fmamk_f64 v[32:33], v[24:25], 0x3e5ade156a5dcb37, v[4:5]
	v_fmamk_f64 v[34:35], v[26:27], 0x3e5ade156a5dcb37, v[4:5]
	s_delay_alu instid0(VALU_DEP_4) | instskip(NEXT) | instid1(VALU_DEP_4)
	v_fmamk_f64 v[36:37], v[28:29], 0x3e5ade156a5dcb37, v[4:5]
	v_fmamk_f64 v[38:39], v[30:31], 0x3e5ade156a5dcb37, v[4:5]
	s_delay_alu instid0(VALU_DEP_4) | instskip(NEXT) | instid1(VALU_DEP_4)
	v_fmaak_f64 v[32:33], v[24:25], v[32:33], 0x3ec71dee623fde64
	v_fmaak_f64 v[34:35], v[26:27], v[34:35], 0x3ec71dee623fde64
	s_delay_alu instid0(VALU_DEP_4) | instskip(NEXT) | instid1(VALU_DEP_4)
	v_fmaak_f64 v[36:37], v[28:29], v[36:37], 0x3ec71dee623fde64
	v_fmaak_f64 v[38:39], v[30:31], v[38:39], 0x3ec71dee623fde64
	;; [unrolled: 3-line block ×16, first 2 shown]
	s_delay_alu instid0(VALU_DEP_4) | instskip(NEXT) | instid1(VALU_DEP_4)
	v_fma_f64 v[32:33], v[24:25], v[32:33], 1.0
	v_fma_f64 v[34:35], v[26:27], v[34:35], 1.0
	s_delay_alu instid0(VALU_DEP_4) | instskip(NEXT) | instid1(VALU_DEP_4)
	v_fma_f64 v[36:37], v[28:29], v[36:37], 1.0
	v_fma_f64 v[38:39], v[30:31], v[38:39], 1.0
	s_delay_alu instid0(VALU_DEP_4)
	v_fma_f64 v[16:17], v[24:25], v[32:33], 1.0
	v_cvt_i32_f64_e32 v24, v[18:19]
	v_fma_f64 v[18:19], v[26:27], v[34:35], 1.0
	v_cvt_i32_f64_e32 v25, v[20:21]
	;; [unrolled: 2-line block ×3, first 2 shown]
	v_fma_f64 v[22:23], v[30:31], v[38:39], 1.0
	v_ldexp_f64 v[16:17], v[16:17], v40
	v_ldexp_f64 v[18:19], v[18:19], v24
	;; [unrolled: 1-line block ×3, first 2 shown]
	v_lshlrev_b64_e32 v[24:25], 2, v[0:1]
	v_ldexp_f64 v[22:23], v[22:23], v26
	v_cndmask_b32_e32 v17, 0x7ff00000, v17, vcc_lo
	s_and_b32 vcc_lo, s0, vcc_lo
	v_cndmask_b32_e64 v8, 0x7ff00000, v19, s1
	v_cndmask_b32_e64 v10, 0x7ff00000, v21, s3
	s_delay_alu instid0(VALU_DEP_3) | instskip(SKIP_1) | instid1(VALU_DEP_4)
	v_cndmask_b32_e64 v9, 0, v17, s0
	v_cndmask_b32_e64 v12, 0x7ff00000, v23, s5
	;; [unrolled: 1-line block ×3, first 2 shown]
	v_cndmask_b32_e32 v8, 0, v16, vcc_lo
	s_and_b32 vcc_lo, s2, s1
	s_delay_alu instid0(VALU_DEP_3)
	v_dual_cndmask_b32 v13, 0, v10, s4 :: v_dual_cndmask_b32 v15, 0, v12, s6
	v_cndmask_b32_e32 v10, 0, v18, vcc_lo
	s_and_b32 vcc_lo, s4, s3
	v_cndmask_b32_e32 v12, 0, v20, vcc_lo
	s_and_b32 vcc_lo, s6, s5
	v_cndmask_b32_e32 v14, 0, v22, vcc_lo
	v_cmp_ge_i64_e32 vcc_lo, v[24:25], v[2:3]
	s_clause 0x1
	global_store_b128 v[6:7], v[8:11], off offset:-16
	global_store_b128 v[6:7], v[12:15], off
	s_wait_xcnt 0x0
	v_add_nc_u64_e32 v[6:7], s[10:11], v[6:7]
	s_or_b32 s7, vcc_lo, s7
	s_delay_alu instid0(SALU_CYCLE_1)
	s_and_not1_b32 exec_lo, exec_lo, s7
	s_cbranch_execnz .LBB135_24
.LBB135_25:
	s_endpgm
	.section	.rodata,"a",@progbits
	.p2align	6, 0x0
	.amdhsa_kernel _ZN2at6native12_GLOBAL__N_125multi_tensor_apply_kernelINS1_18TensorListMetadataILi1EEENS1_14UnaryOpFunctorIdLi1ELi1ELi0EEEJNS0_3ExpIdEEEEEvT_T0_DpT1_
		.amdhsa_group_segment_fixed_size 0
		.amdhsa_private_segment_fixed_size 0
		.amdhsa_kernarg_size 3632
		.amdhsa_user_sgpr_count 2
		.amdhsa_user_sgpr_dispatch_ptr 0
		.amdhsa_user_sgpr_queue_ptr 0
		.amdhsa_user_sgpr_kernarg_segment_ptr 1
		.amdhsa_user_sgpr_dispatch_id 0
		.amdhsa_user_sgpr_kernarg_preload_length 0
		.amdhsa_user_sgpr_kernarg_preload_offset 0
		.amdhsa_user_sgpr_private_segment_size 0
		.amdhsa_wavefront_size32 1
		.amdhsa_uses_dynamic_stack 0
		.amdhsa_enable_private_segment 0
		.amdhsa_system_sgpr_workgroup_id_x 1
		.amdhsa_system_sgpr_workgroup_id_y 0
		.amdhsa_system_sgpr_workgroup_id_z 0
		.amdhsa_system_sgpr_workgroup_info 0
		.amdhsa_system_vgpr_workitem_id 0
		.amdhsa_next_free_vgpr 41
		.amdhsa_next_free_sgpr 23
		.amdhsa_named_barrier_count 0
		.amdhsa_reserve_vcc 1
		.amdhsa_float_round_mode_32 0
		.amdhsa_float_round_mode_16_64 0
		.amdhsa_float_denorm_mode_32 3
		.amdhsa_float_denorm_mode_16_64 3
		.amdhsa_fp16_overflow 0
		.amdhsa_memory_ordered 1
		.amdhsa_forward_progress 1
		.amdhsa_inst_pref_size 24
		.amdhsa_round_robin_scheduling 0
		.amdhsa_exception_fp_ieee_invalid_op 0
		.amdhsa_exception_fp_denorm_src 0
		.amdhsa_exception_fp_ieee_div_zero 0
		.amdhsa_exception_fp_ieee_overflow 0
		.amdhsa_exception_fp_ieee_underflow 0
		.amdhsa_exception_fp_ieee_inexact 0
		.amdhsa_exception_int_div_zero 0
	.end_amdhsa_kernel
	.section	.text._ZN2at6native12_GLOBAL__N_125multi_tensor_apply_kernelINS1_18TensorListMetadataILi1EEENS1_14UnaryOpFunctorIdLi1ELi1ELi0EEEJNS0_3ExpIdEEEEEvT_T0_DpT1_,"axG",@progbits,_ZN2at6native12_GLOBAL__N_125multi_tensor_apply_kernelINS1_18TensorListMetadataILi1EEENS1_14UnaryOpFunctorIdLi1ELi1ELi0EEEJNS0_3ExpIdEEEEEvT_T0_DpT1_,comdat
.Lfunc_end135:
	.size	_ZN2at6native12_GLOBAL__N_125multi_tensor_apply_kernelINS1_18TensorListMetadataILi1EEENS1_14UnaryOpFunctorIdLi1ELi1ELi0EEEJNS0_3ExpIdEEEEEvT_T0_DpT1_, .Lfunc_end135-_ZN2at6native12_GLOBAL__N_125multi_tensor_apply_kernelINS1_18TensorListMetadataILi1EEENS1_14UnaryOpFunctorIdLi1ELi1ELi0EEEJNS0_3ExpIdEEEEEvT_T0_DpT1_
                                        ; -- End function
	.set _ZN2at6native12_GLOBAL__N_125multi_tensor_apply_kernelINS1_18TensorListMetadataILi1EEENS1_14UnaryOpFunctorIdLi1ELi1ELi0EEEJNS0_3ExpIdEEEEEvT_T0_DpT1_.num_vgpr, 41
	.set _ZN2at6native12_GLOBAL__N_125multi_tensor_apply_kernelINS1_18TensorListMetadataILi1EEENS1_14UnaryOpFunctorIdLi1ELi1ELi0EEEJNS0_3ExpIdEEEEEvT_T0_DpT1_.num_agpr, 0
	.set _ZN2at6native12_GLOBAL__N_125multi_tensor_apply_kernelINS1_18TensorListMetadataILi1EEENS1_14UnaryOpFunctorIdLi1ELi1ELi0EEEJNS0_3ExpIdEEEEEvT_T0_DpT1_.numbered_sgpr, 23
	.set _ZN2at6native12_GLOBAL__N_125multi_tensor_apply_kernelINS1_18TensorListMetadataILi1EEENS1_14UnaryOpFunctorIdLi1ELi1ELi0EEEJNS0_3ExpIdEEEEEvT_T0_DpT1_.num_named_barrier, 0
	.set _ZN2at6native12_GLOBAL__N_125multi_tensor_apply_kernelINS1_18TensorListMetadataILi1EEENS1_14UnaryOpFunctorIdLi1ELi1ELi0EEEJNS0_3ExpIdEEEEEvT_T0_DpT1_.private_seg_size, 0
	.set _ZN2at6native12_GLOBAL__N_125multi_tensor_apply_kernelINS1_18TensorListMetadataILi1EEENS1_14UnaryOpFunctorIdLi1ELi1ELi0EEEJNS0_3ExpIdEEEEEvT_T0_DpT1_.uses_vcc, 1
	.set _ZN2at6native12_GLOBAL__N_125multi_tensor_apply_kernelINS1_18TensorListMetadataILi1EEENS1_14UnaryOpFunctorIdLi1ELi1ELi0EEEJNS0_3ExpIdEEEEEvT_T0_DpT1_.uses_flat_scratch, 0
	.set _ZN2at6native12_GLOBAL__N_125multi_tensor_apply_kernelINS1_18TensorListMetadataILi1EEENS1_14UnaryOpFunctorIdLi1ELi1ELi0EEEJNS0_3ExpIdEEEEEvT_T0_DpT1_.has_dyn_sized_stack, 0
	.set _ZN2at6native12_GLOBAL__N_125multi_tensor_apply_kernelINS1_18TensorListMetadataILi1EEENS1_14UnaryOpFunctorIdLi1ELi1ELi0EEEJNS0_3ExpIdEEEEEvT_T0_DpT1_.has_recursion, 0
	.set _ZN2at6native12_GLOBAL__N_125multi_tensor_apply_kernelINS1_18TensorListMetadataILi1EEENS1_14UnaryOpFunctorIdLi1ELi1ELi0EEEJNS0_3ExpIdEEEEEvT_T0_DpT1_.has_indirect_call, 0
	.section	.AMDGPU.csdata,"",@progbits
; Kernel info:
; codeLenInByte = 3008
; TotalNumSgprs: 25
; NumVgprs: 41
; ScratchSize: 0
; MemoryBound: 0
; FloatMode: 240
; IeeeMode: 1
; LDSByteSize: 0 bytes/workgroup (compile time only)
; SGPRBlocks: 0
; VGPRBlocks: 2
; NumSGPRsForWavesPerEU: 25
; NumVGPRsForWavesPerEU: 41
; NamedBarCnt: 0
; Occupancy: 16
; WaveLimiterHint : 0
; COMPUTE_PGM_RSRC2:SCRATCH_EN: 0
; COMPUTE_PGM_RSRC2:USER_SGPR: 2
; COMPUTE_PGM_RSRC2:TRAP_HANDLER: 0
; COMPUTE_PGM_RSRC2:TGID_X_EN: 1
; COMPUTE_PGM_RSRC2:TGID_Y_EN: 0
; COMPUTE_PGM_RSRC2:TGID_Z_EN: 0
; COMPUTE_PGM_RSRC2:TIDIG_COMP_CNT: 0
	.section	.text._ZN2at6native12_GLOBAL__N_125multi_tensor_apply_kernelINS1_18TensorListMetadataILi1EEENS1_14UnaryOpFunctorIfLi1ELi1ELi0EEEJNS0_3ExpIfEEEEEvT_T0_DpT1_,"axG",@progbits,_ZN2at6native12_GLOBAL__N_125multi_tensor_apply_kernelINS1_18TensorListMetadataILi1EEENS1_14UnaryOpFunctorIfLi1ELi1ELi0EEEJNS0_3ExpIfEEEEEvT_T0_DpT1_,comdat
	.globl	_ZN2at6native12_GLOBAL__N_125multi_tensor_apply_kernelINS1_18TensorListMetadataILi1EEENS1_14UnaryOpFunctorIfLi1ELi1ELi0EEEJNS0_3ExpIfEEEEEvT_T0_DpT1_ ; -- Begin function _ZN2at6native12_GLOBAL__N_125multi_tensor_apply_kernelINS1_18TensorListMetadataILi1EEENS1_14UnaryOpFunctorIfLi1ELi1ELi0EEEJNS0_3ExpIfEEEEEvT_T0_DpT1_
	.p2align	8
	.type	_ZN2at6native12_GLOBAL__N_125multi_tensor_apply_kernelINS1_18TensorListMetadataILi1EEENS1_14UnaryOpFunctorIfLi1ELi1ELi0EEEJNS0_3ExpIfEEEEEvT_T0_DpT1_,@function
_ZN2at6native12_GLOBAL__N_125multi_tensor_apply_kernelINS1_18TensorListMetadataILi1EEENS1_14UnaryOpFunctorIfLi1ELi1ELi0EEEJNS0_3ExpIfEEEEEvT_T0_DpT1_: ; @_ZN2at6native12_GLOBAL__N_125multi_tensor_apply_kernelINS1_18TensorListMetadataILi1EEENS1_14UnaryOpFunctorIfLi1ELi1ELi0EEEJNS0_3ExpIfEEEEEvT_T0_DpT1_
; %bb.0:
	s_bfe_u32 s2, ttmp6, 0x4000c
	s_and_b32 s3, ttmp6, 15
	s_add_co_i32 s2, s2, 1
	s_getreg_b32 s4, hwreg(HW_REG_IB_STS2, 6, 4)
	s_mul_i32 s2, ttmp9, s2
	s_delay_alu instid0(SALU_CYCLE_1)
	s_add_co_i32 s3, s3, s2
	s_cmp_eq_u32 s4, 0
	s_cselect_b32 s2, ttmp9, s3
	s_mov_b32 s3, 0
	s_load_u8 s8, s[0:1], s2 offset:0x6e0
	s_add_nc_u64 s[4:5], s[0:1], s[2:3]
	s_mul_u64 s[6:7], s[2:3], 3
	s_delay_alu instid0(SALU_CYCLE_1)
	s_add_nc_u64 s[4:5], s[4:5], s[6:7]
	s_load_b32 s10, s[4:5], 0x820
	s_wait_kmcnt 0x0
	s_clause 0x1
	s_load_b64 s[6:7], s[0:1], s8 offset:0x0 scale_offset
	s_load_b64 s[12:13], s[0:1], s8 offset:0x370 scale_offset
	s_ashr_i32 s11, s10, 31
	s_wait_kmcnt 0x0
	s_and_b64 s[4:5], s[6:7], 15
	s_and_b32 s2, s12, 3
	s_lshl_b64 s[8:9], s[10:11], 18
	s_or_b64 s[2:3], s[4:5], s[2:3]
	s_lshl_b64 s[4:5], s[10:11], 16
	s_cmp_eq_u64 s[2:3], 0
	s_sub_nc_u64 s[10:11], s[12:13], s[4:5]
	s_cbranch_scc1 .LBB136_21
; %bb.1:
	v_cmp_lt_i64_e64 s2, s[10:11], 1
	s_and_b32 vcc_lo, exec_lo, s2
	s_cbranch_vccnz .LBB136_20
; %bb.2:
	s_load_b32 s4, s[0:1], 0xd3c
	v_min_i64 v[2:3], 0x10000, s[10:11]
	v_min_u64 v[4:5], 0x10000, s[10:11]
	v_dual_mov_b32 v1, 0 :: v_dual_lshlrev_b32 v8, 2, v0
	s_mov_b32 s19, 0
	s_add_nc_u64 s[2:3], s[6:7], s[8:9]
	s_mov_b32 s5, s19
	s_delay_alu instid0(VALU_DEP_1)
	v_mov_b32_e32 v15, v1
	s_mov_b32 s17, s19
	s_mov_b32 s13, s19
	;; [unrolled: 1-line block ×3, first 2 shown]
	s_mov_b64 s[20:21], 0
	s_wait_kmcnt 0x0
	s_and_b32 s18, s4, 0xffff
	s_delay_alu instid0(SALU_CYCLE_1)
	v_add_nc_u64_e32 v[6:7], s[18:19], v[0:1]
	v_mov_b32_e32 v9, v1
	s_lshl_b32 s4, s18, 1
	s_mul_i32 s16, s18, 3
	v_add_nc_u64_e32 v[12:13], s[4:5], v[0:1]
	v_add_nc_u64_e32 v[10:11], s[16:17], v[0:1]
	s_lshl_b32 s12, s18, 2
	v_lshlrev_b32_e32 v14, 2, v6
	v_add_nc_u64_e32 v[8:9], s[2:3], v[8:9]
	s_lshl_b32 s14, s18, 4
	s_mul_u64 s[16:17], s[18:19], 12
	s_lshl_b32 s18, s18, 3
	v_add_nc_u64_e32 v[14:15], s[2:3], v[14:15]
	s_branch .LBB136_4
.LBB136_3:                              ;   in Loop: Header=BB136_4 Depth=1
	s_wait_xcnt 0x0
	s_or_b32 exec_lo, exec_lo, s2
	s_add_nc_u64 s[20:21], s[20:21], s[12:13]
	v_add_nc_u64_e32 v[8:9], s[14:15], v[8:9]
	v_cmp_lt_i64_e32 vcc_lo, s[20:21], v[2:3]
	v_add_nc_u64_e32 v[14:15], s[14:15], v[14:15]
	s_cbranch_vccz .LBB136_20
.LBB136_4:                              ; =>This Inner Loop Header: Depth=1
	v_add_nc_u64_e32 v[16:17], s[20:21], v[0:1]
	v_dual_mov_b32 v20, 1.0 :: v_dual_mov_b32 v21, 1.0
	s_delay_alu instid0(VALU_DEP_2)
	v_cmp_lt_u64_e32 vcc_lo, v[16:17], v[4:5]
	s_and_saveexec_b32 s3, vcc_lo
	s_cbranch_execz .LBB136_6
; %bb.5:                                ;   in Loop: Header=BB136_4 Depth=1
	global_load_b32 v16, v[8:9], off
	s_wait_loadcnt 0x0
	v_mul_f32_e32 v17, 0x3fb8aa3b, v16
	v_cmp_ngt_f32_e64 s2, 0xc2ce8ed0, v16
	s_delay_alu instid0(VALU_DEP_2) | instskip(SKIP_1) | instid1(VALU_DEP_2)
	v_rndne_f32_e32 v18, v17
	v_fma_f32 v19, 0x3fb8aa3b, v16, -v17
	v_sub_f32_e32 v17, v17, v18
	s_delay_alu instid0(VALU_DEP_2) | instskip(SKIP_1) | instid1(VALU_DEP_2)
	v_fmac_f32_e32 v19, 0x32a5705f, v16
	v_cvt_i32_f32_e32 v18, v18
	v_add_f32_e32 v17, v17, v19
	s_delay_alu instid0(VALU_DEP_1) | instskip(SKIP_1) | instid1(TRANS32_DEP_1)
	v_exp_f32_e32 v17, v17
	v_nop
	v_ldexp_f32 v17, v17, v18
	s_delay_alu instid0(VALU_DEP_1) | instskip(SKIP_1) | instid1(VALU_DEP_1)
	v_cndmask_b32_e64 v17, 0, v17, s2
	v_cmp_nlt_f32_e64 s2, 0x42b17218, v16
	v_cndmask_b32_e64 v21, 0x7f800000, v17, s2
.LBB136_6:                              ;   in Loop: Header=BB136_4 Depth=1
	s_wait_xcnt 0x0
	s_or_b32 exec_lo, exec_lo, s3
	v_add_nc_u64_e32 v[16:17], s[20:21], v[6:7]
	s_delay_alu instid0(VALU_DEP_1)
	v_cmp_lt_u64_e64 s2, v[16:17], v[4:5]
	s_and_saveexec_b32 s4, s2
	s_cbranch_execz .LBB136_8
; %bb.7:                                ;   in Loop: Header=BB136_4 Depth=1
	global_load_b32 v16, v[14:15], off
	s_wait_loadcnt 0x0
	v_mul_f32_e32 v17, 0x3fb8aa3b, v16
	v_cmp_ngt_f32_e64 s3, 0xc2ce8ed0, v16
	s_delay_alu instid0(VALU_DEP_2) | instskip(SKIP_1) | instid1(VALU_DEP_2)
	v_rndne_f32_e32 v18, v17
	v_fma_f32 v19, 0x3fb8aa3b, v16, -v17
	v_sub_f32_e32 v17, v17, v18
	s_delay_alu instid0(VALU_DEP_2) | instskip(SKIP_1) | instid1(VALU_DEP_2)
	v_fmac_f32_e32 v19, 0x32a5705f, v16
	v_cvt_i32_f32_e32 v18, v18
	v_add_f32_e32 v17, v17, v19
	s_delay_alu instid0(VALU_DEP_1) | instskip(SKIP_1) | instid1(TRANS32_DEP_1)
	v_exp_f32_e32 v17, v17
	v_nop
	v_ldexp_f32 v17, v17, v18
	s_delay_alu instid0(VALU_DEP_1) | instskip(SKIP_1) | instid1(VALU_DEP_1)
	v_cndmask_b32_e64 v17, 0, v17, s3
	v_cmp_nlt_f32_e64 s3, 0x42b17218, v16
	v_cndmask_b32_e64 v20, 0x7f800000, v17, s3
.LBB136_8:                              ;   in Loop: Header=BB136_4 Depth=1
	s_wait_xcnt 0x0
	s_or_b32 exec_lo, exec_lo, s4
	v_add_nc_u64_e32 v[16:17], s[20:21], v[12:13]
	v_dual_mov_b32 v22, 1.0 :: v_dual_mov_b32 v23, 1.0
	s_delay_alu instid0(VALU_DEP_2)
	v_cmp_lt_u64_e64 s3, v[16:17], v[4:5]
	v_add_nc_u64_e32 v[16:17], s[18:19], v[8:9]
	s_and_saveexec_b32 s5, s3
	s_cbranch_execz .LBB136_10
; %bb.9:                                ;   in Loop: Header=BB136_4 Depth=1
	global_load_b32 v18, v[16:17], off
	s_wait_loadcnt 0x0
	v_mul_f32_e32 v19, 0x3fb8aa3b, v18
	v_cmp_ngt_f32_e64 s4, 0xc2ce8ed0, v18
	s_delay_alu instid0(VALU_DEP_2) | instskip(SKIP_1) | instid1(VALU_DEP_2)
	v_fma_f32 v23, 0x3fb8aa3b, v18, -v19
	v_rndne_f32_e32 v24, v19
	v_fmac_f32_e32 v23, 0x32a5705f, v18
	s_delay_alu instid0(VALU_DEP_2) | instskip(NEXT) | instid1(VALU_DEP_1)
	v_sub_f32_e32 v19, v19, v24
	v_add_f32_e32 v19, v19, v23
	v_cvt_i32_f32_e32 v23, v24
	s_delay_alu instid0(VALU_DEP_2) | instskip(SKIP_1) | instid1(TRANS32_DEP_1)
	v_exp_f32_e32 v19, v19
	v_nop
	v_ldexp_f32 v19, v19, v23
	s_delay_alu instid0(VALU_DEP_1) | instskip(SKIP_1) | instid1(VALU_DEP_1)
	v_cndmask_b32_e64 v19, 0, v19, s4
	v_cmp_nlt_f32_e64 s4, 0x42b17218, v18
	v_cndmask_b32_e64 v23, 0x7f800000, v19, s4
.LBB136_10:                             ;   in Loop: Header=BB136_4 Depth=1
	s_wait_xcnt 0x0
	s_or_b32 exec_lo, exec_lo, s5
	v_add_nc_u64_e32 v[18:19], s[20:21], v[10:11]
	s_delay_alu instid0(VALU_DEP_1)
	v_cmp_lt_u64_e64 s4, v[18:19], v[4:5]
	v_add_nc_u64_e32 v[18:19], s[16:17], v[8:9]
	s_and_saveexec_b32 s22, s4
	s_cbranch_execnz .LBB136_15
; %bb.11:                               ;   in Loop: Header=BB136_4 Depth=1
	s_or_b32 exec_lo, exec_lo, s22
	s_and_saveexec_b32 s5, vcc_lo
	s_cbranch_execnz .LBB136_16
.LBB136_12:                             ;   in Loop: Header=BB136_4 Depth=1
	s_or_b32 exec_lo, exec_lo, s5
	s_and_saveexec_b32 s5, s2
	s_cbranch_execnz .LBB136_17
.LBB136_13:                             ;   in Loop: Header=BB136_4 Depth=1
	s_or_b32 exec_lo, exec_lo, s5
	s_and_saveexec_b32 s2, s3
	s_cbranch_execnz .LBB136_18
.LBB136_14:                             ;   in Loop: Header=BB136_4 Depth=1
	s_or_b32 exec_lo, exec_lo, s2
	s_and_saveexec_b32 s2, s4
	s_cbranch_execz .LBB136_3
	s_branch .LBB136_19
.LBB136_15:                             ;   in Loop: Header=BB136_4 Depth=1
	global_load_b32 v22, v[18:19], off
	s_wait_loadcnt 0x0
	v_mul_f32_e32 v24, 0x3fb8aa3b, v22
	v_cmp_ngt_f32_e64 s5, 0xc2ce8ed0, v22
	s_delay_alu instid0(VALU_DEP_2) | instskip(SKIP_1) | instid1(VALU_DEP_2)
	v_fma_f32 v25, 0x3fb8aa3b, v22, -v24
	v_rndne_f32_e32 v26, v24
	v_fmac_f32_e32 v25, 0x32a5705f, v22
	s_delay_alu instid0(VALU_DEP_2) | instskip(NEXT) | instid1(VALU_DEP_1)
	v_sub_f32_e32 v24, v24, v26
	v_add_f32_e32 v24, v24, v25
	v_cvt_i32_f32_e32 v25, v26
	s_delay_alu instid0(VALU_DEP_2) | instskip(SKIP_1) | instid1(TRANS32_DEP_1)
	v_exp_f32_e32 v24, v24
	v_nop
	v_ldexp_f32 v24, v24, v25
	s_delay_alu instid0(VALU_DEP_1) | instskip(SKIP_1) | instid1(VALU_DEP_1)
	v_cndmask_b32_e64 v24, 0, v24, s5
	v_cmp_nlt_f32_e64 s5, 0x42b17218, v22
	v_cndmask_b32_e64 v22, 0x7f800000, v24, s5
	s_wait_xcnt 0x0
	s_or_b32 exec_lo, exec_lo, s22
	s_and_saveexec_b32 s5, vcc_lo
	s_cbranch_execz .LBB136_12
.LBB136_16:                             ;   in Loop: Header=BB136_4 Depth=1
	global_store_b32 v[8:9], v21, off
	s_wait_xcnt 0x0
	s_or_b32 exec_lo, exec_lo, s5
	s_and_saveexec_b32 s5, s2
	s_cbranch_execz .LBB136_13
.LBB136_17:                             ;   in Loop: Header=BB136_4 Depth=1
	global_store_b32 v[14:15], v20, off
	s_wait_xcnt 0x0
	s_or_b32 exec_lo, exec_lo, s5
	s_and_saveexec_b32 s2, s3
	s_cbranch_execz .LBB136_14
.LBB136_18:                             ;   in Loop: Header=BB136_4 Depth=1
	global_store_b32 v[16:17], v23, off
	s_wait_xcnt 0x0
	s_or_b32 exec_lo, exec_lo, s2
	s_and_saveexec_b32 s2, s4
	s_cbranch_execz .LBB136_3
.LBB136_19:                             ;   in Loop: Header=BB136_4 Depth=1
	global_store_b32 v[18:19], v22, off
	s_branch .LBB136_3
.LBB136_20:
	s_cbranch_execz .LBB136_22
	s_branch .LBB136_30
.LBB136_21:
.LBB136_22:
	v_min_i64 v[2:3], 0x10000, s[10:11]
	v_dual_mov_b32 v5, 0 :: v_dual_lshlrev_b32 v4, 2, v0
	s_mov_b32 s2, exec_lo
	s_delay_alu instid0(VALU_DEP_1)
	v_cmpx_lt_i64_e64 v[4:5], v[2:3]
	s_cbranch_execz .LBB136_30
; %bb.23:
	v_dual_mov_b32 v7, v5 :: v_dual_add_nc_u32 v6, 4, v4
	s_load_b32 s0, s[0:1], 0xd3c
	s_wait_xcnt 0x0
	s_mov_b32 s1, 0
	v_mov_b32_e32 v1, v5
	s_mov_b32 s3, -1
	v_max_i64 v[6:7], v[2:3], v[6:7]
	v_mov_b32_e32 v9, s1
	s_wait_kmcnt 0x0
	s_and_b32 s0, s0, 0xffff
	s_delay_alu instid0(SALU_CYCLE_1) | instskip(SKIP_1) | instid1(VALU_DEP_2)
	s_cmp_eq_u32 s0, 1
	s_cselect_b32 s2, -1, 0
	v_add_nc_u64_e32 v[6:7], -4, v[6:7]
	s_delay_alu instid0(VALU_DEP_1) | instskip(SKIP_1) | instid1(VALU_DEP_1)
	v_cmp_ne_u64_e32 vcc_lo, v[6:7], v[4:5]
	v_cndmask_b32_e64 v8, 0, 1, vcc_lo
	v_or_b32_e32 v4, v4, v8
	s_delay_alu instid0(VALU_DEP_1) | instskip(NEXT) | instid1(VALU_DEP_1)
	v_sub_nc_u64_e32 v[6:7], v[6:7], v[4:5]
	v_lshrrev_b64 v[6:7], 2, v[6:7]
	s_delay_alu instid0(VALU_DEP_1) | instskip(NEXT) | instid1(VALU_DEP_1)
	v_add_nc_u64_e32 v[6:7], v[6:7], v[8:9]
	v_cmp_ne_u64_e32 vcc_lo, 0, v[6:7]
	s_and_b32 s4, vcc_lo, s2
	s_delay_alu instid0(SALU_CYCLE_1)
	s_and_saveexec_b32 s2, s4
	s_cbranch_execz .LBB136_27
; %bb.24:
	v_dual_mov_b32 v9, 0 :: v_dual_lshlrev_b32 v8, 4, v0
	v_add_nc_u64_e32 v[4:5], 1, v[6:7]
	s_add_nc_u64 s[4:5], s[6:7], s[8:9]
	s_delay_alu instid0(VALU_DEP_2) | instid1(SALU_CYCLE_1)
	v_add_nc_u64_e32 v[8:9], s[4:5], v[8:9]
	s_delay_alu instid0(VALU_DEP_2) | instskip(NEXT) | instid1(VALU_DEP_2)
	v_dual_mov_b32 v7, v5 :: v_dual_bitop2_b32 v6, -2, v4 bitop3:0x40
	v_add_nc_u64_e32 v[8:9], 28, v[8:9]
	s_delay_alu instid0(VALU_DEP_2)
	v_mov_b64_e32 v[10:11], v[6:7]
.LBB136_25:                             ; =>This Inner Loop Header: Depth=1
	s_clause 0x1
	global_load_b128 v[12:15], v[8:9], off offset:-12
	global_load_b128 v[16:19], v[8:9], off offset:-28
	v_add_nc_u64_e32 v[10:11], -2, v[10:11]
	s_wait_loadcnt 0x0
	v_dual_mul_f32 v20, 0x3fb8aa3b, v12 :: v_dual_mul_f32 v23, 0x3fb8aa3b, v17
	v_dual_mul_f32 v21, 0x3fb8aa3b, v16 :: v_dual_mul_f32 v22, 0x3fb8aa3b, v13
	;; [unrolled: 1-line block ×3, first 2 shown]
	s_delay_alu instid0(VALU_DEP_3) | instskip(SKIP_1) | instid1(VALU_DEP_4)
	v_rndne_f32_e32 v28, v20
	v_fma_f32 v29, 0x3fb8aa3b, v12, -v20
	v_rndne_f32_e32 v32, v22
	v_fma_f32 v33, 0x3fb8aa3b, v13, -v22
	;; [unrolled: 2-line block ×3, first 2 shown]
	v_sub_f32_e32 v20, v20, v28
	s_delay_alu instid0(VALU_DEP_4) | instskip(SKIP_3) | instid1(VALU_DEP_4)
	v_dual_sub_f32 v22, v22, v32 :: v_dual_fmac_f32 v33, 0x32a5705f, v13
	v_fmac_f32_e32 v29, 0x32a5705f, v12
	v_sub_f32_e32 v21, v21, v30
	v_dual_mul_f32 v25, 0x3fb8aa3b, v18 :: v_dual_mul_f32 v26, 0x3fb8aa3b, v15
	v_dual_add_f32 v22, v22, v33 :: v_dual_fmac_f32 v31, 0x32a5705f, v16
	s_delay_alu instid0(VALU_DEP_4)
	v_add_f32_e32 v20, v20, v29
	v_rndne_f32_e32 v42, v27
	v_rndne_f32_e32 v34, v23
	v_fma_f32 v35, 0x3fb8aa3b, v17, -v23
	v_rndne_f32_e32 v40, v26
	v_exp_f32_e32 v20, v20
	v_fma_f32 v41, 0x3fb8aa3b, v15, -v26
	v_fma_f32 v43, 0x3fb8aa3b, v19, -v27
	v_cvt_i32_f32_e32 v28, v28
	v_dual_sub_f32 v27, v27, v42 :: v_dual_add_f32 v21, v21, v31
	v_rndne_f32_e32 v36, v24
	v_fma_f32 v37, 0x3fb8aa3b, v14, -v24
	v_rndne_f32_e32 v38, v25
	v_fma_f32 v39, 0x3fb8aa3b, v18, -v25
	s_delay_alu instid0(VALU_DEP_4)
	v_dual_sub_f32 v23, v23, v34 :: v_dual_sub_f32 v24, v24, v36
	v_dual_fmac_f32 v35, 0x32a5705f, v17 :: v_dual_sub_f32 v26, v26, v40
	v_exp_f32_e32 v21, v21
	v_ldexp_f32 v20, v20, v28
	v_cmp_ngt_f32_e32 vcc_lo, 0xc2ce8ed0, v12
	v_fmac_f32_e32 v41, 0x32a5705f, v15
	v_cvt_i32_f32_e32 v30, v30
	v_dual_sub_f32 v25, v25, v38 :: v_dual_add_f32 v23, v23, v35
	v_exp_f32_e32 v22, v22
	v_dual_cndmask_b32 v20, 0, v20 :: v_dual_fmac_f32 v37, 0x32a5705f, v14
	v_dual_add_f32 v26, v26, v41 :: v_dual_fmac_f32 v39, 0x32a5705f, v18
	v_cvt_i32_f32_e32 v32, v32
	v_ldexp_f32 v21, v21, v30
	v_cmp_ngt_f32_e32 vcc_lo, 0xc2ce8ed0, v16
	s_delay_alu instid0(VALU_DEP_4)
	v_dual_add_f32 v24, v24, v37 :: v_dual_add_f32 v25, v25, v39
	v_exp_f32_e32 v23, v23
	v_cvt_i32_f32_e32 v34, v34
	v_ldexp_f32 v22, v22, v32
	v_cndmask_b32_e32 v21, 0, v21, vcc_lo
	v_cmp_ngt_f32_e32 vcc_lo, 0xc2ce8ed0, v13
	v_exp_f32_e32 v24, v24
	v_exp_f32_e32 v25, v25
	v_cvt_i32_f32_e32 v36, v36
	v_cvt_i32_f32_e32 v38, v38
	v_dual_fmac_f32 v43, 0x32a5705f, v19 :: v_dual_cndmask_b32 v22, 0, v22
	v_ldexp_f32 v23, v23, v34
	v_cmp_ngt_f32_e32 vcc_lo, 0xc2ce8ed0, v17
	v_ldexp_f32 v24, v24, v36
	v_ldexp_f32 v25, v25, v38
	v_exp_f32_e32 v26, v26
	v_cvt_i32_f32_e32 v40, v40
	v_cndmask_b32_e32 v23, 0, v23, vcc_lo
	v_cmp_ngt_f32_e32 vcc_lo, 0xc2ce8ed0, v14
	v_add_f32_e32 v27, v27, v43
	v_cvt_i32_f32_e32 v42, v42
	s_delay_alu instid0(TRANS32_DEP_1)
	v_ldexp_f32 v26, v26, v40
	v_cndmask_b32_e32 v24, 0, v24, vcc_lo
	v_cmp_ngt_f32_e32 vcc_lo, 0xc2ce8ed0, v18
	v_exp_f32_e32 v27, v27
	v_cndmask_b32_e32 v25, 0, v25, vcc_lo
	v_cmp_ngt_f32_e32 vcc_lo, 0xc2ce8ed0, v15
	s_delay_alu instid0(TRANS32_DEP_1) | instskip(SKIP_2) | instid1(VALU_DEP_3)
	v_ldexp_f32 v27, v27, v42
	v_cndmask_b32_e32 v26, 0, v26, vcc_lo
	v_cmp_ngt_f32_e32 vcc_lo, 0xc2ce8ed0, v19
	v_cndmask_b32_e32 v27, 0, v27, vcc_lo
	v_cmp_nlt_f32_e32 vcc_lo, 0x42b17218, v12
	v_cndmask_b32_e32 v12, 0x7f800000, v20, vcc_lo
	v_cmp_nlt_f32_e32 vcc_lo, 0x42b17218, v16
	;; [unrolled: 2-line block ×8, first 2 shown]
	v_cndmask_b32_e32 v15, 0x7f800000, v26, vcc_lo
	v_cmp_eq_u64_e32 vcc_lo, 0, v[10:11]
	s_clause 0x1
	global_store_b128 v[8:9], v[16:19], off offset:-28
	global_store_b128 v[8:9], v[12:15], off offset:-12
	s_wait_xcnt 0x0
	v_add_nc_u64_e32 v[8:9], 32, v[8:9]
	s_or_b32 s1, vcc_lo, s1
	s_delay_alu instid0(SALU_CYCLE_1)
	s_and_not1_b32 exec_lo, exec_lo, s1
	s_cbranch_execnz .LBB136_25
; %bb.26:
	s_or_b32 exec_lo, exec_lo, s1
	v_cmp_ne_u64_e32 vcc_lo, v[4:5], v[6:7]
	v_add_nc_u64_e32 v[0:1], v[6:7], v[0:1]
	s_or_not1_b32 s3, vcc_lo, exec_lo
.LBB136_27:
	s_or_b32 exec_lo, exec_lo, s2
	s_delay_alu instid0(SALU_CYCLE_1)
	s_and_b32 exec_lo, exec_lo, s3
	s_cbranch_execz .LBB136_30
; %bb.28:
	s_add_nc_u64 s[2:3], s[6:7], s[8:9]
	s_mov_b32 s1, 0
	v_lshl_add_u64 v[4:5], v[0:1], 4, s[2:3]
	s_lshl_b32 s2, s0, 4
	s_mov_b32 s3, s1
	s_mov_b32 s4, s1
	s_delay_alu instid0(VALU_DEP_1)
	v_add_nc_u64_e32 v[4:5], 8, v[4:5]
.LBB136_29:                             ; =>This Inner Loop Header: Depth=1
	global_load_b128 v[6:9], v[4:5], off offset:-8
	v_add_nc_u64_e32 v[0:1], s[0:1], v[0:1]
	s_wait_loadcnt 0x0
	v_dual_mul_f32 v10, 0x3fb8aa3b, v6 :: v_dual_mul_f32 v11, 0x3fb8aa3b, v7
	v_dual_mul_f32 v12, 0x3fb8aa3b, v8 :: v_dual_mul_f32 v13, 0x3fb8aa3b, v9
	v_cmp_ngt_f32_e32 vcc_lo, 0xc2ce8ed0, v6
	s_delay_alu instid0(VALU_DEP_3)
	v_rndne_f32_e32 v14, v10
	v_fma_f32 v15, 0x3fb8aa3b, v6, -v10
	v_rndne_f32_e32 v16, v11
	v_fma_f32 v17, 0x3fb8aa3b, v7, -v11
	v_rndne_f32_e32 v18, v12
	v_fma_f32 v19, 0x3fb8aa3b, v8, -v12
	s_delay_alu instid0(VALU_DEP_4) | instskip(NEXT) | instid1(VALU_DEP_3)
	v_dual_sub_f32 v10, v10, v14 :: v_dual_sub_f32 v11, v11, v16
	v_dual_fmac_f32 v17, 0x32a5705f, v7 :: v_dual_sub_f32 v12, v12, v18
	s_delay_alu instid0(VALU_DEP_3) | instskip(SKIP_3) | instid1(VALU_DEP_4)
	v_fmac_f32_e32 v19, 0x32a5705f, v8
	v_fmac_f32_e32 v15, 0x32a5705f, v6
	v_rndne_f32_e32 v20, v13
	v_fma_f32 v21, 0x3fb8aa3b, v9, -v13
	v_dual_add_f32 v11, v11, v17 :: v_dual_add_f32 v12, v12, v19
	s_delay_alu instid0(VALU_DEP_3) | instskip(SKIP_2) | instid1(VALU_DEP_4)
	v_dual_add_f32 v10, v10, v15 :: v_dual_sub_f32 v13, v13, v20
	v_cvt_i32_f32_e32 v15, v16
	v_cvt_i32_f32_e32 v14, v14
	v_exp_f32_e32 v17, v11
	s_delay_alu instid0(VALU_DEP_3) | instskip(SKIP_4) | instid1(TRANS32_DEP_3)
	v_exp_f32_e32 v16, v10
	v_exp_f32_e32 v12, v12
	v_cvt_i32_f32_e32 v18, v18
	v_cvt_i32_f32_e32 v19, v20
	v_lshlrev_b64_e32 v[10:11], 2, v[0:1]
	v_ldexp_f32 v15, v17, v15
	s_delay_alu instid0(TRANS32_DEP_2) | instskip(SKIP_2) | instid1(VALU_DEP_3)
	v_ldexp_f32 v14, v16, v14
	v_fmac_f32_e32 v21, 0x32a5705f, v9
	v_ldexp_f32 v12, v12, v18
	v_cndmask_b32_e32 v14, 0, v14, vcc_lo
	v_cmp_ngt_f32_e32 vcc_lo, 0xc2ce8ed0, v7
	s_delay_alu instid0(VALU_DEP_4) | instskip(NEXT) | instid1(VALU_DEP_1)
	v_dual_add_f32 v13, v13, v21 :: v_dual_cndmask_b32 v15, 0, v15, vcc_lo
	v_exp_f32_e32 v13, v13
	v_cmp_ngt_f32_e32 vcc_lo, 0xc2ce8ed0, v8
	s_delay_alu instid0(TRANS32_DEP_1) | instskip(SKIP_2) | instid1(VALU_DEP_3)
	v_ldexp_f32 v13, v13, v19
	v_cndmask_b32_e32 v12, 0, v12, vcc_lo
	v_cmp_ngt_f32_e32 vcc_lo, 0xc2ce8ed0, v9
	v_cndmask_b32_e32 v13, 0, v13, vcc_lo
	v_cmp_nlt_f32_e32 vcc_lo, 0x42b17218, v6
	v_cndmask_b32_e32 v6, 0x7f800000, v14, vcc_lo
	v_cmp_nlt_f32_e32 vcc_lo, 0x42b17218, v7
	;; [unrolled: 2-line block ×4, first 2 shown]
	v_cndmask_b32_e32 v9, 0x7f800000, v13, vcc_lo
	v_cmp_ge_i64_e32 vcc_lo, v[10:11], v[2:3]
	global_store_b128 v[4:5], v[6:9], off offset:-8
	s_wait_xcnt 0x0
	v_add_nc_u64_e32 v[4:5], s[2:3], v[4:5]
	s_or_b32 s4, vcc_lo, s4
	s_delay_alu instid0(SALU_CYCLE_1)
	s_and_not1_b32 exec_lo, exec_lo, s4
	s_cbranch_execnz .LBB136_29
.LBB136_30:
	s_endpgm
	.section	.rodata,"a",@progbits
	.p2align	6, 0x0
	.amdhsa_kernel _ZN2at6native12_GLOBAL__N_125multi_tensor_apply_kernelINS1_18TensorListMetadataILi1EEENS1_14UnaryOpFunctorIfLi1ELi1ELi0EEEJNS0_3ExpIfEEEEEvT_T0_DpT1_
		.amdhsa_group_segment_fixed_size 0
		.amdhsa_private_segment_fixed_size 0
		.amdhsa_kernarg_size 3632
		.amdhsa_user_sgpr_count 2
		.amdhsa_user_sgpr_dispatch_ptr 0
		.amdhsa_user_sgpr_queue_ptr 0
		.amdhsa_user_sgpr_kernarg_segment_ptr 1
		.amdhsa_user_sgpr_dispatch_id 0
		.amdhsa_user_sgpr_kernarg_preload_length 0
		.amdhsa_user_sgpr_kernarg_preload_offset 0
		.amdhsa_user_sgpr_private_segment_size 0
		.amdhsa_wavefront_size32 1
		.amdhsa_uses_dynamic_stack 0
		.amdhsa_enable_private_segment 0
		.amdhsa_system_sgpr_workgroup_id_x 1
		.amdhsa_system_sgpr_workgroup_id_y 0
		.amdhsa_system_sgpr_workgroup_id_z 0
		.amdhsa_system_sgpr_workgroup_info 0
		.amdhsa_system_vgpr_workitem_id 0
		.amdhsa_next_free_vgpr 44
		.amdhsa_next_free_sgpr 23
		.amdhsa_named_barrier_count 0
		.amdhsa_reserve_vcc 1
		.amdhsa_float_round_mode_32 0
		.amdhsa_float_round_mode_16_64 0
		.amdhsa_float_denorm_mode_32 3
		.amdhsa_float_denorm_mode_16_64 3
		.amdhsa_fp16_overflow 0
		.amdhsa_memory_ordered 1
		.amdhsa_forward_progress 1
		.amdhsa_inst_pref_size 22
		.amdhsa_round_robin_scheduling 0
		.amdhsa_exception_fp_ieee_invalid_op 0
		.amdhsa_exception_fp_denorm_src 0
		.amdhsa_exception_fp_ieee_div_zero 0
		.amdhsa_exception_fp_ieee_overflow 0
		.amdhsa_exception_fp_ieee_underflow 0
		.amdhsa_exception_fp_ieee_inexact 0
		.amdhsa_exception_int_div_zero 0
	.end_amdhsa_kernel
	.section	.text._ZN2at6native12_GLOBAL__N_125multi_tensor_apply_kernelINS1_18TensorListMetadataILi1EEENS1_14UnaryOpFunctorIfLi1ELi1ELi0EEEJNS0_3ExpIfEEEEEvT_T0_DpT1_,"axG",@progbits,_ZN2at6native12_GLOBAL__N_125multi_tensor_apply_kernelINS1_18TensorListMetadataILi1EEENS1_14UnaryOpFunctorIfLi1ELi1ELi0EEEJNS0_3ExpIfEEEEEvT_T0_DpT1_,comdat
.Lfunc_end136:
	.size	_ZN2at6native12_GLOBAL__N_125multi_tensor_apply_kernelINS1_18TensorListMetadataILi1EEENS1_14UnaryOpFunctorIfLi1ELi1ELi0EEEJNS0_3ExpIfEEEEEvT_T0_DpT1_, .Lfunc_end136-_ZN2at6native12_GLOBAL__N_125multi_tensor_apply_kernelINS1_18TensorListMetadataILi1EEENS1_14UnaryOpFunctorIfLi1ELi1ELi0EEEJNS0_3ExpIfEEEEEvT_T0_DpT1_
                                        ; -- End function
	.set _ZN2at6native12_GLOBAL__N_125multi_tensor_apply_kernelINS1_18TensorListMetadataILi1EEENS1_14UnaryOpFunctorIfLi1ELi1ELi0EEEJNS0_3ExpIfEEEEEvT_T0_DpT1_.num_vgpr, 44
	.set _ZN2at6native12_GLOBAL__N_125multi_tensor_apply_kernelINS1_18TensorListMetadataILi1EEENS1_14UnaryOpFunctorIfLi1ELi1ELi0EEEJNS0_3ExpIfEEEEEvT_T0_DpT1_.num_agpr, 0
	.set _ZN2at6native12_GLOBAL__N_125multi_tensor_apply_kernelINS1_18TensorListMetadataILi1EEENS1_14UnaryOpFunctorIfLi1ELi1ELi0EEEJNS0_3ExpIfEEEEEvT_T0_DpT1_.numbered_sgpr, 23
	.set _ZN2at6native12_GLOBAL__N_125multi_tensor_apply_kernelINS1_18TensorListMetadataILi1EEENS1_14UnaryOpFunctorIfLi1ELi1ELi0EEEJNS0_3ExpIfEEEEEvT_T0_DpT1_.num_named_barrier, 0
	.set _ZN2at6native12_GLOBAL__N_125multi_tensor_apply_kernelINS1_18TensorListMetadataILi1EEENS1_14UnaryOpFunctorIfLi1ELi1ELi0EEEJNS0_3ExpIfEEEEEvT_T0_DpT1_.private_seg_size, 0
	.set _ZN2at6native12_GLOBAL__N_125multi_tensor_apply_kernelINS1_18TensorListMetadataILi1EEENS1_14UnaryOpFunctorIfLi1ELi1ELi0EEEJNS0_3ExpIfEEEEEvT_T0_DpT1_.uses_vcc, 1
	.set _ZN2at6native12_GLOBAL__N_125multi_tensor_apply_kernelINS1_18TensorListMetadataILi1EEENS1_14UnaryOpFunctorIfLi1ELi1ELi0EEEJNS0_3ExpIfEEEEEvT_T0_DpT1_.uses_flat_scratch, 0
	.set _ZN2at6native12_GLOBAL__N_125multi_tensor_apply_kernelINS1_18TensorListMetadataILi1EEENS1_14UnaryOpFunctorIfLi1ELi1ELi0EEEJNS0_3ExpIfEEEEEvT_T0_DpT1_.has_dyn_sized_stack, 0
	.set _ZN2at6native12_GLOBAL__N_125multi_tensor_apply_kernelINS1_18TensorListMetadataILi1EEENS1_14UnaryOpFunctorIfLi1ELi1ELi0EEEJNS0_3ExpIfEEEEEvT_T0_DpT1_.has_recursion, 0
	.set _ZN2at6native12_GLOBAL__N_125multi_tensor_apply_kernelINS1_18TensorListMetadataILi1EEENS1_14UnaryOpFunctorIfLi1ELi1ELi0EEEJNS0_3ExpIfEEEEEvT_T0_DpT1_.has_indirect_call, 0
	.section	.AMDGPU.csdata,"",@progbits
; Kernel info:
; codeLenInByte = 2704
; TotalNumSgprs: 25
; NumVgprs: 44
; ScratchSize: 0
; MemoryBound: 0
; FloatMode: 240
; IeeeMode: 1
; LDSByteSize: 0 bytes/workgroup (compile time only)
; SGPRBlocks: 0
; VGPRBlocks: 2
; NumSGPRsForWavesPerEU: 25
; NumVGPRsForWavesPerEU: 44
; NamedBarCnt: 0
; Occupancy: 16
; WaveLimiterHint : 0
; COMPUTE_PGM_RSRC2:SCRATCH_EN: 0
; COMPUTE_PGM_RSRC2:USER_SGPR: 2
; COMPUTE_PGM_RSRC2:TRAP_HANDLER: 0
; COMPUTE_PGM_RSRC2:TGID_X_EN: 1
; COMPUTE_PGM_RSRC2:TGID_Y_EN: 0
; COMPUTE_PGM_RSRC2:TGID_Z_EN: 0
; COMPUTE_PGM_RSRC2:TIDIG_COMP_CNT: 0
	.section	.text._ZN2at6native12_GLOBAL__N_125multi_tensor_apply_kernelINS1_18TensorListMetadataILi1EEENS1_14UnaryOpFunctorIN3c107complexIdEELi1ELi1ELi0EEEJNS0_3ExpIS8_EEEEEvT_T0_DpT1_,"axG",@progbits,_ZN2at6native12_GLOBAL__N_125multi_tensor_apply_kernelINS1_18TensorListMetadataILi1EEENS1_14UnaryOpFunctorIN3c107complexIdEELi1ELi1ELi0EEEJNS0_3ExpIS8_EEEEEvT_T0_DpT1_,comdat
	.globl	_ZN2at6native12_GLOBAL__N_125multi_tensor_apply_kernelINS1_18TensorListMetadataILi1EEENS1_14UnaryOpFunctorIN3c107complexIdEELi1ELi1ELi0EEEJNS0_3ExpIS8_EEEEEvT_T0_DpT1_ ; -- Begin function _ZN2at6native12_GLOBAL__N_125multi_tensor_apply_kernelINS1_18TensorListMetadataILi1EEENS1_14UnaryOpFunctorIN3c107complexIdEELi1ELi1ELi0EEEJNS0_3ExpIS8_EEEEEvT_T0_DpT1_
	.p2align	8
	.type	_ZN2at6native12_GLOBAL__N_125multi_tensor_apply_kernelINS1_18TensorListMetadataILi1EEENS1_14UnaryOpFunctorIN3c107complexIdEELi1ELi1ELi0EEEJNS0_3ExpIS8_EEEEEvT_T0_DpT1_,@function
_ZN2at6native12_GLOBAL__N_125multi_tensor_apply_kernelINS1_18TensorListMetadataILi1EEENS1_14UnaryOpFunctorIN3c107complexIdEELi1ELi1ELi0EEEJNS0_3ExpIS8_EEEEEvT_T0_DpT1_: ; @_ZN2at6native12_GLOBAL__N_125multi_tensor_apply_kernelINS1_18TensorListMetadataILi1EEENS1_14UnaryOpFunctorIN3c107complexIdEELi1ELi1ELi0EEEJNS0_3ExpIS8_EEEEEvT_T0_DpT1_
; %bb.0:
	s_bfe_u32 s2, ttmp6, 0x4000c
	s_and_b32 s3, ttmp6, 15
	s_add_co_i32 s2, s2, 1
	s_getreg_b32 s4, hwreg(HW_REG_IB_STS2, 6, 4)
	s_mul_i32 s2, ttmp9, s2
	s_delay_alu instid0(SALU_CYCLE_1)
	s_add_co_i32 s3, s3, s2
	s_cmp_eq_u32 s4, 0
	s_cselect_b32 s2, ttmp9, s3
	s_mov_b32 s3, 0
	s_load_u8 s12, s[0:1], s2 offset:0x6e0
	s_add_nc_u64 s[4:5], s[0:1], s[2:3]
	s_mul_u64 s[6:7], s[2:3], 3
	s_delay_alu instid0(SALU_CYCLE_1)
	s_add_nc_u64 s[4:5], s[4:5], s[6:7]
	s_load_b32 s6, s[4:5], 0x820
	s_wait_kmcnt 0x0
	s_clause 0x1
	s_load_b64 s[10:11], s[0:1], s12 offset:0x0 scale_offset
	s_load_b64 s[8:9], s[0:1], s12 offset:0x370 scale_offset
	s_ashr_i32 s7, s6, 31
	s_wait_xcnt 0x0
	s_lshl_b64 s[12:13], s[6:7], 20
	s_wait_kmcnt 0x0
	s_and_b32 s2, s8, 3
	s_add_nc_u64 s[16:17], s[10:11], s[12:13]
	s_delay_alu instid0(SALU_CYCLE_1) | instskip(NEXT) | instid1(SALU_CYCLE_1)
	s_and_b64 s[4:5], s[16:17], 63
	s_or_b64 s[2:3], s[4:5], s[2:3]
	s_lshl_b64 s[4:5], s[6:7], 16
	s_cmp_eq_u64 s[2:3], 0
	s_sub_nc_u64 s[14:15], s[8:9], s[4:5]
	s_cbranch_scc1 .LBB137_197
; %bb.1:
	v_cmp_lt_i64_e64 s2, s[14:15], 1
	s_and_b32 vcc_lo, exec_lo, s2
	s_cbranch_vccnz .LBB137_196
; %bb.2:
	s_load_b32 s2, s[0:1], 0xd3c
	v_min_i64 v[22:23], 0x10000, s[14:15]
	v_min_u64 v[26:27], 0x10000, s[14:15]
	v_dual_mov_b32 v24, 0 :: v_dual_lshlrev_b32 v28, 4, v0
	s_mov_b32 s3, 0
	v_mov_b64_e32 v[30:31], 0x3e928af3fca7ab0c
	s_mov_b32 s5, s3
	s_delay_alu instid0(VALU_DEP_2)
	v_dual_mov_b32 v29, v24 :: v_dual_mov_b32 v1, v24
	s_mov_b32 s7, s3
	v_mov_b64_e32 v[32:33], 0x3e21eeb69037ab78
	v_mov_b64_e32 v[34:35], 0xbe5ae600b42fdfa7
	s_mov_b64 s[18:19], 0x3ff921fb54442d18
	s_mov_b64 s[20:21], 0x3fe45f306dc9c883
	;; [unrolled: 1-line block ×3, first 2 shown]
	s_mov_b32 s25, s3
	s_mov_b32 s27, s3
	s_mov_b64 s[28:29], 0
	s_mov_b32 s30, 0xfffff
	s_wait_kmcnt 0x0
	s_and_b32 s2, s2, 0xffff
                                        ; implicit-def: $vgpr2_vgpr3
                                        ; implicit-def: $vgpr2_vgpr3
	;; [unrolled: 1-line block ×15, first 2 shown]
	s_delay_alu instid0(SALU_CYCLE_1)
	v_mad_nc_u64_u32 v[36:37], s2, 48, v[28:29]
	s_lshl_b32 s4, s2, 1
	s_mul_i32 s6, s2, 3
	s_lshl_b32 s24, s2, 2
	s_lshl_b32 s26, s2, 6
	v_add_nc_u64_e32 v[38:39], s[2:3], v[0:1]
	s_lshl_b32 s2, s2, 5
	v_add_nc_u64_e32 v[44:45], s[6:7], v[0:1]
	v_add_nc_u64_e32 v[40:41], s[2:3], v[28:29]
	;; [unrolled: 1-line block ×3, first 2 shown]
	v_dual_mov_b32 v43, v24 :: v_dual_bitop2_b32 v36, 8, v36 bitop3:0x54
	s_delay_alu instid0(VALU_DEP_3)
	v_dual_lshlrev_b32 v42, 4, v38 :: v_dual_bitop2_b32 v40, 8, v40 bitop3:0x54
	s_branch .LBB137_4
.LBB137_3:                              ;   in Loop: Header=BB137_4 Depth=1
	s_wait_xcnt 0x0
	s_or_b32 exec_lo, exec_lo, s2
	s_add_nc_u64 s[28:29], s[28:29], s[24:25]
	s_add_nc_u64 s[16:17], s[16:17], s[26:27]
	v_cmp_ge_i64_e32 vcc_lo, s[28:29], v[22:23]
	s_cbranch_vccnz .LBB137_196
.LBB137_4:                              ; =>This Inner Loop Header: Depth=1
	v_add_nc_u64_e32 v[2:3], s[28:29], v[0:1]
	v_mov_b64_e32 v[20:21], 0
	v_add_nc_u64_e32 v[48:49], s[16:17], v[28:29]
	v_mov_b64_e32 v[16:17], 0
	v_mov_b64_e32 v[14:15], 0
	v_cmp_lt_u64_e32 vcc_lo, v[2:3], v[26:27]
	s_and_saveexec_b32 s2, vcc_lo
	s_cbranch_execz .LBB137_6
; %bb.5:                                ;   in Loop: Header=BB137_4 Depth=1
	global_load_b128 v[14:17], v[48:49], off
.LBB137_6:                              ;   in Loop: Header=BB137_4 Depth=1
	s_wait_xcnt 0x0
	s_or_b32 exec_lo, exec_lo, s2
	v_add_nc_u64_e32 v[2:3], s[28:29], v[38:39]
	v_add_nc_u64_e32 v[50:51], s[16:17], v[42:43]
	v_mov_b64_e32 v[18:19], 0
	s_delay_alu instid0(VALU_DEP_3)
	v_cmp_lt_u64_e64 s2, v[2:3], v[26:27]
	s_and_saveexec_b32 s3, s2
	s_cbranch_execz .LBB137_8
; %bb.7:                                ;   in Loop: Header=BB137_4 Depth=1
	global_load_b128 v[18:21], v[50:51], off
.LBB137_8:                              ;   in Loop: Header=BB137_4 Depth=1
	s_wait_xcnt 0x0
	s_or_b32 exec_lo, exec_lo, s3
	v_add_nc_u64_e32 v[2:3], s[28:29], v[46:47]
	v_mov_b64_e32 v[4:5], 0
	v_add_nc_u64_e32 v[52:53], s[16:17], v[40:41]
	v_mov_b64_e32 v[12:13], 0
	v_mov_b64_e32 v[10:11], 0
	v_cmp_lt_u64_e64 s3, v[2:3], v[26:27]
	s_and_saveexec_b32 s4, s3
	s_cbranch_execz .LBB137_10
; %bb.9:                                ;   in Loop: Header=BB137_4 Depth=1
	global_load_b128 v[10:13], v[52:53], off offset:-8
.LBB137_10:                             ;   in Loop: Header=BB137_4 Depth=1
	s_wait_xcnt 0x0
	s_or_b32 exec_lo, exec_lo, s4
	v_add_nc_u64_e32 v[2:3], s[28:29], v[44:45]
	v_add_nc_u64_e32 v[54:55], s[16:17], v[36:37]
	s_delay_alu instid0(VALU_DEP_2)
	v_cmp_lt_u64_e64 s4, v[2:3], v[26:27]
	v_mov_b64_e32 v[2:3], 0
	s_and_saveexec_b32 s5, s4
	s_cbranch_execz .LBB137_12
; %bb.11:                               ;   in Loop: Header=BB137_4 Depth=1
	global_load_b128 v[2:5], v[54:55], off offset:-8
.LBB137_12:                             ;   in Loop: Header=BB137_4 Depth=1
	s_wait_xcnt 0x0
	s_or_b32 exec_lo, exec_lo, s5
	s_wait_loadcnt 0x0
	v_and_b32_e32 v68, 0x7fffffff, v17
	s_delay_alu instid0(VALU_DEP_1) | instskip(NEXT) | instid1(VALU_DEP_1)
	v_or_b32_e32 v6, v68, v16
	v_cmp_ne_u32_e64 s5, 0, v6
                                        ; implicit-def: $vgpr8_vgpr9
	s_and_saveexec_b32 s6, s5
	s_delay_alu instid0(SALU_CYCLE_1)
	s_xor_b32 s31, exec_lo, s6
	s_cbranch_execz .LBB137_54
; %bb.13:                               ;   in Loop: Header=BB137_4 Depth=1
	v_and_b32_e32 v25, 0x7fffffff, v15
	s_delay_alu instid0(VALU_DEP_1) | instskip(NEXT) | instid1(VALU_DEP_1)
	v_or_b32_e32 v6, v25, v14
	v_cmp_ne_u32_e64 s5, 0, v6
                                        ; implicit-def: $vgpr8_vgpr9
	s_and_saveexec_b32 s6, s5
	s_delay_alu instid0(SALU_CYCLE_1)
	s_xor_b32 s33, exec_lo, s6
	s_cbranch_execz .LBB137_43
; %bb.14:                               ;   in Loop: Header=BB137_4 Depth=1
                                        ; implicit-def: $vgpr8_vgpr9
	s_mov_b32 s6, exec_lo
	v_cmpx_gt_u32_e32 0x7ff00000, v68
	s_xor_b32 s34, exec_lo, s6
	s_cbranch_execz .LBB137_36
; %bb.15:                               ;   in Loop: Header=BB137_4 Depth=1
	v_add_nc_u32_e32 v6, 0xbf79d1be, v15
	s_delay_alu instid0(VALU_DEP_1) | instskip(SKIP_1) | instid1(SALU_CYCLE_1)
	v_cmp_lt_u32_e64 s5, 0x108aa2, v6
                                        ; implicit-def: $vgpr8_vgpr9
	s_and_saveexec_b32 s6, s5
	s_xor_b32 s35, exec_lo, s6
	s_cbranch_execz .LBB137_25
; %bb.16:                               ;   in Loop: Header=BB137_4 Depth=1
	v_cmp_ngt_f64_e64 s6, 0x41d00000, |v[16:17]|
                                        ; implicit-def: $vgpr60
                                        ; implicit-def: $vgpr6_vgpr7
                                        ; implicit-def: $vgpr8_vgpr9
	s_and_saveexec_b32 s5, s6
	s_delay_alu instid0(SALU_CYCLE_1)
	s_xor_b32 s7, exec_lo, s5
	s_cbranch_execz .LBB137_18
; %bb.17:                               ;   in Loop: Header=BB137_4 Depth=1
	v_ldexp_f64 v[6:7], |v[16:17]|, 0xffffff80
	v_cmp_le_f64_e64 s5, 0x7b000000, |v[16:17]|
	v_trig_preop_f64 v[8:9], |v[16:17]|, 0
	v_trig_preop_f64 v[56:57], |v[16:17]|, 1
	v_trig_preop_f64 v[66:67], |v[16:17]|, 2
	s_delay_alu instid0(VALU_DEP_4) | instskip(SKIP_1) | instid1(VALU_DEP_1)
	v_cndmask_b32_e64 v7, v68, v7, s5
	v_cndmask_b32_e64 v6, v16, v6, s5
	v_mul_f64_e32 v[58:59], v[8:9], v[6:7]
	v_mul_f64_e32 v[60:61], v[56:57], v[6:7]
	s_delay_alu instid0(VALU_DEP_2) | instskip(NEXT) | instid1(VALU_DEP_1)
	v_fma_f64 v[8:9], v[8:9], v[6:7], -v[58:59]
	v_add_f64_e32 v[62:63], v[60:61], v[8:9]
	s_delay_alu instid0(VALU_DEP_1) | instskip(SKIP_1) | instid1(VALU_DEP_2)
	v_add_f64_e64 v[64:65], v[62:63], -v[60:61]
	v_add_f64_e32 v[72:73], v[58:59], v[62:63]
	v_add_f64_e64 v[70:71], v[62:63], -v[64:65]
	v_fma_f64 v[56:57], v[56:57], v[6:7], -v[60:61]
	v_add_f64_e64 v[8:9], v[8:9], -v[64:65]
	s_delay_alu instid0(VALU_DEP_4) | instskip(SKIP_2) | instid1(VALU_DEP_3)
	v_ldexp_f64 v[64:65], v[72:73], -2
	v_mul_f64_e32 v[74:75], v[66:67], v[6:7]
	v_add_f64_e64 v[60:61], v[60:61], -v[70:71]
	v_cmp_neq_f64_e64 s5, 0x7ff00000, |v[64:65]|
	s_delay_alu instid0(VALU_DEP_3) | instskip(SKIP_1) | instid1(VALU_DEP_4)
	v_add_f64_e32 v[70:71], v[74:75], v[56:57]
	v_fma_f64 v[6:7], v[66:67], v[6:7], -v[74:75]
	v_add_f64_e32 v[8:9], v[8:9], v[60:61]
	v_fract_f64_e32 v[60:61], v[64:65]
	s_delay_alu instid0(VALU_DEP_1) | instskip(NEXT) | instid1(VALU_DEP_1)
	v_ldexp_f64 v[60:61], v[60:61], 2
	v_dual_add_f64 v[58:59], v[72:73], -v[58:59] :: v_dual_cndmask_b32 v61, 0, v61, s5
	s_delay_alu instid0(VALU_DEP_1) | instskip(SKIP_1) | instid1(VALU_DEP_1)
	v_dual_add_f64 v[58:59], v[62:63], -v[58:59] :: v_dual_cndmask_b32 v60, 0, v60, s5
	v_add_f64_e32 v[62:63], v[70:71], v[8:9]
	v_add_f64_e32 v[64:65], v[58:59], v[62:63]
	v_add_f64_e64 v[76:77], v[62:63], -v[70:71]
	s_delay_alu instid0(VALU_DEP_2) | instskip(NEXT) | instid1(VALU_DEP_2)
	v_add_f64_e32 v[72:73], v[64:65], v[60:61]
	v_add_f64_e64 v[82:83], v[62:63], -v[76:77]
	v_add_f64_e64 v[8:9], v[8:9], -v[76:77]
	v_add_f64_e64 v[58:59], v[64:65], -v[58:59]
	s_delay_alu instid0(VALU_DEP_4) | instskip(SKIP_1) | instid1(VALU_DEP_3)
	v_cmp_gt_f64_e64 s5, 0, v[72:73]
	v_add_f64_e64 v[72:73], v[70:71], -v[74:75]
	v_add_f64_e64 v[58:59], v[62:63], -v[58:59]
	s_delay_alu instid0(VALU_DEP_3) | instskip(NEXT) | instid1(VALU_DEP_3)
	v_cndmask_b32_e64 v25, 0, 0x40100000, s5
	v_add_f64_e64 v[80:81], v[70:71], -v[72:73]
	v_add_f64_e64 v[56:57], v[56:57], -v[72:73]
	;; [unrolled: 1-line block ×3, first 2 shown]
	s_delay_alu instid0(VALU_DEP_4) | instskip(NEXT) | instid1(VALU_DEP_4)
	v_add_f64_e32 v[60:61], v[60:61], v[24:25]
	v_add_f64_e64 v[72:73], v[74:75], -v[80:81]
	s_delay_alu instid0(VALU_DEP_3) | instskip(NEXT) | instid1(VALU_DEP_3)
	v_add_f64_e32 v[8:9], v[8:9], v[70:71]
	v_add_f64_e32 v[78:79], v[64:65], v[60:61]
	s_delay_alu instid0(VALU_DEP_3) | instskip(NEXT) | instid1(VALU_DEP_2)
	v_add_f64_e32 v[56:57], v[56:57], v[72:73]
	v_cvt_i32_f64_e32 v25, v[78:79]
	s_delay_alu instid0(VALU_DEP_2) | instskip(NEXT) | instid1(VALU_DEP_2)
	v_add_f64_e32 v[8:9], v[56:57], v[8:9]
	v_cvt_f64_i32_e32 v[76:77], v25
	s_delay_alu instid0(VALU_DEP_2) | instskip(NEXT) | instid1(VALU_DEP_2)
	v_add_f64_e32 v[6:7], v[6:7], v[8:9]
	v_add_f64_e64 v[60:61], v[60:61], -v[76:77]
	s_delay_alu instid0(VALU_DEP_2) | instskip(NEXT) | instid1(VALU_DEP_2)
	v_add_f64_e32 v[6:7], v[58:59], v[6:7]
	v_add_f64_e32 v[56:57], v[64:65], v[60:61]
	s_delay_alu instid0(VALU_DEP_1) | instskip(SKIP_1) | instid1(VALU_DEP_2)
	v_add_f64_e64 v[8:9], v[56:57], -v[60:61]
	v_cmp_le_f64_e64 s5, 0.5, v[56:57]
	v_add_f64_e64 v[8:9], v[64:65], -v[8:9]
	s_delay_alu instid0(VALU_DEP_2) | instskip(SKIP_1) | instid1(VALU_DEP_3)
	v_add_co_ci_u32_e64 v60, null, 0, v25, s5
	v_cndmask_b32_e64 v25, 0, 0x3ff00000, s5
	v_add_f64_e32 v[6:7], v[6:7], v[8:9]
	s_delay_alu instid0(VALU_DEP_2) | instskip(NEXT) | instid1(VALU_DEP_1)
	v_add_f64_e64 v[8:9], v[56:57], -v[24:25]
	v_add_f64_e32 v[56:57], v[8:9], v[6:7]
	s_delay_alu instid0(VALU_DEP_1) | instskip(SKIP_1) | instid1(VALU_DEP_2)
	v_mul_f64_e32 v[58:59], 0x3ff921fb54442d18, v[56:57]
	v_add_f64_e64 v[8:9], v[56:57], -v[8:9]
	v_fma_f64 v[62:63], v[56:57], s[18:19], -v[58:59]
	s_delay_alu instid0(VALU_DEP_2) | instskip(NEXT) | instid1(VALU_DEP_2)
	v_add_f64_e64 v[6:7], v[6:7], -v[8:9]
	v_fmac_f64_e32 v[62:63], 0x3c91a62633145c07, v[56:57]
	s_delay_alu instid0(VALU_DEP_1) | instskip(NEXT) | instid1(VALU_DEP_1)
	v_fmac_f64_e32 v[62:63], 0x3ff921fb54442d18, v[6:7]
	v_add_f64_e32 v[6:7], v[58:59], v[62:63]
	s_delay_alu instid0(VALU_DEP_1) | instskip(NEXT) | instid1(VALU_DEP_1)
	v_add_f64_e64 v[8:9], v[6:7], -v[58:59]
	v_add_f64_e64 v[8:9], v[62:63], -v[8:9]
	s_and_not1_saveexec_b32 s5, s7
	s_cbranch_execz .LBB137_20
	s_branch .LBB137_19
.LBB137_18:                             ;   in Loop: Header=BB137_4 Depth=1
	s_and_not1_saveexec_b32 s5, s7
	s_cbranch_execz .LBB137_20
.LBB137_19:                             ;   in Loop: Header=BB137_4 Depth=1
	v_mul_f64_e64 v[6:7], |v[16:17]|, s[20:21]
	s_delay_alu instid0(VALU_DEP_1) | instskip(NEXT) | instid1(VALU_DEP_1)
	v_rndne_f64_e32 v[56:57], v[6:7]
	v_fma_f64 v[6:7], v[56:57], s[22:23], |v[16:17]|
	v_mul_f64_e32 v[8:9], 0xbc91a62633145c00, v[56:57]
	s_delay_alu instid0(VALU_DEP_2) | instskip(NEXT) | instid1(VALU_DEP_2)
	v_fmamk_f64 v[62:63], v[56:57], 0xbc91a62633145c00, v[6:7]
	v_add_f64_e32 v[58:59], v[6:7], v[8:9]
	s_delay_alu instid0(VALU_DEP_1) | instskip(NEXT) | instid1(VALU_DEP_3)
	v_add_f64_e64 v[60:61], v[6:7], -v[58:59]
	v_add_f64_e64 v[6:7], v[58:59], -v[62:63]
	s_delay_alu instid0(VALU_DEP_2) | instskip(SKIP_2) | instid1(VALU_DEP_3)
	v_add_f64_e32 v[58:59], v[60:61], v[8:9]
	v_fmamk_f64 v[8:9], v[56:57], 0x3c91a62633145c00, v[8:9]
	v_cvt_i32_f64_e32 v60, v[56:57]
	v_add_f64_e32 v[6:7], v[6:7], v[58:59]
	s_delay_alu instid0(VALU_DEP_1) | instskip(NEXT) | instid1(VALU_DEP_1)
	v_add_f64_e64 v[8:9], v[6:7], -v[8:9]
	v_fmac_f64_e32 v[8:9], 0xb97b839a252049c0, v[56:57]
	s_delay_alu instid0(VALU_DEP_1) | instskip(NEXT) | instid1(VALU_DEP_1)
	v_add_f64_e32 v[6:7], v[62:63], v[8:9]
	v_add_f64_e64 v[58:59], v[6:7], -v[62:63]
	s_delay_alu instid0(VALU_DEP_1)
	v_add_f64_e64 v[8:9], v[8:9], -v[58:59]
.LBB137_20:                             ;   in Loop: Header=BB137_4 Depth=1
	s_or_b32 exec_lo, exec_lo, s5
                                        ; implicit-def: $vgpr61
                                        ; implicit-def: $vgpr56_vgpr57
                                        ; implicit-def: $vgpr58_vgpr59
	s_and_saveexec_b32 s5, s6
	s_delay_alu instid0(SALU_CYCLE_1)
	s_xor_b32 s6, exec_lo, s5
	s_cbranch_execz .LBB137_22
; %bb.21:                               ;   in Loop: Header=BB137_4 Depth=1
	v_ldexp_f64 v[56:57], |v[16:17]|, 0xffffff80
	v_cmp_le_f64_e64 s5, 0x7b000000, |v[16:17]|
	v_trig_preop_f64 v[58:59], |v[16:17]|, 0
	v_trig_preop_f64 v[62:63], |v[16:17]|, 1
	;; [unrolled: 1-line block ×3, first 2 shown]
	s_delay_alu instid0(VALU_DEP_4) | instskip(SKIP_1) | instid1(VALU_DEP_1)
	v_cndmask_b32_e64 v57, v68, v57, s5
	v_cndmask_b32_e64 v56, v16, v56, s5
	v_mul_f64_e32 v[64:65], v[58:59], v[56:57]
	v_mul_f64_e32 v[66:67], v[62:63], v[56:57]
	s_delay_alu instid0(VALU_DEP_2) | instskip(NEXT) | instid1(VALU_DEP_1)
	v_fma_f64 v[58:59], v[58:59], v[56:57], -v[64:65]
	v_add_f64_e32 v[68:69], v[66:67], v[58:59]
	s_delay_alu instid0(VALU_DEP_1) | instskip(SKIP_1) | instid1(VALU_DEP_2)
	v_add_f64_e64 v[70:71], v[68:69], -v[66:67]
	v_add_f64_e32 v[76:77], v[64:65], v[68:69]
	v_add_f64_e64 v[74:75], v[68:69], -v[70:71]
	v_add_f64_e64 v[58:59], v[58:59], -v[70:71]
	v_fma_f64 v[62:63], v[62:63], v[56:57], -v[66:67]
	s_delay_alu instid0(VALU_DEP_4) | instskip(SKIP_2) | instid1(VALU_DEP_3)
	v_ldexp_f64 v[70:71], v[76:77], -2
	v_mul_f64_e32 v[78:79], v[72:73], v[56:57]
	v_add_f64_e64 v[66:67], v[66:67], -v[74:75]
	v_cmp_neq_f64_e64 s5, 0x7ff00000, |v[70:71]|
	s_delay_alu instid0(VALU_DEP_3) | instskip(SKIP_1) | instid1(VALU_DEP_4)
	v_add_f64_e32 v[74:75], v[78:79], v[62:63]
	v_fma_f64 v[56:57], v[72:73], v[56:57], -v[78:79]
	v_add_f64_e32 v[58:59], v[58:59], v[66:67]
	v_fract_f64_e32 v[66:67], v[70:71]
	s_delay_alu instid0(VALU_DEP_1) | instskip(NEXT) | instid1(VALU_DEP_1)
	v_ldexp_f64 v[66:67], v[66:67], 2
	v_dual_add_f64 v[64:65], v[76:77], -v[64:65] :: v_dual_cndmask_b32 v67, 0, v67, s5
	s_delay_alu instid0(VALU_DEP_1) | instskip(SKIP_1) | instid1(VALU_DEP_1)
	v_dual_add_f64 v[64:65], v[68:69], -v[64:65] :: v_dual_cndmask_b32 v66, 0, v66, s5
	v_add_f64_e32 v[68:69], v[74:75], v[58:59]
	v_add_f64_e32 v[70:71], v[64:65], v[68:69]
	v_add_f64_e64 v[80:81], v[68:69], -v[74:75]
	s_delay_alu instid0(VALU_DEP_2) | instskip(NEXT) | instid1(VALU_DEP_2)
	v_add_f64_e32 v[76:77], v[70:71], v[66:67]
	v_add_f64_e64 v[86:87], v[68:69], -v[80:81]
	v_add_f64_e64 v[58:59], v[58:59], -v[80:81]
	;; [unrolled: 1-line block ×3, first 2 shown]
	s_delay_alu instid0(VALU_DEP_4) | instskip(SKIP_1) | instid1(VALU_DEP_3)
	v_cmp_gt_f64_e64 s5, 0, v[76:77]
	v_add_f64_e64 v[76:77], v[74:75], -v[78:79]
	v_add_f64_e64 v[64:65], v[68:69], -v[64:65]
	s_delay_alu instid0(VALU_DEP_3) | instskip(NEXT) | instid1(VALU_DEP_3)
	v_cndmask_b32_e64 v25, 0, 0x40100000, s5
	v_add_f64_e64 v[84:85], v[74:75], -v[76:77]
	v_add_f64_e64 v[62:63], v[62:63], -v[76:77]
	;; [unrolled: 1-line block ×3, first 2 shown]
	s_delay_alu instid0(VALU_DEP_4) | instskip(NEXT) | instid1(VALU_DEP_4)
	v_add_f64_e32 v[66:67], v[66:67], v[24:25]
	v_add_f64_e64 v[76:77], v[78:79], -v[84:85]
	s_delay_alu instid0(VALU_DEP_3) | instskip(NEXT) | instid1(VALU_DEP_3)
	v_add_f64_e32 v[58:59], v[58:59], v[74:75]
	v_add_f64_e32 v[82:83], v[70:71], v[66:67]
	s_delay_alu instid0(VALU_DEP_3) | instskip(NEXT) | instid1(VALU_DEP_2)
	v_add_f64_e32 v[62:63], v[62:63], v[76:77]
	v_cvt_i32_f64_e32 v25, v[82:83]
	s_delay_alu instid0(VALU_DEP_2) | instskip(NEXT) | instid1(VALU_DEP_2)
	v_add_f64_e32 v[58:59], v[62:63], v[58:59]
	v_cvt_f64_i32_e32 v[80:81], v25
	s_delay_alu instid0(VALU_DEP_2) | instskip(NEXT) | instid1(VALU_DEP_2)
	v_add_f64_e32 v[56:57], v[56:57], v[58:59]
	v_add_f64_e64 v[66:67], v[66:67], -v[80:81]
	s_delay_alu instid0(VALU_DEP_2) | instskip(NEXT) | instid1(VALU_DEP_2)
	v_add_f64_e32 v[56:57], v[64:65], v[56:57]
	v_add_f64_e32 v[62:63], v[70:71], v[66:67]
	s_delay_alu instid0(VALU_DEP_1) | instskip(SKIP_1) | instid1(VALU_DEP_2)
	v_add_f64_e64 v[58:59], v[62:63], -v[66:67]
	v_cmp_le_f64_e64 s5, 0.5, v[62:63]
	v_add_f64_e64 v[58:59], v[70:71], -v[58:59]
	s_delay_alu instid0(VALU_DEP_2) | instskip(SKIP_1) | instid1(VALU_DEP_3)
	v_add_co_ci_u32_e64 v61, null, 0, v25, s5
	v_cndmask_b32_e64 v25, 0, 0x3ff00000, s5
	v_add_f64_e32 v[56:57], v[56:57], v[58:59]
	s_delay_alu instid0(VALU_DEP_2) | instskip(NEXT) | instid1(VALU_DEP_1)
	v_add_f64_e64 v[58:59], v[62:63], -v[24:25]
	v_add_f64_e32 v[62:63], v[58:59], v[56:57]
	s_delay_alu instid0(VALU_DEP_1) | instskip(SKIP_1) | instid1(VALU_DEP_2)
	v_mul_f64_e32 v[64:65], 0x3ff921fb54442d18, v[62:63]
	v_add_f64_e64 v[58:59], v[62:63], -v[58:59]
	v_fma_f64 v[66:67], v[62:63], s[18:19], -v[64:65]
	s_delay_alu instid0(VALU_DEP_2) | instskip(NEXT) | instid1(VALU_DEP_2)
	v_add_f64_e64 v[56:57], v[56:57], -v[58:59]
	v_fmac_f64_e32 v[66:67], 0x3c91a62633145c07, v[62:63]
	s_delay_alu instid0(VALU_DEP_1) | instskip(NEXT) | instid1(VALU_DEP_1)
	v_fmac_f64_e32 v[66:67], 0x3ff921fb54442d18, v[56:57]
	v_add_f64_e32 v[56:57], v[64:65], v[66:67]
	s_delay_alu instid0(VALU_DEP_1) | instskip(NEXT) | instid1(VALU_DEP_1)
	v_add_f64_e64 v[58:59], v[56:57], -v[64:65]
	v_add_f64_e64 v[58:59], v[66:67], -v[58:59]
	s_and_not1_saveexec_b32 s5, s6
	s_cbranch_execnz .LBB137_23
	s_branch .LBB137_24
.LBB137_22:                             ;   in Loop: Header=BB137_4 Depth=1
	s_and_not1_saveexec_b32 s5, s6
	s_cbranch_execz .LBB137_24
.LBB137_23:                             ;   in Loop: Header=BB137_4 Depth=1
	v_mul_f64_e64 v[56:57], |v[16:17]|, s[20:21]
	s_delay_alu instid0(VALU_DEP_1) | instskip(NEXT) | instid1(VALU_DEP_1)
	v_rndne_f64_e32 v[62:63], v[56:57]
	v_fma_f64 v[56:57], v[62:63], s[22:23], |v[16:17]|
	v_mul_f64_e32 v[58:59], 0xbc91a62633145c00, v[62:63]
	v_cvt_i32_f64_e32 v61, v[62:63]
	s_delay_alu instid0(VALU_DEP_3) | instskip(NEXT) | instid1(VALU_DEP_3)
	v_fmamk_f64 v[68:69], v[62:63], 0xbc91a62633145c00, v[56:57]
	v_add_f64_e32 v[64:65], v[56:57], v[58:59]
	s_delay_alu instid0(VALU_DEP_1) | instskip(NEXT) | instid1(VALU_DEP_3)
	v_add_f64_e64 v[66:67], v[56:57], -v[64:65]
	v_add_f64_e64 v[56:57], v[64:65], -v[68:69]
	s_delay_alu instid0(VALU_DEP_2) | instskip(SKIP_1) | instid1(VALU_DEP_2)
	v_add_f64_e32 v[64:65], v[66:67], v[58:59]
	v_fmamk_f64 v[58:59], v[62:63], 0x3c91a62633145c00, v[58:59]
	v_add_f64_e32 v[56:57], v[56:57], v[64:65]
	s_delay_alu instid0(VALU_DEP_1) | instskip(NEXT) | instid1(VALU_DEP_1)
	v_add_f64_e64 v[58:59], v[56:57], -v[58:59]
	v_fmac_f64_e32 v[58:59], 0xb97b839a252049c0, v[62:63]
	s_delay_alu instid0(VALU_DEP_1) | instskip(NEXT) | instid1(VALU_DEP_1)
	v_add_f64_e32 v[56:57], v[68:69], v[58:59]
	v_add_f64_e64 v[64:65], v[56:57], -v[68:69]
	s_delay_alu instid0(VALU_DEP_1)
	v_add_f64_e64 v[58:59], v[58:59], -v[64:65]
.LBB137_24:                             ;   in Loop: Header=BB137_4 Depth=1
	s_or_b32 exec_lo, exec_lo, s5
	v_mul_f64_e32 v[62:63], 0x3ff71547652b82fe, v[14:15]
	v_mul_f64_e32 v[64:65], v[6:7], v[6:7]
	v_cmp_class_f64_e64 s6, v[16:17], 0x1f8
	v_mul_f64_e32 v[66:67], v[56:57], v[56:57]
	v_cmp_nlt_f64_e64 s7, 0x40900000, v[14:15]
	v_cmp_ngt_f64_e64 s8, 0xc090cc00, v[14:15]
	v_rndne_f64_e32 v[62:63], v[62:63]
	v_mul_f64_e32 v[68:69], 0.5, v[64:65]
	v_mul_f64_e64 v[90:91], v[56:57], -v[66:67]
	v_fmamk_f64 v[94:95], v[66:67], 0x3de5e0b2f9a43bb8, v[34:35]
	s_delay_alu instid0(VALU_DEP_4) | instskip(NEXT) | instid1(VALU_DEP_4)
	v_fmamk_f64 v[72:73], v[62:63], 0xbfe62e42fefa39ef, v[14:15]
	v_add_f64_e64 v[74:75], -v[68:69], 1.0
	v_cvt_i32_f64_e32 v25, v[62:63]
	v_dual_lshlrev_b32 v15, 30, v61 :: v_dual_bitop2_b32 v14, 1, v61 bitop3:0x40
	s_delay_alu instid0(VALU_DEP_4) | instskip(NEXT) | instid1(VALU_DEP_2)
	v_fmac_f64_e32 v[72:73], 0xbc7abc9e3b39803f, v[62:63]
	v_cmp_eq_u32_e64 s9, 0, v14
	v_lshlrev_b32_e32 v14, 30, v60
	v_add_f64_e64 v[82:83], -v[74:75], 1.0
	s_delay_alu instid0(VALU_DEP_4) | instskip(NEXT) | instid1(VALU_DEP_1)
	v_fmamk_f64 v[86:87], v[72:73], 0x3e5ade156a5dcb37, v[30:31]
	v_fmaak_f64 v[86:87], v[72:73], v[86:87], 0x3ec71dee623fde64
	s_delay_alu instid0(VALU_DEP_1) | instskip(NEXT) | instid1(VALU_DEP_1)
	v_fmaak_f64 v[86:87], v[72:73], v[86:87], 0x3efa01997c89e6b0
	v_fmaak_f64 v[86:87], v[72:73], v[86:87], 0x3f2a01a014761f6e
	v_add_f64_e64 v[68:69], v[82:83], -v[68:69]
	s_delay_alu instid0(VALU_DEP_2) | instskip(NEXT) | instid1(VALU_DEP_1)
	v_fmaak_f64 v[82:83], v[72:73], v[86:87], 0x3f56c16c1852b7b0
	v_fmaak_f64 v[82:83], v[72:73], v[82:83], 0x3f81111111122322
	s_delay_alu instid0(VALU_DEP_1) | instskip(NEXT) | instid1(VALU_DEP_1)
	v_fmaak_f64 v[82:83], v[72:73], v[82:83], 0x3fa55555555502a1
	v_fmaak_f64 v[82:83], v[72:73], v[82:83], 0x3fc5555555555511
	s_delay_alu instid0(VALU_DEP_1) | instskip(NEXT) | instid1(VALU_DEP_1)
	v_fmaak_f64 v[82:83], v[72:73], v[82:83], 0x3fe000000000000b
	v_fma_f64 v[82:83], v[72:73], v[82:83], 1.0
	s_delay_alu instid0(VALU_DEP_1) | instskip(NEXT) | instid1(VALU_DEP_1)
	v_fma_f64 v[62:63], v[72:73], v[82:83], 1.0
	v_ldexp_f64 v[62:63], v[62:63], v25
	v_mul_f64_e32 v[78:79], 0.5, v[8:9]
	v_and_b32_e32 v25, 1, v60
	v_mul_f64_e64 v[80:81], v[6:7], -v[64:65]
	v_fmamk_f64 v[84:85], v[64:65], 0x3de5e0b2f9a43bb8, v[34:35]
	v_mul_f64_e32 v[86:87], v[64:65], v[64:65]
	s_delay_alu instid0(VALU_DEP_4) | instskip(NEXT) | instid1(VALU_DEP_3)
	v_cmp_eq_u32_e64 s5, 0, v25
	v_fmaak_f64 v[84:85], v[64:65], v[84:85], 0x3ec71de3796cde01
	s_delay_alu instid0(VALU_DEP_1) | instskip(NEXT) | instid1(VALU_DEP_1)
	v_fmaak_f64 v[84:85], v[64:65], v[84:85], 0xbf2a01a019e83e5c
	v_fmaak_f64 v[84:85], v[64:65], v[84:85], 0x3f81111111110bb3
	s_delay_alu instid0(VALU_DEP_1) | instskip(SKIP_1) | instid1(VALU_DEP_1)
	v_fmac_f64_e32 v[78:79], v[80:81], v[84:85]
	v_fmaak_f64 v[84:85], v[66:67], v[94:95], 0x3ec71de3796cde01
	v_fmaak_f64 v[84:85], v[66:67], v[84:85], 0xbf2a01a019e83e5c
	s_delay_alu instid0(VALU_DEP_1) | instskip(NEXT) | instid1(VALU_DEP_4)
	v_fmaak_f64 v[84:85], v[66:67], v[84:85], 0x3f81111111110bb3
	v_fma_f64 v[78:79], v[64:65], v[78:79], -v[8:9]
	v_fma_f64 v[8:9], v[6:7], -v[8:9], v[68:69]
	s_delay_alu instid0(VALU_DEP_2) | instskip(NEXT) | instid1(VALU_DEP_1)
	v_fmac_f64_e32 v[78:79], 0xbfc5555555555555, v[80:81]
	v_add_f64_e64 v[6:7], v[6:7], -v[78:79]
	v_mul_f64_e32 v[88:89], 0.5, v[58:59]
	s_delay_alu instid0(VALU_DEP_2) | instskip(NEXT) | instid1(VALU_DEP_2)
	v_xor_b32_e32 v7, 0x80000000, v7
	v_fmac_f64_e32 v[88:89], v[90:91], v[84:85]
	v_fmamk_f64 v[84:85], v[64:65], 0xbda907db46cc5e42, v[32:33]
	s_delay_alu instid0(VALU_DEP_1) | instskip(NEXT) | instid1(VALU_DEP_1)
	v_fmaak_f64 v[68:69], v[64:65], v[84:85], 0xbe927e4fa17f65f6
	v_fmaak_f64 v[68:69], v[64:65], v[68:69], 0x3efa01a019f4ec90
	s_delay_alu instid0(VALU_DEP_1) | instskip(NEXT) | instid1(VALU_DEP_1)
	v_fmaak_f64 v[68:69], v[64:65], v[68:69], 0xbf56c16c16c16967
	v_fmaak_f64 v[64:65], v[64:65], v[68:69], 0x3fa5555555555555
	s_delay_alu instid0(VALU_DEP_1) | instskip(NEXT) | instid1(VALU_DEP_1)
	v_fmac_f64_e32 v[8:9], v[86:87], v[64:65]
	v_add_f64_e32 v[8:9], v[74:75], v[8:9]
	s_delay_alu instid0(VALU_DEP_1) | instskip(SKIP_1) | instid1(VALU_DEP_3)
	v_cndmask_b32_e64 v6, v6, v8, s5
	v_cndmask_b32_e64 v8, 0x7ff00000, v63, s7
	;; [unrolled: 1-line block ×3, first 2 shown]
	s_and_b32 s5, s8, s7
	s_delay_alu instid0(VALU_DEP_3) | instskip(SKIP_4) | instid1(VALU_DEP_1)
	v_dual_cndmask_b32 v6, 0, v6, s6 :: v_dual_bitop2_b32 v9, v15, v17 bitop3:0x14
	v_mul_f64_e32 v[70:71], 0.5, v[66:67]
	v_mul_f64_e32 v[84:85], v[66:67], v[66:67]
	v_fma_f64 v[68:69], v[66:67], v[88:89], -v[58:59]
	v_bitop3_b32 v7, v7, v14, 0x80000000 bitop3:0x78
	v_cndmask_b32_e64 v7, 0x7ff80000, v7, s6
	v_add_f64_e64 v[76:77], -v[70:71], 1.0
	s_delay_alu instid0(VALU_DEP_4) | instskip(NEXT) | instid1(VALU_DEP_2)
	v_fmac_f64_e32 v[68:69], 0xbfc5555555555555, v[90:91]
	v_add_f64_e64 v[92:93], -v[76:77], 1.0
	s_delay_alu instid0(VALU_DEP_1) | instskip(SKIP_1) | instid1(VALU_DEP_2)
	v_add_f64_e64 v[70:71], v[92:93], -v[70:71]
	v_fmamk_f64 v[92:93], v[66:67], 0xbda907db46cc5e42, v[32:33]
	v_fma_f64 v[58:59], v[56:57], -v[58:59], v[70:71]
	s_delay_alu instid0(VALU_DEP_2) | instskip(SKIP_1) | instid1(VALU_DEP_2)
	v_fmaak_f64 v[70:71], v[66:67], v[92:93], 0xbe927e4fa17f65f6
	v_add_f64_e64 v[56:57], v[56:57], -v[68:69]
                                        ; implicit-def: $vgpr68
	v_fmaak_f64 v[64:65], v[66:67], v[70:71], 0x3efa01a019f4ec90
	s_delay_alu instid0(VALU_DEP_1) | instskip(NEXT) | instid1(VALU_DEP_1)
	v_fmaak_f64 v[64:65], v[66:67], v[64:65], 0xbf56c16c16c16967
	v_fmaak_f64 v[64:65], v[66:67], v[64:65], 0x3fa5555555555555
	s_delay_alu instid0(VALU_DEP_1) | instskip(NEXT) | instid1(VALU_DEP_1)
	v_fmac_f64_e32 v[58:59], v[84:85], v[64:65]
	v_add_f64_e32 v[58:59], v[76:77], v[58:59]
	s_delay_alu instid0(VALU_DEP_1) | instskip(NEXT) | instid1(VALU_DEP_1)
	v_dual_cndmask_b32 v15, v58, v56, s9 :: v_dual_cndmask_b32 v16, v59, v57, s9
	v_cndmask_b32_e64 v14, 0, v15, s6
	s_delay_alu instid0(VALU_DEP_2) | instskip(SKIP_1) | instid1(VALU_DEP_2)
	v_bitop3_b32 v16, v16, v9, 0x80000000 bitop3:0x78
	v_dual_cndmask_b32 v9, 0, v8, s8 :: v_dual_cndmask_b32 v8, 0, v62, s5
	v_cndmask_b32_e64 v15, 0x7ff80000, v16, s6
	s_delay_alu instid0(VALU_DEP_2) | instskip(NEXT) | instid1(VALU_DEP_2)
	v_mul_f64_e32 v[6:7], v[8:9], v[6:7]
	v_mul_f64_e32 v[8:9], v[8:9], v[14:15]
                                        ; implicit-def: $vgpr16_vgpr17
.LBB137_25:                             ;   in Loop: Header=BB137_4 Depth=1
	s_and_not1_saveexec_b32 s35, s35
	s_cbranch_execz .LBB137_28
; %bb.26:                               ;   in Loop: Header=BB137_4 Depth=1
	v_cmp_ngt_f64_e64 s6, 0x41d00000, |v[16:17]|
                                        ; implicit-def: $vgpr60
                                        ; implicit-def: $vgpr6_vgpr7
                                        ; implicit-def: $vgpr8_vgpr9
	s_and_saveexec_b32 s5, s6
	s_delay_alu instid0(SALU_CYCLE_1)
	s_xor_b32 s7, exec_lo, s5
	s_cbranch_execz .LBB137_29
; %bb.27:                               ;   in Loop: Header=BB137_4 Depth=1
	v_ldexp_f64 v[6:7], |v[16:17]|, 0xffffff80
	v_cmp_le_f64_e64 s5, 0x7b000000, |v[16:17]|
	v_trig_preop_f64 v[8:9], |v[16:17]|, 0
	v_trig_preop_f64 v[56:57], |v[16:17]|, 1
	v_trig_preop_f64 v[66:67], |v[16:17]|, 2
	s_delay_alu instid0(VALU_DEP_4) | instskip(SKIP_1) | instid1(VALU_DEP_1)
	v_cndmask_b32_e64 v7, v68, v7, s5
	v_cndmask_b32_e64 v6, v16, v6, s5
	v_mul_f64_e32 v[58:59], v[8:9], v[6:7]
	v_mul_f64_e32 v[60:61], v[56:57], v[6:7]
	s_delay_alu instid0(VALU_DEP_2) | instskip(NEXT) | instid1(VALU_DEP_1)
	v_fma_f64 v[8:9], v[8:9], v[6:7], -v[58:59]
	v_add_f64_e32 v[62:63], v[60:61], v[8:9]
	s_delay_alu instid0(VALU_DEP_1) | instskip(SKIP_1) | instid1(VALU_DEP_2)
	v_add_f64_e64 v[64:65], v[62:63], -v[60:61]
	v_add_f64_e32 v[72:73], v[58:59], v[62:63]
	v_add_f64_e64 v[70:71], v[62:63], -v[64:65]
	v_fma_f64 v[56:57], v[56:57], v[6:7], -v[60:61]
	v_add_f64_e64 v[8:9], v[8:9], -v[64:65]
	s_delay_alu instid0(VALU_DEP_4) | instskip(SKIP_2) | instid1(VALU_DEP_3)
	v_ldexp_f64 v[64:65], v[72:73], -2
	v_mul_f64_e32 v[74:75], v[66:67], v[6:7]
	v_add_f64_e64 v[60:61], v[60:61], -v[70:71]
	v_cmp_neq_f64_e64 s5, 0x7ff00000, |v[64:65]|
	s_delay_alu instid0(VALU_DEP_3) | instskip(SKIP_1) | instid1(VALU_DEP_4)
	v_add_f64_e32 v[70:71], v[74:75], v[56:57]
	v_fma_f64 v[6:7], v[66:67], v[6:7], -v[74:75]
	v_add_f64_e32 v[8:9], v[8:9], v[60:61]
	v_fract_f64_e32 v[60:61], v[64:65]
	s_delay_alu instid0(VALU_DEP_1) | instskip(NEXT) | instid1(VALU_DEP_1)
	v_ldexp_f64 v[60:61], v[60:61], 2
	v_dual_add_f64 v[58:59], v[72:73], -v[58:59] :: v_dual_cndmask_b32 v61, 0, v61, s5
	s_delay_alu instid0(VALU_DEP_1) | instskip(SKIP_1) | instid1(VALU_DEP_1)
	v_dual_add_f64 v[58:59], v[62:63], -v[58:59] :: v_dual_cndmask_b32 v60, 0, v60, s5
	v_add_f64_e32 v[62:63], v[70:71], v[8:9]
	v_add_f64_e32 v[64:65], v[58:59], v[62:63]
	v_add_f64_e64 v[76:77], v[62:63], -v[70:71]
	s_delay_alu instid0(VALU_DEP_2) | instskip(NEXT) | instid1(VALU_DEP_2)
	v_add_f64_e32 v[72:73], v[64:65], v[60:61]
	v_add_f64_e64 v[82:83], v[62:63], -v[76:77]
	v_add_f64_e64 v[8:9], v[8:9], -v[76:77]
	;; [unrolled: 1-line block ×3, first 2 shown]
	s_delay_alu instid0(VALU_DEP_4) | instskip(SKIP_1) | instid1(VALU_DEP_3)
	v_cmp_gt_f64_e64 s5, 0, v[72:73]
	v_add_f64_e64 v[72:73], v[70:71], -v[74:75]
	v_add_f64_e64 v[58:59], v[62:63], -v[58:59]
	s_delay_alu instid0(VALU_DEP_3) | instskip(NEXT) | instid1(VALU_DEP_3)
	v_cndmask_b32_e64 v25, 0, 0x40100000, s5
	v_add_f64_e64 v[80:81], v[70:71], -v[72:73]
	v_add_f64_e64 v[56:57], v[56:57], -v[72:73]
	;; [unrolled: 1-line block ×3, first 2 shown]
	s_delay_alu instid0(VALU_DEP_4) | instskip(NEXT) | instid1(VALU_DEP_4)
	v_add_f64_e32 v[60:61], v[60:61], v[24:25]
	v_add_f64_e64 v[72:73], v[74:75], -v[80:81]
	s_delay_alu instid0(VALU_DEP_3) | instskip(NEXT) | instid1(VALU_DEP_3)
	v_add_f64_e32 v[8:9], v[8:9], v[70:71]
	v_add_f64_e32 v[78:79], v[64:65], v[60:61]
	s_delay_alu instid0(VALU_DEP_3) | instskip(NEXT) | instid1(VALU_DEP_2)
	v_add_f64_e32 v[56:57], v[56:57], v[72:73]
	v_cvt_i32_f64_e32 v25, v[78:79]
	s_delay_alu instid0(VALU_DEP_2) | instskip(NEXT) | instid1(VALU_DEP_2)
	v_add_f64_e32 v[8:9], v[56:57], v[8:9]
	v_cvt_f64_i32_e32 v[76:77], v25
	s_delay_alu instid0(VALU_DEP_2) | instskip(NEXT) | instid1(VALU_DEP_2)
	v_add_f64_e32 v[6:7], v[6:7], v[8:9]
	v_add_f64_e64 v[60:61], v[60:61], -v[76:77]
	s_delay_alu instid0(VALU_DEP_2) | instskip(NEXT) | instid1(VALU_DEP_2)
	v_add_f64_e32 v[6:7], v[58:59], v[6:7]
	v_add_f64_e32 v[56:57], v[64:65], v[60:61]
	s_delay_alu instid0(VALU_DEP_1) | instskip(SKIP_1) | instid1(VALU_DEP_2)
	v_add_f64_e64 v[8:9], v[56:57], -v[60:61]
	v_cmp_le_f64_e64 s5, 0.5, v[56:57]
	v_add_f64_e64 v[8:9], v[64:65], -v[8:9]
	s_delay_alu instid0(VALU_DEP_2) | instskip(SKIP_1) | instid1(VALU_DEP_3)
	v_add_co_ci_u32_e64 v60, null, 0, v25, s5
	v_cndmask_b32_e64 v25, 0, 0x3ff00000, s5
	v_add_f64_e32 v[6:7], v[6:7], v[8:9]
	s_delay_alu instid0(VALU_DEP_2) | instskip(NEXT) | instid1(VALU_DEP_1)
	v_add_f64_e64 v[8:9], v[56:57], -v[24:25]
	v_add_f64_e32 v[56:57], v[8:9], v[6:7]
	s_delay_alu instid0(VALU_DEP_1) | instskip(SKIP_1) | instid1(VALU_DEP_2)
	v_mul_f64_e32 v[58:59], 0x3ff921fb54442d18, v[56:57]
	v_add_f64_e64 v[8:9], v[56:57], -v[8:9]
	v_fma_f64 v[62:63], v[56:57], s[18:19], -v[58:59]
	s_delay_alu instid0(VALU_DEP_2) | instskip(NEXT) | instid1(VALU_DEP_2)
	v_add_f64_e64 v[6:7], v[6:7], -v[8:9]
	v_fmac_f64_e32 v[62:63], 0x3c91a62633145c07, v[56:57]
	s_delay_alu instid0(VALU_DEP_1) | instskip(NEXT) | instid1(VALU_DEP_1)
	v_fmac_f64_e32 v[62:63], 0x3ff921fb54442d18, v[6:7]
	v_add_f64_e32 v[6:7], v[58:59], v[62:63]
	s_delay_alu instid0(VALU_DEP_1) | instskip(NEXT) | instid1(VALU_DEP_1)
	v_add_f64_e64 v[8:9], v[6:7], -v[58:59]
	v_add_f64_e64 v[8:9], v[62:63], -v[8:9]
	s_and_not1_saveexec_b32 s5, s7
	s_cbranch_execz .LBB137_31
	s_branch .LBB137_30
.LBB137_28:                             ;   in Loop: Header=BB137_4 Depth=1
	s_or_b32 exec_lo, exec_lo, s35
                                        ; implicit-def: $vgpr14_vgpr15
                                        ; implicit-def: $vgpr25
	s_and_not1_saveexec_b32 s7, s34
	s_cbranch_execnz .LBB137_37
	s_branch .LBB137_42
.LBB137_29:                             ;   in Loop: Header=BB137_4 Depth=1
	s_and_not1_saveexec_b32 s5, s7
	s_cbranch_execz .LBB137_31
.LBB137_30:                             ;   in Loop: Header=BB137_4 Depth=1
	v_mul_f64_e64 v[6:7], |v[16:17]|, s[20:21]
	s_delay_alu instid0(VALU_DEP_1) | instskip(NEXT) | instid1(VALU_DEP_1)
	v_rndne_f64_e32 v[56:57], v[6:7]
	v_fma_f64 v[6:7], v[56:57], s[22:23], |v[16:17]|
	v_mul_f64_e32 v[8:9], 0xbc91a62633145c00, v[56:57]
	s_delay_alu instid0(VALU_DEP_2) | instskip(NEXT) | instid1(VALU_DEP_2)
	v_fmamk_f64 v[62:63], v[56:57], 0xbc91a62633145c00, v[6:7]
	v_add_f64_e32 v[58:59], v[6:7], v[8:9]
	s_delay_alu instid0(VALU_DEP_1) | instskip(NEXT) | instid1(VALU_DEP_3)
	v_add_f64_e64 v[60:61], v[6:7], -v[58:59]
	v_add_f64_e64 v[6:7], v[58:59], -v[62:63]
	s_delay_alu instid0(VALU_DEP_2) | instskip(SKIP_2) | instid1(VALU_DEP_3)
	v_add_f64_e32 v[58:59], v[60:61], v[8:9]
	v_fmamk_f64 v[8:9], v[56:57], 0x3c91a62633145c00, v[8:9]
	v_cvt_i32_f64_e32 v60, v[56:57]
	v_add_f64_e32 v[6:7], v[6:7], v[58:59]
	s_delay_alu instid0(VALU_DEP_1) | instskip(NEXT) | instid1(VALU_DEP_1)
	v_add_f64_e64 v[8:9], v[6:7], -v[8:9]
	v_fmac_f64_e32 v[8:9], 0xb97b839a252049c0, v[56:57]
	s_delay_alu instid0(VALU_DEP_1) | instskip(NEXT) | instid1(VALU_DEP_1)
	v_add_f64_e32 v[6:7], v[62:63], v[8:9]
	v_add_f64_e64 v[58:59], v[6:7], -v[62:63]
	s_delay_alu instid0(VALU_DEP_1)
	v_add_f64_e64 v[8:9], v[8:9], -v[58:59]
.LBB137_31:                             ;   in Loop: Header=BB137_4 Depth=1
	s_or_b32 exec_lo, exec_lo, s5
                                        ; implicit-def: $vgpr61
                                        ; implicit-def: $vgpr56_vgpr57
                                        ; implicit-def: $vgpr58_vgpr59
	s_and_saveexec_b32 s5, s6
	s_delay_alu instid0(SALU_CYCLE_1)
	s_xor_b32 s6, exec_lo, s5
	s_cbranch_execz .LBB137_33
; %bb.32:                               ;   in Loop: Header=BB137_4 Depth=1
	v_ldexp_f64 v[56:57], |v[16:17]|, 0xffffff80
	v_cmp_le_f64_e64 s5, 0x7b000000, |v[16:17]|
	v_trig_preop_f64 v[58:59], |v[16:17]|, 0
	v_trig_preop_f64 v[62:63], |v[16:17]|, 1
	;; [unrolled: 1-line block ×3, first 2 shown]
	s_delay_alu instid0(VALU_DEP_4) | instskip(SKIP_1) | instid1(VALU_DEP_1)
	v_cndmask_b32_e64 v57, v68, v57, s5
	v_cndmask_b32_e64 v56, v16, v56, s5
	v_mul_f64_e32 v[64:65], v[58:59], v[56:57]
	v_mul_f64_e32 v[66:67], v[62:63], v[56:57]
	s_delay_alu instid0(VALU_DEP_2) | instskip(NEXT) | instid1(VALU_DEP_1)
	v_fma_f64 v[58:59], v[58:59], v[56:57], -v[64:65]
	v_add_f64_e32 v[68:69], v[66:67], v[58:59]
	s_delay_alu instid0(VALU_DEP_1) | instskip(SKIP_1) | instid1(VALU_DEP_2)
	v_add_f64_e64 v[70:71], v[68:69], -v[66:67]
	v_add_f64_e32 v[76:77], v[64:65], v[68:69]
	v_add_f64_e64 v[74:75], v[68:69], -v[70:71]
	v_add_f64_e64 v[58:59], v[58:59], -v[70:71]
	v_fma_f64 v[62:63], v[62:63], v[56:57], -v[66:67]
	s_delay_alu instid0(VALU_DEP_4) | instskip(SKIP_2) | instid1(VALU_DEP_3)
	v_ldexp_f64 v[70:71], v[76:77], -2
	v_mul_f64_e32 v[78:79], v[72:73], v[56:57]
	v_add_f64_e64 v[66:67], v[66:67], -v[74:75]
	v_cmp_neq_f64_e64 s5, 0x7ff00000, |v[70:71]|
	s_delay_alu instid0(VALU_DEP_3) | instskip(SKIP_1) | instid1(VALU_DEP_4)
	v_add_f64_e32 v[74:75], v[78:79], v[62:63]
	v_fma_f64 v[56:57], v[72:73], v[56:57], -v[78:79]
	v_add_f64_e32 v[58:59], v[58:59], v[66:67]
	v_fract_f64_e32 v[66:67], v[70:71]
	s_delay_alu instid0(VALU_DEP_1) | instskip(NEXT) | instid1(VALU_DEP_1)
	v_ldexp_f64 v[66:67], v[66:67], 2
	v_dual_add_f64 v[64:65], v[76:77], -v[64:65] :: v_dual_cndmask_b32 v67, 0, v67, s5
	s_delay_alu instid0(VALU_DEP_1) | instskip(SKIP_1) | instid1(VALU_DEP_1)
	v_dual_add_f64 v[64:65], v[68:69], -v[64:65] :: v_dual_cndmask_b32 v66, 0, v66, s5
	v_add_f64_e32 v[68:69], v[74:75], v[58:59]
	v_add_f64_e32 v[70:71], v[64:65], v[68:69]
	v_add_f64_e64 v[80:81], v[68:69], -v[74:75]
	s_delay_alu instid0(VALU_DEP_2) | instskip(NEXT) | instid1(VALU_DEP_2)
	v_add_f64_e32 v[76:77], v[70:71], v[66:67]
	v_add_f64_e64 v[86:87], v[68:69], -v[80:81]
	v_add_f64_e64 v[58:59], v[58:59], -v[80:81]
	v_add_f64_e64 v[64:65], v[70:71], -v[64:65]
	s_delay_alu instid0(VALU_DEP_4) | instskip(SKIP_1) | instid1(VALU_DEP_3)
	v_cmp_gt_f64_e64 s5, 0, v[76:77]
	v_add_f64_e64 v[76:77], v[74:75], -v[78:79]
	v_add_f64_e64 v[64:65], v[68:69], -v[64:65]
	s_delay_alu instid0(VALU_DEP_3) | instskip(NEXT) | instid1(VALU_DEP_3)
	v_cndmask_b32_e64 v25, 0, 0x40100000, s5
	v_add_f64_e64 v[84:85], v[74:75], -v[76:77]
	v_add_f64_e64 v[62:63], v[62:63], -v[76:77]
	v_add_f64_e64 v[74:75], v[74:75], -v[86:87]
	s_delay_alu instid0(VALU_DEP_4) | instskip(NEXT) | instid1(VALU_DEP_4)
	v_add_f64_e32 v[66:67], v[66:67], v[24:25]
	v_add_f64_e64 v[76:77], v[78:79], -v[84:85]
	s_delay_alu instid0(VALU_DEP_3) | instskip(NEXT) | instid1(VALU_DEP_3)
	v_add_f64_e32 v[58:59], v[58:59], v[74:75]
	v_add_f64_e32 v[82:83], v[70:71], v[66:67]
	s_delay_alu instid0(VALU_DEP_3) | instskip(NEXT) | instid1(VALU_DEP_2)
	v_add_f64_e32 v[62:63], v[62:63], v[76:77]
	v_cvt_i32_f64_e32 v25, v[82:83]
	s_delay_alu instid0(VALU_DEP_2) | instskip(NEXT) | instid1(VALU_DEP_2)
	v_add_f64_e32 v[58:59], v[62:63], v[58:59]
	v_cvt_f64_i32_e32 v[80:81], v25
	s_delay_alu instid0(VALU_DEP_2) | instskip(NEXT) | instid1(VALU_DEP_2)
	v_add_f64_e32 v[56:57], v[56:57], v[58:59]
	v_add_f64_e64 v[66:67], v[66:67], -v[80:81]
	s_delay_alu instid0(VALU_DEP_2) | instskip(NEXT) | instid1(VALU_DEP_2)
	v_add_f64_e32 v[56:57], v[64:65], v[56:57]
	v_add_f64_e32 v[62:63], v[70:71], v[66:67]
	s_delay_alu instid0(VALU_DEP_1) | instskip(SKIP_1) | instid1(VALU_DEP_2)
	v_add_f64_e64 v[58:59], v[62:63], -v[66:67]
	v_cmp_le_f64_e64 s5, 0.5, v[62:63]
	v_add_f64_e64 v[58:59], v[70:71], -v[58:59]
	s_delay_alu instid0(VALU_DEP_2) | instskip(SKIP_1) | instid1(VALU_DEP_3)
	v_add_co_ci_u32_e64 v61, null, 0, v25, s5
	v_cndmask_b32_e64 v25, 0, 0x3ff00000, s5
	v_add_f64_e32 v[56:57], v[56:57], v[58:59]
	s_delay_alu instid0(VALU_DEP_2) | instskip(NEXT) | instid1(VALU_DEP_1)
	v_add_f64_e64 v[58:59], v[62:63], -v[24:25]
	v_add_f64_e32 v[62:63], v[58:59], v[56:57]
	s_delay_alu instid0(VALU_DEP_1) | instskip(SKIP_1) | instid1(VALU_DEP_2)
	v_mul_f64_e32 v[64:65], 0x3ff921fb54442d18, v[62:63]
	v_add_f64_e64 v[58:59], v[62:63], -v[58:59]
	v_fma_f64 v[66:67], v[62:63], s[18:19], -v[64:65]
	s_delay_alu instid0(VALU_DEP_2) | instskip(NEXT) | instid1(VALU_DEP_2)
	v_add_f64_e64 v[56:57], v[56:57], -v[58:59]
	v_fmac_f64_e32 v[66:67], 0x3c91a62633145c07, v[62:63]
	s_delay_alu instid0(VALU_DEP_1) | instskip(NEXT) | instid1(VALU_DEP_1)
	v_fmac_f64_e32 v[66:67], 0x3ff921fb54442d18, v[56:57]
	v_add_f64_e32 v[56:57], v[64:65], v[66:67]
	s_delay_alu instid0(VALU_DEP_1) | instskip(NEXT) | instid1(VALU_DEP_1)
	v_add_f64_e64 v[58:59], v[56:57], -v[64:65]
	v_add_f64_e64 v[58:59], v[66:67], -v[58:59]
	s_and_not1_saveexec_b32 s5, s6
	s_cbranch_execnz .LBB137_34
	s_branch .LBB137_35
.LBB137_33:                             ;   in Loop: Header=BB137_4 Depth=1
	s_and_not1_saveexec_b32 s5, s6
	s_cbranch_execz .LBB137_35
.LBB137_34:                             ;   in Loop: Header=BB137_4 Depth=1
	v_mul_f64_e64 v[56:57], |v[16:17]|, s[20:21]
	s_delay_alu instid0(VALU_DEP_1) | instskip(NEXT) | instid1(VALU_DEP_1)
	v_rndne_f64_e32 v[62:63], v[56:57]
	v_fma_f64 v[56:57], v[62:63], s[22:23], |v[16:17]|
	v_mul_f64_e32 v[58:59], 0xbc91a62633145c00, v[62:63]
	v_cvt_i32_f64_e32 v61, v[62:63]
	s_delay_alu instid0(VALU_DEP_3) | instskip(NEXT) | instid1(VALU_DEP_3)
	v_fmamk_f64 v[68:69], v[62:63], 0xbc91a62633145c00, v[56:57]
	v_add_f64_e32 v[64:65], v[56:57], v[58:59]
	s_delay_alu instid0(VALU_DEP_1) | instskip(NEXT) | instid1(VALU_DEP_3)
	v_add_f64_e64 v[66:67], v[56:57], -v[64:65]
	v_add_f64_e64 v[56:57], v[64:65], -v[68:69]
	s_delay_alu instid0(VALU_DEP_2) | instskip(SKIP_1) | instid1(VALU_DEP_2)
	v_add_f64_e32 v[64:65], v[66:67], v[58:59]
	v_fmamk_f64 v[58:59], v[62:63], 0x3c91a62633145c00, v[58:59]
	v_add_f64_e32 v[56:57], v[56:57], v[64:65]
	s_delay_alu instid0(VALU_DEP_1) | instskip(NEXT) | instid1(VALU_DEP_1)
	v_add_f64_e64 v[58:59], v[56:57], -v[58:59]
	v_fmac_f64_e32 v[58:59], 0xb97b839a252049c0, v[62:63]
	s_delay_alu instid0(VALU_DEP_1) | instskip(NEXT) | instid1(VALU_DEP_1)
	v_add_f64_e32 v[56:57], v[68:69], v[58:59]
	v_add_f64_e64 v[64:65], v[56:57], -v[68:69]
	s_delay_alu instid0(VALU_DEP_1)
	v_add_f64_e64 v[58:59], v[58:59], -v[64:65]
.LBB137_35:                             ;   in Loop: Header=BB137_4 Depth=1
	s_or_b32 exec_lo, exec_lo, s5
	v_add_f64_e32 v[14:15], 0xc0937be319ba0da4, v[14:15]
	v_mul_f64_e32 v[64:65], v[6:7], v[6:7]
	v_cmp_class_f64_e64 s6, v[16:17], 0x1f8
	v_mul_f64_e32 v[66:67], v[56:57], v[56:57]
	v_lshlrev_b32_e32 v16, 30, v60
	v_mul_f64_e32 v[62:63], 0x3ff71547652b82fe, v[14:15]
	v_mul_f64_e32 v[68:69], 0.5, v[64:65]
	v_cmp_nlt_f64_e64 s7, 0x40900000, v[14:15]
	v_mul_f64_e64 v[90:91], v[56:57], -v[66:67]
	v_fmamk_f64 v[94:95], v[66:67], 0x3de5e0b2f9a43bb8, v[34:35]
	v_cmp_ngt_f64_e64 s8, 0xc090cc00, v[14:15]
	v_rndne_f64_e32 v[62:63], v[62:63]
	v_add_f64_e64 v[74:75], -v[68:69], 1.0
	s_delay_alu instid0(VALU_DEP_2) | instskip(NEXT) | instid1(VALU_DEP_2)
	v_fmamk_f64 v[72:73], v[62:63], 0xbfe62e42fefa39ef, v[14:15]
	v_add_f64_e64 v[82:83], -v[74:75], 1.0
	v_cvt_i32_f64_e32 v25, v[62:63]
	v_dual_lshlrev_b32 v15, 30, v61 :: v_dual_bitop2_b32 v14, 1, v61 bitop3:0x40
	s_delay_alu instid0(VALU_DEP_4) | instskip(NEXT) | instid1(VALU_DEP_2)
	v_fmac_f64_e32 v[72:73], 0xbc7abc9e3b39803f, v[62:63]
	v_cmp_eq_u32_e64 s9, 0, v14
	v_add_f64_e64 v[68:69], v[82:83], -v[68:69]
	s_delay_alu instid0(VALU_DEP_3) | instskip(NEXT) | instid1(VALU_DEP_1)
	v_fmamk_f64 v[86:87], v[72:73], 0x3e5ade156a5dcb37, v[30:31]
	v_fmaak_f64 v[86:87], v[72:73], v[86:87], 0x3ec71dee623fde64
	s_delay_alu instid0(VALU_DEP_1) | instskip(NEXT) | instid1(VALU_DEP_1)
	v_fmaak_f64 v[86:87], v[72:73], v[86:87], 0x3efa01997c89e6b0
	v_fmaak_f64 v[86:87], v[72:73], v[86:87], 0x3f2a01a014761f6e
	s_delay_alu instid0(VALU_DEP_1) | instskip(NEXT) | instid1(VALU_DEP_1)
	v_fmaak_f64 v[82:83], v[72:73], v[86:87], 0x3f56c16c1852b7b0
	;; [unrolled: 3-line block ×4, first 2 shown]
	v_fma_f64 v[82:83], v[72:73], v[82:83], 1.0
	s_delay_alu instid0(VALU_DEP_1) | instskip(NEXT) | instid1(VALU_DEP_1)
	v_fma_f64 v[62:63], v[72:73], v[82:83], 1.0
	v_ldexp_f64 v[62:63], v[62:63], v25
	v_mul_f64_e32 v[78:79], 0.5, v[8:9]
	v_and_b32_e32 v25, 1, v60
	v_mul_f64_e64 v[80:81], v[6:7], -v[64:65]
	v_fmamk_f64 v[84:85], v[64:65], 0x3de5e0b2f9a43bb8, v[34:35]
	v_mul_f64_e32 v[86:87], v[64:65], v[64:65]
	s_delay_alu instid0(VALU_DEP_4) | instskip(NEXT) | instid1(VALU_DEP_3)
	v_cmp_eq_u32_e64 s5, 0, v25
	v_fmaak_f64 v[84:85], v[64:65], v[84:85], 0x3ec71de3796cde01
	s_delay_alu instid0(VALU_DEP_1) | instskip(NEXT) | instid1(VALU_DEP_1)
	v_fmaak_f64 v[84:85], v[64:65], v[84:85], 0xbf2a01a019e83e5c
	v_fmaak_f64 v[84:85], v[64:65], v[84:85], 0x3f81111111110bb3
	s_delay_alu instid0(VALU_DEP_1) | instskip(SKIP_1) | instid1(VALU_DEP_1)
	v_fmac_f64_e32 v[78:79], v[80:81], v[84:85]
	v_fmaak_f64 v[84:85], v[66:67], v[94:95], 0x3ec71de3796cde01
	v_fmaak_f64 v[84:85], v[66:67], v[84:85], 0xbf2a01a019e83e5c
	s_delay_alu instid0(VALU_DEP_1) | instskip(NEXT) | instid1(VALU_DEP_4)
	v_fmaak_f64 v[84:85], v[66:67], v[84:85], 0x3f81111111110bb3
	v_fma_f64 v[78:79], v[64:65], v[78:79], -v[8:9]
	v_fma_f64 v[8:9], v[6:7], -v[8:9], v[68:69]
	s_delay_alu instid0(VALU_DEP_2) | instskip(NEXT) | instid1(VALU_DEP_1)
	v_fmac_f64_e32 v[78:79], 0xbfc5555555555555, v[80:81]
	v_add_f64_e64 v[6:7], v[6:7], -v[78:79]
	v_mul_f64_e32 v[88:89], 0.5, v[58:59]
	s_delay_alu instid0(VALU_DEP_2) | instskip(NEXT) | instid1(VALU_DEP_2)
	v_xor_b32_e32 v7, 0x80000000, v7
	v_fmac_f64_e32 v[88:89], v[90:91], v[84:85]
	v_fmamk_f64 v[84:85], v[64:65], 0xbda907db46cc5e42, v[32:33]
	s_delay_alu instid0(VALU_DEP_1) | instskip(NEXT) | instid1(VALU_DEP_1)
	v_fmaak_f64 v[68:69], v[64:65], v[84:85], 0xbe927e4fa17f65f6
	v_fmaak_f64 v[68:69], v[64:65], v[68:69], 0x3efa01a019f4ec90
	s_delay_alu instid0(VALU_DEP_1) | instskip(NEXT) | instid1(VALU_DEP_1)
	v_fmaak_f64 v[68:69], v[64:65], v[68:69], 0xbf56c16c16c16967
	v_fmaak_f64 v[64:65], v[64:65], v[68:69], 0x3fa5555555555555
	s_delay_alu instid0(VALU_DEP_1) | instskip(NEXT) | instid1(VALU_DEP_1)
	v_fmac_f64_e32 v[8:9], v[86:87], v[64:65]
	v_add_f64_e32 v[8:9], v[74:75], v[8:9]
	s_delay_alu instid0(VALU_DEP_1) | instskip(SKIP_1) | instid1(VALU_DEP_3)
	v_cndmask_b32_e64 v6, v6, v8, s5
	v_cndmask_b32_e64 v8, 0x7ff00000, v63, s7
	;; [unrolled: 1-line block ×3, first 2 shown]
	s_and_b32 s5, s8, s7
	s_delay_alu instid0(VALU_DEP_3)
	v_dual_cndmask_b32 v6, 0, v6, s6 :: v_dual_bitop2_b32 v9, v15, v17 bitop3:0x14
	v_mul_f64_e32 v[70:71], 0.5, v[66:67]
	v_mul_f64_e32 v[84:85], v[66:67], v[66:67]
	v_fma_f64 v[68:69], v[66:67], v[88:89], -v[58:59]
	v_bitop3_b32 v7, v7, v16, 0x80000000 bitop3:0x78
	v_cndmask_b32_e64 v16, 0, v8, s8
	s_delay_alu instid0(VALU_DEP_2) | instskip(SKIP_2) | instid1(VALU_DEP_2)
	v_cndmask_b32_e64 v7, 0x7ff80000, v7, s6
	v_add_f64_e64 v[76:77], -v[70:71], 1.0
	v_fmac_f64_e32 v[68:69], 0xbfc5555555555555, v[90:91]
	v_add_f64_e64 v[92:93], -v[76:77], 1.0
	s_delay_alu instid0(VALU_DEP_1) | instskip(SKIP_1) | instid1(VALU_DEP_2)
	v_add_f64_e64 v[70:71], v[92:93], -v[70:71]
	v_fmamk_f64 v[92:93], v[66:67], 0xbda907db46cc5e42, v[32:33]
	v_fma_f64 v[58:59], v[56:57], -v[58:59], v[70:71]
	s_delay_alu instid0(VALU_DEP_2) | instskip(SKIP_1) | instid1(VALU_DEP_2)
	v_fmaak_f64 v[70:71], v[66:67], v[92:93], 0xbe927e4fa17f65f6
	v_add_f64_e64 v[56:57], v[56:57], -v[68:69]
	v_fmaak_f64 v[64:65], v[66:67], v[70:71], 0x3efa01a019f4ec90
	s_delay_alu instid0(VALU_DEP_1) | instskip(NEXT) | instid1(VALU_DEP_1)
	v_fmaak_f64 v[64:65], v[66:67], v[64:65], 0xbf56c16c16c16967
	v_fmaak_f64 v[64:65], v[66:67], v[64:65], 0x3fa5555555555555
	s_delay_alu instid0(VALU_DEP_1) | instskip(NEXT) | instid1(VALU_DEP_1)
	v_fmac_f64_e32 v[58:59], v[84:85], v[64:65]
	v_add_f64_e32 v[58:59], v[76:77], v[58:59]
	s_delay_alu instid0(VALU_DEP_1) | instskip(NEXT) | instid1(VALU_DEP_1)
	v_dual_cndmask_b32 v14, v58, v56, s9 :: v_dual_cndmask_b32 v15, v59, v57, s9
	v_cndmask_b32_e64 v8, 0, v14, s6
	s_delay_alu instid0(VALU_DEP_2) | instskip(SKIP_2) | instid1(VALU_DEP_3)
	v_bitop3_b32 v9, v15, v9, 0x80000000 bitop3:0x78
	v_and_or_b32 v15, v16, s30, 0x7fe00000
	v_dual_cndmask_b32 v14, 0, v62, s5 :: v_dual_lshrrev_b32 v16, 20, v16
	v_cndmask_b32_e64 v9, 0x7ff80000, v9, s6
	s_delay_alu instid0(VALU_DEP_2) | instskip(NEXT) | instid1(VALU_DEP_2)
	v_mul_f64_e32 v[6:7], v[14:15], v[6:7]
	v_mul_f64_e32 v[8:9], v[14:15], v[8:9]
	s_delay_alu instid0(VALU_DEP_4) | instskip(NEXT) | instid1(VALU_DEP_1)
	v_add_nc_u32_e32 v14, 0xffffff09, v16
	v_lshrrev_b16 v15, 15, v14
	s_delay_alu instid0(VALU_DEP_1) | instskip(NEXT) | instid1(VALU_DEP_1)
	v_add_nc_u16 v15, v14, v15
	v_ashrrev_i16 v15, 1, v15
	s_delay_alu instid0(VALU_DEP_1) | instskip(NEXT) | instid1(VALU_DEP_1)
	v_bfe_i32 v15, v15, 0, 16
	v_lshl_add_u32 v25, v15, 20, 0x3ff00000
	v_dual_mov_b32 v14, v24 :: v_dual_sub_nc_u32 v15, v14, v15
	s_delay_alu instid0(VALU_DEP_2) | instskip(SKIP_1) | instid1(VALU_DEP_3)
	v_mul_f64_e32 v[6:7], v[6:7], v[24:25]
	v_mul_f64_e32 v[8:9], v[8:9], v[24:25]
	v_lshl_add_u32 v15, v15, 20, 0x3ff00000
	s_delay_alu instid0(VALU_DEP_1) | instskip(NEXT) | instid1(VALU_DEP_3)
	v_mul_f64_e32 v[6:7], v[6:7], v[14:15]
	v_mul_f64_e32 v[8:9], v[8:9], v[14:15]
	s_or_b32 exec_lo, exec_lo, s35
                                        ; implicit-def: $vgpr14_vgpr15
                                        ; implicit-def: $vgpr25
.LBB137_36:                             ;   in Loop: Header=BB137_4 Depth=1
	s_and_not1_saveexec_b32 s7, s34
	s_cbranch_execz .LBB137_42
.LBB137_37:                             ;   in Loop: Header=BB137_4 Depth=1
	v_add_f64_e64 v[8:9], v[16:17], -v[16:17]
	v_cmp_ne_u32_e64 s5, 0, v14
	v_cmp_ne_u32_e64 s6, 0x7ff00000, v25
	s_or_b32 s5, s5, s6
	s_delay_alu instid0(SALU_CYCLE_1) | instskip(NEXT) | instid1(SALU_CYCLE_1)
	s_and_saveexec_b32 s6, s5
	s_xor_b32 s5, exec_lo, s6
; %bb.38:                               ;   in Loop: Header=BB137_4 Depth=1
                                        ; implicit-def: $vgpr14_vgpr15
; %bb.39:                               ;   in Loop: Header=BB137_4 Depth=1
	s_delay_alu instid0(SALU_CYCLE_1)
	s_or_saveexec_b32 s6, s5
	v_mov_b64_e32 v[6:7], v[8:9]
	s_xor_b32 exec_lo, exec_lo, s6
; %bb.40:                               ;   in Loop: Header=BB137_4 Depth=1
	v_cmp_lt_i64_e64 s5, -1, v[14:15]
	s_delay_alu instid0(VALU_DEP_1)
	v_dual_cndmask_b32 v7, 0, v15, s5 :: v_dual_cndmask_b32 v6, 0, v14, s5
	v_dual_cndmask_b32 v9, 0, v9, s5 :: v_dual_cndmask_b32 v8, 0, v8, s5
; %bb.41:                               ;   in Loop: Header=BB137_4 Depth=1
	s_or_b32 exec_lo, exec_lo, s6
.LBB137_42:                             ;   in Loop: Header=BB137_4 Depth=1
	s_delay_alu instid0(SALU_CYCLE_1)
	s_or_b32 exec_lo, exec_lo, s7
                                        ; implicit-def: $vgpr16_vgpr17
                                        ; implicit-def: $vgpr68
.LBB137_43:                             ;   in Loop: Header=BB137_4 Depth=1
	s_and_not1_saveexec_b32 s8, s33
	s_cbranch_execz .LBB137_53
; %bb.44:                               ;   in Loop: Header=BB137_4 Depth=1
	v_cmp_ngt_f64_e64 s6, 0x41d00000, |v[16:17]|
	v_trig_preop_f64 v[58:59], |v[16:17]|, 0
	v_trig_preop_f64 v[56:57], |v[16:17]|, 1
	v_ldexp_f64 v[60:61], |v[16:17]|, 0xffffff80
	v_trig_preop_f64 v[14:15], |v[16:17]|, 2
                                        ; implicit-def: $vgpr69
                                        ; implicit-def: $vgpr6_vgpr7
                                        ; implicit-def: $vgpr8_vgpr9
	s_and_saveexec_b32 s5, s6
	s_delay_alu instid0(SALU_CYCLE_1)
	s_xor_b32 s7, exec_lo, s5
	s_cbranch_execz .LBB137_46
; %bb.45:                               ;   in Loop: Header=BB137_4 Depth=1
	v_cmp_le_f64_e64 s5, 0x7b000000, |v[16:17]|
	s_delay_alu instid0(VALU_DEP_1) | instskip(NEXT) | instid1(VALU_DEP_4)
	v_cndmask_b32_e64 v7, v68, v61, s5
	v_cndmask_b32_e64 v6, v16, v60, s5
	s_delay_alu instid0(VALU_DEP_1) | instskip(SKIP_1) | instid1(VALU_DEP_2)
	v_mul_f64_e32 v[8:9], v[58:59], v[6:7]
	v_mul_f64_e32 v[62:63], v[56:57], v[6:7]
	v_fma_f64 v[64:65], v[58:59], v[6:7], -v[8:9]
	s_delay_alu instid0(VALU_DEP_1) | instskip(NEXT) | instid1(VALU_DEP_1)
	v_add_f64_e32 v[66:67], v[62:63], v[64:65]
	v_add_f64_e64 v[70:71], v[66:67], -v[62:63]
	v_add_f64_e32 v[74:75], v[8:9], v[66:67]
	s_delay_alu instid0(VALU_DEP_2) | instskip(SKIP_2) | instid1(VALU_DEP_4)
	v_add_f64_e64 v[72:73], v[66:67], -v[70:71]
	v_fma_f64 v[78:79], v[56:57], v[6:7], -v[62:63]
	v_add_f64_e64 v[64:65], v[64:65], -v[70:71]
	v_ldexp_f64 v[70:71], v[74:75], -2
	v_mul_f64_e32 v[76:77], v[14:15], v[6:7]
	v_add_f64_e64 v[62:63], v[62:63], -v[72:73]
	s_delay_alu instid0(VALU_DEP_3) | instskip(NEXT) | instid1(VALU_DEP_3)
	v_cmp_neq_f64_e64 s5, 0x7ff00000, |v[70:71]|
	v_add_f64_e32 v[72:73], v[76:77], v[78:79]
	v_fma_f64 v[6:7], v[14:15], v[6:7], -v[76:77]
	s_delay_alu instid0(VALU_DEP_4) | instskip(SKIP_1) | instid1(VALU_DEP_1)
	v_add_f64_e32 v[62:63], v[64:65], v[62:63]
	v_fract_f64_e32 v[64:65], v[70:71]
	v_ldexp_f64 v[64:65], v[64:65], 2
	s_delay_alu instid0(VALU_DEP_1) | instskip(SKIP_1) | instid1(VALU_DEP_3)
	v_cndmask_b32_e64 v65, 0, v65, s5
	v_add_f64_e64 v[8:9], v[74:75], -v[8:9]
	v_cndmask_b32_e64 v64, 0, v64, s5
	s_delay_alu instid0(VALU_DEP_2) | instskip(SKIP_1) | instid1(VALU_DEP_1)
	v_add_f64_e64 v[8:9], v[66:67], -v[8:9]
	v_add_f64_e32 v[66:67], v[72:73], v[62:63]
	v_add_f64_e32 v[70:71], v[8:9], v[66:67]
	v_add_f64_e64 v[80:81], v[66:67], -v[72:73]
	s_delay_alu instid0(VALU_DEP_2) | instskip(NEXT) | instid1(VALU_DEP_2)
	v_add_f64_e32 v[74:75], v[70:71], v[64:65]
	v_add_f64_e64 v[86:87], v[66:67], -v[80:81]
	v_add_f64_e64 v[62:63], v[62:63], -v[80:81]
	;; [unrolled: 1-line block ×3, first 2 shown]
	s_delay_alu instid0(VALU_DEP_4) | instskip(SKIP_1) | instid1(VALU_DEP_3)
	v_cmp_gt_f64_e64 s5, 0, v[74:75]
	v_add_f64_e64 v[74:75], v[72:73], -v[76:77]
	v_add_f64_e64 v[8:9], v[66:67], -v[8:9]
	s_delay_alu instid0(VALU_DEP_3) | instskip(NEXT) | instid1(VALU_DEP_3)
	v_cndmask_b32_e64 v25, 0, 0x40100000, s5
	v_add_f64_e64 v[84:85], v[72:73], -v[74:75]
	v_add_f64_e64 v[74:75], v[78:79], -v[74:75]
	;; [unrolled: 1-line block ×3, first 2 shown]
	s_delay_alu instid0(VALU_DEP_4) | instskip(NEXT) | instid1(VALU_DEP_4)
	v_add_f64_e32 v[64:65], v[64:65], v[24:25]
	v_add_f64_e64 v[78:79], v[76:77], -v[84:85]
	s_delay_alu instid0(VALU_DEP_3) | instskip(NEXT) | instid1(VALU_DEP_3)
	v_add_f64_e32 v[62:63], v[62:63], v[72:73]
	v_add_f64_e32 v[82:83], v[70:71], v[64:65]
	s_delay_alu instid0(VALU_DEP_3) | instskip(NEXT) | instid1(VALU_DEP_2)
	v_add_f64_e32 v[74:75], v[74:75], v[78:79]
	v_cvt_i32_f64_e32 v25, v[82:83]
	s_delay_alu instid0(VALU_DEP_2) | instskip(NEXT) | instid1(VALU_DEP_2)
	v_add_f64_e32 v[62:63], v[74:75], v[62:63]
	v_cvt_f64_i32_e32 v[80:81], v25
	s_delay_alu instid0(VALU_DEP_2) | instskip(NEXT) | instid1(VALU_DEP_2)
	v_add_f64_e32 v[6:7], v[6:7], v[62:63]
	v_add_f64_e64 v[64:65], v[64:65], -v[80:81]
	s_delay_alu instid0(VALU_DEP_2) | instskip(NEXT) | instid1(VALU_DEP_2)
	v_add_f64_e32 v[6:7], v[8:9], v[6:7]
	v_add_f64_e32 v[72:73], v[70:71], v[64:65]
	s_delay_alu instid0(VALU_DEP_1) | instskip(SKIP_1) | instid1(VALU_DEP_2)
	v_add_f64_e64 v[62:63], v[72:73], -v[64:65]
	v_cmp_le_f64_e64 s5, 0.5, v[72:73]
	v_add_f64_e64 v[8:9], v[70:71], -v[62:63]
	s_delay_alu instid0(VALU_DEP_2) | instskip(SKIP_1) | instid1(VALU_DEP_3)
	v_add_co_ci_u32_e64 v69, null, 0, v25, s5
	v_cndmask_b32_e64 v25, 0, 0x3ff00000, s5
	v_add_f64_e32 v[6:7], v[6:7], v[8:9]
	s_delay_alu instid0(VALU_DEP_2) | instskip(NEXT) | instid1(VALU_DEP_1)
	v_add_f64_e64 v[8:9], v[72:73], -v[24:25]
	v_add_f64_e32 v[62:63], v[8:9], v[6:7]
	s_delay_alu instid0(VALU_DEP_1) | instskip(SKIP_1) | instid1(VALU_DEP_2)
	v_mul_f64_e32 v[64:65], 0x3ff921fb54442d18, v[62:63]
	v_add_f64_e64 v[8:9], v[62:63], -v[8:9]
	v_fma_f64 v[66:67], v[62:63], s[18:19], -v[64:65]
	s_delay_alu instid0(VALU_DEP_2) | instskip(NEXT) | instid1(VALU_DEP_2)
	v_add_f64_e64 v[6:7], v[6:7], -v[8:9]
	v_fmac_f64_e32 v[66:67], 0x3c91a62633145c07, v[62:63]
	s_delay_alu instid0(VALU_DEP_1) | instskip(NEXT) | instid1(VALU_DEP_1)
	v_fmac_f64_e32 v[66:67], 0x3ff921fb54442d18, v[6:7]
	v_add_f64_e32 v[6:7], v[64:65], v[66:67]
	s_delay_alu instid0(VALU_DEP_1) | instskip(NEXT) | instid1(VALU_DEP_1)
	v_add_f64_e64 v[8:9], v[6:7], -v[64:65]
	v_add_f64_e64 v[8:9], v[66:67], -v[8:9]
.LBB137_46:                             ;   in Loop: Header=BB137_4 Depth=1
	s_or_saveexec_b32 s5, s7
	v_mul_f64_e64 v[62:63], |v[16:17]|, s[20:21]
	s_delay_alu instid0(VALU_DEP_1)
	v_rndne_f64_e32 v[66:67], v[62:63]
	s_xor_b32 exec_lo, exec_lo, s5
	s_cbranch_execz .LBB137_48
; %bb.47:                               ;   in Loop: Header=BB137_4 Depth=1
	s_delay_alu instid0(VALU_DEP_1) | instskip(SKIP_2) | instid1(VALU_DEP_3)
	v_fma_f64 v[6:7], v[66:67], s[22:23], |v[16:17]|
	v_mul_f64_e32 v[8:9], 0xbc91a62633145c00, v[66:67]
	v_cvt_i32_f64_e32 v69, v[66:67]
	v_fmamk_f64 v[70:71], v[66:67], 0xbc91a62633145c00, v[6:7]
	s_delay_alu instid0(VALU_DEP_3) | instskip(NEXT) | instid1(VALU_DEP_1)
	v_add_f64_e32 v[62:63], v[6:7], v[8:9]
	v_add_f64_e64 v[64:65], v[6:7], -v[62:63]
	s_delay_alu instid0(VALU_DEP_3) | instskip(NEXT) | instid1(VALU_DEP_2)
	v_add_f64_e64 v[6:7], v[62:63], -v[70:71]
	v_add_f64_e32 v[62:63], v[64:65], v[8:9]
	v_fmamk_f64 v[8:9], v[66:67], 0x3c91a62633145c00, v[8:9]
	s_delay_alu instid0(VALU_DEP_2) | instskip(NEXT) | instid1(VALU_DEP_1)
	v_add_f64_e32 v[6:7], v[6:7], v[62:63]
	v_add_f64_e64 v[8:9], v[6:7], -v[8:9]
	s_delay_alu instid0(VALU_DEP_1) | instskip(NEXT) | instid1(VALU_DEP_1)
	v_fmac_f64_e32 v[8:9], 0xb97b839a252049c0, v[66:67]
	v_add_f64_e32 v[6:7], v[70:71], v[8:9]
	s_delay_alu instid0(VALU_DEP_1) | instskip(NEXT) | instid1(VALU_DEP_1)
	v_add_f64_e64 v[62:63], v[6:7], -v[70:71]
	v_add_f64_e64 v[8:9], v[8:9], -v[62:63]
.LBB137_48:                             ;   in Loop: Header=BB137_4 Depth=1
	s_or_b32 exec_lo, exec_lo, s5
                                        ; implicit-def: $vgpr70
                                        ; implicit-def: $vgpr62_vgpr63
                                        ; implicit-def: $vgpr64_vgpr65
	s_and_saveexec_b32 s5, s6
	s_delay_alu instid0(SALU_CYCLE_1)
	s_xor_b32 s6, exec_lo, s5
	s_cbranch_execz .LBB137_50
; %bb.49:                               ;   in Loop: Header=BB137_4 Depth=1
	v_cmp_le_f64_e64 s5, 0x7b000000, |v[16:17]|
	s_delay_alu instid0(VALU_DEP_1) | instskip(SKIP_1) | instid1(VALU_DEP_1)
	v_cndmask_b32_e64 v61, v68, v61, s5
	v_cndmask_b32_e64 v60, v16, v60, s5
	v_mul_f64_e32 v[62:63], v[58:59], v[60:61]
	v_mul_f64_e32 v[64:65], v[56:57], v[60:61]
	s_delay_alu instid0(VALU_DEP_2) | instskip(NEXT) | instid1(VALU_DEP_1)
	v_fma_f64 v[58:59], v[58:59], v[60:61], -v[62:63]
	v_add_f64_e32 v[66:67], v[64:65], v[58:59]
	s_delay_alu instid0(VALU_DEP_1) | instskip(SKIP_1) | instid1(VALU_DEP_2)
	v_add_f64_e64 v[70:71], v[66:67], -v[64:65]
	v_add_f64_e32 v[74:75], v[62:63], v[66:67]
	v_add_f64_e64 v[72:73], v[66:67], -v[70:71]
	v_fma_f64 v[56:57], v[56:57], v[60:61], -v[64:65]
	v_add_f64_e64 v[58:59], v[58:59], -v[70:71]
	s_delay_alu instid0(VALU_DEP_4) | instskip(SKIP_3) | instid1(VALU_DEP_4)
	v_ldexp_f64 v[70:71], v[74:75], -2
	v_mul_f64_e32 v[76:77], v[14:15], v[60:61]
	v_add_f64_e64 v[62:63], v[74:75], -v[62:63]
	v_add_f64_e64 v[64:65], v[64:65], -v[72:73]
	v_cmp_neq_f64_e64 s5, 0x7ff00000, |v[70:71]|
	s_delay_alu instid0(VALU_DEP_4) | instskip(SKIP_1) | instid1(VALU_DEP_4)
	v_add_f64_e32 v[72:73], v[76:77], v[56:57]
	v_fma_f64 v[14:15], v[14:15], v[60:61], -v[76:77]
	v_add_f64_e32 v[58:59], v[58:59], v[64:65]
	v_fract_f64_e32 v[64:65], v[70:71]
	s_delay_alu instid0(VALU_DEP_1) | instskip(NEXT) | instid1(VALU_DEP_1)
	v_ldexp_f64 v[64:65], v[64:65], 2
	v_dual_add_f64 v[62:63], v[66:67], -v[62:63] :: v_dual_cndmask_b32 v65, 0, v65, s5
	s_delay_alu instid0(VALU_DEP_2) | instskip(NEXT) | instid1(VALU_DEP_1)
	v_dual_add_f64 v[66:67], v[72:73], v[58:59] :: v_dual_cndmask_b32 v64, 0, v64, s5
	v_add_f64_e32 v[70:71], v[62:63], v[66:67]
	v_add_f64_e64 v[78:79], v[66:67], -v[72:73]
	s_delay_alu instid0(VALU_DEP_2) | instskip(NEXT) | instid1(VALU_DEP_2)
	v_add_f64_e32 v[74:75], v[70:71], v[64:65]
	v_add_f64_e64 v[84:85], v[66:67], -v[78:79]
	v_add_f64_e64 v[58:59], v[58:59], -v[78:79]
	;; [unrolled: 1-line block ×3, first 2 shown]
	s_delay_alu instid0(VALU_DEP_4) | instskip(SKIP_1) | instid1(VALU_DEP_3)
	v_cmp_gt_f64_e64 s5, 0, v[74:75]
	v_add_f64_e64 v[74:75], v[72:73], -v[76:77]
	v_add_f64_e64 v[60:61], v[66:67], -v[60:61]
                                        ; implicit-def: $vgpr66_vgpr67
	s_delay_alu instid0(VALU_DEP_3) | instskip(NEXT) | instid1(VALU_DEP_3)
	v_cndmask_b32_e64 v25, 0, 0x40100000, s5
	v_add_f64_e64 v[82:83], v[72:73], -v[74:75]
	v_add_f64_e64 v[56:57], v[56:57], -v[74:75]
	;; [unrolled: 1-line block ×3, first 2 shown]
	s_delay_alu instid0(VALU_DEP_4) | instskip(NEXT) | instid1(VALU_DEP_4)
	v_add_f64_e32 v[64:65], v[64:65], v[24:25]
	v_add_f64_e64 v[74:75], v[76:77], -v[82:83]
	s_delay_alu instid0(VALU_DEP_3) | instskip(NEXT) | instid1(VALU_DEP_3)
	v_add_f64_e32 v[58:59], v[58:59], v[72:73]
	v_add_f64_e32 v[80:81], v[70:71], v[64:65]
	s_delay_alu instid0(VALU_DEP_3) | instskip(NEXT) | instid1(VALU_DEP_2)
	v_add_f64_e32 v[56:57], v[56:57], v[74:75]
	v_cvt_i32_f64_e32 v25, v[80:81]
	s_delay_alu instid0(VALU_DEP_2) | instskip(NEXT) | instid1(VALU_DEP_2)
	v_add_f64_e32 v[56:57], v[56:57], v[58:59]
	v_cvt_f64_i32_e32 v[78:79], v25
	s_delay_alu instid0(VALU_DEP_2) | instskip(NEXT) | instid1(VALU_DEP_2)
	v_add_f64_e32 v[14:15], v[14:15], v[56:57]
	v_add_f64_e64 v[64:65], v[64:65], -v[78:79]
	s_delay_alu instid0(VALU_DEP_2) | instskip(NEXT) | instid1(VALU_DEP_2)
	v_add_f64_e32 v[14:15], v[60:61], v[14:15]
	v_add_f64_e32 v[58:59], v[70:71], v[64:65]
	s_delay_alu instid0(VALU_DEP_1) | instskip(SKIP_1) | instid1(VALU_DEP_2)
	v_add_f64_e64 v[56:57], v[58:59], -v[64:65]
	v_cmp_le_f64_e64 s5, 0.5, v[58:59]
	v_add_f64_e64 v[56:57], v[70:71], -v[56:57]
	s_delay_alu instid0(VALU_DEP_2) | instskip(SKIP_1) | instid1(VALU_DEP_3)
	v_add_co_ci_u32_e64 v70, null, 0, v25, s5
	v_cndmask_b32_e64 v25, 0, 0x3ff00000, s5
	v_add_f64_e32 v[14:15], v[14:15], v[56:57]
	s_delay_alu instid0(VALU_DEP_2) | instskip(NEXT) | instid1(VALU_DEP_1)
	v_add_f64_e64 v[56:57], v[58:59], -v[24:25]
	v_add_f64_e32 v[58:59], v[56:57], v[14:15]
	s_delay_alu instid0(VALU_DEP_1) | instskip(SKIP_1) | instid1(VALU_DEP_2)
	v_mul_f64_e32 v[60:61], 0x3ff921fb54442d18, v[58:59]
	v_add_f64_e64 v[56:57], v[58:59], -v[56:57]
	v_fma_f64 v[64:65], v[58:59], s[18:19], -v[60:61]
	s_delay_alu instid0(VALU_DEP_2) | instskip(NEXT) | instid1(VALU_DEP_2)
	v_add_f64_e64 v[14:15], v[14:15], -v[56:57]
	v_fmac_f64_e32 v[64:65], 0x3c91a62633145c07, v[58:59]
	s_delay_alu instid0(VALU_DEP_1) | instskip(NEXT) | instid1(VALU_DEP_1)
	v_fmac_f64_e32 v[64:65], 0x3ff921fb54442d18, v[14:15]
	v_add_f64_e32 v[62:63], v[60:61], v[64:65]
	s_delay_alu instid0(VALU_DEP_1) | instskip(NEXT) | instid1(VALU_DEP_1)
	v_add_f64_e64 v[14:15], v[62:63], -v[60:61]
	v_add_f64_e64 v[64:65], v[64:65], -v[14:15]
	s_and_not1_saveexec_b32 s5, s6
	s_cbranch_execnz .LBB137_51
	s_branch .LBB137_52
.LBB137_50:                             ;   in Loop: Header=BB137_4 Depth=1
	s_and_not1_saveexec_b32 s5, s6
	s_cbranch_execz .LBB137_52
.LBB137_51:                             ;   in Loop: Header=BB137_4 Depth=1
	s_delay_alu instid0(VALU_DEP_1) | instskip(SKIP_2) | instid1(VALU_DEP_2)
	v_fma_f64 v[14:15], v[66:67], s[22:23], |v[16:17]|
	v_mul_f64_e32 v[56:57], 0xbc91a62633145c00, v[66:67]
	v_cvt_i32_f64_e32 v70, v[66:67]
	v_add_f64_e32 v[58:59], v[14:15], v[56:57]
	s_delay_alu instid0(VALU_DEP_1) | instskip(SKIP_1) | instid1(VALU_DEP_1)
	v_add_f64_e64 v[60:61], v[14:15], -v[58:59]
	v_fmamk_f64 v[14:15], v[66:67], 0xbc91a62633145c00, v[14:15]
	v_add_f64_e64 v[58:59], v[58:59], -v[14:15]
	s_delay_alu instid0(VALU_DEP_3) | instskip(SKIP_1) | instid1(VALU_DEP_2)
	v_add_f64_e32 v[60:61], v[60:61], v[56:57]
	v_fmamk_f64 v[56:57], v[66:67], 0x3c91a62633145c00, v[56:57]
	v_add_f64_e32 v[58:59], v[58:59], v[60:61]
	s_delay_alu instid0(VALU_DEP_1) | instskip(NEXT) | instid1(VALU_DEP_1)
	v_add_f64_e64 v[56:57], v[58:59], -v[56:57]
	v_fmac_f64_e32 v[56:57], 0xb97b839a252049c0, v[66:67]
	s_delay_alu instid0(VALU_DEP_1) | instskip(NEXT) | instid1(VALU_DEP_1)
	v_add_f64_e32 v[62:63], v[14:15], v[56:57]
	v_add_f64_e64 v[14:15], v[62:63], -v[14:15]
	s_delay_alu instid0(VALU_DEP_1)
	v_add_f64_e64 v[64:65], v[56:57], -v[14:15]
.LBB137_52:                             ;   in Loop: Header=BB137_4 Depth=1
	s_or_b32 exec_lo, exec_lo, s5
	v_dual_mul_f64 v[14:15], v[6:7], v[6:7] :: v_dual_bitop2_b32 v25, 1, v69 bitop3:0x40
	v_mul_f64_e32 v[56:57], v[62:63], v[62:63]
	s_delay_alu instid0(VALU_DEP_3) | instskip(NEXT) | instid1(VALU_DEP_4)
	v_mul_f64_e32 v[74:75], 0.5, v[8:9]
	v_mul_f64_e32 v[82:83], 0.5, v[64:65]
	v_cmp_class_f64_e64 s6, v[16:17], 0x1f8
	v_cmp_eq_u32_e64 s5, 0, v25
	v_lshlrev_b32_e32 v16, 30, v70
	s_delay_alu instid0(VALU_DEP_1) | instskip(SKIP_4) | instid1(VALU_DEP_3)
	v_dual_mul_f64 v[76:77], v[6:7], -v[14:15] :: v_dual_bitop2_b32 v16, v16, v17 bitop3:0x14
	v_mul_f64_e32 v[58:59], 0.5, v[14:15]
	v_fmamk_f64 v[80:81], v[14:15], 0x3de5e0b2f9a43bb8, v[34:35]
	v_mul_f64_e64 v[84:85], v[62:63], -v[56:57]
	v_fmamk_f64 v[88:89], v[56:57], 0x3de5e0b2f9a43bb8, v[34:35]
	v_fmaak_f64 v[80:81], v[14:15], v[80:81], 0x3ec71de3796cde01
	s_delay_alu instid0(VALU_DEP_1) | instskip(NEXT) | instid1(VALU_DEP_1)
	v_fmaak_f64 v[80:81], v[14:15], v[80:81], 0xbf2a01a019e83e5c
	v_fmaak_f64 v[80:81], v[14:15], v[80:81], 0x3f81111111110bb3
	s_delay_alu instid0(VALU_DEP_1) | instskip(SKIP_2) | instid1(VALU_DEP_3)
	v_fmac_f64_e32 v[74:75], v[76:77], v[80:81]
	v_add_f64_e64 v[66:67], -v[58:59], 1.0
	v_mul_f64_e32 v[80:81], v[14:15], v[14:15]
	v_fma_f64 v[74:75], v[14:15], v[74:75], -v[8:9]
	s_delay_alu instid0(VALU_DEP_3) | instskip(NEXT) | instid1(VALU_DEP_2)
	v_add_f64_e64 v[78:79], -v[66:67], 1.0
	v_fmac_f64_e32 v[74:75], 0xbfc5555555555555, v[76:77]
	s_delay_alu instid0(VALU_DEP_2) | instskip(SKIP_1) | instid1(VALU_DEP_1)
	v_add_f64_e64 v[58:59], v[78:79], -v[58:59]
	v_fmaak_f64 v[78:79], v[56:57], v[88:89], 0x3ec71de3796cde01
	v_fmaak_f64 v[78:79], v[56:57], v[78:79], 0xbf2a01a019e83e5c
	s_delay_alu instid0(VALU_DEP_1) | instskip(NEXT) | instid1(VALU_DEP_1)
	v_fmaak_f64 v[78:79], v[56:57], v[78:79], 0x3f81111111110bb3
	v_fmac_f64_e32 v[82:83], v[84:85], v[78:79]
	v_fmamk_f64 v[78:79], v[14:15], 0xbda907db46cc5e42, v[32:33]
	v_fma_f64 v[8:9], v[6:7], -v[8:9], v[58:59]
	s_delay_alu instid0(VALU_DEP_2) | instskip(SKIP_1) | instid1(VALU_DEP_2)
	v_fmaak_f64 v[58:59], v[14:15], v[78:79], 0xbe927e4fa17f65f6
	v_add_f64_e64 v[6:7], v[6:7], -v[74:75]
	v_fmaak_f64 v[58:59], v[14:15], v[58:59], 0x3efa01a019f4ec90
	s_delay_alu instid0(VALU_DEP_1) | instskip(NEXT) | instid1(VALU_DEP_1)
	v_fmaak_f64 v[58:59], v[14:15], v[58:59], 0xbf56c16c16c16967
	v_fmaak_f64 v[14:15], v[14:15], v[58:59], 0x3fa5555555555555
	s_delay_alu instid0(VALU_DEP_1) | instskip(SKIP_1) | instid1(VALU_DEP_2)
	v_fmac_f64_e32 v[8:9], v[80:81], v[14:15]
	v_xor_b32_e32 v7, 0x80000000, v7
	v_add_f64_e32 v[8:9], v[66:67], v[8:9]
	s_delay_alu instid0(VALU_DEP_1) | instskip(NEXT) | instid1(VALU_DEP_1)
	v_dual_cndmask_b32 v6, v6, v8, s5 :: v_dual_bitop2_b32 v8, 1, v70 bitop3:0x40
	v_dual_cndmask_b32 v7, v7, v9, s5 :: v_dual_cndmask_b32 v6, 0, v6, s6
	s_delay_alu instid0(VALU_DEP_2) | instskip(SKIP_4) | instid1(VALU_DEP_4)
	v_cmp_eq_u32_e64 s7, 0, v8
	v_lshlrev_b32_e32 v8, 30, v69
	v_mul_f64_e32 v[60:61], 0.5, v[56:57]
	v_fmamk_f64 v[78:79], v[56:57], 0xbda907db46cc5e42, v[32:33]
	v_fma_f64 v[82:83], v[56:57], v[82:83], -v[64:65]
	v_bitop3_b32 v7, v7, v8, 0x80000000 bitop3:0x78
	s_delay_alu instid0(VALU_DEP_3) | instskip(NEXT) | instid1(VALU_DEP_2)
	v_fmaak_f64 v[58:59], v[56:57], v[78:79], 0xbe927e4fa17f65f6
	v_cndmask_b32_e64 v7, 0x7ff80000, v7, s6
	s_delay_alu instid0(VALU_DEP_2) | instskip(NEXT) | instid1(VALU_DEP_1)
	v_fmaak_f64 v[14:15], v[56:57], v[58:59], 0x3efa01a019f4ec90
	v_fmaak_f64 v[14:15], v[56:57], v[14:15], 0xbf56c16c16c16967
	s_delay_alu instid0(VALU_DEP_1) | instskip(SKIP_2) | instid1(VALU_DEP_2)
	v_fmaak_f64 v[14:15], v[56:57], v[14:15], 0x3fa5555555555555
	v_add_f64_e64 v[72:73], -v[60:61], 1.0
	v_fmac_f64_e32 v[82:83], 0xbfc5555555555555, v[84:85]
	v_add_f64_e64 v[86:87], -v[72:73], 1.0
	s_delay_alu instid0(VALU_DEP_1) | instskip(SKIP_1) | instid1(VALU_DEP_2)
	v_add_f64_e64 v[60:61], v[86:87], -v[60:61]
	v_mul_f64_e32 v[86:87], v[56:57], v[56:57]
	v_fma_f64 v[60:61], v[62:63], -v[64:65], v[60:61]
	s_delay_alu instid0(VALU_DEP_1) | instskip(SKIP_1) | instid1(VALU_DEP_2)
	v_fmac_f64_e32 v[60:61], v[86:87], v[14:15]
	v_add_f64_e64 v[14:15], v[62:63], -v[82:83]
	v_add_f64_e32 v[56:57], v[72:73], v[60:61]
	s_delay_alu instid0(VALU_DEP_1) | instskip(NEXT) | instid1(VALU_DEP_1)
	v_dual_cndmask_b32 v9, v56, v14, s7 :: v_dual_cndmask_b32 v14, v57, v15, s7
	v_cndmask_b32_e64 v8, 0, v9, s6
	s_delay_alu instid0(VALU_DEP_2) | instskip(NEXT) | instid1(VALU_DEP_1)
	v_bitop3_b32 v14, v14, v16, 0x80000000 bitop3:0x78
	v_cndmask_b32_e64 v9, 0x7ff80000, v14, s6
.LBB137_53:                             ;   in Loop: Header=BB137_4 Depth=1
	s_or_b32 exec_lo, exec_lo, s8
                                        ; implicit-def: $vgpr14_vgpr15
.LBB137_54:                             ;   in Loop: Header=BB137_4 Depth=1
	s_and_not1_saveexec_b32 s7, s31
	s_cbranch_execz .LBB137_56
; %bb.55:                               ;   in Loop: Header=BB137_4 Depth=1
	v_mul_f64_e32 v[6:7], 0x3ff71547652b82fe, v[14:15]
	v_cmp_nlt_f64_e64 s5, 0x40900000, v[14:15]
	v_cmp_ngt_f64_e64 s6, 0xc090cc00, v[14:15]
	s_delay_alu instid0(VALU_DEP_3) | instskip(NEXT) | instid1(VALU_DEP_1)
	v_rndne_f64_e32 v[6:7], v[6:7]
	v_fmamk_f64 v[8:9], v[6:7], 0xbfe62e42fefa39ef, v[14:15]
	v_cvt_i32_f64_e32 v25, v[6:7]
	s_delay_alu instid0(VALU_DEP_2) | instskip(NEXT) | instid1(VALU_DEP_1)
	v_fmac_f64_e32 v[8:9], 0xbc7abc9e3b39803f, v[6:7]
	v_fmamk_f64 v[56:57], v[8:9], 0x3e5ade156a5dcb37, v[30:31]
	s_delay_alu instid0(VALU_DEP_1) | instskip(NEXT) | instid1(VALU_DEP_1)
	v_fmaak_f64 v[56:57], v[8:9], v[56:57], 0x3ec71dee623fde64
	v_fmaak_f64 v[56:57], v[8:9], v[56:57], 0x3efa01997c89e6b0
	s_delay_alu instid0(VALU_DEP_1) | instskip(NEXT) | instid1(VALU_DEP_1)
	v_fmaak_f64 v[56:57], v[8:9], v[56:57], 0x3f2a01a014761f6e
	v_fmaak_f64 v[56:57], v[8:9], v[56:57], 0x3f56c16c1852b7b0
	s_delay_alu instid0(VALU_DEP_1) | instskip(NEXT) | instid1(VALU_DEP_1)
	v_fmaak_f64 v[56:57], v[8:9], v[56:57], 0x3f81111111122322
	v_fmaak_f64 v[56:57], v[8:9], v[56:57], 0x3fa55555555502a1
	s_delay_alu instid0(VALU_DEP_1) | instskip(NEXT) | instid1(VALU_DEP_1)
	v_fmaak_f64 v[56:57], v[8:9], v[56:57], 0x3fc5555555555511
	v_fmaak_f64 v[56:57], v[8:9], v[56:57], 0x3fe000000000000b
	s_delay_alu instid0(VALU_DEP_1) | instskip(NEXT) | instid1(VALU_DEP_1)
	v_fma_f64 v[56:57], v[8:9], v[56:57], 1.0
	v_fma_f64 v[6:7], v[8:9], v[56:57], 1.0
	v_mov_b64_e32 v[8:9], v[16:17]
	s_delay_alu instid0(VALU_DEP_2) | instskip(NEXT) | instid1(VALU_DEP_1)
	v_ldexp_f64 v[6:7], v[6:7], v25
	v_cndmask_b32_e64 v7, 0x7ff00000, v7, s5
	s_and_b32 s5, s6, s5
	s_delay_alu instid0(VALU_DEP_1) | instid1(SALU_CYCLE_1)
	v_dual_cndmask_b32 v6, 0, v6, s5 :: v_dual_cndmask_b32 v7, 0, v7, s6
.LBB137_56:                             ;   in Loop: Header=BB137_4 Depth=1
	s_or_b32 exec_lo, exec_lo, s7
	v_and_b32_e32 v68, 0x7fffffff, v21
	s_delay_alu instid0(VALU_DEP_1) | instskip(NEXT) | instid1(VALU_DEP_1)
	v_or_b32_e32 v14, v68, v20
	v_cmp_ne_u32_e64 s5, 0, v14
                                        ; implicit-def: $vgpr16_vgpr17
	s_and_saveexec_b32 s6, s5
	s_delay_alu instid0(SALU_CYCLE_1)
	s_xor_b32 s31, exec_lo, s6
	s_cbranch_execz .LBB137_98
; %bb.57:                               ;   in Loop: Header=BB137_4 Depth=1
	v_and_b32_e32 v25, 0x7fffffff, v19
	s_delay_alu instid0(VALU_DEP_1) | instskip(NEXT) | instid1(VALU_DEP_1)
	v_or_b32_e32 v14, v25, v18
	v_cmp_ne_u32_e64 s5, 0, v14
                                        ; implicit-def: $vgpr16_vgpr17
	s_and_saveexec_b32 s6, s5
	s_delay_alu instid0(SALU_CYCLE_1)
	s_xor_b32 s33, exec_lo, s6
	s_cbranch_execz .LBB137_87
; %bb.58:                               ;   in Loop: Header=BB137_4 Depth=1
                                        ; implicit-def: $vgpr16_vgpr17
	s_mov_b32 s6, exec_lo
	v_cmpx_gt_u32_e32 0x7ff00000, v68
	s_xor_b32 s34, exec_lo, s6
	s_cbranch_execz .LBB137_80
; %bb.59:                               ;   in Loop: Header=BB137_4 Depth=1
	v_add_nc_u32_e32 v14, 0xbf79d1be, v19
	s_delay_alu instid0(VALU_DEP_1) | instskip(SKIP_1) | instid1(SALU_CYCLE_1)
	v_cmp_lt_u32_e64 s5, 0x108aa2, v14
                                        ; implicit-def: $vgpr16_vgpr17
	s_and_saveexec_b32 s6, s5
	s_xor_b32 s35, exec_lo, s6
	s_cbranch_execz .LBB137_69
; %bb.60:                               ;   in Loop: Header=BB137_4 Depth=1
	v_cmp_ngt_f64_e64 s6, 0x41d00000, |v[20:21]|
                                        ; implicit-def: $vgpr60
                                        ; implicit-def: $vgpr14_vgpr15
                                        ; implicit-def: $vgpr16_vgpr17
	s_and_saveexec_b32 s5, s6
	s_delay_alu instid0(SALU_CYCLE_1)
	s_xor_b32 s7, exec_lo, s5
	s_cbranch_execz .LBB137_62
; %bb.61:                               ;   in Loop: Header=BB137_4 Depth=1
	v_ldexp_f64 v[14:15], |v[20:21]|, 0xffffff80
	v_cmp_le_f64_e64 s5, 0x7b000000, |v[20:21]|
	v_trig_preop_f64 v[16:17], |v[20:21]|, 0
	v_trig_preop_f64 v[56:57], |v[20:21]|, 1
	;; [unrolled: 1-line block ×3, first 2 shown]
	s_delay_alu instid0(VALU_DEP_4) | instskip(SKIP_1) | instid1(VALU_DEP_1)
	v_cndmask_b32_e64 v15, v68, v15, s5
	v_cndmask_b32_e64 v14, v20, v14, s5
	v_mul_f64_e32 v[58:59], v[16:17], v[14:15]
	v_mul_f64_e32 v[60:61], v[56:57], v[14:15]
	s_delay_alu instid0(VALU_DEP_2) | instskip(NEXT) | instid1(VALU_DEP_1)
	v_fma_f64 v[16:17], v[16:17], v[14:15], -v[58:59]
	v_add_f64_e32 v[62:63], v[60:61], v[16:17]
	s_delay_alu instid0(VALU_DEP_1) | instskip(SKIP_1) | instid1(VALU_DEP_2)
	v_add_f64_e64 v[64:65], v[62:63], -v[60:61]
	v_add_f64_e32 v[72:73], v[58:59], v[62:63]
	v_add_f64_e64 v[70:71], v[62:63], -v[64:65]
	v_fma_f64 v[56:57], v[56:57], v[14:15], -v[60:61]
	v_add_f64_e64 v[16:17], v[16:17], -v[64:65]
	s_delay_alu instid0(VALU_DEP_4) | instskip(SKIP_2) | instid1(VALU_DEP_3)
	v_ldexp_f64 v[64:65], v[72:73], -2
	v_mul_f64_e32 v[74:75], v[66:67], v[14:15]
	v_add_f64_e64 v[60:61], v[60:61], -v[70:71]
	v_cmp_neq_f64_e64 s5, 0x7ff00000, |v[64:65]|
	s_delay_alu instid0(VALU_DEP_3) | instskip(SKIP_1) | instid1(VALU_DEP_4)
	v_add_f64_e32 v[70:71], v[74:75], v[56:57]
	v_fma_f64 v[14:15], v[66:67], v[14:15], -v[74:75]
	v_add_f64_e32 v[16:17], v[16:17], v[60:61]
	v_fract_f64_e32 v[60:61], v[64:65]
	s_delay_alu instid0(VALU_DEP_1) | instskip(NEXT) | instid1(VALU_DEP_1)
	v_ldexp_f64 v[60:61], v[60:61], 2
	v_dual_add_f64 v[58:59], v[72:73], -v[58:59] :: v_dual_cndmask_b32 v61, 0, v61, s5
	s_delay_alu instid0(VALU_DEP_1) | instskip(SKIP_1) | instid1(VALU_DEP_1)
	v_dual_add_f64 v[58:59], v[62:63], -v[58:59] :: v_dual_cndmask_b32 v60, 0, v60, s5
	v_add_f64_e32 v[62:63], v[70:71], v[16:17]
	v_add_f64_e32 v[64:65], v[58:59], v[62:63]
	v_add_f64_e64 v[76:77], v[62:63], -v[70:71]
	s_delay_alu instid0(VALU_DEP_2) | instskip(NEXT) | instid1(VALU_DEP_2)
	v_add_f64_e32 v[72:73], v[64:65], v[60:61]
	v_add_f64_e64 v[82:83], v[62:63], -v[76:77]
	v_add_f64_e64 v[16:17], v[16:17], -v[76:77]
	;; [unrolled: 1-line block ×3, first 2 shown]
	s_delay_alu instid0(VALU_DEP_4) | instskip(SKIP_1) | instid1(VALU_DEP_3)
	v_cmp_gt_f64_e64 s5, 0, v[72:73]
	v_add_f64_e64 v[72:73], v[70:71], -v[74:75]
	v_add_f64_e64 v[58:59], v[62:63], -v[58:59]
	s_delay_alu instid0(VALU_DEP_3) | instskip(NEXT) | instid1(VALU_DEP_3)
	v_cndmask_b32_e64 v25, 0, 0x40100000, s5
	v_add_f64_e64 v[80:81], v[70:71], -v[72:73]
	v_add_f64_e64 v[56:57], v[56:57], -v[72:73]
	;; [unrolled: 1-line block ×3, first 2 shown]
	s_delay_alu instid0(VALU_DEP_4) | instskip(NEXT) | instid1(VALU_DEP_4)
	v_add_f64_e32 v[60:61], v[60:61], v[24:25]
	v_add_f64_e64 v[72:73], v[74:75], -v[80:81]
	s_delay_alu instid0(VALU_DEP_3) | instskip(NEXT) | instid1(VALU_DEP_3)
	v_add_f64_e32 v[16:17], v[16:17], v[70:71]
	v_add_f64_e32 v[78:79], v[64:65], v[60:61]
	s_delay_alu instid0(VALU_DEP_3) | instskip(NEXT) | instid1(VALU_DEP_2)
	v_add_f64_e32 v[56:57], v[56:57], v[72:73]
	v_cvt_i32_f64_e32 v25, v[78:79]
	s_delay_alu instid0(VALU_DEP_2) | instskip(NEXT) | instid1(VALU_DEP_2)
	v_add_f64_e32 v[16:17], v[56:57], v[16:17]
	v_cvt_f64_i32_e32 v[76:77], v25
	s_delay_alu instid0(VALU_DEP_2) | instskip(NEXT) | instid1(VALU_DEP_2)
	v_add_f64_e32 v[14:15], v[14:15], v[16:17]
	v_add_f64_e64 v[60:61], v[60:61], -v[76:77]
	s_delay_alu instid0(VALU_DEP_2) | instskip(NEXT) | instid1(VALU_DEP_2)
	v_add_f64_e32 v[14:15], v[58:59], v[14:15]
	v_add_f64_e32 v[56:57], v[64:65], v[60:61]
	s_delay_alu instid0(VALU_DEP_1) | instskip(SKIP_1) | instid1(VALU_DEP_2)
	v_add_f64_e64 v[16:17], v[56:57], -v[60:61]
	v_cmp_le_f64_e64 s5, 0.5, v[56:57]
	v_add_f64_e64 v[16:17], v[64:65], -v[16:17]
	s_delay_alu instid0(VALU_DEP_2) | instskip(SKIP_1) | instid1(VALU_DEP_3)
	v_add_co_ci_u32_e64 v60, null, 0, v25, s5
	v_cndmask_b32_e64 v25, 0, 0x3ff00000, s5
	v_add_f64_e32 v[14:15], v[14:15], v[16:17]
	s_delay_alu instid0(VALU_DEP_2) | instskip(NEXT) | instid1(VALU_DEP_1)
	v_add_f64_e64 v[16:17], v[56:57], -v[24:25]
	v_add_f64_e32 v[56:57], v[16:17], v[14:15]
	s_delay_alu instid0(VALU_DEP_1) | instskip(SKIP_1) | instid1(VALU_DEP_2)
	v_mul_f64_e32 v[58:59], 0x3ff921fb54442d18, v[56:57]
	v_add_f64_e64 v[16:17], v[56:57], -v[16:17]
	v_fma_f64 v[62:63], v[56:57], s[18:19], -v[58:59]
	s_delay_alu instid0(VALU_DEP_2) | instskip(NEXT) | instid1(VALU_DEP_2)
	v_add_f64_e64 v[14:15], v[14:15], -v[16:17]
	v_fmac_f64_e32 v[62:63], 0x3c91a62633145c07, v[56:57]
	s_delay_alu instid0(VALU_DEP_1) | instskip(NEXT) | instid1(VALU_DEP_1)
	v_fmac_f64_e32 v[62:63], 0x3ff921fb54442d18, v[14:15]
	v_add_f64_e32 v[14:15], v[58:59], v[62:63]
	s_delay_alu instid0(VALU_DEP_1) | instskip(NEXT) | instid1(VALU_DEP_1)
	v_add_f64_e64 v[16:17], v[14:15], -v[58:59]
	v_add_f64_e64 v[16:17], v[62:63], -v[16:17]
	s_and_not1_saveexec_b32 s5, s7
	s_cbranch_execz .LBB137_64
	s_branch .LBB137_63
.LBB137_62:                             ;   in Loop: Header=BB137_4 Depth=1
	s_and_not1_saveexec_b32 s5, s7
	s_cbranch_execz .LBB137_64
.LBB137_63:                             ;   in Loop: Header=BB137_4 Depth=1
	v_mul_f64_e64 v[14:15], |v[20:21]|, s[20:21]
	s_delay_alu instid0(VALU_DEP_1) | instskip(NEXT) | instid1(VALU_DEP_1)
	v_rndne_f64_e32 v[56:57], v[14:15]
	v_fma_f64 v[14:15], v[56:57], s[22:23], |v[20:21]|
	v_mul_f64_e32 v[16:17], 0xbc91a62633145c00, v[56:57]
	s_delay_alu instid0(VALU_DEP_2) | instskip(NEXT) | instid1(VALU_DEP_2)
	v_fmamk_f64 v[62:63], v[56:57], 0xbc91a62633145c00, v[14:15]
	v_add_f64_e32 v[58:59], v[14:15], v[16:17]
	s_delay_alu instid0(VALU_DEP_1) | instskip(NEXT) | instid1(VALU_DEP_3)
	v_add_f64_e64 v[60:61], v[14:15], -v[58:59]
	v_add_f64_e64 v[14:15], v[58:59], -v[62:63]
	s_delay_alu instid0(VALU_DEP_2) | instskip(SKIP_2) | instid1(VALU_DEP_3)
	v_add_f64_e32 v[58:59], v[60:61], v[16:17]
	v_fmamk_f64 v[16:17], v[56:57], 0x3c91a62633145c00, v[16:17]
	v_cvt_i32_f64_e32 v60, v[56:57]
	v_add_f64_e32 v[14:15], v[14:15], v[58:59]
	s_delay_alu instid0(VALU_DEP_1) | instskip(NEXT) | instid1(VALU_DEP_1)
	v_add_f64_e64 v[16:17], v[14:15], -v[16:17]
	v_fmac_f64_e32 v[16:17], 0xb97b839a252049c0, v[56:57]
	s_delay_alu instid0(VALU_DEP_1) | instskip(NEXT) | instid1(VALU_DEP_1)
	v_add_f64_e32 v[14:15], v[62:63], v[16:17]
	v_add_f64_e64 v[58:59], v[14:15], -v[62:63]
	s_delay_alu instid0(VALU_DEP_1)
	v_add_f64_e64 v[16:17], v[16:17], -v[58:59]
.LBB137_64:                             ;   in Loop: Header=BB137_4 Depth=1
	s_or_b32 exec_lo, exec_lo, s5
                                        ; implicit-def: $vgpr61
                                        ; implicit-def: $vgpr56_vgpr57
                                        ; implicit-def: $vgpr58_vgpr59
	s_and_saveexec_b32 s5, s6
	s_delay_alu instid0(SALU_CYCLE_1)
	s_xor_b32 s6, exec_lo, s5
	s_cbranch_execz .LBB137_66
; %bb.65:                               ;   in Loop: Header=BB137_4 Depth=1
	v_ldexp_f64 v[56:57], |v[20:21]|, 0xffffff80
	v_cmp_le_f64_e64 s5, 0x7b000000, |v[20:21]|
	v_trig_preop_f64 v[58:59], |v[20:21]|, 0
	v_trig_preop_f64 v[62:63], |v[20:21]|, 1
	v_trig_preop_f64 v[72:73], |v[20:21]|, 2
	s_delay_alu instid0(VALU_DEP_4) | instskip(SKIP_1) | instid1(VALU_DEP_1)
	v_cndmask_b32_e64 v57, v68, v57, s5
	v_cndmask_b32_e64 v56, v20, v56, s5
	v_mul_f64_e32 v[64:65], v[58:59], v[56:57]
	v_mul_f64_e32 v[66:67], v[62:63], v[56:57]
	s_delay_alu instid0(VALU_DEP_2) | instskip(NEXT) | instid1(VALU_DEP_1)
	v_fma_f64 v[58:59], v[58:59], v[56:57], -v[64:65]
	v_add_f64_e32 v[68:69], v[66:67], v[58:59]
	s_delay_alu instid0(VALU_DEP_1) | instskip(SKIP_1) | instid1(VALU_DEP_2)
	v_add_f64_e64 v[70:71], v[68:69], -v[66:67]
	v_add_f64_e32 v[76:77], v[64:65], v[68:69]
	v_add_f64_e64 v[74:75], v[68:69], -v[70:71]
	v_add_f64_e64 v[58:59], v[58:59], -v[70:71]
	v_fma_f64 v[62:63], v[62:63], v[56:57], -v[66:67]
	s_delay_alu instid0(VALU_DEP_4) | instskip(SKIP_2) | instid1(VALU_DEP_3)
	v_ldexp_f64 v[70:71], v[76:77], -2
	v_mul_f64_e32 v[78:79], v[72:73], v[56:57]
	v_add_f64_e64 v[66:67], v[66:67], -v[74:75]
	v_cmp_neq_f64_e64 s5, 0x7ff00000, |v[70:71]|
	s_delay_alu instid0(VALU_DEP_3) | instskip(SKIP_1) | instid1(VALU_DEP_4)
	v_add_f64_e32 v[74:75], v[78:79], v[62:63]
	v_fma_f64 v[56:57], v[72:73], v[56:57], -v[78:79]
	v_add_f64_e32 v[58:59], v[58:59], v[66:67]
	v_fract_f64_e32 v[66:67], v[70:71]
	s_delay_alu instid0(VALU_DEP_1) | instskip(NEXT) | instid1(VALU_DEP_1)
	v_ldexp_f64 v[66:67], v[66:67], 2
	v_dual_add_f64 v[64:65], v[76:77], -v[64:65] :: v_dual_cndmask_b32 v67, 0, v67, s5
	s_delay_alu instid0(VALU_DEP_1) | instskip(SKIP_1) | instid1(VALU_DEP_1)
	v_dual_add_f64 v[64:65], v[68:69], -v[64:65] :: v_dual_cndmask_b32 v66, 0, v66, s5
	v_add_f64_e32 v[68:69], v[74:75], v[58:59]
	v_add_f64_e32 v[70:71], v[64:65], v[68:69]
	v_add_f64_e64 v[80:81], v[68:69], -v[74:75]
	s_delay_alu instid0(VALU_DEP_2) | instskip(NEXT) | instid1(VALU_DEP_2)
	v_add_f64_e32 v[76:77], v[70:71], v[66:67]
	v_add_f64_e64 v[86:87], v[68:69], -v[80:81]
	v_add_f64_e64 v[58:59], v[58:59], -v[80:81]
	;; [unrolled: 1-line block ×3, first 2 shown]
	s_delay_alu instid0(VALU_DEP_4) | instskip(SKIP_1) | instid1(VALU_DEP_3)
	v_cmp_gt_f64_e64 s5, 0, v[76:77]
	v_add_f64_e64 v[76:77], v[74:75], -v[78:79]
	v_add_f64_e64 v[64:65], v[68:69], -v[64:65]
	s_delay_alu instid0(VALU_DEP_3) | instskip(NEXT) | instid1(VALU_DEP_3)
	v_cndmask_b32_e64 v25, 0, 0x40100000, s5
	v_add_f64_e64 v[84:85], v[74:75], -v[76:77]
	v_add_f64_e64 v[62:63], v[62:63], -v[76:77]
	;; [unrolled: 1-line block ×3, first 2 shown]
	s_delay_alu instid0(VALU_DEP_4) | instskip(NEXT) | instid1(VALU_DEP_4)
	v_add_f64_e32 v[66:67], v[66:67], v[24:25]
	v_add_f64_e64 v[76:77], v[78:79], -v[84:85]
	s_delay_alu instid0(VALU_DEP_3) | instskip(NEXT) | instid1(VALU_DEP_3)
	v_add_f64_e32 v[58:59], v[58:59], v[74:75]
	v_add_f64_e32 v[82:83], v[70:71], v[66:67]
	s_delay_alu instid0(VALU_DEP_3) | instskip(NEXT) | instid1(VALU_DEP_2)
	v_add_f64_e32 v[62:63], v[62:63], v[76:77]
	v_cvt_i32_f64_e32 v25, v[82:83]
	s_delay_alu instid0(VALU_DEP_2) | instskip(NEXT) | instid1(VALU_DEP_2)
	v_add_f64_e32 v[58:59], v[62:63], v[58:59]
	v_cvt_f64_i32_e32 v[80:81], v25
	s_delay_alu instid0(VALU_DEP_2) | instskip(NEXT) | instid1(VALU_DEP_2)
	v_add_f64_e32 v[56:57], v[56:57], v[58:59]
	v_add_f64_e64 v[66:67], v[66:67], -v[80:81]
	s_delay_alu instid0(VALU_DEP_2) | instskip(NEXT) | instid1(VALU_DEP_2)
	v_add_f64_e32 v[56:57], v[64:65], v[56:57]
	v_add_f64_e32 v[62:63], v[70:71], v[66:67]
	s_delay_alu instid0(VALU_DEP_1) | instskip(SKIP_1) | instid1(VALU_DEP_2)
	v_add_f64_e64 v[58:59], v[62:63], -v[66:67]
	v_cmp_le_f64_e64 s5, 0.5, v[62:63]
	v_add_f64_e64 v[58:59], v[70:71], -v[58:59]
	s_delay_alu instid0(VALU_DEP_2) | instskip(SKIP_1) | instid1(VALU_DEP_3)
	v_add_co_ci_u32_e64 v61, null, 0, v25, s5
	v_cndmask_b32_e64 v25, 0, 0x3ff00000, s5
	v_add_f64_e32 v[56:57], v[56:57], v[58:59]
	s_delay_alu instid0(VALU_DEP_2) | instskip(NEXT) | instid1(VALU_DEP_1)
	v_add_f64_e64 v[58:59], v[62:63], -v[24:25]
	v_add_f64_e32 v[62:63], v[58:59], v[56:57]
	s_delay_alu instid0(VALU_DEP_1) | instskip(SKIP_1) | instid1(VALU_DEP_2)
	v_mul_f64_e32 v[64:65], 0x3ff921fb54442d18, v[62:63]
	v_add_f64_e64 v[58:59], v[62:63], -v[58:59]
	v_fma_f64 v[66:67], v[62:63], s[18:19], -v[64:65]
	s_delay_alu instid0(VALU_DEP_2) | instskip(NEXT) | instid1(VALU_DEP_2)
	v_add_f64_e64 v[56:57], v[56:57], -v[58:59]
	v_fmac_f64_e32 v[66:67], 0x3c91a62633145c07, v[62:63]
	s_delay_alu instid0(VALU_DEP_1) | instskip(NEXT) | instid1(VALU_DEP_1)
	v_fmac_f64_e32 v[66:67], 0x3ff921fb54442d18, v[56:57]
	v_add_f64_e32 v[56:57], v[64:65], v[66:67]
	s_delay_alu instid0(VALU_DEP_1) | instskip(NEXT) | instid1(VALU_DEP_1)
	v_add_f64_e64 v[58:59], v[56:57], -v[64:65]
	v_add_f64_e64 v[58:59], v[66:67], -v[58:59]
	s_and_not1_saveexec_b32 s5, s6
	s_cbranch_execnz .LBB137_67
	s_branch .LBB137_68
.LBB137_66:                             ;   in Loop: Header=BB137_4 Depth=1
	s_and_not1_saveexec_b32 s5, s6
	s_cbranch_execz .LBB137_68
.LBB137_67:                             ;   in Loop: Header=BB137_4 Depth=1
	v_mul_f64_e64 v[56:57], |v[20:21]|, s[20:21]
	s_delay_alu instid0(VALU_DEP_1) | instskip(NEXT) | instid1(VALU_DEP_1)
	v_rndne_f64_e32 v[62:63], v[56:57]
	v_fma_f64 v[56:57], v[62:63], s[22:23], |v[20:21]|
	v_mul_f64_e32 v[58:59], 0xbc91a62633145c00, v[62:63]
	v_cvt_i32_f64_e32 v61, v[62:63]
	s_delay_alu instid0(VALU_DEP_3) | instskip(NEXT) | instid1(VALU_DEP_3)
	v_fmamk_f64 v[68:69], v[62:63], 0xbc91a62633145c00, v[56:57]
	v_add_f64_e32 v[64:65], v[56:57], v[58:59]
	s_delay_alu instid0(VALU_DEP_1) | instskip(NEXT) | instid1(VALU_DEP_3)
	v_add_f64_e64 v[66:67], v[56:57], -v[64:65]
	v_add_f64_e64 v[56:57], v[64:65], -v[68:69]
	s_delay_alu instid0(VALU_DEP_2) | instskip(SKIP_1) | instid1(VALU_DEP_2)
	v_add_f64_e32 v[64:65], v[66:67], v[58:59]
	v_fmamk_f64 v[58:59], v[62:63], 0x3c91a62633145c00, v[58:59]
	v_add_f64_e32 v[56:57], v[56:57], v[64:65]
	s_delay_alu instid0(VALU_DEP_1) | instskip(NEXT) | instid1(VALU_DEP_1)
	v_add_f64_e64 v[58:59], v[56:57], -v[58:59]
	v_fmac_f64_e32 v[58:59], 0xb97b839a252049c0, v[62:63]
	s_delay_alu instid0(VALU_DEP_1) | instskip(NEXT) | instid1(VALU_DEP_1)
	v_add_f64_e32 v[56:57], v[68:69], v[58:59]
	v_add_f64_e64 v[64:65], v[56:57], -v[68:69]
	s_delay_alu instid0(VALU_DEP_1)
	v_add_f64_e64 v[58:59], v[58:59], -v[64:65]
.LBB137_68:                             ;   in Loop: Header=BB137_4 Depth=1
	s_or_b32 exec_lo, exec_lo, s5
	v_mul_f64_e32 v[62:63], 0x3ff71547652b82fe, v[18:19]
	v_mul_f64_e32 v[64:65], v[14:15], v[14:15]
	v_cmp_class_f64_e64 s6, v[20:21], 0x1f8
	v_mul_f64_e32 v[66:67], v[56:57], v[56:57]
	v_cmp_nlt_f64_e64 s7, 0x40900000, v[18:19]
	v_cmp_ngt_f64_e64 s8, 0xc090cc00, v[18:19]
	v_rndne_f64_e32 v[62:63], v[62:63]
	v_mul_f64_e32 v[68:69], 0.5, v[64:65]
	v_mul_f64_e64 v[90:91], v[56:57], -v[66:67]
	v_fmamk_f64 v[94:95], v[66:67], 0x3de5e0b2f9a43bb8, v[34:35]
	s_delay_alu instid0(VALU_DEP_4) | instskip(NEXT) | instid1(VALU_DEP_4)
	v_fmamk_f64 v[72:73], v[62:63], 0xbfe62e42fefa39ef, v[18:19]
	v_add_f64_e64 v[74:75], -v[68:69], 1.0
	v_cvt_i32_f64_e32 v25, v[62:63]
	v_dual_lshlrev_b32 v19, 30, v61 :: v_dual_bitop2_b32 v18, 1, v61 bitop3:0x40
	s_delay_alu instid0(VALU_DEP_4) | instskip(NEXT) | instid1(VALU_DEP_2)
	v_fmac_f64_e32 v[72:73], 0xbc7abc9e3b39803f, v[62:63]
	v_cmp_eq_u32_e64 s9, 0, v18
	v_lshlrev_b32_e32 v18, 30, v60
	v_add_f64_e64 v[82:83], -v[74:75], 1.0
	s_delay_alu instid0(VALU_DEP_4) | instskip(NEXT) | instid1(VALU_DEP_1)
	v_fmamk_f64 v[86:87], v[72:73], 0x3e5ade156a5dcb37, v[30:31]
	v_fmaak_f64 v[86:87], v[72:73], v[86:87], 0x3ec71dee623fde64
	s_delay_alu instid0(VALU_DEP_1) | instskip(NEXT) | instid1(VALU_DEP_1)
	v_fmaak_f64 v[86:87], v[72:73], v[86:87], 0x3efa01997c89e6b0
	v_fmaak_f64 v[86:87], v[72:73], v[86:87], 0x3f2a01a014761f6e
	v_add_f64_e64 v[68:69], v[82:83], -v[68:69]
	s_delay_alu instid0(VALU_DEP_2) | instskip(NEXT) | instid1(VALU_DEP_1)
	v_fmaak_f64 v[82:83], v[72:73], v[86:87], 0x3f56c16c1852b7b0
	v_fmaak_f64 v[82:83], v[72:73], v[82:83], 0x3f81111111122322
	s_delay_alu instid0(VALU_DEP_1) | instskip(NEXT) | instid1(VALU_DEP_1)
	v_fmaak_f64 v[82:83], v[72:73], v[82:83], 0x3fa55555555502a1
	v_fmaak_f64 v[82:83], v[72:73], v[82:83], 0x3fc5555555555511
	s_delay_alu instid0(VALU_DEP_1) | instskip(NEXT) | instid1(VALU_DEP_1)
	v_fmaak_f64 v[82:83], v[72:73], v[82:83], 0x3fe000000000000b
	v_fma_f64 v[82:83], v[72:73], v[82:83], 1.0
	s_delay_alu instid0(VALU_DEP_1) | instskip(NEXT) | instid1(VALU_DEP_1)
	v_fma_f64 v[62:63], v[72:73], v[82:83], 1.0
	v_ldexp_f64 v[62:63], v[62:63], v25
	v_mul_f64_e32 v[78:79], 0.5, v[16:17]
	v_and_b32_e32 v25, 1, v60
	v_mul_f64_e64 v[80:81], v[14:15], -v[64:65]
	v_fmamk_f64 v[84:85], v[64:65], 0x3de5e0b2f9a43bb8, v[34:35]
	v_mul_f64_e32 v[86:87], v[64:65], v[64:65]
	s_delay_alu instid0(VALU_DEP_4) | instskip(NEXT) | instid1(VALU_DEP_3)
	v_cmp_eq_u32_e64 s5, 0, v25
	v_fmaak_f64 v[84:85], v[64:65], v[84:85], 0x3ec71de3796cde01
	s_delay_alu instid0(VALU_DEP_1) | instskip(NEXT) | instid1(VALU_DEP_1)
	v_fmaak_f64 v[84:85], v[64:65], v[84:85], 0xbf2a01a019e83e5c
	v_fmaak_f64 v[84:85], v[64:65], v[84:85], 0x3f81111111110bb3
	s_delay_alu instid0(VALU_DEP_1) | instskip(SKIP_1) | instid1(VALU_DEP_1)
	v_fmac_f64_e32 v[78:79], v[80:81], v[84:85]
	v_fmaak_f64 v[84:85], v[66:67], v[94:95], 0x3ec71de3796cde01
	v_fmaak_f64 v[84:85], v[66:67], v[84:85], 0xbf2a01a019e83e5c
	s_delay_alu instid0(VALU_DEP_1) | instskip(NEXT) | instid1(VALU_DEP_4)
	v_fmaak_f64 v[84:85], v[66:67], v[84:85], 0x3f81111111110bb3
	v_fma_f64 v[78:79], v[64:65], v[78:79], -v[16:17]
	v_fma_f64 v[16:17], v[14:15], -v[16:17], v[68:69]
	s_delay_alu instid0(VALU_DEP_2) | instskip(NEXT) | instid1(VALU_DEP_1)
	v_fmac_f64_e32 v[78:79], 0xbfc5555555555555, v[80:81]
	v_add_f64_e64 v[14:15], v[14:15], -v[78:79]
	v_mul_f64_e32 v[88:89], 0.5, v[58:59]
	s_delay_alu instid0(VALU_DEP_2) | instskip(NEXT) | instid1(VALU_DEP_2)
	v_xor_b32_e32 v15, 0x80000000, v15
	v_fmac_f64_e32 v[88:89], v[90:91], v[84:85]
	v_fmamk_f64 v[84:85], v[64:65], 0xbda907db46cc5e42, v[32:33]
	s_delay_alu instid0(VALU_DEP_1) | instskip(NEXT) | instid1(VALU_DEP_1)
	v_fmaak_f64 v[68:69], v[64:65], v[84:85], 0xbe927e4fa17f65f6
	v_fmaak_f64 v[68:69], v[64:65], v[68:69], 0x3efa01a019f4ec90
	s_delay_alu instid0(VALU_DEP_1) | instskip(NEXT) | instid1(VALU_DEP_1)
	v_fmaak_f64 v[68:69], v[64:65], v[68:69], 0xbf56c16c16c16967
	v_fmaak_f64 v[64:65], v[64:65], v[68:69], 0x3fa5555555555555
	s_delay_alu instid0(VALU_DEP_1) | instskip(NEXT) | instid1(VALU_DEP_1)
	v_fmac_f64_e32 v[16:17], v[86:87], v[64:65]
	v_add_f64_e32 v[16:17], v[74:75], v[16:17]
	s_delay_alu instid0(VALU_DEP_1) | instskip(SKIP_1) | instid1(VALU_DEP_3)
	v_cndmask_b32_e64 v14, v14, v16, s5
	v_cndmask_b32_e64 v16, 0x7ff00000, v63, s7
	;; [unrolled: 1-line block ×3, first 2 shown]
	s_and_b32 s5, s8, s7
	s_delay_alu instid0(VALU_DEP_3) | instskip(SKIP_4) | instid1(VALU_DEP_1)
	v_dual_cndmask_b32 v14, 0, v14, s6 :: v_dual_bitop2_b32 v17, v19, v21 bitop3:0x14
	v_mul_f64_e32 v[70:71], 0.5, v[66:67]
	v_mul_f64_e32 v[84:85], v[66:67], v[66:67]
	v_fma_f64 v[68:69], v[66:67], v[88:89], -v[58:59]
	v_bitop3_b32 v15, v15, v18, 0x80000000 bitop3:0x78
	v_cndmask_b32_e64 v15, 0x7ff80000, v15, s6
	v_add_f64_e64 v[76:77], -v[70:71], 1.0
	s_delay_alu instid0(VALU_DEP_4) | instskip(NEXT) | instid1(VALU_DEP_2)
	v_fmac_f64_e32 v[68:69], 0xbfc5555555555555, v[90:91]
	v_add_f64_e64 v[92:93], -v[76:77], 1.0
	s_delay_alu instid0(VALU_DEP_1) | instskip(SKIP_1) | instid1(VALU_DEP_2)
	v_add_f64_e64 v[70:71], v[92:93], -v[70:71]
	v_fmamk_f64 v[92:93], v[66:67], 0xbda907db46cc5e42, v[32:33]
	v_fma_f64 v[58:59], v[56:57], -v[58:59], v[70:71]
	s_delay_alu instid0(VALU_DEP_2) | instskip(SKIP_1) | instid1(VALU_DEP_2)
	v_fmaak_f64 v[70:71], v[66:67], v[92:93], 0xbe927e4fa17f65f6
	v_add_f64_e64 v[56:57], v[56:57], -v[68:69]
                                        ; implicit-def: $vgpr68
	v_fmaak_f64 v[64:65], v[66:67], v[70:71], 0x3efa01a019f4ec90
	s_delay_alu instid0(VALU_DEP_1) | instskip(NEXT) | instid1(VALU_DEP_1)
	v_fmaak_f64 v[64:65], v[66:67], v[64:65], 0xbf56c16c16c16967
	v_fmaak_f64 v[64:65], v[66:67], v[64:65], 0x3fa5555555555555
	s_delay_alu instid0(VALU_DEP_1) | instskip(NEXT) | instid1(VALU_DEP_1)
	v_fmac_f64_e32 v[58:59], v[84:85], v[64:65]
	v_add_f64_e32 v[58:59], v[76:77], v[58:59]
	s_delay_alu instid0(VALU_DEP_1) | instskip(NEXT) | instid1(VALU_DEP_1)
	v_dual_cndmask_b32 v19, v58, v56, s9 :: v_dual_cndmask_b32 v20, v59, v57, s9
	v_cndmask_b32_e64 v18, 0, v19, s6
	s_delay_alu instid0(VALU_DEP_2) | instskip(SKIP_1) | instid1(VALU_DEP_2)
	v_bitop3_b32 v20, v20, v17, 0x80000000 bitop3:0x78
	v_dual_cndmask_b32 v17, 0, v16, s8 :: v_dual_cndmask_b32 v16, 0, v62, s5
	v_cndmask_b32_e64 v19, 0x7ff80000, v20, s6
	s_delay_alu instid0(VALU_DEP_2) | instskip(NEXT) | instid1(VALU_DEP_2)
	v_mul_f64_e32 v[14:15], v[16:17], v[14:15]
	v_mul_f64_e32 v[16:17], v[16:17], v[18:19]
                                        ; implicit-def: $vgpr20_vgpr21
.LBB137_69:                             ;   in Loop: Header=BB137_4 Depth=1
	s_and_not1_saveexec_b32 s35, s35
	s_cbranch_execz .LBB137_79
; %bb.70:                               ;   in Loop: Header=BB137_4 Depth=1
	v_cmp_ngt_f64_e64 s6, 0x41d00000, |v[20:21]|
                                        ; implicit-def: $vgpr60
                                        ; implicit-def: $vgpr14_vgpr15
                                        ; implicit-def: $vgpr16_vgpr17
	s_and_saveexec_b32 s5, s6
	s_delay_alu instid0(SALU_CYCLE_1)
	s_xor_b32 s7, exec_lo, s5
	s_cbranch_execz .LBB137_72
; %bb.71:                               ;   in Loop: Header=BB137_4 Depth=1
	v_ldexp_f64 v[14:15], |v[20:21]|, 0xffffff80
	v_cmp_le_f64_e64 s5, 0x7b000000, |v[20:21]|
	v_trig_preop_f64 v[16:17], |v[20:21]|, 0
	v_trig_preop_f64 v[56:57], |v[20:21]|, 1
	;; [unrolled: 1-line block ×3, first 2 shown]
	s_delay_alu instid0(VALU_DEP_4) | instskip(SKIP_1) | instid1(VALU_DEP_1)
	v_cndmask_b32_e64 v15, v68, v15, s5
	v_cndmask_b32_e64 v14, v20, v14, s5
	v_mul_f64_e32 v[58:59], v[16:17], v[14:15]
	v_mul_f64_e32 v[60:61], v[56:57], v[14:15]
	s_delay_alu instid0(VALU_DEP_2) | instskip(NEXT) | instid1(VALU_DEP_1)
	v_fma_f64 v[16:17], v[16:17], v[14:15], -v[58:59]
	v_add_f64_e32 v[62:63], v[60:61], v[16:17]
	s_delay_alu instid0(VALU_DEP_1) | instskip(SKIP_1) | instid1(VALU_DEP_2)
	v_add_f64_e64 v[64:65], v[62:63], -v[60:61]
	v_add_f64_e32 v[72:73], v[58:59], v[62:63]
	v_add_f64_e64 v[70:71], v[62:63], -v[64:65]
	v_fma_f64 v[56:57], v[56:57], v[14:15], -v[60:61]
	v_add_f64_e64 v[16:17], v[16:17], -v[64:65]
	s_delay_alu instid0(VALU_DEP_4) | instskip(SKIP_2) | instid1(VALU_DEP_3)
	v_ldexp_f64 v[64:65], v[72:73], -2
	v_mul_f64_e32 v[74:75], v[66:67], v[14:15]
	v_add_f64_e64 v[60:61], v[60:61], -v[70:71]
	v_cmp_neq_f64_e64 s5, 0x7ff00000, |v[64:65]|
	s_delay_alu instid0(VALU_DEP_3) | instskip(SKIP_1) | instid1(VALU_DEP_4)
	v_add_f64_e32 v[70:71], v[74:75], v[56:57]
	v_fma_f64 v[14:15], v[66:67], v[14:15], -v[74:75]
	v_add_f64_e32 v[16:17], v[16:17], v[60:61]
	v_fract_f64_e32 v[60:61], v[64:65]
	s_delay_alu instid0(VALU_DEP_1) | instskip(NEXT) | instid1(VALU_DEP_1)
	v_ldexp_f64 v[60:61], v[60:61], 2
	v_dual_add_f64 v[58:59], v[72:73], -v[58:59] :: v_dual_cndmask_b32 v61, 0, v61, s5
	s_delay_alu instid0(VALU_DEP_1) | instskip(SKIP_1) | instid1(VALU_DEP_1)
	v_dual_add_f64 v[58:59], v[62:63], -v[58:59] :: v_dual_cndmask_b32 v60, 0, v60, s5
	v_add_f64_e32 v[62:63], v[70:71], v[16:17]
	v_add_f64_e32 v[64:65], v[58:59], v[62:63]
	v_add_f64_e64 v[76:77], v[62:63], -v[70:71]
	s_delay_alu instid0(VALU_DEP_2) | instskip(NEXT) | instid1(VALU_DEP_2)
	v_add_f64_e32 v[72:73], v[64:65], v[60:61]
	v_add_f64_e64 v[82:83], v[62:63], -v[76:77]
	v_add_f64_e64 v[16:17], v[16:17], -v[76:77]
	;; [unrolled: 1-line block ×3, first 2 shown]
	s_delay_alu instid0(VALU_DEP_4) | instskip(SKIP_1) | instid1(VALU_DEP_3)
	v_cmp_gt_f64_e64 s5, 0, v[72:73]
	v_add_f64_e64 v[72:73], v[70:71], -v[74:75]
	v_add_f64_e64 v[58:59], v[62:63], -v[58:59]
	s_delay_alu instid0(VALU_DEP_3) | instskip(NEXT) | instid1(VALU_DEP_3)
	v_cndmask_b32_e64 v25, 0, 0x40100000, s5
	v_add_f64_e64 v[80:81], v[70:71], -v[72:73]
	v_add_f64_e64 v[56:57], v[56:57], -v[72:73]
	;; [unrolled: 1-line block ×3, first 2 shown]
	s_delay_alu instid0(VALU_DEP_4) | instskip(NEXT) | instid1(VALU_DEP_4)
	v_add_f64_e32 v[60:61], v[60:61], v[24:25]
	v_add_f64_e64 v[72:73], v[74:75], -v[80:81]
	s_delay_alu instid0(VALU_DEP_3) | instskip(NEXT) | instid1(VALU_DEP_3)
	v_add_f64_e32 v[16:17], v[16:17], v[70:71]
	v_add_f64_e32 v[78:79], v[64:65], v[60:61]
	s_delay_alu instid0(VALU_DEP_3) | instskip(NEXT) | instid1(VALU_DEP_2)
	v_add_f64_e32 v[56:57], v[56:57], v[72:73]
	v_cvt_i32_f64_e32 v25, v[78:79]
	s_delay_alu instid0(VALU_DEP_2) | instskip(NEXT) | instid1(VALU_DEP_2)
	v_add_f64_e32 v[16:17], v[56:57], v[16:17]
	v_cvt_f64_i32_e32 v[76:77], v25
	s_delay_alu instid0(VALU_DEP_2) | instskip(NEXT) | instid1(VALU_DEP_2)
	v_add_f64_e32 v[14:15], v[14:15], v[16:17]
	v_add_f64_e64 v[60:61], v[60:61], -v[76:77]
	s_delay_alu instid0(VALU_DEP_2) | instskip(NEXT) | instid1(VALU_DEP_2)
	v_add_f64_e32 v[14:15], v[58:59], v[14:15]
	v_add_f64_e32 v[56:57], v[64:65], v[60:61]
	s_delay_alu instid0(VALU_DEP_1) | instskip(SKIP_1) | instid1(VALU_DEP_2)
	v_add_f64_e64 v[16:17], v[56:57], -v[60:61]
	v_cmp_le_f64_e64 s5, 0.5, v[56:57]
	v_add_f64_e64 v[16:17], v[64:65], -v[16:17]
	s_delay_alu instid0(VALU_DEP_2) | instskip(SKIP_1) | instid1(VALU_DEP_3)
	v_add_co_ci_u32_e64 v60, null, 0, v25, s5
	v_cndmask_b32_e64 v25, 0, 0x3ff00000, s5
	v_add_f64_e32 v[14:15], v[14:15], v[16:17]
	s_delay_alu instid0(VALU_DEP_2) | instskip(NEXT) | instid1(VALU_DEP_1)
	v_add_f64_e64 v[16:17], v[56:57], -v[24:25]
	v_add_f64_e32 v[56:57], v[16:17], v[14:15]
	s_delay_alu instid0(VALU_DEP_1) | instskip(SKIP_1) | instid1(VALU_DEP_2)
	v_mul_f64_e32 v[58:59], 0x3ff921fb54442d18, v[56:57]
	v_add_f64_e64 v[16:17], v[56:57], -v[16:17]
	v_fma_f64 v[62:63], v[56:57], s[18:19], -v[58:59]
	s_delay_alu instid0(VALU_DEP_2) | instskip(NEXT) | instid1(VALU_DEP_2)
	v_add_f64_e64 v[14:15], v[14:15], -v[16:17]
	v_fmac_f64_e32 v[62:63], 0x3c91a62633145c07, v[56:57]
	s_delay_alu instid0(VALU_DEP_1) | instskip(NEXT) | instid1(VALU_DEP_1)
	v_fmac_f64_e32 v[62:63], 0x3ff921fb54442d18, v[14:15]
	v_add_f64_e32 v[14:15], v[58:59], v[62:63]
	s_delay_alu instid0(VALU_DEP_1) | instskip(NEXT) | instid1(VALU_DEP_1)
	v_add_f64_e64 v[16:17], v[14:15], -v[58:59]
	v_add_f64_e64 v[16:17], v[62:63], -v[16:17]
	s_and_not1_saveexec_b32 s5, s7
	s_cbranch_execz .LBB137_74
	s_branch .LBB137_73
.LBB137_72:                             ;   in Loop: Header=BB137_4 Depth=1
	s_and_not1_saveexec_b32 s5, s7
	s_cbranch_execz .LBB137_74
.LBB137_73:                             ;   in Loop: Header=BB137_4 Depth=1
	v_mul_f64_e64 v[14:15], |v[20:21]|, s[20:21]
	s_delay_alu instid0(VALU_DEP_1) | instskip(NEXT) | instid1(VALU_DEP_1)
	v_rndne_f64_e32 v[56:57], v[14:15]
	v_fma_f64 v[14:15], v[56:57], s[22:23], |v[20:21]|
	v_mul_f64_e32 v[16:17], 0xbc91a62633145c00, v[56:57]
	s_delay_alu instid0(VALU_DEP_2) | instskip(NEXT) | instid1(VALU_DEP_2)
	v_fmamk_f64 v[62:63], v[56:57], 0xbc91a62633145c00, v[14:15]
	v_add_f64_e32 v[58:59], v[14:15], v[16:17]
	s_delay_alu instid0(VALU_DEP_1) | instskip(NEXT) | instid1(VALU_DEP_3)
	v_add_f64_e64 v[60:61], v[14:15], -v[58:59]
	v_add_f64_e64 v[14:15], v[58:59], -v[62:63]
	s_delay_alu instid0(VALU_DEP_2) | instskip(SKIP_2) | instid1(VALU_DEP_3)
	v_add_f64_e32 v[58:59], v[60:61], v[16:17]
	v_fmamk_f64 v[16:17], v[56:57], 0x3c91a62633145c00, v[16:17]
	v_cvt_i32_f64_e32 v60, v[56:57]
	v_add_f64_e32 v[14:15], v[14:15], v[58:59]
	s_delay_alu instid0(VALU_DEP_1) | instskip(NEXT) | instid1(VALU_DEP_1)
	v_add_f64_e64 v[16:17], v[14:15], -v[16:17]
	v_fmac_f64_e32 v[16:17], 0xb97b839a252049c0, v[56:57]
	s_delay_alu instid0(VALU_DEP_1) | instskip(NEXT) | instid1(VALU_DEP_1)
	v_add_f64_e32 v[14:15], v[62:63], v[16:17]
	v_add_f64_e64 v[58:59], v[14:15], -v[62:63]
	s_delay_alu instid0(VALU_DEP_1)
	v_add_f64_e64 v[16:17], v[16:17], -v[58:59]
.LBB137_74:                             ;   in Loop: Header=BB137_4 Depth=1
	s_or_b32 exec_lo, exec_lo, s5
                                        ; implicit-def: $vgpr61
                                        ; implicit-def: $vgpr56_vgpr57
                                        ; implicit-def: $vgpr58_vgpr59
	s_and_saveexec_b32 s5, s6
	s_delay_alu instid0(SALU_CYCLE_1)
	s_xor_b32 s6, exec_lo, s5
	s_cbranch_execz .LBB137_76
; %bb.75:                               ;   in Loop: Header=BB137_4 Depth=1
	v_ldexp_f64 v[56:57], |v[20:21]|, 0xffffff80
	v_cmp_le_f64_e64 s5, 0x7b000000, |v[20:21]|
	v_trig_preop_f64 v[58:59], |v[20:21]|, 0
	v_trig_preop_f64 v[62:63], |v[20:21]|, 1
	;; [unrolled: 1-line block ×3, first 2 shown]
	s_delay_alu instid0(VALU_DEP_4) | instskip(SKIP_1) | instid1(VALU_DEP_1)
	v_cndmask_b32_e64 v57, v68, v57, s5
	v_cndmask_b32_e64 v56, v20, v56, s5
	v_mul_f64_e32 v[64:65], v[58:59], v[56:57]
	v_mul_f64_e32 v[66:67], v[62:63], v[56:57]
	s_delay_alu instid0(VALU_DEP_2) | instskip(NEXT) | instid1(VALU_DEP_1)
	v_fma_f64 v[58:59], v[58:59], v[56:57], -v[64:65]
	v_add_f64_e32 v[68:69], v[66:67], v[58:59]
	s_delay_alu instid0(VALU_DEP_1) | instskip(SKIP_1) | instid1(VALU_DEP_2)
	v_add_f64_e64 v[70:71], v[68:69], -v[66:67]
	v_add_f64_e32 v[76:77], v[64:65], v[68:69]
	v_add_f64_e64 v[74:75], v[68:69], -v[70:71]
	v_add_f64_e64 v[58:59], v[58:59], -v[70:71]
	v_fma_f64 v[62:63], v[62:63], v[56:57], -v[66:67]
	s_delay_alu instid0(VALU_DEP_4) | instskip(SKIP_2) | instid1(VALU_DEP_3)
	v_ldexp_f64 v[70:71], v[76:77], -2
	v_mul_f64_e32 v[78:79], v[72:73], v[56:57]
	v_add_f64_e64 v[66:67], v[66:67], -v[74:75]
	v_cmp_neq_f64_e64 s5, 0x7ff00000, |v[70:71]|
	s_delay_alu instid0(VALU_DEP_3) | instskip(SKIP_1) | instid1(VALU_DEP_4)
	v_add_f64_e32 v[74:75], v[78:79], v[62:63]
	v_fma_f64 v[56:57], v[72:73], v[56:57], -v[78:79]
	v_add_f64_e32 v[58:59], v[58:59], v[66:67]
	v_fract_f64_e32 v[66:67], v[70:71]
	s_delay_alu instid0(VALU_DEP_1) | instskip(NEXT) | instid1(VALU_DEP_1)
	v_ldexp_f64 v[66:67], v[66:67], 2
	v_dual_add_f64 v[64:65], v[76:77], -v[64:65] :: v_dual_cndmask_b32 v67, 0, v67, s5
	s_delay_alu instid0(VALU_DEP_1) | instskip(SKIP_1) | instid1(VALU_DEP_1)
	v_dual_add_f64 v[64:65], v[68:69], -v[64:65] :: v_dual_cndmask_b32 v66, 0, v66, s5
	v_add_f64_e32 v[68:69], v[74:75], v[58:59]
	v_add_f64_e32 v[70:71], v[64:65], v[68:69]
	v_add_f64_e64 v[80:81], v[68:69], -v[74:75]
	s_delay_alu instid0(VALU_DEP_2) | instskip(NEXT) | instid1(VALU_DEP_2)
	v_add_f64_e32 v[76:77], v[70:71], v[66:67]
	v_add_f64_e64 v[86:87], v[68:69], -v[80:81]
	v_add_f64_e64 v[58:59], v[58:59], -v[80:81]
	;; [unrolled: 1-line block ×3, first 2 shown]
	s_delay_alu instid0(VALU_DEP_4) | instskip(SKIP_1) | instid1(VALU_DEP_3)
	v_cmp_gt_f64_e64 s5, 0, v[76:77]
	v_add_f64_e64 v[76:77], v[74:75], -v[78:79]
	v_add_f64_e64 v[64:65], v[68:69], -v[64:65]
	s_delay_alu instid0(VALU_DEP_3) | instskip(NEXT) | instid1(VALU_DEP_3)
	v_cndmask_b32_e64 v25, 0, 0x40100000, s5
	v_add_f64_e64 v[84:85], v[74:75], -v[76:77]
	v_add_f64_e64 v[62:63], v[62:63], -v[76:77]
	;; [unrolled: 1-line block ×3, first 2 shown]
	s_delay_alu instid0(VALU_DEP_4) | instskip(NEXT) | instid1(VALU_DEP_4)
	v_add_f64_e32 v[66:67], v[66:67], v[24:25]
	v_add_f64_e64 v[76:77], v[78:79], -v[84:85]
	s_delay_alu instid0(VALU_DEP_3) | instskip(NEXT) | instid1(VALU_DEP_3)
	v_add_f64_e32 v[58:59], v[58:59], v[74:75]
	v_add_f64_e32 v[82:83], v[70:71], v[66:67]
	s_delay_alu instid0(VALU_DEP_3) | instskip(NEXT) | instid1(VALU_DEP_2)
	v_add_f64_e32 v[62:63], v[62:63], v[76:77]
	v_cvt_i32_f64_e32 v25, v[82:83]
	s_delay_alu instid0(VALU_DEP_2) | instskip(NEXT) | instid1(VALU_DEP_2)
	v_add_f64_e32 v[58:59], v[62:63], v[58:59]
	v_cvt_f64_i32_e32 v[80:81], v25
	s_delay_alu instid0(VALU_DEP_2) | instskip(NEXT) | instid1(VALU_DEP_2)
	v_add_f64_e32 v[56:57], v[56:57], v[58:59]
	v_add_f64_e64 v[66:67], v[66:67], -v[80:81]
	s_delay_alu instid0(VALU_DEP_2) | instskip(NEXT) | instid1(VALU_DEP_2)
	v_add_f64_e32 v[56:57], v[64:65], v[56:57]
	v_add_f64_e32 v[62:63], v[70:71], v[66:67]
	s_delay_alu instid0(VALU_DEP_1) | instskip(SKIP_1) | instid1(VALU_DEP_2)
	v_add_f64_e64 v[58:59], v[62:63], -v[66:67]
	v_cmp_le_f64_e64 s5, 0.5, v[62:63]
	v_add_f64_e64 v[58:59], v[70:71], -v[58:59]
	s_delay_alu instid0(VALU_DEP_2) | instskip(SKIP_1) | instid1(VALU_DEP_3)
	v_add_co_ci_u32_e64 v61, null, 0, v25, s5
	v_cndmask_b32_e64 v25, 0, 0x3ff00000, s5
	v_add_f64_e32 v[56:57], v[56:57], v[58:59]
	s_delay_alu instid0(VALU_DEP_2) | instskip(NEXT) | instid1(VALU_DEP_1)
	v_add_f64_e64 v[58:59], v[62:63], -v[24:25]
	v_add_f64_e32 v[62:63], v[58:59], v[56:57]
	s_delay_alu instid0(VALU_DEP_1) | instskip(SKIP_1) | instid1(VALU_DEP_2)
	v_mul_f64_e32 v[64:65], 0x3ff921fb54442d18, v[62:63]
	v_add_f64_e64 v[58:59], v[62:63], -v[58:59]
	v_fma_f64 v[66:67], v[62:63], s[18:19], -v[64:65]
	s_delay_alu instid0(VALU_DEP_2) | instskip(NEXT) | instid1(VALU_DEP_2)
	v_add_f64_e64 v[56:57], v[56:57], -v[58:59]
	v_fmac_f64_e32 v[66:67], 0x3c91a62633145c07, v[62:63]
	s_delay_alu instid0(VALU_DEP_1) | instskip(NEXT) | instid1(VALU_DEP_1)
	v_fmac_f64_e32 v[66:67], 0x3ff921fb54442d18, v[56:57]
	v_add_f64_e32 v[56:57], v[64:65], v[66:67]
	s_delay_alu instid0(VALU_DEP_1) | instskip(NEXT) | instid1(VALU_DEP_1)
	v_add_f64_e64 v[58:59], v[56:57], -v[64:65]
	v_add_f64_e64 v[58:59], v[66:67], -v[58:59]
	s_and_not1_saveexec_b32 s5, s6
	s_cbranch_execnz .LBB137_77
	s_branch .LBB137_78
.LBB137_76:                             ;   in Loop: Header=BB137_4 Depth=1
	s_and_not1_saveexec_b32 s5, s6
	s_cbranch_execz .LBB137_78
.LBB137_77:                             ;   in Loop: Header=BB137_4 Depth=1
	v_mul_f64_e64 v[56:57], |v[20:21]|, s[20:21]
	s_delay_alu instid0(VALU_DEP_1) | instskip(NEXT) | instid1(VALU_DEP_1)
	v_rndne_f64_e32 v[62:63], v[56:57]
	v_fma_f64 v[56:57], v[62:63], s[22:23], |v[20:21]|
	v_mul_f64_e32 v[58:59], 0xbc91a62633145c00, v[62:63]
	v_cvt_i32_f64_e32 v61, v[62:63]
	s_delay_alu instid0(VALU_DEP_3) | instskip(NEXT) | instid1(VALU_DEP_3)
	v_fmamk_f64 v[68:69], v[62:63], 0xbc91a62633145c00, v[56:57]
	v_add_f64_e32 v[64:65], v[56:57], v[58:59]
	s_delay_alu instid0(VALU_DEP_1) | instskip(NEXT) | instid1(VALU_DEP_3)
	v_add_f64_e64 v[66:67], v[56:57], -v[64:65]
	v_add_f64_e64 v[56:57], v[64:65], -v[68:69]
	s_delay_alu instid0(VALU_DEP_2) | instskip(SKIP_1) | instid1(VALU_DEP_2)
	v_add_f64_e32 v[64:65], v[66:67], v[58:59]
	v_fmamk_f64 v[58:59], v[62:63], 0x3c91a62633145c00, v[58:59]
	v_add_f64_e32 v[56:57], v[56:57], v[64:65]
	s_delay_alu instid0(VALU_DEP_1) | instskip(NEXT) | instid1(VALU_DEP_1)
	v_add_f64_e64 v[58:59], v[56:57], -v[58:59]
	v_fmac_f64_e32 v[58:59], 0xb97b839a252049c0, v[62:63]
	s_delay_alu instid0(VALU_DEP_1) | instskip(NEXT) | instid1(VALU_DEP_1)
	v_add_f64_e32 v[56:57], v[68:69], v[58:59]
	v_add_f64_e64 v[64:65], v[56:57], -v[68:69]
	s_delay_alu instid0(VALU_DEP_1)
	v_add_f64_e64 v[58:59], v[58:59], -v[64:65]
.LBB137_78:                             ;   in Loop: Header=BB137_4 Depth=1
	s_or_b32 exec_lo, exec_lo, s5
	v_add_f64_e32 v[18:19], 0xc0937be319ba0da4, v[18:19]
	v_mul_f64_e32 v[64:65], v[14:15], v[14:15]
	v_cmp_class_f64_e64 s6, v[20:21], 0x1f8
	v_mul_f64_e32 v[66:67], v[56:57], v[56:57]
	v_lshlrev_b32_e32 v20, 30, v60
	v_mul_f64_e32 v[62:63], 0x3ff71547652b82fe, v[18:19]
	v_mul_f64_e32 v[68:69], 0.5, v[64:65]
	v_cmp_nlt_f64_e64 s7, 0x40900000, v[18:19]
	v_mul_f64_e64 v[90:91], v[56:57], -v[66:67]
	v_fmamk_f64 v[94:95], v[66:67], 0x3de5e0b2f9a43bb8, v[34:35]
	v_cmp_ngt_f64_e64 s8, 0xc090cc00, v[18:19]
	v_rndne_f64_e32 v[62:63], v[62:63]
	v_add_f64_e64 v[74:75], -v[68:69], 1.0
	s_delay_alu instid0(VALU_DEP_2) | instskip(NEXT) | instid1(VALU_DEP_2)
	v_fmamk_f64 v[72:73], v[62:63], 0xbfe62e42fefa39ef, v[18:19]
	v_add_f64_e64 v[82:83], -v[74:75], 1.0
	v_cvt_i32_f64_e32 v25, v[62:63]
	v_dual_lshlrev_b32 v19, 30, v61 :: v_dual_bitop2_b32 v18, 1, v61 bitop3:0x40
	s_delay_alu instid0(VALU_DEP_4) | instskip(NEXT) | instid1(VALU_DEP_2)
	v_fmac_f64_e32 v[72:73], 0xbc7abc9e3b39803f, v[62:63]
	v_cmp_eq_u32_e64 s9, 0, v18
	v_add_f64_e64 v[68:69], v[82:83], -v[68:69]
	s_delay_alu instid0(VALU_DEP_3) | instskip(NEXT) | instid1(VALU_DEP_1)
	v_fmamk_f64 v[86:87], v[72:73], 0x3e5ade156a5dcb37, v[30:31]
	v_fmaak_f64 v[86:87], v[72:73], v[86:87], 0x3ec71dee623fde64
	s_delay_alu instid0(VALU_DEP_1) | instskip(NEXT) | instid1(VALU_DEP_1)
	v_fmaak_f64 v[86:87], v[72:73], v[86:87], 0x3efa01997c89e6b0
	v_fmaak_f64 v[86:87], v[72:73], v[86:87], 0x3f2a01a014761f6e
	s_delay_alu instid0(VALU_DEP_1) | instskip(NEXT) | instid1(VALU_DEP_1)
	v_fmaak_f64 v[82:83], v[72:73], v[86:87], 0x3f56c16c1852b7b0
	;; [unrolled: 3-line block ×4, first 2 shown]
	v_fma_f64 v[82:83], v[72:73], v[82:83], 1.0
	s_delay_alu instid0(VALU_DEP_1) | instskip(NEXT) | instid1(VALU_DEP_1)
	v_fma_f64 v[62:63], v[72:73], v[82:83], 1.0
	v_ldexp_f64 v[62:63], v[62:63], v25
	v_mul_f64_e32 v[78:79], 0.5, v[16:17]
	v_and_b32_e32 v25, 1, v60
	v_mul_f64_e64 v[80:81], v[14:15], -v[64:65]
	v_fmamk_f64 v[84:85], v[64:65], 0x3de5e0b2f9a43bb8, v[34:35]
	v_mul_f64_e32 v[86:87], v[64:65], v[64:65]
	s_delay_alu instid0(VALU_DEP_4) | instskip(NEXT) | instid1(VALU_DEP_3)
	v_cmp_eq_u32_e64 s5, 0, v25
	v_fmaak_f64 v[84:85], v[64:65], v[84:85], 0x3ec71de3796cde01
	s_delay_alu instid0(VALU_DEP_1) | instskip(NEXT) | instid1(VALU_DEP_1)
	v_fmaak_f64 v[84:85], v[64:65], v[84:85], 0xbf2a01a019e83e5c
	v_fmaak_f64 v[84:85], v[64:65], v[84:85], 0x3f81111111110bb3
	s_delay_alu instid0(VALU_DEP_1) | instskip(SKIP_1) | instid1(VALU_DEP_1)
	v_fmac_f64_e32 v[78:79], v[80:81], v[84:85]
	v_fmaak_f64 v[84:85], v[66:67], v[94:95], 0x3ec71de3796cde01
	v_fmaak_f64 v[84:85], v[66:67], v[84:85], 0xbf2a01a019e83e5c
	s_delay_alu instid0(VALU_DEP_1) | instskip(NEXT) | instid1(VALU_DEP_4)
	v_fmaak_f64 v[84:85], v[66:67], v[84:85], 0x3f81111111110bb3
	v_fma_f64 v[78:79], v[64:65], v[78:79], -v[16:17]
	v_fma_f64 v[16:17], v[14:15], -v[16:17], v[68:69]
	s_delay_alu instid0(VALU_DEP_2) | instskip(NEXT) | instid1(VALU_DEP_1)
	v_fmac_f64_e32 v[78:79], 0xbfc5555555555555, v[80:81]
	v_add_f64_e64 v[14:15], v[14:15], -v[78:79]
	v_mul_f64_e32 v[88:89], 0.5, v[58:59]
	s_delay_alu instid0(VALU_DEP_2) | instskip(NEXT) | instid1(VALU_DEP_2)
	v_xor_b32_e32 v15, 0x80000000, v15
	v_fmac_f64_e32 v[88:89], v[90:91], v[84:85]
	v_fmamk_f64 v[84:85], v[64:65], 0xbda907db46cc5e42, v[32:33]
	s_delay_alu instid0(VALU_DEP_1) | instskip(NEXT) | instid1(VALU_DEP_1)
	v_fmaak_f64 v[68:69], v[64:65], v[84:85], 0xbe927e4fa17f65f6
	v_fmaak_f64 v[68:69], v[64:65], v[68:69], 0x3efa01a019f4ec90
	s_delay_alu instid0(VALU_DEP_1) | instskip(NEXT) | instid1(VALU_DEP_1)
	v_fmaak_f64 v[68:69], v[64:65], v[68:69], 0xbf56c16c16c16967
	v_fmaak_f64 v[64:65], v[64:65], v[68:69], 0x3fa5555555555555
	s_delay_alu instid0(VALU_DEP_1) | instskip(NEXT) | instid1(VALU_DEP_1)
	v_fmac_f64_e32 v[16:17], v[86:87], v[64:65]
	v_add_f64_e32 v[16:17], v[74:75], v[16:17]
	s_delay_alu instid0(VALU_DEP_1) | instskip(SKIP_1) | instid1(VALU_DEP_3)
	v_cndmask_b32_e64 v14, v14, v16, s5
	v_cndmask_b32_e64 v16, 0x7ff00000, v63, s7
	;; [unrolled: 1-line block ×3, first 2 shown]
	s_and_b32 s5, s8, s7
	s_delay_alu instid0(VALU_DEP_3)
	v_dual_cndmask_b32 v14, 0, v14, s6 :: v_dual_bitop2_b32 v17, v19, v21 bitop3:0x14
	v_mul_f64_e32 v[70:71], 0.5, v[66:67]
	v_mul_f64_e32 v[84:85], v[66:67], v[66:67]
	v_fma_f64 v[68:69], v[66:67], v[88:89], -v[58:59]
	v_bitop3_b32 v15, v15, v20, 0x80000000 bitop3:0x78
	v_cndmask_b32_e64 v20, 0, v16, s8
	s_delay_alu instid0(VALU_DEP_2) | instskip(SKIP_2) | instid1(VALU_DEP_2)
	v_cndmask_b32_e64 v15, 0x7ff80000, v15, s6
	v_add_f64_e64 v[76:77], -v[70:71], 1.0
	v_fmac_f64_e32 v[68:69], 0xbfc5555555555555, v[90:91]
	v_add_f64_e64 v[92:93], -v[76:77], 1.0
	s_delay_alu instid0(VALU_DEP_1) | instskip(SKIP_1) | instid1(VALU_DEP_2)
	v_add_f64_e64 v[70:71], v[92:93], -v[70:71]
	v_fmamk_f64 v[92:93], v[66:67], 0xbda907db46cc5e42, v[32:33]
	v_fma_f64 v[58:59], v[56:57], -v[58:59], v[70:71]
	s_delay_alu instid0(VALU_DEP_2) | instskip(SKIP_1) | instid1(VALU_DEP_2)
	v_fmaak_f64 v[70:71], v[66:67], v[92:93], 0xbe927e4fa17f65f6
	v_add_f64_e64 v[56:57], v[56:57], -v[68:69]
	v_fmaak_f64 v[64:65], v[66:67], v[70:71], 0x3efa01a019f4ec90
	s_delay_alu instid0(VALU_DEP_1) | instskip(NEXT) | instid1(VALU_DEP_1)
	v_fmaak_f64 v[64:65], v[66:67], v[64:65], 0xbf56c16c16c16967
	v_fmaak_f64 v[64:65], v[66:67], v[64:65], 0x3fa5555555555555
	s_delay_alu instid0(VALU_DEP_1) | instskip(NEXT) | instid1(VALU_DEP_1)
	v_fmac_f64_e32 v[58:59], v[84:85], v[64:65]
	v_add_f64_e32 v[58:59], v[76:77], v[58:59]
	s_delay_alu instid0(VALU_DEP_1) | instskip(NEXT) | instid1(VALU_DEP_1)
	v_dual_cndmask_b32 v18, v58, v56, s9 :: v_dual_cndmask_b32 v19, v59, v57, s9
	v_cndmask_b32_e64 v16, 0, v18, s6
	s_delay_alu instid0(VALU_DEP_2) | instskip(SKIP_2) | instid1(VALU_DEP_3)
	v_bitop3_b32 v17, v19, v17, 0x80000000 bitop3:0x78
	v_and_or_b32 v19, v20, s30, 0x7fe00000
	v_dual_cndmask_b32 v18, 0, v62, s5 :: v_dual_lshrrev_b32 v20, 20, v20
	v_cndmask_b32_e64 v17, 0x7ff80000, v17, s6
	s_delay_alu instid0(VALU_DEP_2) | instskip(NEXT) | instid1(VALU_DEP_2)
	v_mul_f64_e32 v[14:15], v[18:19], v[14:15]
	v_mul_f64_e32 v[16:17], v[18:19], v[16:17]
	s_delay_alu instid0(VALU_DEP_4) | instskip(NEXT) | instid1(VALU_DEP_1)
	v_add_nc_u32_e32 v18, 0xffffff09, v20
	v_lshrrev_b16 v19, 15, v18
	s_delay_alu instid0(VALU_DEP_1) | instskip(NEXT) | instid1(VALU_DEP_1)
	v_add_nc_u16 v19, v18, v19
	v_ashrrev_i16 v19, 1, v19
	s_delay_alu instid0(VALU_DEP_1) | instskip(NEXT) | instid1(VALU_DEP_1)
	v_bfe_i32 v19, v19, 0, 16
	v_lshl_add_u32 v25, v19, 20, 0x3ff00000
	v_dual_mov_b32 v18, v24 :: v_dual_sub_nc_u32 v19, v18, v19
	s_delay_alu instid0(VALU_DEP_2) | instskip(SKIP_1) | instid1(VALU_DEP_3)
	v_mul_f64_e32 v[14:15], v[14:15], v[24:25]
	v_mul_f64_e32 v[16:17], v[16:17], v[24:25]
	v_lshl_add_u32 v19, v19, 20, 0x3ff00000
	s_delay_alu instid0(VALU_DEP_1) | instskip(NEXT) | instid1(VALU_DEP_3)
	v_mul_f64_e32 v[14:15], v[14:15], v[18:19]
	v_mul_f64_e32 v[16:17], v[16:17], v[18:19]
.LBB137_79:                             ;   in Loop: Header=BB137_4 Depth=1
	s_or_b32 exec_lo, exec_lo, s35
                                        ; implicit-def: $vgpr18_vgpr19
                                        ; implicit-def: $vgpr25
.LBB137_80:                             ;   in Loop: Header=BB137_4 Depth=1
	s_and_not1_saveexec_b32 s7, s34
	s_cbranch_execz .LBB137_86
; %bb.81:                               ;   in Loop: Header=BB137_4 Depth=1
	v_add_f64_e64 v[16:17], v[20:21], -v[20:21]
	v_cmp_ne_u32_e64 s5, 0, v18
	v_cmp_ne_u32_e64 s6, 0x7ff00000, v25
	s_or_b32 s5, s5, s6
	s_delay_alu instid0(SALU_CYCLE_1) | instskip(NEXT) | instid1(SALU_CYCLE_1)
	s_and_saveexec_b32 s6, s5
	s_xor_b32 s5, exec_lo, s6
; %bb.82:                               ;   in Loop: Header=BB137_4 Depth=1
                                        ; implicit-def: $vgpr18_vgpr19
; %bb.83:                               ;   in Loop: Header=BB137_4 Depth=1
	s_delay_alu instid0(SALU_CYCLE_1)
	s_or_saveexec_b32 s6, s5
	v_mov_b64_e32 v[14:15], v[16:17]
	s_xor_b32 exec_lo, exec_lo, s6
; %bb.84:                               ;   in Loop: Header=BB137_4 Depth=1
	v_cmp_lt_i64_e64 s5, -1, v[18:19]
	s_delay_alu instid0(VALU_DEP_1)
	v_dual_cndmask_b32 v15, 0, v19, s5 :: v_dual_cndmask_b32 v14, 0, v18, s5
	v_dual_cndmask_b32 v17, 0, v17, s5 :: v_dual_cndmask_b32 v16, 0, v16, s5
; %bb.85:                               ;   in Loop: Header=BB137_4 Depth=1
	s_or_b32 exec_lo, exec_lo, s6
.LBB137_86:                             ;   in Loop: Header=BB137_4 Depth=1
	s_delay_alu instid0(SALU_CYCLE_1)
	s_or_b32 exec_lo, exec_lo, s7
                                        ; implicit-def: $vgpr20_vgpr21
                                        ; implicit-def: $vgpr68
.LBB137_87:                             ;   in Loop: Header=BB137_4 Depth=1
	s_and_not1_saveexec_b32 s8, s33
	s_cbranch_execz .LBB137_97
; %bb.88:                               ;   in Loop: Header=BB137_4 Depth=1
	v_cmp_ngt_f64_e64 s6, 0x41d00000, |v[20:21]|
	v_trig_preop_f64 v[58:59], |v[20:21]|, 0
	v_trig_preop_f64 v[56:57], |v[20:21]|, 1
	v_ldexp_f64 v[60:61], |v[20:21]|, 0xffffff80
	v_trig_preop_f64 v[18:19], |v[20:21]|, 2
                                        ; implicit-def: $vgpr69
                                        ; implicit-def: $vgpr14_vgpr15
                                        ; implicit-def: $vgpr16_vgpr17
	s_and_saveexec_b32 s5, s6
	s_delay_alu instid0(SALU_CYCLE_1)
	s_xor_b32 s7, exec_lo, s5
	s_cbranch_execz .LBB137_90
; %bb.89:                               ;   in Loop: Header=BB137_4 Depth=1
	v_cmp_le_f64_e64 s5, 0x7b000000, |v[20:21]|
	s_delay_alu instid0(VALU_DEP_1) | instskip(NEXT) | instid1(VALU_DEP_4)
	v_cndmask_b32_e64 v15, v68, v61, s5
	v_cndmask_b32_e64 v14, v20, v60, s5
	s_delay_alu instid0(VALU_DEP_1) | instskip(SKIP_1) | instid1(VALU_DEP_2)
	v_mul_f64_e32 v[16:17], v[58:59], v[14:15]
	v_mul_f64_e32 v[62:63], v[56:57], v[14:15]
	v_fma_f64 v[64:65], v[58:59], v[14:15], -v[16:17]
	s_delay_alu instid0(VALU_DEP_1) | instskip(NEXT) | instid1(VALU_DEP_1)
	v_add_f64_e32 v[66:67], v[62:63], v[64:65]
	v_add_f64_e64 v[70:71], v[66:67], -v[62:63]
	v_add_f64_e32 v[74:75], v[16:17], v[66:67]
	s_delay_alu instid0(VALU_DEP_2) | instskip(SKIP_2) | instid1(VALU_DEP_4)
	v_add_f64_e64 v[72:73], v[66:67], -v[70:71]
	v_fma_f64 v[78:79], v[56:57], v[14:15], -v[62:63]
	v_add_f64_e64 v[64:65], v[64:65], -v[70:71]
	v_ldexp_f64 v[70:71], v[74:75], -2
	v_mul_f64_e32 v[76:77], v[18:19], v[14:15]
	v_add_f64_e64 v[62:63], v[62:63], -v[72:73]
	s_delay_alu instid0(VALU_DEP_3) | instskip(NEXT) | instid1(VALU_DEP_3)
	v_cmp_neq_f64_e64 s5, 0x7ff00000, |v[70:71]|
	v_add_f64_e32 v[72:73], v[76:77], v[78:79]
	v_fma_f64 v[14:15], v[18:19], v[14:15], -v[76:77]
	s_delay_alu instid0(VALU_DEP_4) | instskip(SKIP_1) | instid1(VALU_DEP_1)
	v_add_f64_e32 v[62:63], v[64:65], v[62:63]
	v_fract_f64_e32 v[64:65], v[70:71]
	v_ldexp_f64 v[64:65], v[64:65], 2
	s_delay_alu instid0(VALU_DEP_1) | instskip(SKIP_1) | instid1(VALU_DEP_3)
	v_cndmask_b32_e64 v65, 0, v65, s5
	v_add_f64_e64 v[16:17], v[74:75], -v[16:17]
	v_cndmask_b32_e64 v64, 0, v64, s5
	s_delay_alu instid0(VALU_DEP_2) | instskip(SKIP_1) | instid1(VALU_DEP_1)
	v_add_f64_e64 v[16:17], v[66:67], -v[16:17]
	v_add_f64_e32 v[66:67], v[72:73], v[62:63]
	v_add_f64_e32 v[70:71], v[16:17], v[66:67]
	v_add_f64_e64 v[80:81], v[66:67], -v[72:73]
	s_delay_alu instid0(VALU_DEP_2) | instskip(NEXT) | instid1(VALU_DEP_2)
	v_add_f64_e32 v[74:75], v[70:71], v[64:65]
	v_add_f64_e64 v[86:87], v[66:67], -v[80:81]
	v_add_f64_e64 v[62:63], v[62:63], -v[80:81]
	;; [unrolled: 1-line block ×3, first 2 shown]
	s_delay_alu instid0(VALU_DEP_4) | instskip(SKIP_1) | instid1(VALU_DEP_3)
	v_cmp_gt_f64_e64 s5, 0, v[74:75]
	v_add_f64_e64 v[74:75], v[72:73], -v[76:77]
	v_add_f64_e64 v[16:17], v[66:67], -v[16:17]
	s_delay_alu instid0(VALU_DEP_3) | instskip(NEXT) | instid1(VALU_DEP_3)
	v_cndmask_b32_e64 v25, 0, 0x40100000, s5
	v_add_f64_e64 v[84:85], v[72:73], -v[74:75]
	v_add_f64_e64 v[74:75], v[78:79], -v[74:75]
	;; [unrolled: 1-line block ×3, first 2 shown]
	s_delay_alu instid0(VALU_DEP_4) | instskip(NEXT) | instid1(VALU_DEP_4)
	v_add_f64_e32 v[64:65], v[64:65], v[24:25]
	v_add_f64_e64 v[78:79], v[76:77], -v[84:85]
	s_delay_alu instid0(VALU_DEP_3) | instskip(NEXT) | instid1(VALU_DEP_3)
	v_add_f64_e32 v[62:63], v[62:63], v[72:73]
	v_add_f64_e32 v[82:83], v[70:71], v[64:65]
	s_delay_alu instid0(VALU_DEP_3) | instskip(NEXT) | instid1(VALU_DEP_2)
	v_add_f64_e32 v[74:75], v[74:75], v[78:79]
	v_cvt_i32_f64_e32 v25, v[82:83]
	s_delay_alu instid0(VALU_DEP_2) | instskip(NEXT) | instid1(VALU_DEP_2)
	v_add_f64_e32 v[62:63], v[74:75], v[62:63]
	v_cvt_f64_i32_e32 v[80:81], v25
	s_delay_alu instid0(VALU_DEP_2) | instskip(NEXT) | instid1(VALU_DEP_2)
	v_add_f64_e32 v[14:15], v[14:15], v[62:63]
	v_add_f64_e64 v[64:65], v[64:65], -v[80:81]
	s_delay_alu instid0(VALU_DEP_2) | instskip(NEXT) | instid1(VALU_DEP_2)
	v_add_f64_e32 v[14:15], v[16:17], v[14:15]
	v_add_f64_e32 v[72:73], v[70:71], v[64:65]
	s_delay_alu instid0(VALU_DEP_1) | instskip(SKIP_1) | instid1(VALU_DEP_2)
	v_add_f64_e64 v[62:63], v[72:73], -v[64:65]
	v_cmp_le_f64_e64 s5, 0.5, v[72:73]
	v_add_f64_e64 v[16:17], v[70:71], -v[62:63]
	s_delay_alu instid0(VALU_DEP_2) | instskip(SKIP_1) | instid1(VALU_DEP_3)
	v_add_co_ci_u32_e64 v69, null, 0, v25, s5
	v_cndmask_b32_e64 v25, 0, 0x3ff00000, s5
	v_add_f64_e32 v[14:15], v[14:15], v[16:17]
	s_delay_alu instid0(VALU_DEP_2) | instskip(NEXT) | instid1(VALU_DEP_1)
	v_add_f64_e64 v[16:17], v[72:73], -v[24:25]
	v_add_f64_e32 v[62:63], v[16:17], v[14:15]
	s_delay_alu instid0(VALU_DEP_1) | instskip(SKIP_1) | instid1(VALU_DEP_2)
	v_mul_f64_e32 v[64:65], 0x3ff921fb54442d18, v[62:63]
	v_add_f64_e64 v[16:17], v[62:63], -v[16:17]
	v_fma_f64 v[66:67], v[62:63], s[18:19], -v[64:65]
	s_delay_alu instid0(VALU_DEP_2) | instskip(NEXT) | instid1(VALU_DEP_2)
	v_add_f64_e64 v[14:15], v[14:15], -v[16:17]
	v_fmac_f64_e32 v[66:67], 0x3c91a62633145c07, v[62:63]
	s_delay_alu instid0(VALU_DEP_1) | instskip(NEXT) | instid1(VALU_DEP_1)
	v_fmac_f64_e32 v[66:67], 0x3ff921fb54442d18, v[14:15]
	v_add_f64_e32 v[14:15], v[64:65], v[66:67]
	s_delay_alu instid0(VALU_DEP_1) | instskip(NEXT) | instid1(VALU_DEP_1)
	v_add_f64_e64 v[16:17], v[14:15], -v[64:65]
	v_add_f64_e64 v[16:17], v[66:67], -v[16:17]
.LBB137_90:                             ;   in Loop: Header=BB137_4 Depth=1
	s_or_saveexec_b32 s5, s7
	v_mul_f64_e64 v[62:63], |v[20:21]|, s[20:21]
	s_delay_alu instid0(VALU_DEP_1)
	v_rndne_f64_e32 v[66:67], v[62:63]
	s_xor_b32 exec_lo, exec_lo, s5
	s_cbranch_execz .LBB137_92
; %bb.91:                               ;   in Loop: Header=BB137_4 Depth=1
	s_delay_alu instid0(VALU_DEP_1) | instskip(SKIP_2) | instid1(VALU_DEP_3)
	v_fma_f64 v[14:15], v[66:67], s[22:23], |v[20:21]|
	v_mul_f64_e32 v[16:17], 0xbc91a62633145c00, v[66:67]
	v_cvt_i32_f64_e32 v69, v[66:67]
	v_fmamk_f64 v[70:71], v[66:67], 0xbc91a62633145c00, v[14:15]
	s_delay_alu instid0(VALU_DEP_3) | instskip(NEXT) | instid1(VALU_DEP_1)
	v_add_f64_e32 v[62:63], v[14:15], v[16:17]
	v_add_f64_e64 v[64:65], v[14:15], -v[62:63]
	s_delay_alu instid0(VALU_DEP_3) | instskip(NEXT) | instid1(VALU_DEP_2)
	v_add_f64_e64 v[14:15], v[62:63], -v[70:71]
	v_add_f64_e32 v[62:63], v[64:65], v[16:17]
	v_fmamk_f64 v[16:17], v[66:67], 0x3c91a62633145c00, v[16:17]
	s_delay_alu instid0(VALU_DEP_2) | instskip(NEXT) | instid1(VALU_DEP_1)
	v_add_f64_e32 v[14:15], v[14:15], v[62:63]
	v_add_f64_e64 v[16:17], v[14:15], -v[16:17]
	s_delay_alu instid0(VALU_DEP_1) | instskip(NEXT) | instid1(VALU_DEP_1)
	v_fmac_f64_e32 v[16:17], 0xb97b839a252049c0, v[66:67]
	v_add_f64_e32 v[14:15], v[70:71], v[16:17]
	s_delay_alu instid0(VALU_DEP_1) | instskip(NEXT) | instid1(VALU_DEP_1)
	v_add_f64_e64 v[62:63], v[14:15], -v[70:71]
	v_add_f64_e64 v[16:17], v[16:17], -v[62:63]
.LBB137_92:                             ;   in Loop: Header=BB137_4 Depth=1
	s_or_b32 exec_lo, exec_lo, s5
                                        ; implicit-def: $vgpr70
                                        ; implicit-def: $vgpr62_vgpr63
                                        ; implicit-def: $vgpr64_vgpr65
	s_and_saveexec_b32 s5, s6
	s_delay_alu instid0(SALU_CYCLE_1)
	s_xor_b32 s6, exec_lo, s5
	s_cbranch_execz .LBB137_94
; %bb.93:                               ;   in Loop: Header=BB137_4 Depth=1
	v_cmp_le_f64_e64 s5, 0x7b000000, |v[20:21]|
	s_delay_alu instid0(VALU_DEP_1) | instskip(SKIP_1) | instid1(VALU_DEP_1)
	v_cndmask_b32_e64 v61, v68, v61, s5
	v_cndmask_b32_e64 v60, v20, v60, s5
	v_mul_f64_e32 v[62:63], v[58:59], v[60:61]
	v_mul_f64_e32 v[64:65], v[56:57], v[60:61]
	s_delay_alu instid0(VALU_DEP_2) | instskip(NEXT) | instid1(VALU_DEP_1)
	v_fma_f64 v[58:59], v[58:59], v[60:61], -v[62:63]
	v_add_f64_e32 v[66:67], v[64:65], v[58:59]
	s_delay_alu instid0(VALU_DEP_1) | instskip(SKIP_1) | instid1(VALU_DEP_2)
	v_add_f64_e64 v[70:71], v[66:67], -v[64:65]
	v_add_f64_e32 v[74:75], v[62:63], v[66:67]
	v_add_f64_e64 v[72:73], v[66:67], -v[70:71]
	v_fma_f64 v[56:57], v[56:57], v[60:61], -v[64:65]
	v_add_f64_e64 v[58:59], v[58:59], -v[70:71]
	s_delay_alu instid0(VALU_DEP_4) | instskip(SKIP_3) | instid1(VALU_DEP_4)
	v_ldexp_f64 v[70:71], v[74:75], -2
	v_mul_f64_e32 v[76:77], v[18:19], v[60:61]
	v_add_f64_e64 v[62:63], v[74:75], -v[62:63]
	v_add_f64_e64 v[64:65], v[64:65], -v[72:73]
	v_cmp_neq_f64_e64 s5, 0x7ff00000, |v[70:71]|
	s_delay_alu instid0(VALU_DEP_4) | instskip(SKIP_1) | instid1(VALU_DEP_4)
	v_add_f64_e32 v[72:73], v[76:77], v[56:57]
	v_fma_f64 v[18:19], v[18:19], v[60:61], -v[76:77]
	v_add_f64_e32 v[58:59], v[58:59], v[64:65]
	v_fract_f64_e32 v[64:65], v[70:71]
	s_delay_alu instid0(VALU_DEP_1) | instskip(NEXT) | instid1(VALU_DEP_1)
	v_ldexp_f64 v[64:65], v[64:65], 2
	v_dual_add_f64 v[62:63], v[66:67], -v[62:63] :: v_dual_cndmask_b32 v65, 0, v65, s5
	s_delay_alu instid0(VALU_DEP_2) | instskip(NEXT) | instid1(VALU_DEP_1)
	v_dual_add_f64 v[66:67], v[72:73], v[58:59] :: v_dual_cndmask_b32 v64, 0, v64, s5
	v_add_f64_e32 v[70:71], v[62:63], v[66:67]
	v_add_f64_e64 v[78:79], v[66:67], -v[72:73]
	s_delay_alu instid0(VALU_DEP_2) | instskip(NEXT) | instid1(VALU_DEP_2)
	v_add_f64_e32 v[74:75], v[70:71], v[64:65]
	v_add_f64_e64 v[84:85], v[66:67], -v[78:79]
	v_add_f64_e64 v[58:59], v[58:59], -v[78:79]
	;; [unrolled: 1-line block ×3, first 2 shown]
	s_delay_alu instid0(VALU_DEP_4) | instskip(SKIP_1) | instid1(VALU_DEP_3)
	v_cmp_gt_f64_e64 s5, 0, v[74:75]
	v_add_f64_e64 v[74:75], v[72:73], -v[76:77]
	v_add_f64_e64 v[60:61], v[66:67], -v[60:61]
                                        ; implicit-def: $vgpr66_vgpr67
	s_delay_alu instid0(VALU_DEP_3) | instskip(NEXT) | instid1(VALU_DEP_3)
	v_cndmask_b32_e64 v25, 0, 0x40100000, s5
	v_add_f64_e64 v[82:83], v[72:73], -v[74:75]
	v_add_f64_e64 v[56:57], v[56:57], -v[74:75]
	;; [unrolled: 1-line block ×3, first 2 shown]
	s_delay_alu instid0(VALU_DEP_4) | instskip(NEXT) | instid1(VALU_DEP_4)
	v_add_f64_e32 v[64:65], v[64:65], v[24:25]
	v_add_f64_e64 v[74:75], v[76:77], -v[82:83]
	s_delay_alu instid0(VALU_DEP_3) | instskip(NEXT) | instid1(VALU_DEP_3)
	v_add_f64_e32 v[58:59], v[58:59], v[72:73]
	v_add_f64_e32 v[80:81], v[70:71], v[64:65]
	s_delay_alu instid0(VALU_DEP_3) | instskip(NEXT) | instid1(VALU_DEP_2)
	v_add_f64_e32 v[56:57], v[56:57], v[74:75]
	v_cvt_i32_f64_e32 v25, v[80:81]
	s_delay_alu instid0(VALU_DEP_2) | instskip(NEXT) | instid1(VALU_DEP_2)
	v_add_f64_e32 v[56:57], v[56:57], v[58:59]
	v_cvt_f64_i32_e32 v[78:79], v25
	s_delay_alu instid0(VALU_DEP_2) | instskip(NEXT) | instid1(VALU_DEP_2)
	v_add_f64_e32 v[18:19], v[18:19], v[56:57]
	v_add_f64_e64 v[64:65], v[64:65], -v[78:79]
	s_delay_alu instid0(VALU_DEP_2) | instskip(NEXT) | instid1(VALU_DEP_2)
	v_add_f64_e32 v[18:19], v[60:61], v[18:19]
	v_add_f64_e32 v[58:59], v[70:71], v[64:65]
	s_delay_alu instid0(VALU_DEP_1) | instskip(SKIP_1) | instid1(VALU_DEP_2)
	v_add_f64_e64 v[56:57], v[58:59], -v[64:65]
	v_cmp_le_f64_e64 s5, 0.5, v[58:59]
	v_add_f64_e64 v[56:57], v[70:71], -v[56:57]
	s_delay_alu instid0(VALU_DEP_2) | instskip(SKIP_1) | instid1(VALU_DEP_3)
	v_add_co_ci_u32_e64 v70, null, 0, v25, s5
	v_cndmask_b32_e64 v25, 0, 0x3ff00000, s5
	v_add_f64_e32 v[18:19], v[18:19], v[56:57]
	s_delay_alu instid0(VALU_DEP_2) | instskip(NEXT) | instid1(VALU_DEP_1)
	v_add_f64_e64 v[56:57], v[58:59], -v[24:25]
	v_add_f64_e32 v[58:59], v[56:57], v[18:19]
	s_delay_alu instid0(VALU_DEP_1) | instskip(SKIP_1) | instid1(VALU_DEP_2)
	v_mul_f64_e32 v[60:61], 0x3ff921fb54442d18, v[58:59]
	v_add_f64_e64 v[56:57], v[58:59], -v[56:57]
	v_fma_f64 v[64:65], v[58:59], s[18:19], -v[60:61]
	s_delay_alu instid0(VALU_DEP_2) | instskip(NEXT) | instid1(VALU_DEP_2)
	v_add_f64_e64 v[18:19], v[18:19], -v[56:57]
	v_fmac_f64_e32 v[64:65], 0x3c91a62633145c07, v[58:59]
	s_delay_alu instid0(VALU_DEP_1) | instskip(NEXT) | instid1(VALU_DEP_1)
	v_fmac_f64_e32 v[64:65], 0x3ff921fb54442d18, v[18:19]
	v_add_f64_e32 v[62:63], v[60:61], v[64:65]
	s_delay_alu instid0(VALU_DEP_1) | instskip(NEXT) | instid1(VALU_DEP_1)
	v_add_f64_e64 v[18:19], v[62:63], -v[60:61]
	v_add_f64_e64 v[64:65], v[64:65], -v[18:19]
	s_and_not1_saveexec_b32 s5, s6
	s_cbranch_execnz .LBB137_95
	s_branch .LBB137_96
.LBB137_94:                             ;   in Loop: Header=BB137_4 Depth=1
	s_and_not1_saveexec_b32 s5, s6
	s_cbranch_execz .LBB137_96
.LBB137_95:                             ;   in Loop: Header=BB137_4 Depth=1
	s_delay_alu instid0(VALU_DEP_1) | instskip(SKIP_2) | instid1(VALU_DEP_2)
	v_fma_f64 v[18:19], v[66:67], s[22:23], |v[20:21]|
	v_mul_f64_e32 v[56:57], 0xbc91a62633145c00, v[66:67]
	v_cvt_i32_f64_e32 v70, v[66:67]
	v_add_f64_e32 v[58:59], v[18:19], v[56:57]
	s_delay_alu instid0(VALU_DEP_1) | instskip(SKIP_1) | instid1(VALU_DEP_1)
	v_add_f64_e64 v[60:61], v[18:19], -v[58:59]
	v_fmamk_f64 v[18:19], v[66:67], 0xbc91a62633145c00, v[18:19]
	v_add_f64_e64 v[58:59], v[58:59], -v[18:19]
	s_delay_alu instid0(VALU_DEP_3) | instskip(SKIP_1) | instid1(VALU_DEP_2)
	v_add_f64_e32 v[60:61], v[60:61], v[56:57]
	v_fmamk_f64 v[56:57], v[66:67], 0x3c91a62633145c00, v[56:57]
	v_add_f64_e32 v[58:59], v[58:59], v[60:61]
	s_delay_alu instid0(VALU_DEP_1) | instskip(NEXT) | instid1(VALU_DEP_1)
	v_add_f64_e64 v[56:57], v[58:59], -v[56:57]
	v_fmac_f64_e32 v[56:57], 0xb97b839a252049c0, v[66:67]
	s_delay_alu instid0(VALU_DEP_1) | instskip(NEXT) | instid1(VALU_DEP_1)
	v_add_f64_e32 v[62:63], v[18:19], v[56:57]
	v_add_f64_e64 v[18:19], v[62:63], -v[18:19]
	s_delay_alu instid0(VALU_DEP_1)
	v_add_f64_e64 v[64:65], v[56:57], -v[18:19]
.LBB137_96:                             ;   in Loop: Header=BB137_4 Depth=1
	s_or_b32 exec_lo, exec_lo, s5
	v_dual_mul_f64 v[18:19], v[14:15], v[14:15] :: v_dual_bitop2_b32 v25, 1, v69 bitop3:0x40
	v_mul_f64_e32 v[56:57], v[62:63], v[62:63]
	s_delay_alu instid0(VALU_DEP_3) | instskip(NEXT) | instid1(VALU_DEP_4)
	v_mul_f64_e32 v[74:75], 0.5, v[16:17]
	v_mul_f64_e32 v[82:83], 0.5, v[64:65]
	v_cmp_class_f64_e64 s6, v[20:21], 0x1f8
	v_cmp_eq_u32_e64 s5, 0, v25
	v_lshlrev_b32_e32 v20, 30, v70
	s_delay_alu instid0(VALU_DEP_1) | instskip(SKIP_4) | instid1(VALU_DEP_3)
	v_dual_mul_f64 v[76:77], v[14:15], -v[18:19] :: v_dual_bitop2_b32 v20, v20, v21 bitop3:0x14
	v_mul_f64_e32 v[58:59], 0.5, v[18:19]
	v_fmamk_f64 v[80:81], v[18:19], 0x3de5e0b2f9a43bb8, v[34:35]
	v_mul_f64_e64 v[84:85], v[62:63], -v[56:57]
	v_fmamk_f64 v[88:89], v[56:57], 0x3de5e0b2f9a43bb8, v[34:35]
	v_fmaak_f64 v[80:81], v[18:19], v[80:81], 0x3ec71de3796cde01
	s_delay_alu instid0(VALU_DEP_1) | instskip(NEXT) | instid1(VALU_DEP_1)
	v_fmaak_f64 v[80:81], v[18:19], v[80:81], 0xbf2a01a019e83e5c
	v_fmaak_f64 v[80:81], v[18:19], v[80:81], 0x3f81111111110bb3
	s_delay_alu instid0(VALU_DEP_1) | instskip(SKIP_2) | instid1(VALU_DEP_3)
	v_fmac_f64_e32 v[74:75], v[76:77], v[80:81]
	v_add_f64_e64 v[66:67], -v[58:59], 1.0
	v_mul_f64_e32 v[80:81], v[18:19], v[18:19]
	v_fma_f64 v[74:75], v[18:19], v[74:75], -v[16:17]
	s_delay_alu instid0(VALU_DEP_3) | instskip(NEXT) | instid1(VALU_DEP_2)
	v_add_f64_e64 v[78:79], -v[66:67], 1.0
	v_fmac_f64_e32 v[74:75], 0xbfc5555555555555, v[76:77]
	s_delay_alu instid0(VALU_DEP_2) | instskip(SKIP_1) | instid1(VALU_DEP_1)
	v_add_f64_e64 v[58:59], v[78:79], -v[58:59]
	v_fmaak_f64 v[78:79], v[56:57], v[88:89], 0x3ec71de3796cde01
	v_fmaak_f64 v[78:79], v[56:57], v[78:79], 0xbf2a01a019e83e5c
	s_delay_alu instid0(VALU_DEP_1) | instskip(NEXT) | instid1(VALU_DEP_1)
	v_fmaak_f64 v[78:79], v[56:57], v[78:79], 0x3f81111111110bb3
	v_fmac_f64_e32 v[82:83], v[84:85], v[78:79]
	v_fmamk_f64 v[78:79], v[18:19], 0xbda907db46cc5e42, v[32:33]
	v_fma_f64 v[16:17], v[14:15], -v[16:17], v[58:59]
	s_delay_alu instid0(VALU_DEP_2) | instskip(SKIP_1) | instid1(VALU_DEP_2)
	v_fmaak_f64 v[58:59], v[18:19], v[78:79], 0xbe927e4fa17f65f6
	v_add_f64_e64 v[14:15], v[14:15], -v[74:75]
	v_fmaak_f64 v[58:59], v[18:19], v[58:59], 0x3efa01a019f4ec90
	s_delay_alu instid0(VALU_DEP_1) | instskip(NEXT) | instid1(VALU_DEP_1)
	v_fmaak_f64 v[58:59], v[18:19], v[58:59], 0xbf56c16c16c16967
	v_fmaak_f64 v[18:19], v[18:19], v[58:59], 0x3fa5555555555555
	s_delay_alu instid0(VALU_DEP_1) | instskip(SKIP_1) | instid1(VALU_DEP_2)
	v_fmac_f64_e32 v[16:17], v[80:81], v[18:19]
	v_xor_b32_e32 v15, 0x80000000, v15
	v_add_f64_e32 v[16:17], v[66:67], v[16:17]
	s_delay_alu instid0(VALU_DEP_1) | instskip(NEXT) | instid1(VALU_DEP_1)
	v_dual_cndmask_b32 v14, v14, v16, s5 :: v_dual_bitop2_b32 v16, 1, v70 bitop3:0x40
	v_dual_cndmask_b32 v15, v15, v17, s5 :: v_dual_cndmask_b32 v14, 0, v14, s6
	s_delay_alu instid0(VALU_DEP_2) | instskip(SKIP_4) | instid1(VALU_DEP_4)
	v_cmp_eq_u32_e64 s7, 0, v16
	v_lshlrev_b32_e32 v16, 30, v69
	v_mul_f64_e32 v[60:61], 0.5, v[56:57]
	v_fmamk_f64 v[78:79], v[56:57], 0xbda907db46cc5e42, v[32:33]
	v_fma_f64 v[82:83], v[56:57], v[82:83], -v[64:65]
	v_bitop3_b32 v15, v15, v16, 0x80000000 bitop3:0x78
	s_delay_alu instid0(VALU_DEP_3) | instskip(NEXT) | instid1(VALU_DEP_2)
	v_fmaak_f64 v[58:59], v[56:57], v[78:79], 0xbe927e4fa17f65f6
	v_cndmask_b32_e64 v15, 0x7ff80000, v15, s6
	s_delay_alu instid0(VALU_DEP_2) | instskip(NEXT) | instid1(VALU_DEP_1)
	v_fmaak_f64 v[18:19], v[56:57], v[58:59], 0x3efa01a019f4ec90
	v_fmaak_f64 v[18:19], v[56:57], v[18:19], 0xbf56c16c16c16967
	s_delay_alu instid0(VALU_DEP_1) | instskip(SKIP_2) | instid1(VALU_DEP_2)
	v_fmaak_f64 v[18:19], v[56:57], v[18:19], 0x3fa5555555555555
	v_add_f64_e64 v[72:73], -v[60:61], 1.0
	v_fmac_f64_e32 v[82:83], 0xbfc5555555555555, v[84:85]
	v_add_f64_e64 v[86:87], -v[72:73], 1.0
	s_delay_alu instid0(VALU_DEP_1) | instskip(SKIP_1) | instid1(VALU_DEP_2)
	v_add_f64_e64 v[60:61], v[86:87], -v[60:61]
	v_mul_f64_e32 v[86:87], v[56:57], v[56:57]
	v_fma_f64 v[60:61], v[62:63], -v[64:65], v[60:61]
	s_delay_alu instid0(VALU_DEP_1) | instskip(SKIP_1) | instid1(VALU_DEP_2)
	v_fmac_f64_e32 v[60:61], v[86:87], v[18:19]
	v_add_f64_e64 v[18:19], v[62:63], -v[82:83]
	v_add_f64_e32 v[56:57], v[72:73], v[60:61]
	s_delay_alu instid0(VALU_DEP_1) | instskip(NEXT) | instid1(VALU_DEP_1)
	v_dual_cndmask_b32 v17, v56, v18, s7 :: v_dual_cndmask_b32 v18, v57, v19, s7
	v_cndmask_b32_e64 v16, 0, v17, s6
	s_delay_alu instid0(VALU_DEP_2) | instskip(NEXT) | instid1(VALU_DEP_1)
	v_bitop3_b32 v18, v18, v20, 0x80000000 bitop3:0x78
	v_cndmask_b32_e64 v17, 0x7ff80000, v18, s6
.LBB137_97:                             ;   in Loop: Header=BB137_4 Depth=1
	s_or_b32 exec_lo, exec_lo, s8
                                        ; implicit-def: $vgpr18_vgpr19
.LBB137_98:                             ;   in Loop: Header=BB137_4 Depth=1
	s_and_not1_saveexec_b32 s7, s31
	s_cbranch_execz .LBB137_100
; %bb.99:                               ;   in Loop: Header=BB137_4 Depth=1
	v_mul_f64_e32 v[14:15], 0x3ff71547652b82fe, v[18:19]
	v_cmp_nlt_f64_e64 s5, 0x40900000, v[18:19]
	v_cmp_ngt_f64_e64 s6, 0xc090cc00, v[18:19]
	s_delay_alu instid0(VALU_DEP_3) | instskip(NEXT) | instid1(VALU_DEP_1)
	v_rndne_f64_e32 v[14:15], v[14:15]
	v_fmamk_f64 v[16:17], v[14:15], 0xbfe62e42fefa39ef, v[18:19]
	v_cvt_i32_f64_e32 v25, v[14:15]
	s_delay_alu instid0(VALU_DEP_2) | instskip(NEXT) | instid1(VALU_DEP_1)
	v_fmac_f64_e32 v[16:17], 0xbc7abc9e3b39803f, v[14:15]
	v_fmamk_f64 v[56:57], v[16:17], 0x3e5ade156a5dcb37, v[30:31]
	s_delay_alu instid0(VALU_DEP_1) | instskip(NEXT) | instid1(VALU_DEP_1)
	v_fmaak_f64 v[56:57], v[16:17], v[56:57], 0x3ec71dee623fde64
	v_fmaak_f64 v[56:57], v[16:17], v[56:57], 0x3efa01997c89e6b0
	s_delay_alu instid0(VALU_DEP_1) | instskip(NEXT) | instid1(VALU_DEP_1)
	v_fmaak_f64 v[56:57], v[16:17], v[56:57], 0x3f2a01a014761f6e
	v_fmaak_f64 v[56:57], v[16:17], v[56:57], 0x3f56c16c1852b7b0
	;; [unrolled: 3-line block ×4, first 2 shown]
	s_delay_alu instid0(VALU_DEP_1) | instskip(NEXT) | instid1(VALU_DEP_1)
	v_fma_f64 v[56:57], v[16:17], v[56:57], 1.0
	v_fma_f64 v[14:15], v[16:17], v[56:57], 1.0
	v_mov_b64_e32 v[16:17], v[20:21]
	s_delay_alu instid0(VALU_DEP_2) | instskip(NEXT) | instid1(VALU_DEP_1)
	v_ldexp_f64 v[14:15], v[14:15], v25
	v_cndmask_b32_e64 v15, 0x7ff00000, v15, s5
	s_and_b32 s5, s6, s5
	s_delay_alu instid0(VALU_DEP_1) | instid1(SALU_CYCLE_1)
	v_dual_cndmask_b32 v14, 0, v14, s5 :: v_dual_cndmask_b32 v15, 0, v15, s6
.LBB137_100:                            ;   in Loop: Header=BB137_4 Depth=1
	s_or_b32 exec_lo, exec_lo, s7
	v_and_b32_e32 v68, 0x7fffffff, v13
	s_delay_alu instid0(VALU_DEP_1) | instskip(NEXT) | instid1(VALU_DEP_1)
	v_or_b32_e32 v18, v68, v12
	v_cmp_ne_u32_e64 s5, 0, v18
                                        ; implicit-def: $vgpr20_vgpr21
	s_and_saveexec_b32 s6, s5
	s_delay_alu instid0(SALU_CYCLE_1)
	s_xor_b32 s31, exec_lo, s6
	s_cbranch_execz .LBB137_142
; %bb.101:                              ;   in Loop: Header=BB137_4 Depth=1
	v_and_b32_e32 v25, 0x7fffffff, v11
	s_delay_alu instid0(VALU_DEP_1) | instskip(NEXT) | instid1(VALU_DEP_1)
	v_or_b32_e32 v18, v25, v10
	v_cmp_ne_u32_e64 s5, 0, v18
                                        ; implicit-def: $vgpr20_vgpr21
	s_and_saveexec_b32 s6, s5
	s_delay_alu instid0(SALU_CYCLE_1)
	s_xor_b32 s33, exec_lo, s6
	s_cbranch_execz .LBB137_131
; %bb.102:                              ;   in Loop: Header=BB137_4 Depth=1
                                        ; implicit-def: $vgpr20_vgpr21
	s_mov_b32 s6, exec_lo
	v_cmpx_gt_u32_e32 0x7ff00000, v68
	s_xor_b32 s34, exec_lo, s6
	s_cbranch_execz .LBB137_124
; %bb.103:                              ;   in Loop: Header=BB137_4 Depth=1
	v_add_nc_u32_e32 v18, 0xbf79d1be, v11
	s_delay_alu instid0(VALU_DEP_1) | instskip(SKIP_1) | instid1(SALU_CYCLE_1)
	v_cmp_lt_u32_e64 s5, 0x108aa2, v18
                                        ; implicit-def: $vgpr20_vgpr21
	s_and_saveexec_b32 s6, s5
	s_xor_b32 s35, exec_lo, s6
	s_cbranch_execz .LBB137_113
; %bb.104:                              ;   in Loop: Header=BB137_4 Depth=1
	v_cmp_ngt_f64_e64 s6, 0x41d00000, |v[12:13]|
                                        ; implicit-def: $vgpr60
                                        ; implicit-def: $vgpr18_vgpr19
                                        ; implicit-def: $vgpr20_vgpr21
	s_and_saveexec_b32 s5, s6
	s_delay_alu instid0(SALU_CYCLE_1)
	s_xor_b32 s7, exec_lo, s5
	s_cbranch_execz .LBB137_106
; %bb.105:                              ;   in Loop: Header=BB137_4 Depth=1
	v_ldexp_f64 v[18:19], |v[12:13]|, 0xffffff80
	v_cmp_le_f64_e64 s5, 0x7b000000, |v[12:13]|
	v_trig_preop_f64 v[20:21], |v[12:13]|, 0
	v_trig_preop_f64 v[56:57], |v[12:13]|, 1
	;; [unrolled: 1-line block ×3, first 2 shown]
	s_delay_alu instid0(VALU_DEP_4) | instskip(SKIP_1) | instid1(VALU_DEP_1)
	v_cndmask_b32_e64 v19, v68, v19, s5
	v_cndmask_b32_e64 v18, v12, v18, s5
	v_mul_f64_e32 v[58:59], v[20:21], v[18:19]
	v_mul_f64_e32 v[60:61], v[56:57], v[18:19]
	s_delay_alu instid0(VALU_DEP_2) | instskip(NEXT) | instid1(VALU_DEP_1)
	v_fma_f64 v[20:21], v[20:21], v[18:19], -v[58:59]
	v_add_f64_e32 v[62:63], v[60:61], v[20:21]
	s_delay_alu instid0(VALU_DEP_1) | instskip(SKIP_1) | instid1(VALU_DEP_2)
	v_add_f64_e64 v[64:65], v[62:63], -v[60:61]
	v_add_f64_e32 v[72:73], v[58:59], v[62:63]
	v_add_f64_e64 v[70:71], v[62:63], -v[64:65]
	v_fma_f64 v[56:57], v[56:57], v[18:19], -v[60:61]
	v_add_f64_e64 v[20:21], v[20:21], -v[64:65]
	s_delay_alu instid0(VALU_DEP_4) | instskip(SKIP_2) | instid1(VALU_DEP_3)
	v_ldexp_f64 v[64:65], v[72:73], -2
	v_mul_f64_e32 v[74:75], v[66:67], v[18:19]
	v_add_f64_e64 v[60:61], v[60:61], -v[70:71]
	v_cmp_neq_f64_e64 s5, 0x7ff00000, |v[64:65]|
	s_delay_alu instid0(VALU_DEP_3) | instskip(SKIP_1) | instid1(VALU_DEP_4)
	v_add_f64_e32 v[70:71], v[74:75], v[56:57]
	v_fma_f64 v[18:19], v[66:67], v[18:19], -v[74:75]
	v_add_f64_e32 v[20:21], v[20:21], v[60:61]
	v_fract_f64_e32 v[60:61], v[64:65]
	s_delay_alu instid0(VALU_DEP_1) | instskip(NEXT) | instid1(VALU_DEP_1)
	v_ldexp_f64 v[60:61], v[60:61], 2
	v_dual_add_f64 v[58:59], v[72:73], -v[58:59] :: v_dual_cndmask_b32 v61, 0, v61, s5
	s_delay_alu instid0(VALU_DEP_1) | instskip(SKIP_1) | instid1(VALU_DEP_1)
	v_dual_add_f64 v[58:59], v[62:63], -v[58:59] :: v_dual_cndmask_b32 v60, 0, v60, s5
	v_add_f64_e32 v[62:63], v[70:71], v[20:21]
	v_add_f64_e32 v[64:65], v[58:59], v[62:63]
	v_add_f64_e64 v[76:77], v[62:63], -v[70:71]
	s_delay_alu instid0(VALU_DEP_2) | instskip(NEXT) | instid1(VALU_DEP_2)
	v_add_f64_e32 v[72:73], v[64:65], v[60:61]
	v_add_f64_e64 v[82:83], v[62:63], -v[76:77]
	v_add_f64_e64 v[20:21], v[20:21], -v[76:77]
	;; [unrolled: 1-line block ×3, first 2 shown]
	s_delay_alu instid0(VALU_DEP_4) | instskip(SKIP_1) | instid1(VALU_DEP_3)
	v_cmp_gt_f64_e64 s5, 0, v[72:73]
	v_add_f64_e64 v[72:73], v[70:71], -v[74:75]
	v_add_f64_e64 v[58:59], v[62:63], -v[58:59]
	s_delay_alu instid0(VALU_DEP_3) | instskip(NEXT) | instid1(VALU_DEP_3)
	v_cndmask_b32_e64 v25, 0, 0x40100000, s5
	v_add_f64_e64 v[80:81], v[70:71], -v[72:73]
	v_add_f64_e64 v[56:57], v[56:57], -v[72:73]
	;; [unrolled: 1-line block ×3, first 2 shown]
	s_delay_alu instid0(VALU_DEP_4) | instskip(NEXT) | instid1(VALU_DEP_4)
	v_add_f64_e32 v[60:61], v[60:61], v[24:25]
	v_add_f64_e64 v[72:73], v[74:75], -v[80:81]
	s_delay_alu instid0(VALU_DEP_3) | instskip(NEXT) | instid1(VALU_DEP_3)
	v_add_f64_e32 v[20:21], v[20:21], v[70:71]
	v_add_f64_e32 v[78:79], v[64:65], v[60:61]
	s_delay_alu instid0(VALU_DEP_3) | instskip(NEXT) | instid1(VALU_DEP_2)
	v_add_f64_e32 v[56:57], v[56:57], v[72:73]
	v_cvt_i32_f64_e32 v25, v[78:79]
	s_delay_alu instid0(VALU_DEP_2) | instskip(NEXT) | instid1(VALU_DEP_2)
	v_add_f64_e32 v[20:21], v[56:57], v[20:21]
	v_cvt_f64_i32_e32 v[76:77], v25
	s_delay_alu instid0(VALU_DEP_2) | instskip(NEXT) | instid1(VALU_DEP_2)
	v_add_f64_e32 v[18:19], v[18:19], v[20:21]
	v_add_f64_e64 v[60:61], v[60:61], -v[76:77]
	s_delay_alu instid0(VALU_DEP_2) | instskip(NEXT) | instid1(VALU_DEP_2)
	v_add_f64_e32 v[18:19], v[58:59], v[18:19]
	v_add_f64_e32 v[56:57], v[64:65], v[60:61]
	s_delay_alu instid0(VALU_DEP_1) | instskip(SKIP_1) | instid1(VALU_DEP_2)
	v_add_f64_e64 v[20:21], v[56:57], -v[60:61]
	v_cmp_le_f64_e64 s5, 0.5, v[56:57]
	v_add_f64_e64 v[20:21], v[64:65], -v[20:21]
	s_delay_alu instid0(VALU_DEP_2) | instskip(SKIP_1) | instid1(VALU_DEP_3)
	v_add_co_ci_u32_e64 v60, null, 0, v25, s5
	v_cndmask_b32_e64 v25, 0, 0x3ff00000, s5
	v_add_f64_e32 v[18:19], v[18:19], v[20:21]
	s_delay_alu instid0(VALU_DEP_2) | instskip(NEXT) | instid1(VALU_DEP_1)
	v_add_f64_e64 v[20:21], v[56:57], -v[24:25]
	v_add_f64_e32 v[56:57], v[20:21], v[18:19]
	s_delay_alu instid0(VALU_DEP_1) | instskip(SKIP_1) | instid1(VALU_DEP_2)
	v_mul_f64_e32 v[58:59], 0x3ff921fb54442d18, v[56:57]
	v_add_f64_e64 v[20:21], v[56:57], -v[20:21]
	v_fma_f64 v[62:63], v[56:57], s[18:19], -v[58:59]
	s_delay_alu instid0(VALU_DEP_2) | instskip(NEXT) | instid1(VALU_DEP_2)
	v_add_f64_e64 v[18:19], v[18:19], -v[20:21]
	v_fmac_f64_e32 v[62:63], 0x3c91a62633145c07, v[56:57]
	s_delay_alu instid0(VALU_DEP_1) | instskip(NEXT) | instid1(VALU_DEP_1)
	v_fmac_f64_e32 v[62:63], 0x3ff921fb54442d18, v[18:19]
	v_add_f64_e32 v[18:19], v[58:59], v[62:63]
	s_delay_alu instid0(VALU_DEP_1) | instskip(NEXT) | instid1(VALU_DEP_1)
	v_add_f64_e64 v[20:21], v[18:19], -v[58:59]
	v_add_f64_e64 v[20:21], v[62:63], -v[20:21]
	s_and_not1_saveexec_b32 s5, s7
	s_cbranch_execz .LBB137_108
	s_branch .LBB137_107
.LBB137_106:                            ;   in Loop: Header=BB137_4 Depth=1
	s_and_not1_saveexec_b32 s5, s7
	s_cbranch_execz .LBB137_108
.LBB137_107:                            ;   in Loop: Header=BB137_4 Depth=1
	v_mul_f64_e64 v[18:19], |v[12:13]|, s[20:21]
	s_delay_alu instid0(VALU_DEP_1) | instskip(NEXT) | instid1(VALU_DEP_1)
	v_rndne_f64_e32 v[56:57], v[18:19]
	v_fma_f64 v[18:19], v[56:57], s[22:23], |v[12:13]|
	v_mul_f64_e32 v[20:21], 0xbc91a62633145c00, v[56:57]
	s_delay_alu instid0(VALU_DEP_2) | instskip(NEXT) | instid1(VALU_DEP_2)
	v_fmamk_f64 v[62:63], v[56:57], 0xbc91a62633145c00, v[18:19]
	v_add_f64_e32 v[58:59], v[18:19], v[20:21]
	s_delay_alu instid0(VALU_DEP_1) | instskip(NEXT) | instid1(VALU_DEP_3)
	v_add_f64_e64 v[60:61], v[18:19], -v[58:59]
	v_add_f64_e64 v[18:19], v[58:59], -v[62:63]
	s_delay_alu instid0(VALU_DEP_2) | instskip(SKIP_2) | instid1(VALU_DEP_3)
	v_add_f64_e32 v[58:59], v[60:61], v[20:21]
	v_fmamk_f64 v[20:21], v[56:57], 0x3c91a62633145c00, v[20:21]
	v_cvt_i32_f64_e32 v60, v[56:57]
	v_add_f64_e32 v[18:19], v[18:19], v[58:59]
	s_delay_alu instid0(VALU_DEP_1) | instskip(NEXT) | instid1(VALU_DEP_1)
	v_add_f64_e64 v[20:21], v[18:19], -v[20:21]
	v_fmac_f64_e32 v[20:21], 0xb97b839a252049c0, v[56:57]
	s_delay_alu instid0(VALU_DEP_1) | instskip(NEXT) | instid1(VALU_DEP_1)
	v_add_f64_e32 v[18:19], v[62:63], v[20:21]
	v_add_f64_e64 v[58:59], v[18:19], -v[62:63]
	s_delay_alu instid0(VALU_DEP_1)
	v_add_f64_e64 v[20:21], v[20:21], -v[58:59]
.LBB137_108:                            ;   in Loop: Header=BB137_4 Depth=1
	s_or_b32 exec_lo, exec_lo, s5
                                        ; implicit-def: $vgpr61
                                        ; implicit-def: $vgpr56_vgpr57
                                        ; implicit-def: $vgpr58_vgpr59
	s_and_saveexec_b32 s5, s6
	s_delay_alu instid0(SALU_CYCLE_1)
	s_xor_b32 s6, exec_lo, s5
	s_cbranch_execz .LBB137_110
; %bb.109:                              ;   in Loop: Header=BB137_4 Depth=1
	v_ldexp_f64 v[56:57], |v[12:13]|, 0xffffff80
	v_cmp_le_f64_e64 s5, 0x7b000000, |v[12:13]|
	v_trig_preop_f64 v[58:59], |v[12:13]|, 0
	v_trig_preop_f64 v[62:63], |v[12:13]|, 1
	;; [unrolled: 1-line block ×3, first 2 shown]
	s_delay_alu instid0(VALU_DEP_4) | instskip(SKIP_1) | instid1(VALU_DEP_1)
	v_cndmask_b32_e64 v57, v68, v57, s5
	v_cndmask_b32_e64 v56, v12, v56, s5
	v_mul_f64_e32 v[64:65], v[58:59], v[56:57]
	v_mul_f64_e32 v[66:67], v[62:63], v[56:57]
	s_delay_alu instid0(VALU_DEP_2) | instskip(NEXT) | instid1(VALU_DEP_1)
	v_fma_f64 v[58:59], v[58:59], v[56:57], -v[64:65]
	v_add_f64_e32 v[68:69], v[66:67], v[58:59]
	s_delay_alu instid0(VALU_DEP_1) | instskip(SKIP_1) | instid1(VALU_DEP_2)
	v_add_f64_e64 v[70:71], v[68:69], -v[66:67]
	v_add_f64_e32 v[76:77], v[64:65], v[68:69]
	v_add_f64_e64 v[74:75], v[68:69], -v[70:71]
	v_add_f64_e64 v[58:59], v[58:59], -v[70:71]
	v_fma_f64 v[62:63], v[62:63], v[56:57], -v[66:67]
	s_delay_alu instid0(VALU_DEP_4) | instskip(SKIP_2) | instid1(VALU_DEP_3)
	v_ldexp_f64 v[70:71], v[76:77], -2
	v_mul_f64_e32 v[78:79], v[72:73], v[56:57]
	v_add_f64_e64 v[66:67], v[66:67], -v[74:75]
	v_cmp_neq_f64_e64 s5, 0x7ff00000, |v[70:71]|
	s_delay_alu instid0(VALU_DEP_3) | instskip(SKIP_1) | instid1(VALU_DEP_4)
	v_add_f64_e32 v[74:75], v[78:79], v[62:63]
	v_fma_f64 v[56:57], v[72:73], v[56:57], -v[78:79]
	v_add_f64_e32 v[58:59], v[58:59], v[66:67]
	v_fract_f64_e32 v[66:67], v[70:71]
	s_delay_alu instid0(VALU_DEP_1) | instskip(NEXT) | instid1(VALU_DEP_1)
	v_ldexp_f64 v[66:67], v[66:67], 2
	v_dual_add_f64 v[64:65], v[76:77], -v[64:65] :: v_dual_cndmask_b32 v67, 0, v67, s5
	s_delay_alu instid0(VALU_DEP_1) | instskip(SKIP_1) | instid1(VALU_DEP_1)
	v_dual_add_f64 v[64:65], v[68:69], -v[64:65] :: v_dual_cndmask_b32 v66, 0, v66, s5
	v_add_f64_e32 v[68:69], v[74:75], v[58:59]
	v_add_f64_e32 v[70:71], v[64:65], v[68:69]
	v_add_f64_e64 v[80:81], v[68:69], -v[74:75]
	s_delay_alu instid0(VALU_DEP_2) | instskip(NEXT) | instid1(VALU_DEP_2)
	v_add_f64_e32 v[76:77], v[70:71], v[66:67]
	v_add_f64_e64 v[86:87], v[68:69], -v[80:81]
	v_add_f64_e64 v[58:59], v[58:59], -v[80:81]
	;; [unrolled: 1-line block ×3, first 2 shown]
	s_delay_alu instid0(VALU_DEP_4) | instskip(SKIP_1) | instid1(VALU_DEP_3)
	v_cmp_gt_f64_e64 s5, 0, v[76:77]
	v_add_f64_e64 v[76:77], v[74:75], -v[78:79]
	v_add_f64_e64 v[64:65], v[68:69], -v[64:65]
	s_delay_alu instid0(VALU_DEP_3) | instskip(NEXT) | instid1(VALU_DEP_3)
	v_cndmask_b32_e64 v25, 0, 0x40100000, s5
	v_add_f64_e64 v[84:85], v[74:75], -v[76:77]
	v_add_f64_e64 v[62:63], v[62:63], -v[76:77]
	;; [unrolled: 1-line block ×3, first 2 shown]
	s_delay_alu instid0(VALU_DEP_4) | instskip(NEXT) | instid1(VALU_DEP_4)
	v_add_f64_e32 v[66:67], v[66:67], v[24:25]
	v_add_f64_e64 v[76:77], v[78:79], -v[84:85]
	s_delay_alu instid0(VALU_DEP_3) | instskip(NEXT) | instid1(VALU_DEP_3)
	v_add_f64_e32 v[58:59], v[58:59], v[74:75]
	v_add_f64_e32 v[82:83], v[70:71], v[66:67]
	s_delay_alu instid0(VALU_DEP_3) | instskip(NEXT) | instid1(VALU_DEP_2)
	v_add_f64_e32 v[62:63], v[62:63], v[76:77]
	v_cvt_i32_f64_e32 v25, v[82:83]
	s_delay_alu instid0(VALU_DEP_2) | instskip(NEXT) | instid1(VALU_DEP_2)
	v_add_f64_e32 v[58:59], v[62:63], v[58:59]
	v_cvt_f64_i32_e32 v[80:81], v25
	s_delay_alu instid0(VALU_DEP_2) | instskip(NEXT) | instid1(VALU_DEP_2)
	v_add_f64_e32 v[56:57], v[56:57], v[58:59]
	v_add_f64_e64 v[66:67], v[66:67], -v[80:81]
	s_delay_alu instid0(VALU_DEP_2) | instskip(NEXT) | instid1(VALU_DEP_2)
	v_add_f64_e32 v[56:57], v[64:65], v[56:57]
	v_add_f64_e32 v[62:63], v[70:71], v[66:67]
	s_delay_alu instid0(VALU_DEP_1) | instskip(SKIP_1) | instid1(VALU_DEP_2)
	v_add_f64_e64 v[58:59], v[62:63], -v[66:67]
	v_cmp_le_f64_e64 s5, 0.5, v[62:63]
	v_add_f64_e64 v[58:59], v[70:71], -v[58:59]
	s_delay_alu instid0(VALU_DEP_2) | instskip(SKIP_1) | instid1(VALU_DEP_3)
	v_add_co_ci_u32_e64 v61, null, 0, v25, s5
	v_cndmask_b32_e64 v25, 0, 0x3ff00000, s5
	v_add_f64_e32 v[56:57], v[56:57], v[58:59]
	s_delay_alu instid0(VALU_DEP_2) | instskip(NEXT) | instid1(VALU_DEP_1)
	v_add_f64_e64 v[58:59], v[62:63], -v[24:25]
	v_add_f64_e32 v[62:63], v[58:59], v[56:57]
	s_delay_alu instid0(VALU_DEP_1) | instskip(SKIP_1) | instid1(VALU_DEP_2)
	v_mul_f64_e32 v[64:65], 0x3ff921fb54442d18, v[62:63]
	v_add_f64_e64 v[58:59], v[62:63], -v[58:59]
	v_fma_f64 v[66:67], v[62:63], s[18:19], -v[64:65]
	s_delay_alu instid0(VALU_DEP_2) | instskip(NEXT) | instid1(VALU_DEP_2)
	v_add_f64_e64 v[56:57], v[56:57], -v[58:59]
	v_fmac_f64_e32 v[66:67], 0x3c91a62633145c07, v[62:63]
	s_delay_alu instid0(VALU_DEP_1) | instskip(NEXT) | instid1(VALU_DEP_1)
	v_fmac_f64_e32 v[66:67], 0x3ff921fb54442d18, v[56:57]
	v_add_f64_e32 v[56:57], v[64:65], v[66:67]
	s_delay_alu instid0(VALU_DEP_1) | instskip(NEXT) | instid1(VALU_DEP_1)
	v_add_f64_e64 v[58:59], v[56:57], -v[64:65]
	v_add_f64_e64 v[58:59], v[66:67], -v[58:59]
	s_and_not1_saveexec_b32 s5, s6
	s_cbranch_execnz .LBB137_111
	s_branch .LBB137_112
.LBB137_110:                            ;   in Loop: Header=BB137_4 Depth=1
	s_and_not1_saveexec_b32 s5, s6
	s_cbranch_execz .LBB137_112
.LBB137_111:                            ;   in Loop: Header=BB137_4 Depth=1
	v_mul_f64_e64 v[56:57], |v[12:13]|, s[20:21]
	s_delay_alu instid0(VALU_DEP_1) | instskip(NEXT) | instid1(VALU_DEP_1)
	v_rndne_f64_e32 v[62:63], v[56:57]
	v_fma_f64 v[56:57], v[62:63], s[22:23], |v[12:13]|
	v_mul_f64_e32 v[58:59], 0xbc91a62633145c00, v[62:63]
	v_cvt_i32_f64_e32 v61, v[62:63]
	s_delay_alu instid0(VALU_DEP_3) | instskip(NEXT) | instid1(VALU_DEP_3)
	v_fmamk_f64 v[68:69], v[62:63], 0xbc91a62633145c00, v[56:57]
	v_add_f64_e32 v[64:65], v[56:57], v[58:59]
	s_delay_alu instid0(VALU_DEP_1) | instskip(NEXT) | instid1(VALU_DEP_3)
	v_add_f64_e64 v[66:67], v[56:57], -v[64:65]
	v_add_f64_e64 v[56:57], v[64:65], -v[68:69]
	s_delay_alu instid0(VALU_DEP_2) | instskip(SKIP_1) | instid1(VALU_DEP_2)
	v_add_f64_e32 v[64:65], v[66:67], v[58:59]
	v_fmamk_f64 v[58:59], v[62:63], 0x3c91a62633145c00, v[58:59]
	v_add_f64_e32 v[56:57], v[56:57], v[64:65]
	s_delay_alu instid0(VALU_DEP_1) | instskip(NEXT) | instid1(VALU_DEP_1)
	v_add_f64_e64 v[58:59], v[56:57], -v[58:59]
	v_fmac_f64_e32 v[58:59], 0xb97b839a252049c0, v[62:63]
	s_delay_alu instid0(VALU_DEP_1) | instskip(NEXT) | instid1(VALU_DEP_1)
	v_add_f64_e32 v[56:57], v[68:69], v[58:59]
	v_add_f64_e64 v[64:65], v[56:57], -v[68:69]
	s_delay_alu instid0(VALU_DEP_1)
	v_add_f64_e64 v[58:59], v[58:59], -v[64:65]
.LBB137_112:                            ;   in Loop: Header=BB137_4 Depth=1
	s_or_b32 exec_lo, exec_lo, s5
	v_mul_f64_e32 v[62:63], 0x3ff71547652b82fe, v[10:11]
	v_mul_f64_e32 v[64:65], v[18:19], v[18:19]
	v_cmp_class_f64_e64 s6, v[12:13], 0x1f8
	v_mul_f64_e32 v[66:67], v[56:57], v[56:57]
	v_cmp_nlt_f64_e64 s7, 0x40900000, v[10:11]
	v_cmp_ngt_f64_e64 s8, 0xc090cc00, v[10:11]
	v_rndne_f64_e32 v[62:63], v[62:63]
	v_mul_f64_e32 v[68:69], 0.5, v[64:65]
	v_mul_f64_e64 v[90:91], v[56:57], -v[66:67]
	v_fmamk_f64 v[94:95], v[66:67], 0x3de5e0b2f9a43bb8, v[34:35]
	s_delay_alu instid0(VALU_DEP_4) | instskip(NEXT) | instid1(VALU_DEP_4)
	v_fmamk_f64 v[72:73], v[62:63], 0xbfe62e42fefa39ef, v[10:11]
	v_add_f64_e64 v[74:75], -v[68:69], 1.0
	v_cvt_i32_f64_e32 v25, v[62:63]
	v_and_b32_e32 v10, 1, v61
	s_delay_alu instid0(VALU_DEP_4) | instskip(NEXT) | instid1(VALU_DEP_2)
	v_fmac_f64_e32 v[72:73], 0xbc7abc9e3b39803f, v[62:63]
	v_cmp_eq_u32_e64 s9, 0, v10
	v_lshlrev_b32_e32 v10, 30, v60
	v_add_f64_e64 v[82:83], -v[74:75], 1.0
	s_delay_alu instid0(VALU_DEP_4) | instskip(NEXT) | instid1(VALU_DEP_1)
	v_fmamk_f64 v[86:87], v[72:73], 0x3e5ade156a5dcb37, v[30:31]
	v_fmaak_f64 v[86:87], v[72:73], v[86:87], 0x3ec71dee623fde64
	s_delay_alu instid0(VALU_DEP_1) | instskip(NEXT) | instid1(VALU_DEP_1)
	v_fmaak_f64 v[86:87], v[72:73], v[86:87], 0x3efa01997c89e6b0
	v_fmaak_f64 v[86:87], v[72:73], v[86:87], 0x3f2a01a014761f6e
	v_add_f64_e64 v[68:69], v[82:83], -v[68:69]
	s_delay_alu instid0(VALU_DEP_2) | instskip(NEXT) | instid1(VALU_DEP_1)
	v_fmaak_f64 v[82:83], v[72:73], v[86:87], 0x3f56c16c1852b7b0
	v_fmaak_f64 v[82:83], v[72:73], v[82:83], 0x3f81111111122322
	s_delay_alu instid0(VALU_DEP_1) | instskip(NEXT) | instid1(VALU_DEP_1)
	v_fmaak_f64 v[82:83], v[72:73], v[82:83], 0x3fa55555555502a1
	v_fmaak_f64 v[82:83], v[72:73], v[82:83], 0x3fc5555555555511
	s_delay_alu instid0(VALU_DEP_1) | instskip(NEXT) | instid1(VALU_DEP_1)
	v_fmaak_f64 v[82:83], v[72:73], v[82:83], 0x3fe000000000000b
	v_fma_f64 v[82:83], v[72:73], v[82:83], 1.0
	s_delay_alu instid0(VALU_DEP_1) | instskip(NEXT) | instid1(VALU_DEP_1)
	v_fma_f64 v[62:63], v[72:73], v[82:83], 1.0
	v_ldexp_f64 v[62:63], v[62:63], v25
	v_mul_f64_e32 v[78:79], 0.5, v[20:21]
	v_and_b32_e32 v25, 1, v60
	v_mul_f64_e64 v[80:81], v[18:19], -v[64:65]
	v_fmamk_f64 v[84:85], v[64:65], 0x3de5e0b2f9a43bb8, v[34:35]
	v_mul_f64_e32 v[86:87], v[64:65], v[64:65]
	s_delay_alu instid0(VALU_DEP_4) | instskip(NEXT) | instid1(VALU_DEP_3)
	v_cmp_eq_u32_e64 s5, 0, v25
	v_fmaak_f64 v[84:85], v[64:65], v[84:85], 0x3ec71de3796cde01
	s_delay_alu instid0(VALU_DEP_1) | instskip(NEXT) | instid1(VALU_DEP_1)
	v_fmaak_f64 v[84:85], v[64:65], v[84:85], 0xbf2a01a019e83e5c
	v_fmaak_f64 v[84:85], v[64:65], v[84:85], 0x3f81111111110bb3
	v_cndmask_b32_e64 v12, 0x7ff00000, v63, s7
	s_delay_alu instid0(VALU_DEP_2) | instskip(SKIP_1) | instid1(VALU_DEP_1)
	v_fmac_f64_e32 v[78:79], v[80:81], v[84:85]
	v_fmaak_f64 v[84:85], v[66:67], v[94:95], 0x3ec71de3796cde01
	v_fmaak_f64 v[84:85], v[66:67], v[84:85], 0xbf2a01a019e83e5c
	s_delay_alu instid0(VALU_DEP_1) | instskip(NEXT) | instid1(VALU_DEP_4)
	v_fmaak_f64 v[84:85], v[66:67], v[84:85], 0x3f81111111110bb3
	v_fma_f64 v[78:79], v[64:65], v[78:79], -v[20:21]
	v_fma_f64 v[20:21], v[18:19], -v[20:21], v[68:69]
	s_delay_alu instid0(VALU_DEP_2) | instskip(NEXT) | instid1(VALU_DEP_1)
	v_fmac_f64_e32 v[78:79], 0xbfc5555555555555, v[80:81]
	v_add_f64_e64 v[18:19], v[18:19], -v[78:79]
	v_mul_f64_e32 v[88:89], 0.5, v[58:59]
	s_delay_alu instid0(VALU_DEP_2) | instskip(NEXT) | instid1(VALU_DEP_2)
	v_xor_b32_e32 v11, 0x80000000, v19
	v_fmac_f64_e32 v[88:89], v[90:91], v[84:85]
	v_fmamk_f64 v[84:85], v[64:65], 0xbda907db46cc5e42, v[32:33]
	v_lshlrev_b32_e32 v19, 30, v61
	s_delay_alu instid0(VALU_DEP_1) | instskip(NEXT) | instid1(VALU_DEP_3)
	v_xor_b32_e32 v13, v19, v13
	v_fmaak_f64 v[68:69], v[64:65], v[84:85], 0xbe927e4fa17f65f6
	s_delay_alu instid0(VALU_DEP_1) | instskip(NEXT) | instid1(VALU_DEP_1)
	v_fmaak_f64 v[68:69], v[64:65], v[68:69], 0x3efa01a019f4ec90
	v_fmaak_f64 v[68:69], v[64:65], v[68:69], 0xbf56c16c16c16967
	s_delay_alu instid0(VALU_DEP_1) | instskip(NEXT) | instid1(VALU_DEP_1)
	v_fmaak_f64 v[64:65], v[64:65], v[68:69], 0x3fa5555555555555
	v_fmac_f64_e32 v[20:21], v[86:87], v[64:65]
	s_delay_alu instid0(VALU_DEP_1) | instskip(NEXT) | instid1(VALU_DEP_1)
	v_add_f64_e32 v[20:21], v[74:75], v[20:21]
	v_dual_cndmask_b32 v18, v18, v20, s5 :: v_dual_cndmask_b32 v11, v11, v21, s5
	s_and_b32 s5, s8, s7
	s_delay_alu instid0(VALU_DEP_1) | instskip(NEXT) | instid1(VALU_DEP_2)
	v_bitop3_b32 v11, v11, v10, 0x80000000 bitop3:0x78
	v_cndmask_b32_e64 v10, 0, v18, s6
	v_mul_f64_e32 v[70:71], 0.5, v[66:67]
	v_mul_f64_e32 v[84:85], v[66:67], v[66:67]
	v_fma_f64 v[68:69], v[66:67], v[88:89], -v[58:59]
	v_cndmask_b32_e64 v11, 0x7ff80000, v11, s6
	s_delay_alu instid0(VALU_DEP_4) | instskip(NEXT) | instid1(VALU_DEP_3)
	v_add_f64_e64 v[76:77], -v[70:71], 1.0
	v_fmac_f64_e32 v[68:69], 0xbfc5555555555555, v[90:91]
	s_delay_alu instid0(VALU_DEP_2) | instskip(NEXT) | instid1(VALU_DEP_1)
	v_add_f64_e64 v[92:93], -v[76:77], 1.0
	v_add_f64_e64 v[70:71], v[92:93], -v[70:71]
	v_fmamk_f64 v[92:93], v[66:67], 0xbda907db46cc5e42, v[32:33]
	s_delay_alu instid0(VALU_DEP_2) | instskip(NEXT) | instid1(VALU_DEP_2)
	v_fma_f64 v[58:59], v[56:57], -v[58:59], v[70:71]
	v_fmaak_f64 v[70:71], v[66:67], v[92:93], 0xbe927e4fa17f65f6
	v_add_f64_e64 v[56:57], v[56:57], -v[68:69]
                                        ; implicit-def: $vgpr68
	s_delay_alu instid0(VALU_DEP_2) | instskip(NEXT) | instid1(VALU_DEP_1)
	v_fmaak_f64 v[64:65], v[66:67], v[70:71], 0x3efa01a019f4ec90
	v_fmaak_f64 v[64:65], v[66:67], v[64:65], 0xbf56c16c16c16967
	s_delay_alu instid0(VALU_DEP_1) | instskip(NEXT) | instid1(VALU_DEP_1)
	v_fmaak_f64 v[64:65], v[66:67], v[64:65], 0x3fa5555555555555
	v_fmac_f64_e32 v[58:59], v[84:85], v[64:65]
	s_delay_alu instid0(VALU_DEP_1) | instskip(NEXT) | instid1(VALU_DEP_1)
	v_add_f64_e32 v[58:59], v[76:77], v[58:59]
	v_dual_cndmask_b32 v20, v59, v57, s9 :: v_dual_cndmask_b32 v19, v58, v56, s9
	s_delay_alu instid0(VALU_DEP_1) | instskip(NEXT) | instid1(VALU_DEP_2)
	v_bitop3_b32 v18, v20, v13, 0x80000000 bitop3:0x78
	v_dual_cndmask_b32 v13, 0, v12, s8 :: v_dual_cndmask_b32 v20, 0, v19, s6
	v_cndmask_b32_e64 v12, 0, v62, s5
	s_delay_alu instid0(VALU_DEP_3) | instskip(NEXT) | instid1(VALU_DEP_2)
	v_cndmask_b32_e64 v21, 0x7ff80000, v18, s6
	v_mul_f64_e32 v[18:19], v[12:13], v[10:11]
	s_delay_alu instid0(VALU_DEP_2)
	v_mul_f64_e32 v[20:21], v[12:13], v[20:21]
                                        ; implicit-def: $vgpr12_vgpr13
.LBB137_113:                            ;   in Loop: Header=BB137_4 Depth=1
	s_and_not1_saveexec_b32 s35, s35
	s_cbranch_execz .LBB137_123
; %bb.114:                              ;   in Loop: Header=BB137_4 Depth=1
	v_cmp_ngt_f64_e64 s6, 0x41d00000, |v[12:13]|
                                        ; implicit-def: $vgpr60
                                        ; implicit-def: $vgpr18_vgpr19
                                        ; implicit-def: $vgpr20_vgpr21
	s_and_saveexec_b32 s5, s6
	s_delay_alu instid0(SALU_CYCLE_1)
	s_xor_b32 s7, exec_lo, s5
	s_cbranch_execz .LBB137_116
; %bb.115:                              ;   in Loop: Header=BB137_4 Depth=1
	v_ldexp_f64 v[18:19], |v[12:13]|, 0xffffff80
	v_cmp_le_f64_e64 s5, 0x7b000000, |v[12:13]|
	v_trig_preop_f64 v[20:21], |v[12:13]|, 0
	v_trig_preop_f64 v[56:57], |v[12:13]|, 1
	;; [unrolled: 1-line block ×3, first 2 shown]
	s_delay_alu instid0(VALU_DEP_4) | instskip(SKIP_1) | instid1(VALU_DEP_1)
	v_cndmask_b32_e64 v19, v68, v19, s5
	v_cndmask_b32_e64 v18, v12, v18, s5
	v_mul_f64_e32 v[58:59], v[20:21], v[18:19]
	v_mul_f64_e32 v[60:61], v[56:57], v[18:19]
	s_delay_alu instid0(VALU_DEP_2) | instskip(NEXT) | instid1(VALU_DEP_1)
	v_fma_f64 v[20:21], v[20:21], v[18:19], -v[58:59]
	v_add_f64_e32 v[62:63], v[60:61], v[20:21]
	s_delay_alu instid0(VALU_DEP_1) | instskip(SKIP_1) | instid1(VALU_DEP_2)
	v_add_f64_e64 v[64:65], v[62:63], -v[60:61]
	v_add_f64_e32 v[72:73], v[58:59], v[62:63]
	v_add_f64_e64 v[70:71], v[62:63], -v[64:65]
	v_fma_f64 v[56:57], v[56:57], v[18:19], -v[60:61]
	v_add_f64_e64 v[20:21], v[20:21], -v[64:65]
	s_delay_alu instid0(VALU_DEP_4) | instskip(SKIP_2) | instid1(VALU_DEP_3)
	v_ldexp_f64 v[64:65], v[72:73], -2
	v_mul_f64_e32 v[74:75], v[66:67], v[18:19]
	v_add_f64_e64 v[60:61], v[60:61], -v[70:71]
	v_cmp_neq_f64_e64 s5, 0x7ff00000, |v[64:65]|
	s_delay_alu instid0(VALU_DEP_3) | instskip(SKIP_1) | instid1(VALU_DEP_4)
	v_add_f64_e32 v[70:71], v[74:75], v[56:57]
	v_fma_f64 v[18:19], v[66:67], v[18:19], -v[74:75]
	v_add_f64_e32 v[20:21], v[20:21], v[60:61]
	v_fract_f64_e32 v[60:61], v[64:65]
	s_delay_alu instid0(VALU_DEP_1) | instskip(NEXT) | instid1(VALU_DEP_1)
	v_ldexp_f64 v[60:61], v[60:61], 2
	v_dual_add_f64 v[58:59], v[72:73], -v[58:59] :: v_dual_cndmask_b32 v61, 0, v61, s5
	s_delay_alu instid0(VALU_DEP_1) | instskip(SKIP_1) | instid1(VALU_DEP_1)
	v_dual_add_f64 v[58:59], v[62:63], -v[58:59] :: v_dual_cndmask_b32 v60, 0, v60, s5
	v_add_f64_e32 v[62:63], v[70:71], v[20:21]
	v_add_f64_e32 v[64:65], v[58:59], v[62:63]
	v_add_f64_e64 v[76:77], v[62:63], -v[70:71]
	s_delay_alu instid0(VALU_DEP_2) | instskip(NEXT) | instid1(VALU_DEP_2)
	v_add_f64_e32 v[72:73], v[64:65], v[60:61]
	v_add_f64_e64 v[82:83], v[62:63], -v[76:77]
	v_add_f64_e64 v[20:21], v[20:21], -v[76:77]
	v_add_f64_e64 v[58:59], v[64:65], -v[58:59]
	s_delay_alu instid0(VALU_DEP_4) | instskip(SKIP_1) | instid1(VALU_DEP_3)
	v_cmp_gt_f64_e64 s5, 0, v[72:73]
	v_add_f64_e64 v[72:73], v[70:71], -v[74:75]
	v_add_f64_e64 v[58:59], v[62:63], -v[58:59]
	s_delay_alu instid0(VALU_DEP_3) | instskip(NEXT) | instid1(VALU_DEP_3)
	v_cndmask_b32_e64 v25, 0, 0x40100000, s5
	v_add_f64_e64 v[80:81], v[70:71], -v[72:73]
	v_add_f64_e64 v[56:57], v[56:57], -v[72:73]
	;; [unrolled: 1-line block ×3, first 2 shown]
	s_delay_alu instid0(VALU_DEP_4) | instskip(NEXT) | instid1(VALU_DEP_4)
	v_add_f64_e32 v[60:61], v[60:61], v[24:25]
	v_add_f64_e64 v[72:73], v[74:75], -v[80:81]
	s_delay_alu instid0(VALU_DEP_3) | instskip(NEXT) | instid1(VALU_DEP_3)
	v_add_f64_e32 v[20:21], v[20:21], v[70:71]
	v_add_f64_e32 v[78:79], v[64:65], v[60:61]
	s_delay_alu instid0(VALU_DEP_3) | instskip(NEXT) | instid1(VALU_DEP_2)
	v_add_f64_e32 v[56:57], v[56:57], v[72:73]
	v_cvt_i32_f64_e32 v25, v[78:79]
	s_delay_alu instid0(VALU_DEP_2) | instskip(NEXT) | instid1(VALU_DEP_2)
	v_add_f64_e32 v[20:21], v[56:57], v[20:21]
	v_cvt_f64_i32_e32 v[76:77], v25
	s_delay_alu instid0(VALU_DEP_2) | instskip(NEXT) | instid1(VALU_DEP_2)
	v_add_f64_e32 v[18:19], v[18:19], v[20:21]
	v_add_f64_e64 v[60:61], v[60:61], -v[76:77]
	s_delay_alu instid0(VALU_DEP_2) | instskip(NEXT) | instid1(VALU_DEP_2)
	v_add_f64_e32 v[18:19], v[58:59], v[18:19]
	v_add_f64_e32 v[56:57], v[64:65], v[60:61]
	s_delay_alu instid0(VALU_DEP_1) | instskip(SKIP_1) | instid1(VALU_DEP_2)
	v_add_f64_e64 v[20:21], v[56:57], -v[60:61]
	v_cmp_le_f64_e64 s5, 0.5, v[56:57]
	v_add_f64_e64 v[20:21], v[64:65], -v[20:21]
	s_delay_alu instid0(VALU_DEP_2) | instskip(SKIP_1) | instid1(VALU_DEP_3)
	v_add_co_ci_u32_e64 v60, null, 0, v25, s5
	v_cndmask_b32_e64 v25, 0, 0x3ff00000, s5
	v_add_f64_e32 v[18:19], v[18:19], v[20:21]
	s_delay_alu instid0(VALU_DEP_2) | instskip(NEXT) | instid1(VALU_DEP_1)
	v_add_f64_e64 v[20:21], v[56:57], -v[24:25]
	v_add_f64_e32 v[56:57], v[20:21], v[18:19]
	s_delay_alu instid0(VALU_DEP_1) | instskip(SKIP_1) | instid1(VALU_DEP_2)
	v_mul_f64_e32 v[58:59], 0x3ff921fb54442d18, v[56:57]
	v_add_f64_e64 v[20:21], v[56:57], -v[20:21]
	v_fma_f64 v[62:63], v[56:57], s[18:19], -v[58:59]
	s_delay_alu instid0(VALU_DEP_2) | instskip(NEXT) | instid1(VALU_DEP_2)
	v_add_f64_e64 v[18:19], v[18:19], -v[20:21]
	v_fmac_f64_e32 v[62:63], 0x3c91a62633145c07, v[56:57]
	s_delay_alu instid0(VALU_DEP_1) | instskip(NEXT) | instid1(VALU_DEP_1)
	v_fmac_f64_e32 v[62:63], 0x3ff921fb54442d18, v[18:19]
	v_add_f64_e32 v[18:19], v[58:59], v[62:63]
	s_delay_alu instid0(VALU_DEP_1) | instskip(NEXT) | instid1(VALU_DEP_1)
	v_add_f64_e64 v[20:21], v[18:19], -v[58:59]
	v_add_f64_e64 v[20:21], v[62:63], -v[20:21]
	s_and_not1_saveexec_b32 s5, s7
	s_cbranch_execz .LBB137_118
	s_branch .LBB137_117
.LBB137_116:                            ;   in Loop: Header=BB137_4 Depth=1
	s_and_not1_saveexec_b32 s5, s7
	s_cbranch_execz .LBB137_118
.LBB137_117:                            ;   in Loop: Header=BB137_4 Depth=1
	v_mul_f64_e64 v[18:19], |v[12:13]|, s[20:21]
	s_delay_alu instid0(VALU_DEP_1) | instskip(NEXT) | instid1(VALU_DEP_1)
	v_rndne_f64_e32 v[56:57], v[18:19]
	v_fma_f64 v[18:19], v[56:57], s[22:23], |v[12:13]|
	v_mul_f64_e32 v[20:21], 0xbc91a62633145c00, v[56:57]
	s_delay_alu instid0(VALU_DEP_2) | instskip(NEXT) | instid1(VALU_DEP_2)
	v_fmamk_f64 v[62:63], v[56:57], 0xbc91a62633145c00, v[18:19]
	v_add_f64_e32 v[58:59], v[18:19], v[20:21]
	s_delay_alu instid0(VALU_DEP_1) | instskip(NEXT) | instid1(VALU_DEP_3)
	v_add_f64_e64 v[60:61], v[18:19], -v[58:59]
	v_add_f64_e64 v[18:19], v[58:59], -v[62:63]
	s_delay_alu instid0(VALU_DEP_2) | instskip(SKIP_2) | instid1(VALU_DEP_3)
	v_add_f64_e32 v[58:59], v[60:61], v[20:21]
	v_fmamk_f64 v[20:21], v[56:57], 0x3c91a62633145c00, v[20:21]
	v_cvt_i32_f64_e32 v60, v[56:57]
	v_add_f64_e32 v[18:19], v[18:19], v[58:59]
	s_delay_alu instid0(VALU_DEP_1) | instskip(NEXT) | instid1(VALU_DEP_1)
	v_add_f64_e64 v[20:21], v[18:19], -v[20:21]
	v_fmac_f64_e32 v[20:21], 0xb97b839a252049c0, v[56:57]
	s_delay_alu instid0(VALU_DEP_1) | instskip(NEXT) | instid1(VALU_DEP_1)
	v_add_f64_e32 v[18:19], v[62:63], v[20:21]
	v_add_f64_e64 v[58:59], v[18:19], -v[62:63]
	s_delay_alu instid0(VALU_DEP_1)
	v_add_f64_e64 v[20:21], v[20:21], -v[58:59]
.LBB137_118:                            ;   in Loop: Header=BB137_4 Depth=1
	s_or_b32 exec_lo, exec_lo, s5
                                        ; implicit-def: $vgpr61
                                        ; implicit-def: $vgpr56_vgpr57
                                        ; implicit-def: $vgpr58_vgpr59
	s_and_saveexec_b32 s5, s6
	s_delay_alu instid0(SALU_CYCLE_1)
	s_xor_b32 s6, exec_lo, s5
	s_cbranch_execz .LBB137_120
; %bb.119:                              ;   in Loop: Header=BB137_4 Depth=1
	v_ldexp_f64 v[56:57], |v[12:13]|, 0xffffff80
	v_cmp_le_f64_e64 s5, 0x7b000000, |v[12:13]|
	v_trig_preop_f64 v[58:59], |v[12:13]|, 0
	v_trig_preop_f64 v[62:63], |v[12:13]|, 1
	;; [unrolled: 1-line block ×3, first 2 shown]
	s_delay_alu instid0(VALU_DEP_4) | instskip(SKIP_1) | instid1(VALU_DEP_1)
	v_cndmask_b32_e64 v57, v68, v57, s5
	v_cndmask_b32_e64 v56, v12, v56, s5
	v_mul_f64_e32 v[64:65], v[58:59], v[56:57]
	v_mul_f64_e32 v[66:67], v[62:63], v[56:57]
	s_delay_alu instid0(VALU_DEP_2) | instskip(NEXT) | instid1(VALU_DEP_1)
	v_fma_f64 v[58:59], v[58:59], v[56:57], -v[64:65]
	v_add_f64_e32 v[68:69], v[66:67], v[58:59]
	s_delay_alu instid0(VALU_DEP_1) | instskip(SKIP_1) | instid1(VALU_DEP_2)
	v_add_f64_e64 v[70:71], v[68:69], -v[66:67]
	v_add_f64_e32 v[76:77], v[64:65], v[68:69]
	v_add_f64_e64 v[74:75], v[68:69], -v[70:71]
	v_add_f64_e64 v[58:59], v[58:59], -v[70:71]
	v_fma_f64 v[62:63], v[62:63], v[56:57], -v[66:67]
	s_delay_alu instid0(VALU_DEP_4) | instskip(SKIP_2) | instid1(VALU_DEP_3)
	v_ldexp_f64 v[70:71], v[76:77], -2
	v_mul_f64_e32 v[78:79], v[72:73], v[56:57]
	v_add_f64_e64 v[66:67], v[66:67], -v[74:75]
	v_cmp_neq_f64_e64 s5, 0x7ff00000, |v[70:71]|
	s_delay_alu instid0(VALU_DEP_3) | instskip(SKIP_1) | instid1(VALU_DEP_4)
	v_add_f64_e32 v[74:75], v[78:79], v[62:63]
	v_fma_f64 v[56:57], v[72:73], v[56:57], -v[78:79]
	v_add_f64_e32 v[58:59], v[58:59], v[66:67]
	v_fract_f64_e32 v[66:67], v[70:71]
	s_delay_alu instid0(VALU_DEP_1) | instskip(NEXT) | instid1(VALU_DEP_1)
	v_ldexp_f64 v[66:67], v[66:67], 2
	v_dual_add_f64 v[64:65], v[76:77], -v[64:65] :: v_dual_cndmask_b32 v67, 0, v67, s5
	s_delay_alu instid0(VALU_DEP_1) | instskip(SKIP_1) | instid1(VALU_DEP_1)
	v_dual_add_f64 v[64:65], v[68:69], -v[64:65] :: v_dual_cndmask_b32 v66, 0, v66, s5
	v_add_f64_e32 v[68:69], v[74:75], v[58:59]
	v_add_f64_e32 v[70:71], v[64:65], v[68:69]
	v_add_f64_e64 v[80:81], v[68:69], -v[74:75]
	s_delay_alu instid0(VALU_DEP_2) | instskip(NEXT) | instid1(VALU_DEP_2)
	v_add_f64_e32 v[76:77], v[70:71], v[66:67]
	v_add_f64_e64 v[86:87], v[68:69], -v[80:81]
	v_add_f64_e64 v[58:59], v[58:59], -v[80:81]
	;; [unrolled: 1-line block ×3, first 2 shown]
	s_delay_alu instid0(VALU_DEP_4) | instskip(SKIP_1) | instid1(VALU_DEP_3)
	v_cmp_gt_f64_e64 s5, 0, v[76:77]
	v_add_f64_e64 v[76:77], v[74:75], -v[78:79]
	v_add_f64_e64 v[64:65], v[68:69], -v[64:65]
	s_delay_alu instid0(VALU_DEP_3) | instskip(NEXT) | instid1(VALU_DEP_3)
	v_cndmask_b32_e64 v25, 0, 0x40100000, s5
	v_add_f64_e64 v[84:85], v[74:75], -v[76:77]
	v_add_f64_e64 v[62:63], v[62:63], -v[76:77]
	;; [unrolled: 1-line block ×3, first 2 shown]
	s_delay_alu instid0(VALU_DEP_4) | instskip(NEXT) | instid1(VALU_DEP_4)
	v_add_f64_e32 v[66:67], v[66:67], v[24:25]
	v_add_f64_e64 v[76:77], v[78:79], -v[84:85]
	s_delay_alu instid0(VALU_DEP_3) | instskip(NEXT) | instid1(VALU_DEP_3)
	v_add_f64_e32 v[58:59], v[58:59], v[74:75]
	v_add_f64_e32 v[82:83], v[70:71], v[66:67]
	s_delay_alu instid0(VALU_DEP_3) | instskip(NEXT) | instid1(VALU_DEP_2)
	v_add_f64_e32 v[62:63], v[62:63], v[76:77]
	v_cvt_i32_f64_e32 v25, v[82:83]
	s_delay_alu instid0(VALU_DEP_2) | instskip(NEXT) | instid1(VALU_DEP_2)
	v_add_f64_e32 v[58:59], v[62:63], v[58:59]
	v_cvt_f64_i32_e32 v[80:81], v25
	s_delay_alu instid0(VALU_DEP_2) | instskip(NEXT) | instid1(VALU_DEP_2)
	v_add_f64_e32 v[56:57], v[56:57], v[58:59]
	v_add_f64_e64 v[66:67], v[66:67], -v[80:81]
	s_delay_alu instid0(VALU_DEP_2) | instskip(NEXT) | instid1(VALU_DEP_2)
	v_add_f64_e32 v[56:57], v[64:65], v[56:57]
	v_add_f64_e32 v[62:63], v[70:71], v[66:67]
	s_delay_alu instid0(VALU_DEP_1) | instskip(SKIP_1) | instid1(VALU_DEP_2)
	v_add_f64_e64 v[58:59], v[62:63], -v[66:67]
	v_cmp_le_f64_e64 s5, 0.5, v[62:63]
	v_add_f64_e64 v[58:59], v[70:71], -v[58:59]
	s_delay_alu instid0(VALU_DEP_2) | instskip(SKIP_1) | instid1(VALU_DEP_3)
	v_add_co_ci_u32_e64 v61, null, 0, v25, s5
	v_cndmask_b32_e64 v25, 0, 0x3ff00000, s5
	v_add_f64_e32 v[56:57], v[56:57], v[58:59]
	s_delay_alu instid0(VALU_DEP_2) | instskip(NEXT) | instid1(VALU_DEP_1)
	v_add_f64_e64 v[58:59], v[62:63], -v[24:25]
	v_add_f64_e32 v[62:63], v[58:59], v[56:57]
	s_delay_alu instid0(VALU_DEP_1) | instskip(SKIP_1) | instid1(VALU_DEP_2)
	v_mul_f64_e32 v[64:65], 0x3ff921fb54442d18, v[62:63]
	v_add_f64_e64 v[58:59], v[62:63], -v[58:59]
	v_fma_f64 v[66:67], v[62:63], s[18:19], -v[64:65]
	s_delay_alu instid0(VALU_DEP_2) | instskip(NEXT) | instid1(VALU_DEP_2)
	v_add_f64_e64 v[56:57], v[56:57], -v[58:59]
	v_fmac_f64_e32 v[66:67], 0x3c91a62633145c07, v[62:63]
	s_delay_alu instid0(VALU_DEP_1) | instskip(NEXT) | instid1(VALU_DEP_1)
	v_fmac_f64_e32 v[66:67], 0x3ff921fb54442d18, v[56:57]
	v_add_f64_e32 v[56:57], v[64:65], v[66:67]
	s_delay_alu instid0(VALU_DEP_1) | instskip(NEXT) | instid1(VALU_DEP_1)
	v_add_f64_e64 v[58:59], v[56:57], -v[64:65]
	v_add_f64_e64 v[58:59], v[66:67], -v[58:59]
	s_and_not1_saveexec_b32 s5, s6
	s_cbranch_execnz .LBB137_121
	s_branch .LBB137_122
.LBB137_120:                            ;   in Loop: Header=BB137_4 Depth=1
	s_and_not1_saveexec_b32 s5, s6
	s_cbranch_execz .LBB137_122
.LBB137_121:                            ;   in Loop: Header=BB137_4 Depth=1
	v_mul_f64_e64 v[56:57], |v[12:13]|, s[20:21]
	s_delay_alu instid0(VALU_DEP_1) | instskip(NEXT) | instid1(VALU_DEP_1)
	v_rndne_f64_e32 v[62:63], v[56:57]
	v_fma_f64 v[56:57], v[62:63], s[22:23], |v[12:13]|
	v_mul_f64_e32 v[58:59], 0xbc91a62633145c00, v[62:63]
	v_cvt_i32_f64_e32 v61, v[62:63]
	s_delay_alu instid0(VALU_DEP_3) | instskip(NEXT) | instid1(VALU_DEP_3)
	v_fmamk_f64 v[68:69], v[62:63], 0xbc91a62633145c00, v[56:57]
	v_add_f64_e32 v[64:65], v[56:57], v[58:59]
	s_delay_alu instid0(VALU_DEP_1) | instskip(NEXT) | instid1(VALU_DEP_3)
	v_add_f64_e64 v[66:67], v[56:57], -v[64:65]
	v_add_f64_e64 v[56:57], v[64:65], -v[68:69]
	s_delay_alu instid0(VALU_DEP_2) | instskip(SKIP_1) | instid1(VALU_DEP_2)
	v_add_f64_e32 v[64:65], v[66:67], v[58:59]
	v_fmamk_f64 v[58:59], v[62:63], 0x3c91a62633145c00, v[58:59]
	v_add_f64_e32 v[56:57], v[56:57], v[64:65]
	s_delay_alu instid0(VALU_DEP_1) | instskip(NEXT) | instid1(VALU_DEP_1)
	v_add_f64_e64 v[58:59], v[56:57], -v[58:59]
	v_fmac_f64_e32 v[58:59], 0xb97b839a252049c0, v[62:63]
	s_delay_alu instid0(VALU_DEP_1) | instskip(NEXT) | instid1(VALU_DEP_1)
	v_add_f64_e32 v[56:57], v[68:69], v[58:59]
	v_add_f64_e64 v[64:65], v[56:57], -v[68:69]
	s_delay_alu instid0(VALU_DEP_1)
	v_add_f64_e64 v[58:59], v[58:59], -v[64:65]
.LBB137_122:                            ;   in Loop: Header=BB137_4 Depth=1
	s_or_b32 exec_lo, exec_lo, s5
	v_add_f64_e32 v[10:11], 0xc0937be319ba0da4, v[10:11]
	v_mul_f64_e32 v[64:65], v[18:19], v[18:19]
	s_delay_alu instid0(VALU_DEP_3)
	v_mul_f64_e32 v[78:79], 0.5, v[20:21]
	v_cmp_class_f64_e64 s6, v[12:13], 0x1f8
	v_mul_f64_e32 v[66:67], v[56:57], v[56:57]
	v_mul_f64_e32 v[62:63], 0x3ff71547652b82fe, v[10:11]
	v_mul_f64_e32 v[68:69], 0.5, v[64:65]
	v_cmp_nlt_f64_e64 s7, 0x40900000, v[10:11]
	v_cmp_ngt_f64_e64 s8, 0xc090cc00, v[10:11]
	v_mul_f64_e64 v[90:91], v[56:57], -v[66:67]
	v_fmamk_f64 v[94:95], v[66:67], 0x3de5e0b2f9a43bb8, v[34:35]
	v_rndne_f64_e32 v[62:63], v[62:63]
	v_add_f64_e64 v[74:75], -v[68:69], 1.0
	s_delay_alu instid0(VALU_DEP_2) | instskip(NEXT) | instid1(VALU_DEP_2)
	v_fmamk_f64 v[72:73], v[62:63], 0xbfe62e42fefa39ef, v[10:11]
	v_add_f64_e64 v[82:83], -v[74:75], 1.0
	v_cvt_i32_f64_e32 v25, v[62:63]
	v_and_b32_e32 v10, 1, v61
	s_delay_alu instid0(VALU_DEP_4) | instskip(NEXT) | instid1(VALU_DEP_2)
	v_fmac_f64_e32 v[72:73], 0xbc7abc9e3b39803f, v[62:63]
	v_cmp_eq_u32_e64 s9, 0, v10
	v_add_f64_e64 v[68:69], v[82:83], -v[68:69]
	s_delay_alu instid0(VALU_DEP_3) | instskip(NEXT) | instid1(VALU_DEP_1)
	v_fmamk_f64 v[86:87], v[72:73], 0x3e5ade156a5dcb37, v[30:31]
	v_fmaak_f64 v[86:87], v[72:73], v[86:87], 0x3ec71dee623fde64
	s_delay_alu instid0(VALU_DEP_1) | instskip(NEXT) | instid1(VALU_DEP_1)
	v_fmaak_f64 v[86:87], v[72:73], v[86:87], 0x3efa01997c89e6b0
	v_fmaak_f64 v[86:87], v[72:73], v[86:87], 0x3f2a01a014761f6e
	s_delay_alu instid0(VALU_DEP_1) | instskip(NEXT) | instid1(VALU_DEP_1)
	v_fmaak_f64 v[82:83], v[72:73], v[86:87], 0x3f56c16c1852b7b0
	;; [unrolled: 3-line block ×4, first 2 shown]
	v_fma_f64 v[82:83], v[72:73], v[82:83], 1.0
	s_delay_alu instid0(VALU_DEP_1) | instskip(NEXT) | instid1(VALU_DEP_1)
	v_fma_f64 v[62:63], v[72:73], v[82:83], 1.0
	v_ldexp_f64 v[62:63], v[62:63], v25
	v_and_b32_e32 v25, 1, v60
	v_mul_f64_e64 v[80:81], v[18:19], -v[64:65]
	v_fmamk_f64 v[84:85], v[64:65], 0x3de5e0b2f9a43bb8, v[34:35]
	v_mul_f64_e32 v[86:87], v[64:65], v[64:65]
	s_delay_alu instid0(VALU_DEP_4) | instskip(NEXT) | instid1(VALU_DEP_3)
	v_cmp_eq_u32_e64 s5, 0, v25
	v_fmaak_f64 v[84:85], v[64:65], v[84:85], 0x3ec71de3796cde01
	s_delay_alu instid0(VALU_DEP_1) | instskip(NEXT) | instid1(VALU_DEP_1)
	v_fmaak_f64 v[84:85], v[64:65], v[84:85], 0xbf2a01a019e83e5c
	v_fmaak_f64 v[84:85], v[64:65], v[84:85], 0x3f81111111110bb3
	v_cndmask_b32_e64 v12, 0x7ff00000, v63, s7
	s_delay_alu instid0(VALU_DEP_2) | instskip(SKIP_1) | instid1(VALU_DEP_1)
	v_fmac_f64_e32 v[78:79], v[80:81], v[84:85]
	v_fmaak_f64 v[84:85], v[66:67], v[94:95], 0x3ec71de3796cde01
	v_fmaak_f64 v[84:85], v[66:67], v[84:85], 0xbf2a01a019e83e5c
	s_delay_alu instid0(VALU_DEP_1) | instskip(NEXT) | instid1(VALU_DEP_4)
	v_fmaak_f64 v[84:85], v[66:67], v[84:85], 0x3f81111111110bb3
	v_fma_f64 v[78:79], v[64:65], v[78:79], -v[20:21]
	v_fma_f64 v[20:21], v[18:19], -v[20:21], v[68:69]
	s_delay_alu instid0(VALU_DEP_2) | instskip(NEXT) | instid1(VALU_DEP_1)
	v_fmac_f64_e32 v[78:79], 0xbfc5555555555555, v[80:81]
	v_add_f64_e64 v[18:19], v[18:19], -v[78:79]
	v_mul_f64_e32 v[88:89], 0.5, v[58:59]
	s_delay_alu instid0(VALU_DEP_2) | instskip(NEXT) | instid1(VALU_DEP_2)
	v_xor_b32_e32 v11, 0x80000000, v19
	v_fmac_f64_e32 v[88:89], v[90:91], v[84:85]
	v_fmamk_f64 v[84:85], v[64:65], 0xbda907db46cc5e42, v[32:33]
	v_lshlrev_b32_e32 v19, 30, v61
	s_delay_alu instid0(VALU_DEP_2) | instskip(NEXT) | instid1(VALU_DEP_1)
	v_fmaak_f64 v[68:69], v[64:65], v[84:85], 0xbe927e4fa17f65f6
	v_fmaak_f64 v[68:69], v[64:65], v[68:69], 0x3efa01a019f4ec90
	s_delay_alu instid0(VALU_DEP_1) | instskip(NEXT) | instid1(VALU_DEP_1)
	v_fmaak_f64 v[68:69], v[64:65], v[68:69], 0xbf56c16c16c16967
	v_fmaak_f64 v[64:65], v[64:65], v[68:69], 0x3fa5555555555555
	s_delay_alu instid0(VALU_DEP_1) | instskip(NEXT) | instid1(VALU_DEP_1)
	v_fmac_f64_e32 v[20:21], v[86:87], v[64:65]
	v_add_f64_e32 v[20:21], v[74:75], v[20:21]
	s_delay_alu instid0(VALU_DEP_1) | instskip(NEXT) | instid1(VALU_DEP_2)
	v_cndmask_b32_e64 v18, v18, v20, s5
	v_dual_lshlrev_b32 v20, 30, v60 :: v_dual_cndmask_b32 v10, v11, v21, s5
	v_cndmask_b32_e64 v21, 0, v12, s8
	s_and_b32 s5, s8, s7
	v_xor_b32_e32 v11, v19, v13
	s_delay_alu instid0(VALU_DEP_3) | instskip(SKIP_4) | instid1(VALU_DEP_3)
	v_bitop3_b32 v20, v10, v20, 0x80000000 bitop3:0x78
	v_cndmask_b32_e64 v10, 0, v18, s6
	v_mul_f64_e32 v[70:71], 0.5, v[66:67]
	v_mul_f64_e32 v[84:85], v[66:67], v[66:67]
	v_dual_fma_f64 v[68:69], v[66:67], v[88:89], -v[58:59] :: v_dual_cndmask_b32 v18, 0, v62, s5
	v_add_f64_e64 v[76:77], -v[70:71], 1.0
	s_delay_alu instid0(VALU_DEP_2) | instskip(NEXT) | instid1(VALU_DEP_2)
	v_fmac_f64_e32 v[68:69], 0xbfc5555555555555, v[90:91]
	v_add_f64_e64 v[92:93], -v[76:77], 1.0
	s_delay_alu instid0(VALU_DEP_1) | instskip(SKIP_1) | instid1(VALU_DEP_2)
	v_add_f64_e64 v[70:71], v[92:93], -v[70:71]
	v_fmamk_f64 v[92:93], v[66:67], 0xbda907db46cc5e42, v[32:33]
	v_fma_f64 v[58:59], v[56:57], -v[58:59], v[70:71]
	s_delay_alu instid0(VALU_DEP_2) | instskip(SKIP_1) | instid1(VALU_DEP_2)
	v_fmaak_f64 v[70:71], v[66:67], v[92:93], 0xbe927e4fa17f65f6
	v_add_f64_e64 v[56:57], v[56:57], -v[68:69]
	v_fmaak_f64 v[64:65], v[66:67], v[70:71], 0x3efa01a019f4ec90
	s_delay_alu instid0(VALU_DEP_1) | instskip(NEXT) | instid1(VALU_DEP_1)
	v_fmaak_f64 v[64:65], v[66:67], v[64:65], 0xbf56c16c16c16967
	v_fmaak_f64 v[64:65], v[66:67], v[64:65], 0x3fa5555555555555
	s_delay_alu instid0(VALU_DEP_1) | instskip(NEXT) | instid1(VALU_DEP_1)
	v_fmac_f64_e32 v[58:59], v[84:85], v[64:65]
	v_add_f64_e32 v[58:59], v[76:77], v[58:59]
	s_delay_alu instid0(VALU_DEP_1) | instskip(NEXT) | instid1(VALU_DEP_1)
	v_dual_cndmask_b32 v19, v59, v57, s9 :: v_dual_cndmask_b32 v13, v58, v56, s9
	v_bitop3_b32 v25, v19, v11, 0x80000000 bitop3:0x78
	v_cndmask_b32_e64 v11, 0x7ff80000, v20, s6
	s_delay_alu instid0(VALU_DEP_3) | instskip(SKIP_3) | instid1(VALU_DEP_3)
	v_cndmask_b32_e64 v12, 0, v13, s6
	v_and_or_b32 v19, v21, s30, 0x7fe00000
	v_lshrrev_b32_e32 v20, 20, v21
	v_cndmask_b32_e64 v13, 0x7ff80000, v25, s6
	v_mul_f64_e32 v[10:11], v[18:19], v[10:11]
	s_delay_alu instid0(VALU_DEP_2) | instskip(NEXT) | instid1(VALU_DEP_4)
	v_mul_f64_e32 v[12:13], v[18:19], v[12:13]
	v_add_nc_u32_e32 v18, 0xffffff09, v20
	v_mov_b32_e32 v20, v24
	s_delay_alu instid0(VALU_DEP_2) | instskip(NEXT) | instid1(VALU_DEP_1)
	v_lshrrev_b16 v19, 15, v18
	v_add_nc_u16 v19, v18, v19
	s_delay_alu instid0(VALU_DEP_1) | instskip(NEXT) | instid1(VALU_DEP_1)
	v_ashrrev_i16 v19, 1, v19
	v_bfe_i32 v19, v19, 0, 16
	s_delay_alu instid0(VALU_DEP_1) | instskip(SKIP_1) | instid1(VALU_DEP_2)
	v_lshl_add_u32 v25, v19, 20, 0x3ff00000
	v_sub_nc_u32_e32 v18, v18, v19
	v_mul_f64_e32 v[10:11], v[10:11], v[24:25]
	v_mul_f64_e32 v[12:13], v[12:13], v[24:25]
	s_delay_alu instid0(VALU_DEP_3) | instskip(NEXT) | instid1(VALU_DEP_1)
	v_lshl_add_u32 v21, v18, 20, 0x3ff00000
	v_mul_f64_e32 v[18:19], v[10:11], v[20:21]
	s_delay_alu instid0(VALU_DEP_3)
	v_mul_f64_e32 v[20:21], v[12:13], v[20:21]
.LBB137_123:                            ;   in Loop: Header=BB137_4 Depth=1
	s_or_b32 exec_lo, exec_lo, s35
                                        ; implicit-def: $vgpr10_vgpr11
                                        ; implicit-def: $vgpr25
.LBB137_124:                            ;   in Loop: Header=BB137_4 Depth=1
	s_and_not1_saveexec_b32 s7, s34
	s_cbranch_execz .LBB137_130
; %bb.125:                              ;   in Loop: Header=BB137_4 Depth=1
	v_add_f64_e64 v[20:21], v[12:13], -v[12:13]
	v_cmp_ne_u32_e64 s5, 0, v10
	v_cmp_ne_u32_e64 s6, 0x7ff00000, v25
	s_or_b32 s5, s5, s6
	s_delay_alu instid0(SALU_CYCLE_1) | instskip(NEXT) | instid1(SALU_CYCLE_1)
	s_and_saveexec_b32 s6, s5
	s_xor_b32 s5, exec_lo, s6
; %bb.126:                              ;   in Loop: Header=BB137_4 Depth=1
                                        ; implicit-def: $vgpr10_vgpr11
; %bb.127:                              ;   in Loop: Header=BB137_4 Depth=1
	s_delay_alu instid0(SALU_CYCLE_1)
	s_or_saveexec_b32 s6, s5
	v_mov_b64_e32 v[18:19], v[20:21]
	s_xor_b32 exec_lo, exec_lo, s6
; %bb.128:                              ;   in Loop: Header=BB137_4 Depth=1
	v_cmp_lt_i64_e64 s5, -1, v[10:11]
	s_delay_alu instid0(VALU_DEP_1)
	v_dual_cndmask_b32 v19, 0, v11, s5 :: v_dual_cndmask_b32 v18, 0, v10, s5
	v_dual_cndmask_b32 v21, 0, v21, s5 :: v_dual_cndmask_b32 v20, 0, v20, s5
; %bb.129:                              ;   in Loop: Header=BB137_4 Depth=1
	s_or_b32 exec_lo, exec_lo, s6
.LBB137_130:                            ;   in Loop: Header=BB137_4 Depth=1
	s_delay_alu instid0(SALU_CYCLE_1)
	s_or_b32 exec_lo, exec_lo, s7
                                        ; implicit-def: $vgpr12_vgpr13
                                        ; implicit-def: $vgpr68
.LBB137_131:                            ;   in Loop: Header=BB137_4 Depth=1
	s_and_not1_saveexec_b32 s8, s33
	s_cbranch_execz .LBB137_141
; %bb.132:                              ;   in Loop: Header=BB137_4 Depth=1
	v_cmp_ngt_f64_e64 s6, 0x41d00000, |v[12:13]|
	v_trig_preop_f64 v[58:59], |v[12:13]|, 0
	v_trig_preop_f64 v[56:57], |v[12:13]|, 1
	v_ldexp_f64 v[60:61], |v[12:13]|, 0xffffff80
	v_trig_preop_f64 v[20:21], |v[12:13]|, 2
                                        ; implicit-def: $vgpr69
                                        ; implicit-def: $vgpr10_vgpr11
                                        ; implicit-def: $vgpr18_vgpr19
	s_and_saveexec_b32 s5, s6
	s_delay_alu instid0(SALU_CYCLE_1)
	s_xor_b32 s7, exec_lo, s5
	s_cbranch_execz .LBB137_134
; %bb.133:                              ;   in Loop: Header=BB137_4 Depth=1
	v_cmp_le_f64_e64 s5, 0x7b000000, |v[12:13]|
	s_delay_alu instid0(VALU_DEP_1) | instskip(NEXT) | instid1(VALU_DEP_4)
	v_cndmask_b32_e64 v11, v68, v61, s5
	v_cndmask_b32_e64 v10, v12, v60, s5
	s_delay_alu instid0(VALU_DEP_1) | instskip(SKIP_1) | instid1(VALU_DEP_2)
	v_mul_f64_e32 v[18:19], v[58:59], v[10:11]
	v_mul_f64_e32 v[62:63], v[56:57], v[10:11]
	v_fma_f64 v[64:65], v[58:59], v[10:11], -v[18:19]
	s_delay_alu instid0(VALU_DEP_1) | instskip(NEXT) | instid1(VALU_DEP_1)
	v_add_f64_e32 v[66:67], v[62:63], v[64:65]
	v_add_f64_e64 v[70:71], v[66:67], -v[62:63]
	v_add_f64_e32 v[74:75], v[18:19], v[66:67]
	s_delay_alu instid0(VALU_DEP_2) | instskip(SKIP_2) | instid1(VALU_DEP_4)
	v_add_f64_e64 v[72:73], v[66:67], -v[70:71]
	v_fma_f64 v[78:79], v[56:57], v[10:11], -v[62:63]
	v_add_f64_e64 v[64:65], v[64:65], -v[70:71]
	v_ldexp_f64 v[70:71], v[74:75], -2
	v_mul_f64_e32 v[76:77], v[20:21], v[10:11]
	v_add_f64_e64 v[62:63], v[62:63], -v[72:73]
	s_delay_alu instid0(VALU_DEP_3) | instskip(NEXT) | instid1(VALU_DEP_3)
	v_cmp_neq_f64_e64 s5, 0x7ff00000, |v[70:71]|
	v_add_f64_e32 v[72:73], v[76:77], v[78:79]
	v_fma_f64 v[10:11], v[20:21], v[10:11], -v[76:77]
	s_delay_alu instid0(VALU_DEP_4) | instskip(SKIP_1) | instid1(VALU_DEP_1)
	v_add_f64_e32 v[62:63], v[64:65], v[62:63]
	v_fract_f64_e32 v[64:65], v[70:71]
	v_ldexp_f64 v[64:65], v[64:65], 2
	s_delay_alu instid0(VALU_DEP_1) | instskip(NEXT) | instid1(VALU_DEP_1)
	v_dual_add_f64 v[18:19], v[74:75], -v[18:19] :: v_dual_cndmask_b32 v65, 0, v65, s5
	v_dual_add_f64 v[18:19], v[66:67], -v[18:19] :: v_dual_cndmask_b32 v64, 0, v64, s5
	v_add_f64_e32 v[66:67], v[72:73], v[62:63]
	s_delay_alu instid0(VALU_DEP_1) | instskip(SKIP_1) | instid1(VALU_DEP_2)
	v_add_f64_e32 v[70:71], v[18:19], v[66:67]
	v_add_f64_e64 v[80:81], v[66:67], -v[72:73]
	v_add_f64_e32 v[74:75], v[70:71], v[64:65]
	s_delay_alu instid0(VALU_DEP_2) | instskip(SKIP_2) | instid1(VALU_DEP_4)
	v_add_f64_e64 v[86:87], v[66:67], -v[80:81]
	v_add_f64_e64 v[62:63], v[62:63], -v[80:81]
	;; [unrolled: 1-line block ×3, first 2 shown]
	v_cmp_gt_f64_e64 s5, 0, v[74:75]
	v_add_f64_e64 v[74:75], v[72:73], -v[76:77]
	s_delay_alu instid0(VALU_DEP_3) | instskip(NEXT) | instid1(VALU_DEP_3)
	v_add_f64_e64 v[18:19], v[66:67], -v[18:19]
	v_cndmask_b32_e64 v25, 0, 0x40100000, s5
	s_delay_alu instid0(VALU_DEP_3) | instskip(SKIP_2) | instid1(VALU_DEP_4)
	v_add_f64_e64 v[84:85], v[72:73], -v[74:75]
	v_add_f64_e64 v[74:75], v[78:79], -v[74:75]
	;; [unrolled: 1-line block ×3, first 2 shown]
	v_add_f64_e32 v[64:65], v[64:65], v[24:25]
	s_delay_alu instid0(VALU_DEP_4) | instskip(NEXT) | instid1(VALU_DEP_3)
	v_add_f64_e64 v[78:79], v[76:77], -v[84:85]
	v_add_f64_e32 v[62:63], v[62:63], v[72:73]
	s_delay_alu instid0(VALU_DEP_3) | instskip(NEXT) | instid1(VALU_DEP_3)
	v_add_f64_e32 v[82:83], v[70:71], v[64:65]
	v_add_f64_e32 v[74:75], v[74:75], v[78:79]
	s_delay_alu instid0(VALU_DEP_2) | instskip(NEXT) | instid1(VALU_DEP_2)
	v_cvt_i32_f64_e32 v25, v[82:83]
	v_add_f64_e32 v[62:63], v[74:75], v[62:63]
	s_delay_alu instid0(VALU_DEP_2) | instskip(NEXT) | instid1(VALU_DEP_2)
	v_cvt_f64_i32_e32 v[80:81], v25
	v_add_f64_e32 v[10:11], v[10:11], v[62:63]
	s_delay_alu instid0(VALU_DEP_2) | instskip(NEXT) | instid1(VALU_DEP_2)
	v_add_f64_e64 v[64:65], v[64:65], -v[80:81]
	v_add_f64_e32 v[10:11], v[18:19], v[10:11]
	s_delay_alu instid0(VALU_DEP_2) | instskip(NEXT) | instid1(VALU_DEP_1)
	v_add_f64_e32 v[72:73], v[70:71], v[64:65]
	v_add_f64_e64 v[62:63], v[72:73], -v[64:65]
	v_cmp_le_f64_e64 s5, 0.5, v[72:73]
	s_delay_alu instid0(VALU_DEP_2) | instskip(NEXT) | instid1(VALU_DEP_2)
	v_add_f64_e64 v[18:19], v[70:71], -v[62:63]
	v_add_co_ci_u32_e64 v69, null, 0, v25, s5
	v_cndmask_b32_e64 v25, 0, 0x3ff00000, s5
	s_delay_alu instid0(VALU_DEP_3) | instskip(NEXT) | instid1(VALU_DEP_2)
	v_add_f64_e32 v[10:11], v[10:11], v[18:19]
	v_add_f64_e64 v[18:19], v[72:73], -v[24:25]
	s_delay_alu instid0(VALU_DEP_1) | instskip(NEXT) | instid1(VALU_DEP_1)
	v_add_f64_e32 v[62:63], v[18:19], v[10:11]
	v_mul_f64_e32 v[64:65], 0x3ff921fb54442d18, v[62:63]
	v_add_f64_e64 v[18:19], v[62:63], -v[18:19]
	s_delay_alu instid0(VALU_DEP_2) | instskip(NEXT) | instid1(VALU_DEP_2)
	v_fma_f64 v[66:67], v[62:63], s[18:19], -v[64:65]
	v_add_f64_e64 v[10:11], v[10:11], -v[18:19]
	s_delay_alu instid0(VALU_DEP_2) | instskip(NEXT) | instid1(VALU_DEP_1)
	v_fmac_f64_e32 v[66:67], 0x3c91a62633145c07, v[62:63]
	v_fmac_f64_e32 v[66:67], 0x3ff921fb54442d18, v[10:11]
	s_delay_alu instid0(VALU_DEP_1) | instskip(NEXT) | instid1(VALU_DEP_1)
	v_add_f64_e32 v[10:11], v[64:65], v[66:67]
	v_add_f64_e64 v[18:19], v[10:11], -v[64:65]
	s_delay_alu instid0(VALU_DEP_1)
	v_add_f64_e64 v[18:19], v[66:67], -v[18:19]
.LBB137_134:                            ;   in Loop: Header=BB137_4 Depth=1
	s_or_saveexec_b32 s5, s7
	v_mul_f64_e64 v[62:63], |v[12:13]|, s[20:21]
	s_delay_alu instid0(VALU_DEP_1)
	v_rndne_f64_e32 v[66:67], v[62:63]
	s_xor_b32 exec_lo, exec_lo, s5
	s_cbranch_execz .LBB137_136
; %bb.135:                              ;   in Loop: Header=BB137_4 Depth=1
	s_delay_alu instid0(VALU_DEP_1) | instskip(SKIP_2) | instid1(VALU_DEP_3)
	v_fma_f64 v[10:11], v[66:67], s[22:23], |v[12:13]|
	v_mul_f64_e32 v[18:19], 0xbc91a62633145c00, v[66:67]
	v_cvt_i32_f64_e32 v69, v[66:67]
	v_fmamk_f64 v[70:71], v[66:67], 0xbc91a62633145c00, v[10:11]
	s_delay_alu instid0(VALU_DEP_3) | instskip(NEXT) | instid1(VALU_DEP_1)
	v_add_f64_e32 v[62:63], v[10:11], v[18:19]
	v_add_f64_e64 v[64:65], v[10:11], -v[62:63]
	s_delay_alu instid0(VALU_DEP_3) | instskip(NEXT) | instid1(VALU_DEP_2)
	v_add_f64_e64 v[10:11], v[62:63], -v[70:71]
	v_add_f64_e32 v[62:63], v[64:65], v[18:19]
	v_fmamk_f64 v[18:19], v[66:67], 0x3c91a62633145c00, v[18:19]
	s_delay_alu instid0(VALU_DEP_2) | instskip(NEXT) | instid1(VALU_DEP_1)
	v_add_f64_e32 v[10:11], v[10:11], v[62:63]
	v_add_f64_e64 v[18:19], v[10:11], -v[18:19]
	s_delay_alu instid0(VALU_DEP_1) | instskip(NEXT) | instid1(VALU_DEP_1)
	v_fmac_f64_e32 v[18:19], 0xb97b839a252049c0, v[66:67]
	v_add_f64_e32 v[10:11], v[70:71], v[18:19]
	s_delay_alu instid0(VALU_DEP_1) | instskip(NEXT) | instid1(VALU_DEP_1)
	v_add_f64_e64 v[62:63], v[10:11], -v[70:71]
	v_add_f64_e64 v[18:19], v[18:19], -v[62:63]
.LBB137_136:                            ;   in Loop: Header=BB137_4 Depth=1
	s_or_b32 exec_lo, exec_lo, s5
                                        ; implicit-def: $vgpr70
                                        ; implicit-def: $vgpr62_vgpr63
                                        ; implicit-def: $vgpr64_vgpr65
	s_and_saveexec_b32 s5, s6
	s_delay_alu instid0(SALU_CYCLE_1)
	s_xor_b32 s6, exec_lo, s5
	s_cbranch_execz .LBB137_138
; %bb.137:                              ;   in Loop: Header=BB137_4 Depth=1
	v_cmp_le_f64_e64 s5, 0x7b000000, |v[12:13]|
	s_delay_alu instid0(VALU_DEP_1) | instskip(SKIP_1) | instid1(VALU_DEP_1)
	v_cndmask_b32_e64 v61, v68, v61, s5
	v_cndmask_b32_e64 v60, v12, v60, s5
	v_mul_f64_e32 v[62:63], v[58:59], v[60:61]
	v_mul_f64_e32 v[64:65], v[56:57], v[60:61]
	s_delay_alu instid0(VALU_DEP_2) | instskip(NEXT) | instid1(VALU_DEP_1)
	v_fma_f64 v[58:59], v[58:59], v[60:61], -v[62:63]
	v_add_f64_e32 v[66:67], v[64:65], v[58:59]
	s_delay_alu instid0(VALU_DEP_1) | instskip(SKIP_1) | instid1(VALU_DEP_2)
	v_add_f64_e64 v[70:71], v[66:67], -v[64:65]
	v_add_f64_e32 v[74:75], v[62:63], v[66:67]
	v_add_f64_e64 v[72:73], v[66:67], -v[70:71]
	v_fma_f64 v[56:57], v[56:57], v[60:61], -v[64:65]
	v_add_f64_e64 v[58:59], v[58:59], -v[70:71]
	s_delay_alu instid0(VALU_DEP_4) | instskip(SKIP_3) | instid1(VALU_DEP_4)
	v_ldexp_f64 v[70:71], v[74:75], -2
	v_mul_f64_e32 v[76:77], v[20:21], v[60:61]
	v_add_f64_e64 v[62:63], v[74:75], -v[62:63]
	v_add_f64_e64 v[64:65], v[64:65], -v[72:73]
	v_cmp_neq_f64_e64 s5, 0x7ff00000, |v[70:71]|
	s_delay_alu instid0(VALU_DEP_4) | instskip(SKIP_1) | instid1(VALU_DEP_4)
	v_add_f64_e32 v[72:73], v[76:77], v[56:57]
	v_fma_f64 v[20:21], v[20:21], v[60:61], -v[76:77]
	v_add_f64_e32 v[58:59], v[58:59], v[64:65]
	v_fract_f64_e32 v[64:65], v[70:71]
	s_delay_alu instid0(VALU_DEP_1) | instskip(NEXT) | instid1(VALU_DEP_1)
	v_ldexp_f64 v[64:65], v[64:65], 2
	v_dual_add_f64 v[62:63], v[66:67], -v[62:63] :: v_dual_cndmask_b32 v65, 0, v65, s5
	s_delay_alu instid0(VALU_DEP_2) | instskip(NEXT) | instid1(VALU_DEP_1)
	v_dual_add_f64 v[66:67], v[72:73], v[58:59] :: v_dual_cndmask_b32 v64, 0, v64, s5
	v_add_f64_e32 v[70:71], v[62:63], v[66:67]
	v_add_f64_e64 v[78:79], v[66:67], -v[72:73]
	s_delay_alu instid0(VALU_DEP_2) | instskip(NEXT) | instid1(VALU_DEP_2)
	v_add_f64_e32 v[74:75], v[70:71], v[64:65]
	v_add_f64_e64 v[84:85], v[66:67], -v[78:79]
	v_add_f64_e64 v[58:59], v[58:59], -v[78:79]
	;; [unrolled: 1-line block ×3, first 2 shown]
	s_delay_alu instid0(VALU_DEP_4) | instskip(SKIP_1) | instid1(VALU_DEP_3)
	v_cmp_gt_f64_e64 s5, 0, v[74:75]
	v_add_f64_e64 v[74:75], v[72:73], -v[76:77]
	v_add_f64_e64 v[60:61], v[66:67], -v[60:61]
                                        ; implicit-def: $vgpr66_vgpr67
	s_delay_alu instid0(VALU_DEP_3) | instskip(NEXT) | instid1(VALU_DEP_3)
	v_cndmask_b32_e64 v25, 0, 0x40100000, s5
	v_add_f64_e64 v[82:83], v[72:73], -v[74:75]
	v_add_f64_e64 v[56:57], v[56:57], -v[74:75]
	;; [unrolled: 1-line block ×3, first 2 shown]
	s_delay_alu instid0(VALU_DEP_4) | instskip(NEXT) | instid1(VALU_DEP_4)
	v_add_f64_e32 v[64:65], v[64:65], v[24:25]
	v_add_f64_e64 v[74:75], v[76:77], -v[82:83]
	s_delay_alu instid0(VALU_DEP_3) | instskip(NEXT) | instid1(VALU_DEP_3)
	v_add_f64_e32 v[58:59], v[58:59], v[72:73]
	v_add_f64_e32 v[80:81], v[70:71], v[64:65]
	s_delay_alu instid0(VALU_DEP_3) | instskip(NEXT) | instid1(VALU_DEP_2)
	v_add_f64_e32 v[56:57], v[56:57], v[74:75]
	v_cvt_i32_f64_e32 v25, v[80:81]
	s_delay_alu instid0(VALU_DEP_2) | instskip(NEXT) | instid1(VALU_DEP_2)
	v_add_f64_e32 v[56:57], v[56:57], v[58:59]
	v_cvt_f64_i32_e32 v[78:79], v25
	s_delay_alu instid0(VALU_DEP_2) | instskip(NEXT) | instid1(VALU_DEP_2)
	v_add_f64_e32 v[20:21], v[20:21], v[56:57]
	v_add_f64_e64 v[64:65], v[64:65], -v[78:79]
	s_delay_alu instid0(VALU_DEP_2) | instskip(NEXT) | instid1(VALU_DEP_2)
	v_add_f64_e32 v[20:21], v[60:61], v[20:21]
	v_add_f64_e32 v[58:59], v[70:71], v[64:65]
	s_delay_alu instid0(VALU_DEP_1) | instskip(SKIP_1) | instid1(VALU_DEP_2)
	v_add_f64_e64 v[56:57], v[58:59], -v[64:65]
	v_cmp_le_f64_e64 s5, 0.5, v[58:59]
	v_add_f64_e64 v[56:57], v[70:71], -v[56:57]
	s_delay_alu instid0(VALU_DEP_2) | instskip(SKIP_1) | instid1(VALU_DEP_3)
	v_add_co_ci_u32_e64 v70, null, 0, v25, s5
	v_cndmask_b32_e64 v25, 0, 0x3ff00000, s5
	v_add_f64_e32 v[20:21], v[20:21], v[56:57]
	s_delay_alu instid0(VALU_DEP_2) | instskip(NEXT) | instid1(VALU_DEP_1)
	v_add_f64_e64 v[56:57], v[58:59], -v[24:25]
	v_add_f64_e32 v[58:59], v[56:57], v[20:21]
	s_delay_alu instid0(VALU_DEP_1) | instskip(SKIP_1) | instid1(VALU_DEP_2)
	v_mul_f64_e32 v[60:61], 0x3ff921fb54442d18, v[58:59]
	v_add_f64_e64 v[56:57], v[58:59], -v[56:57]
	v_fma_f64 v[64:65], v[58:59], s[18:19], -v[60:61]
	s_delay_alu instid0(VALU_DEP_2) | instskip(NEXT) | instid1(VALU_DEP_2)
	v_add_f64_e64 v[20:21], v[20:21], -v[56:57]
	v_fmac_f64_e32 v[64:65], 0x3c91a62633145c07, v[58:59]
	s_delay_alu instid0(VALU_DEP_1) | instskip(NEXT) | instid1(VALU_DEP_1)
	v_fmac_f64_e32 v[64:65], 0x3ff921fb54442d18, v[20:21]
	v_add_f64_e32 v[62:63], v[60:61], v[64:65]
	s_delay_alu instid0(VALU_DEP_1) | instskip(NEXT) | instid1(VALU_DEP_1)
	v_add_f64_e64 v[20:21], v[62:63], -v[60:61]
	v_add_f64_e64 v[64:65], v[64:65], -v[20:21]
	s_and_not1_saveexec_b32 s5, s6
	s_cbranch_execnz .LBB137_139
	s_branch .LBB137_140
.LBB137_138:                            ;   in Loop: Header=BB137_4 Depth=1
	s_and_not1_saveexec_b32 s5, s6
	s_cbranch_execz .LBB137_140
.LBB137_139:                            ;   in Loop: Header=BB137_4 Depth=1
	s_delay_alu instid0(VALU_DEP_1) | instskip(SKIP_2) | instid1(VALU_DEP_2)
	v_fma_f64 v[20:21], v[66:67], s[22:23], |v[12:13]|
	v_mul_f64_e32 v[56:57], 0xbc91a62633145c00, v[66:67]
	v_cvt_i32_f64_e32 v70, v[66:67]
	v_add_f64_e32 v[58:59], v[20:21], v[56:57]
	s_delay_alu instid0(VALU_DEP_1) | instskip(SKIP_1) | instid1(VALU_DEP_1)
	v_add_f64_e64 v[60:61], v[20:21], -v[58:59]
	v_fmamk_f64 v[20:21], v[66:67], 0xbc91a62633145c00, v[20:21]
	v_add_f64_e64 v[58:59], v[58:59], -v[20:21]
	s_delay_alu instid0(VALU_DEP_3) | instskip(SKIP_1) | instid1(VALU_DEP_2)
	v_add_f64_e32 v[60:61], v[60:61], v[56:57]
	v_fmamk_f64 v[56:57], v[66:67], 0x3c91a62633145c00, v[56:57]
	v_add_f64_e32 v[58:59], v[58:59], v[60:61]
	s_delay_alu instid0(VALU_DEP_1) | instskip(NEXT) | instid1(VALU_DEP_1)
	v_add_f64_e64 v[56:57], v[58:59], -v[56:57]
	v_fmac_f64_e32 v[56:57], 0xb97b839a252049c0, v[66:67]
	s_delay_alu instid0(VALU_DEP_1) | instskip(NEXT) | instid1(VALU_DEP_1)
	v_add_f64_e32 v[62:63], v[20:21], v[56:57]
	v_add_f64_e64 v[20:21], v[62:63], -v[20:21]
	s_delay_alu instid0(VALU_DEP_1)
	v_add_f64_e64 v[64:65], v[56:57], -v[20:21]
.LBB137_140:                            ;   in Loop: Header=BB137_4 Depth=1
	s_or_b32 exec_lo, exec_lo, s5
	v_dual_mul_f64 v[20:21], v[10:11], v[10:11] :: v_dual_bitop2_b32 v25, 1, v69 bitop3:0x40
	s_delay_alu instid0(VALU_DEP_2) | instskip(SKIP_4) | instid1(VALU_DEP_2)
	v_mul_f64_e32 v[74:75], 0.5, v[18:19]
	v_cmp_class_f64_e64 s6, v[12:13], 0x1f8
	v_mul_f64_e32 v[56:57], v[62:63], v[62:63]
	v_and_b32_e32 v12, 1, v70
	v_cmp_eq_u32_e64 s5, 0, v25
	v_cmp_eq_u32_e64 s7, 0, v12
	v_lshlrev_b32_e32 v12, 30, v69
	v_mul_f64_e32 v[58:59], 0.5, v[20:21]
	v_mul_f64_e64 v[76:77], v[10:11], -v[20:21]
	v_fmamk_f64 v[80:81], v[20:21], 0x3de5e0b2f9a43bb8, v[34:35]
	v_mul_f64_e64 v[84:85], v[62:63], -v[56:57]
	v_fmamk_f64 v[88:89], v[56:57], 0x3de5e0b2f9a43bb8, v[34:35]
	v_mul_f64_e32 v[60:61], 0.5, v[56:57]
	s_delay_alu instid0(VALU_DEP_4) | instskip(NEXT) | instid1(VALU_DEP_1)
	v_fmaak_f64 v[80:81], v[20:21], v[80:81], 0x3ec71de3796cde01
	v_fmaak_f64 v[80:81], v[20:21], v[80:81], 0xbf2a01a019e83e5c
	s_delay_alu instid0(VALU_DEP_1) | instskip(SKIP_1) | instid1(VALU_DEP_2)
	v_fmaak_f64 v[80:81], v[20:21], v[80:81], 0x3f81111111110bb3
	v_add_f64_e64 v[66:67], -v[58:59], 1.0
	v_fmac_f64_e32 v[74:75], v[76:77], v[80:81]
	v_mul_f64_e32 v[80:81], v[20:21], v[20:21]
	s_delay_alu instid0(VALU_DEP_3) | instskip(NEXT) | instid1(VALU_DEP_3)
	v_add_f64_e64 v[78:79], -v[66:67], 1.0
	v_fma_f64 v[74:75], v[20:21], v[74:75], -v[18:19]
	s_delay_alu instid0(VALU_DEP_2) | instskip(NEXT) | instid1(VALU_DEP_2)
	v_add_f64_e64 v[58:59], v[78:79], -v[58:59]
	v_fmac_f64_e32 v[74:75], 0xbfc5555555555555, v[76:77]
	v_fmaak_f64 v[78:79], v[56:57], v[88:89], 0x3ec71de3796cde01
	s_delay_alu instid0(VALU_DEP_1) | instskip(NEXT) | instid1(VALU_DEP_1)
	v_fmaak_f64 v[78:79], v[56:57], v[78:79], 0xbf2a01a019e83e5c
	v_fmaak_f64 v[78:79], v[56:57], v[78:79], 0x3f81111111110bb3
	v_fma_f64 v[18:19], v[10:11], -v[18:19], v[58:59]
	v_add_f64_e64 v[10:11], v[10:11], -v[74:75]
	s_delay_alu instid0(VALU_DEP_1) | instskip(SKIP_1) | instid1(VALU_DEP_1)
	v_xor_b32_e32 v11, 0x80000000, v11
	v_mul_f64_e32 v[82:83], 0.5, v[64:65]
	v_fmac_f64_e32 v[82:83], v[84:85], v[78:79]
	v_fmamk_f64 v[78:79], v[20:21], 0xbda907db46cc5e42, v[32:33]
	s_delay_alu instid0(VALU_DEP_1) | instskip(SKIP_1) | instid1(VALU_DEP_2)
	v_fmaak_f64 v[58:59], v[20:21], v[78:79], 0xbe927e4fa17f65f6
	v_fmamk_f64 v[78:79], v[56:57], 0xbda907db46cc5e42, v[32:33]
	v_fmaak_f64 v[58:59], v[20:21], v[58:59], 0x3efa01a019f4ec90
	s_delay_alu instid0(VALU_DEP_1) | instskip(NEXT) | instid1(VALU_DEP_1)
	v_fmaak_f64 v[58:59], v[20:21], v[58:59], 0xbf56c16c16c16967
	v_fmaak_f64 v[20:21], v[20:21], v[58:59], 0x3fa5555555555555
	s_delay_alu instid0(VALU_DEP_4) | instskip(SKIP_1) | instid1(VALU_DEP_3)
	v_fmaak_f64 v[58:59], v[56:57], v[78:79], 0xbe927e4fa17f65f6
	v_fma_f64 v[82:83], v[56:57], v[82:83], -v[64:65]
	v_fmac_f64_e32 v[18:19], v[80:81], v[20:21]
	s_delay_alu instid0(VALU_DEP_3) | instskip(NEXT) | instid1(VALU_DEP_1)
	v_fmaak_f64 v[20:21], v[56:57], v[58:59], 0x3efa01a019f4ec90
	v_fmaak_f64 v[20:21], v[56:57], v[20:21], 0xbf56c16c16c16967
	s_delay_alu instid0(VALU_DEP_1) | instskip(SKIP_2) | instid1(VALU_DEP_1)
	v_fmaak_f64 v[20:21], v[56:57], v[20:21], 0x3fa5555555555555
	v_fmac_f64_e32 v[82:83], 0xbfc5555555555555, v[84:85]
	v_add_f64_e32 v[18:19], v[66:67], v[18:19]
	v_cndmask_b32_e64 v10, v10, v18, s5
	v_lshlrev_b32_e32 v18, 30, v70
	v_add_f64_e64 v[72:73], -v[60:61], 1.0
	s_delay_alu instid0(VALU_DEP_2) | instskip(NEXT) | instid1(VALU_DEP_1)
	v_dual_cndmask_b32 v11, v11, v19, s5 :: v_dual_bitop2_b32 v13, v18, v13 bitop3:0x14
	v_bitop3_b32 v11, v11, v12, 0x80000000 bitop3:0x78
	s_delay_alu instid0(VALU_DEP_1) | instskip(NEXT) | instid1(VALU_DEP_4)
	v_cndmask_b32_e64 v19, 0x7ff80000, v11, s6
	v_add_f64_e64 v[86:87], -v[72:73], 1.0
	s_delay_alu instid0(VALU_DEP_1) | instskip(SKIP_1) | instid1(VALU_DEP_2)
	v_add_f64_e64 v[60:61], v[86:87], -v[60:61]
	v_mul_f64_e32 v[86:87], v[56:57], v[56:57]
	v_fma_f64 v[60:61], v[62:63], -v[64:65], v[60:61]
	s_delay_alu instid0(VALU_DEP_1) | instskip(SKIP_1) | instid1(VALU_DEP_2)
	v_fmac_f64_e32 v[60:61], v[86:87], v[20:21]
	v_add_f64_e64 v[20:21], v[62:63], -v[82:83]
	v_add_f64_e32 v[56:57], v[72:73], v[60:61]
	s_delay_alu instid0(VALU_DEP_1) | instskip(NEXT) | instid1(VALU_DEP_1)
	v_dual_cndmask_b32 v18, v57, v21, s7 :: v_dual_cndmask_b32 v20, v56, v20, s7
	v_bitop3_b32 v12, v18, v13, 0x80000000 bitop3:0x78
	s_delay_alu instid0(VALU_DEP_2) | instskip(NEXT) | instid1(VALU_DEP_2)
	v_dual_cndmask_b32 v18, 0, v10, s6 :: v_dual_cndmask_b32 v20, 0, v20, s6
	v_cndmask_b32_e64 v21, 0x7ff80000, v12, s6
.LBB137_141:                            ;   in Loop: Header=BB137_4 Depth=1
	s_or_b32 exec_lo, exec_lo, s8
                                        ; implicit-def: $vgpr10_vgpr11
.LBB137_142:                            ;   in Loop: Header=BB137_4 Depth=1
	s_and_not1_saveexec_b32 s7, s31
	s_cbranch_execz .LBB137_144
; %bb.143:                              ;   in Loop: Header=BB137_4 Depth=1
	v_mul_f64_e32 v[18:19], 0x3ff71547652b82fe, v[10:11]
	v_cmp_nlt_f64_e64 s5, 0x40900000, v[10:11]
	v_cmp_ngt_f64_e64 s6, 0xc090cc00, v[10:11]
	s_delay_alu instid0(VALU_DEP_3) | instskip(NEXT) | instid1(VALU_DEP_1)
	v_rndne_f64_e32 v[18:19], v[18:19]
	v_fmamk_f64 v[20:21], v[18:19], 0xbfe62e42fefa39ef, v[10:11]
	v_cvt_i32_f64_e32 v25, v[18:19]
	s_delay_alu instid0(VALU_DEP_2) | instskip(NEXT) | instid1(VALU_DEP_1)
	v_fmac_f64_e32 v[20:21], 0xbc7abc9e3b39803f, v[18:19]
	v_fmamk_f64 v[56:57], v[20:21], 0x3e5ade156a5dcb37, v[30:31]
	s_delay_alu instid0(VALU_DEP_1) | instskip(NEXT) | instid1(VALU_DEP_1)
	v_fmaak_f64 v[56:57], v[20:21], v[56:57], 0x3ec71dee623fde64
	v_fmaak_f64 v[56:57], v[20:21], v[56:57], 0x3efa01997c89e6b0
	s_delay_alu instid0(VALU_DEP_1) | instskip(NEXT) | instid1(VALU_DEP_1)
	v_fmaak_f64 v[56:57], v[20:21], v[56:57], 0x3f2a01a014761f6e
	v_fmaak_f64 v[56:57], v[20:21], v[56:57], 0x3f56c16c1852b7b0
	;; [unrolled: 3-line block ×4, first 2 shown]
	s_delay_alu instid0(VALU_DEP_1) | instskip(NEXT) | instid1(VALU_DEP_1)
	v_fma_f64 v[56:57], v[20:21], v[56:57], 1.0
	v_fma_f64 v[18:19], v[20:21], v[56:57], 1.0
	v_mov_b64_e32 v[20:21], v[12:13]
	s_delay_alu instid0(VALU_DEP_2) | instskip(NEXT) | instid1(VALU_DEP_1)
	v_ldexp_f64 v[18:19], v[18:19], v25
	v_cndmask_b32_e64 v19, 0x7ff00000, v19, s5
	s_and_b32 s5, s6, s5
	s_delay_alu instid0(VALU_DEP_1) | instid1(SALU_CYCLE_1)
	v_dual_cndmask_b32 v18, 0, v18, s5 :: v_dual_cndmask_b32 v19, 0, v19, s6
.LBB137_144:                            ;   in Loop: Header=BB137_4 Depth=1
	s_or_b32 exec_lo, exec_lo, s7
	v_and_b32_e32 v68, 0x7fffffff, v5
	s_delay_alu instid0(VALU_DEP_1) | instskip(NEXT) | instid1(VALU_DEP_1)
	v_or_b32_e32 v10, v68, v4
	v_cmp_ne_u32_e64 s5, 0, v10
                                        ; implicit-def: $vgpr12_vgpr13
	s_and_saveexec_b32 s6, s5
	s_delay_alu instid0(SALU_CYCLE_1)
	s_xor_b32 s31, exec_lo, s6
	s_cbranch_execz .LBB137_150
; %bb.145:                              ;   in Loop: Header=BB137_4 Depth=1
	v_and_b32_e32 v25, 0x7fffffff, v3
	s_delay_alu instid0(VALU_DEP_1) | instskip(NEXT) | instid1(VALU_DEP_1)
	v_or_b32_e32 v10, v25, v2
	v_cmp_ne_u32_e64 s5, 0, v10
                                        ; implicit-def: $vgpr12_vgpr13
	s_and_saveexec_b32 s6, s5
	s_delay_alu instid0(SALU_CYCLE_1)
	s_xor_b32 s33, exec_lo, s6
	s_cbranch_execz .LBB137_180
; %bb.146:                              ;   in Loop: Header=BB137_4 Depth=1
                                        ; implicit-def: $vgpr12_vgpr13
	s_mov_b32 s6, exec_lo
	v_cmpx_gt_u32_e32 0x7ff00000, v68
	s_xor_b32 s34, exec_lo, s6
	s_cbranch_execz .LBB137_173
; %bb.147:                              ;   in Loop: Header=BB137_4 Depth=1
	v_add_nc_u32_e32 v10, 0xbf79d1be, v3
	s_delay_alu instid0(VALU_DEP_1) | instskip(SKIP_1) | instid1(SALU_CYCLE_1)
	v_cmp_lt_u32_e64 s5, 0x108aa2, v10
                                        ; implicit-def: $vgpr12_vgpr13
	s_and_saveexec_b32 s6, s5
	s_xor_b32 s35, exec_lo, s6
	s_cbranch_execz .LBB137_162
; %bb.148:                              ;   in Loop: Header=BB137_4 Depth=1
	v_cmp_ngt_f64_e64 s6, 0x41d00000, |v[4:5]|
                                        ; implicit-def: $vgpr60
                                        ; implicit-def: $vgpr10_vgpr11
                                        ; implicit-def: $vgpr12_vgpr13
	s_and_saveexec_b32 s5, s6
	s_delay_alu instid0(SALU_CYCLE_1)
	s_xor_b32 s7, exec_lo, s5
	s_cbranch_execz .LBB137_155
; %bb.149:                              ;   in Loop: Header=BB137_4 Depth=1
	v_ldexp_f64 v[10:11], |v[4:5]|, 0xffffff80
	v_cmp_le_f64_e64 s5, 0x7b000000, |v[4:5]|
	v_trig_preop_f64 v[12:13], |v[4:5]|, 0
	v_trig_preop_f64 v[56:57], |v[4:5]|, 1
	;; [unrolled: 1-line block ×3, first 2 shown]
	s_delay_alu instid0(VALU_DEP_4) | instskip(SKIP_1) | instid1(VALU_DEP_1)
	v_cndmask_b32_e64 v11, v68, v11, s5
	v_cndmask_b32_e64 v10, v4, v10, s5
	v_mul_f64_e32 v[58:59], v[12:13], v[10:11]
	v_mul_f64_e32 v[60:61], v[56:57], v[10:11]
	s_delay_alu instid0(VALU_DEP_2) | instskip(NEXT) | instid1(VALU_DEP_1)
	v_fma_f64 v[12:13], v[12:13], v[10:11], -v[58:59]
	v_add_f64_e32 v[62:63], v[60:61], v[12:13]
	s_delay_alu instid0(VALU_DEP_1) | instskip(SKIP_1) | instid1(VALU_DEP_2)
	v_add_f64_e64 v[64:65], v[62:63], -v[60:61]
	v_add_f64_e32 v[72:73], v[58:59], v[62:63]
	v_add_f64_e64 v[70:71], v[62:63], -v[64:65]
	v_fma_f64 v[56:57], v[56:57], v[10:11], -v[60:61]
	v_add_f64_e64 v[12:13], v[12:13], -v[64:65]
	s_delay_alu instid0(VALU_DEP_4) | instskip(SKIP_2) | instid1(VALU_DEP_3)
	v_ldexp_f64 v[64:65], v[72:73], -2
	v_mul_f64_e32 v[74:75], v[66:67], v[10:11]
	v_add_f64_e64 v[60:61], v[60:61], -v[70:71]
	v_cmp_neq_f64_e64 s5, 0x7ff00000, |v[64:65]|
	s_delay_alu instid0(VALU_DEP_3) | instskip(SKIP_1) | instid1(VALU_DEP_4)
	v_add_f64_e32 v[70:71], v[74:75], v[56:57]
	v_fma_f64 v[10:11], v[66:67], v[10:11], -v[74:75]
	v_add_f64_e32 v[12:13], v[12:13], v[60:61]
	v_fract_f64_e32 v[60:61], v[64:65]
	s_delay_alu instid0(VALU_DEP_1) | instskip(NEXT) | instid1(VALU_DEP_1)
	v_ldexp_f64 v[60:61], v[60:61], 2
	v_dual_add_f64 v[58:59], v[72:73], -v[58:59] :: v_dual_cndmask_b32 v61, 0, v61, s5
	s_delay_alu instid0(VALU_DEP_1) | instskip(SKIP_1) | instid1(VALU_DEP_1)
	v_dual_add_f64 v[58:59], v[62:63], -v[58:59] :: v_dual_cndmask_b32 v60, 0, v60, s5
	v_add_f64_e32 v[62:63], v[70:71], v[12:13]
	v_add_f64_e32 v[64:65], v[58:59], v[62:63]
	v_add_f64_e64 v[76:77], v[62:63], -v[70:71]
	s_delay_alu instid0(VALU_DEP_2) | instskip(NEXT) | instid1(VALU_DEP_2)
	v_add_f64_e32 v[72:73], v[64:65], v[60:61]
	v_add_f64_e64 v[82:83], v[62:63], -v[76:77]
	v_add_f64_e64 v[12:13], v[12:13], -v[76:77]
	;; [unrolled: 1-line block ×3, first 2 shown]
	s_delay_alu instid0(VALU_DEP_4) | instskip(SKIP_1) | instid1(VALU_DEP_3)
	v_cmp_gt_f64_e64 s5, 0, v[72:73]
	v_add_f64_e64 v[72:73], v[70:71], -v[74:75]
	v_add_f64_e64 v[58:59], v[62:63], -v[58:59]
	s_delay_alu instid0(VALU_DEP_3) | instskip(NEXT) | instid1(VALU_DEP_3)
	v_cndmask_b32_e64 v25, 0, 0x40100000, s5
	v_add_f64_e64 v[80:81], v[70:71], -v[72:73]
	v_add_f64_e64 v[56:57], v[56:57], -v[72:73]
	;; [unrolled: 1-line block ×3, first 2 shown]
	s_delay_alu instid0(VALU_DEP_4) | instskip(NEXT) | instid1(VALU_DEP_4)
	v_add_f64_e32 v[60:61], v[60:61], v[24:25]
	v_add_f64_e64 v[72:73], v[74:75], -v[80:81]
	s_delay_alu instid0(VALU_DEP_3) | instskip(NEXT) | instid1(VALU_DEP_3)
	v_add_f64_e32 v[12:13], v[12:13], v[70:71]
	v_add_f64_e32 v[78:79], v[64:65], v[60:61]
	s_delay_alu instid0(VALU_DEP_3) | instskip(NEXT) | instid1(VALU_DEP_2)
	v_add_f64_e32 v[56:57], v[56:57], v[72:73]
	v_cvt_i32_f64_e32 v25, v[78:79]
	s_delay_alu instid0(VALU_DEP_2) | instskip(NEXT) | instid1(VALU_DEP_2)
	v_add_f64_e32 v[12:13], v[56:57], v[12:13]
	v_cvt_f64_i32_e32 v[76:77], v25
	s_delay_alu instid0(VALU_DEP_2) | instskip(NEXT) | instid1(VALU_DEP_2)
	v_add_f64_e32 v[10:11], v[10:11], v[12:13]
	v_add_f64_e64 v[60:61], v[60:61], -v[76:77]
	s_delay_alu instid0(VALU_DEP_2) | instskip(NEXT) | instid1(VALU_DEP_2)
	v_add_f64_e32 v[10:11], v[58:59], v[10:11]
	v_add_f64_e32 v[56:57], v[64:65], v[60:61]
	s_delay_alu instid0(VALU_DEP_1) | instskip(SKIP_1) | instid1(VALU_DEP_2)
	v_add_f64_e64 v[12:13], v[56:57], -v[60:61]
	v_cmp_le_f64_e64 s5, 0.5, v[56:57]
	v_add_f64_e64 v[12:13], v[64:65], -v[12:13]
	s_delay_alu instid0(VALU_DEP_2) | instskip(SKIP_1) | instid1(VALU_DEP_3)
	v_add_co_ci_u32_e64 v60, null, 0, v25, s5
	v_cndmask_b32_e64 v25, 0, 0x3ff00000, s5
	v_add_f64_e32 v[10:11], v[10:11], v[12:13]
	s_delay_alu instid0(VALU_DEP_2) | instskip(NEXT) | instid1(VALU_DEP_1)
	v_add_f64_e64 v[12:13], v[56:57], -v[24:25]
	v_add_f64_e32 v[56:57], v[12:13], v[10:11]
	s_delay_alu instid0(VALU_DEP_1) | instskip(SKIP_1) | instid1(VALU_DEP_2)
	v_mul_f64_e32 v[58:59], 0x3ff921fb54442d18, v[56:57]
	v_add_f64_e64 v[12:13], v[56:57], -v[12:13]
	v_fma_f64 v[62:63], v[56:57], s[18:19], -v[58:59]
	s_delay_alu instid0(VALU_DEP_2) | instskip(NEXT) | instid1(VALU_DEP_2)
	v_add_f64_e64 v[10:11], v[10:11], -v[12:13]
	v_fmac_f64_e32 v[62:63], 0x3c91a62633145c07, v[56:57]
	s_delay_alu instid0(VALU_DEP_1) | instskip(NEXT) | instid1(VALU_DEP_1)
	v_fmac_f64_e32 v[62:63], 0x3ff921fb54442d18, v[10:11]
	v_add_f64_e32 v[10:11], v[58:59], v[62:63]
	s_delay_alu instid0(VALU_DEP_1) | instskip(NEXT) | instid1(VALU_DEP_1)
	v_add_f64_e64 v[12:13], v[10:11], -v[58:59]
	v_add_f64_e64 v[12:13], v[62:63], -v[12:13]
	s_and_not1_saveexec_b32 s5, s7
	s_cbranch_execz .LBB137_157
	s_branch .LBB137_156
.LBB137_150:                            ;   in Loop: Header=BB137_4 Depth=1
	s_and_not1_saveexec_b32 s7, s31
	s_cbranch_execz .LBB137_191
.LBB137_151:                            ;   in Loop: Header=BB137_4 Depth=1
	v_mul_f64_e32 v[10:11], 0x3ff71547652b82fe, v[2:3]
	v_cmp_nlt_f64_e64 s5, 0x40900000, v[2:3]
	v_cmp_ngt_f64_e64 s6, 0xc090cc00, v[2:3]
	s_delay_alu instid0(VALU_DEP_3) | instskip(NEXT) | instid1(VALU_DEP_1)
	v_rndne_f64_e32 v[10:11], v[10:11]
	v_fmamk_f64 v[12:13], v[10:11], 0xbfe62e42fefa39ef, v[2:3]
	v_cvt_i32_f64_e32 v25, v[10:11]
	s_delay_alu instid0(VALU_DEP_2) | instskip(NEXT) | instid1(VALU_DEP_1)
	v_fmac_f64_e32 v[12:13], 0xbc7abc9e3b39803f, v[10:11]
	v_fmamk_f64 v[56:57], v[12:13], 0x3e5ade156a5dcb37, v[30:31]
	s_delay_alu instid0(VALU_DEP_1) | instskip(NEXT) | instid1(VALU_DEP_1)
	v_fmaak_f64 v[56:57], v[12:13], v[56:57], 0x3ec71dee623fde64
	v_fmaak_f64 v[56:57], v[12:13], v[56:57], 0x3efa01997c89e6b0
	s_delay_alu instid0(VALU_DEP_1) | instskip(NEXT) | instid1(VALU_DEP_1)
	v_fmaak_f64 v[56:57], v[12:13], v[56:57], 0x3f2a01a014761f6e
	v_fmaak_f64 v[56:57], v[12:13], v[56:57], 0x3f56c16c1852b7b0
	;; [unrolled: 3-line block ×4, first 2 shown]
	s_delay_alu instid0(VALU_DEP_1) | instskip(NEXT) | instid1(VALU_DEP_1)
	v_fma_f64 v[56:57], v[12:13], v[56:57], 1.0
	v_fma_f64 v[10:11], v[12:13], v[56:57], 1.0
	v_mov_b64_e32 v[12:13], v[4:5]
	s_delay_alu instid0(VALU_DEP_2) | instskip(NEXT) | instid1(VALU_DEP_1)
	v_ldexp_f64 v[10:11], v[10:11], v25
	v_cndmask_b32_e64 v11, 0x7ff00000, v11, s5
	s_and_b32 s5, s6, s5
	s_delay_alu instid0(VALU_DEP_1) | instid1(SALU_CYCLE_1)
	v_dual_cndmask_b32 v10, 0, v10, s5 :: v_dual_cndmask_b32 v11, 0, v11, s6
	s_or_b32 exec_lo, exec_lo, s7
	s_and_saveexec_b32 s5, vcc_lo
	s_delay_alu instid0(SALU_CYCLE_1)
	s_xor_b32 s5, exec_lo, s5
	s_cbranch_execnz .LBB137_192
.LBB137_152:                            ;   in Loop: Header=BB137_4 Depth=1
	s_or_b32 exec_lo, exec_lo, s5
	s_and_saveexec_b32 s5, s2
	s_cbranch_execz .LBB137_193
.LBB137_153:                            ;   in Loop: Header=BB137_4 Depth=1
	global_store_b128 v[50:51], v[14:17], off
	s_wait_xcnt 0x0
	s_or_b32 exec_lo, exec_lo, s5
	s_and_saveexec_b32 s2, s3
	s_cbranch_execnz .LBB137_194
.LBB137_154:                            ;   in Loop: Header=BB137_4 Depth=1
	s_or_b32 exec_lo, exec_lo, s2
	s_and_saveexec_b32 s2, s4
	s_cbranch_execz .LBB137_3
	s_branch .LBB137_195
.LBB137_155:                            ;   in Loop: Header=BB137_4 Depth=1
	s_and_not1_saveexec_b32 s5, s7
	s_cbranch_execz .LBB137_157
.LBB137_156:                            ;   in Loop: Header=BB137_4 Depth=1
	v_mul_f64_e64 v[10:11], |v[4:5]|, s[20:21]
	s_delay_alu instid0(VALU_DEP_1) | instskip(NEXT) | instid1(VALU_DEP_1)
	v_rndne_f64_e32 v[56:57], v[10:11]
	v_fma_f64 v[10:11], v[56:57], s[22:23], |v[4:5]|
	v_mul_f64_e32 v[12:13], 0xbc91a62633145c00, v[56:57]
	s_delay_alu instid0(VALU_DEP_2) | instskip(NEXT) | instid1(VALU_DEP_2)
	v_fmamk_f64 v[62:63], v[56:57], 0xbc91a62633145c00, v[10:11]
	v_add_f64_e32 v[58:59], v[10:11], v[12:13]
	s_delay_alu instid0(VALU_DEP_1) | instskip(NEXT) | instid1(VALU_DEP_3)
	v_add_f64_e64 v[60:61], v[10:11], -v[58:59]
	v_add_f64_e64 v[10:11], v[58:59], -v[62:63]
	s_delay_alu instid0(VALU_DEP_2) | instskip(SKIP_2) | instid1(VALU_DEP_3)
	v_add_f64_e32 v[58:59], v[60:61], v[12:13]
	v_fmamk_f64 v[12:13], v[56:57], 0x3c91a62633145c00, v[12:13]
	v_cvt_i32_f64_e32 v60, v[56:57]
	v_add_f64_e32 v[10:11], v[10:11], v[58:59]
	s_delay_alu instid0(VALU_DEP_1) | instskip(NEXT) | instid1(VALU_DEP_1)
	v_add_f64_e64 v[12:13], v[10:11], -v[12:13]
	v_fmac_f64_e32 v[12:13], 0xb97b839a252049c0, v[56:57]
	s_delay_alu instid0(VALU_DEP_1) | instskip(NEXT) | instid1(VALU_DEP_1)
	v_add_f64_e32 v[10:11], v[62:63], v[12:13]
	v_add_f64_e64 v[58:59], v[10:11], -v[62:63]
	s_delay_alu instid0(VALU_DEP_1)
	v_add_f64_e64 v[12:13], v[12:13], -v[58:59]
.LBB137_157:                            ;   in Loop: Header=BB137_4 Depth=1
	s_or_b32 exec_lo, exec_lo, s5
                                        ; implicit-def: $vgpr61
                                        ; implicit-def: $vgpr56_vgpr57
                                        ; implicit-def: $vgpr58_vgpr59
	s_and_saveexec_b32 s5, s6
	s_delay_alu instid0(SALU_CYCLE_1)
	s_xor_b32 s6, exec_lo, s5
	s_cbranch_execz .LBB137_159
; %bb.158:                              ;   in Loop: Header=BB137_4 Depth=1
	v_ldexp_f64 v[56:57], |v[4:5]|, 0xffffff80
	v_cmp_le_f64_e64 s5, 0x7b000000, |v[4:5]|
	v_trig_preop_f64 v[58:59], |v[4:5]|, 0
	v_trig_preop_f64 v[62:63], |v[4:5]|, 1
	;; [unrolled: 1-line block ×3, first 2 shown]
	s_delay_alu instid0(VALU_DEP_4) | instskip(SKIP_1) | instid1(VALU_DEP_1)
	v_cndmask_b32_e64 v57, v68, v57, s5
	v_cndmask_b32_e64 v56, v4, v56, s5
	v_mul_f64_e32 v[64:65], v[58:59], v[56:57]
	v_mul_f64_e32 v[66:67], v[62:63], v[56:57]
	s_delay_alu instid0(VALU_DEP_2) | instskip(NEXT) | instid1(VALU_DEP_1)
	v_fma_f64 v[58:59], v[58:59], v[56:57], -v[64:65]
	v_add_f64_e32 v[68:69], v[66:67], v[58:59]
	s_delay_alu instid0(VALU_DEP_1) | instskip(SKIP_1) | instid1(VALU_DEP_2)
	v_add_f64_e64 v[70:71], v[68:69], -v[66:67]
	v_add_f64_e32 v[76:77], v[64:65], v[68:69]
	v_add_f64_e64 v[74:75], v[68:69], -v[70:71]
	v_add_f64_e64 v[58:59], v[58:59], -v[70:71]
	v_fma_f64 v[62:63], v[62:63], v[56:57], -v[66:67]
	s_delay_alu instid0(VALU_DEP_4) | instskip(SKIP_2) | instid1(VALU_DEP_3)
	v_ldexp_f64 v[70:71], v[76:77], -2
	v_mul_f64_e32 v[78:79], v[72:73], v[56:57]
	v_add_f64_e64 v[66:67], v[66:67], -v[74:75]
	v_cmp_neq_f64_e64 s5, 0x7ff00000, |v[70:71]|
	s_delay_alu instid0(VALU_DEP_3) | instskip(SKIP_1) | instid1(VALU_DEP_4)
	v_add_f64_e32 v[74:75], v[78:79], v[62:63]
	v_fma_f64 v[56:57], v[72:73], v[56:57], -v[78:79]
	v_add_f64_e32 v[58:59], v[58:59], v[66:67]
	v_fract_f64_e32 v[66:67], v[70:71]
	s_delay_alu instid0(VALU_DEP_1) | instskip(NEXT) | instid1(VALU_DEP_1)
	v_ldexp_f64 v[66:67], v[66:67], 2
	v_dual_add_f64 v[64:65], v[76:77], -v[64:65] :: v_dual_cndmask_b32 v67, 0, v67, s5
	s_delay_alu instid0(VALU_DEP_1) | instskip(SKIP_1) | instid1(VALU_DEP_1)
	v_dual_add_f64 v[64:65], v[68:69], -v[64:65] :: v_dual_cndmask_b32 v66, 0, v66, s5
	v_add_f64_e32 v[68:69], v[74:75], v[58:59]
	v_add_f64_e32 v[70:71], v[64:65], v[68:69]
	v_add_f64_e64 v[80:81], v[68:69], -v[74:75]
	s_delay_alu instid0(VALU_DEP_2) | instskip(NEXT) | instid1(VALU_DEP_2)
	v_add_f64_e32 v[76:77], v[70:71], v[66:67]
	v_add_f64_e64 v[86:87], v[68:69], -v[80:81]
	v_add_f64_e64 v[58:59], v[58:59], -v[80:81]
	;; [unrolled: 1-line block ×3, first 2 shown]
	s_delay_alu instid0(VALU_DEP_4) | instskip(SKIP_1) | instid1(VALU_DEP_3)
	v_cmp_gt_f64_e64 s5, 0, v[76:77]
	v_add_f64_e64 v[76:77], v[74:75], -v[78:79]
	v_add_f64_e64 v[64:65], v[68:69], -v[64:65]
	s_delay_alu instid0(VALU_DEP_3) | instskip(NEXT) | instid1(VALU_DEP_3)
	v_cndmask_b32_e64 v25, 0, 0x40100000, s5
	v_add_f64_e64 v[84:85], v[74:75], -v[76:77]
	v_add_f64_e64 v[62:63], v[62:63], -v[76:77]
	;; [unrolled: 1-line block ×3, first 2 shown]
	s_delay_alu instid0(VALU_DEP_4) | instskip(NEXT) | instid1(VALU_DEP_4)
	v_add_f64_e32 v[66:67], v[66:67], v[24:25]
	v_add_f64_e64 v[76:77], v[78:79], -v[84:85]
	s_delay_alu instid0(VALU_DEP_3) | instskip(NEXT) | instid1(VALU_DEP_3)
	v_add_f64_e32 v[58:59], v[58:59], v[74:75]
	v_add_f64_e32 v[82:83], v[70:71], v[66:67]
	s_delay_alu instid0(VALU_DEP_3) | instskip(NEXT) | instid1(VALU_DEP_2)
	v_add_f64_e32 v[62:63], v[62:63], v[76:77]
	v_cvt_i32_f64_e32 v25, v[82:83]
	s_delay_alu instid0(VALU_DEP_2) | instskip(NEXT) | instid1(VALU_DEP_2)
	v_add_f64_e32 v[58:59], v[62:63], v[58:59]
	v_cvt_f64_i32_e32 v[80:81], v25
	s_delay_alu instid0(VALU_DEP_2) | instskip(NEXT) | instid1(VALU_DEP_2)
	v_add_f64_e32 v[56:57], v[56:57], v[58:59]
	v_add_f64_e64 v[66:67], v[66:67], -v[80:81]
	s_delay_alu instid0(VALU_DEP_2) | instskip(NEXT) | instid1(VALU_DEP_2)
	v_add_f64_e32 v[56:57], v[64:65], v[56:57]
	v_add_f64_e32 v[62:63], v[70:71], v[66:67]
	s_delay_alu instid0(VALU_DEP_1) | instskip(SKIP_1) | instid1(VALU_DEP_2)
	v_add_f64_e64 v[58:59], v[62:63], -v[66:67]
	v_cmp_le_f64_e64 s5, 0.5, v[62:63]
	v_add_f64_e64 v[58:59], v[70:71], -v[58:59]
	s_delay_alu instid0(VALU_DEP_2) | instskip(SKIP_1) | instid1(VALU_DEP_3)
	v_add_co_ci_u32_e64 v61, null, 0, v25, s5
	v_cndmask_b32_e64 v25, 0, 0x3ff00000, s5
	v_add_f64_e32 v[56:57], v[56:57], v[58:59]
	s_delay_alu instid0(VALU_DEP_2) | instskip(NEXT) | instid1(VALU_DEP_1)
	v_add_f64_e64 v[58:59], v[62:63], -v[24:25]
	v_add_f64_e32 v[62:63], v[58:59], v[56:57]
	s_delay_alu instid0(VALU_DEP_1) | instskip(SKIP_1) | instid1(VALU_DEP_2)
	v_mul_f64_e32 v[64:65], 0x3ff921fb54442d18, v[62:63]
	v_add_f64_e64 v[58:59], v[62:63], -v[58:59]
	v_fma_f64 v[66:67], v[62:63], s[18:19], -v[64:65]
	s_delay_alu instid0(VALU_DEP_2) | instskip(NEXT) | instid1(VALU_DEP_2)
	v_add_f64_e64 v[56:57], v[56:57], -v[58:59]
	v_fmac_f64_e32 v[66:67], 0x3c91a62633145c07, v[62:63]
	s_delay_alu instid0(VALU_DEP_1) | instskip(NEXT) | instid1(VALU_DEP_1)
	v_fmac_f64_e32 v[66:67], 0x3ff921fb54442d18, v[56:57]
	v_add_f64_e32 v[56:57], v[64:65], v[66:67]
	s_delay_alu instid0(VALU_DEP_1) | instskip(NEXT) | instid1(VALU_DEP_1)
	v_add_f64_e64 v[58:59], v[56:57], -v[64:65]
	v_add_f64_e64 v[58:59], v[66:67], -v[58:59]
	s_and_not1_saveexec_b32 s5, s6
	s_cbranch_execnz .LBB137_160
	s_branch .LBB137_161
.LBB137_159:                            ;   in Loop: Header=BB137_4 Depth=1
	s_and_not1_saveexec_b32 s5, s6
	s_cbranch_execz .LBB137_161
.LBB137_160:                            ;   in Loop: Header=BB137_4 Depth=1
	v_mul_f64_e64 v[56:57], |v[4:5]|, s[20:21]
	s_delay_alu instid0(VALU_DEP_1) | instskip(NEXT) | instid1(VALU_DEP_1)
	v_rndne_f64_e32 v[62:63], v[56:57]
	v_fma_f64 v[56:57], v[62:63], s[22:23], |v[4:5]|
	v_mul_f64_e32 v[58:59], 0xbc91a62633145c00, v[62:63]
	v_cvt_i32_f64_e32 v61, v[62:63]
	s_delay_alu instid0(VALU_DEP_3) | instskip(NEXT) | instid1(VALU_DEP_3)
	v_fmamk_f64 v[68:69], v[62:63], 0xbc91a62633145c00, v[56:57]
	v_add_f64_e32 v[64:65], v[56:57], v[58:59]
	s_delay_alu instid0(VALU_DEP_1) | instskip(NEXT) | instid1(VALU_DEP_3)
	v_add_f64_e64 v[66:67], v[56:57], -v[64:65]
	v_add_f64_e64 v[56:57], v[64:65], -v[68:69]
	s_delay_alu instid0(VALU_DEP_2) | instskip(SKIP_1) | instid1(VALU_DEP_2)
	v_add_f64_e32 v[64:65], v[66:67], v[58:59]
	v_fmamk_f64 v[58:59], v[62:63], 0x3c91a62633145c00, v[58:59]
	v_add_f64_e32 v[56:57], v[56:57], v[64:65]
	s_delay_alu instid0(VALU_DEP_1) | instskip(NEXT) | instid1(VALU_DEP_1)
	v_add_f64_e64 v[58:59], v[56:57], -v[58:59]
	v_fmac_f64_e32 v[58:59], 0xb97b839a252049c0, v[62:63]
	s_delay_alu instid0(VALU_DEP_1) | instskip(NEXT) | instid1(VALU_DEP_1)
	v_add_f64_e32 v[56:57], v[68:69], v[58:59]
	v_add_f64_e64 v[64:65], v[56:57], -v[68:69]
	s_delay_alu instid0(VALU_DEP_1)
	v_add_f64_e64 v[58:59], v[58:59], -v[64:65]
.LBB137_161:                            ;   in Loop: Header=BB137_4 Depth=1
	s_or_b32 exec_lo, exec_lo, s5
	v_mul_f64_e32 v[62:63], 0x3ff71547652b82fe, v[2:3]
	v_mul_f64_e32 v[64:65], v[10:11], v[10:11]
	v_cmp_class_f64_e64 s6, v[4:5], 0x1f8
	v_mul_f64_e32 v[66:67], v[56:57], v[56:57]
	v_cmp_nlt_f64_e64 s7, 0x40900000, v[2:3]
	v_cmp_ngt_f64_e64 s8, 0xc090cc00, v[2:3]
	v_rndne_f64_e32 v[62:63], v[62:63]
	v_mul_f64_e32 v[68:69], 0.5, v[64:65]
	v_mul_f64_e64 v[90:91], v[56:57], -v[66:67]
	v_fmamk_f64 v[94:95], v[66:67], 0x3de5e0b2f9a43bb8, v[34:35]
	s_delay_alu instid0(VALU_DEP_4) | instskip(NEXT) | instid1(VALU_DEP_4)
	v_fmamk_f64 v[72:73], v[62:63], 0xbfe62e42fefa39ef, v[2:3]
	v_add_f64_e64 v[74:75], -v[68:69], 1.0
	v_cvt_i32_f64_e32 v25, v[62:63]
	v_and_b32_e32 v2, 1, v61
	s_delay_alu instid0(VALU_DEP_4) | instskip(NEXT) | instid1(VALU_DEP_2)
	v_fmac_f64_e32 v[72:73], 0xbc7abc9e3b39803f, v[62:63]
	v_cmp_eq_u32_e64 s9, 0, v2
	v_lshlrev_b32_e32 v2, 30, v60
	v_add_f64_e64 v[82:83], -v[74:75], 1.0
	s_delay_alu instid0(VALU_DEP_4) | instskip(NEXT) | instid1(VALU_DEP_1)
	v_fmamk_f64 v[86:87], v[72:73], 0x3e5ade156a5dcb37, v[30:31]
	v_fmaak_f64 v[86:87], v[72:73], v[86:87], 0x3ec71dee623fde64
	s_delay_alu instid0(VALU_DEP_1) | instskip(NEXT) | instid1(VALU_DEP_1)
	v_fmaak_f64 v[86:87], v[72:73], v[86:87], 0x3efa01997c89e6b0
	v_fmaak_f64 v[86:87], v[72:73], v[86:87], 0x3f2a01a014761f6e
	v_add_f64_e64 v[68:69], v[82:83], -v[68:69]
	s_delay_alu instid0(VALU_DEP_2) | instskip(NEXT) | instid1(VALU_DEP_1)
	v_fmaak_f64 v[82:83], v[72:73], v[86:87], 0x3f56c16c1852b7b0
	v_fmaak_f64 v[82:83], v[72:73], v[82:83], 0x3f81111111122322
	s_delay_alu instid0(VALU_DEP_1) | instskip(NEXT) | instid1(VALU_DEP_1)
	v_fmaak_f64 v[82:83], v[72:73], v[82:83], 0x3fa55555555502a1
	v_fmaak_f64 v[82:83], v[72:73], v[82:83], 0x3fc5555555555511
	s_delay_alu instid0(VALU_DEP_1) | instskip(NEXT) | instid1(VALU_DEP_1)
	v_fmaak_f64 v[82:83], v[72:73], v[82:83], 0x3fe000000000000b
	v_fma_f64 v[82:83], v[72:73], v[82:83], 1.0
	s_delay_alu instid0(VALU_DEP_1) | instskip(NEXT) | instid1(VALU_DEP_1)
	v_fma_f64 v[62:63], v[72:73], v[82:83], 1.0
	v_ldexp_f64 v[62:63], v[62:63], v25
	v_mul_f64_e32 v[78:79], 0.5, v[12:13]
	v_and_b32_e32 v25, 1, v60
	v_mul_f64_e64 v[80:81], v[10:11], -v[64:65]
	v_fmamk_f64 v[84:85], v[64:65], 0x3de5e0b2f9a43bb8, v[34:35]
	v_mul_f64_e32 v[86:87], v[64:65], v[64:65]
	s_delay_alu instid0(VALU_DEP_4) | instskip(NEXT) | instid1(VALU_DEP_3)
	v_cmp_eq_u32_e64 s5, 0, v25
	v_fmaak_f64 v[84:85], v[64:65], v[84:85], 0x3ec71de3796cde01
	s_delay_alu instid0(VALU_DEP_1) | instskip(NEXT) | instid1(VALU_DEP_1)
	v_fmaak_f64 v[84:85], v[64:65], v[84:85], 0xbf2a01a019e83e5c
	v_fmaak_f64 v[84:85], v[64:65], v[84:85], 0x3f81111111110bb3
	v_cndmask_b32_e64 v4, 0x7ff00000, v63, s7
	s_delay_alu instid0(VALU_DEP_2) | instskip(SKIP_1) | instid1(VALU_DEP_1)
	v_fmac_f64_e32 v[78:79], v[80:81], v[84:85]
	v_fmaak_f64 v[84:85], v[66:67], v[94:95], 0x3ec71de3796cde01
	v_fmaak_f64 v[84:85], v[66:67], v[84:85], 0xbf2a01a019e83e5c
	s_delay_alu instid0(VALU_DEP_1) | instskip(NEXT) | instid1(VALU_DEP_4)
	v_fmaak_f64 v[84:85], v[66:67], v[84:85], 0x3f81111111110bb3
	v_fma_f64 v[78:79], v[64:65], v[78:79], -v[12:13]
	v_fma_f64 v[12:13], v[10:11], -v[12:13], v[68:69]
	s_delay_alu instid0(VALU_DEP_2) | instskip(NEXT) | instid1(VALU_DEP_1)
	v_fmac_f64_e32 v[78:79], 0xbfc5555555555555, v[80:81]
	v_add_f64_e64 v[10:11], v[10:11], -v[78:79]
	v_mul_f64_e32 v[88:89], 0.5, v[58:59]
	s_delay_alu instid0(VALU_DEP_2) | instskip(NEXT) | instid1(VALU_DEP_2)
	v_xor_b32_e32 v3, 0x80000000, v11
	v_fmac_f64_e32 v[88:89], v[90:91], v[84:85]
	v_fmamk_f64 v[84:85], v[64:65], 0xbda907db46cc5e42, v[32:33]
	v_lshlrev_b32_e32 v11, 30, v61
	s_delay_alu instid0(VALU_DEP_1) | instskip(NEXT) | instid1(VALU_DEP_3)
	v_xor_b32_e32 v5, v11, v5
	v_fmaak_f64 v[68:69], v[64:65], v[84:85], 0xbe927e4fa17f65f6
	s_delay_alu instid0(VALU_DEP_1) | instskip(NEXT) | instid1(VALU_DEP_1)
	v_fmaak_f64 v[68:69], v[64:65], v[68:69], 0x3efa01a019f4ec90
	v_fmaak_f64 v[68:69], v[64:65], v[68:69], 0xbf56c16c16c16967
	s_delay_alu instid0(VALU_DEP_1) | instskip(NEXT) | instid1(VALU_DEP_1)
	v_fmaak_f64 v[64:65], v[64:65], v[68:69], 0x3fa5555555555555
	v_fmac_f64_e32 v[12:13], v[86:87], v[64:65]
	s_delay_alu instid0(VALU_DEP_1) | instskip(NEXT) | instid1(VALU_DEP_1)
	v_add_f64_e32 v[12:13], v[74:75], v[12:13]
	v_dual_cndmask_b32 v10, v10, v12, s5 :: v_dual_cndmask_b32 v3, v3, v13, s5
	s_and_b32 s5, s8, s7
	s_delay_alu instid0(VALU_DEP_1) | instskip(NEXT) | instid1(VALU_DEP_2)
	v_bitop3_b32 v3, v3, v2, 0x80000000 bitop3:0x78
	v_cndmask_b32_e64 v2, 0, v10, s6
	v_mul_f64_e32 v[70:71], 0.5, v[66:67]
	v_mul_f64_e32 v[84:85], v[66:67], v[66:67]
	v_fma_f64 v[68:69], v[66:67], v[88:89], -v[58:59]
	v_cndmask_b32_e64 v3, 0x7ff80000, v3, s6
	s_delay_alu instid0(VALU_DEP_4) | instskip(NEXT) | instid1(VALU_DEP_3)
	v_add_f64_e64 v[76:77], -v[70:71], 1.0
	v_fmac_f64_e32 v[68:69], 0xbfc5555555555555, v[90:91]
	s_delay_alu instid0(VALU_DEP_2) | instskip(NEXT) | instid1(VALU_DEP_1)
	v_add_f64_e64 v[92:93], -v[76:77], 1.0
	v_add_f64_e64 v[70:71], v[92:93], -v[70:71]
	v_fmamk_f64 v[92:93], v[66:67], 0xbda907db46cc5e42, v[32:33]
	s_delay_alu instid0(VALU_DEP_2) | instskip(NEXT) | instid1(VALU_DEP_2)
	v_fma_f64 v[58:59], v[56:57], -v[58:59], v[70:71]
	v_fmaak_f64 v[70:71], v[66:67], v[92:93], 0xbe927e4fa17f65f6
	v_add_f64_e64 v[56:57], v[56:57], -v[68:69]
                                        ; implicit-def: $vgpr68
	s_delay_alu instid0(VALU_DEP_2) | instskip(NEXT) | instid1(VALU_DEP_1)
	v_fmaak_f64 v[64:65], v[66:67], v[70:71], 0x3efa01a019f4ec90
	v_fmaak_f64 v[64:65], v[66:67], v[64:65], 0xbf56c16c16c16967
	s_delay_alu instid0(VALU_DEP_1) | instskip(NEXT) | instid1(VALU_DEP_1)
	v_fmaak_f64 v[64:65], v[66:67], v[64:65], 0x3fa5555555555555
	v_fmac_f64_e32 v[58:59], v[84:85], v[64:65]
	s_delay_alu instid0(VALU_DEP_1) | instskip(NEXT) | instid1(VALU_DEP_1)
	v_add_f64_e32 v[58:59], v[76:77], v[58:59]
	v_dual_cndmask_b32 v12, v59, v57, s9 :: v_dual_cndmask_b32 v11, v58, v56, s9
	s_delay_alu instid0(VALU_DEP_1) | instskip(NEXT) | instid1(VALU_DEP_2)
	v_bitop3_b32 v10, v12, v5, 0x80000000 bitop3:0x78
	v_dual_cndmask_b32 v5, 0, v4, s8 :: v_dual_cndmask_b32 v12, 0, v11, s6
	v_cndmask_b32_e64 v4, 0, v62, s5
	s_delay_alu instid0(VALU_DEP_3) | instskip(NEXT) | instid1(VALU_DEP_2)
	v_cndmask_b32_e64 v13, 0x7ff80000, v10, s6
	v_mul_f64_e32 v[10:11], v[4:5], v[2:3]
	s_delay_alu instid0(VALU_DEP_2)
	v_mul_f64_e32 v[12:13], v[4:5], v[12:13]
                                        ; implicit-def: $vgpr4_vgpr5
.LBB137_162:                            ;   in Loop: Header=BB137_4 Depth=1
	s_and_not1_saveexec_b32 s35, s35
	s_cbranch_execz .LBB137_172
; %bb.163:                              ;   in Loop: Header=BB137_4 Depth=1
	v_cmp_ngt_f64_e64 s6, 0x41d00000, |v[4:5]|
                                        ; implicit-def: $vgpr60
                                        ; implicit-def: $vgpr10_vgpr11
                                        ; implicit-def: $vgpr12_vgpr13
	s_and_saveexec_b32 s5, s6
	s_delay_alu instid0(SALU_CYCLE_1)
	s_xor_b32 s7, exec_lo, s5
	s_cbranch_execz .LBB137_165
; %bb.164:                              ;   in Loop: Header=BB137_4 Depth=1
	v_ldexp_f64 v[10:11], |v[4:5]|, 0xffffff80
	v_cmp_le_f64_e64 s5, 0x7b000000, |v[4:5]|
	v_trig_preop_f64 v[12:13], |v[4:5]|, 0
	v_trig_preop_f64 v[56:57], |v[4:5]|, 1
	;; [unrolled: 1-line block ×3, first 2 shown]
	s_delay_alu instid0(VALU_DEP_4) | instskip(SKIP_1) | instid1(VALU_DEP_1)
	v_cndmask_b32_e64 v11, v68, v11, s5
	v_cndmask_b32_e64 v10, v4, v10, s5
	v_mul_f64_e32 v[58:59], v[12:13], v[10:11]
	v_mul_f64_e32 v[60:61], v[56:57], v[10:11]
	s_delay_alu instid0(VALU_DEP_2) | instskip(NEXT) | instid1(VALU_DEP_1)
	v_fma_f64 v[12:13], v[12:13], v[10:11], -v[58:59]
	v_add_f64_e32 v[62:63], v[60:61], v[12:13]
	s_delay_alu instid0(VALU_DEP_1) | instskip(SKIP_1) | instid1(VALU_DEP_2)
	v_add_f64_e64 v[64:65], v[62:63], -v[60:61]
	v_add_f64_e32 v[72:73], v[58:59], v[62:63]
	v_add_f64_e64 v[70:71], v[62:63], -v[64:65]
	v_fma_f64 v[56:57], v[56:57], v[10:11], -v[60:61]
	v_add_f64_e64 v[12:13], v[12:13], -v[64:65]
	s_delay_alu instid0(VALU_DEP_4) | instskip(SKIP_2) | instid1(VALU_DEP_3)
	v_ldexp_f64 v[64:65], v[72:73], -2
	v_mul_f64_e32 v[74:75], v[66:67], v[10:11]
	v_add_f64_e64 v[60:61], v[60:61], -v[70:71]
	v_cmp_neq_f64_e64 s5, 0x7ff00000, |v[64:65]|
	s_delay_alu instid0(VALU_DEP_3) | instskip(SKIP_1) | instid1(VALU_DEP_4)
	v_add_f64_e32 v[70:71], v[74:75], v[56:57]
	v_fma_f64 v[10:11], v[66:67], v[10:11], -v[74:75]
	v_add_f64_e32 v[12:13], v[12:13], v[60:61]
	v_fract_f64_e32 v[60:61], v[64:65]
	s_delay_alu instid0(VALU_DEP_1) | instskip(NEXT) | instid1(VALU_DEP_1)
	v_ldexp_f64 v[60:61], v[60:61], 2
	v_dual_add_f64 v[58:59], v[72:73], -v[58:59] :: v_dual_cndmask_b32 v61, 0, v61, s5
	s_delay_alu instid0(VALU_DEP_1) | instskip(SKIP_1) | instid1(VALU_DEP_1)
	v_dual_add_f64 v[58:59], v[62:63], -v[58:59] :: v_dual_cndmask_b32 v60, 0, v60, s5
	v_add_f64_e32 v[62:63], v[70:71], v[12:13]
	v_add_f64_e32 v[64:65], v[58:59], v[62:63]
	v_add_f64_e64 v[76:77], v[62:63], -v[70:71]
	s_delay_alu instid0(VALU_DEP_2) | instskip(NEXT) | instid1(VALU_DEP_2)
	v_add_f64_e32 v[72:73], v[64:65], v[60:61]
	v_add_f64_e64 v[82:83], v[62:63], -v[76:77]
	v_add_f64_e64 v[12:13], v[12:13], -v[76:77]
	v_add_f64_e64 v[58:59], v[64:65], -v[58:59]
	s_delay_alu instid0(VALU_DEP_4) | instskip(SKIP_1) | instid1(VALU_DEP_3)
	v_cmp_gt_f64_e64 s5, 0, v[72:73]
	v_add_f64_e64 v[72:73], v[70:71], -v[74:75]
	v_add_f64_e64 v[58:59], v[62:63], -v[58:59]
	s_delay_alu instid0(VALU_DEP_3) | instskip(NEXT) | instid1(VALU_DEP_3)
	v_cndmask_b32_e64 v25, 0, 0x40100000, s5
	v_add_f64_e64 v[80:81], v[70:71], -v[72:73]
	v_add_f64_e64 v[56:57], v[56:57], -v[72:73]
	;; [unrolled: 1-line block ×3, first 2 shown]
	s_delay_alu instid0(VALU_DEP_4) | instskip(NEXT) | instid1(VALU_DEP_4)
	v_add_f64_e32 v[60:61], v[60:61], v[24:25]
	v_add_f64_e64 v[72:73], v[74:75], -v[80:81]
	s_delay_alu instid0(VALU_DEP_3) | instskip(NEXT) | instid1(VALU_DEP_3)
	v_add_f64_e32 v[12:13], v[12:13], v[70:71]
	v_add_f64_e32 v[78:79], v[64:65], v[60:61]
	s_delay_alu instid0(VALU_DEP_3) | instskip(NEXT) | instid1(VALU_DEP_2)
	v_add_f64_e32 v[56:57], v[56:57], v[72:73]
	v_cvt_i32_f64_e32 v25, v[78:79]
	s_delay_alu instid0(VALU_DEP_2) | instskip(NEXT) | instid1(VALU_DEP_2)
	v_add_f64_e32 v[12:13], v[56:57], v[12:13]
	v_cvt_f64_i32_e32 v[76:77], v25
	s_delay_alu instid0(VALU_DEP_2) | instskip(NEXT) | instid1(VALU_DEP_2)
	v_add_f64_e32 v[10:11], v[10:11], v[12:13]
	v_add_f64_e64 v[60:61], v[60:61], -v[76:77]
	s_delay_alu instid0(VALU_DEP_2) | instskip(NEXT) | instid1(VALU_DEP_2)
	v_add_f64_e32 v[10:11], v[58:59], v[10:11]
	v_add_f64_e32 v[56:57], v[64:65], v[60:61]
	s_delay_alu instid0(VALU_DEP_1) | instskip(SKIP_1) | instid1(VALU_DEP_2)
	v_add_f64_e64 v[12:13], v[56:57], -v[60:61]
	v_cmp_le_f64_e64 s5, 0.5, v[56:57]
	v_add_f64_e64 v[12:13], v[64:65], -v[12:13]
	s_delay_alu instid0(VALU_DEP_2) | instskip(SKIP_1) | instid1(VALU_DEP_3)
	v_add_co_ci_u32_e64 v60, null, 0, v25, s5
	v_cndmask_b32_e64 v25, 0, 0x3ff00000, s5
	v_add_f64_e32 v[10:11], v[10:11], v[12:13]
	s_delay_alu instid0(VALU_DEP_2) | instskip(NEXT) | instid1(VALU_DEP_1)
	v_add_f64_e64 v[12:13], v[56:57], -v[24:25]
	v_add_f64_e32 v[56:57], v[12:13], v[10:11]
	s_delay_alu instid0(VALU_DEP_1) | instskip(SKIP_1) | instid1(VALU_DEP_2)
	v_mul_f64_e32 v[58:59], 0x3ff921fb54442d18, v[56:57]
	v_add_f64_e64 v[12:13], v[56:57], -v[12:13]
	v_fma_f64 v[62:63], v[56:57], s[18:19], -v[58:59]
	s_delay_alu instid0(VALU_DEP_2) | instskip(NEXT) | instid1(VALU_DEP_2)
	v_add_f64_e64 v[10:11], v[10:11], -v[12:13]
	v_fmac_f64_e32 v[62:63], 0x3c91a62633145c07, v[56:57]
	s_delay_alu instid0(VALU_DEP_1) | instskip(NEXT) | instid1(VALU_DEP_1)
	v_fmac_f64_e32 v[62:63], 0x3ff921fb54442d18, v[10:11]
	v_add_f64_e32 v[10:11], v[58:59], v[62:63]
	s_delay_alu instid0(VALU_DEP_1) | instskip(NEXT) | instid1(VALU_DEP_1)
	v_add_f64_e64 v[12:13], v[10:11], -v[58:59]
	v_add_f64_e64 v[12:13], v[62:63], -v[12:13]
	s_and_not1_saveexec_b32 s5, s7
	s_cbranch_execz .LBB137_167
	s_branch .LBB137_166
.LBB137_165:                            ;   in Loop: Header=BB137_4 Depth=1
	s_and_not1_saveexec_b32 s5, s7
	s_cbranch_execz .LBB137_167
.LBB137_166:                            ;   in Loop: Header=BB137_4 Depth=1
	v_mul_f64_e64 v[10:11], |v[4:5]|, s[20:21]
	s_delay_alu instid0(VALU_DEP_1) | instskip(NEXT) | instid1(VALU_DEP_1)
	v_rndne_f64_e32 v[56:57], v[10:11]
	v_fma_f64 v[10:11], v[56:57], s[22:23], |v[4:5]|
	v_mul_f64_e32 v[12:13], 0xbc91a62633145c00, v[56:57]
	s_delay_alu instid0(VALU_DEP_2) | instskip(NEXT) | instid1(VALU_DEP_2)
	v_fmamk_f64 v[62:63], v[56:57], 0xbc91a62633145c00, v[10:11]
	v_add_f64_e32 v[58:59], v[10:11], v[12:13]
	s_delay_alu instid0(VALU_DEP_1) | instskip(NEXT) | instid1(VALU_DEP_3)
	v_add_f64_e64 v[60:61], v[10:11], -v[58:59]
	v_add_f64_e64 v[10:11], v[58:59], -v[62:63]
	s_delay_alu instid0(VALU_DEP_2) | instskip(SKIP_2) | instid1(VALU_DEP_3)
	v_add_f64_e32 v[58:59], v[60:61], v[12:13]
	v_fmamk_f64 v[12:13], v[56:57], 0x3c91a62633145c00, v[12:13]
	v_cvt_i32_f64_e32 v60, v[56:57]
	v_add_f64_e32 v[10:11], v[10:11], v[58:59]
	s_delay_alu instid0(VALU_DEP_1) | instskip(NEXT) | instid1(VALU_DEP_1)
	v_add_f64_e64 v[12:13], v[10:11], -v[12:13]
	v_fmac_f64_e32 v[12:13], 0xb97b839a252049c0, v[56:57]
	s_delay_alu instid0(VALU_DEP_1) | instskip(NEXT) | instid1(VALU_DEP_1)
	v_add_f64_e32 v[10:11], v[62:63], v[12:13]
	v_add_f64_e64 v[58:59], v[10:11], -v[62:63]
	s_delay_alu instid0(VALU_DEP_1)
	v_add_f64_e64 v[12:13], v[12:13], -v[58:59]
.LBB137_167:                            ;   in Loop: Header=BB137_4 Depth=1
	s_or_b32 exec_lo, exec_lo, s5
                                        ; implicit-def: $vgpr61
                                        ; implicit-def: $vgpr56_vgpr57
                                        ; implicit-def: $vgpr58_vgpr59
	s_and_saveexec_b32 s5, s6
	s_delay_alu instid0(SALU_CYCLE_1)
	s_xor_b32 s6, exec_lo, s5
	s_cbranch_execz .LBB137_169
; %bb.168:                              ;   in Loop: Header=BB137_4 Depth=1
	v_ldexp_f64 v[56:57], |v[4:5]|, 0xffffff80
	v_cmp_le_f64_e64 s5, 0x7b000000, |v[4:5]|
	v_trig_preop_f64 v[58:59], |v[4:5]|, 0
	v_trig_preop_f64 v[62:63], |v[4:5]|, 1
	;; [unrolled: 1-line block ×3, first 2 shown]
	s_delay_alu instid0(VALU_DEP_4) | instskip(SKIP_1) | instid1(VALU_DEP_1)
	v_cndmask_b32_e64 v57, v68, v57, s5
	v_cndmask_b32_e64 v56, v4, v56, s5
	v_mul_f64_e32 v[64:65], v[58:59], v[56:57]
	v_mul_f64_e32 v[66:67], v[62:63], v[56:57]
	s_delay_alu instid0(VALU_DEP_2) | instskip(NEXT) | instid1(VALU_DEP_1)
	v_fma_f64 v[58:59], v[58:59], v[56:57], -v[64:65]
	v_add_f64_e32 v[68:69], v[66:67], v[58:59]
	s_delay_alu instid0(VALU_DEP_1) | instskip(SKIP_1) | instid1(VALU_DEP_2)
	v_add_f64_e64 v[70:71], v[68:69], -v[66:67]
	v_add_f64_e32 v[76:77], v[64:65], v[68:69]
	v_add_f64_e64 v[74:75], v[68:69], -v[70:71]
	v_add_f64_e64 v[58:59], v[58:59], -v[70:71]
	v_fma_f64 v[62:63], v[62:63], v[56:57], -v[66:67]
	s_delay_alu instid0(VALU_DEP_4) | instskip(SKIP_2) | instid1(VALU_DEP_3)
	v_ldexp_f64 v[70:71], v[76:77], -2
	v_mul_f64_e32 v[78:79], v[72:73], v[56:57]
	v_add_f64_e64 v[66:67], v[66:67], -v[74:75]
	v_cmp_neq_f64_e64 s5, 0x7ff00000, |v[70:71]|
	s_delay_alu instid0(VALU_DEP_3) | instskip(SKIP_1) | instid1(VALU_DEP_4)
	v_add_f64_e32 v[74:75], v[78:79], v[62:63]
	v_fma_f64 v[56:57], v[72:73], v[56:57], -v[78:79]
	v_add_f64_e32 v[58:59], v[58:59], v[66:67]
	v_fract_f64_e32 v[66:67], v[70:71]
	s_delay_alu instid0(VALU_DEP_1) | instskip(NEXT) | instid1(VALU_DEP_1)
	v_ldexp_f64 v[66:67], v[66:67], 2
	v_dual_add_f64 v[64:65], v[76:77], -v[64:65] :: v_dual_cndmask_b32 v67, 0, v67, s5
	s_delay_alu instid0(VALU_DEP_1) | instskip(SKIP_1) | instid1(VALU_DEP_1)
	v_dual_add_f64 v[64:65], v[68:69], -v[64:65] :: v_dual_cndmask_b32 v66, 0, v66, s5
	v_add_f64_e32 v[68:69], v[74:75], v[58:59]
	v_add_f64_e32 v[70:71], v[64:65], v[68:69]
	v_add_f64_e64 v[80:81], v[68:69], -v[74:75]
	s_delay_alu instid0(VALU_DEP_2) | instskip(NEXT) | instid1(VALU_DEP_2)
	v_add_f64_e32 v[76:77], v[70:71], v[66:67]
	v_add_f64_e64 v[86:87], v[68:69], -v[80:81]
	v_add_f64_e64 v[58:59], v[58:59], -v[80:81]
	;; [unrolled: 1-line block ×3, first 2 shown]
	s_delay_alu instid0(VALU_DEP_4) | instskip(SKIP_1) | instid1(VALU_DEP_3)
	v_cmp_gt_f64_e64 s5, 0, v[76:77]
	v_add_f64_e64 v[76:77], v[74:75], -v[78:79]
	v_add_f64_e64 v[64:65], v[68:69], -v[64:65]
	s_delay_alu instid0(VALU_DEP_3) | instskip(NEXT) | instid1(VALU_DEP_3)
	v_cndmask_b32_e64 v25, 0, 0x40100000, s5
	v_add_f64_e64 v[84:85], v[74:75], -v[76:77]
	v_add_f64_e64 v[62:63], v[62:63], -v[76:77]
	;; [unrolled: 1-line block ×3, first 2 shown]
	s_delay_alu instid0(VALU_DEP_4) | instskip(NEXT) | instid1(VALU_DEP_4)
	v_add_f64_e32 v[66:67], v[66:67], v[24:25]
	v_add_f64_e64 v[76:77], v[78:79], -v[84:85]
	s_delay_alu instid0(VALU_DEP_3) | instskip(NEXT) | instid1(VALU_DEP_3)
	v_add_f64_e32 v[58:59], v[58:59], v[74:75]
	v_add_f64_e32 v[82:83], v[70:71], v[66:67]
	s_delay_alu instid0(VALU_DEP_3) | instskip(NEXT) | instid1(VALU_DEP_2)
	v_add_f64_e32 v[62:63], v[62:63], v[76:77]
	v_cvt_i32_f64_e32 v25, v[82:83]
	s_delay_alu instid0(VALU_DEP_2) | instskip(NEXT) | instid1(VALU_DEP_2)
	v_add_f64_e32 v[58:59], v[62:63], v[58:59]
	v_cvt_f64_i32_e32 v[80:81], v25
	s_delay_alu instid0(VALU_DEP_2) | instskip(NEXT) | instid1(VALU_DEP_2)
	v_add_f64_e32 v[56:57], v[56:57], v[58:59]
	v_add_f64_e64 v[66:67], v[66:67], -v[80:81]
	s_delay_alu instid0(VALU_DEP_2) | instskip(NEXT) | instid1(VALU_DEP_2)
	v_add_f64_e32 v[56:57], v[64:65], v[56:57]
	v_add_f64_e32 v[62:63], v[70:71], v[66:67]
	s_delay_alu instid0(VALU_DEP_1) | instskip(SKIP_1) | instid1(VALU_DEP_2)
	v_add_f64_e64 v[58:59], v[62:63], -v[66:67]
	v_cmp_le_f64_e64 s5, 0.5, v[62:63]
	v_add_f64_e64 v[58:59], v[70:71], -v[58:59]
	s_delay_alu instid0(VALU_DEP_2) | instskip(SKIP_1) | instid1(VALU_DEP_3)
	v_add_co_ci_u32_e64 v61, null, 0, v25, s5
	v_cndmask_b32_e64 v25, 0, 0x3ff00000, s5
	v_add_f64_e32 v[56:57], v[56:57], v[58:59]
	s_delay_alu instid0(VALU_DEP_2) | instskip(NEXT) | instid1(VALU_DEP_1)
	v_add_f64_e64 v[58:59], v[62:63], -v[24:25]
	v_add_f64_e32 v[62:63], v[58:59], v[56:57]
	s_delay_alu instid0(VALU_DEP_1) | instskip(SKIP_1) | instid1(VALU_DEP_2)
	v_mul_f64_e32 v[64:65], 0x3ff921fb54442d18, v[62:63]
	v_add_f64_e64 v[58:59], v[62:63], -v[58:59]
	v_fma_f64 v[66:67], v[62:63], s[18:19], -v[64:65]
	s_delay_alu instid0(VALU_DEP_2) | instskip(NEXT) | instid1(VALU_DEP_2)
	v_add_f64_e64 v[56:57], v[56:57], -v[58:59]
	v_fmac_f64_e32 v[66:67], 0x3c91a62633145c07, v[62:63]
	s_delay_alu instid0(VALU_DEP_1) | instskip(NEXT) | instid1(VALU_DEP_1)
	v_fmac_f64_e32 v[66:67], 0x3ff921fb54442d18, v[56:57]
	v_add_f64_e32 v[56:57], v[64:65], v[66:67]
	s_delay_alu instid0(VALU_DEP_1) | instskip(NEXT) | instid1(VALU_DEP_1)
	v_add_f64_e64 v[58:59], v[56:57], -v[64:65]
	v_add_f64_e64 v[58:59], v[66:67], -v[58:59]
	s_and_not1_saveexec_b32 s5, s6
	s_cbranch_execnz .LBB137_170
	s_branch .LBB137_171
.LBB137_169:                            ;   in Loop: Header=BB137_4 Depth=1
	s_and_not1_saveexec_b32 s5, s6
	s_cbranch_execz .LBB137_171
.LBB137_170:                            ;   in Loop: Header=BB137_4 Depth=1
	v_mul_f64_e64 v[56:57], |v[4:5]|, s[20:21]
	s_delay_alu instid0(VALU_DEP_1) | instskip(NEXT) | instid1(VALU_DEP_1)
	v_rndne_f64_e32 v[62:63], v[56:57]
	v_fma_f64 v[56:57], v[62:63], s[22:23], |v[4:5]|
	v_mul_f64_e32 v[58:59], 0xbc91a62633145c00, v[62:63]
	v_cvt_i32_f64_e32 v61, v[62:63]
	s_delay_alu instid0(VALU_DEP_3) | instskip(NEXT) | instid1(VALU_DEP_3)
	v_fmamk_f64 v[68:69], v[62:63], 0xbc91a62633145c00, v[56:57]
	v_add_f64_e32 v[64:65], v[56:57], v[58:59]
	s_delay_alu instid0(VALU_DEP_1) | instskip(NEXT) | instid1(VALU_DEP_3)
	v_add_f64_e64 v[66:67], v[56:57], -v[64:65]
	v_add_f64_e64 v[56:57], v[64:65], -v[68:69]
	s_delay_alu instid0(VALU_DEP_2) | instskip(SKIP_1) | instid1(VALU_DEP_2)
	v_add_f64_e32 v[64:65], v[66:67], v[58:59]
	v_fmamk_f64 v[58:59], v[62:63], 0x3c91a62633145c00, v[58:59]
	v_add_f64_e32 v[56:57], v[56:57], v[64:65]
	s_delay_alu instid0(VALU_DEP_1) | instskip(NEXT) | instid1(VALU_DEP_1)
	v_add_f64_e64 v[58:59], v[56:57], -v[58:59]
	v_fmac_f64_e32 v[58:59], 0xb97b839a252049c0, v[62:63]
	s_delay_alu instid0(VALU_DEP_1) | instskip(NEXT) | instid1(VALU_DEP_1)
	v_add_f64_e32 v[56:57], v[68:69], v[58:59]
	v_add_f64_e64 v[64:65], v[56:57], -v[68:69]
	s_delay_alu instid0(VALU_DEP_1)
	v_add_f64_e64 v[58:59], v[58:59], -v[64:65]
.LBB137_171:                            ;   in Loop: Header=BB137_4 Depth=1
	s_or_b32 exec_lo, exec_lo, s5
	v_add_f64_e32 v[2:3], 0xc0937be319ba0da4, v[2:3]
	v_mul_f64_e32 v[64:65], v[10:11], v[10:11]
	s_delay_alu instid0(VALU_DEP_3)
	v_mul_f64_e32 v[78:79], 0.5, v[12:13]
	v_cmp_class_f64_e64 s6, v[4:5], 0x1f8
	v_mul_f64_e32 v[66:67], v[56:57], v[56:57]
	v_mul_f64_e32 v[62:63], 0x3ff71547652b82fe, v[2:3]
	v_mul_f64_e32 v[68:69], 0.5, v[64:65]
	v_cmp_nlt_f64_e64 s7, 0x40900000, v[2:3]
	v_cmp_ngt_f64_e64 s8, 0xc090cc00, v[2:3]
	v_mul_f64_e64 v[90:91], v[56:57], -v[66:67]
	v_fmamk_f64 v[94:95], v[66:67], 0x3de5e0b2f9a43bb8, v[34:35]
	v_rndne_f64_e32 v[62:63], v[62:63]
	v_add_f64_e64 v[74:75], -v[68:69], 1.0
	s_delay_alu instid0(VALU_DEP_2) | instskip(NEXT) | instid1(VALU_DEP_2)
	v_fmamk_f64 v[72:73], v[62:63], 0xbfe62e42fefa39ef, v[2:3]
	v_add_f64_e64 v[82:83], -v[74:75], 1.0
	v_cvt_i32_f64_e32 v25, v[62:63]
	v_and_b32_e32 v2, 1, v61
	s_delay_alu instid0(VALU_DEP_4) | instskip(NEXT) | instid1(VALU_DEP_2)
	v_fmac_f64_e32 v[72:73], 0xbc7abc9e3b39803f, v[62:63]
	v_cmp_eq_u32_e64 s9, 0, v2
	v_add_f64_e64 v[68:69], v[82:83], -v[68:69]
	s_delay_alu instid0(VALU_DEP_3) | instskip(NEXT) | instid1(VALU_DEP_1)
	v_fmamk_f64 v[86:87], v[72:73], 0x3e5ade156a5dcb37, v[30:31]
	v_fmaak_f64 v[86:87], v[72:73], v[86:87], 0x3ec71dee623fde64
	s_delay_alu instid0(VALU_DEP_1) | instskip(NEXT) | instid1(VALU_DEP_1)
	v_fmaak_f64 v[86:87], v[72:73], v[86:87], 0x3efa01997c89e6b0
	v_fmaak_f64 v[86:87], v[72:73], v[86:87], 0x3f2a01a014761f6e
	s_delay_alu instid0(VALU_DEP_1) | instskip(NEXT) | instid1(VALU_DEP_1)
	v_fmaak_f64 v[82:83], v[72:73], v[86:87], 0x3f56c16c1852b7b0
	;; [unrolled: 3-line block ×4, first 2 shown]
	v_fma_f64 v[82:83], v[72:73], v[82:83], 1.0
	s_delay_alu instid0(VALU_DEP_1) | instskip(NEXT) | instid1(VALU_DEP_1)
	v_fma_f64 v[62:63], v[72:73], v[82:83], 1.0
	v_ldexp_f64 v[62:63], v[62:63], v25
	v_and_b32_e32 v25, 1, v60
	v_mul_f64_e64 v[80:81], v[10:11], -v[64:65]
	v_fmamk_f64 v[84:85], v[64:65], 0x3de5e0b2f9a43bb8, v[34:35]
	v_mul_f64_e32 v[86:87], v[64:65], v[64:65]
	s_delay_alu instid0(VALU_DEP_4) | instskip(NEXT) | instid1(VALU_DEP_3)
	v_cmp_eq_u32_e64 s5, 0, v25
	v_fmaak_f64 v[84:85], v[64:65], v[84:85], 0x3ec71de3796cde01
	s_delay_alu instid0(VALU_DEP_1) | instskip(NEXT) | instid1(VALU_DEP_1)
	v_fmaak_f64 v[84:85], v[64:65], v[84:85], 0xbf2a01a019e83e5c
	v_fmaak_f64 v[84:85], v[64:65], v[84:85], 0x3f81111111110bb3
	v_cndmask_b32_e64 v4, 0x7ff00000, v63, s7
	s_delay_alu instid0(VALU_DEP_2) | instskip(SKIP_1) | instid1(VALU_DEP_1)
	v_fmac_f64_e32 v[78:79], v[80:81], v[84:85]
	v_fmaak_f64 v[84:85], v[66:67], v[94:95], 0x3ec71de3796cde01
	v_fmaak_f64 v[84:85], v[66:67], v[84:85], 0xbf2a01a019e83e5c
	s_delay_alu instid0(VALU_DEP_1) | instskip(NEXT) | instid1(VALU_DEP_4)
	v_fmaak_f64 v[84:85], v[66:67], v[84:85], 0x3f81111111110bb3
	v_fma_f64 v[78:79], v[64:65], v[78:79], -v[12:13]
	v_fma_f64 v[12:13], v[10:11], -v[12:13], v[68:69]
	s_delay_alu instid0(VALU_DEP_2) | instskip(NEXT) | instid1(VALU_DEP_1)
	v_fmac_f64_e32 v[78:79], 0xbfc5555555555555, v[80:81]
	v_add_f64_e64 v[10:11], v[10:11], -v[78:79]
	v_mul_f64_e32 v[88:89], 0.5, v[58:59]
	s_delay_alu instid0(VALU_DEP_2) | instskip(NEXT) | instid1(VALU_DEP_2)
	v_xor_b32_e32 v3, 0x80000000, v11
	v_fmac_f64_e32 v[88:89], v[90:91], v[84:85]
	v_fmamk_f64 v[84:85], v[64:65], 0xbda907db46cc5e42, v[32:33]
	v_lshlrev_b32_e32 v11, 30, v61
	s_delay_alu instid0(VALU_DEP_2) | instskip(NEXT) | instid1(VALU_DEP_1)
	v_fmaak_f64 v[68:69], v[64:65], v[84:85], 0xbe927e4fa17f65f6
	v_fmaak_f64 v[68:69], v[64:65], v[68:69], 0x3efa01a019f4ec90
	s_delay_alu instid0(VALU_DEP_1) | instskip(NEXT) | instid1(VALU_DEP_1)
	v_fmaak_f64 v[68:69], v[64:65], v[68:69], 0xbf56c16c16c16967
	v_fmaak_f64 v[64:65], v[64:65], v[68:69], 0x3fa5555555555555
	s_delay_alu instid0(VALU_DEP_1) | instskip(NEXT) | instid1(VALU_DEP_1)
	v_fmac_f64_e32 v[12:13], v[86:87], v[64:65]
	v_add_f64_e32 v[12:13], v[74:75], v[12:13]
	s_delay_alu instid0(VALU_DEP_1) | instskip(NEXT) | instid1(VALU_DEP_2)
	v_cndmask_b32_e64 v10, v10, v12, s5
	v_dual_lshlrev_b32 v12, 30, v60 :: v_dual_cndmask_b32 v2, v3, v13, s5
	v_cndmask_b32_e64 v13, 0, v4, s8
	s_and_b32 s5, s8, s7
	v_xor_b32_e32 v3, v11, v5
	s_delay_alu instid0(VALU_DEP_3) | instskip(SKIP_4) | instid1(VALU_DEP_3)
	v_bitop3_b32 v12, v2, v12, 0x80000000 bitop3:0x78
	v_cndmask_b32_e64 v2, 0, v10, s6
	v_mul_f64_e32 v[70:71], 0.5, v[66:67]
	v_mul_f64_e32 v[84:85], v[66:67], v[66:67]
	v_dual_fma_f64 v[68:69], v[66:67], v[88:89], -v[58:59] :: v_dual_cndmask_b32 v10, 0, v62, s5
	v_add_f64_e64 v[76:77], -v[70:71], 1.0
	s_delay_alu instid0(VALU_DEP_2) | instskip(NEXT) | instid1(VALU_DEP_2)
	v_fmac_f64_e32 v[68:69], 0xbfc5555555555555, v[90:91]
	v_add_f64_e64 v[92:93], -v[76:77], 1.0
	s_delay_alu instid0(VALU_DEP_1) | instskip(SKIP_1) | instid1(VALU_DEP_2)
	v_add_f64_e64 v[70:71], v[92:93], -v[70:71]
	v_fmamk_f64 v[92:93], v[66:67], 0xbda907db46cc5e42, v[32:33]
	v_fma_f64 v[58:59], v[56:57], -v[58:59], v[70:71]
	s_delay_alu instid0(VALU_DEP_2) | instskip(SKIP_1) | instid1(VALU_DEP_2)
	v_fmaak_f64 v[70:71], v[66:67], v[92:93], 0xbe927e4fa17f65f6
	v_add_f64_e64 v[56:57], v[56:57], -v[68:69]
	v_fmaak_f64 v[64:65], v[66:67], v[70:71], 0x3efa01a019f4ec90
	s_delay_alu instid0(VALU_DEP_1) | instskip(NEXT) | instid1(VALU_DEP_1)
	v_fmaak_f64 v[64:65], v[66:67], v[64:65], 0xbf56c16c16c16967
	v_fmaak_f64 v[64:65], v[66:67], v[64:65], 0x3fa5555555555555
	s_delay_alu instid0(VALU_DEP_1) | instskip(NEXT) | instid1(VALU_DEP_1)
	v_fmac_f64_e32 v[58:59], v[84:85], v[64:65]
	v_add_f64_e32 v[58:59], v[76:77], v[58:59]
	s_delay_alu instid0(VALU_DEP_1) | instskip(NEXT) | instid1(VALU_DEP_1)
	v_dual_cndmask_b32 v11, v59, v57, s9 :: v_dual_cndmask_b32 v5, v58, v56, s9
	v_bitop3_b32 v25, v11, v3, 0x80000000 bitop3:0x78
	v_cndmask_b32_e64 v3, 0x7ff80000, v12, s6
	s_delay_alu instid0(VALU_DEP_3) | instskip(SKIP_3) | instid1(VALU_DEP_3)
	v_cndmask_b32_e64 v4, 0, v5, s6
	v_and_or_b32 v11, v13, s30, 0x7fe00000
	v_lshrrev_b32_e32 v12, 20, v13
	v_cndmask_b32_e64 v5, 0x7ff80000, v25, s6
	v_mul_f64_e32 v[2:3], v[10:11], v[2:3]
	s_delay_alu instid0(VALU_DEP_2) | instskip(NEXT) | instid1(VALU_DEP_4)
	v_mul_f64_e32 v[4:5], v[10:11], v[4:5]
	v_add_nc_u32_e32 v10, 0xffffff09, v12
	v_mov_b32_e32 v12, v24
	s_delay_alu instid0(VALU_DEP_2) | instskip(NEXT) | instid1(VALU_DEP_1)
	v_lshrrev_b16 v11, 15, v10
	v_add_nc_u16 v11, v10, v11
	s_delay_alu instid0(VALU_DEP_1) | instskip(NEXT) | instid1(VALU_DEP_1)
	v_ashrrev_i16 v11, 1, v11
	v_bfe_i32 v11, v11, 0, 16
	s_delay_alu instid0(VALU_DEP_1) | instskip(SKIP_1) | instid1(VALU_DEP_2)
	v_lshl_add_u32 v25, v11, 20, 0x3ff00000
	v_sub_nc_u32_e32 v10, v10, v11
	v_mul_f64_e32 v[2:3], v[2:3], v[24:25]
	v_mul_f64_e32 v[4:5], v[4:5], v[24:25]
	s_delay_alu instid0(VALU_DEP_3) | instskip(NEXT) | instid1(VALU_DEP_1)
	v_lshl_add_u32 v13, v10, 20, 0x3ff00000
	v_mul_f64_e32 v[10:11], v[2:3], v[12:13]
	s_delay_alu instid0(VALU_DEP_3)
	v_mul_f64_e32 v[12:13], v[4:5], v[12:13]
.LBB137_172:                            ;   in Loop: Header=BB137_4 Depth=1
	s_or_b32 exec_lo, exec_lo, s35
                                        ; implicit-def: $vgpr2_vgpr3
                                        ; implicit-def: $vgpr25
.LBB137_173:                            ;   in Loop: Header=BB137_4 Depth=1
	s_and_not1_saveexec_b32 s7, s34
	s_cbranch_execz .LBB137_179
; %bb.174:                              ;   in Loop: Header=BB137_4 Depth=1
	v_add_f64_e64 v[12:13], v[4:5], -v[4:5]
	v_cmp_ne_u32_e64 s5, 0, v2
	v_cmp_ne_u32_e64 s6, 0x7ff00000, v25
	s_or_b32 s5, s5, s6
	s_delay_alu instid0(SALU_CYCLE_1) | instskip(NEXT) | instid1(SALU_CYCLE_1)
	s_and_saveexec_b32 s6, s5
	s_xor_b32 s5, exec_lo, s6
; %bb.175:                              ;   in Loop: Header=BB137_4 Depth=1
                                        ; implicit-def: $vgpr2_vgpr3
; %bb.176:                              ;   in Loop: Header=BB137_4 Depth=1
	s_delay_alu instid0(SALU_CYCLE_1)
	s_or_saveexec_b32 s6, s5
	v_mov_b64_e32 v[10:11], v[12:13]
	s_xor_b32 exec_lo, exec_lo, s6
; %bb.177:                              ;   in Loop: Header=BB137_4 Depth=1
	v_cmp_lt_i64_e64 s5, -1, v[2:3]
	s_delay_alu instid0(VALU_DEP_1)
	v_dual_cndmask_b32 v11, 0, v3, s5 :: v_dual_cndmask_b32 v10, 0, v2, s5
	v_dual_cndmask_b32 v13, 0, v13, s5 :: v_dual_cndmask_b32 v12, 0, v12, s5
; %bb.178:                              ;   in Loop: Header=BB137_4 Depth=1
	s_or_b32 exec_lo, exec_lo, s6
.LBB137_179:                            ;   in Loop: Header=BB137_4 Depth=1
	s_delay_alu instid0(SALU_CYCLE_1)
	s_or_b32 exec_lo, exec_lo, s7
                                        ; implicit-def: $vgpr4_vgpr5
                                        ; implicit-def: $vgpr68
.LBB137_180:                            ;   in Loop: Header=BB137_4 Depth=1
	s_and_not1_saveexec_b32 s8, s33
	s_cbranch_execz .LBB137_190
; %bb.181:                              ;   in Loop: Header=BB137_4 Depth=1
	v_cmp_ngt_f64_e64 s6, 0x41d00000, |v[4:5]|
	v_trig_preop_f64 v[58:59], |v[4:5]|, 0
	v_trig_preop_f64 v[56:57], |v[4:5]|, 1
	v_ldexp_f64 v[60:61], |v[4:5]|, 0xffffff80
	v_trig_preop_f64 v[12:13], |v[4:5]|, 2
                                        ; implicit-def: $vgpr69
                                        ; implicit-def: $vgpr2_vgpr3
                                        ; implicit-def: $vgpr10_vgpr11
	s_and_saveexec_b32 s5, s6
	s_delay_alu instid0(SALU_CYCLE_1)
	s_xor_b32 s7, exec_lo, s5
	s_cbranch_execz .LBB137_183
; %bb.182:                              ;   in Loop: Header=BB137_4 Depth=1
	v_cmp_le_f64_e64 s5, 0x7b000000, |v[4:5]|
	s_delay_alu instid0(VALU_DEP_1) | instskip(NEXT) | instid1(VALU_DEP_4)
	v_cndmask_b32_e64 v3, v68, v61, s5
	v_cndmask_b32_e64 v2, v4, v60, s5
	s_delay_alu instid0(VALU_DEP_1) | instskip(SKIP_1) | instid1(VALU_DEP_2)
	v_mul_f64_e32 v[10:11], v[58:59], v[2:3]
	v_mul_f64_e32 v[62:63], v[56:57], v[2:3]
	v_fma_f64 v[64:65], v[58:59], v[2:3], -v[10:11]
	s_delay_alu instid0(VALU_DEP_1) | instskip(NEXT) | instid1(VALU_DEP_1)
	v_add_f64_e32 v[66:67], v[62:63], v[64:65]
	v_add_f64_e64 v[70:71], v[66:67], -v[62:63]
	v_add_f64_e32 v[74:75], v[10:11], v[66:67]
	s_delay_alu instid0(VALU_DEP_2) | instskip(SKIP_2) | instid1(VALU_DEP_4)
	v_add_f64_e64 v[72:73], v[66:67], -v[70:71]
	v_fma_f64 v[78:79], v[56:57], v[2:3], -v[62:63]
	v_add_f64_e64 v[64:65], v[64:65], -v[70:71]
	v_ldexp_f64 v[70:71], v[74:75], -2
	v_mul_f64_e32 v[76:77], v[12:13], v[2:3]
	v_add_f64_e64 v[62:63], v[62:63], -v[72:73]
	s_delay_alu instid0(VALU_DEP_3) | instskip(NEXT) | instid1(VALU_DEP_3)
	v_cmp_neq_f64_e64 s5, 0x7ff00000, |v[70:71]|
	v_add_f64_e32 v[72:73], v[76:77], v[78:79]
	v_fma_f64 v[2:3], v[12:13], v[2:3], -v[76:77]
	s_delay_alu instid0(VALU_DEP_4) | instskip(SKIP_1) | instid1(VALU_DEP_1)
	v_add_f64_e32 v[62:63], v[64:65], v[62:63]
	v_fract_f64_e32 v[64:65], v[70:71]
	v_ldexp_f64 v[64:65], v[64:65], 2
	s_delay_alu instid0(VALU_DEP_1) | instskip(NEXT) | instid1(VALU_DEP_1)
	v_dual_add_f64 v[10:11], v[74:75], -v[10:11] :: v_dual_cndmask_b32 v65, 0, v65, s5
	v_dual_add_f64 v[10:11], v[66:67], -v[10:11] :: v_dual_cndmask_b32 v64, 0, v64, s5
	v_add_f64_e32 v[66:67], v[72:73], v[62:63]
	s_delay_alu instid0(VALU_DEP_1) | instskip(SKIP_1) | instid1(VALU_DEP_2)
	v_add_f64_e32 v[70:71], v[10:11], v[66:67]
	v_add_f64_e64 v[80:81], v[66:67], -v[72:73]
	v_add_f64_e32 v[74:75], v[70:71], v[64:65]
	s_delay_alu instid0(VALU_DEP_2) | instskip(SKIP_2) | instid1(VALU_DEP_4)
	v_add_f64_e64 v[86:87], v[66:67], -v[80:81]
	v_add_f64_e64 v[62:63], v[62:63], -v[80:81]
	;; [unrolled: 1-line block ×3, first 2 shown]
	v_cmp_gt_f64_e64 s5, 0, v[74:75]
	v_add_f64_e64 v[74:75], v[72:73], -v[76:77]
	s_delay_alu instid0(VALU_DEP_3) | instskip(NEXT) | instid1(VALU_DEP_3)
	v_add_f64_e64 v[10:11], v[66:67], -v[10:11]
	v_cndmask_b32_e64 v25, 0, 0x40100000, s5
	s_delay_alu instid0(VALU_DEP_3) | instskip(SKIP_2) | instid1(VALU_DEP_4)
	v_add_f64_e64 v[84:85], v[72:73], -v[74:75]
	v_add_f64_e64 v[74:75], v[78:79], -v[74:75]
	;; [unrolled: 1-line block ×3, first 2 shown]
	v_add_f64_e32 v[64:65], v[64:65], v[24:25]
	s_delay_alu instid0(VALU_DEP_4) | instskip(NEXT) | instid1(VALU_DEP_3)
	v_add_f64_e64 v[78:79], v[76:77], -v[84:85]
	v_add_f64_e32 v[62:63], v[62:63], v[72:73]
	s_delay_alu instid0(VALU_DEP_3) | instskip(NEXT) | instid1(VALU_DEP_3)
	v_add_f64_e32 v[82:83], v[70:71], v[64:65]
	v_add_f64_e32 v[74:75], v[74:75], v[78:79]
	s_delay_alu instid0(VALU_DEP_2) | instskip(NEXT) | instid1(VALU_DEP_2)
	v_cvt_i32_f64_e32 v25, v[82:83]
	v_add_f64_e32 v[62:63], v[74:75], v[62:63]
	s_delay_alu instid0(VALU_DEP_2) | instskip(NEXT) | instid1(VALU_DEP_2)
	v_cvt_f64_i32_e32 v[80:81], v25
	v_add_f64_e32 v[2:3], v[2:3], v[62:63]
	s_delay_alu instid0(VALU_DEP_2) | instskip(NEXT) | instid1(VALU_DEP_2)
	v_add_f64_e64 v[64:65], v[64:65], -v[80:81]
	v_add_f64_e32 v[2:3], v[10:11], v[2:3]
	s_delay_alu instid0(VALU_DEP_2) | instskip(NEXT) | instid1(VALU_DEP_1)
	v_add_f64_e32 v[72:73], v[70:71], v[64:65]
	v_add_f64_e64 v[62:63], v[72:73], -v[64:65]
	v_cmp_le_f64_e64 s5, 0.5, v[72:73]
	s_delay_alu instid0(VALU_DEP_2) | instskip(NEXT) | instid1(VALU_DEP_2)
	v_add_f64_e64 v[10:11], v[70:71], -v[62:63]
	v_add_co_ci_u32_e64 v69, null, 0, v25, s5
	v_cndmask_b32_e64 v25, 0, 0x3ff00000, s5
	s_delay_alu instid0(VALU_DEP_3) | instskip(NEXT) | instid1(VALU_DEP_2)
	v_add_f64_e32 v[2:3], v[2:3], v[10:11]
	v_add_f64_e64 v[10:11], v[72:73], -v[24:25]
	s_delay_alu instid0(VALU_DEP_1) | instskip(NEXT) | instid1(VALU_DEP_1)
	v_add_f64_e32 v[62:63], v[10:11], v[2:3]
	v_mul_f64_e32 v[64:65], 0x3ff921fb54442d18, v[62:63]
	v_add_f64_e64 v[10:11], v[62:63], -v[10:11]
	s_delay_alu instid0(VALU_DEP_2) | instskip(NEXT) | instid1(VALU_DEP_2)
	v_fma_f64 v[66:67], v[62:63], s[18:19], -v[64:65]
	v_add_f64_e64 v[2:3], v[2:3], -v[10:11]
	s_delay_alu instid0(VALU_DEP_2) | instskip(NEXT) | instid1(VALU_DEP_1)
	v_fmac_f64_e32 v[66:67], 0x3c91a62633145c07, v[62:63]
	v_fmac_f64_e32 v[66:67], 0x3ff921fb54442d18, v[2:3]
	s_delay_alu instid0(VALU_DEP_1) | instskip(NEXT) | instid1(VALU_DEP_1)
	v_add_f64_e32 v[2:3], v[64:65], v[66:67]
	v_add_f64_e64 v[10:11], v[2:3], -v[64:65]
	s_delay_alu instid0(VALU_DEP_1)
	v_add_f64_e64 v[10:11], v[66:67], -v[10:11]
.LBB137_183:                            ;   in Loop: Header=BB137_4 Depth=1
	s_or_saveexec_b32 s5, s7
	v_mul_f64_e64 v[62:63], |v[4:5]|, s[20:21]
	s_delay_alu instid0(VALU_DEP_1)
	v_rndne_f64_e32 v[66:67], v[62:63]
	s_xor_b32 exec_lo, exec_lo, s5
	s_cbranch_execz .LBB137_185
; %bb.184:                              ;   in Loop: Header=BB137_4 Depth=1
	s_delay_alu instid0(VALU_DEP_1) | instskip(SKIP_2) | instid1(VALU_DEP_3)
	v_fma_f64 v[2:3], v[66:67], s[22:23], |v[4:5]|
	v_mul_f64_e32 v[10:11], 0xbc91a62633145c00, v[66:67]
	v_cvt_i32_f64_e32 v69, v[66:67]
	v_fmamk_f64 v[70:71], v[66:67], 0xbc91a62633145c00, v[2:3]
	s_delay_alu instid0(VALU_DEP_3) | instskip(NEXT) | instid1(VALU_DEP_1)
	v_add_f64_e32 v[62:63], v[2:3], v[10:11]
	v_add_f64_e64 v[64:65], v[2:3], -v[62:63]
	s_delay_alu instid0(VALU_DEP_3) | instskip(NEXT) | instid1(VALU_DEP_2)
	v_add_f64_e64 v[2:3], v[62:63], -v[70:71]
	v_add_f64_e32 v[62:63], v[64:65], v[10:11]
	v_fmamk_f64 v[10:11], v[66:67], 0x3c91a62633145c00, v[10:11]
	s_delay_alu instid0(VALU_DEP_2) | instskip(NEXT) | instid1(VALU_DEP_1)
	v_add_f64_e32 v[2:3], v[2:3], v[62:63]
	v_add_f64_e64 v[10:11], v[2:3], -v[10:11]
	s_delay_alu instid0(VALU_DEP_1) | instskip(NEXT) | instid1(VALU_DEP_1)
	v_fmac_f64_e32 v[10:11], 0xb97b839a252049c0, v[66:67]
	v_add_f64_e32 v[2:3], v[70:71], v[10:11]
	s_delay_alu instid0(VALU_DEP_1) | instskip(NEXT) | instid1(VALU_DEP_1)
	v_add_f64_e64 v[62:63], v[2:3], -v[70:71]
	v_add_f64_e64 v[10:11], v[10:11], -v[62:63]
.LBB137_185:                            ;   in Loop: Header=BB137_4 Depth=1
	s_or_b32 exec_lo, exec_lo, s5
                                        ; implicit-def: $vgpr70
                                        ; implicit-def: $vgpr62_vgpr63
                                        ; implicit-def: $vgpr64_vgpr65
	s_and_saveexec_b32 s5, s6
	s_delay_alu instid0(SALU_CYCLE_1)
	s_xor_b32 s6, exec_lo, s5
	s_cbranch_execz .LBB137_187
; %bb.186:                              ;   in Loop: Header=BB137_4 Depth=1
	v_cmp_le_f64_e64 s5, 0x7b000000, |v[4:5]|
	s_delay_alu instid0(VALU_DEP_1) | instskip(SKIP_1) | instid1(VALU_DEP_1)
	v_cndmask_b32_e64 v61, v68, v61, s5
	v_cndmask_b32_e64 v60, v4, v60, s5
	v_mul_f64_e32 v[62:63], v[58:59], v[60:61]
	v_mul_f64_e32 v[64:65], v[56:57], v[60:61]
	s_delay_alu instid0(VALU_DEP_2) | instskip(NEXT) | instid1(VALU_DEP_1)
	v_fma_f64 v[58:59], v[58:59], v[60:61], -v[62:63]
	v_add_f64_e32 v[66:67], v[64:65], v[58:59]
	s_delay_alu instid0(VALU_DEP_1) | instskip(SKIP_1) | instid1(VALU_DEP_2)
	v_add_f64_e64 v[70:71], v[66:67], -v[64:65]
	v_add_f64_e32 v[74:75], v[62:63], v[66:67]
	v_add_f64_e64 v[72:73], v[66:67], -v[70:71]
	v_fma_f64 v[56:57], v[56:57], v[60:61], -v[64:65]
	v_add_f64_e64 v[58:59], v[58:59], -v[70:71]
	s_delay_alu instid0(VALU_DEP_4) | instskip(SKIP_3) | instid1(VALU_DEP_4)
	v_ldexp_f64 v[70:71], v[74:75], -2
	v_mul_f64_e32 v[76:77], v[12:13], v[60:61]
	v_add_f64_e64 v[62:63], v[74:75], -v[62:63]
	v_add_f64_e64 v[64:65], v[64:65], -v[72:73]
	v_cmp_neq_f64_e64 s5, 0x7ff00000, |v[70:71]|
	s_delay_alu instid0(VALU_DEP_4) | instskip(SKIP_1) | instid1(VALU_DEP_4)
	v_add_f64_e32 v[72:73], v[76:77], v[56:57]
	v_fma_f64 v[12:13], v[12:13], v[60:61], -v[76:77]
	v_add_f64_e32 v[58:59], v[58:59], v[64:65]
	v_fract_f64_e32 v[64:65], v[70:71]
	s_delay_alu instid0(VALU_DEP_1) | instskip(NEXT) | instid1(VALU_DEP_1)
	v_ldexp_f64 v[64:65], v[64:65], 2
	v_dual_add_f64 v[62:63], v[66:67], -v[62:63] :: v_dual_cndmask_b32 v65, 0, v65, s5
	s_delay_alu instid0(VALU_DEP_2) | instskip(NEXT) | instid1(VALU_DEP_1)
	v_dual_add_f64 v[66:67], v[72:73], v[58:59] :: v_dual_cndmask_b32 v64, 0, v64, s5
	v_add_f64_e32 v[70:71], v[62:63], v[66:67]
	v_add_f64_e64 v[78:79], v[66:67], -v[72:73]
	s_delay_alu instid0(VALU_DEP_2) | instskip(NEXT) | instid1(VALU_DEP_2)
	v_add_f64_e32 v[74:75], v[70:71], v[64:65]
	v_add_f64_e64 v[84:85], v[66:67], -v[78:79]
	v_add_f64_e64 v[58:59], v[58:59], -v[78:79]
	;; [unrolled: 1-line block ×3, first 2 shown]
	s_delay_alu instid0(VALU_DEP_4) | instskip(SKIP_1) | instid1(VALU_DEP_3)
	v_cmp_gt_f64_e64 s5, 0, v[74:75]
	v_add_f64_e64 v[74:75], v[72:73], -v[76:77]
	v_add_f64_e64 v[60:61], v[66:67], -v[60:61]
                                        ; implicit-def: $vgpr66_vgpr67
	s_delay_alu instid0(VALU_DEP_3) | instskip(NEXT) | instid1(VALU_DEP_3)
	v_cndmask_b32_e64 v25, 0, 0x40100000, s5
	v_add_f64_e64 v[82:83], v[72:73], -v[74:75]
	v_add_f64_e64 v[56:57], v[56:57], -v[74:75]
	;; [unrolled: 1-line block ×3, first 2 shown]
	s_delay_alu instid0(VALU_DEP_4) | instskip(NEXT) | instid1(VALU_DEP_4)
	v_add_f64_e32 v[64:65], v[64:65], v[24:25]
	v_add_f64_e64 v[74:75], v[76:77], -v[82:83]
	s_delay_alu instid0(VALU_DEP_3) | instskip(NEXT) | instid1(VALU_DEP_3)
	v_add_f64_e32 v[58:59], v[58:59], v[72:73]
	v_add_f64_e32 v[80:81], v[70:71], v[64:65]
	s_delay_alu instid0(VALU_DEP_3) | instskip(NEXT) | instid1(VALU_DEP_2)
	v_add_f64_e32 v[56:57], v[56:57], v[74:75]
	v_cvt_i32_f64_e32 v25, v[80:81]
	s_delay_alu instid0(VALU_DEP_2) | instskip(NEXT) | instid1(VALU_DEP_2)
	v_add_f64_e32 v[56:57], v[56:57], v[58:59]
	v_cvt_f64_i32_e32 v[78:79], v25
	s_delay_alu instid0(VALU_DEP_2) | instskip(NEXT) | instid1(VALU_DEP_2)
	v_add_f64_e32 v[12:13], v[12:13], v[56:57]
	v_add_f64_e64 v[64:65], v[64:65], -v[78:79]
	s_delay_alu instid0(VALU_DEP_2) | instskip(NEXT) | instid1(VALU_DEP_2)
	v_add_f64_e32 v[12:13], v[60:61], v[12:13]
	v_add_f64_e32 v[58:59], v[70:71], v[64:65]
	s_delay_alu instid0(VALU_DEP_1) | instskip(SKIP_1) | instid1(VALU_DEP_2)
	v_add_f64_e64 v[56:57], v[58:59], -v[64:65]
	v_cmp_le_f64_e64 s5, 0.5, v[58:59]
	v_add_f64_e64 v[56:57], v[70:71], -v[56:57]
	s_delay_alu instid0(VALU_DEP_2) | instskip(SKIP_1) | instid1(VALU_DEP_3)
	v_add_co_ci_u32_e64 v70, null, 0, v25, s5
	v_cndmask_b32_e64 v25, 0, 0x3ff00000, s5
	v_add_f64_e32 v[12:13], v[12:13], v[56:57]
	s_delay_alu instid0(VALU_DEP_2) | instskip(NEXT) | instid1(VALU_DEP_1)
	v_add_f64_e64 v[56:57], v[58:59], -v[24:25]
	v_add_f64_e32 v[58:59], v[56:57], v[12:13]
	s_delay_alu instid0(VALU_DEP_1) | instskip(SKIP_1) | instid1(VALU_DEP_2)
	v_mul_f64_e32 v[60:61], 0x3ff921fb54442d18, v[58:59]
	v_add_f64_e64 v[56:57], v[58:59], -v[56:57]
	v_fma_f64 v[64:65], v[58:59], s[18:19], -v[60:61]
	s_delay_alu instid0(VALU_DEP_2) | instskip(NEXT) | instid1(VALU_DEP_2)
	v_add_f64_e64 v[12:13], v[12:13], -v[56:57]
	v_fmac_f64_e32 v[64:65], 0x3c91a62633145c07, v[58:59]
	s_delay_alu instid0(VALU_DEP_1) | instskip(NEXT) | instid1(VALU_DEP_1)
	v_fmac_f64_e32 v[64:65], 0x3ff921fb54442d18, v[12:13]
	v_add_f64_e32 v[62:63], v[60:61], v[64:65]
	s_delay_alu instid0(VALU_DEP_1) | instskip(NEXT) | instid1(VALU_DEP_1)
	v_add_f64_e64 v[12:13], v[62:63], -v[60:61]
	v_add_f64_e64 v[64:65], v[64:65], -v[12:13]
	s_and_not1_saveexec_b32 s5, s6
	s_cbranch_execnz .LBB137_188
	s_branch .LBB137_189
.LBB137_187:                            ;   in Loop: Header=BB137_4 Depth=1
	s_and_not1_saveexec_b32 s5, s6
	s_cbranch_execz .LBB137_189
.LBB137_188:                            ;   in Loop: Header=BB137_4 Depth=1
	s_delay_alu instid0(VALU_DEP_1) | instskip(SKIP_2) | instid1(VALU_DEP_2)
	v_fma_f64 v[12:13], v[66:67], s[22:23], |v[4:5]|
	v_mul_f64_e32 v[56:57], 0xbc91a62633145c00, v[66:67]
	v_cvt_i32_f64_e32 v70, v[66:67]
	v_add_f64_e32 v[58:59], v[12:13], v[56:57]
	s_delay_alu instid0(VALU_DEP_1) | instskip(SKIP_1) | instid1(VALU_DEP_1)
	v_add_f64_e64 v[60:61], v[12:13], -v[58:59]
	v_fmamk_f64 v[12:13], v[66:67], 0xbc91a62633145c00, v[12:13]
	v_add_f64_e64 v[58:59], v[58:59], -v[12:13]
	s_delay_alu instid0(VALU_DEP_3) | instskip(SKIP_1) | instid1(VALU_DEP_2)
	v_add_f64_e32 v[60:61], v[60:61], v[56:57]
	v_fmamk_f64 v[56:57], v[66:67], 0x3c91a62633145c00, v[56:57]
	v_add_f64_e32 v[58:59], v[58:59], v[60:61]
	s_delay_alu instid0(VALU_DEP_1) | instskip(NEXT) | instid1(VALU_DEP_1)
	v_add_f64_e64 v[56:57], v[58:59], -v[56:57]
	v_fmac_f64_e32 v[56:57], 0xb97b839a252049c0, v[66:67]
	s_delay_alu instid0(VALU_DEP_1) | instskip(NEXT) | instid1(VALU_DEP_1)
	v_add_f64_e32 v[62:63], v[12:13], v[56:57]
	v_add_f64_e64 v[12:13], v[62:63], -v[12:13]
	s_delay_alu instid0(VALU_DEP_1)
	v_add_f64_e64 v[64:65], v[56:57], -v[12:13]
.LBB137_189:                            ;   in Loop: Header=BB137_4 Depth=1
	s_or_b32 exec_lo, exec_lo, s5
	v_dual_mul_f64 v[12:13], v[2:3], v[2:3] :: v_dual_bitop2_b32 v25, 1, v69 bitop3:0x40
	s_delay_alu instid0(VALU_DEP_2) | instskip(SKIP_4) | instid1(VALU_DEP_2)
	v_mul_f64_e32 v[74:75], 0.5, v[10:11]
	v_cmp_class_f64_e64 s6, v[4:5], 0x1f8
	v_mul_f64_e32 v[56:57], v[62:63], v[62:63]
	v_and_b32_e32 v4, 1, v70
	v_cmp_eq_u32_e64 s5, 0, v25
	v_cmp_eq_u32_e64 s7, 0, v4
	v_lshlrev_b32_e32 v4, 30, v69
	v_mul_f64_e32 v[58:59], 0.5, v[12:13]
	v_mul_f64_e64 v[76:77], v[2:3], -v[12:13]
	v_fmamk_f64 v[80:81], v[12:13], 0x3de5e0b2f9a43bb8, v[34:35]
	v_mul_f64_e64 v[84:85], v[62:63], -v[56:57]
	v_fmamk_f64 v[88:89], v[56:57], 0x3de5e0b2f9a43bb8, v[34:35]
	v_mul_f64_e32 v[60:61], 0.5, v[56:57]
	s_delay_alu instid0(VALU_DEP_4) | instskip(NEXT) | instid1(VALU_DEP_1)
	v_fmaak_f64 v[80:81], v[12:13], v[80:81], 0x3ec71de3796cde01
	v_fmaak_f64 v[80:81], v[12:13], v[80:81], 0xbf2a01a019e83e5c
	s_delay_alu instid0(VALU_DEP_1) | instskip(SKIP_1) | instid1(VALU_DEP_2)
	v_fmaak_f64 v[80:81], v[12:13], v[80:81], 0x3f81111111110bb3
	v_add_f64_e64 v[66:67], -v[58:59], 1.0
	v_fmac_f64_e32 v[74:75], v[76:77], v[80:81]
	v_mul_f64_e32 v[80:81], v[12:13], v[12:13]
	s_delay_alu instid0(VALU_DEP_3) | instskip(NEXT) | instid1(VALU_DEP_3)
	v_add_f64_e64 v[78:79], -v[66:67], 1.0
	v_fma_f64 v[74:75], v[12:13], v[74:75], -v[10:11]
	s_delay_alu instid0(VALU_DEP_2) | instskip(NEXT) | instid1(VALU_DEP_2)
	v_add_f64_e64 v[58:59], v[78:79], -v[58:59]
	v_fmac_f64_e32 v[74:75], 0xbfc5555555555555, v[76:77]
	v_fmaak_f64 v[78:79], v[56:57], v[88:89], 0x3ec71de3796cde01
	s_delay_alu instid0(VALU_DEP_1) | instskip(NEXT) | instid1(VALU_DEP_1)
	v_fmaak_f64 v[78:79], v[56:57], v[78:79], 0xbf2a01a019e83e5c
	v_fmaak_f64 v[78:79], v[56:57], v[78:79], 0x3f81111111110bb3
	v_fma_f64 v[10:11], v[2:3], -v[10:11], v[58:59]
	v_add_f64_e64 v[2:3], v[2:3], -v[74:75]
	s_delay_alu instid0(VALU_DEP_1) | instskip(SKIP_1) | instid1(VALU_DEP_1)
	v_xor_b32_e32 v3, 0x80000000, v3
	v_mul_f64_e32 v[82:83], 0.5, v[64:65]
	v_fmac_f64_e32 v[82:83], v[84:85], v[78:79]
	v_fmamk_f64 v[78:79], v[12:13], 0xbda907db46cc5e42, v[32:33]
	s_delay_alu instid0(VALU_DEP_1) | instskip(SKIP_1) | instid1(VALU_DEP_2)
	v_fmaak_f64 v[58:59], v[12:13], v[78:79], 0xbe927e4fa17f65f6
	v_fmamk_f64 v[78:79], v[56:57], 0xbda907db46cc5e42, v[32:33]
	v_fmaak_f64 v[58:59], v[12:13], v[58:59], 0x3efa01a019f4ec90
	s_delay_alu instid0(VALU_DEP_1) | instskip(NEXT) | instid1(VALU_DEP_1)
	v_fmaak_f64 v[58:59], v[12:13], v[58:59], 0xbf56c16c16c16967
	v_fmaak_f64 v[12:13], v[12:13], v[58:59], 0x3fa5555555555555
	s_delay_alu instid0(VALU_DEP_4) | instskip(SKIP_1) | instid1(VALU_DEP_3)
	v_fmaak_f64 v[58:59], v[56:57], v[78:79], 0xbe927e4fa17f65f6
	v_fma_f64 v[82:83], v[56:57], v[82:83], -v[64:65]
	v_fmac_f64_e32 v[10:11], v[80:81], v[12:13]
	s_delay_alu instid0(VALU_DEP_3) | instskip(NEXT) | instid1(VALU_DEP_1)
	v_fmaak_f64 v[12:13], v[56:57], v[58:59], 0x3efa01a019f4ec90
	v_fmaak_f64 v[12:13], v[56:57], v[12:13], 0xbf56c16c16c16967
	s_delay_alu instid0(VALU_DEP_1) | instskip(SKIP_2) | instid1(VALU_DEP_1)
	v_fmaak_f64 v[12:13], v[56:57], v[12:13], 0x3fa5555555555555
	v_fmac_f64_e32 v[82:83], 0xbfc5555555555555, v[84:85]
	v_add_f64_e32 v[10:11], v[66:67], v[10:11]
	v_cndmask_b32_e64 v2, v2, v10, s5
	v_lshlrev_b32_e32 v10, 30, v70
	v_add_f64_e64 v[72:73], -v[60:61], 1.0
	s_delay_alu instid0(VALU_DEP_2) | instskip(NEXT) | instid1(VALU_DEP_1)
	v_dual_cndmask_b32 v3, v3, v11, s5 :: v_dual_bitop2_b32 v5, v10, v5 bitop3:0x14
	v_bitop3_b32 v3, v3, v4, 0x80000000 bitop3:0x78
	s_delay_alu instid0(VALU_DEP_1) | instskip(NEXT) | instid1(VALU_DEP_4)
	v_cndmask_b32_e64 v11, 0x7ff80000, v3, s6
	v_add_f64_e64 v[86:87], -v[72:73], 1.0
	s_delay_alu instid0(VALU_DEP_1) | instskip(SKIP_1) | instid1(VALU_DEP_2)
	v_add_f64_e64 v[60:61], v[86:87], -v[60:61]
	v_mul_f64_e32 v[86:87], v[56:57], v[56:57]
	v_fma_f64 v[60:61], v[62:63], -v[64:65], v[60:61]
	s_delay_alu instid0(VALU_DEP_1) | instskip(SKIP_1) | instid1(VALU_DEP_2)
	v_fmac_f64_e32 v[60:61], v[86:87], v[12:13]
	v_add_f64_e64 v[12:13], v[62:63], -v[82:83]
	v_add_f64_e32 v[56:57], v[72:73], v[60:61]
	s_delay_alu instid0(VALU_DEP_1) | instskip(NEXT) | instid1(VALU_DEP_1)
	v_dual_cndmask_b32 v10, v57, v13, s7 :: v_dual_cndmask_b32 v12, v56, v12, s7
	v_bitop3_b32 v4, v10, v5, 0x80000000 bitop3:0x78
	s_delay_alu instid0(VALU_DEP_2) | instskip(NEXT) | instid1(VALU_DEP_2)
	v_dual_cndmask_b32 v10, 0, v2, s6 :: v_dual_cndmask_b32 v12, 0, v12, s6
	v_cndmask_b32_e64 v13, 0x7ff80000, v4, s6
.LBB137_190:                            ;   in Loop: Header=BB137_4 Depth=1
	s_or_b32 exec_lo, exec_lo, s8
                                        ; implicit-def: $vgpr2_vgpr3
	s_and_not1_saveexec_b32 s7, s31
	s_cbranch_execnz .LBB137_151
.LBB137_191:                            ;   in Loop: Header=BB137_4 Depth=1
	s_or_b32 exec_lo, exec_lo, s7
	s_and_saveexec_b32 s5, vcc_lo
	s_delay_alu instid0(SALU_CYCLE_1)
	s_xor_b32 s5, exec_lo, s5
	s_cbranch_execz .LBB137_152
.LBB137_192:                            ;   in Loop: Header=BB137_4 Depth=1
	global_store_b128 v[48:49], v[6:9], off
	s_wait_xcnt 0x0
	s_or_b32 exec_lo, exec_lo, s5
	s_and_saveexec_b32 s5, s2
	s_cbranch_execnz .LBB137_153
.LBB137_193:                            ;   in Loop: Header=BB137_4 Depth=1
	s_or_b32 exec_lo, exec_lo, s5
	s_and_saveexec_b32 s2, s3
	s_cbranch_execz .LBB137_154
.LBB137_194:                            ;   in Loop: Header=BB137_4 Depth=1
	global_store_b128 v[52:53], v[18:21], off offset:-8
	s_wait_xcnt 0x0
	s_or_b32 exec_lo, exec_lo, s2
	s_and_saveexec_b32 s2, s4
	s_cbranch_execz .LBB137_3
.LBB137_195:                            ;   in Loop: Header=BB137_4 Depth=1
	global_store_b128 v[54:55], v[10:13], off offset:-8
	s_branch .LBB137_3
.LBB137_196:
	s_cbranch_execz .LBB137_198
	s_branch .LBB137_377
.LBB137_197:
.LBB137_198:
	v_min_i64 v[22:23], 0x10000, s[14:15]
	v_dual_mov_b32 v24, 0 :: v_dual_lshlrev_b32 v2, 2, v0
	s_mov_b32 s2, exec_lo
	s_delay_alu instid0(VALU_DEP_1) | instskip(NEXT) | instid1(VALU_DEP_1)
	v_mov_b32_e32 v3, v24
	v_cmpx_lt_i64_e64 v[2:3], v[22:23]
	s_cbranch_execz .LBB137_377
; %bb.199:
	s_load_b32 s2, s[0:1], 0xd3c
	v_dual_mov_b32 v1, v24 :: v_dual_lshlrev_b32 v2, 6, v0
	v_mov_b32_e32 v3, v24
	s_wait_xcnt 0x0
	s_add_nc_u64 s[0:1], s[10:11], s[12:13]
	v_mov_b64_e32 v[26:27], 0x3e928af3fca7ab0c
	v_mov_b64_e32 v[28:29], 0x3e21eeb69037ab78
	v_mov_b64_e32 v[30:31], 0xbe5ae600b42fdfa7
	v_add_nc_u64_e32 v[32:33], s[0:1], v[2:3]
	s_mov_b32 s5, 0
	s_mov_b64 s[6:7], 0x3ff921fb54442d18
	s_mov_b64 s[8:9], 0x3fe45f306dc9c883
	s_mov_b64 s[10:11], 0xbff921fb54442d18
	s_mov_b32 s14, 0xfffff
	s_mov_b32 s13, s5
	;; [unrolled: 1-line block ×3, first 2 shown]
                                        ; implicit-def: $vgpr2_vgpr3
                                        ; implicit-def: $vgpr2_vgpr3
	;; [unrolled: 1-line block ×15, first 2 shown]
	s_wait_kmcnt 0x0
	s_and_b32 s4, s2, 0xffff
	s_delay_alu instid0(SALU_CYCLE_1)
	s_lshl_b32 s12, s4, 6
	s_branch .LBB137_201
.LBB137_200:                            ;   in Loop: Header=BB137_201 Depth=1
	s_or_b32 exec_lo, exec_lo, s1
	v_add_nc_u64_e32 v[0:1], s[4:5], v[0:1]
	s_clause 0x3
	global_store_b128 v[32:33], v[6:9], off
	global_store_b128 v[32:33], v[14:17], off offset:16
	global_store_b128 v[32:33], v[18:21], off offset:32
	;; [unrolled: 1-line block ×3, first 2 shown]
	s_wait_xcnt 0x0
	v_add_nc_u64_e32 v[32:33], s[12:13], v[32:33]
	v_lshlrev_b64_e32 v[2:3], 2, v[0:1]
	s_delay_alu instid0(VALU_DEP_1) | instskip(SKIP_1) | instid1(SALU_CYCLE_1)
	v_cmp_ge_i64_e32 vcc_lo, v[2:3], v[22:23]
	s_or_b32 s15, vcc_lo, s15
	s_and_not1_b32 exec_lo, exec_lo, s15
	s_cbranch_execz .LBB137_377
.LBB137_201:                            ; =>This Inner Loop Header: Depth=1
	s_clause 0x3
	global_load_b128 v[14:17], v[32:33], off
	global_load_b128 v[18:21], v[32:33], off offset:16
	global_load_b128 v[2:5], v[32:33], off offset:48
	global_load_b128 v[10:13], v[32:33], off offset:32
	s_wait_loadcnt 0x3
	v_and_b32_e32 v6, 0x7fffffff, v17
	s_delay_alu instid0(VALU_DEP_1) | instskip(NEXT) | instid1(VALU_DEP_1)
	v_or_b32_e32 v7, v6, v16
	v_cmp_ne_u32_e32 vcc_lo, 0, v7
                                        ; implicit-def: $vgpr8_vgpr9
	s_wait_xcnt 0x0
	s_and_saveexec_b32 s0, vcc_lo
	s_delay_alu instid0(SALU_CYCLE_1)
	s_xor_b32 s16, exec_lo, s0
	s_cbranch_execz .LBB137_243
; %bb.202:                              ;   in Loop: Header=BB137_201 Depth=1
	v_and_b32_e32 v25, 0x7fffffff, v15
	s_delay_alu instid0(VALU_DEP_1) | instskip(NEXT) | instid1(VALU_DEP_1)
	v_or_b32_e32 v7, v25, v14
	v_cmp_ne_u32_e32 vcc_lo, 0, v7
                                        ; implicit-def: $vgpr8_vgpr9
	s_and_saveexec_b32 s0, vcc_lo
	s_delay_alu instid0(SALU_CYCLE_1)
	s_xor_b32 s17, exec_lo, s0
	s_cbranch_execz .LBB137_232
; %bb.203:                              ;   in Loop: Header=BB137_201 Depth=1
	v_cmp_gt_u32_e32 vcc_lo, 0x7ff00000, v6
                                        ; implicit-def: $vgpr8_vgpr9
	s_and_saveexec_b32 s0, vcc_lo
	s_delay_alu instid0(SALU_CYCLE_1)
	s_xor_b32 s18, exec_lo, s0
	s_cbranch_execz .LBB137_225
; %bb.204:                              ;   in Loop: Header=BB137_201 Depth=1
	v_add_nc_u32_e32 v6, 0xbf79d1be, v15
	s_delay_alu instid0(VALU_DEP_1) | instskip(SKIP_1) | instid1(SALU_CYCLE_1)
	v_cmp_lt_u32_e32 vcc_lo, 0x108aa2, v6
                                        ; implicit-def: $vgpr8_vgpr9
	s_and_saveexec_b32 s0, vcc_lo
	s_xor_b32 s19, exec_lo, s0
	s_cbranch_execz .LBB137_214
; %bb.205:                              ;   in Loop: Header=BB137_201 Depth=1
	v_cmp_ngt_f64_e64 s0, 0x41d00000, |v[16:17]|
                                        ; implicit-def: $vgpr38
                                        ; implicit-def: $vgpr6_vgpr7
                                        ; implicit-def: $vgpr8_vgpr9
	s_and_saveexec_b32 s1, s0
	s_delay_alu instid0(SALU_CYCLE_1)
	s_xor_b32 s1, exec_lo, s1
	s_cbranch_execz .LBB137_207
; %bb.206:                              ;   in Loop: Header=BB137_201 Depth=1
	v_ldexp_f64 v[6:7], |v[16:17]|, 0xffffff80
	v_cmp_le_f64_e64 vcc_lo, 0x7b000000, |v[16:17]|
	v_trig_preop_f64 v[8:9], |v[16:17]|, 0
	v_and_b32_e32 v25, 0x7fffffff, v17
	v_trig_preop_f64 v[34:35], |v[16:17]|, 1
	v_trig_preop_f64 v[44:45], |v[16:17]|, 2
	s_delay_alu instid0(VALU_DEP_3) | instskip(NEXT) | instid1(VALU_DEP_1)
	v_dual_cndmask_b32 v7, v25, v7 :: v_dual_cndmask_b32 v6, v16, v6
	v_mul_f64_e32 v[36:37], v[8:9], v[6:7]
	s_delay_alu instid0(VALU_DEP_4) | instskip(NEXT) | instid1(VALU_DEP_4)
	v_mul_f64_e32 v[38:39], v[34:35], v[6:7]
	v_mul_f64_e32 v[50:51], v[44:45], v[6:7]
	s_delay_alu instid0(VALU_DEP_3) | instskip(NEXT) | instid1(VALU_DEP_3)
	v_fma_f64 v[8:9], v[8:9], v[6:7], -v[36:37]
	v_fma_f64 v[34:35], v[34:35], v[6:7], -v[38:39]
	s_delay_alu instid0(VALU_DEP_3) | instskip(NEXT) | instid1(VALU_DEP_3)
	v_fma_f64 v[6:7], v[44:45], v[6:7], -v[50:51]
	v_add_f64_e32 v[40:41], v[38:39], v[8:9]
	s_delay_alu instid0(VALU_DEP_1) | instskip(SKIP_1) | instid1(VALU_DEP_2)
	v_add_f64_e64 v[42:43], v[40:41], -v[38:39]
	v_add_f64_e32 v[48:49], v[36:37], v[40:41]
	v_add_f64_e64 v[46:47], v[40:41], -v[42:43]
	v_add_f64_e64 v[8:9], v[8:9], -v[42:43]
	s_delay_alu instid0(VALU_DEP_3) | instskip(NEXT) | instid1(VALU_DEP_3)
	v_ldexp_f64 v[42:43], v[48:49], -2
	v_add_f64_e64 v[38:39], v[38:39], -v[46:47]
	v_add_f64_e32 v[46:47], v[50:51], v[34:35]
	s_delay_alu instid0(VALU_DEP_3) | instskip(NEXT) | instid1(VALU_DEP_3)
	v_cmp_neq_f64_e64 vcc_lo, 0x7ff00000, |v[42:43]|
	v_add_f64_e32 v[8:9], v[8:9], v[38:39]
	v_fract_f64_e32 v[38:39], v[42:43]
	s_delay_alu instid0(VALU_DEP_1) | instskip(NEXT) | instid1(VALU_DEP_1)
	v_ldexp_f64 v[38:39], v[38:39], 2
	v_dual_add_f64 v[36:37], v[48:49], -v[36:37] :: v_dual_cndmask_b32 v38, 0, v38, vcc_lo
	s_delay_alu instid0(VALU_DEP_1) | instskip(SKIP_1) | instid1(VALU_DEP_1)
	v_dual_add_f64 v[36:37], v[40:41], -v[36:37] :: v_dual_cndmask_b32 v39, 0, v39, vcc_lo
	v_add_f64_e32 v[40:41], v[46:47], v[8:9]
	v_add_f64_e32 v[42:43], v[36:37], v[40:41]
	v_add_f64_e64 v[52:53], v[40:41], -v[46:47]
	s_delay_alu instid0(VALU_DEP_2) | instskip(NEXT) | instid1(VALU_DEP_2)
	v_add_f64_e32 v[48:49], v[42:43], v[38:39]
	v_add_f64_e64 v[58:59], v[40:41], -v[52:53]
	v_add_f64_e64 v[8:9], v[8:9], -v[52:53]
	;; [unrolled: 1-line block ×3, first 2 shown]
	s_delay_alu instid0(VALU_DEP_4) | instskip(SKIP_1) | instid1(VALU_DEP_3)
	v_cmp_gt_f64_e32 vcc_lo, 0, v[48:49]
	v_add_f64_e64 v[48:49], v[46:47], -v[50:51]
	v_add_f64_e64 v[36:37], v[40:41], -v[36:37]
	v_cndmask_b32_e64 v25, 0, 0x40100000, vcc_lo
	s_delay_alu instid0(VALU_DEP_3) | instskip(SKIP_2) | instid1(VALU_DEP_4)
	v_add_f64_e64 v[56:57], v[46:47], -v[48:49]
	v_add_f64_e64 v[34:35], v[34:35], -v[48:49]
	;; [unrolled: 1-line block ×3, first 2 shown]
	v_add_f64_e32 v[38:39], v[38:39], v[24:25]
	s_delay_alu instid0(VALU_DEP_4) | instskip(NEXT) | instid1(VALU_DEP_3)
	v_add_f64_e64 v[48:49], v[50:51], -v[56:57]
	v_add_f64_e32 v[8:9], v[8:9], v[46:47]
	s_delay_alu instid0(VALU_DEP_3) | instskip(NEXT) | instid1(VALU_DEP_3)
	v_add_f64_e32 v[54:55], v[42:43], v[38:39]
	v_add_f64_e32 v[34:35], v[34:35], v[48:49]
	s_delay_alu instid0(VALU_DEP_2) | instskip(NEXT) | instid1(VALU_DEP_2)
	v_cvt_i32_f64_e32 v25, v[54:55]
	v_add_f64_e32 v[8:9], v[34:35], v[8:9]
	s_delay_alu instid0(VALU_DEP_2) | instskip(NEXT) | instid1(VALU_DEP_2)
	v_cvt_f64_i32_e32 v[52:53], v25
	v_add_f64_e32 v[6:7], v[6:7], v[8:9]
	s_delay_alu instid0(VALU_DEP_2) | instskip(NEXT) | instid1(VALU_DEP_2)
	v_add_f64_e64 v[38:39], v[38:39], -v[52:53]
	v_add_f64_e32 v[6:7], v[36:37], v[6:7]
	s_delay_alu instid0(VALU_DEP_2) | instskip(NEXT) | instid1(VALU_DEP_1)
	v_add_f64_e32 v[34:35], v[42:43], v[38:39]
	v_add_f64_e64 v[8:9], v[34:35], -v[38:39]
	v_cmp_le_f64_e32 vcc_lo, 0.5, v[34:35]
	s_delay_alu instid0(VALU_DEP_2) | instskip(SKIP_2) | instid1(VALU_DEP_3)
	v_add_f64_e64 v[8:9], v[42:43], -v[8:9]
	v_add_co_ci_u32_e64 v38, null, 0, v25, vcc_lo
	v_cndmask_b32_e64 v25, 0, 0x3ff00000, vcc_lo
	v_add_f64_e32 v[6:7], v[6:7], v[8:9]
	s_delay_alu instid0(VALU_DEP_2) | instskip(NEXT) | instid1(VALU_DEP_1)
	v_add_f64_e64 v[8:9], v[34:35], -v[24:25]
	v_add_f64_e32 v[34:35], v[8:9], v[6:7]
	s_delay_alu instid0(VALU_DEP_1) | instskip(SKIP_1) | instid1(VALU_DEP_2)
	v_mul_f64_e32 v[36:37], 0x3ff921fb54442d18, v[34:35]
	v_add_f64_e64 v[8:9], v[34:35], -v[8:9]
	v_fma_f64 v[40:41], v[34:35], s[6:7], -v[36:37]
	s_delay_alu instid0(VALU_DEP_2) | instskip(NEXT) | instid1(VALU_DEP_2)
	v_add_f64_e64 v[6:7], v[6:7], -v[8:9]
	v_fmac_f64_e32 v[40:41], 0x3c91a62633145c07, v[34:35]
	s_delay_alu instid0(VALU_DEP_1) | instskip(NEXT) | instid1(VALU_DEP_1)
	v_fmac_f64_e32 v[40:41], 0x3ff921fb54442d18, v[6:7]
	v_add_f64_e32 v[6:7], v[36:37], v[40:41]
	s_delay_alu instid0(VALU_DEP_1) | instskip(NEXT) | instid1(VALU_DEP_1)
	v_add_f64_e64 v[8:9], v[6:7], -v[36:37]
	v_add_f64_e64 v[8:9], v[40:41], -v[8:9]
	s_and_not1_saveexec_b32 s1, s1
	s_cbranch_execz .LBB137_209
	s_branch .LBB137_208
.LBB137_207:                            ;   in Loop: Header=BB137_201 Depth=1
	s_and_not1_saveexec_b32 s1, s1
	s_cbranch_execz .LBB137_209
.LBB137_208:                            ;   in Loop: Header=BB137_201 Depth=1
	v_mul_f64_e64 v[6:7], |v[16:17]|, s[8:9]
	s_delay_alu instid0(VALU_DEP_1) | instskip(NEXT) | instid1(VALU_DEP_1)
	v_rndne_f64_e32 v[34:35], v[6:7]
	v_fma_f64 v[6:7], v[34:35], s[10:11], |v[16:17]|
	v_mul_f64_e32 v[8:9], 0xbc91a62633145c00, v[34:35]
	s_delay_alu instid0(VALU_DEP_2) | instskip(NEXT) | instid1(VALU_DEP_2)
	v_fmamk_f64 v[40:41], v[34:35], 0xbc91a62633145c00, v[6:7]
	v_add_f64_e32 v[36:37], v[6:7], v[8:9]
	s_delay_alu instid0(VALU_DEP_1) | instskip(NEXT) | instid1(VALU_DEP_3)
	v_add_f64_e64 v[38:39], v[6:7], -v[36:37]
	v_add_f64_e64 v[6:7], v[36:37], -v[40:41]
	s_delay_alu instid0(VALU_DEP_2) | instskip(SKIP_2) | instid1(VALU_DEP_3)
	v_add_f64_e32 v[36:37], v[38:39], v[8:9]
	v_fmamk_f64 v[8:9], v[34:35], 0x3c91a62633145c00, v[8:9]
	v_cvt_i32_f64_e32 v38, v[34:35]
	v_add_f64_e32 v[6:7], v[6:7], v[36:37]
	s_delay_alu instid0(VALU_DEP_1) | instskip(NEXT) | instid1(VALU_DEP_1)
	v_add_f64_e64 v[8:9], v[6:7], -v[8:9]
	v_fmac_f64_e32 v[8:9], 0xb97b839a252049c0, v[34:35]
	s_delay_alu instid0(VALU_DEP_1) | instskip(NEXT) | instid1(VALU_DEP_1)
	v_add_f64_e32 v[6:7], v[40:41], v[8:9]
	v_add_f64_e64 v[36:37], v[6:7], -v[40:41]
	s_delay_alu instid0(VALU_DEP_1)
	v_add_f64_e64 v[8:9], v[8:9], -v[36:37]
.LBB137_209:                            ;   in Loop: Header=BB137_201 Depth=1
	s_or_b32 exec_lo, exec_lo, s1
                                        ; implicit-def: $vgpr39
                                        ; implicit-def: $vgpr34_vgpr35
                                        ; implicit-def: $vgpr36_vgpr37
	s_and_saveexec_b32 s1, s0
	s_delay_alu instid0(SALU_CYCLE_1)
	s_xor_b32 s0, exec_lo, s1
	s_cbranch_execz .LBB137_211
; %bb.210:                              ;   in Loop: Header=BB137_201 Depth=1
	v_ldexp_f64 v[34:35], |v[16:17]|, 0xffffff80
	v_cmp_le_f64_e64 vcc_lo, 0x7b000000, |v[16:17]|
	v_trig_preop_f64 v[36:37], |v[16:17]|, 0
	v_and_b32_e32 v25, 0x7fffffff, v17
	v_trig_preop_f64 v[40:41], |v[16:17]|, 1
	v_trig_preop_f64 v[50:51], |v[16:17]|, 2
	s_delay_alu instid0(VALU_DEP_3) | instskip(NEXT) | instid1(VALU_DEP_1)
	v_dual_cndmask_b32 v35, v25, v35 :: v_dual_cndmask_b32 v34, v16, v34
	v_mul_f64_e32 v[42:43], v[36:37], v[34:35]
	s_delay_alu instid0(VALU_DEP_4) | instskip(NEXT) | instid1(VALU_DEP_4)
	v_mul_f64_e32 v[44:45], v[40:41], v[34:35]
	v_mul_f64_e32 v[56:57], v[50:51], v[34:35]
	s_delay_alu instid0(VALU_DEP_3) | instskip(NEXT) | instid1(VALU_DEP_3)
	v_fma_f64 v[36:37], v[36:37], v[34:35], -v[42:43]
	v_fma_f64 v[40:41], v[40:41], v[34:35], -v[44:45]
	s_delay_alu instid0(VALU_DEP_3) | instskip(NEXT) | instid1(VALU_DEP_3)
	v_fma_f64 v[34:35], v[50:51], v[34:35], -v[56:57]
	v_add_f64_e32 v[46:47], v[44:45], v[36:37]
	s_delay_alu instid0(VALU_DEP_1) | instskip(SKIP_1) | instid1(VALU_DEP_2)
	v_add_f64_e64 v[48:49], v[46:47], -v[44:45]
	v_add_f64_e32 v[54:55], v[42:43], v[46:47]
	v_add_f64_e64 v[52:53], v[46:47], -v[48:49]
	v_add_f64_e64 v[36:37], v[36:37], -v[48:49]
	s_delay_alu instid0(VALU_DEP_3) | instskip(NEXT) | instid1(VALU_DEP_3)
	v_ldexp_f64 v[48:49], v[54:55], -2
	v_add_f64_e64 v[44:45], v[44:45], -v[52:53]
	v_add_f64_e32 v[52:53], v[56:57], v[40:41]
	s_delay_alu instid0(VALU_DEP_3) | instskip(NEXT) | instid1(VALU_DEP_3)
	v_cmp_neq_f64_e64 vcc_lo, 0x7ff00000, |v[48:49]|
	v_add_f64_e32 v[36:37], v[36:37], v[44:45]
	v_fract_f64_e32 v[44:45], v[48:49]
	s_delay_alu instid0(VALU_DEP_1) | instskip(NEXT) | instid1(VALU_DEP_1)
	v_ldexp_f64 v[44:45], v[44:45], 2
	v_dual_add_f64 v[42:43], v[54:55], -v[42:43] :: v_dual_cndmask_b32 v45, 0, v45, vcc_lo
	s_delay_alu instid0(VALU_DEP_1) | instskip(SKIP_1) | instid1(VALU_DEP_1)
	v_dual_add_f64 v[42:43], v[46:47], -v[42:43] :: v_dual_cndmask_b32 v44, 0, v44, vcc_lo
	v_add_f64_e32 v[46:47], v[52:53], v[36:37]
	v_add_f64_e32 v[48:49], v[42:43], v[46:47]
	v_add_f64_e64 v[58:59], v[46:47], -v[52:53]
	s_delay_alu instid0(VALU_DEP_2) | instskip(NEXT) | instid1(VALU_DEP_2)
	v_add_f64_e32 v[54:55], v[48:49], v[44:45]
	v_add_f64_e64 v[64:65], v[46:47], -v[58:59]
	v_add_f64_e64 v[36:37], v[36:37], -v[58:59]
	;; [unrolled: 1-line block ×3, first 2 shown]
	s_delay_alu instid0(VALU_DEP_4) | instskip(SKIP_1) | instid1(VALU_DEP_3)
	v_cmp_gt_f64_e32 vcc_lo, 0, v[54:55]
	v_add_f64_e64 v[54:55], v[52:53], -v[56:57]
	v_add_f64_e64 v[42:43], v[46:47], -v[42:43]
	v_cndmask_b32_e64 v25, 0, 0x40100000, vcc_lo
	s_delay_alu instid0(VALU_DEP_3) | instskip(SKIP_2) | instid1(VALU_DEP_4)
	v_add_f64_e64 v[62:63], v[52:53], -v[54:55]
	v_add_f64_e64 v[40:41], v[40:41], -v[54:55]
	v_add_f64_e64 v[52:53], v[52:53], -v[64:65]
	v_add_f64_e32 v[44:45], v[44:45], v[24:25]
	s_delay_alu instid0(VALU_DEP_4) | instskip(NEXT) | instid1(VALU_DEP_3)
	v_add_f64_e64 v[54:55], v[56:57], -v[62:63]
	v_add_f64_e32 v[36:37], v[36:37], v[52:53]
	s_delay_alu instid0(VALU_DEP_3) | instskip(NEXT) | instid1(VALU_DEP_3)
	v_add_f64_e32 v[60:61], v[48:49], v[44:45]
	v_add_f64_e32 v[40:41], v[40:41], v[54:55]
	s_delay_alu instid0(VALU_DEP_2) | instskip(NEXT) | instid1(VALU_DEP_2)
	v_cvt_i32_f64_e32 v25, v[60:61]
	v_add_f64_e32 v[36:37], v[40:41], v[36:37]
	s_delay_alu instid0(VALU_DEP_2) | instskip(NEXT) | instid1(VALU_DEP_2)
	v_cvt_f64_i32_e32 v[58:59], v25
	v_add_f64_e32 v[34:35], v[34:35], v[36:37]
	s_delay_alu instid0(VALU_DEP_2) | instskip(NEXT) | instid1(VALU_DEP_2)
	v_add_f64_e64 v[44:45], v[44:45], -v[58:59]
	v_add_f64_e32 v[34:35], v[42:43], v[34:35]
	s_delay_alu instid0(VALU_DEP_2) | instskip(NEXT) | instid1(VALU_DEP_1)
	v_add_f64_e32 v[40:41], v[48:49], v[44:45]
	v_add_f64_e64 v[36:37], v[40:41], -v[44:45]
	v_cmp_le_f64_e32 vcc_lo, 0.5, v[40:41]
	s_delay_alu instid0(VALU_DEP_2) | instskip(SKIP_2) | instid1(VALU_DEP_3)
	v_add_f64_e64 v[36:37], v[48:49], -v[36:37]
	v_add_co_ci_u32_e64 v39, null, 0, v25, vcc_lo
	v_cndmask_b32_e64 v25, 0, 0x3ff00000, vcc_lo
	v_add_f64_e32 v[34:35], v[34:35], v[36:37]
	s_delay_alu instid0(VALU_DEP_2) | instskip(NEXT) | instid1(VALU_DEP_1)
	v_add_f64_e64 v[36:37], v[40:41], -v[24:25]
	v_add_f64_e32 v[40:41], v[36:37], v[34:35]
	s_delay_alu instid0(VALU_DEP_1) | instskip(SKIP_1) | instid1(VALU_DEP_2)
	v_mul_f64_e32 v[42:43], 0x3ff921fb54442d18, v[40:41]
	v_add_f64_e64 v[36:37], v[40:41], -v[36:37]
	v_fma_f64 v[44:45], v[40:41], s[6:7], -v[42:43]
	s_delay_alu instid0(VALU_DEP_2) | instskip(NEXT) | instid1(VALU_DEP_2)
	v_add_f64_e64 v[34:35], v[34:35], -v[36:37]
	v_fmac_f64_e32 v[44:45], 0x3c91a62633145c07, v[40:41]
	s_delay_alu instid0(VALU_DEP_1) | instskip(NEXT) | instid1(VALU_DEP_1)
	v_fmac_f64_e32 v[44:45], 0x3ff921fb54442d18, v[34:35]
	v_add_f64_e32 v[34:35], v[42:43], v[44:45]
	s_delay_alu instid0(VALU_DEP_1) | instskip(NEXT) | instid1(VALU_DEP_1)
	v_add_f64_e64 v[36:37], v[34:35], -v[42:43]
	v_add_f64_e64 v[36:37], v[44:45], -v[36:37]
	s_and_not1_saveexec_b32 s0, s0
	s_cbranch_execnz .LBB137_212
	s_branch .LBB137_213
.LBB137_211:                            ;   in Loop: Header=BB137_201 Depth=1
	s_and_not1_saveexec_b32 s0, s0
	s_cbranch_execz .LBB137_213
.LBB137_212:                            ;   in Loop: Header=BB137_201 Depth=1
	v_mul_f64_e64 v[34:35], |v[16:17]|, s[8:9]
	s_delay_alu instid0(VALU_DEP_1) | instskip(NEXT) | instid1(VALU_DEP_1)
	v_rndne_f64_e32 v[40:41], v[34:35]
	v_fma_f64 v[34:35], v[40:41], s[10:11], |v[16:17]|
	v_mul_f64_e32 v[36:37], 0xbc91a62633145c00, v[40:41]
	v_cvt_i32_f64_e32 v39, v[40:41]
	s_delay_alu instid0(VALU_DEP_3) | instskip(NEXT) | instid1(VALU_DEP_3)
	v_fmamk_f64 v[46:47], v[40:41], 0xbc91a62633145c00, v[34:35]
	v_add_f64_e32 v[42:43], v[34:35], v[36:37]
	s_delay_alu instid0(VALU_DEP_1) | instskip(NEXT) | instid1(VALU_DEP_3)
	v_add_f64_e64 v[44:45], v[34:35], -v[42:43]
	v_add_f64_e64 v[34:35], v[42:43], -v[46:47]
	s_delay_alu instid0(VALU_DEP_2) | instskip(SKIP_1) | instid1(VALU_DEP_2)
	v_add_f64_e32 v[42:43], v[44:45], v[36:37]
	v_fmamk_f64 v[36:37], v[40:41], 0x3c91a62633145c00, v[36:37]
	v_add_f64_e32 v[34:35], v[34:35], v[42:43]
	s_delay_alu instid0(VALU_DEP_1) | instskip(NEXT) | instid1(VALU_DEP_1)
	v_add_f64_e64 v[36:37], v[34:35], -v[36:37]
	v_fmac_f64_e32 v[36:37], 0xb97b839a252049c0, v[40:41]
	s_delay_alu instid0(VALU_DEP_1) | instskip(NEXT) | instid1(VALU_DEP_1)
	v_add_f64_e32 v[34:35], v[46:47], v[36:37]
	v_add_f64_e64 v[42:43], v[34:35], -v[46:47]
	s_delay_alu instid0(VALU_DEP_1)
	v_add_f64_e64 v[36:37], v[36:37], -v[42:43]
.LBB137_213:                            ;   in Loop: Header=BB137_201 Depth=1
	s_or_b32 exec_lo, exec_lo, s0
	v_mul_f64_e32 v[40:41], 0x3ff71547652b82fe, v[14:15]
	v_cmp_ngt_f64_e64 s2, 0xc090cc00, v[14:15]
	v_mul_f64_e32 v[42:43], v[6:7], v[6:7]
	s_delay_alu instid0(VALU_DEP_4)
	v_mul_f64_e32 v[56:57], 0.5, v[8:9]
	v_mul_f64_e32 v[66:67], 0.5, v[36:37]
	v_cmp_nlt_f64_e64 s1, 0x40900000, v[14:15]
	v_cmp_class_f64_e64 s0, v[16:17], 0x1f8
	v_rndne_f64_e32 v[40:41], v[40:41]
	v_mul_f64_e32 v[46:47], 0.5, v[42:43]
	v_mul_f64_e64 v[58:59], v[6:7], -v[42:43]
	v_fmamk_f64 v[62:63], v[42:43], 0x3de5e0b2f9a43bb8, v[30:31]
	s_delay_alu instid0(VALU_DEP_1) | instskip(NEXT) | instid1(VALU_DEP_1)
	v_fmaak_f64 v[62:63], v[42:43], v[62:63], 0x3ec71de3796cde01
	v_fmaak_f64 v[62:63], v[42:43], v[62:63], 0xbf2a01a019e83e5c
	s_delay_alu instid0(VALU_DEP_1)
	v_fmaak_f64 v[62:63], v[42:43], v[62:63], 0x3f81111111110bb3
	v_fmamk_f64 v[50:51], v[40:41], 0xbfe62e42fefa39ef, v[14:15]
	v_cvt_i32_f64_e32 v25, v[40:41]
	v_add_f64_e64 v[52:53], -v[46:47], 1.0
	v_and_b32_e32 v14, 1, v39
	v_fmac_f64_e32 v[56:57], v[58:59], v[62:63]
	v_lshlrev_b32_e32 v15, 30, v39
	v_fmac_f64_e32 v[50:51], 0xbc7abc9e3b39803f, v[40:41]
	s_delay_alu instid0(VALU_DEP_4) | instskip(SKIP_4) | instid1(VALU_DEP_1)
	v_cmp_eq_u32_e64 s3, 0, v14
	v_lshlrev_b32_e32 v14, 30, v38
	v_add_f64_e64 v[60:61], -v[52:53], 1.0
	v_fma_f64 v[56:57], v[42:43], v[56:57], -v[8:9]
	v_fmamk_f64 v[64:65], v[50:51], 0x3e5ade156a5dcb37, v[26:27]
	v_fmaak_f64 v[64:65], v[50:51], v[64:65], 0x3ec71dee623fde64
	s_delay_alu instid0(VALU_DEP_1) | instskip(NEXT) | instid1(VALU_DEP_1)
	v_fmaak_f64 v[64:65], v[50:51], v[64:65], 0x3efa01997c89e6b0
	v_fmaak_f64 v[64:65], v[50:51], v[64:65], 0x3f2a01a014761f6e
	v_add_f64_e64 v[46:47], v[60:61], -v[46:47]
	s_delay_alu instid0(VALU_DEP_2) | instskip(SKIP_1) | instid1(VALU_DEP_2)
	v_fmaak_f64 v[60:61], v[50:51], v[64:65], 0x3f56c16c1852b7b0
	v_mul_f64_e32 v[64:65], v[42:43], v[42:43]
	v_fmaak_f64 v[60:61], v[50:51], v[60:61], 0x3f81111111122322
	s_delay_alu instid0(VALU_DEP_1) | instskip(NEXT) | instid1(VALU_DEP_1)
	v_fmaak_f64 v[60:61], v[50:51], v[60:61], 0x3fa55555555502a1
	v_fmaak_f64 v[60:61], v[50:51], v[60:61], 0x3fc5555555555511
	s_delay_alu instid0(VALU_DEP_1) | instskip(SKIP_1) | instid1(VALU_DEP_2)
	v_fmaak_f64 v[60:61], v[50:51], v[60:61], 0x3fe000000000000b
	v_fma_f64 v[8:9], v[6:7], -v[8:9], v[46:47]
	v_fma_f64 v[60:61], v[50:51], v[60:61], 1.0
	s_delay_alu instid0(VALU_DEP_1) | instskip(NEXT) | instid1(VALU_DEP_1)
	v_fma_f64 v[40:41], v[50:51], v[60:61], 1.0
	v_ldexp_f64 v[40:41], v[40:41], v25
	v_mul_f64_e32 v[44:45], v[34:35], v[34:35]
	v_and_b32_e32 v25, 1, v38
	s_delay_alu instid0(VALU_DEP_1) | instskip(NEXT) | instid1(VALU_DEP_3)
	v_cmp_eq_u32_e32 vcc_lo, 0, v25
	v_mul_f64_e32 v[48:49], 0.5, v[44:45]
	v_mul_f64_e64 v[68:69], v[34:35], -v[44:45]
	v_fmamk_f64 v[72:73], v[44:45], 0x3de5e0b2f9a43bb8, v[30:31]
	s_delay_alu instid0(VALU_DEP_1) | instskip(NEXT) | instid1(VALU_DEP_1)
	v_fmaak_f64 v[62:63], v[44:45], v[72:73], 0x3ec71de3796cde01
	v_fmaak_f64 v[62:63], v[44:45], v[62:63], 0xbf2a01a019e83e5c
	s_delay_alu instid0(VALU_DEP_1) | instskip(SKIP_1) | instid1(VALU_DEP_2)
	v_fmaak_f64 v[62:63], v[44:45], v[62:63], 0x3f81111111110bb3
	v_add_f64_e64 v[54:55], -v[48:49], 1.0
	v_fmac_f64_e32 v[66:67], v[68:69], v[62:63]
	v_fmamk_f64 v[62:63], v[42:43], 0xbda907db46cc5e42, v[28:29]
	s_delay_alu instid0(VALU_DEP_1) | instskip(SKIP_1) | instid1(VALU_DEP_2)
	v_fmaak_f64 v[46:47], v[42:43], v[62:63], 0xbe927e4fa17f65f6
	v_mul_f64_e32 v[62:63], v[44:45], v[44:45]
	v_fmaak_f64 v[46:47], v[42:43], v[46:47], 0x3efa01a019f4ec90
	s_delay_alu instid0(VALU_DEP_1) | instskip(NEXT) | instid1(VALU_DEP_1)
	v_fmaak_f64 v[46:47], v[42:43], v[46:47], 0xbf56c16c16c16967
	v_fmaak_f64 v[42:43], v[42:43], v[46:47], 0x3fa5555555555555
	v_add_f64_e64 v[70:71], -v[54:55], 1.0
	v_fma_f64 v[46:47], v[44:45], v[66:67], -v[36:37]
	s_delay_alu instid0(VALU_DEP_3) | instskip(NEXT) | instid1(VALU_DEP_3)
	v_fmac_f64_e32 v[8:9], v[64:65], v[42:43]
	v_add_f64_e64 v[48:49], v[70:71], -v[48:49]
	v_fmamk_f64 v[70:71], v[44:45], 0xbda907db46cc5e42, v[28:29]
	s_delay_alu instid0(VALU_DEP_4) | instskip(NEXT) | instid1(VALU_DEP_4)
	v_fmac_f64_e32 v[46:47], 0xbfc5555555555555, v[68:69]
	v_add_f64_e32 v[8:9], v[52:53], v[8:9]
	s_delay_alu instid0(VALU_DEP_4) | instskip(NEXT) | instid1(VALU_DEP_4)
	v_fma_f64 v[36:37], v[34:35], -v[36:37], v[48:49]
	v_fmaak_f64 v[48:49], v[44:45], v[70:71], 0xbe927e4fa17f65f6
	s_delay_alu instid0(VALU_DEP_4) | instskip(NEXT) | instid1(VALU_DEP_2)
	v_add_f64_e64 v[34:35], v[34:35], -v[46:47]
	v_fmaak_f64 v[42:43], v[44:45], v[48:49], 0x3efa01a019f4ec90
	s_delay_alu instid0(VALU_DEP_1) | instskip(NEXT) | instid1(VALU_DEP_1)
	v_fmaak_f64 v[42:43], v[44:45], v[42:43], 0xbf56c16c16c16967
	v_fmaak_f64 v[42:43], v[44:45], v[42:43], 0x3fa5555555555555
	s_delay_alu instid0(VALU_DEP_1) | instskip(NEXT) | instid1(VALU_DEP_1)
	v_fmac_f64_e32 v[36:37], v[62:63], v[42:43]
	v_add_f64_e32 v[36:37], v[54:55], v[36:37]
	s_delay_alu instid0(VALU_DEP_1) | instskip(SKIP_1) | instid1(VALU_DEP_1)
	v_cndmask_b32_e64 v16, v37, v35, s3
	v_fmac_f64_e32 v[56:57], 0xbfc5555555555555, v[58:59]
	v_add_f64_e64 v[6:7], v[6:7], -v[56:57]
	s_delay_alu instid0(VALU_DEP_1) | instskip(NEXT) | instid1(VALU_DEP_2)
	v_xor_b32_e32 v7, 0x80000000, v7
	v_cndmask_b32_e32 v6, v6, v8, vcc_lo
	v_cndmask_b32_e64 v8, 0x7ff00000, v41, s1
	s_delay_alu instid0(VALU_DEP_3) | instskip(SKIP_3) | instid1(VALU_DEP_3)
	v_cndmask_b32_e32 v7, v7, v9, vcc_lo
	v_dual_cndmask_b32 v15, v36, v34, s3 :: v_dual_bitop2_b32 v9, v15, v17 bitop3:0x14
	s_and_b32 vcc_lo, s2, s1
	v_cndmask_b32_e64 v6, 0, v6, s0
	v_bitop3_b32 v7, v7, v14, 0x80000000 bitop3:0x78
	s_delay_alu instid0(VALU_DEP_3) | instskip(SKIP_2) | instid1(VALU_DEP_4)
	v_bitop3_b32 v16, v16, v9, 0x80000000 bitop3:0x78
	v_dual_cndmask_b32 v9, 0, v8, s2 :: v_dual_cndmask_b32 v14, 0, v15, s0
	v_cndmask_b32_e32 v8, 0, v40, vcc_lo
	v_cndmask_b32_e64 v7, 0x7ff80000, v7, s0
	s_delay_alu instid0(VALU_DEP_4) | instskip(NEXT) | instid1(VALU_DEP_2)
	v_cndmask_b32_e64 v15, 0x7ff80000, v16, s0
	v_mul_f64_e32 v[6:7], v[8:9], v[6:7]
	s_delay_alu instid0(VALU_DEP_2)
	v_mul_f64_e32 v[8:9], v[8:9], v[14:15]
                                        ; implicit-def: $vgpr16_vgpr17
.LBB137_214:                            ;   in Loop: Header=BB137_201 Depth=1
	s_and_not1_saveexec_b32 s19, s19
	s_cbranch_execz .LBB137_217
; %bb.215:                              ;   in Loop: Header=BB137_201 Depth=1
	v_cmp_ngt_f64_e64 s0, 0x41d00000, |v[16:17]|
                                        ; implicit-def: $vgpr38
                                        ; implicit-def: $vgpr6_vgpr7
                                        ; implicit-def: $vgpr8_vgpr9
	s_and_saveexec_b32 s1, s0
	s_delay_alu instid0(SALU_CYCLE_1)
	s_xor_b32 s1, exec_lo, s1
	s_cbranch_execz .LBB137_218
; %bb.216:                              ;   in Loop: Header=BB137_201 Depth=1
	v_ldexp_f64 v[6:7], |v[16:17]|, 0xffffff80
	v_cmp_le_f64_e64 vcc_lo, 0x7b000000, |v[16:17]|
	v_trig_preop_f64 v[8:9], |v[16:17]|, 0
	v_and_b32_e32 v25, 0x7fffffff, v17
	v_trig_preop_f64 v[34:35], |v[16:17]|, 1
	v_trig_preop_f64 v[44:45], |v[16:17]|, 2
	s_delay_alu instid0(VALU_DEP_3) | instskip(NEXT) | instid1(VALU_DEP_1)
	v_dual_cndmask_b32 v7, v25, v7 :: v_dual_cndmask_b32 v6, v16, v6
	v_mul_f64_e32 v[36:37], v[8:9], v[6:7]
	s_delay_alu instid0(VALU_DEP_4) | instskip(NEXT) | instid1(VALU_DEP_4)
	v_mul_f64_e32 v[38:39], v[34:35], v[6:7]
	v_mul_f64_e32 v[50:51], v[44:45], v[6:7]
	s_delay_alu instid0(VALU_DEP_3) | instskip(NEXT) | instid1(VALU_DEP_3)
	v_fma_f64 v[8:9], v[8:9], v[6:7], -v[36:37]
	v_fma_f64 v[34:35], v[34:35], v[6:7], -v[38:39]
	s_delay_alu instid0(VALU_DEP_3) | instskip(NEXT) | instid1(VALU_DEP_3)
	v_fma_f64 v[6:7], v[44:45], v[6:7], -v[50:51]
	v_add_f64_e32 v[40:41], v[38:39], v[8:9]
	s_delay_alu instid0(VALU_DEP_1) | instskip(SKIP_1) | instid1(VALU_DEP_2)
	v_add_f64_e64 v[42:43], v[40:41], -v[38:39]
	v_add_f64_e32 v[48:49], v[36:37], v[40:41]
	v_add_f64_e64 v[46:47], v[40:41], -v[42:43]
	v_add_f64_e64 v[8:9], v[8:9], -v[42:43]
	s_delay_alu instid0(VALU_DEP_3) | instskip(NEXT) | instid1(VALU_DEP_3)
	v_ldexp_f64 v[42:43], v[48:49], -2
	v_add_f64_e64 v[38:39], v[38:39], -v[46:47]
	v_add_f64_e32 v[46:47], v[50:51], v[34:35]
	s_delay_alu instid0(VALU_DEP_3) | instskip(NEXT) | instid1(VALU_DEP_3)
	v_cmp_neq_f64_e64 vcc_lo, 0x7ff00000, |v[42:43]|
	v_add_f64_e32 v[8:9], v[8:9], v[38:39]
	v_fract_f64_e32 v[38:39], v[42:43]
	s_delay_alu instid0(VALU_DEP_1) | instskip(NEXT) | instid1(VALU_DEP_1)
	v_ldexp_f64 v[38:39], v[38:39], 2
	v_dual_add_f64 v[36:37], v[48:49], -v[36:37] :: v_dual_cndmask_b32 v38, 0, v38, vcc_lo
	s_delay_alu instid0(VALU_DEP_1) | instskip(SKIP_1) | instid1(VALU_DEP_1)
	v_dual_add_f64 v[36:37], v[40:41], -v[36:37] :: v_dual_cndmask_b32 v39, 0, v39, vcc_lo
	v_add_f64_e32 v[40:41], v[46:47], v[8:9]
	v_add_f64_e32 v[42:43], v[36:37], v[40:41]
	v_add_f64_e64 v[52:53], v[40:41], -v[46:47]
	s_delay_alu instid0(VALU_DEP_2) | instskip(NEXT) | instid1(VALU_DEP_2)
	v_add_f64_e32 v[48:49], v[42:43], v[38:39]
	v_add_f64_e64 v[58:59], v[40:41], -v[52:53]
	v_add_f64_e64 v[8:9], v[8:9], -v[52:53]
	v_add_f64_e64 v[36:37], v[42:43], -v[36:37]
	s_delay_alu instid0(VALU_DEP_4) | instskip(SKIP_1) | instid1(VALU_DEP_3)
	v_cmp_gt_f64_e32 vcc_lo, 0, v[48:49]
	v_add_f64_e64 v[48:49], v[46:47], -v[50:51]
	v_add_f64_e64 v[36:37], v[40:41], -v[36:37]
	v_cndmask_b32_e64 v25, 0, 0x40100000, vcc_lo
	s_delay_alu instid0(VALU_DEP_3) | instskip(SKIP_2) | instid1(VALU_DEP_4)
	v_add_f64_e64 v[56:57], v[46:47], -v[48:49]
	v_add_f64_e64 v[34:35], v[34:35], -v[48:49]
	;; [unrolled: 1-line block ×3, first 2 shown]
	v_add_f64_e32 v[38:39], v[38:39], v[24:25]
	s_delay_alu instid0(VALU_DEP_4) | instskip(NEXT) | instid1(VALU_DEP_3)
	v_add_f64_e64 v[48:49], v[50:51], -v[56:57]
	v_add_f64_e32 v[8:9], v[8:9], v[46:47]
	s_delay_alu instid0(VALU_DEP_3) | instskip(NEXT) | instid1(VALU_DEP_3)
	v_add_f64_e32 v[54:55], v[42:43], v[38:39]
	v_add_f64_e32 v[34:35], v[34:35], v[48:49]
	s_delay_alu instid0(VALU_DEP_2) | instskip(NEXT) | instid1(VALU_DEP_2)
	v_cvt_i32_f64_e32 v25, v[54:55]
	v_add_f64_e32 v[8:9], v[34:35], v[8:9]
	s_delay_alu instid0(VALU_DEP_2) | instskip(NEXT) | instid1(VALU_DEP_2)
	v_cvt_f64_i32_e32 v[52:53], v25
	v_add_f64_e32 v[6:7], v[6:7], v[8:9]
	s_delay_alu instid0(VALU_DEP_2) | instskip(NEXT) | instid1(VALU_DEP_2)
	v_add_f64_e64 v[38:39], v[38:39], -v[52:53]
	v_add_f64_e32 v[6:7], v[36:37], v[6:7]
	s_delay_alu instid0(VALU_DEP_2) | instskip(NEXT) | instid1(VALU_DEP_1)
	v_add_f64_e32 v[34:35], v[42:43], v[38:39]
	v_add_f64_e64 v[8:9], v[34:35], -v[38:39]
	v_cmp_le_f64_e32 vcc_lo, 0.5, v[34:35]
	s_delay_alu instid0(VALU_DEP_2) | instskip(SKIP_2) | instid1(VALU_DEP_3)
	v_add_f64_e64 v[8:9], v[42:43], -v[8:9]
	v_add_co_ci_u32_e64 v38, null, 0, v25, vcc_lo
	v_cndmask_b32_e64 v25, 0, 0x3ff00000, vcc_lo
	v_add_f64_e32 v[6:7], v[6:7], v[8:9]
	s_delay_alu instid0(VALU_DEP_2) | instskip(NEXT) | instid1(VALU_DEP_1)
	v_add_f64_e64 v[8:9], v[34:35], -v[24:25]
	v_add_f64_e32 v[34:35], v[8:9], v[6:7]
	s_delay_alu instid0(VALU_DEP_1) | instskip(SKIP_1) | instid1(VALU_DEP_2)
	v_mul_f64_e32 v[36:37], 0x3ff921fb54442d18, v[34:35]
	v_add_f64_e64 v[8:9], v[34:35], -v[8:9]
	v_fma_f64 v[40:41], v[34:35], s[6:7], -v[36:37]
	s_delay_alu instid0(VALU_DEP_2) | instskip(NEXT) | instid1(VALU_DEP_2)
	v_add_f64_e64 v[6:7], v[6:7], -v[8:9]
	v_fmac_f64_e32 v[40:41], 0x3c91a62633145c07, v[34:35]
	s_delay_alu instid0(VALU_DEP_1) | instskip(NEXT) | instid1(VALU_DEP_1)
	v_fmac_f64_e32 v[40:41], 0x3ff921fb54442d18, v[6:7]
	v_add_f64_e32 v[6:7], v[36:37], v[40:41]
	s_delay_alu instid0(VALU_DEP_1) | instskip(NEXT) | instid1(VALU_DEP_1)
	v_add_f64_e64 v[8:9], v[6:7], -v[36:37]
	v_add_f64_e64 v[8:9], v[40:41], -v[8:9]
	s_and_not1_saveexec_b32 s1, s1
	s_cbranch_execz .LBB137_220
	s_branch .LBB137_219
.LBB137_217:                            ;   in Loop: Header=BB137_201 Depth=1
	s_or_b32 exec_lo, exec_lo, s19
                                        ; implicit-def: $vgpr14_vgpr15
                                        ; implicit-def: $vgpr25
	s_and_not1_saveexec_b32 s1, s18
	s_cbranch_execnz .LBB137_226
	s_branch .LBB137_231
.LBB137_218:                            ;   in Loop: Header=BB137_201 Depth=1
	s_and_not1_saveexec_b32 s1, s1
	s_cbranch_execz .LBB137_220
.LBB137_219:                            ;   in Loop: Header=BB137_201 Depth=1
	v_mul_f64_e64 v[6:7], |v[16:17]|, s[8:9]
	s_delay_alu instid0(VALU_DEP_1) | instskip(NEXT) | instid1(VALU_DEP_1)
	v_rndne_f64_e32 v[34:35], v[6:7]
	v_fma_f64 v[6:7], v[34:35], s[10:11], |v[16:17]|
	v_mul_f64_e32 v[8:9], 0xbc91a62633145c00, v[34:35]
	s_delay_alu instid0(VALU_DEP_2) | instskip(NEXT) | instid1(VALU_DEP_2)
	v_fmamk_f64 v[40:41], v[34:35], 0xbc91a62633145c00, v[6:7]
	v_add_f64_e32 v[36:37], v[6:7], v[8:9]
	s_delay_alu instid0(VALU_DEP_1) | instskip(NEXT) | instid1(VALU_DEP_3)
	v_add_f64_e64 v[38:39], v[6:7], -v[36:37]
	v_add_f64_e64 v[6:7], v[36:37], -v[40:41]
	s_delay_alu instid0(VALU_DEP_2) | instskip(SKIP_2) | instid1(VALU_DEP_3)
	v_add_f64_e32 v[36:37], v[38:39], v[8:9]
	v_fmamk_f64 v[8:9], v[34:35], 0x3c91a62633145c00, v[8:9]
	v_cvt_i32_f64_e32 v38, v[34:35]
	v_add_f64_e32 v[6:7], v[6:7], v[36:37]
	s_delay_alu instid0(VALU_DEP_1) | instskip(NEXT) | instid1(VALU_DEP_1)
	v_add_f64_e64 v[8:9], v[6:7], -v[8:9]
	v_fmac_f64_e32 v[8:9], 0xb97b839a252049c0, v[34:35]
	s_delay_alu instid0(VALU_DEP_1) | instskip(NEXT) | instid1(VALU_DEP_1)
	v_add_f64_e32 v[6:7], v[40:41], v[8:9]
	v_add_f64_e64 v[36:37], v[6:7], -v[40:41]
	s_delay_alu instid0(VALU_DEP_1)
	v_add_f64_e64 v[8:9], v[8:9], -v[36:37]
.LBB137_220:                            ;   in Loop: Header=BB137_201 Depth=1
	s_or_b32 exec_lo, exec_lo, s1
                                        ; implicit-def: $vgpr39
                                        ; implicit-def: $vgpr34_vgpr35
                                        ; implicit-def: $vgpr36_vgpr37
	s_and_saveexec_b32 s1, s0
	s_delay_alu instid0(SALU_CYCLE_1)
	s_xor_b32 s0, exec_lo, s1
	s_cbranch_execz .LBB137_222
; %bb.221:                              ;   in Loop: Header=BB137_201 Depth=1
	v_ldexp_f64 v[34:35], |v[16:17]|, 0xffffff80
	v_cmp_le_f64_e64 vcc_lo, 0x7b000000, |v[16:17]|
	v_trig_preop_f64 v[36:37], |v[16:17]|, 0
	v_and_b32_e32 v25, 0x7fffffff, v17
	v_trig_preop_f64 v[40:41], |v[16:17]|, 1
	v_trig_preop_f64 v[50:51], |v[16:17]|, 2
	s_delay_alu instid0(VALU_DEP_3) | instskip(NEXT) | instid1(VALU_DEP_1)
	v_dual_cndmask_b32 v35, v25, v35 :: v_dual_cndmask_b32 v34, v16, v34
	v_mul_f64_e32 v[42:43], v[36:37], v[34:35]
	s_delay_alu instid0(VALU_DEP_4) | instskip(NEXT) | instid1(VALU_DEP_4)
	v_mul_f64_e32 v[44:45], v[40:41], v[34:35]
	v_mul_f64_e32 v[56:57], v[50:51], v[34:35]
	s_delay_alu instid0(VALU_DEP_3) | instskip(NEXT) | instid1(VALU_DEP_3)
	v_fma_f64 v[36:37], v[36:37], v[34:35], -v[42:43]
	v_fma_f64 v[40:41], v[40:41], v[34:35], -v[44:45]
	s_delay_alu instid0(VALU_DEP_3) | instskip(NEXT) | instid1(VALU_DEP_3)
	v_fma_f64 v[34:35], v[50:51], v[34:35], -v[56:57]
	v_add_f64_e32 v[46:47], v[44:45], v[36:37]
	s_delay_alu instid0(VALU_DEP_1) | instskip(SKIP_1) | instid1(VALU_DEP_2)
	v_add_f64_e64 v[48:49], v[46:47], -v[44:45]
	v_add_f64_e32 v[54:55], v[42:43], v[46:47]
	v_add_f64_e64 v[52:53], v[46:47], -v[48:49]
	v_add_f64_e64 v[36:37], v[36:37], -v[48:49]
	s_delay_alu instid0(VALU_DEP_3) | instskip(NEXT) | instid1(VALU_DEP_3)
	v_ldexp_f64 v[48:49], v[54:55], -2
	v_add_f64_e64 v[44:45], v[44:45], -v[52:53]
	v_add_f64_e32 v[52:53], v[56:57], v[40:41]
	s_delay_alu instid0(VALU_DEP_3) | instskip(NEXT) | instid1(VALU_DEP_3)
	v_cmp_neq_f64_e64 vcc_lo, 0x7ff00000, |v[48:49]|
	v_add_f64_e32 v[36:37], v[36:37], v[44:45]
	v_fract_f64_e32 v[44:45], v[48:49]
	s_delay_alu instid0(VALU_DEP_1) | instskip(NEXT) | instid1(VALU_DEP_1)
	v_ldexp_f64 v[44:45], v[44:45], 2
	v_dual_add_f64 v[42:43], v[54:55], -v[42:43] :: v_dual_cndmask_b32 v45, 0, v45, vcc_lo
	s_delay_alu instid0(VALU_DEP_1) | instskip(SKIP_1) | instid1(VALU_DEP_1)
	v_dual_add_f64 v[42:43], v[46:47], -v[42:43] :: v_dual_cndmask_b32 v44, 0, v44, vcc_lo
	v_add_f64_e32 v[46:47], v[52:53], v[36:37]
	v_add_f64_e32 v[48:49], v[42:43], v[46:47]
	v_add_f64_e64 v[58:59], v[46:47], -v[52:53]
	s_delay_alu instid0(VALU_DEP_2) | instskip(NEXT) | instid1(VALU_DEP_2)
	v_add_f64_e32 v[54:55], v[48:49], v[44:45]
	v_add_f64_e64 v[64:65], v[46:47], -v[58:59]
	v_add_f64_e64 v[36:37], v[36:37], -v[58:59]
	;; [unrolled: 1-line block ×3, first 2 shown]
	s_delay_alu instid0(VALU_DEP_4) | instskip(SKIP_1) | instid1(VALU_DEP_3)
	v_cmp_gt_f64_e32 vcc_lo, 0, v[54:55]
	v_add_f64_e64 v[54:55], v[52:53], -v[56:57]
	v_add_f64_e64 v[42:43], v[46:47], -v[42:43]
	v_cndmask_b32_e64 v25, 0, 0x40100000, vcc_lo
	s_delay_alu instid0(VALU_DEP_3) | instskip(SKIP_2) | instid1(VALU_DEP_4)
	v_add_f64_e64 v[62:63], v[52:53], -v[54:55]
	v_add_f64_e64 v[40:41], v[40:41], -v[54:55]
	;; [unrolled: 1-line block ×3, first 2 shown]
	v_add_f64_e32 v[44:45], v[44:45], v[24:25]
	s_delay_alu instid0(VALU_DEP_4) | instskip(NEXT) | instid1(VALU_DEP_3)
	v_add_f64_e64 v[54:55], v[56:57], -v[62:63]
	v_add_f64_e32 v[36:37], v[36:37], v[52:53]
	s_delay_alu instid0(VALU_DEP_3) | instskip(NEXT) | instid1(VALU_DEP_3)
	v_add_f64_e32 v[60:61], v[48:49], v[44:45]
	v_add_f64_e32 v[40:41], v[40:41], v[54:55]
	s_delay_alu instid0(VALU_DEP_2) | instskip(NEXT) | instid1(VALU_DEP_2)
	v_cvt_i32_f64_e32 v25, v[60:61]
	v_add_f64_e32 v[36:37], v[40:41], v[36:37]
	s_delay_alu instid0(VALU_DEP_2) | instskip(NEXT) | instid1(VALU_DEP_2)
	v_cvt_f64_i32_e32 v[58:59], v25
	v_add_f64_e32 v[34:35], v[34:35], v[36:37]
	s_delay_alu instid0(VALU_DEP_2) | instskip(NEXT) | instid1(VALU_DEP_2)
	v_add_f64_e64 v[44:45], v[44:45], -v[58:59]
	v_add_f64_e32 v[34:35], v[42:43], v[34:35]
	s_delay_alu instid0(VALU_DEP_2) | instskip(NEXT) | instid1(VALU_DEP_1)
	v_add_f64_e32 v[40:41], v[48:49], v[44:45]
	v_add_f64_e64 v[36:37], v[40:41], -v[44:45]
	v_cmp_le_f64_e32 vcc_lo, 0.5, v[40:41]
	s_delay_alu instid0(VALU_DEP_2) | instskip(SKIP_2) | instid1(VALU_DEP_3)
	v_add_f64_e64 v[36:37], v[48:49], -v[36:37]
	v_add_co_ci_u32_e64 v39, null, 0, v25, vcc_lo
	v_cndmask_b32_e64 v25, 0, 0x3ff00000, vcc_lo
	v_add_f64_e32 v[34:35], v[34:35], v[36:37]
	s_delay_alu instid0(VALU_DEP_2) | instskip(NEXT) | instid1(VALU_DEP_1)
	v_add_f64_e64 v[36:37], v[40:41], -v[24:25]
	v_add_f64_e32 v[40:41], v[36:37], v[34:35]
	s_delay_alu instid0(VALU_DEP_1) | instskip(SKIP_1) | instid1(VALU_DEP_2)
	v_mul_f64_e32 v[42:43], 0x3ff921fb54442d18, v[40:41]
	v_add_f64_e64 v[36:37], v[40:41], -v[36:37]
	v_fma_f64 v[44:45], v[40:41], s[6:7], -v[42:43]
	s_delay_alu instid0(VALU_DEP_2) | instskip(NEXT) | instid1(VALU_DEP_2)
	v_add_f64_e64 v[34:35], v[34:35], -v[36:37]
	v_fmac_f64_e32 v[44:45], 0x3c91a62633145c07, v[40:41]
	s_delay_alu instid0(VALU_DEP_1) | instskip(NEXT) | instid1(VALU_DEP_1)
	v_fmac_f64_e32 v[44:45], 0x3ff921fb54442d18, v[34:35]
	v_add_f64_e32 v[34:35], v[42:43], v[44:45]
	s_delay_alu instid0(VALU_DEP_1) | instskip(NEXT) | instid1(VALU_DEP_1)
	v_add_f64_e64 v[36:37], v[34:35], -v[42:43]
	v_add_f64_e64 v[36:37], v[44:45], -v[36:37]
	s_and_not1_saveexec_b32 s0, s0
	s_cbranch_execnz .LBB137_223
	s_branch .LBB137_224
.LBB137_222:                            ;   in Loop: Header=BB137_201 Depth=1
	s_and_not1_saveexec_b32 s0, s0
	s_cbranch_execz .LBB137_224
.LBB137_223:                            ;   in Loop: Header=BB137_201 Depth=1
	v_mul_f64_e64 v[34:35], |v[16:17]|, s[8:9]
	s_delay_alu instid0(VALU_DEP_1) | instskip(NEXT) | instid1(VALU_DEP_1)
	v_rndne_f64_e32 v[40:41], v[34:35]
	v_fma_f64 v[34:35], v[40:41], s[10:11], |v[16:17]|
	v_mul_f64_e32 v[36:37], 0xbc91a62633145c00, v[40:41]
	v_cvt_i32_f64_e32 v39, v[40:41]
	s_delay_alu instid0(VALU_DEP_3) | instskip(NEXT) | instid1(VALU_DEP_3)
	v_fmamk_f64 v[46:47], v[40:41], 0xbc91a62633145c00, v[34:35]
	v_add_f64_e32 v[42:43], v[34:35], v[36:37]
	s_delay_alu instid0(VALU_DEP_1) | instskip(NEXT) | instid1(VALU_DEP_3)
	v_add_f64_e64 v[44:45], v[34:35], -v[42:43]
	v_add_f64_e64 v[34:35], v[42:43], -v[46:47]
	s_delay_alu instid0(VALU_DEP_2) | instskip(SKIP_1) | instid1(VALU_DEP_2)
	v_add_f64_e32 v[42:43], v[44:45], v[36:37]
	v_fmamk_f64 v[36:37], v[40:41], 0x3c91a62633145c00, v[36:37]
	v_add_f64_e32 v[34:35], v[34:35], v[42:43]
	s_delay_alu instid0(VALU_DEP_1) | instskip(NEXT) | instid1(VALU_DEP_1)
	v_add_f64_e64 v[36:37], v[34:35], -v[36:37]
	v_fmac_f64_e32 v[36:37], 0xb97b839a252049c0, v[40:41]
	s_delay_alu instid0(VALU_DEP_1) | instskip(NEXT) | instid1(VALU_DEP_1)
	v_add_f64_e32 v[34:35], v[46:47], v[36:37]
	v_add_f64_e64 v[42:43], v[34:35], -v[46:47]
	s_delay_alu instid0(VALU_DEP_1)
	v_add_f64_e64 v[36:37], v[36:37], -v[42:43]
.LBB137_224:                            ;   in Loop: Header=BB137_201 Depth=1
	s_or_b32 exec_lo, exec_lo, s0
	v_add_f64_e32 v[14:15], 0xc0937be319ba0da4, v[14:15]
	s_delay_alu instid0(VALU_DEP_2) | instskip(NEXT) | instid1(VALU_DEP_3)
	v_mul_f64_e32 v[56:57], 0.5, v[8:9]
	v_mul_f64_e32 v[66:67], 0.5, v[36:37]
	v_cmp_class_f64_e64 s0, v[16:17], 0x1f8
	v_lshlrev_b32_e32 v16, 30, v38
	v_mul_f64_e32 v[40:41], 0x3ff71547652b82fe, v[14:15]
	v_cmp_ngt_f64_e64 s2, 0xc090cc00, v[14:15]
	v_mul_f64_e32 v[42:43], v[6:7], v[6:7]
	v_cmp_nlt_f64_e64 s1, 0x40900000, v[14:15]
	s_delay_alu instid0(VALU_DEP_4) | instskip(NEXT) | instid1(VALU_DEP_3)
	v_rndne_f64_e32 v[40:41], v[40:41]
	v_mul_f64_e32 v[46:47], 0.5, v[42:43]
	v_mul_f64_e64 v[58:59], v[6:7], -v[42:43]
	v_fmamk_f64 v[62:63], v[42:43], 0x3de5e0b2f9a43bb8, v[30:31]
	s_delay_alu instid0(VALU_DEP_1) | instskip(NEXT) | instid1(VALU_DEP_1)
	v_fmaak_f64 v[62:63], v[42:43], v[62:63], 0x3ec71de3796cde01
	v_fmaak_f64 v[62:63], v[42:43], v[62:63], 0xbf2a01a019e83e5c
	s_delay_alu instid0(VALU_DEP_1)
	v_fmaak_f64 v[62:63], v[42:43], v[62:63], 0x3f81111111110bb3
	v_fmamk_f64 v[50:51], v[40:41], 0xbfe62e42fefa39ef, v[14:15]
	v_cvt_i32_f64_e32 v25, v[40:41]
	v_add_f64_e64 v[52:53], -v[46:47], 1.0
	v_and_b32_e32 v14, 1, v39
	v_fmac_f64_e32 v[56:57], v[58:59], v[62:63]
	v_lshlrev_b32_e32 v15, 30, v39
	v_fmac_f64_e32 v[50:51], 0xbc7abc9e3b39803f, v[40:41]
	s_delay_alu instid0(VALU_DEP_4) | instskip(SKIP_2) | instid1(VALU_DEP_4)
	v_cmp_eq_u32_e64 s3, 0, v14
	v_add_f64_e64 v[60:61], -v[52:53], 1.0
	v_fma_f64 v[56:57], v[42:43], v[56:57], -v[8:9]
	v_fmamk_f64 v[64:65], v[50:51], 0x3e5ade156a5dcb37, v[26:27]
	s_delay_alu instid0(VALU_DEP_1) | instskip(NEXT) | instid1(VALU_DEP_1)
	v_fmaak_f64 v[64:65], v[50:51], v[64:65], 0x3ec71dee623fde64
	v_fmaak_f64 v[64:65], v[50:51], v[64:65], 0x3efa01997c89e6b0
	s_delay_alu instid0(VALU_DEP_1) | instskip(SKIP_1) | instid1(VALU_DEP_2)
	v_fmaak_f64 v[64:65], v[50:51], v[64:65], 0x3f2a01a014761f6e
	v_add_f64_e64 v[46:47], v[60:61], -v[46:47]
	v_fmaak_f64 v[60:61], v[50:51], v[64:65], 0x3f56c16c1852b7b0
	v_mul_f64_e32 v[64:65], v[42:43], v[42:43]
	v_fmac_f64_e32 v[56:57], 0xbfc5555555555555, v[58:59]
	s_delay_alu instid0(VALU_DEP_3) | instskip(NEXT) | instid1(VALU_DEP_1)
	v_fmaak_f64 v[60:61], v[50:51], v[60:61], 0x3f81111111122322
	v_fmaak_f64 v[60:61], v[50:51], v[60:61], 0x3fa55555555502a1
	s_delay_alu instid0(VALU_DEP_1) | instskip(NEXT) | instid1(VALU_DEP_1)
	v_fmaak_f64 v[60:61], v[50:51], v[60:61], 0x3fc5555555555511
	v_fmaak_f64 v[60:61], v[50:51], v[60:61], 0x3fe000000000000b
	v_fma_f64 v[8:9], v[6:7], -v[8:9], v[46:47]
	v_add_f64_e64 v[6:7], v[6:7], -v[56:57]
	s_delay_alu instid0(VALU_DEP_3) | instskip(NEXT) | instid1(VALU_DEP_2)
	v_fma_f64 v[60:61], v[50:51], v[60:61], 1.0
	v_xor_b32_e32 v7, 0x80000000, v7
	s_delay_alu instid0(VALU_DEP_2) | instskip(NEXT) | instid1(VALU_DEP_1)
	v_fma_f64 v[40:41], v[50:51], v[60:61], 1.0
	v_ldexp_f64 v[40:41], v[40:41], v25
	v_mul_f64_e32 v[44:45], v[34:35], v[34:35]
	v_and_b32_e32 v25, 1, v38
	s_delay_alu instid0(VALU_DEP_1) | instskip(NEXT) | instid1(VALU_DEP_3)
	v_cmp_eq_u32_e32 vcc_lo, 0, v25
	v_mul_f64_e32 v[48:49], 0.5, v[44:45]
	v_mul_f64_e64 v[68:69], v[34:35], -v[44:45]
	v_fmamk_f64 v[72:73], v[44:45], 0x3de5e0b2f9a43bb8, v[30:31]
	s_delay_alu instid0(VALU_DEP_1) | instskip(NEXT) | instid1(VALU_DEP_1)
	v_fmaak_f64 v[62:63], v[44:45], v[72:73], 0x3ec71de3796cde01
	v_fmaak_f64 v[62:63], v[44:45], v[62:63], 0xbf2a01a019e83e5c
	s_delay_alu instid0(VALU_DEP_1) | instskip(SKIP_1) | instid1(VALU_DEP_2)
	v_fmaak_f64 v[62:63], v[44:45], v[62:63], 0x3f81111111110bb3
	v_add_f64_e64 v[54:55], -v[48:49], 1.0
	v_fmac_f64_e32 v[66:67], v[68:69], v[62:63]
	v_fmamk_f64 v[62:63], v[42:43], 0xbda907db46cc5e42, v[28:29]
	s_delay_alu instid0(VALU_DEP_1) | instskip(SKIP_1) | instid1(VALU_DEP_2)
	v_fmaak_f64 v[46:47], v[42:43], v[62:63], 0xbe927e4fa17f65f6
	v_mul_f64_e32 v[62:63], v[44:45], v[44:45]
	v_fmaak_f64 v[46:47], v[42:43], v[46:47], 0x3efa01a019f4ec90
	s_delay_alu instid0(VALU_DEP_1) | instskip(NEXT) | instid1(VALU_DEP_1)
	v_fmaak_f64 v[46:47], v[42:43], v[46:47], 0xbf56c16c16c16967
	v_fmaak_f64 v[42:43], v[42:43], v[46:47], 0x3fa5555555555555
	v_add_f64_e64 v[70:71], -v[54:55], 1.0
	v_fma_f64 v[46:47], v[44:45], v[66:67], -v[36:37]
	s_delay_alu instid0(VALU_DEP_3) | instskip(NEXT) | instid1(VALU_DEP_3)
	v_fmac_f64_e32 v[8:9], v[64:65], v[42:43]
	v_add_f64_e64 v[48:49], v[70:71], -v[48:49]
	v_fmamk_f64 v[70:71], v[44:45], 0xbda907db46cc5e42, v[28:29]
	s_delay_alu instid0(VALU_DEP_3) | instskip(NEXT) | instid1(VALU_DEP_3)
	v_add_f64_e32 v[8:9], v[52:53], v[8:9]
	v_fma_f64 v[36:37], v[34:35], -v[36:37], v[48:49]
	s_delay_alu instid0(VALU_DEP_3) | instskip(NEXT) | instid1(VALU_DEP_3)
	v_fmaak_f64 v[48:49], v[44:45], v[70:71], 0xbe927e4fa17f65f6
	v_cndmask_b32_e32 v7, v7, v9, vcc_lo
	v_xor_b32_e32 v9, v15, v17
	v_fmac_f64_e32 v[46:47], 0xbfc5555555555555, v[68:69]
	s_delay_alu instid0(VALU_DEP_4) | instskip(SKIP_4) | instid1(VALU_DEP_3)
	v_fmaak_f64 v[42:43], v[44:45], v[48:49], 0x3efa01a019f4ec90
	v_cndmask_b32_e32 v6, v6, v8, vcc_lo
	v_cndmask_b32_e64 v8, 0x7ff00000, v41, s1
	v_bitop3_b32 v7, v7, v16, 0x80000000 bitop3:0x78
	s_and_b32 vcc_lo, s2, s1
	v_cndmask_b32_e64 v6, 0, v6, s0
	v_fmaak_f64 v[42:43], v[44:45], v[42:43], 0xbf56c16c16c16967
	v_cndmask_b32_e64 v16, 0, v8, s2
	v_cndmask_b32_e64 v7, 0x7ff80000, v7, s0
	s_delay_alu instid0(VALU_DEP_3) | instskip(NEXT) | instid1(VALU_DEP_1)
	v_fmaak_f64 v[42:43], v[44:45], v[42:43], 0x3fa5555555555555
	v_fmac_f64_e32 v[36:37], v[62:63], v[42:43]
	v_add_f64_e64 v[34:35], v[34:35], -v[46:47]
	s_delay_alu instid0(VALU_DEP_2) | instskip(NEXT) | instid1(VALU_DEP_1)
	v_add_f64_e32 v[36:37], v[54:55], v[36:37]
	v_dual_cndmask_b32 v15, v37, v35, s3 :: v_dual_cndmask_b32 v14, v36, v34, s3
	s_delay_alu instid0(VALU_DEP_1) | instskip(NEXT) | instid1(VALU_DEP_2)
	v_bitop3_b32 v9, v15, v9, 0x80000000 bitop3:0x78
	v_cndmask_b32_e64 v8, 0, v14, s0
	v_and_or_b32 v15, v16, s14, 0x7fe00000
	v_cndmask_b32_e32 v14, 0, v40, vcc_lo
	v_lshrrev_b32_e32 v16, 20, v16
	v_cndmask_b32_e64 v9, 0x7ff80000, v9, s0
	s_delay_alu instid0(VALU_DEP_3) | instskip(NEXT) | instid1(VALU_DEP_2)
	v_mul_f64_e32 v[6:7], v[14:15], v[6:7]
	v_mul_f64_e32 v[8:9], v[14:15], v[8:9]
	s_delay_alu instid0(VALU_DEP_4) | instskip(NEXT) | instid1(VALU_DEP_1)
	v_add_nc_u32_e32 v14, 0xffffff09, v16
	v_lshrrev_b16 v15, 15, v14
	s_delay_alu instid0(VALU_DEP_1) | instskip(NEXT) | instid1(VALU_DEP_1)
	v_add_nc_u16 v15, v14, v15
	v_ashrrev_i16 v15, 1, v15
	s_delay_alu instid0(VALU_DEP_1) | instskip(NEXT) | instid1(VALU_DEP_1)
	v_bfe_i32 v15, v15, 0, 16
	v_lshl_add_u32 v25, v15, 20, 0x3ff00000
	v_dual_mov_b32 v14, v24 :: v_dual_sub_nc_u32 v15, v14, v15
	s_delay_alu instid0(VALU_DEP_2) | instskip(SKIP_1) | instid1(VALU_DEP_3)
	v_mul_f64_e32 v[6:7], v[6:7], v[24:25]
	v_mul_f64_e32 v[8:9], v[8:9], v[24:25]
	v_lshl_add_u32 v15, v15, 20, 0x3ff00000
	s_delay_alu instid0(VALU_DEP_1) | instskip(NEXT) | instid1(VALU_DEP_3)
	v_mul_f64_e32 v[6:7], v[6:7], v[14:15]
	v_mul_f64_e32 v[8:9], v[8:9], v[14:15]
	s_or_b32 exec_lo, exec_lo, s19
                                        ; implicit-def: $vgpr14_vgpr15
                                        ; implicit-def: $vgpr25
.LBB137_225:                            ;   in Loop: Header=BB137_201 Depth=1
	s_and_not1_saveexec_b32 s1, s18
	s_cbranch_execz .LBB137_231
.LBB137_226:                            ;   in Loop: Header=BB137_201 Depth=1
	v_add_f64_e64 v[8:9], v[16:17], -v[16:17]
	v_cmp_ne_u32_e32 vcc_lo, 0, v14
	v_cmp_ne_u32_e64 s0, 0x7ff00000, v25
	s_or_b32 s0, vcc_lo, s0
	s_delay_alu instid0(SALU_CYCLE_1) | instskip(NEXT) | instid1(SALU_CYCLE_1)
	s_and_saveexec_b32 s2, s0
	s_xor_b32 s0, exec_lo, s2
; %bb.227:                              ;   in Loop: Header=BB137_201 Depth=1
                                        ; implicit-def: $vgpr14_vgpr15
; %bb.228:                              ;   in Loop: Header=BB137_201 Depth=1
	s_delay_alu instid0(SALU_CYCLE_1)
	s_or_saveexec_b32 s0, s0
	v_mov_b64_e32 v[6:7], v[8:9]
	s_xor_b32 exec_lo, exec_lo, s0
; %bb.229:                              ;   in Loop: Header=BB137_201 Depth=1
	v_cmp_lt_i64_e32 vcc_lo, -1, v[14:15]
	v_dual_cndmask_b32 v7, 0, v15 :: v_dual_cndmask_b32 v6, 0, v14
	v_dual_cndmask_b32 v9, 0, v9 :: v_dual_cndmask_b32 v8, 0, v8
; %bb.230:                              ;   in Loop: Header=BB137_201 Depth=1
	s_or_b32 exec_lo, exec_lo, s0
.LBB137_231:                            ;   in Loop: Header=BB137_201 Depth=1
	s_delay_alu instid0(SALU_CYCLE_1)
	s_or_b32 exec_lo, exec_lo, s1
                                        ; implicit-def: $vgpr16_vgpr17
.LBB137_232:                            ;   in Loop: Header=BB137_201 Depth=1
	s_and_not1_saveexec_b32 s2, s17
	s_cbranch_execz .LBB137_242
; %bb.233:                              ;   in Loop: Header=BB137_201 Depth=1
	v_cmp_ngt_f64_e64 s0, 0x41d00000, |v[16:17]|
                                        ; implicit-def: $vgpr36
                                        ; implicit-def: $vgpr6_vgpr7
                                        ; implicit-def: $vgpr8_vgpr9
	s_and_saveexec_b32 s1, s0
	s_delay_alu instid0(SALU_CYCLE_1)
	s_xor_b32 s1, exec_lo, s1
	s_cbranch_execz .LBB137_235
; %bb.234:                              ;   in Loop: Header=BB137_201 Depth=1
	v_ldexp_f64 v[6:7], |v[16:17]|, 0xffffff80
	v_cmp_le_f64_e64 vcc_lo, 0x7b000000, |v[16:17]|
	v_trig_preop_f64 v[8:9], |v[16:17]|, 0
	v_and_b32_e32 v14, 0x7fffffff, v17
	v_trig_preop_f64 v[42:43], |v[16:17]|, 2
	s_delay_alu instid0(VALU_DEP_2) | instskip(SKIP_1) | instid1(VALU_DEP_2)
	v_dual_cndmask_b32 v7, v14, v7 :: v_dual_cndmask_b32 v6, v16, v6
	v_trig_preop_f64 v[14:15], |v[16:17]|, 1
	v_mul_f64_e32 v[34:35], v[8:9], v[6:7]
	s_delay_alu instid0(VALU_DEP_4) | instskip(NEXT) | instid1(VALU_DEP_3)
	v_mul_f64_e32 v[48:49], v[42:43], v[6:7]
	v_mul_f64_e32 v[36:37], v[14:15], v[6:7]
	s_delay_alu instid0(VALU_DEP_3) | instskip(NEXT) | instid1(VALU_DEP_2)
	v_fma_f64 v[8:9], v[8:9], v[6:7], -v[34:35]
	v_fma_f64 v[14:15], v[14:15], v[6:7], -v[36:37]
	s_delay_alu instid0(VALU_DEP_4) | instskip(NEXT) | instid1(VALU_DEP_3)
	v_fma_f64 v[6:7], v[42:43], v[6:7], -v[48:49]
	v_add_f64_e32 v[38:39], v[36:37], v[8:9]
	s_delay_alu instid0(VALU_DEP_1) | instskip(SKIP_1) | instid1(VALU_DEP_2)
	v_add_f64_e64 v[40:41], v[38:39], -v[36:37]
	v_add_f64_e32 v[46:47], v[34:35], v[38:39]
	v_add_f64_e64 v[44:45], v[38:39], -v[40:41]
	v_add_f64_e64 v[8:9], v[8:9], -v[40:41]
	s_delay_alu instid0(VALU_DEP_3) | instskip(NEXT) | instid1(VALU_DEP_3)
	v_ldexp_f64 v[40:41], v[46:47], -2
	v_add_f64_e64 v[36:37], v[36:37], -v[44:45]
	v_add_f64_e32 v[44:45], v[48:49], v[14:15]
	s_delay_alu instid0(VALU_DEP_3) | instskip(NEXT) | instid1(VALU_DEP_3)
	v_cmp_neq_f64_e64 vcc_lo, 0x7ff00000, |v[40:41]|
	v_add_f64_e32 v[8:9], v[8:9], v[36:37]
	v_fract_f64_e32 v[36:37], v[40:41]
	s_delay_alu instid0(VALU_DEP_1) | instskip(NEXT) | instid1(VALU_DEP_1)
	v_ldexp_f64 v[36:37], v[36:37], 2
	v_dual_add_f64 v[34:35], v[46:47], -v[34:35] :: v_dual_cndmask_b32 v37, 0, v37, vcc_lo
	s_delay_alu instid0(VALU_DEP_1) | instskip(SKIP_1) | instid1(VALU_DEP_1)
	v_dual_add_f64 v[34:35], v[38:39], -v[34:35] :: v_dual_cndmask_b32 v36, 0, v36, vcc_lo
	v_add_f64_e32 v[38:39], v[44:45], v[8:9]
	v_add_f64_e32 v[40:41], v[34:35], v[38:39]
	v_add_f64_e64 v[50:51], v[38:39], -v[44:45]
	s_delay_alu instid0(VALU_DEP_2) | instskip(NEXT) | instid1(VALU_DEP_2)
	v_add_f64_e32 v[46:47], v[40:41], v[36:37]
	v_add_f64_e64 v[56:57], v[38:39], -v[50:51]
	v_add_f64_e64 v[8:9], v[8:9], -v[50:51]
	;; [unrolled: 1-line block ×3, first 2 shown]
	s_delay_alu instid0(VALU_DEP_4) | instskip(SKIP_1) | instid1(VALU_DEP_3)
	v_cmp_gt_f64_e32 vcc_lo, 0, v[46:47]
	v_add_f64_e64 v[46:47], v[44:45], -v[48:49]
	v_add_f64_e64 v[34:35], v[38:39], -v[34:35]
	v_cndmask_b32_e64 v25, 0, 0x40100000, vcc_lo
	s_delay_alu instid0(VALU_DEP_3) | instskip(SKIP_2) | instid1(VALU_DEP_4)
	v_add_f64_e64 v[54:55], v[44:45], -v[46:47]
	v_add_f64_e64 v[14:15], v[14:15], -v[46:47]
	v_add_f64_e64 v[44:45], v[44:45], -v[56:57]
	v_add_f64_e32 v[36:37], v[36:37], v[24:25]
	s_delay_alu instid0(VALU_DEP_4) | instskip(NEXT) | instid1(VALU_DEP_3)
	v_add_f64_e64 v[46:47], v[48:49], -v[54:55]
	v_add_f64_e32 v[8:9], v[8:9], v[44:45]
	s_delay_alu instid0(VALU_DEP_3) | instskip(NEXT) | instid1(VALU_DEP_3)
	v_add_f64_e32 v[52:53], v[40:41], v[36:37]
	v_add_f64_e32 v[14:15], v[14:15], v[46:47]
	s_delay_alu instid0(VALU_DEP_2) | instskip(NEXT) | instid1(VALU_DEP_2)
	v_cvt_i32_f64_e32 v25, v[52:53]
	v_add_f64_e32 v[8:9], v[14:15], v[8:9]
	s_delay_alu instid0(VALU_DEP_2) | instskip(NEXT) | instid1(VALU_DEP_2)
	v_cvt_f64_i32_e32 v[50:51], v25
	v_add_f64_e32 v[6:7], v[6:7], v[8:9]
	s_delay_alu instid0(VALU_DEP_2) | instskip(NEXT) | instid1(VALU_DEP_2)
	v_add_f64_e64 v[36:37], v[36:37], -v[50:51]
	v_add_f64_e32 v[6:7], v[34:35], v[6:7]
	s_delay_alu instid0(VALU_DEP_2) | instskip(NEXT) | instid1(VALU_DEP_1)
	v_add_f64_e32 v[14:15], v[40:41], v[36:37]
	v_add_f64_e64 v[8:9], v[14:15], -v[36:37]
	v_cmp_le_f64_e32 vcc_lo, 0.5, v[14:15]
	s_delay_alu instid0(VALU_DEP_2) | instskip(SKIP_2) | instid1(VALU_DEP_3)
	v_add_f64_e64 v[8:9], v[40:41], -v[8:9]
	v_add_co_ci_u32_e64 v36, null, 0, v25, vcc_lo
	v_cndmask_b32_e64 v25, 0, 0x3ff00000, vcc_lo
	v_add_f64_e32 v[6:7], v[6:7], v[8:9]
	s_delay_alu instid0(VALU_DEP_2) | instskip(NEXT) | instid1(VALU_DEP_1)
	v_add_f64_e64 v[8:9], v[14:15], -v[24:25]
	v_add_f64_e32 v[14:15], v[8:9], v[6:7]
	s_delay_alu instid0(VALU_DEP_1) | instskip(SKIP_1) | instid1(VALU_DEP_2)
	v_mul_f64_e32 v[34:35], 0x3ff921fb54442d18, v[14:15]
	v_add_f64_e64 v[8:9], v[14:15], -v[8:9]
	v_fma_f64 v[38:39], v[14:15], s[6:7], -v[34:35]
	s_delay_alu instid0(VALU_DEP_2) | instskip(NEXT) | instid1(VALU_DEP_2)
	v_add_f64_e64 v[6:7], v[6:7], -v[8:9]
	v_fmac_f64_e32 v[38:39], 0x3c91a62633145c07, v[14:15]
	s_delay_alu instid0(VALU_DEP_1) | instskip(NEXT) | instid1(VALU_DEP_1)
	v_fmac_f64_e32 v[38:39], 0x3ff921fb54442d18, v[6:7]
	v_add_f64_e32 v[6:7], v[34:35], v[38:39]
	s_delay_alu instid0(VALU_DEP_1) | instskip(NEXT) | instid1(VALU_DEP_1)
	v_add_f64_e64 v[8:9], v[6:7], -v[34:35]
	v_add_f64_e64 v[8:9], v[38:39], -v[8:9]
	s_and_not1_saveexec_b32 s1, s1
	s_cbranch_execz .LBB137_237
	s_branch .LBB137_236
.LBB137_235:                            ;   in Loop: Header=BB137_201 Depth=1
	s_and_not1_saveexec_b32 s1, s1
	s_cbranch_execz .LBB137_237
.LBB137_236:                            ;   in Loop: Header=BB137_201 Depth=1
	v_mul_f64_e64 v[6:7], |v[16:17]|, s[8:9]
	s_delay_alu instid0(VALU_DEP_1) | instskip(NEXT) | instid1(VALU_DEP_1)
	v_rndne_f64_e32 v[14:15], v[6:7]
	v_fma_f64 v[6:7], v[14:15], s[10:11], |v[16:17]|
	v_mul_f64_e32 v[8:9], 0xbc91a62633145c00, v[14:15]
	s_delay_alu instid0(VALU_DEP_2) | instskip(NEXT) | instid1(VALU_DEP_2)
	v_fmamk_f64 v[38:39], v[14:15], 0xbc91a62633145c00, v[6:7]
	v_add_f64_e32 v[34:35], v[6:7], v[8:9]
	s_delay_alu instid0(VALU_DEP_1) | instskip(NEXT) | instid1(VALU_DEP_3)
	v_add_f64_e64 v[36:37], v[6:7], -v[34:35]
	v_add_f64_e64 v[6:7], v[34:35], -v[38:39]
	s_delay_alu instid0(VALU_DEP_2) | instskip(SKIP_2) | instid1(VALU_DEP_3)
	v_add_f64_e32 v[34:35], v[36:37], v[8:9]
	v_fmamk_f64 v[8:9], v[14:15], 0x3c91a62633145c00, v[8:9]
	v_cvt_i32_f64_e32 v36, v[14:15]
	v_add_f64_e32 v[6:7], v[6:7], v[34:35]
	s_delay_alu instid0(VALU_DEP_1) | instskip(NEXT) | instid1(VALU_DEP_1)
	v_add_f64_e64 v[8:9], v[6:7], -v[8:9]
	v_fmac_f64_e32 v[8:9], 0xb97b839a252049c0, v[14:15]
	s_delay_alu instid0(VALU_DEP_1) | instskip(NEXT) | instid1(VALU_DEP_1)
	v_add_f64_e32 v[6:7], v[38:39], v[8:9]
	v_add_f64_e64 v[34:35], v[6:7], -v[38:39]
	s_delay_alu instid0(VALU_DEP_1)
	v_add_f64_e64 v[8:9], v[8:9], -v[34:35]
.LBB137_237:                            ;   in Loop: Header=BB137_201 Depth=1
	s_or_b32 exec_lo, exec_lo, s1
                                        ; implicit-def: $vgpr37
                                        ; implicit-def: $vgpr14_vgpr15
                                        ; implicit-def: $vgpr34_vgpr35
	s_and_saveexec_b32 s1, s0
	s_delay_alu instid0(SALU_CYCLE_1)
	s_xor_b32 s0, exec_lo, s1
	s_cbranch_execz .LBB137_239
; %bb.238:                              ;   in Loop: Header=BB137_201 Depth=1
	v_ldexp_f64 v[14:15], |v[16:17]|, 0xffffff80
	v_cmp_le_f64_e64 vcc_lo, 0x7b000000, |v[16:17]|
	v_trig_preop_f64 v[34:35], |v[16:17]|, 0
	v_and_b32_e32 v25, 0x7fffffff, v17
	v_trig_preop_f64 v[38:39], |v[16:17]|, 1
	v_trig_preop_f64 v[48:49], |v[16:17]|, 2
	s_delay_alu instid0(VALU_DEP_3) | instskip(NEXT) | instid1(VALU_DEP_1)
	v_dual_cndmask_b32 v15, v25, v15 :: v_dual_cndmask_b32 v14, v16, v14
	v_mul_f64_e32 v[40:41], v[34:35], v[14:15]
	s_delay_alu instid0(VALU_DEP_4) | instskip(NEXT) | instid1(VALU_DEP_4)
	v_mul_f64_e32 v[42:43], v[38:39], v[14:15]
	v_mul_f64_e32 v[54:55], v[48:49], v[14:15]
	s_delay_alu instid0(VALU_DEP_3) | instskip(NEXT) | instid1(VALU_DEP_3)
	v_fma_f64 v[34:35], v[34:35], v[14:15], -v[40:41]
	v_fma_f64 v[38:39], v[38:39], v[14:15], -v[42:43]
	s_delay_alu instid0(VALU_DEP_3) | instskip(NEXT) | instid1(VALU_DEP_3)
	v_fma_f64 v[14:15], v[48:49], v[14:15], -v[54:55]
	v_add_f64_e32 v[44:45], v[42:43], v[34:35]
	s_delay_alu instid0(VALU_DEP_1) | instskip(SKIP_1) | instid1(VALU_DEP_2)
	v_add_f64_e64 v[46:47], v[44:45], -v[42:43]
	v_add_f64_e32 v[52:53], v[40:41], v[44:45]
	v_add_f64_e64 v[50:51], v[44:45], -v[46:47]
	v_add_f64_e64 v[34:35], v[34:35], -v[46:47]
	s_delay_alu instid0(VALU_DEP_3) | instskip(NEXT) | instid1(VALU_DEP_3)
	v_ldexp_f64 v[46:47], v[52:53], -2
	v_add_f64_e64 v[42:43], v[42:43], -v[50:51]
	v_add_f64_e32 v[50:51], v[54:55], v[38:39]
	s_delay_alu instid0(VALU_DEP_3) | instskip(NEXT) | instid1(VALU_DEP_3)
	v_cmp_neq_f64_e64 vcc_lo, 0x7ff00000, |v[46:47]|
	v_add_f64_e32 v[34:35], v[34:35], v[42:43]
	v_fract_f64_e32 v[42:43], v[46:47]
	s_delay_alu instid0(VALU_DEP_1) | instskip(NEXT) | instid1(VALU_DEP_1)
	v_ldexp_f64 v[42:43], v[42:43], 2
	v_dual_add_f64 v[40:41], v[52:53], -v[40:41] :: v_dual_cndmask_b32 v43, 0, v43, vcc_lo
	s_delay_alu instid0(VALU_DEP_1) | instskip(SKIP_1) | instid1(VALU_DEP_1)
	v_dual_add_f64 v[40:41], v[44:45], -v[40:41] :: v_dual_cndmask_b32 v42, 0, v42, vcc_lo
	v_add_f64_e32 v[44:45], v[50:51], v[34:35]
	v_add_f64_e32 v[46:47], v[40:41], v[44:45]
	v_add_f64_e64 v[56:57], v[44:45], -v[50:51]
	s_delay_alu instid0(VALU_DEP_2) | instskip(NEXT) | instid1(VALU_DEP_2)
	v_add_f64_e32 v[52:53], v[46:47], v[42:43]
	v_add_f64_e64 v[62:63], v[44:45], -v[56:57]
	v_add_f64_e64 v[34:35], v[34:35], -v[56:57]
	v_add_f64_e64 v[40:41], v[46:47], -v[40:41]
	s_delay_alu instid0(VALU_DEP_4) | instskip(SKIP_1) | instid1(VALU_DEP_3)
	v_cmp_gt_f64_e32 vcc_lo, 0, v[52:53]
	v_add_f64_e64 v[52:53], v[50:51], -v[54:55]
	v_add_f64_e64 v[40:41], v[44:45], -v[40:41]
	v_cndmask_b32_e64 v25, 0, 0x40100000, vcc_lo
	s_delay_alu instid0(VALU_DEP_3) | instskip(SKIP_2) | instid1(VALU_DEP_4)
	v_add_f64_e64 v[60:61], v[50:51], -v[52:53]
	v_add_f64_e64 v[38:39], v[38:39], -v[52:53]
	;; [unrolled: 1-line block ×3, first 2 shown]
	v_add_f64_e32 v[42:43], v[42:43], v[24:25]
	s_delay_alu instid0(VALU_DEP_4) | instskip(NEXT) | instid1(VALU_DEP_3)
	v_add_f64_e64 v[52:53], v[54:55], -v[60:61]
	v_add_f64_e32 v[34:35], v[34:35], v[50:51]
	s_delay_alu instid0(VALU_DEP_3) | instskip(NEXT) | instid1(VALU_DEP_3)
	v_add_f64_e32 v[58:59], v[46:47], v[42:43]
	v_add_f64_e32 v[38:39], v[38:39], v[52:53]
	s_delay_alu instid0(VALU_DEP_2) | instskip(NEXT) | instid1(VALU_DEP_2)
	v_cvt_i32_f64_e32 v25, v[58:59]
	v_add_f64_e32 v[34:35], v[38:39], v[34:35]
	s_delay_alu instid0(VALU_DEP_2) | instskip(NEXT) | instid1(VALU_DEP_2)
	v_cvt_f64_i32_e32 v[56:57], v25
	v_add_f64_e32 v[14:15], v[14:15], v[34:35]
	s_delay_alu instid0(VALU_DEP_2) | instskip(NEXT) | instid1(VALU_DEP_2)
	v_add_f64_e64 v[42:43], v[42:43], -v[56:57]
	v_add_f64_e32 v[14:15], v[40:41], v[14:15]
	s_delay_alu instid0(VALU_DEP_2) | instskip(NEXT) | instid1(VALU_DEP_1)
	v_add_f64_e32 v[38:39], v[46:47], v[42:43]
	v_add_f64_e64 v[34:35], v[38:39], -v[42:43]
	v_cmp_le_f64_e32 vcc_lo, 0.5, v[38:39]
	s_delay_alu instid0(VALU_DEP_2) | instskip(SKIP_2) | instid1(VALU_DEP_3)
	v_add_f64_e64 v[34:35], v[46:47], -v[34:35]
	v_add_co_ci_u32_e64 v37, null, 0, v25, vcc_lo
	v_cndmask_b32_e64 v25, 0, 0x3ff00000, vcc_lo
	v_add_f64_e32 v[14:15], v[14:15], v[34:35]
	s_delay_alu instid0(VALU_DEP_2) | instskip(NEXT) | instid1(VALU_DEP_1)
	v_add_f64_e64 v[34:35], v[38:39], -v[24:25]
	v_add_f64_e32 v[38:39], v[34:35], v[14:15]
	s_delay_alu instid0(VALU_DEP_1) | instskip(SKIP_1) | instid1(VALU_DEP_2)
	v_mul_f64_e32 v[40:41], 0x3ff921fb54442d18, v[38:39]
	v_add_f64_e64 v[34:35], v[38:39], -v[34:35]
	v_fma_f64 v[42:43], v[38:39], s[6:7], -v[40:41]
	s_delay_alu instid0(VALU_DEP_2) | instskip(NEXT) | instid1(VALU_DEP_2)
	v_add_f64_e64 v[14:15], v[14:15], -v[34:35]
	v_fmac_f64_e32 v[42:43], 0x3c91a62633145c07, v[38:39]
	s_delay_alu instid0(VALU_DEP_1) | instskip(NEXT) | instid1(VALU_DEP_1)
	v_fmac_f64_e32 v[42:43], 0x3ff921fb54442d18, v[14:15]
	v_add_f64_e32 v[14:15], v[40:41], v[42:43]
	s_delay_alu instid0(VALU_DEP_1) | instskip(NEXT) | instid1(VALU_DEP_1)
	v_add_f64_e64 v[34:35], v[14:15], -v[40:41]
	v_add_f64_e64 v[34:35], v[42:43], -v[34:35]
	s_and_not1_saveexec_b32 s0, s0
	s_cbranch_execnz .LBB137_240
	s_branch .LBB137_241
.LBB137_239:                            ;   in Loop: Header=BB137_201 Depth=1
	s_and_not1_saveexec_b32 s0, s0
	s_cbranch_execz .LBB137_241
.LBB137_240:                            ;   in Loop: Header=BB137_201 Depth=1
	v_mul_f64_e64 v[14:15], |v[16:17]|, s[8:9]
	s_delay_alu instid0(VALU_DEP_1) | instskip(NEXT) | instid1(VALU_DEP_1)
	v_rndne_f64_e32 v[38:39], v[14:15]
	v_fma_f64 v[14:15], v[38:39], s[10:11], |v[16:17]|
	v_mul_f64_e32 v[34:35], 0xbc91a62633145c00, v[38:39]
	v_cvt_i32_f64_e32 v37, v[38:39]
	s_delay_alu instid0(VALU_DEP_3) | instskip(NEXT) | instid1(VALU_DEP_3)
	v_fmamk_f64 v[44:45], v[38:39], 0xbc91a62633145c00, v[14:15]
	v_add_f64_e32 v[40:41], v[14:15], v[34:35]
	s_delay_alu instid0(VALU_DEP_1) | instskip(NEXT) | instid1(VALU_DEP_3)
	v_add_f64_e64 v[42:43], v[14:15], -v[40:41]
	v_add_f64_e64 v[14:15], v[40:41], -v[44:45]
	s_delay_alu instid0(VALU_DEP_2) | instskip(SKIP_1) | instid1(VALU_DEP_2)
	v_add_f64_e32 v[40:41], v[42:43], v[34:35]
	v_fmamk_f64 v[34:35], v[38:39], 0x3c91a62633145c00, v[34:35]
	v_add_f64_e32 v[14:15], v[14:15], v[40:41]
	s_delay_alu instid0(VALU_DEP_1) | instskip(NEXT) | instid1(VALU_DEP_1)
	v_add_f64_e64 v[34:35], v[14:15], -v[34:35]
	v_fmac_f64_e32 v[34:35], 0xb97b839a252049c0, v[38:39]
	s_delay_alu instid0(VALU_DEP_1) | instskip(NEXT) | instid1(VALU_DEP_1)
	v_add_f64_e32 v[14:15], v[44:45], v[34:35]
	v_add_f64_e64 v[40:41], v[14:15], -v[44:45]
	s_delay_alu instid0(VALU_DEP_1)
	v_add_f64_e64 v[34:35], v[34:35], -v[40:41]
.LBB137_241:                            ;   in Loop: Header=BB137_201 Depth=1
	s_or_b32 exec_lo, exec_lo, s0
	v_dual_mul_f64 v[38:39], v[6:7], v[6:7] :: v_dual_bitop2_b32 v25, 1, v36 bitop3:0x40
	v_mul_f64_e32 v[40:41], v[14:15], v[14:15]
	s_delay_alu instid0(VALU_DEP_3) | instskip(NEXT) | instid1(VALU_DEP_4)
	v_mul_f64_e32 v[50:51], 0.5, v[8:9]
	v_mul_f64_e32 v[58:59], 0.5, v[34:35]
	v_cmp_class_f64_e64 s0, v[16:17], 0x1f8
	v_cmp_eq_u32_e32 vcc_lo, 0, v25
	v_lshlrev_b32_e32 v16, 30, v37
	s_delay_alu instid0(VALU_DEP_1) | instskip(SKIP_4) | instid1(VALU_DEP_3)
	v_dual_mul_f64 v[42:43], 0.5, v[38:39] :: v_dual_bitop2_b32 v16, v16, v17 bitop3:0x14
	v_mul_f64_e64 v[52:53], v[6:7], -v[38:39]
	v_fmamk_f64 v[56:57], v[38:39], 0x3de5e0b2f9a43bb8, v[30:31]
	v_mul_f64_e64 v[60:61], v[14:15], -v[40:41]
	v_fmamk_f64 v[64:65], v[40:41], 0x3de5e0b2f9a43bb8, v[30:31]
	v_fmaak_f64 v[56:57], v[38:39], v[56:57], 0x3ec71de3796cde01
	s_delay_alu instid0(VALU_DEP_1) | instskip(NEXT) | instid1(VALU_DEP_1)
	v_fmaak_f64 v[56:57], v[38:39], v[56:57], 0xbf2a01a019e83e5c
	v_fmaak_f64 v[56:57], v[38:39], v[56:57], 0x3f81111111110bb3
	v_add_f64_e64 v[46:47], -v[42:43], 1.0
	s_delay_alu instid0(VALU_DEP_2) | instskip(SKIP_1) | instid1(VALU_DEP_3)
	v_fmac_f64_e32 v[50:51], v[52:53], v[56:57]
	v_mul_f64_e32 v[56:57], v[38:39], v[38:39]
	v_add_f64_e64 v[54:55], -v[46:47], 1.0
	s_delay_alu instid0(VALU_DEP_3) | instskip(NEXT) | instid1(VALU_DEP_2)
	v_fma_f64 v[50:51], v[38:39], v[50:51], -v[8:9]
	v_add_f64_e64 v[42:43], v[54:55], -v[42:43]
	v_fmaak_f64 v[54:55], v[40:41], v[64:65], 0x3ec71de3796cde01
	s_delay_alu instid0(VALU_DEP_3) | instskip(NEXT) | instid1(VALU_DEP_2)
	v_fmac_f64_e32 v[50:51], 0xbfc5555555555555, v[52:53]
	v_fmaak_f64 v[54:55], v[40:41], v[54:55], 0xbf2a01a019e83e5c
	s_delay_alu instid0(VALU_DEP_1) | instskip(NEXT) | instid1(VALU_DEP_1)
	v_fmaak_f64 v[54:55], v[40:41], v[54:55], 0x3f81111111110bb3
	v_fmac_f64_e32 v[58:59], v[60:61], v[54:55]
	v_fmamk_f64 v[54:55], v[38:39], 0xbda907db46cc5e42, v[28:29]
	v_fma_f64 v[8:9], v[6:7], -v[8:9], v[42:43]
	s_delay_alu instid0(VALU_DEP_2) | instskip(SKIP_1) | instid1(VALU_DEP_2)
	v_fmaak_f64 v[42:43], v[38:39], v[54:55], 0xbe927e4fa17f65f6
	v_add_f64_e64 v[6:7], v[6:7], -v[50:51]
	v_fmaak_f64 v[42:43], v[38:39], v[42:43], 0x3efa01a019f4ec90
	s_delay_alu instid0(VALU_DEP_1) | instskip(NEXT) | instid1(VALU_DEP_1)
	v_fmaak_f64 v[42:43], v[38:39], v[42:43], 0xbf56c16c16c16967
	v_fmaak_f64 v[38:39], v[38:39], v[42:43], 0x3fa5555555555555
	s_delay_alu instid0(VALU_DEP_1) | instskip(SKIP_1) | instid1(VALU_DEP_2)
	v_fmac_f64_e32 v[8:9], v[56:57], v[38:39]
	v_xor_b32_e32 v7, 0x80000000, v7
	v_add_f64_e32 v[8:9], v[46:47], v[8:9]
	s_delay_alu instid0(VALU_DEP_1) | instskip(SKIP_1) | instid1(VALU_DEP_3)
	v_dual_cndmask_b32 v6, v6, v8, vcc_lo :: v_dual_bitop2_b32 v8, 1, v37 bitop3:0x40
	v_fmamk_f64 v[54:55], v[40:41], 0xbda907db46cc5e42, v[28:29]
	v_dual_fma_f64 v[58:59], v[40:41], v[58:59], -v[34:35] :: v_dual_cndmask_b32 v7, v7, v9, vcc_lo
	s_delay_alu instid0(VALU_DEP_3) | instskip(NEXT) | instid1(VALU_DEP_4)
	v_cndmask_b32_e64 v6, 0, v6, s0
	v_cmp_eq_u32_e64 s1, 0, v8
	v_mul_f64_e32 v[44:45], 0.5, v[40:41]
	v_lshlrev_b32_e32 v8, 30, v36
	v_fmaak_f64 v[42:43], v[40:41], v[54:55], 0xbe927e4fa17f65f6
	s_delay_alu instid0(VALU_DEP_2) | instskip(NEXT) | instid1(VALU_DEP_2)
	v_bitop3_b32 v7, v7, v8, 0x80000000 bitop3:0x78
	v_fmaak_f64 v[38:39], v[40:41], v[42:43], 0x3efa01a019f4ec90
	s_delay_alu instid0(VALU_DEP_2) | instskip(NEXT) | instid1(VALU_DEP_2)
	v_cndmask_b32_e64 v7, 0x7ff80000, v7, s0
	v_fmaak_f64 v[38:39], v[40:41], v[38:39], 0xbf56c16c16c16967
	s_delay_alu instid0(VALU_DEP_1) | instskip(SKIP_2) | instid1(VALU_DEP_1)
	v_fmaak_f64 v[38:39], v[40:41], v[38:39], 0x3fa5555555555555
	v_fmac_f64_e32 v[58:59], 0xbfc5555555555555, v[60:61]
	v_add_f64_e64 v[48:49], -v[44:45], 1.0
	v_add_f64_e64 v[62:63], -v[48:49], 1.0
	s_delay_alu instid0(VALU_DEP_1) | instskip(SKIP_1) | instid1(VALU_DEP_2)
	v_add_f64_e64 v[44:45], v[62:63], -v[44:45]
	v_mul_f64_e32 v[62:63], v[40:41], v[40:41]
	v_fma_f64 v[34:35], v[14:15], -v[34:35], v[44:45]
	v_add_f64_e64 v[14:15], v[14:15], -v[58:59]
	s_delay_alu instid0(VALU_DEP_2) | instskip(NEXT) | instid1(VALU_DEP_1)
	v_fmac_f64_e32 v[34:35], v[62:63], v[38:39]
	v_add_f64_e32 v[34:35], v[48:49], v[34:35]
	s_delay_alu instid0(VALU_DEP_1) | instskip(NEXT) | instid1(VALU_DEP_1)
	v_dual_cndmask_b32 v9, v34, v14, s1 :: v_dual_cndmask_b32 v14, v35, v15, s1
	v_cndmask_b32_e64 v8, 0, v9, s0
	s_delay_alu instid0(VALU_DEP_2) | instskip(NEXT) | instid1(VALU_DEP_1)
	v_bitop3_b32 v14, v14, v16, 0x80000000 bitop3:0x78
	v_cndmask_b32_e64 v9, 0x7ff80000, v14, s0
.LBB137_242:                            ;   in Loop: Header=BB137_201 Depth=1
	s_or_b32 exec_lo, exec_lo, s2
                                        ; implicit-def: $vgpr14_vgpr15
.LBB137_243:                            ;   in Loop: Header=BB137_201 Depth=1
	s_and_not1_saveexec_b32 s1, s16
	s_cbranch_execz .LBB137_245
; %bb.244:                              ;   in Loop: Header=BB137_201 Depth=1
	v_mul_f64_e32 v[6:7], 0x3ff71547652b82fe, v[14:15]
	v_cmp_nlt_f64_e32 vcc_lo, 0x40900000, v[14:15]
	v_cmp_ngt_f64_e64 s0, 0xc090cc00, v[14:15]
	s_delay_alu instid0(VALU_DEP_3) | instskip(NEXT) | instid1(VALU_DEP_1)
	v_rndne_f64_e32 v[6:7], v[6:7]
	v_fmamk_f64 v[8:9], v[6:7], 0xbfe62e42fefa39ef, v[14:15]
	v_cvt_i32_f64_e32 v25, v[6:7]
	s_delay_alu instid0(VALU_DEP_2) | instskip(NEXT) | instid1(VALU_DEP_1)
	v_fmac_f64_e32 v[8:9], 0xbc7abc9e3b39803f, v[6:7]
	v_fmamk_f64 v[34:35], v[8:9], 0x3e5ade156a5dcb37, v[26:27]
	s_delay_alu instid0(VALU_DEP_1) | instskip(NEXT) | instid1(VALU_DEP_1)
	v_fmaak_f64 v[34:35], v[8:9], v[34:35], 0x3ec71dee623fde64
	v_fmaak_f64 v[34:35], v[8:9], v[34:35], 0x3efa01997c89e6b0
	s_delay_alu instid0(VALU_DEP_1) | instskip(NEXT) | instid1(VALU_DEP_1)
	v_fmaak_f64 v[34:35], v[8:9], v[34:35], 0x3f2a01a014761f6e
	v_fmaak_f64 v[34:35], v[8:9], v[34:35], 0x3f56c16c1852b7b0
	;; [unrolled: 3-line block ×4, first 2 shown]
	s_delay_alu instid0(VALU_DEP_1) | instskip(NEXT) | instid1(VALU_DEP_1)
	v_fma_f64 v[34:35], v[8:9], v[34:35], 1.0
	v_fma_f64 v[6:7], v[8:9], v[34:35], 1.0
	v_mov_b64_e32 v[8:9], v[16:17]
	s_delay_alu instid0(VALU_DEP_2) | instskip(NEXT) | instid1(VALU_DEP_1)
	v_ldexp_f64 v[6:7], v[6:7], v25
	v_cndmask_b32_e32 v7, 0x7ff00000, v7, vcc_lo
	s_and_b32 vcc_lo, s0, vcc_lo
	s_delay_alu instid0(VALU_DEP_1) | instid1(SALU_CYCLE_1)
	v_dual_cndmask_b32 v6, 0, v6, vcc_lo :: v_dual_cndmask_b32 v7, 0, v7, s0
.LBB137_245:                            ;   in Loop: Header=BB137_201 Depth=1
	s_or_b32 exec_lo, exec_lo, s1
	s_wait_loadcnt 0x2
	v_and_b32_e32 v14, 0x7fffffff, v21
	s_delay_alu instid0(VALU_DEP_1) | instskip(NEXT) | instid1(VALU_DEP_1)
	v_or_b32_e32 v15, v14, v20
	v_cmp_ne_u32_e32 vcc_lo, 0, v15
                                        ; implicit-def: $vgpr16_vgpr17
	s_and_saveexec_b32 s0, vcc_lo
	s_delay_alu instid0(SALU_CYCLE_1)
	s_xor_b32 s16, exec_lo, s0
	s_cbranch_execz .LBB137_287
; %bb.246:                              ;   in Loop: Header=BB137_201 Depth=1
	v_and_b32_e32 v25, 0x7fffffff, v19
	s_delay_alu instid0(VALU_DEP_1) | instskip(NEXT) | instid1(VALU_DEP_1)
	v_or_b32_e32 v15, v25, v18
	v_cmp_ne_u32_e32 vcc_lo, 0, v15
                                        ; implicit-def: $vgpr16_vgpr17
	s_and_saveexec_b32 s0, vcc_lo
	s_delay_alu instid0(SALU_CYCLE_1)
	s_xor_b32 s17, exec_lo, s0
	s_cbranch_execz .LBB137_276
; %bb.247:                              ;   in Loop: Header=BB137_201 Depth=1
	v_cmp_gt_u32_e32 vcc_lo, 0x7ff00000, v14
                                        ; implicit-def: $vgpr16_vgpr17
	s_and_saveexec_b32 s0, vcc_lo
	s_delay_alu instid0(SALU_CYCLE_1)
	s_xor_b32 s18, exec_lo, s0
	s_cbranch_execz .LBB137_269
; %bb.248:                              ;   in Loop: Header=BB137_201 Depth=1
	v_add_nc_u32_e32 v14, 0xbf79d1be, v19
	s_delay_alu instid0(VALU_DEP_1) | instskip(SKIP_1) | instid1(SALU_CYCLE_1)
	v_cmp_lt_u32_e32 vcc_lo, 0x108aa2, v14
                                        ; implicit-def: $vgpr16_vgpr17
	s_and_saveexec_b32 s0, vcc_lo
	s_xor_b32 s19, exec_lo, s0
	s_cbranch_execz .LBB137_258
; %bb.249:                              ;   in Loop: Header=BB137_201 Depth=1
	v_cmp_ngt_f64_e64 s0, 0x41d00000, |v[20:21]|
                                        ; implicit-def: $vgpr38
                                        ; implicit-def: $vgpr14_vgpr15
                                        ; implicit-def: $vgpr16_vgpr17
	s_and_saveexec_b32 s1, s0
	s_delay_alu instid0(SALU_CYCLE_1)
	s_xor_b32 s1, exec_lo, s1
	s_cbranch_execz .LBB137_251
; %bb.250:                              ;   in Loop: Header=BB137_201 Depth=1
	v_ldexp_f64 v[14:15], |v[20:21]|, 0xffffff80
	v_cmp_le_f64_e64 vcc_lo, 0x7b000000, |v[20:21]|
	v_trig_preop_f64 v[16:17], |v[20:21]|, 0
	v_and_b32_e32 v25, 0x7fffffff, v21
	v_trig_preop_f64 v[34:35], |v[20:21]|, 1
	v_trig_preop_f64 v[44:45], |v[20:21]|, 2
	s_delay_alu instid0(VALU_DEP_3) | instskip(NEXT) | instid1(VALU_DEP_1)
	v_dual_cndmask_b32 v15, v25, v15 :: v_dual_cndmask_b32 v14, v20, v14
	v_mul_f64_e32 v[36:37], v[16:17], v[14:15]
	s_delay_alu instid0(VALU_DEP_4) | instskip(NEXT) | instid1(VALU_DEP_4)
	v_mul_f64_e32 v[38:39], v[34:35], v[14:15]
	v_mul_f64_e32 v[50:51], v[44:45], v[14:15]
	s_delay_alu instid0(VALU_DEP_3) | instskip(NEXT) | instid1(VALU_DEP_3)
	v_fma_f64 v[16:17], v[16:17], v[14:15], -v[36:37]
	v_fma_f64 v[34:35], v[34:35], v[14:15], -v[38:39]
	s_delay_alu instid0(VALU_DEP_3) | instskip(NEXT) | instid1(VALU_DEP_3)
	v_fma_f64 v[14:15], v[44:45], v[14:15], -v[50:51]
	v_add_f64_e32 v[40:41], v[38:39], v[16:17]
	s_delay_alu instid0(VALU_DEP_1) | instskip(SKIP_1) | instid1(VALU_DEP_2)
	v_add_f64_e64 v[42:43], v[40:41], -v[38:39]
	v_add_f64_e32 v[48:49], v[36:37], v[40:41]
	v_add_f64_e64 v[46:47], v[40:41], -v[42:43]
	v_add_f64_e64 v[16:17], v[16:17], -v[42:43]
	s_delay_alu instid0(VALU_DEP_3) | instskip(NEXT) | instid1(VALU_DEP_3)
	v_ldexp_f64 v[42:43], v[48:49], -2
	v_add_f64_e64 v[38:39], v[38:39], -v[46:47]
	v_add_f64_e32 v[46:47], v[50:51], v[34:35]
	s_delay_alu instid0(VALU_DEP_3) | instskip(NEXT) | instid1(VALU_DEP_3)
	v_cmp_neq_f64_e64 vcc_lo, 0x7ff00000, |v[42:43]|
	v_add_f64_e32 v[16:17], v[16:17], v[38:39]
	v_fract_f64_e32 v[38:39], v[42:43]
	s_delay_alu instid0(VALU_DEP_1) | instskip(NEXT) | instid1(VALU_DEP_1)
	v_ldexp_f64 v[38:39], v[38:39], 2
	v_dual_add_f64 v[36:37], v[48:49], -v[36:37] :: v_dual_cndmask_b32 v38, 0, v38, vcc_lo
	s_delay_alu instid0(VALU_DEP_1) | instskip(SKIP_1) | instid1(VALU_DEP_1)
	v_dual_add_f64 v[36:37], v[40:41], -v[36:37] :: v_dual_cndmask_b32 v39, 0, v39, vcc_lo
	v_add_f64_e32 v[40:41], v[46:47], v[16:17]
	v_add_f64_e32 v[42:43], v[36:37], v[40:41]
	v_add_f64_e64 v[52:53], v[40:41], -v[46:47]
	s_delay_alu instid0(VALU_DEP_2) | instskip(NEXT) | instid1(VALU_DEP_2)
	v_add_f64_e32 v[48:49], v[42:43], v[38:39]
	v_add_f64_e64 v[58:59], v[40:41], -v[52:53]
	v_add_f64_e64 v[16:17], v[16:17], -v[52:53]
	;; [unrolled: 1-line block ×3, first 2 shown]
	s_delay_alu instid0(VALU_DEP_4) | instskip(SKIP_1) | instid1(VALU_DEP_3)
	v_cmp_gt_f64_e32 vcc_lo, 0, v[48:49]
	v_add_f64_e64 v[48:49], v[46:47], -v[50:51]
	v_add_f64_e64 v[36:37], v[40:41], -v[36:37]
	v_cndmask_b32_e64 v25, 0, 0x40100000, vcc_lo
	s_delay_alu instid0(VALU_DEP_3) | instskip(SKIP_2) | instid1(VALU_DEP_4)
	v_add_f64_e64 v[56:57], v[46:47], -v[48:49]
	v_add_f64_e64 v[34:35], v[34:35], -v[48:49]
	;; [unrolled: 1-line block ×3, first 2 shown]
	v_add_f64_e32 v[38:39], v[38:39], v[24:25]
	s_delay_alu instid0(VALU_DEP_4) | instskip(NEXT) | instid1(VALU_DEP_3)
	v_add_f64_e64 v[48:49], v[50:51], -v[56:57]
	v_add_f64_e32 v[16:17], v[16:17], v[46:47]
	s_delay_alu instid0(VALU_DEP_3) | instskip(NEXT) | instid1(VALU_DEP_3)
	v_add_f64_e32 v[54:55], v[42:43], v[38:39]
	v_add_f64_e32 v[34:35], v[34:35], v[48:49]
	s_delay_alu instid0(VALU_DEP_2) | instskip(NEXT) | instid1(VALU_DEP_2)
	v_cvt_i32_f64_e32 v25, v[54:55]
	v_add_f64_e32 v[16:17], v[34:35], v[16:17]
	s_delay_alu instid0(VALU_DEP_2) | instskip(NEXT) | instid1(VALU_DEP_2)
	v_cvt_f64_i32_e32 v[52:53], v25
	v_add_f64_e32 v[14:15], v[14:15], v[16:17]
	s_delay_alu instid0(VALU_DEP_2) | instskip(NEXT) | instid1(VALU_DEP_2)
	v_add_f64_e64 v[38:39], v[38:39], -v[52:53]
	v_add_f64_e32 v[14:15], v[36:37], v[14:15]
	s_delay_alu instid0(VALU_DEP_2) | instskip(NEXT) | instid1(VALU_DEP_1)
	v_add_f64_e32 v[34:35], v[42:43], v[38:39]
	v_add_f64_e64 v[16:17], v[34:35], -v[38:39]
	v_cmp_le_f64_e32 vcc_lo, 0.5, v[34:35]
	s_delay_alu instid0(VALU_DEP_2) | instskip(SKIP_2) | instid1(VALU_DEP_3)
	v_add_f64_e64 v[16:17], v[42:43], -v[16:17]
	v_add_co_ci_u32_e64 v38, null, 0, v25, vcc_lo
	v_cndmask_b32_e64 v25, 0, 0x3ff00000, vcc_lo
	v_add_f64_e32 v[14:15], v[14:15], v[16:17]
	s_delay_alu instid0(VALU_DEP_2) | instskip(NEXT) | instid1(VALU_DEP_1)
	v_add_f64_e64 v[16:17], v[34:35], -v[24:25]
	v_add_f64_e32 v[34:35], v[16:17], v[14:15]
	s_delay_alu instid0(VALU_DEP_1) | instskip(SKIP_1) | instid1(VALU_DEP_2)
	v_mul_f64_e32 v[36:37], 0x3ff921fb54442d18, v[34:35]
	v_add_f64_e64 v[16:17], v[34:35], -v[16:17]
	v_fma_f64 v[40:41], v[34:35], s[6:7], -v[36:37]
	s_delay_alu instid0(VALU_DEP_2) | instskip(NEXT) | instid1(VALU_DEP_2)
	v_add_f64_e64 v[14:15], v[14:15], -v[16:17]
	v_fmac_f64_e32 v[40:41], 0x3c91a62633145c07, v[34:35]
	s_delay_alu instid0(VALU_DEP_1) | instskip(NEXT) | instid1(VALU_DEP_1)
	v_fmac_f64_e32 v[40:41], 0x3ff921fb54442d18, v[14:15]
	v_add_f64_e32 v[14:15], v[36:37], v[40:41]
	s_delay_alu instid0(VALU_DEP_1) | instskip(NEXT) | instid1(VALU_DEP_1)
	v_add_f64_e64 v[16:17], v[14:15], -v[36:37]
	v_add_f64_e64 v[16:17], v[40:41], -v[16:17]
	s_and_not1_saveexec_b32 s1, s1
	s_cbranch_execz .LBB137_253
	s_branch .LBB137_252
.LBB137_251:                            ;   in Loop: Header=BB137_201 Depth=1
	s_and_not1_saveexec_b32 s1, s1
	s_cbranch_execz .LBB137_253
.LBB137_252:                            ;   in Loop: Header=BB137_201 Depth=1
	v_mul_f64_e64 v[14:15], |v[20:21]|, s[8:9]
	s_delay_alu instid0(VALU_DEP_1) | instskip(NEXT) | instid1(VALU_DEP_1)
	v_rndne_f64_e32 v[34:35], v[14:15]
	v_fma_f64 v[14:15], v[34:35], s[10:11], |v[20:21]|
	v_mul_f64_e32 v[16:17], 0xbc91a62633145c00, v[34:35]
	s_delay_alu instid0(VALU_DEP_2) | instskip(NEXT) | instid1(VALU_DEP_2)
	v_fmamk_f64 v[40:41], v[34:35], 0xbc91a62633145c00, v[14:15]
	v_add_f64_e32 v[36:37], v[14:15], v[16:17]
	s_delay_alu instid0(VALU_DEP_1) | instskip(NEXT) | instid1(VALU_DEP_3)
	v_add_f64_e64 v[38:39], v[14:15], -v[36:37]
	v_add_f64_e64 v[14:15], v[36:37], -v[40:41]
	s_delay_alu instid0(VALU_DEP_2) | instskip(SKIP_2) | instid1(VALU_DEP_3)
	v_add_f64_e32 v[36:37], v[38:39], v[16:17]
	v_fmamk_f64 v[16:17], v[34:35], 0x3c91a62633145c00, v[16:17]
	v_cvt_i32_f64_e32 v38, v[34:35]
	v_add_f64_e32 v[14:15], v[14:15], v[36:37]
	s_delay_alu instid0(VALU_DEP_1) | instskip(NEXT) | instid1(VALU_DEP_1)
	v_add_f64_e64 v[16:17], v[14:15], -v[16:17]
	v_fmac_f64_e32 v[16:17], 0xb97b839a252049c0, v[34:35]
	s_delay_alu instid0(VALU_DEP_1) | instskip(NEXT) | instid1(VALU_DEP_1)
	v_add_f64_e32 v[14:15], v[40:41], v[16:17]
	v_add_f64_e64 v[36:37], v[14:15], -v[40:41]
	s_delay_alu instid0(VALU_DEP_1)
	v_add_f64_e64 v[16:17], v[16:17], -v[36:37]
.LBB137_253:                            ;   in Loop: Header=BB137_201 Depth=1
	s_or_b32 exec_lo, exec_lo, s1
                                        ; implicit-def: $vgpr39
                                        ; implicit-def: $vgpr34_vgpr35
                                        ; implicit-def: $vgpr36_vgpr37
	s_and_saveexec_b32 s1, s0
	s_delay_alu instid0(SALU_CYCLE_1)
	s_xor_b32 s0, exec_lo, s1
	s_cbranch_execz .LBB137_255
; %bb.254:                              ;   in Loop: Header=BB137_201 Depth=1
	v_ldexp_f64 v[34:35], |v[20:21]|, 0xffffff80
	v_cmp_le_f64_e64 vcc_lo, 0x7b000000, |v[20:21]|
	v_trig_preop_f64 v[36:37], |v[20:21]|, 0
	v_and_b32_e32 v25, 0x7fffffff, v21
	v_trig_preop_f64 v[40:41], |v[20:21]|, 1
	v_trig_preop_f64 v[50:51], |v[20:21]|, 2
	s_delay_alu instid0(VALU_DEP_3) | instskip(NEXT) | instid1(VALU_DEP_1)
	v_dual_cndmask_b32 v35, v25, v35 :: v_dual_cndmask_b32 v34, v20, v34
	v_mul_f64_e32 v[42:43], v[36:37], v[34:35]
	s_delay_alu instid0(VALU_DEP_4) | instskip(NEXT) | instid1(VALU_DEP_4)
	v_mul_f64_e32 v[44:45], v[40:41], v[34:35]
	v_mul_f64_e32 v[56:57], v[50:51], v[34:35]
	s_delay_alu instid0(VALU_DEP_3) | instskip(NEXT) | instid1(VALU_DEP_3)
	v_fma_f64 v[36:37], v[36:37], v[34:35], -v[42:43]
	v_fma_f64 v[40:41], v[40:41], v[34:35], -v[44:45]
	s_delay_alu instid0(VALU_DEP_3) | instskip(NEXT) | instid1(VALU_DEP_3)
	v_fma_f64 v[34:35], v[50:51], v[34:35], -v[56:57]
	v_add_f64_e32 v[46:47], v[44:45], v[36:37]
	s_delay_alu instid0(VALU_DEP_1) | instskip(SKIP_1) | instid1(VALU_DEP_2)
	v_add_f64_e64 v[48:49], v[46:47], -v[44:45]
	v_add_f64_e32 v[54:55], v[42:43], v[46:47]
	v_add_f64_e64 v[52:53], v[46:47], -v[48:49]
	v_add_f64_e64 v[36:37], v[36:37], -v[48:49]
	s_delay_alu instid0(VALU_DEP_3) | instskip(NEXT) | instid1(VALU_DEP_3)
	v_ldexp_f64 v[48:49], v[54:55], -2
	v_add_f64_e64 v[44:45], v[44:45], -v[52:53]
	v_add_f64_e32 v[52:53], v[56:57], v[40:41]
	s_delay_alu instid0(VALU_DEP_3) | instskip(NEXT) | instid1(VALU_DEP_3)
	v_cmp_neq_f64_e64 vcc_lo, 0x7ff00000, |v[48:49]|
	v_add_f64_e32 v[36:37], v[36:37], v[44:45]
	v_fract_f64_e32 v[44:45], v[48:49]
	s_delay_alu instid0(VALU_DEP_1) | instskip(NEXT) | instid1(VALU_DEP_1)
	v_ldexp_f64 v[44:45], v[44:45], 2
	v_dual_add_f64 v[42:43], v[54:55], -v[42:43] :: v_dual_cndmask_b32 v45, 0, v45, vcc_lo
	s_delay_alu instid0(VALU_DEP_1) | instskip(SKIP_1) | instid1(VALU_DEP_1)
	v_dual_add_f64 v[42:43], v[46:47], -v[42:43] :: v_dual_cndmask_b32 v44, 0, v44, vcc_lo
	v_add_f64_e32 v[46:47], v[52:53], v[36:37]
	v_add_f64_e32 v[48:49], v[42:43], v[46:47]
	v_add_f64_e64 v[58:59], v[46:47], -v[52:53]
	s_delay_alu instid0(VALU_DEP_2) | instskip(NEXT) | instid1(VALU_DEP_2)
	v_add_f64_e32 v[54:55], v[48:49], v[44:45]
	v_add_f64_e64 v[64:65], v[46:47], -v[58:59]
	v_add_f64_e64 v[36:37], v[36:37], -v[58:59]
	;; [unrolled: 1-line block ×3, first 2 shown]
	s_delay_alu instid0(VALU_DEP_4) | instskip(SKIP_1) | instid1(VALU_DEP_3)
	v_cmp_gt_f64_e32 vcc_lo, 0, v[54:55]
	v_add_f64_e64 v[54:55], v[52:53], -v[56:57]
	v_add_f64_e64 v[42:43], v[46:47], -v[42:43]
	v_cndmask_b32_e64 v25, 0, 0x40100000, vcc_lo
	s_delay_alu instid0(VALU_DEP_3) | instskip(SKIP_2) | instid1(VALU_DEP_4)
	v_add_f64_e64 v[62:63], v[52:53], -v[54:55]
	v_add_f64_e64 v[40:41], v[40:41], -v[54:55]
	v_add_f64_e64 v[52:53], v[52:53], -v[64:65]
	v_add_f64_e32 v[44:45], v[44:45], v[24:25]
	s_delay_alu instid0(VALU_DEP_4) | instskip(NEXT) | instid1(VALU_DEP_3)
	v_add_f64_e64 v[54:55], v[56:57], -v[62:63]
	v_add_f64_e32 v[36:37], v[36:37], v[52:53]
	s_delay_alu instid0(VALU_DEP_3) | instskip(NEXT) | instid1(VALU_DEP_3)
	v_add_f64_e32 v[60:61], v[48:49], v[44:45]
	v_add_f64_e32 v[40:41], v[40:41], v[54:55]
	s_delay_alu instid0(VALU_DEP_2) | instskip(NEXT) | instid1(VALU_DEP_2)
	v_cvt_i32_f64_e32 v25, v[60:61]
	v_add_f64_e32 v[36:37], v[40:41], v[36:37]
	s_delay_alu instid0(VALU_DEP_2) | instskip(NEXT) | instid1(VALU_DEP_2)
	v_cvt_f64_i32_e32 v[58:59], v25
	v_add_f64_e32 v[34:35], v[34:35], v[36:37]
	s_delay_alu instid0(VALU_DEP_2) | instskip(NEXT) | instid1(VALU_DEP_2)
	v_add_f64_e64 v[44:45], v[44:45], -v[58:59]
	v_add_f64_e32 v[34:35], v[42:43], v[34:35]
	s_delay_alu instid0(VALU_DEP_2) | instskip(NEXT) | instid1(VALU_DEP_1)
	v_add_f64_e32 v[40:41], v[48:49], v[44:45]
	v_add_f64_e64 v[36:37], v[40:41], -v[44:45]
	v_cmp_le_f64_e32 vcc_lo, 0.5, v[40:41]
	s_delay_alu instid0(VALU_DEP_2) | instskip(SKIP_2) | instid1(VALU_DEP_3)
	v_add_f64_e64 v[36:37], v[48:49], -v[36:37]
	v_add_co_ci_u32_e64 v39, null, 0, v25, vcc_lo
	v_cndmask_b32_e64 v25, 0, 0x3ff00000, vcc_lo
	v_add_f64_e32 v[34:35], v[34:35], v[36:37]
	s_delay_alu instid0(VALU_DEP_2) | instskip(NEXT) | instid1(VALU_DEP_1)
	v_add_f64_e64 v[36:37], v[40:41], -v[24:25]
	v_add_f64_e32 v[40:41], v[36:37], v[34:35]
	s_delay_alu instid0(VALU_DEP_1) | instskip(SKIP_1) | instid1(VALU_DEP_2)
	v_mul_f64_e32 v[42:43], 0x3ff921fb54442d18, v[40:41]
	v_add_f64_e64 v[36:37], v[40:41], -v[36:37]
	v_fma_f64 v[44:45], v[40:41], s[6:7], -v[42:43]
	s_delay_alu instid0(VALU_DEP_2) | instskip(NEXT) | instid1(VALU_DEP_2)
	v_add_f64_e64 v[34:35], v[34:35], -v[36:37]
	v_fmac_f64_e32 v[44:45], 0x3c91a62633145c07, v[40:41]
	s_delay_alu instid0(VALU_DEP_1) | instskip(NEXT) | instid1(VALU_DEP_1)
	v_fmac_f64_e32 v[44:45], 0x3ff921fb54442d18, v[34:35]
	v_add_f64_e32 v[34:35], v[42:43], v[44:45]
	s_delay_alu instid0(VALU_DEP_1) | instskip(NEXT) | instid1(VALU_DEP_1)
	v_add_f64_e64 v[36:37], v[34:35], -v[42:43]
	v_add_f64_e64 v[36:37], v[44:45], -v[36:37]
	s_and_not1_saveexec_b32 s0, s0
	s_cbranch_execnz .LBB137_256
	s_branch .LBB137_257
.LBB137_255:                            ;   in Loop: Header=BB137_201 Depth=1
	s_and_not1_saveexec_b32 s0, s0
	s_cbranch_execz .LBB137_257
.LBB137_256:                            ;   in Loop: Header=BB137_201 Depth=1
	v_mul_f64_e64 v[34:35], |v[20:21]|, s[8:9]
	s_delay_alu instid0(VALU_DEP_1) | instskip(NEXT) | instid1(VALU_DEP_1)
	v_rndne_f64_e32 v[40:41], v[34:35]
	v_fma_f64 v[34:35], v[40:41], s[10:11], |v[20:21]|
	v_mul_f64_e32 v[36:37], 0xbc91a62633145c00, v[40:41]
	v_cvt_i32_f64_e32 v39, v[40:41]
	s_delay_alu instid0(VALU_DEP_3) | instskip(NEXT) | instid1(VALU_DEP_3)
	v_fmamk_f64 v[46:47], v[40:41], 0xbc91a62633145c00, v[34:35]
	v_add_f64_e32 v[42:43], v[34:35], v[36:37]
	s_delay_alu instid0(VALU_DEP_1) | instskip(NEXT) | instid1(VALU_DEP_3)
	v_add_f64_e64 v[44:45], v[34:35], -v[42:43]
	v_add_f64_e64 v[34:35], v[42:43], -v[46:47]
	s_delay_alu instid0(VALU_DEP_2) | instskip(SKIP_1) | instid1(VALU_DEP_2)
	v_add_f64_e32 v[42:43], v[44:45], v[36:37]
	v_fmamk_f64 v[36:37], v[40:41], 0x3c91a62633145c00, v[36:37]
	v_add_f64_e32 v[34:35], v[34:35], v[42:43]
	s_delay_alu instid0(VALU_DEP_1) | instskip(NEXT) | instid1(VALU_DEP_1)
	v_add_f64_e64 v[36:37], v[34:35], -v[36:37]
	v_fmac_f64_e32 v[36:37], 0xb97b839a252049c0, v[40:41]
	s_delay_alu instid0(VALU_DEP_1) | instskip(NEXT) | instid1(VALU_DEP_1)
	v_add_f64_e32 v[34:35], v[46:47], v[36:37]
	v_add_f64_e64 v[42:43], v[34:35], -v[46:47]
	s_delay_alu instid0(VALU_DEP_1)
	v_add_f64_e64 v[36:37], v[36:37], -v[42:43]
.LBB137_257:                            ;   in Loop: Header=BB137_201 Depth=1
	s_or_b32 exec_lo, exec_lo, s0
	v_mul_f64_e32 v[40:41], 0x3ff71547652b82fe, v[18:19]
	v_cmp_ngt_f64_e64 s2, 0xc090cc00, v[18:19]
	v_mul_f64_e32 v[42:43], v[14:15], v[14:15]
	s_delay_alu instid0(VALU_DEP_4)
	v_mul_f64_e32 v[56:57], 0.5, v[16:17]
	v_mul_f64_e32 v[66:67], 0.5, v[36:37]
	v_cmp_nlt_f64_e64 s1, 0x40900000, v[18:19]
	v_cmp_class_f64_e64 s0, v[20:21], 0x1f8
	v_rndne_f64_e32 v[40:41], v[40:41]
	v_mul_f64_e32 v[46:47], 0.5, v[42:43]
	v_mul_f64_e64 v[58:59], v[14:15], -v[42:43]
	v_fmamk_f64 v[62:63], v[42:43], 0x3de5e0b2f9a43bb8, v[30:31]
	s_delay_alu instid0(VALU_DEP_1) | instskip(NEXT) | instid1(VALU_DEP_1)
	v_fmaak_f64 v[62:63], v[42:43], v[62:63], 0x3ec71de3796cde01
	v_fmaak_f64 v[62:63], v[42:43], v[62:63], 0xbf2a01a019e83e5c
	s_delay_alu instid0(VALU_DEP_1)
	v_fmaak_f64 v[62:63], v[42:43], v[62:63], 0x3f81111111110bb3
	v_fmamk_f64 v[50:51], v[40:41], 0xbfe62e42fefa39ef, v[18:19]
	v_cvt_i32_f64_e32 v25, v[40:41]
	v_add_f64_e64 v[52:53], -v[46:47], 1.0
	v_and_b32_e32 v18, 1, v39
	v_fmac_f64_e32 v[56:57], v[58:59], v[62:63]
	v_lshlrev_b32_e32 v19, 30, v39
	v_fmac_f64_e32 v[50:51], 0xbc7abc9e3b39803f, v[40:41]
	s_delay_alu instid0(VALU_DEP_4) | instskip(SKIP_4) | instid1(VALU_DEP_1)
	v_cmp_eq_u32_e64 s3, 0, v18
	v_lshlrev_b32_e32 v18, 30, v38
	v_add_f64_e64 v[60:61], -v[52:53], 1.0
	v_fma_f64 v[56:57], v[42:43], v[56:57], -v[16:17]
	v_fmamk_f64 v[64:65], v[50:51], 0x3e5ade156a5dcb37, v[26:27]
	v_fmaak_f64 v[64:65], v[50:51], v[64:65], 0x3ec71dee623fde64
	s_delay_alu instid0(VALU_DEP_1) | instskip(NEXT) | instid1(VALU_DEP_1)
	v_fmaak_f64 v[64:65], v[50:51], v[64:65], 0x3efa01997c89e6b0
	v_fmaak_f64 v[64:65], v[50:51], v[64:65], 0x3f2a01a014761f6e
	v_add_f64_e64 v[46:47], v[60:61], -v[46:47]
	s_delay_alu instid0(VALU_DEP_2) | instskip(SKIP_1) | instid1(VALU_DEP_2)
	v_fmaak_f64 v[60:61], v[50:51], v[64:65], 0x3f56c16c1852b7b0
	v_mul_f64_e32 v[64:65], v[42:43], v[42:43]
	v_fmaak_f64 v[60:61], v[50:51], v[60:61], 0x3f81111111122322
	s_delay_alu instid0(VALU_DEP_1) | instskip(NEXT) | instid1(VALU_DEP_1)
	v_fmaak_f64 v[60:61], v[50:51], v[60:61], 0x3fa55555555502a1
	v_fmaak_f64 v[60:61], v[50:51], v[60:61], 0x3fc5555555555511
	s_delay_alu instid0(VALU_DEP_1) | instskip(SKIP_1) | instid1(VALU_DEP_2)
	v_fmaak_f64 v[60:61], v[50:51], v[60:61], 0x3fe000000000000b
	v_fma_f64 v[16:17], v[14:15], -v[16:17], v[46:47]
	v_fma_f64 v[60:61], v[50:51], v[60:61], 1.0
	s_delay_alu instid0(VALU_DEP_1) | instskip(NEXT) | instid1(VALU_DEP_1)
	v_fma_f64 v[40:41], v[50:51], v[60:61], 1.0
	v_ldexp_f64 v[40:41], v[40:41], v25
	v_mul_f64_e32 v[44:45], v[34:35], v[34:35]
	v_and_b32_e32 v25, 1, v38
	s_delay_alu instid0(VALU_DEP_1) | instskip(NEXT) | instid1(VALU_DEP_3)
	v_cmp_eq_u32_e32 vcc_lo, 0, v25
	v_mul_f64_e32 v[48:49], 0.5, v[44:45]
	v_mul_f64_e64 v[68:69], v[34:35], -v[44:45]
	v_fmamk_f64 v[72:73], v[44:45], 0x3de5e0b2f9a43bb8, v[30:31]
	s_delay_alu instid0(VALU_DEP_1) | instskip(NEXT) | instid1(VALU_DEP_1)
	v_fmaak_f64 v[62:63], v[44:45], v[72:73], 0x3ec71de3796cde01
	v_fmaak_f64 v[62:63], v[44:45], v[62:63], 0xbf2a01a019e83e5c
	s_delay_alu instid0(VALU_DEP_1) | instskip(SKIP_1) | instid1(VALU_DEP_2)
	v_fmaak_f64 v[62:63], v[44:45], v[62:63], 0x3f81111111110bb3
	v_add_f64_e64 v[54:55], -v[48:49], 1.0
	v_fmac_f64_e32 v[66:67], v[68:69], v[62:63]
	v_fmamk_f64 v[62:63], v[42:43], 0xbda907db46cc5e42, v[28:29]
	s_delay_alu instid0(VALU_DEP_1) | instskip(SKIP_1) | instid1(VALU_DEP_2)
	v_fmaak_f64 v[46:47], v[42:43], v[62:63], 0xbe927e4fa17f65f6
	v_mul_f64_e32 v[62:63], v[44:45], v[44:45]
	v_fmaak_f64 v[46:47], v[42:43], v[46:47], 0x3efa01a019f4ec90
	s_delay_alu instid0(VALU_DEP_1) | instskip(NEXT) | instid1(VALU_DEP_1)
	v_fmaak_f64 v[46:47], v[42:43], v[46:47], 0xbf56c16c16c16967
	v_fmaak_f64 v[42:43], v[42:43], v[46:47], 0x3fa5555555555555
	v_add_f64_e64 v[70:71], -v[54:55], 1.0
	v_fma_f64 v[46:47], v[44:45], v[66:67], -v[36:37]
	s_delay_alu instid0(VALU_DEP_3) | instskip(NEXT) | instid1(VALU_DEP_3)
	v_fmac_f64_e32 v[16:17], v[64:65], v[42:43]
	v_add_f64_e64 v[48:49], v[70:71], -v[48:49]
	v_fmamk_f64 v[70:71], v[44:45], 0xbda907db46cc5e42, v[28:29]
	s_delay_alu instid0(VALU_DEP_4) | instskip(NEXT) | instid1(VALU_DEP_4)
	v_fmac_f64_e32 v[46:47], 0xbfc5555555555555, v[68:69]
	v_add_f64_e32 v[16:17], v[52:53], v[16:17]
	s_delay_alu instid0(VALU_DEP_4) | instskip(NEXT) | instid1(VALU_DEP_4)
	v_fma_f64 v[36:37], v[34:35], -v[36:37], v[48:49]
	v_fmaak_f64 v[48:49], v[44:45], v[70:71], 0xbe927e4fa17f65f6
	s_delay_alu instid0(VALU_DEP_4) | instskip(NEXT) | instid1(VALU_DEP_2)
	v_add_f64_e64 v[34:35], v[34:35], -v[46:47]
	v_fmaak_f64 v[42:43], v[44:45], v[48:49], 0x3efa01a019f4ec90
	s_delay_alu instid0(VALU_DEP_1) | instskip(NEXT) | instid1(VALU_DEP_1)
	v_fmaak_f64 v[42:43], v[44:45], v[42:43], 0xbf56c16c16c16967
	v_fmaak_f64 v[42:43], v[44:45], v[42:43], 0x3fa5555555555555
	s_delay_alu instid0(VALU_DEP_1) | instskip(NEXT) | instid1(VALU_DEP_1)
	v_fmac_f64_e32 v[36:37], v[62:63], v[42:43]
	v_add_f64_e32 v[36:37], v[54:55], v[36:37]
	s_delay_alu instid0(VALU_DEP_1) | instskip(SKIP_1) | instid1(VALU_DEP_1)
	v_cndmask_b32_e64 v20, v37, v35, s3
	v_fmac_f64_e32 v[56:57], 0xbfc5555555555555, v[58:59]
	v_add_f64_e64 v[14:15], v[14:15], -v[56:57]
	s_delay_alu instid0(VALU_DEP_1) | instskip(NEXT) | instid1(VALU_DEP_2)
	v_xor_b32_e32 v15, 0x80000000, v15
	v_cndmask_b32_e32 v14, v14, v16, vcc_lo
	v_cndmask_b32_e64 v16, 0x7ff00000, v41, s1
	s_delay_alu instid0(VALU_DEP_3) | instskip(SKIP_3) | instid1(VALU_DEP_3)
	v_cndmask_b32_e32 v15, v15, v17, vcc_lo
	v_dual_cndmask_b32 v19, v36, v34, s3 :: v_dual_bitop2_b32 v17, v19, v21 bitop3:0x14
	s_and_b32 vcc_lo, s2, s1
	v_cndmask_b32_e64 v14, 0, v14, s0
	v_bitop3_b32 v15, v15, v18, 0x80000000 bitop3:0x78
	s_delay_alu instid0(VALU_DEP_3) | instskip(SKIP_2) | instid1(VALU_DEP_4)
	v_bitop3_b32 v20, v20, v17, 0x80000000 bitop3:0x78
	v_dual_cndmask_b32 v17, 0, v16, s2 :: v_dual_cndmask_b32 v18, 0, v19, s0
	v_cndmask_b32_e32 v16, 0, v40, vcc_lo
	v_cndmask_b32_e64 v15, 0x7ff80000, v15, s0
	s_delay_alu instid0(VALU_DEP_4) | instskip(NEXT) | instid1(VALU_DEP_2)
	v_cndmask_b32_e64 v19, 0x7ff80000, v20, s0
	v_mul_f64_e32 v[14:15], v[16:17], v[14:15]
	s_delay_alu instid0(VALU_DEP_2)
	v_mul_f64_e32 v[16:17], v[16:17], v[18:19]
                                        ; implicit-def: $vgpr20_vgpr21
.LBB137_258:                            ;   in Loop: Header=BB137_201 Depth=1
	s_and_not1_saveexec_b32 s19, s19
	s_cbranch_execz .LBB137_268
; %bb.259:                              ;   in Loop: Header=BB137_201 Depth=1
	v_cmp_ngt_f64_e64 s0, 0x41d00000, |v[20:21]|
                                        ; implicit-def: $vgpr38
                                        ; implicit-def: $vgpr14_vgpr15
                                        ; implicit-def: $vgpr16_vgpr17
	s_and_saveexec_b32 s1, s0
	s_delay_alu instid0(SALU_CYCLE_1)
	s_xor_b32 s1, exec_lo, s1
	s_cbranch_execz .LBB137_261
; %bb.260:                              ;   in Loop: Header=BB137_201 Depth=1
	v_ldexp_f64 v[14:15], |v[20:21]|, 0xffffff80
	v_cmp_le_f64_e64 vcc_lo, 0x7b000000, |v[20:21]|
	v_trig_preop_f64 v[16:17], |v[20:21]|, 0
	v_and_b32_e32 v25, 0x7fffffff, v21
	v_trig_preop_f64 v[34:35], |v[20:21]|, 1
	v_trig_preop_f64 v[44:45], |v[20:21]|, 2
	s_delay_alu instid0(VALU_DEP_3) | instskip(NEXT) | instid1(VALU_DEP_1)
	v_dual_cndmask_b32 v15, v25, v15 :: v_dual_cndmask_b32 v14, v20, v14
	v_mul_f64_e32 v[36:37], v[16:17], v[14:15]
	s_delay_alu instid0(VALU_DEP_4) | instskip(NEXT) | instid1(VALU_DEP_4)
	v_mul_f64_e32 v[38:39], v[34:35], v[14:15]
	v_mul_f64_e32 v[50:51], v[44:45], v[14:15]
	s_delay_alu instid0(VALU_DEP_3) | instskip(NEXT) | instid1(VALU_DEP_3)
	v_fma_f64 v[16:17], v[16:17], v[14:15], -v[36:37]
	v_fma_f64 v[34:35], v[34:35], v[14:15], -v[38:39]
	s_delay_alu instid0(VALU_DEP_3) | instskip(NEXT) | instid1(VALU_DEP_3)
	v_fma_f64 v[14:15], v[44:45], v[14:15], -v[50:51]
	v_add_f64_e32 v[40:41], v[38:39], v[16:17]
	s_delay_alu instid0(VALU_DEP_1) | instskip(SKIP_1) | instid1(VALU_DEP_2)
	v_add_f64_e64 v[42:43], v[40:41], -v[38:39]
	v_add_f64_e32 v[48:49], v[36:37], v[40:41]
	v_add_f64_e64 v[46:47], v[40:41], -v[42:43]
	v_add_f64_e64 v[16:17], v[16:17], -v[42:43]
	s_delay_alu instid0(VALU_DEP_3) | instskip(NEXT) | instid1(VALU_DEP_3)
	v_ldexp_f64 v[42:43], v[48:49], -2
	v_add_f64_e64 v[38:39], v[38:39], -v[46:47]
	v_add_f64_e32 v[46:47], v[50:51], v[34:35]
	s_delay_alu instid0(VALU_DEP_3) | instskip(NEXT) | instid1(VALU_DEP_3)
	v_cmp_neq_f64_e64 vcc_lo, 0x7ff00000, |v[42:43]|
	v_add_f64_e32 v[16:17], v[16:17], v[38:39]
	v_fract_f64_e32 v[38:39], v[42:43]
	s_delay_alu instid0(VALU_DEP_1) | instskip(NEXT) | instid1(VALU_DEP_1)
	v_ldexp_f64 v[38:39], v[38:39], 2
	v_dual_add_f64 v[36:37], v[48:49], -v[36:37] :: v_dual_cndmask_b32 v38, 0, v38, vcc_lo
	s_delay_alu instid0(VALU_DEP_1) | instskip(SKIP_1) | instid1(VALU_DEP_1)
	v_dual_add_f64 v[36:37], v[40:41], -v[36:37] :: v_dual_cndmask_b32 v39, 0, v39, vcc_lo
	v_add_f64_e32 v[40:41], v[46:47], v[16:17]
	v_add_f64_e32 v[42:43], v[36:37], v[40:41]
	v_add_f64_e64 v[52:53], v[40:41], -v[46:47]
	s_delay_alu instid0(VALU_DEP_2) | instskip(NEXT) | instid1(VALU_DEP_2)
	v_add_f64_e32 v[48:49], v[42:43], v[38:39]
	v_add_f64_e64 v[58:59], v[40:41], -v[52:53]
	v_add_f64_e64 v[16:17], v[16:17], -v[52:53]
	;; [unrolled: 1-line block ×3, first 2 shown]
	s_delay_alu instid0(VALU_DEP_4) | instskip(SKIP_1) | instid1(VALU_DEP_3)
	v_cmp_gt_f64_e32 vcc_lo, 0, v[48:49]
	v_add_f64_e64 v[48:49], v[46:47], -v[50:51]
	v_add_f64_e64 v[36:37], v[40:41], -v[36:37]
	v_cndmask_b32_e64 v25, 0, 0x40100000, vcc_lo
	s_delay_alu instid0(VALU_DEP_3) | instskip(SKIP_2) | instid1(VALU_DEP_4)
	v_add_f64_e64 v[56:57], v[46:47], -v[48:49]
	v_add_f64_e64 v[34:35], v[34:35], -v[48:49]
	;; [unrolled: 1-line block ×3, first 2 shown]
	v_add_f64_e32 v[38:39], v[38:39], v[24:25]
	s_delay_alu instid0(VALU_DEP_4) | instskip(NEXT) | instid1(VALU_DEP_3)
	v_add_f64_e64 v[48:49], v[50:51], -v[56:57]
	v_add_f64_e32 v[16:17], v[16:17], v[46:47]
	s_delay_alu instid0(VALU_DEP_3) | instskip(NEXT) | instid1(VALU_DEP_3)
	v_add_f64_e32 v[54:55], v[42:43], v[38:39]
	v_add_f64_e32 v[34:35], v[34:35], v[48:49]
	s_delay_alu instid0(VALU_DEP_2) | instskip(NEXT) | instid1(VALU_DEP_2)
	v_cvt_i32_f64_e32 v25, v[54:55]
	v_add_f64_e32 v[16:17], v[34:35], v[16:17]
	s_delay_alu instid0(VALU_DEP_2) | instskip(NEXT) | instid1(VALU_DEP_2)
	v_cvt_f64_i32_e32 v[52:53], v25
	v_add_f64_e32 v[14:15], v[14:15], v[16:17]
	s_delay_alu instid0(VALU_DEP_2) | instskip(NEXT) | instid1(VALU_DEP_2)
	v_add_f64_e64 v[38:39], v[38:39], -v[52:53]
	v_add_f64_e32 v[14:15], v[36:37], v[14:15]
	s_delay_alu instid0(VALU_DEP_2) | instskip(NEXT) | instid1(VALU_DEP_1)
	v_add_f64_e32 v[34:35], v[42:43], v[38:39]
	v_add_f64_e64 v[16:17], v[34:35], -v[38:39]
	v_cmp_le_f64_e32 vcc_lo, 0.5, v[34:35]
	s_delay_alu instid0(VALU_DEP_2) | instskip(SKIP_2) | instid1(VALU_DEP_3)
	v_add_f64_e64 v[16:17], v[42:43], -v[16:17]
	v_add_co_ci_u32_e64 v38, null, 0, v25, vcc_lo
	v_cndmask_b32_e64 v25, 0, 0x3ff00000, vcc_lo
	v_add_f64_e32 v[14:15], v[14:15], v[16:17]
	s_delay_alu instid0(VALU_DEP_2) | instskip(NEXT) | instid1(VALU_DEP_1)
	v_add_f64_e64 v[16:17], v[34:35], -v[24:25]
	v_add_f64_e32 v[34:35], v[16:17], v[14:15]
	s_delay_alu instid0(VALU_DEP_1) | instskip(SKIP_1) | instid1(VALU_DEP_2)
	v_mul_f64_e32 v[36:37], 0x3ff921fb54442d18, v[34:35]
	v_add_f64_e64 v[16:17], v[34:35], -v[16:17]
	v_fma_f64 v[40:41], v[34:35], s[6:7], -v[36:37]
	s_delay_alu instid0(VALU_DEP_2) | instskip(NEXT) | instid1(VALU_DEP_2)
	v_add_f64_e64 v[14:15], v[14:15], -v[16:17]
	v_fmac_f64_e32 v[40:41], 0x3c91a62633145c07, v[34:35]
	s_delay_alu instid0(VALU_DEP_1) | instskip(NEXT) | instid1(VALU_DEP_1)
	v_fmac_f64_e32 v[40:41], 0x3ff921fb54442d18, v[14:15]
	v_add_f64_e32 v[14:15], v[36:37], v[40:41]
	s_delay_alu instid0(VALU_DEP_1) | instskip(NEXT) | instid1(VALU_DEP_1)
	v_add_f64_e64 v[16:17], v[14:15], -v[36:37]
	v_add_f64_e64 v[16:17], v[40:41], -v[16:17]
	s_and_not1_saveexec_b32 s1, s1
	s_cbranch_execz .LBB137_263
	s_branch .LBB137_262
.LBB137_261:                            ;   in Loop: Header=BB137_201 Depth=1
	s_and_not1_saveexec_b32 s1, s1
	s_cbranch_execz .LBB137_263
.LBB137_262:                            ;   in Loop: Header=BB137_201 Depth=1
	v_mul_f64_e64 v[14:15], |v[20:21]|, s[8:9]
	s_delay_alu instid0(VALU_DEP_1) | instskip(NEXT) | instid1(VALU_DEP_1)
	v_rndne_f64_e32 v[34:35], v[14:15]
	v_fma_f64 v[14:15], v[34:35], s[10:11], |v[20:21]|
	v_mul_f64_e32 v[16:17], 0xbc91a62633145c00, v[34:35]
	s_delay_alu instid0(VALU_DEP_2) | instskip(NEXT) | instid1(VALU_DEP_2)
	v_fmamk_f64 v[40:41], v[34:35], 0xbc91a62633145c00, v[14:15]
	v_add_f64_e32 v[36:37], v[14:15], v[16:17]
	s_delay_alu instid0(VALU_DEP_1) | instskip(NEXT) | instid1(VALU_DEP_3)
	v_add_f64_e64 v[38:39], v[14:15], -v[36:37]
	v_add_f64_e64 v[14:15], v[36:37], -v[40:41]
	s_delay_alu instid0(VALU_DEP_2) | instskip(SKIP_2) | instid1(VALU_DEP_3)
	v_add_f64_e32 v[36:37], v[38:39], v[16:17]
	v_fmamk_f64 v[16:17], v[34:35], 0x3c91a62633145c00, v[16:17]
	v_cvt_i32_f64_e32 v38, v[34:35]
	v_add_f64_e32 v[14:15], v[14:15], v[36:37]
	s_delay_alu instid0(VALU_DEP_1) | instskip(NEXT) | instid1(VALU_DEP_1)
	v_add_f64_e64 v[16:17], v[14:15], -v[16:17]
	v_fmac_f64_e32 v[16:17], 0xb97b839a252049c0, v[34:35]
	s_delay_alu instid0(VALU_DEP_1) | instskip(NEXT) | instid1(VALU_DEP_1)
	v_add_f64_e32 v[14:15], v[40:41], v[16:17]
	v_add_f64_e64 v[36:37], v[14:15], -v[40:41]
	s_delay_alu instid0(VALU_DEP_1)
	v_add_f64_e64 v[16:17], v[16:17], -v[36:37]
.LBB137_263:                            ;   in Loop: Header=BB137_201 Depth=1
	s_or_b32 exec_lo, exec_lo, s1
                                        ; implicit-def: $vgpr39
                                        ; implicit-def: $vgpr34_vgpr35
                                        ; implicit-def: $vgpr36_vgpr37
	s_and_saveexec_b32 s1, s0
	s_delay_alu instid0(SALU_CYCLE_1)
	s_xor_b32 s0, exec_lo, s1
	s_cbranch_execz .LBB137_265
; %bb.264:                              ;   in Loop: Header=BB137_201 Depth=1
	v_ldexp_f64 v[34:35], |v[20:21]|, 0xffffff80
	v_cmp_le_f64_e64 vcc_lo, 0x7b000000, |v[20:21]|
	v_trig_preop_f64 v[36:37], |v[20:21]|, 0
	v_and_b32_e32 v25, 0x7fffffff, v21
	v_trig_preop_f64 v[40:41], |v[20:21]|, 1
	v_trig_preop_f64 v[50:51], |v[20:21]|, 2
	s_delay_alu instid0(VALU_DEP_3) | instskip(NEXT) | instid1(VALU_DEP_1)
	v_dual_cndmask_b32 v35, v25, v35 :: v_dual_cndmask_b32 v34, v20, v34
	v_mul_f64_e32 v[42:43], v[36:37], v[34:35]
	s_delay_alu instid0(VALU_DEP_4) | instskip(NEXT) | instid1(VALU_DEP_4)
	v_mul_f64_e32 v[44:45], v[40:41], v[34:35]
	v_mul_f64_e32 v[56:57], v[50:51], v[34:35]
	s_delay_alu instid0(VALU_DEP_3) | instskip(NEXT) | instid1(VALU_DEP_3)
	v_fma_f64 v[36:37], v[36:37], v[34:35], -v[42:43]
	v_fma_f64 v[40:41], v[40:41], v[34:35], -v[44:45]
	s_delay_alu instid0(VALU_DEP_3) | instskip(NEXT) | instid1(VALU_DEP_3)
	v_fma_f64 v[34:35], v[50:51], v[34:35], -v[56:57]
	v_add_f64_e32 v[46:47], v[44:45], v[36:37]
	s_delay_alu instid0(VALU_DEP_1) | instskip(SKIP_1) | instid1(VALU_DEP_2)
	v_add_f64_e64 v[48:49], v[46:47], -v[44:45]
	v_add_f64_e32 v[54:55], v[42:43], v[46:47]
	v_add_f64_e64 v[52:53], v[46:47], -v[48:49]
	v_add_f64_e64 v[36:37], v[36:37], -v[48:49]
	s_delay_alu instid0(VALU_DEP_3) | instskip(NEXT) | instid1(VALU_DEP_3)
	v_ldexp_f64 v[48:49], v[54:55], -2
	v_add_f64_e64 v[44:45], v[44:45], -v[52:53]
	v_add_f64_e32 v[52:53], v[56:57], v[40:41]
	s_delay_alu instid0(VALU_DEP_3) | instskip(NEXT) | instid1(VALU_DEP_3)
	v_cmp_neq_f64_e64 vcc_lo, 0x7ff00000, |v[48:49]|
	v_add_f64_e32 v[36:37], v[36:37], v[44:45]
	v_fract_f64_e32 v[44:45], v[48:49]
	s_delay_alu instid0(VALU_DEP_1) | instskip(NEXT) | instid1(VALU_DEP_1)
	v_ldexp_f64 v[44:45], v[44:45], 2
	v_dual_add_f64 v[42:43], v[54:55], -v[42:43] :: v_dual_cndmask_b32 v45, 0, v45, vcc_lo
	s_delay_alu instid0(VALU_DEP_1) | instskip(SKIP_1) | instid1(VALU_DEP_1)
	v_dual_add_f64 v[42:43], v[46:47], -v[42:43] :: v_dual_cndmask_b32 v44, 0, v44, vcc_lo
	v_add_f64_e32 v[46:47], v[52:53], v[36:37]
	v_add_f64_e32 v[48:49], v[42:43], v[46:47]
	v_add_f64_e64 v[58:59], v[46:47], -v[52:53]
	s_delay_alu instid0(VALU_DEP_2) | instskip(NEXT) | instid1(VALU_DEP_2)
	v_add_f64_e32 v[54:55], v[48:49], v[44:45]
	v_add_f64_e64 v[64:65], v[46:47], -v[58:59]
	v_add_f64_e64 v[36:37], v[36:37], -v[58:59]
	;; [unrolled: 1-line block ×3, first 2 shown]
	s_delay_alu instid0(VALU_DEP_4) | instskip(SKIP_1) | instid1(VALU_DEP_3)
	v_cmp_gt_f64_e32 vcc_lo, 0, v[54:55]
	v_add_f64_e64 v[54:55], v[52:53], -v[56:57]
	v_add_f64_e64 v[42:43], v[46:47], -v[42:43]
	v_cndmask_b32_e64 v25, 0, 0x40100000, vcc_lo
	s_delay_alu instid0(VALU_DEP_3) | instskip(SKIP_2) | instid1(VALU_DEP_4)
	v_add_f64_e64 v[62:63], v[52:53], -v[54:55]
	v_add_f64_e64 v[40:41], v[40:41], -v[54:55]
	;; [unrolled: 1-line block ×3, first 2 shown]
	v_add_f64_e32 v[44:45], v[44:45], v[24:25]
	s_delay_alu instid0(VALU_DEP_4) | instskip(NEXT) | instid1(VALU_DEP_3)
	v_add_f64_e64 v[54:55], v[56:57], -v[62:63]
	v_add_f64_e32 v[36:37], v[36:37], v[52:53]
	s_delay_alu instid0(VALU_DEP_3) | instskip(NEXT) | instid1(VALU_DEP_3)
	v_add_f64_e32 v[60:61], v[48:49], v[44:45]
	v_add_f64_e32 v[40:41], v[40:41], v[54:55]
	s_delay_alu instid0(VALU_DEP_2) | instskip(NEXT) | instid1(VALU_DEP_2)
	v_cvt_i32_f64_e32 v25, v[60:61]
	v_add_f64_e32 v[36:37], v[40:41], v[36:37]
	s_delay_alu instid0(VALU_DEP_2) | instskip(NEXT) | instid1(VALU_DEP_2)
	v_cvt_f64_i32_e32 v[58:59], v25
	v_add_f64_e32 v[34:35], v[34:35], v[36:37]
	s_delay_alu instid0(VALU_DEP_2) | instskip(NEXT) | instid1(VALU_DEP_2)
	v_add_f64_e64 v[44:45], v[44:45], -v[58:59]
	v_add_f64_e32 v[34:35], v[42:43], v[34:35]
	s_delay_alu instid0(VALU_DEP_2) | instskip(NEXT) | instid1(VALU_DEP_1)
	v_add_f64_e32 v[40:41], v[48:49], v[44:45]
	v_add_f64_e64 v[36:37], v[40:41], -v[44:45]
	v_cmp_le_f64_e32 vcc_lo, 0.5, v[40:41]
	s_delay_alu instid0(VALU_DEP_2) | instskip(SKIP_2) | instid1(VALU_DEP_3)
	v_add_f64_e64 v[36:37], v[48:49], -v[36:37]
	v_add_co_ci_u32_e64 v39, null, 0, v25, vcc_lo
	v_cndmask_b32_e64 v25, 0, 0x3ff00000, vcc_lo
	v_add_f64_e32 v[34:35], v[34:35], v[36:37]
	s_delay_alu instid0(VALU_DEP_2) | instskip(NEXT) | instid1(VALU_DEP_1)
	v_add_f64_e64 v[36:37], v[40:41], -v[24:25]
	v_add_f64_e32 v[40:41], v[36:37], v[34:35]
	s_delay_alu instid0(VALU_DEP_1) | instskip(SKIP_1) | instid1(VALU_DEP_2)
	v_mul_f64_e32 v[42:43], 0x3ff921fb54442d18, v[40:41]
	v_add_f64_e64 v[36:37], v[40:41], -v[36:37]
	v_fma_f64 v[44:45], v[40:41], s[6:7], -v[42:43]
	s_delay_alu instid0(VALU_DEP_2) | instskip(NEXT) | instid1(VALU_DEP_2)
	v_add_f64_e64 v[34:35], v[34:35], -v[36:37]
	v_fmac_f64_e32 v[44:45], 0x3c91a62633145c07, v[40:41]
	s_delay_alu instid0(VALU_DEP_1) | instskip(NEXT) | instid1(VALU_DEP_1)
	v_fmac_f64_e32 v[44:45], 0x3ff921fb54442d18, v[34:35]
	v_add_f64_e32 v[34:35], v[42:43], v[44:45]
	s_delay_alu instid0(VALU_DEP_1) | instskip(NEXT) | instid1(VALU_DEP_1)
	v_add_f64_e64 v[36:37], v[34:35], -v[42:43]
	v_add_f64_e64 v[36:37], v[44:45], -v[36:37]
	s_and_not1_saveexec_b32 s0, s0
	s_cbranch_execnz .LBB137_266
	s_branch .LBB137_267
.LBB137_265:                            ;   in Loop: Header=BB137_201 Depth=1
	s_and_not1_saveexec_b32 s0, s0
	s_cbranch_execz .LBB137_267
.LBB137_266:                            ;   in Loop: Header=BB137_201 Depth=1
	v_mul_f64_e64 v[34:35], |v[20:21]|, s[8:9]
	s_delay_alu instid0(VALU_DEP_1) | instskip(NEXT) | instid1(VALU_DEP_1)
	v_rndne_f64_e32 v[40:41], v[34:35]
	v_fma_f64 v[34:35], v[40:41], s[10:11], |v[20:21]|
	v_mul_f64_e32 v[36:37], 0xbc91a62633145c00, v[40:41]
	v_cvt_i32_f64_e32 v39, v[40:41]
	s_delay_alu instid0(VALU_DEP_3) | instskip(NEXT) | instid1(VALU_DEP_3)
	v_fmamk_f64 v[46:47], v[40:41], 0xbc91a62633145c00, v[34:35]
	v_add_f64_e32 v[42:43], v[34:35], v[36:37]
	s_delay_alu instid0(VALU_DEP_1) | instskip(NEXT) | instid1(VALU_DEP_3)
	v_add_f64_e64 v[44:45], v[34:35], -v[42:43]
	v_add_f64_e64 v[34:35], v[42:43], -v[46:47]
	s_delay_alu instid0(VALU_DEP_2) | instskip(SKIP_1) | instid1(VALU_DEP_2)
	v_add_f64_e32 v[42:43], v[44:45], v[36:37]
	v_fmamk_f64 v[36:37], v[40:41], 0x3c91a62633145c00, v[36:37]
	v_add_f64_e32 v[34:35], v[34:35], v[42:43]
	s_delay_alu instid0(VALU_DEP_1) | instskip(NEXT) | instid1(VALU_DEP_1)
	v_add_f64_e64 v[36:37], v[34:35], -v[36:37]
	v_fmac_f64_e32 v[36:37], 0xb97b839a252049c0, v[40:41]
	s_delay_alu instid0(VALU_DEP_1) | instskip(NEXT) | instid1(VALU_DEP_1)
	v_add_f64_e32 v[34:35], v[46:47], v[36:37]
	v_add_f64_e64 v[42:43], v[34:35], -v[46:47]
	s_delay_alu instid0(VALU_DEP_1)
	v_add_f64_e64 v[36:37], v[36:37], -v[42:43]
.LBB137_267:                            ;   in Loop: Header=BB137_201 Depth=1
	s_or_b32 exec_lo, exec_lo, s0
	v_add_f64_e32 v[18:19], 0xc0937be319ba0da4, v[18:19]
	s_delay_alu instid0(VALU_DEP_2) | instskip(NEXT) | instid1(VALU_DEP_3)
	v_mul_f64_e32 v[56:57], 0.5, v[16:17]
	v_mul_f64_e32 v[66:67], 0.5, v[36:37]
	v_cmp_class_f64_e64 s0, v[20:21], 0x1f8
	v_lshlrev_b32_e32 v20, 30, v38
	v_mul_f64_e32 v[40:41], 0x3ff71547652b82fe, v[18:19]
	v_cmp_ngt_f64_e64 s2, 0xc090cc00, v[18:19]
	v_mul_f64_e32 v[42:43], v[14:15], v[14:15]
	v_cmp_nlt_f64_e64 s1, 0x40900000, v[18:19]
	s_delay_alu instid0(VALU_DEP_4) | instskip(NEXT) | instid1(VALU_DEP_3)
	v_rndne_f64_e32 v[40:41], v[40:41]
	v_mul_f64_e32 v[46:47], 0.5, v[42:43]
	v_mul_f64_e64 v[58:59], v[14:15], -v[42:43]
	v_fmamk_f64 v[62:63], v[42:43], 0x3de5e0b2f9a43bb8, v[30:31]
	s_delay_alu instid0(VALU_DEP_1) | instskip(NEXT) | instid1(VALU_DEP_1)
	v_fmaak_f64 v[62:63], v[42:43], v[62:63], 0x3ec71de3796cde01
	v_fmaak_f64 v[62:63], v[42:43], v[62:63], 0xbf2a01a019e83e5c
	s_delay_alu instid0(VALU_DEP_1)
	v_fmaak_f64 v[62:63], v[42:43], v[62:63], 0x3f81111111110bb3
	v_fmamk_f64 v[50:51], v[40:41], 0xbfe62e42fefa39ef, v[18:19]
	v_cvt_i32_f64_e32 v25, v[40:41]
	v_add_f64_e64 v[52:53], -v[46:47], 1.0
	v_and_b32_e32 v18, 1, v39
	v_fmac_f64_e32 v[56:57], v[58:59], v[62:63]
	v_lshlrev_b32_e32 v19, 30, v39
	v_fmac_f64_e32 v[50:51], 0xbc7abc9e3b39803f, v[40:41]
	s_delay_alu instid0(VALU_DEP_4) | instskip(SKIP_2) | instid1(VALU_DEP_4)
	v_cmp_eq_u32_e64 s3, 0, v18
	v_add_f64_e64 v[60:61], -v[52:53], 1.0
	v_fma_f64 v[56:57], v[42:43], v[56:57], -v[16:17]
	v_fmamk_f64 v[64:65], v[50:51], 0x3e5ade156a5dcb37, v[26:27]
	s_delay_alu instid0(VALU_DEP_1) | instskip(NEXT) | instid1(VALU_DEP_1)
	v_fmaak_f64 v[64:65], v[50:51], v[64:65], 0x3ec71dee623fde64
	v_fmaak_f64 v[64:65], v[50:51], v[64:65], 0x3efa01997c89e6b0
	s_delay_alu instid0(VALU_DEP_1) | instskip(SKIP_1) | instid1(VALU_DEP_2)
	v_fmaak_f64 v[64:65], v[50:51], v[64:65], 0x3f2a01a014761f6e
	v_add_f64_e64 v[46:47], v[60:61], -v[46:47]
	v_fmaak_f64 v[60:61], v[50:51], v[64:65], 0x3f56c16c1852b7b0
	v_mul_f64_e32 v[64:65], v[42:43], v[42:43]
	v_fmac_f64_e32 v[56:57], 0xbfc5555555555555, v[58:59]
	s_delay_alu instid0(VALU_DEP_3) | instskip(NEXT) | instid1(VALU_DEP_1)
	v_fmaak_f64 v[60:61], v[50:51], v[60:61], 0x3f81111111122322
	v_fmaak_f64 v[60:61], v[50:51], v[60:61], 0x3fa55555555502a1
	s_delay_alu instid0(VALU_DEP_1) | instskip(NEXT) | instid1(VALU_DEP_1)
	v_fmaak_f64 v[60:61], v[50:51], v[60:61], 0x3fc5555555555511
	v_fmaak_f64 v[60:61], v[50:51], v[60:61], 0x3fe000000000000b
	v_fma_f64 v[16:17], v[14:15], -v[16:17], v[46:47]
	v_add_f64_e64 v[14:15], v[14:15], -v[56:57]
	s_delay_alu instid0(VALU_DEP_3) | instskip(NEXT) | instid1(VALU_DEP_2)
	v_fma_f64 v[60:61], v[50:51], v[60:61], 1.0
	v_xor_b32_e32 v15, 0x80000000, v15
	s_delay_alu instid0(VALU_DEP_2) | instskip(NEXT) | instid1(VALU_DEP_1)
	v_fma_f64 v[40:41], v[50:51], v[60:61], 1.0
	v_ldexp_f64 v[40:41], v[40:41], v25
	v_mul_f64_e32 v[44:45], v[34:35], v[34:35]
	v_and_b32_e32 v25, 1, v38
	s_delay_alu instid0(VALU_DEP_1) | instskip(NEXT) | instid1(VALU_DEP_3)
	v_cmp_eq_u32_e32 vcc_lo, 0, v25
	v_mul_f64_e32 v[48:49], 0.5, v[44:45]
	v_mul_f64_e64 v[68:69], v[34:35], -v[44:45]
	v_fmamk_f64 v[72:73], v[44:45], 0x3de5e0b2f9a43bb8, v[30:31]
	s_delay_alu instid0(VALU_DEP_1) | instskip(NEXT) | instid1(VALU_DEP_1)
	v_fmaak_f64 v[62:63], v[44:45], v[72:73], 0x3ec71de3796cde01
	v_fmaak_f64 v[62:63], v[44:45], v[62:63], 0xbf2a01a019e83e5c
	s_delay_alu instid0(VALU_DEP_1) | instskip(SKIP_1) | instid1(VALU_DEP_2)
	v_fmaak_f64 v[62:63], v[44:45], v[62:63], 0x3f81111111110bb3
	v_add_f64_e64 v[54:55], -v[48:49], 1.0
	v_fmac_f64_e32 v[66:67], v[68:69], v[62:63]
	v_fmamk_f64 v[62:63], v[42:43], 0xbda907db46cc5e42, v[28:29]
	s_delay_alu instid0(VALU_DEP_1) | instskip(SKIP_1) | instid1(VALU_DEP_2)
	v_fmaak_f64 v[46:47], v[42:43], v[62:63], 0xbe927e4fa17f65f6
	v_mul_f64_e32 v[62:63], v[44:45], v[44:45]
	v_fmaak_f64 v[46:47], v[42:43], v[46:47], 0x3efa01a019f4ec90
	s_delay_alu instid0(VALU_DEP_1) | instskip(NEXT) | instid1(VALU_DEP_1)
	v_fmaak_f64 v[46:47], v[42:43], v[46:47], 0xbf56c16c16c16967
	v_fmaak_f64 v[42:43], v[42:43], v[46:47], 0x3fa5555555555555
	v_add_f64_e64 v[70:71], -v[54:55], 1.0
	v_fma_f64 v[46:47], v[44:45], v[66:67], -v[36:37]
	s_delay_alu instid0(VALU_DEP_3) | instskip(NEXT) | instid1(VALU_DEP_3)
	v_fmac_f64_e32 v[16:17], v[64:65], v[42:43]
	v_add_f64_e64 v[48:49], v[70:71], -v[48:49]
	v_fmamk_f64 v[70:71], v[44:45], 0xbda907db46cc5e42, v[28:29]
	s_delay_alu instid0(VALU_DEP_3) | instskip(NEXT) | instid1(VALU_DEP_3)
	v_add_f64_e32 v[16:17], v[52:53], v[16:17]
	v_fma_f64 v[36:37], v[34:35], -v[36:37], v[48:49]
	s_delay_alu instid0(VALU_DEP_3) | instskip(NEXT) | instid1(VALU_DEP_3)
	v_fmaak_f64 v[48:49], v[44:45], v[70:71], 0xbe927e4fa17f65f6
	v_cndmask_b32_e32 v15, v15, v17, vcc_lo
	v_xor_b32_e32 v17, v19, v21
	v_fmac_f64_e32 v[46:47], 0xbfc5555555555555, v[68:69]
	s_delay_alu instid0(VALU_DEP_4) | instskip(SKIP_4) | instid1(VALU_DEP_3)
	v_fmaak_f64 v[42:43], v[44:45], v[48:49], 0x3efa01a019f4ec90
	v_cndmask_b32_e32 v14, v14, v16, vcc_lo
	v_cndmask_b32_e64 v16, 0x7ff00000, v41, s1
	v_bitop3_b32 v15, v15, v20, 0x80000000 bitop3:0x78
	s_and_b32 vcc_lo, s2, s1
	v_cndmask_b32_e64 v14, 0, v14, s0
	v_fmaak_f64 v[42:43], v[44:45], v[42:43], 0xbf56c16c16c16967
	v_cndmask_b32_e64 v20, 0, v16, s2
	v_cndmask_b32_e64 v15, 0x7ff80000, v15, s0
	s_delay_alu instid0(VALU_DEP_3) | instskip(NEXT) | instid1(VALU_DEP_1)
	v_fmaak_f64 v[42:43], v[44:45], v[42:43], 0x3fa5555555555555
	v_fmac_f64_e32 v[36:37], v[62:63], v[42:43]
	v_add_f64_e64 v[34:35], v[34:35], -v[46:47]
	s_delay_alu instid0(VALU_DEP_2) | instskip(NEXT) | instid1(VALU_DEP_1)
	v_add_f64_e32 v[36:37], v[54:55], v[36:37]
	v_dual_cndmask_b32 v19, v37, v35, s3 :: v_dual_cndmask_b32 v18, v36, v34, s3
	s_delay_alu instid0(VALU_DEP_1) | instskip(NEXT) | instid1(VALU_DEP_2)
	v_bitop3_b32 v17, v19, v17, 0x80000000 bitop3:0x78
	v_cndmask_b32_e64 v16, 0, v18, s0
	v_and_or_b32 v19, v20, s14, 0x7fe00000
	v_cndmask_b32_e32 v18, 0, v40, vcc_lo
	v_lshrrev_b32_e32 v20, 20, v20
	v_cndmask_b32_e64 v17, 0x7ff80000, v17, s0
	s_delay_alu instid0(VALU_DEP_3) | instskip(NEXT) | instid1(VALU_DEP_2)
	v_mul_f64_e32 v[14:15], v[18:19], v[14:15]
	v_mul_f64_e32 v[16:17], v[18:19], v[16:17]
	s_delay_alu instid0(VALU_DEP_4) | instskip(NEXT) | instid1(VALU_DEP_1)
	v_add_nc_u32_e32 v18, 0xffffff09, v20
	v_lshrrev_b16 v19, 15, v18
	s_delay_alu instid0(VALU_DEP_1) | instskip(NEXT) | instid1(VALU_DEP_1)
	v_add_nc_u16 v19, v18, v19
	v_ashrrev_i16 v19, 1, v19
	s_delay_alu instid0(VALU_DEP_1) | instskip(NEXT) | instid1(VALU_DEP_1)
	v_bfe_i32 v19, v19, 0, 16
	v_lshl_add_u32 v25, v19, 20, 0x3ff00000
	v_dual_mov_b32 v18, v24 :: v_dual_sub_nc_u32 v19, v18, v19
	s_delay_alu instid0(VALU_DEP_2) | instskip(SKIP_1) | instid1(VALU_DEP_3)
	v_mul_f64_e32 v[14:15], v[14:15], v[24:25]
	v_mul_f64_e32 v[16:17], v[16:17], v[24:25]
	v_lshl_add_u32 v19, v19, 20, 0x3ff00000
	s_delay_alu instid0(VALU_DEP_1) | instskip(NEXT) | instid1(VALU_DEP_3)
	v_mul_f64_e32 v[14:15], v[14:15], v[18:19]
	v_mul_f64_e32 v[16:17], v[16:17], v[18:19]
.LBB137_268:                            ;   in Loop: Header=BB137_201 Depth=1
	s_or_b32 exec_lo, exec_lo, s19
                                        ; implicit-def: $vgpr18_vgpr19
                                        ; implicit-def: $vgpr25
.LBB137_269:                            ;   in Loop: Header=BB137_201 Depth=1
	s_and_not1_saveexec_b32 s1, s18
	s_cbranch_execz .LBB137_275
; %bb.270:                              ;   in Loop: Header=BB137_201 Depth=1
	v_add_f64_e64 v[16:17], v[20:21], -v[20:21]
	v_cmp_ne_u32_e32 vcc_lo, 0, v18
	v_cmp_ne_u32_e64 s0, 0x7ff00000, v25
	s_or_b32 s0, vcc_lo, s0
	s_delay_alu instid0(SALU_CYCLE_1) | instskip(NEXT) | instid1(SALU_CYCLE_1)
	s_and_saveexec_b32 s2, s0
	s_xor_b32 s0, exec_lo, s2
; %bb.271:                              ;   in Loop: Header=BB137_201 Depth=1
                                        ; implicit-def: $vgpr18_vgpr19
; %bb.272:                              ;   in Loop: Header=BB137_201 Depth=1
	s_delay_alu instid0(SALU_CYCLE_1)
	s_or_saveexec_b32 s0, s0
	v_mov_b64_e32 v[14:15], v[16:17]
	s_xor_b32 exec_lo, exec_lo, s0
; %bb.273:                              ;   in Loop: Header=BB137_201 Depth=1
	v_cmp_lt_i64_e32 vcc_lo, -1, v[18:19]
	v_dual_cndmask_b32 v15, 0, v19 :: v_dual_cndmask_b32 v14, 0, v18
	v_dual_cndmask_b32 v17, 0, v17 :: v_dual_cndmask_b32 v16, 0, v16
; %bb.274:                              ;   in Loop: Header=BB137_201 Depth=1
	s_or_b32 exec_lo, exec_lo, s0
.LBB137_275:                            ;   in Loop: Header=BB137_201 Depth=1
	s_delay_alu instid0(SALU_CYCLE_1)
	s_or_b32 exec_lo, exec_lo, s1
                                        ; implicit-def: $vgpr20_vgpr21
.LBB137_276:                            ;   in Loop: Header=BB137_201 Depth=1
	s_and_not1_saveexec_b32 s2, s17
	s_cbranch_execz .LBB137_286
; %bb.277:                              ;   in Loop: Header=BB137_201 Depth=1
	v_cmp_ngt_f64_e64 s0, 0x41d00000, |v[20:21]|
                                        ; implicit-def: $vgpr36
                                        ; implicit-def: $vgpr14_vgpr15
                                        ; implicit-def: $vgpr16_vgpr17
	s_and_saveexec_b32 s1, s0
	s_delay_alu instid0(SALU_CYCLE_1)
	s_xor_b32 s1, exec_lo, s1
	s_cbranch_execz .LBB137_279
; %bb.278:                              ;   in Loop: Header=BB137_201 Depth=1
	v_ldexp_f64 v[14:15], |v[20:21]|, 0xffffff80
	v_cmp_le_f64_e64 vcc_lo, 0x7b000000, |v[20:21]|
	v_trig_preop_f64 v[16:17], |v[20:21]|, 0
	v_and_b32_e32 v18, 0x7fffffff, v21
	v_trig_preop_f64 v[42:43], |v[20:21]|, 2
	s_delay_alu instid0(VALU_DEP_2) | instskip(SKIP_1) | instid1(VALU_DEP_2)
	v_dual_cndmask_b32 v15, v18, v15 :: v_dual_cndmask_b32 v14, v20, v14
	v_trig_preop_f64 v[18:19], |v[20:21]|, 1
	v_mul_f64_e32 v[34:35], v[16:17], v[14:15]
	s_delay_alu instid0(VALU_DEP_4) | instskip(NEXT) | instid1(VALU_DEP_3)
	v_mul_f64_e32 v[48:49], v[42:43], v[14:15]
	v_mul_f64_e32 v[36:37], v[18:19], v[14:15]
	s_delay_alu instid0(VALU_DEP_3) | instskip(NEXT) | instid1(VALU_DEP_2)
	v_fma_f64 v[16:17], v[16:17], v[14:15], -v[34:35]
	v_fma_f64 v[18:19], v[18:19], v[14:15], -v[36:37]
	s_delay_alu instid0(VALU_DEP_4) | instskip(NEXT) | instid1(VALU_DEP_3)
	v_fma_f64 v[14:15], v[42:43], v[14:15], -v[48:49]
	v_add_f64_e32 v[38:39], v[36:37], v[16:17]
	s_delay_alu instid0(VALU_DEP_1) | instskip(SKIP_1) | instid1(VALU_DEP_2)
	v_add_f64_e64 v[40:41], v[38:39], -v[36:37]
	v_add_f64_e32 v[46:47], v[34:35], v[38:39]
	v_add_f64_e64 v[44:45], v[38:39], -v[40:41]
	v_add_f64_e64 v[16:17], v[16:17], -v[40:41]
	s_delay_alu instid0(VALU_DEP_3) | instskip(NEXT) | instid1(VALU_DEP_3)
	v_ldexp_f64 v[40:41], v[46:47], -2
	v_add_f64_e64 v[36:37], v[36:37], -v[44:45]
	v_add_f64_e32 v[44:45], v[48:49], v[18:19]
	s_delay_alu instid0(VALU_DEP_3) | instskip(NEXT) | instid1(VALU_DEP_3)
	v_cmp_neq_f64_e64 vcc_lo, 0x7ff00000, |v[40:41]|
	v_add_f64_e32 v[16:17], v[16:17], v[36:37]
	v_fract_f64_e32 v[36:37], v[40:41]
	s_delay_alu instid0(VALU_DEP_1) | instskip(NEXT) | instid1(VALU_DEP_1)
	v_ldexp_f64 v[36:37], v[36:37], 2
	v_dual_add_f64 v[34:35], v[46:47], -v[34:35] :: v_dual_cndmask_b32 v37, 0, v37, vcc_lo
	s_delay_alu instid0(VALU_DEP_1) | instskip(SKIP_1) | instid1(VALU_DEP_1)
	v_dual_add_f64 v[34:35], v[38:39], -v[34:35] :: v_dual_cndmask_b32 v36, 0, v36, vcc_lo
	v_add_f64_e32 v[38:39], v[44:45], v[16:17]
	v_add_f64_e32 v[40:41], v[34:35], v[38:39]
	v_add_f64_e64 v[50:51], v[38:39], -v[44:45]
	s_delay_alu instid0(VALU_DEP_2) | instskip(NEXT) | instid1(VALU_DEP_2)
	v_add_f64_e32 v[46:47], v[40:41], v[36:37]
	v_add_f64_e64 v[56:57], v[38:39], -v[50:51]
	v_add_f64_e64 v[16:17], v[16:17], -v[50:51]
	;; [unrolled: 1-line block ×3, first 2 shown]
	s_delay_alu instid0(VALU_DEP_4) | instskip(SKIP_1) | instid1(VALU_DEP_3)
	v_cmp_gt_f64_e32 vcc_lo, 0, v[46:47]
	v_add_f64_e64 v[46:47], v[44:45], -v[48:49]
	v_add_f64_e64 v[34:35], v[38:39], -v[34:35]
	v_cndmask_b32_e64 v25, 0, 0x40100000, vcc_lo
	s_delay_alu instid0(VALU_DEP_3) | instskip(SKIP_2) | instid1(VALU_DEP_4)
	v_add_f64_e64 v[54:55], v[44:45], -v[46:47]
	v_add_f64_e64 v[18:19], v[18:19], -v[46:47]
	;; [unrolled: 1-line block ×3, first 2 shown]
	v_add_f64_e32 v[36:37], v[36:37], v[24:25]
	s_delay_alu instid0(VALU_DEP_4) | instskip(NEXT) | instid1(VALU_DEP_3)
	v_add_f64_e64 v[46:47], v[48:49], -v[54:55]
	v_add_f64_e32 v[16:17], v[16:17], v[44:45]
	s_delay_alu instid0(VALU_DEP_3) | instskip(NEXT) | instid1(VALU_DEP_3)
	v_add_f64_e32 v[52:53], v[40:41], v[36:37]
	v_add_f64_e32 v[18:19], v[18:19], v[46:47]
	s_delay_alu instid0(VALU_DEP_2) | instskip(NEXT) | instid1(VALU_DEP_2)
	v_cvt_i32_f64_e32 v25, v[52:53]
	v_add_f64_e32 v[16:17], v[18:19], v[16:17]
	s_delay_alu instid0(VALU_DEP_2) | instskip(NEXT) | instid1(VALU_DEP_2)
	v_cvt_f64_i32_e32 v[50:51], v25
	v_add_f64_e32 v[14:15], v[14:15], v[16:17]
	s_delay_alu instid0(VALU_DEP_2) | instskip(NEXT) | instid1(VALU_DEP_2)
	v_add_f64_e64 v[36:37], v[36:37], -v[50:51]
	v_add_f64_e32 v[14:15], v[34:35], v[14:15]
	s_delay_alu instid0(VALU_DEP_2) | instskip(NEXT) | instid1(VALU_DEP_1)
	v_add_f64_e32 v[18:19], v[40:41], v[36:37]
	v_add_f64_e64 v[16:17], v[18:19], -v[36:37]
	v_cmp_le_f64_e32 vcc_lo, 0.5, v[18:19]
	s_delay_alu instid0(VALU_DEP_2) | instskip(SKIP_2) | instid1(VALU_DEP_3)
	v_add_f64_e64 v[16:17], v[40:41], -v[16:17]
	v_add_co_ci_u32_e64 v36, null, 0, v25, vcc_lo
	v_cndmask_b32_e64 v25, 0, 0x3ff00000, vcc_lo
	v_add_f64_e32 v[14:15], v[14:15], v[16:17]
	s_delay_alu instid0(VALU_DEP_2) | instskip(NEXT) | instid1(VALU_DEP_1)
	v_add_f64_e64 v[16:17], v[18:19], -v[24:25]
	v_add_f64_e32 v[18:19], v[16:17], v[14:15]
	s_delay_alu instid0(VALU_DEP_1) | instskip(SKIP_1) | instid1(VALU_DEP_2)
	v_mul_f64_e32 v[34:35], 0x3ff921fb54442d18, v[18:19]
	v_add_f64_e64 v[16:17], v[18:19], -v[16:17]
	v_fma_f64 v[38:39], v[18:19], s[6:7], -v[34:35]
	s_delay_alu instid0(VALU_DEP_2) | instskip(NEXT) | instid1(VALU_DEP_2)
	v_add_f64_e64 v[14:15], v[14:15], -v[16:17]
	v_fmac_f64_e32 v[38:39], 0x3c91a62633145c07, v[18:19]
	s_delay_alu instid0(VALU_DEP_1) | instskip(NEXT) | instid1(VALU_DEP_1)
	v_fmac_f64_e32 v[38:39], 0x3ff921fb54442d18, v[14:15]
	v_add_f64_e32 v[14:15], v[34:35], v[38:39]
	s_delay_alu instid0(VALU_DEP_1) | instskip(NEXT) | instid1(VALU_DEP_1)
	v_add_f64_e64 v[16:17], v[14:15], -v[34:35]
	v_add_f64_e64 v[16:17], v[38:39], -v[16:17]
	s_and_not1_saveexec_b32 s1, s1
	s_cbranch_execz .LBB137_281
	s_branch .LBB137_280
.LBB137_279:                            ;   in Loop: Header=BB137_201 Depth=1
	s_and_not1_saveexec_b32 s1, s1
	s_cbranch_execz .LBB137_281
.LBB137_280:                            ;   in Loop: Header=BB137_201 Depth=1
	v_mul_f64_e64 v[14:15], |v[20:21]|, s[8:9]
	s_delay_alu instid0(VALU_DEP_1) | instskip(NEXT) | instid1(VALU_DEP_1)
	v_rndne_f64_e32 v[18:19], v[14:15]
	v_fma_f64 v[14:15], v[18:19], s[10:11], |v[20:21]|
	v_mul_f64_e32 v[16:17], 0xbc91a62633145c00, v[18:19]
	s_delay_alu instid0(VALU_DEP_2) | instskip(NEXT) | instid1(VALU_DEP_2)
	v_fmamk_f64 v[38:39], v[18:19], 0xbc91a62633145c00, v[14:15]
	v_add_f64_e32 v[34:35], v[14:15], v[16:17]
	s_delay_alu instid0(VALU_DEP_1) | instskip(NEXT) | instid1(VALU_DEP_3)
	v_add_f64_e64 v[36:37], v[14:15], -v[34:35]
	v_add_f64_e64 v[14:15], v[34:35], -v[38:39]
	s_delay_alu instid0(VALU_DEP_2) | instskip(SKIP_2) | instid1(VALU_DEP_3)
	v_add_f64_e32 v[34:35], v[36:37], v[16:17]
	v_fmamk_f64 v[16:17], v[18:19], 0x3c91a62633145c00, v[16:17]
	v_cvt_i32_f64_e32 v36, v[18:19]
	v_add_f64_e32 v[14:15], v[14:15], v[34:35]
	s_delay_alu instid0(VALU_DEP_1) | instskip(NEXT) | instid1(VALU_DEP_1)
	v_add_f64_e64 v[16:17], v[14:15], -v[16:17]
	v_fmac_f64_e32 v[16:17], 0xb97b839a252049c0, v[18:19]
	s_delay_alu instid0(VALU_DEP_1) | instskip(NEXT) | instid1(VALU_DEP_1)
	v_add_f64_e32 v[14:15], v[38:39], v[16:17]
	v_add_f64_e64 v[34:35], v[14:15], -v[38:39]
	s_delay_alu instid0(VALU_DEP_1)
	v_add_f64_e64 v[16:17], v[16:17], -v[34:35]
.LBB137_281:                            ;   in Loop: Header=BB137_201 Depth=1
	s_or_b32 exec_lo, exec_lo, s1
                                        ; implicit-def: $vgpr37
                                        ; implicit-def: $vgpr18_vgpr19
                                        ; implicit-def: $vgpr34_vgpr35
	s_and_saveexec_b32 s1, s0
	s_delay_alu instid0(SALU_CYCLE_1)
	s_xor_b32 s0, exec_lo, s1
	s_cbranch_execz .LBB137_283
; %bb.282:                              ;   in Loop: Header=BB137_201 Depth=1
	v_ldexp_f64 v[18:19], |v[20:21]|, 0xffffff80
	v_cmp_le_f64_e64 vcc_lo, 0x7b000000, |v[20:21]|
	v_trig_preop_f64 v[34:35], |v[20:21]|, 0
	v_and_b32_e32 v25, 0x7fffffff, v21
	v_trig_preop_f64 v[38:39], |v[20:21]|, 1
	v_trig_preop_f64 v[48:49], |v[20:21]|, 2
	s_delay_alu instid0(VALU_DEP_3) | instskip(NEXT) | instid1(VALU_DEP_1)
	v_dual_cndmask_b32 v19, v25, v19 :: v_dual_cndmask_b32 v18, v20, v18
	v_mul_f64_e32 v[40:41], v[34:35], v[18:19]
	s_delay_alu instid0(VALU_DEP_4) | instskip(NEXT) | instid1(VALU_DEP_4)
	v_mul_f64_e32 v[42:43], v[38:39], v[18:19]
	v_mul_f64_e32 v[54:55], v[48:49], v[18:19]
	s_delay_alu instid0(VALU_DEP_3) | instskip(NEXT) | instid1(VALU_DEP_3)
	v_fma_f64 v[34:35], v[34:35], v[18:19], -v[40:41]
	v_fma_f64 v[38:39], v[38:39], v[18:19], -v[42:43]
	s_delay_alu instid0(VALU_DEP_3) | instskip(NEXT) | instid1(VALU_DEP_3)
	v_fma_f64 v[18:19], v[48:49], v[18:19], -v[54:55]
	v_add_f64_e32 v[44:45], v[42:43], v[34:35]
	s_delay_alu instid0(VALU_DEP_1) | instskip(SKIP_1) | instid1(VALU_DEP_2)
	v_add_f64_e64 v[46:47], v[44:45], -v[42:43]
	v_add_f64_e32 v[52:53], v[40:41], v[44:45]
	v_add_f64_e64 v[50:51], v[44:45], -v[46:47]
	v_add_f64_e64 v[34:35], v[34:35], -v[46:47]
	s_delay_alu instid0(VALU_DEP_3) | instskip(NEXT) | instid1(VALU_DEP_3)
	v_ldexp_f64 v[46:47], v[52:53], -2
	v_add_f64_e64 v[42:43], v[42:43], -v[50:51]
	v_add_f64_e32 v[50:51], v[54:55], v[38:39]
	s_delay_alu instid0(VALU_DEP_3) | instskip(NEXT) | instid1(VALU_DEP_3)
	v_cmp_neq_f64_e64 vcc_lo, 0x7ff00000, |v[46:47]|
	v_add_f64_e32 v[34:35], v[34:35], v[42:43]
	v_fract_f64_e32 v[42:43], v[46:47]
	s_delay_alu instid0(VALU_DEP_1) | instskip(NEXT) | instid1(VALU_DEP_1)
	v_ldexp_f64 v[42:43], v[42:43], 2
	v_dual_add_f64 v[40:41], v[52:53], -v[40:41] :: v_dual_cndmask_b32 v43, 0, v43, vcc_lo
	s_delay_alu instid0(VALU_DEP_1) | instskip(SKIP_1) | instid1(VALU_DEP_1)
	v_dual_add_f64 v[40:41], v[44:45], -v[40:41] :: v_dual_cndmask_b32 v42, 0, v42, vcc_lo
	v_add_f64_e32 v[44:45], v[50:51], v[34:35]
	v_add_f64_e32 v[46:47], v[40:41], v[44:45]
	v_add_f64_e64 v[56:57], v[44:45], -v[50:51]
	s_delay_alu instid0(VALU_DEP_2) | instskip(NEXT) | instid1(VALU_DEP_2)
	v_add_f64_e32 v[52:53], v[46:47], v[42:43]
	v_add_f64_e64 v[62:63], v[44:45], -v[56:57]
	v_add_f64_e64 v[34:35], v[34:35], -v[56:57]
	;; [unrolled: 1-line block ×3, first 2 shown]
	s_delay_alu instid0(VALU_DEP_4) | instskip(SKIP_1) | instid1(VALU_DEP_3)
	v_cmp_gt_f64_e32 vcc_lo, 0, v[52:53]
	v_add_f64_e64 v[52:53], v[50:51], -v[54:55]
	v_add_f64_e64 v[40:41], v[44:45], -v[40:41]
	v_cndmask_b32_e64 v25, 0, 0x40100000, vcc_lo
	s_delay_alu instid0(VALU_DEP_3) | instskip(SKIP_2) | instid1(VALU_DEP_4)
	v_add_f64_e64 v[60:61], v[50:51], -v[52:53]
	v_add_f64_e64 v[38:39], v[38:39], -v[52:53]
	v_add_f64_e64 v[50:51], v[50:51], -v[62:63]
	v_add_f64_e32 v[42:43], v[42:43], v[24:25]
	s_delay_alu instid0(VALU_DEP_4) | instskip(NEXT) | instid1(VALU_DEP_3)
	v_add_f64_e64 v[52:53], v[54:55], -v[60:61]
	v_add_f64_e32 v[34:35], v[34:35], v[50:51]
	s_delay_alu instid0(VALU_DEP_3) | instskip(NEXT) | instid1(VALU_DEP_3)
	v_add_f64_e32 v[58:59], v[46:47], v[42:43]
	v_add_f64_e32 v[38:39], v[38:39], v[52:53]
	s_delay_alu instid0(VALU_DEP_2) | instskip(NEXT) | instid1(VALU_DEP_2)
	v_cvt_i32_f64_e32 v25, v[58:59]
	v_add_f64_e32 v[34:35], v[38:39], v[34:35]
	s_delay_alu instid0(VALU_DEP_2) | instskip(NEXT) | instid1(VALU_DEP_2)
	v_cvt_f64_i32_e32 v[56:57], v25
	v_add_f64_e32 v[18:19], v[18:19], v[34:35]
	s_delay_alu instid0(VALU_DEP_2) | instskip(NEXT) | instid1(VALU_DEP_2)
	v_add_f64_e64 v[42:43], v[42:43], -v[56:57]
	v_add_f64_e32 v[18:19], v[40:41], v[18:19]
	s_delay_alu instid0(VALU_DEP_2) | instskip(NEXT) | instid1(VALU_DEP_1)
	v_add_f64_e32 v[38:39], v[46:47], v[42:43]
	v_add_f64_e64 v[34:35], v[38:39], -v[42:43]
	v_cmp_le_f64_e32 vcc_lo, 0.5, v[38:39]
	s_delay_alu instid0(VALU_DEP_2) | instskip(SKIP_2) | instid1(VALU_DEP_3)
	v_add_f64_e64 v[34:35], v[46:47], -v[34:35]
	v_add_co_ci_u32_e64 v37, null, 0, v25, vcc_lo
	v_cndmask_b32_e64 v25, 0, 0x3ff00000, vcc_lo
	v_add_f64_e32 v[18:19], v[18:19], v[34:35]
	s_delay_alu instid0(VALU_DEP_2) | instskip(NEXT) | instid1(VALU_DEP_1)
	v_add_f64_e64 v[34:35], v[38:39], -v[24:25]
	v_add_f64_e32 v[38:39], v[34:35], v[18:19]
	s_delay_alu instid0(VALU_DEP_1) | instskip(SKIP_1) | instid1(VALU_DEP_2)
	v_mul_f64_e32 v[40:41], 0x3ff921fb54442d18, v[38:39]
	v_add_f64_e64 v[34:35], v[38:39], -v[34:35]
	v_fma_f64 v[42:43], v[38:39], s[6:7], -v[40:41]
	s_delay_alu instid0(VALU_DEP_2) | instskip(NEXT) | instid1(VALU_DEP_2)
	v_add_f64_e64 v[18:19], v[18:19], -v[34:35]
	v_fmac_f64_e32 v[42:43], 0x3c91a62633145c07, v[38:39]
	s_delay_alu instid0(VALU_DEP_1) | instskip(NEXT) | instid1(VALU_DEP_1)
	v_fmac_f64_e32 v[42:43], 0x3ff921fb54442d18, v[18:19]
	v_add_f64_e32 v[18:19], v[40:41], v[42:43]
	s_delay_alu instid0(VALU_DEP_1) | instskip(NEXT) | instid1(VALU_DEP_1)
	v_add_f64_e64 v[34:35], v[18:19], -v[40:41]
	v_add_f64_e64 v[34:35], v[42:43], -v[34:35]
	s_and_not1_saveexec_b32 s0, s0
	s_cbranch_execnz .LBB137_284
	s_branch .LBB137_285
.LBB137_283:                            ;   in Loop: Header=BB137_201 Depth=1
	s_and_not1_saveexec_b32 s0, s0
	s_cbranch_execz .LBB137_285
.LBB137_284:                            ;   in Loop: Header=BB137_201 Depth=1
	v_mul_f64_e64 v[18:19], |v[20:21]|, s[8:9]
	s_delay_alu instid0(VALU_DEP_1) | instskip(NEXT) | instid1(VALU_DEP_1)
	v_rndne_f64_e32 v[38:39], v[18:19]
	v_fma_f64 v[18:19], v[38:39], s[10:11], |v[20:21]|
	v_mul_f64_e32 v[34:35], 0xbc91a62633145c00, v[38:39]
	v_cvt_i32_f64_e32 v37, v[38:39]
	s_delay_alu instid0(VALU_DEP_3) | instskip(NEXT) | instid1(VALU_DEP_3)
	v_fmamk_f64 v[44:45], v[38:39], 0xbc91a62633145c00, v[18:19]
	v_add_f64_e32 v[40:41], v[18:19], v[34:35]
	s_delay_alu instid0(VALU_DEP_1) | instskip(NEXT) | instid1(VALU_DEP_3)
	v_add_f64_e64 v[42:43], v[18:19], -v[40:41]
	v_add_f64_e64 v[18:19], v[40:41], -v[44:45]
	s_delay_alu instid0(VALU_DEP_2) | instskip(SKIP_1) | instid1(VALU_DEP_2)
	v_add_f64_e32 v[40:41], v[42:43], v[34:35]
	v_fmamk_f64 v[34:35], v[38:39], 0x3c91a62633145c00, v[34:35]
	v_add_f64_e32 v[18:19], v[18:19], v[40:41]
	s_delay_alu instid0(VALU_DEP_1) | instskip(NEXT) | instid1(VALU_DEP_1)
	v_add_f64_e64 v[34:35], v[18:19], -v[34:35]
	v_fmac_f64_e32 v[34:35], 0xb97b839a252049c0, v[38:39]
	s_delay_alu instid0(VALU_DEP_1) | instskip(NEXT) | instid1(VALU_DEP_1)
	v_add_f64_e32 v[18:19], v[44:45], v[34:35]
	v_add_f64_e64 v[40:41], v[18:19], -v[44:45]
	s_delay_alu instid0(VALU_DEP_1)
	v_add_f64_e64 v[34:35], v[34:35], -v[40:41]
.LBB137_285:                            ;   in Loop: Header=BB137_201 Depth=1
	s_or_b32 exec_lo, exec_lo, s0
	v_dual_mul_f64 v[38:39], v[14:15], v[14:15] :: v_dual_bitop2_b32 v25, 1, v36 bitop3:0x40
	v_mul_f64_e32 v[40:41], v[18:19], v[18:19]
	s_delay_alu instid0(VALU_DEP_3) | instskip(NEXT) | instid1(VALU_DEP_4)
	v_mul_f64_e32 v[50:51], 0.5, v[16:17]
	v_mul_f64_e32 v[58:59], 0.5, v[34:35]
	v_cmp_class_f64_e64 s0, v[20:21], 0x1f8
	v_cmp_eq_u32_e32 vcc_lo, 0, v25
	v_lshlrev_b32_e32 v20, 30, v37
	s_delay_alu instid0(VALU_DEP_1) | instskip(SKIP_4) | instid1(VALU_DEP_3)
	v_dual_mul_f64 v[42:43], 0.5, v[38:39] :: v_dual_bitop2_b32 v20, v20, v21 bitop3:0x14
	v_mul_f64_e64 v[52:53], v[14:15], -v[38:39]
	v_fmamk_f64 v[56:57], v[38:39], 0x3de5e0b2f9a43bb8, v[30:31]
	v_mul_f64_e64 v[60:61], v[18:19], -v[40:41]
	v_fmamk_f64 v[64:65], v[40:41], 0x3de5e0b2f9a43bb8, v[30:31]
	v_fmaak_f64 v[56:57], v[38:39], v[56:57], 0x3ec71de3796cde01
	s_delay_alu instid0(VALU_DEP_1) | instskip(NEXT) | instid1(VALU_DEP_1)
	v_fmaak_f64 v[56:57], v[38:39], v[56:57], 0xbf2a01a019e83e5c
	v_fmaak_f64 v[56:57], v[38:39], v[56:57], 0x3f81111111110bb3
	v_add_f64_e64 v[46:47], -v[42:43], 1.0
	s_delay_alu instid0(VALU_DEP_2) | instskip(SKIP_1) | instid1(VALU_DEP_3)
	v_fmac_f64_e32 v[50:51], v[52:53], v[56:57]
	v_mul_f64_e32 v[56:57], v[38:39], v[38:39]
	v_add_f64_e64 v[54:55], -v[46:47], 1.0
	s_delay_alu instid0(VALU_DEP_3) | instskip(NEXT) | instid1(VALU_DEP_2)
	v_fma_f64 v[50:51], v[38:39], v[50:51], -v[16:17]
	v_add_f64_e64 v[42:43], v[54:55], -v[42:43]
	v_fmaak_f64 v[54:55], v[40:41], v[64:65], 0x3ec71de3796cde01
	s_delay_alu instid0(VALU_DEP_3) | instskip(NEXT) | instid1(VALU_DEP_2)
	v_fmac_f64_e32 v[50:51], 0xbfc5555555555555, v[52:53]
	v_fmaak_f64 v[54:55], v[40:41], v[54:55], 0xbf2a01a019e83e5c
	s_delay_alu instid0(VALU_DEP_1) | instskip(NEXT) | instid1(VALU_DEP_1)
	v_fmaak_f64 v[54:55], v[40:41], v[54:55], 0x3f81111111110bb3
	v_fmac_f64_e32 v[58:59], v[60:61], v[54:55]
	v_fmamk_f64 v[54:55], v[38:39], 0xbda907db46cc5e42, v[28:29]
	v_fma_f64 v[16:17], v[14:15], -v[16:17], v[42:43]
	s_delay_alu instid0(VALU_DEP_2) | instskip(SKIP_1) | instid1(VALU_DEP_2)
	v_fmaak_f64 v[42:43], v[38:39], v[54:55], 0xbe927e4fa17f65f6
	v_add_f64_e64 v[14:15], v[14:15], -v[50:51]
	v_fmaak_f64 v[42:43], v[38:39], v[42:43], 0x3efa01a019f4ec90
	s_delay_alu instid0(VALU_DEP_1) | instskip(NEXT) | instid1(VALU_DEP_1)
	v_fmaak_f64 v[42:43], v[38:39], v[42:43], 0xbf56c16c16c16967
	v_fmaak_f64 v[38:39], v[38:39], v[42:43], 0x3fa5555555555555
	s_delay_alu instid0(VALU_DEP_1) | instskip(SKIP_1) | instid1(VALU_DEP_2)
	v_fmac_f64_e32 v[16:17], v[56:57], v[38:39]
	v_xor_b32_e32 v15, 0x80000000, v15
	v_add_f64_e32 v[16:17], v[46:47], v[16:17]
	s_delay_alu instid0(VALU_DEP_1) | instskip(SKIP_1) | instid1(VALU_DEP_3)
	v_dual_cndmask_b32 v14, v14, v16, vcc_lo :: v_dual_bitop2_b32 v16, 1, v37 bitop3:0x40
	v_fmamk_f64 v[54:55], v[40:41], 0xbda907db46cc5e42, v[28:29]
	v_dual_fma_f64 v[58:59], v[40:41], v[58:59], -v[34:35] :: v_dual_cndmask_b32 v15, v15, v17, vcc_lo
	s_delay_alu instid0(VALU_DEP_3) | instskip(NEXT) | instid1(VALU_DEP_4)
	v_cndmask_b32_e64 v14, 0, v14, s0
	v_cmp_eq_u32_e64 s1, 0, v16
	v_mul_f64_e32 v[44:45], 0.5, v[40:41]
	v_lshlrev_b32_e32 v16, 30, v36
	v_fmaak_f64 v[42:43], v[40:41], v[54:55], 0xbe927e4fa17f65f6
	s_delay_alu instid0(VALU_DEP_2) | instskip(NEXT) | instid1(VALU_DEP_2)
	v_bitop3_b32 v15, v15, v16, 0x80000000 bitop3:0x78
	v_fmaak_f64 v[38:39], v[40:41], v[42:43], 0x3efa01a019f4ec90
	s_delay_alu instid0(VALU_DEP_2) | instskip(NEXT) | instid1(VALU_DEP_2)
	v_cndmask_b32_e64 v15, 0x7ff80000, v15, s0
	v_fmaak_f64 v[38:39], v[40:41], v[38:39], 0xbf56c16c16c16967
	s_delay_alu instid0(VALU_DEP_1) | instskip(SKIP_2) | instid1(VALU_DEP_1)
	v_fmaak_f64 v[38:39], v[40:41], v[38:39], 0x3fa5555555555555
	v_fmac_f64_e32 v[58:59], 0xbfc5555555555555, v[60:61]
	v_add_f64_e64 v[48:49], -v[44:45], 1.0
	v_add_f64_e64 v[62:63], -v[48:49], 1.0
	s_delay_alu instid0(VALU_DEP_1) | instskip(SKIP_1) | instid1(VALU_DEP_2)
	v_add_f64_e64 v[44:45], v[62:63], -v[44:45]
	v_mul_f64_e32 v[62:63], v[40:41], v[40:41]
	v_fma_f64 v[34:35], v[18:19], -v[34:35], v[44:45]
	v_add_f64_e64 v[18:19], v[18:19], -v[58:59]
	s_delay_alu instid0(VALU_DEP_2) | instskip(NEXT) | instid1(VALU_DEP_1)
	v_fmac_f64_e32 v[34:35], v[62:63], v[38:39]
	v_add_f64_e32 v[34:35], v[48:49], v[34:35]
	s_delay_alu instid0(VALU_DEP_1) | instskip(NEXT) | instid1(VALU_DEP_1)
	v_dual_cndmask_b32 v17, v34, v18, s1 :: v_dual_cndmask_b32 v18, v35, v19, s1
	v_cndmask_b32_e64 v16, 0, v17, s0
	s_delay_alu instid0(VALU_DEP_2) | instskip(NEXT) | instid1(VALU_DEP_1)
	v_bitop3_b32 v18, v18, v20, 0x80000000 bitop3:0x78
	v_cndmask_b32_e64 v17, 0x7ff80000, v18, s0
.LBB137_286:                            ;   in Loop: Header=BB137_201 Depth=1
	s_or_b32 exec_lo, exec_lo, s2
                                        ; implicit-def: $vgpr18_vgpr19
.LBB137_287:                            ;   in Loop: Header=BB137_201 Depth=1
	s_and_not1_saveexec_b32 s1, s16
	s_cbranch_execz .LBB137_289
; %bb.288:                              ;   in Loop: Header=BB137_201 Depth=1
	v_mul_f64_e32 v[14:15], 0x3ff71547652b82fe, v[18:19]
	v_cmp_nlt_f64_e32 vcc_lo, 0x40900000, v[18:19]
	v_cmp_ngt_f64_e64 s0, 0xc090cc00, v[18:19]
	s_delay_alu instid0(VALU_DEP_3) | instskip(NEXT) | instid1(VALU_DEP_1)
	v_rndne_f64_e32 v[14:15], v[14:15]
	v_fmamk_f64 v[16:17], v[14:15], 0xbfe62e42fefa39ef, v[18:19]
	v_cvt_i32_f64_e32 v25, v[14:15]
	s_delay_alu instid0(VALU_DEP_2) | instskip(NEXT) | instid1(VALU_DEP_1)
	v_fmac_f64_e32 v[16:17], 0xbc7abc9e3b39803f, v[14:15]
	v_fmamk_f64 v[34:35], v[16:17], 0x3e5ade156a5dcb37, v[26:27]
	s_delay_alu instid0(VALU_DEP_1) | instskip(NEXT) | instid1(VALU_DEP_1)
	v_fmaak_f64 v[34:35], v[16:17], v[34:35], 0x3ec71dee623fde64
	v_fmaak_f64 v[34:35], v[16:17], v[34:35], 0x3efa01997c89e6b0
	s_delay_alu instid0(VALU_DEP_1) | instskip(NEXT) | instid1(VALU_DEP_1)
	v_fmaak_f64 v[34:35], v[16:17], v[34:35], 0x3f2a01a014761f6e
	v_fmaak_f64 v[34:35], v[16:17], v[34:35], 0x3f56c16c1852b7b0
	;; [unrolled: 3-line block ×4, first 2 shown]
	s_delay_alu instid0(VALU_DEP_1) | instskip(NEXT) | instid1(VALU_DEP_1)
	v_fma_f64 v[34:35], v[16:17], v[34:35], 1.0
	v_fma_f64 v[14:15], v[16:17], v[34:35], 1.0
	v_mov_b64_e32 v[16:17], v[20:21]
	s_delay_alu instid0(VALU_DEP_2) | instskip(NEXT) | instid1(VALU_DEP_1)
	v_ldexp_f64 v[14:15], v[14:15], v25
	v_cndmask_b32_e32 v15, 0x7ff00000, v15, vcc_lo
	s_and_b32 vcc_lo, s0, vcc_lo
	s_delay_alu instid0(VALU_DEP_1) | instid1(SALU_CYCLE_1)
	v_dual_cndmask_b32 v14, 0, v14, vcc_lo :: v_dual_cndmask_b32 v15, 0, v15, s0
.LBB137_289:                            ;   in Loop: Header=BB137_201 Depth=1
	s_or_b32 exec_lo, exec_lo, s1
	s_wait_loadcnt 0x0
	v_and_b32_e32 v18, 0x7fffffff, v13
	s_delay_alu instid0(VALU_DEP_1) | instskip(NEXT) | instid1(VALU_DEP_1)
	v_or_b32_e32 v19, v18, v12
	v_cmp_ne_u32_e32 vcc_lo, 0, v19
                                        ; implicit-def: $vgpr20_vgpr21
	s_and_saveexec_b32 s0, vcc_lo
	s_delay_alu instid0(SALU_CYCLE_1)
	s_xor_b32 s16, exec_lo, s0
	s_cbranch_execz .LBB137_331
; %bb.290:                              ;   in Loop: Header=BB137_201 Depth=1
	v_and_b32_e32 v25, 0x7fffffff, v11
	s_delay_alu instid0(VALU_DEP_1) | instskip(NEXT) | instid1(VALU_DEP_1)
	v_or_b32_e32 v19, v25, v10
	v_cmp_ne_u32_e32 vcc_lo, 0, v19
                                        ; implicit-def: $vgpr20_vgpr21
	s_and_saveexec_b32 s0, vcc_lo
	s_delay_alu instid0(SALU_CYCLE_1)
	s_xor_b32 s17, exec_lo, s0
	s_cbranch_execz .LBB137_320
; %bb.291:                              ;   in Loop: Header=BB137_201 Depth=1
	v_cmp_gt_u32_e32 vcc_lo, 0x7ff00000, v18
                                        ; implicit-def: $vgpr20_vgpr21
	s_and_saveexec_b32 s0, vcc_lo
	s_delay_alu instid0(SALU_CYCLE_1)
	s_xor_b32 s18, exec_lo, s0
	s_cbranch_execz .LBB137_313
; %bb.292:                              ;   in Loop: Header=BB137_201 Depth=1
	v_add_nc_u32_e32 v18, 0xbf79d1be, v11
	s_delay_alu instid0(VALU_DEP_1) | instskip(SKIP_1) | instid1(SALU_CYCLE_1)
	v_cmp_lt_u32_e32 vcc_lo, 0x108aa2, v18
                                        ; implicit-def: $vgpr20_vgpr21
	s_and_saveexec_b32 s0, vcc_lo
	s_xor_b32 s19, exec_lo, s0
	s_cbranch_execz .LBB137_302
; %bb.293:                              ;   in Loop: Header=BB137_201 Depth=1
	v_cmp_ngt_f64_e64 s0, 0x41d00000, |v[12:13]|
                                        ; implicit-def: $vgpr38
                                        ; implicit-def: $vgpr18_vgpr19
                                        ; implicit-def: $vgpr20_vgpr21
	s_and_saveexec_b32 s1, s0
	s_delay_alu instid0(SALU_CYCLE_1)
	s_xor_b32 s1, exec_lo, s1
	s_cbranch_execz .LBB137_295
; %bb.294:                              ;   in Loop: Header=BB137_201 Depth=1
	v_ldexp_f64 v[18:19], |v[12:13]|, 0xffffff80
	v_cmp_le_f64_e64 vcc_lo, 0x7b000000, |v[12:13]|
	v_trig_preop_f64 v[20:21], |v[12:13]|, 0
	v_and_b32_e32 v25, 0x7fffffff, v13
	v_trig_preop_f64 v[34:35], |v[12:13]|, 1
	v_trig_preop_f64 v[44:45], |v[12:13]|, 2
	s_delay_alu instid0(VALU_DEP_3) | instskip(NEXT) | instid1(VALU_DEP_1)
	v_dual_cndmask_b32 v19, v25, v19 :: v_dual_cndmask_b32 v18, v12, v18
	v_mul_f64_e32 v[36:37], v[20:21], v[18:19]
	s_delay_alu instid0(VALU_DEP_4) | instskip(NEXT) | instid1(VALU_DEP_4)
	v_mul_f64_e32 v[38:39], v[34:35], v[18:19]
	v_mul_f64_e32 v[50:51], v[44:45], v[18:19]
	s_delay_alu instid0(VALU_DEP_3) | instskip(NEXT) | instid1(VALU_DEP_3)
	v_fma_f64 v[20:21], v[20:21], v[18:19], -v[36:37]
	v_fma_f64 v[34:35], v[34:35], v[18:19], -v[38:39]
	s_delay_alu instid0(VALU_DEP_3) | instskip(NEXT) | instid1(VALU_DEP_3)
	v_fma_f64 v[18:19], v[44:45], v[18:19], -v[50:51]
	v_add_f64_e32 v[40:41], v[38:39], v[20:21]
	s_delay_alu instid0(VALU_DEP_1) | instskip(SKIP_1) | instid1(VALU_DEP_2)
	v_add_f64_e64 v[42:43], v[40:41], -v[38:39]
	v_add_f64_e32 v[48:49], v[36:37], v[40:41]
	v_add_f64_e64 v[46:47], v[40:41], -v[42:43]
	v_add_f64_e64 v[20:21], v[20:21], -v[42:43]
	s_delay_alu instid0(VALU_DEP_3) | instskip(NEXT) | instid1(VALU_DEP_3)
	v_ldexp_f64 v[42:43], v[48:49], -2
	v_add_f64_e64 v[38:39], v[38:39], -v[46:47]
	v_add_f64_e32 v[46:47], v[50:51], v[34:35]
	s_delay_alu instid0(VALU_DEP_3) | instskip(NEXT) | instid1(VALU_DEP_3)
	v_cmp_neq_f64_e64 vcc_lo, 0x7ff00000, |v[42:43]|
	v_add_f64_e32 v[20:21], v[20:21], v[38:39]
	v_fract_f64_e32 v[38:39], v[42:43]
	s_delay_alu instid0(VALU_DEP_1) | instskip(NEXT) | instid1(VALU_DEP_1)
	v_ldexp_f64 v[38:39], v[38:39], 2
	v_dual_add_f64 v[36:37], v[48:49], -v[36:37] :: v_dual_cndmask_b32 v38, 0, v38, vcc_lo
	s_delay_alu instid0(VALU_DEP_1) | instskip(SKIP_1) | instid1(VALU_DEP_1)
	v_dual_add_f64 v[36:37], v[40:41], -v[36:37] :: v_dual_cndmask_b32 v39, 0, v39, vcc_lo
	v_add_f64_e32 v[40:41], v[46:47], v[20:21]
	v_add_f64_e32 v[42:43], v[36:37], v[40:41]
	v_add_f64_e64 v[52:53], v[40:41], -v[46:47]
	s_delay_alu instid0(VALU_DEP_2) | instskip(NEXT) | instid1(VALU_DEP_2)
	v_add_f64_e32 v[48:49], v[42:43], v[38:39]
	v_add_f64_e64 v[58:59], v[40:41], -v[52:53]
	v_add_f64_e64 v[20:21], v[20:21], -v[52:53]
	;; [unrolled: 1-line block ×3, first 2 shown]
	s_delay_alu instid0(VALU_DEP_4) | instskip(SKIP_1) | instid1(VALU_DEP_3)
	v_cmp_gt_f64_e32 vcc_lo, 0, v[48:49]
	v_add_f64_e64 v[48:49], v[46:47], -v[50:51]
	v_add_f64_e64 v[36:37], v[40:41], -v[36:37]
	v_cndmask_b32_e64 v25, 0, 0x40100000, vcc_lo
	s_delay_alu instid0(VALU_DEP_3) | instskip(SKIP_2) | instid1(VALU_DEP_4)
	v_add_f64_e64 v[56:57], v[46:47], -v[48:49]
	v_add_f64_e64 v[34:35], v[34:35], -v[48:49]
	;; [unrolled: 1-line block ×3, first 2 shown]
	v_add_f64_e32 v[38:39], v[38:39], v[24:25]
	s_delay_alu instid0(VALU_DEP_4) | instskip(NEXT) | instid1(VALU_DEP_3)
	v_add_f64_e64 v[48:49], v[50:51], -v[56:57]
	v_add_f64_e32 v[20:21], v[20:21], v[46:47]
	s_delay_alu instid0(VALU_DEP_3) | instskip(NEXT) | instid1(VALU_DEP_3)
	v_add_f64_e32 v[54:55], v[42:43], v[38:39]
	v_add_f64_e32 v[34:35], v[34:35], v[48:49]
	s_delay_alu instid0(VALU_DEP_2) | instskip(NEXT) | instid1(VALU_DEP_2)
	v_cvt_i32_f64_e32 v25, v[54:55]
	v_add_f64_e32 v[20:21], v[34:35], v[20:21]
	s_delay_alu instid0(VALU_DEP_2) | instskip(NEXT) | instid1(VALU_DEP_2)
	v_cvt_f64_i32_e32 v[52:53], v25
	v_add_f64_e32 v[18:19], v[18:19], v[20:21]
	s_delay_alu instid0(VALU_DEP_2) | instskip(NEXT) | instid1(VALU_DEP_2)
	v_add_f64_e64 v[38:39], v[38:39], -v[52:53]
	v_add_f64_e32 v[18:19], v[36:37], v[18:19]
	s_delay_alu instid0(VALU_DEP_2) | instskip(NEXT) | instid1(VALU_DEP_1)
	v_add_f64_e32 v[34:35], v[42:43], v[38:39]
	v_add_f64_e64 v[20:21], v[34:35], -v[38:39]
	v_cmp_le_f64_e32 vcc_lo, 0.5, v[34:35]
	s_delay_alu instid0(VALU_DEP_2) | instskip(SKIP_2) | instid1(VALU_DEP_3)
	v_add_f64_e64 v[20:21], v[42:43], -v[20:21]
	v_add_co_ci_u32_e64 v38, null, 0, v25, vcc_lo
	v_cndmask_b32_e64 v25, 0, 0x3ff00000, vcc_lo
	v_add_f64_e32 v[18:19], v[18:19], v[20:21]
	s_delay_alu instid0(VALU_DEP_2) | instskip(NEXT) | instid1(VALU_DEP_1)
	v_add_f64_e64 v[20:21], v[34:35], -v[24:25]
	v_add_f64_e32 v[34:35], v[20:21], v[18:19]
	s_delay_alu instid0(VALU_DEP_1) | instskip(SKIP_1) | instid1(VALU_DEP_2)
	v_mul_f64_e32 v[36:37], 0x3ff921fb54442d18, v[34:35]
	v_add_f64_e64 v[20:21], v[34:35], -v[20:21]
	v_fma_f64 v[40:41], v[34:35], s[6:7], -v[36:37]
	s_delay_alu instid0(VALU_DEP_2) | instskip(NEXT) | instid1(VALU_DEP_2)
	v_add_f64_e64 v[18:19], v[18:19], -v[20:21]
	v_fmac_f64_e32 v[40:41], 0x3c91a62633145c07, v[34:35]
	s_delay_alu instid0(VALU_DEP_1) | instskip(NEXT) | instid1(VALU_DEP_1)
	v_fmac_f64_e32 v[40:41], 0x3ff921fb54442d18, v[18:19]
	v_add_f64_e32 v[18:19], v[36:37], v[40:41]
	s_delay_alu instid0(VALU_DEP_1) | instskip(NEXT) | instid1(VALU_DEP_1)
	v_add_f64_e64 v[20:21], v[18:19], -v[36:37]
	v_add_f64_e64 v[20:21], v[40:41], -v[20:21]
	s_and_not1_saveexec_b32 s1, s1
	s_cbranch_execz .LBB137_297
	s_branch .LBB137_296
.LBB137_295:                            ;   in Loop: Header=BB137_201 Depth=1
	s_and_not1_saveexec_b32 s1, s1
	s_cbranch_execz .LBB137_297
.LBB137_296:                            ;   in Loop: Header=BB137_201 Depth=1
	v_mul_f64_e64 v[18:19], |v[12:13]|, s[8:9]
	s_delay_alu instid0(VALU_DEP_1) | instskip(NEXT) | instid1(VALU_DEP_1)
	v_rndne_f64_e32 v[34:35], v[18:19]
	v_fma_f64 v[18:19], v[34:35], s[10:11], |v[12:13]|
	v_mul_f64_e32 v[20:21], 0xbc91a62633145c00, v[34:35]
	s_delay_alu instid0(VALU_DEP_2) | instskip(NEXT) | instid1(VALU_DEP_2)
	v_fmamk_f64 v[40:41], v[34:35], 0xbc91a62633145c00, v[18:19]
	v_add_f64_e32 v[36:37], v[18:19], v[20:21]
	s_delay_alu instid0(VALU_DEP_1) | instskip(NEXT) | instid1(VALU_DEP_3)
	v_add_f64_e64 v[38:39], v[18:19], -v[36:37]
	v_add_f64_e64 v[18:19], v[36:37], -v[40:41]
	s_delay_alu instid0(VALU_DEP_2) | instskip(SKIP_2) | instid1(VALU_DEP_3)
	v_add_f64_e32 v[36:37], v[38:39], v[20:21]
	v_fmamk_f64 v[20:21], v[34:35], 0x3c91a62633145c00, v[20:21]
	v_cvt_i32_f64_e32 v38, v[34:35]
	v_add_f64_e32 v[18:19], v[18:19], v[36:37]
	s_delay_alu instid0(VALU_DEP_1) | instskip(NEXT) | instid1(VALU_DEP_1)
	v_add_f64_e64 v[20:21], v[18:19], -v[20:21]
	v_fmac_f64_e32 v[20:21], 0xb97b839a252049c0, v[34:35]
	s_delay_alu instid0(VALU_DEP_1) | instskip(NEXT) | instid1(VALU_DEP_1)
	v_add_f64_e32 v[18:19], v[40:41], v[20:21]
	v_add_f64_e64 v[36:37], v[18:19], -v[40:41]
	s_delay_alu instid0(VALU_DEP_1)
	v_add_f64_e64 v[20:21], v[20:21], -v[36:37]
.LBB137_297:                            ;   in Loop: Header=BB137_201 Depth=1
	s_or_b32 exec_lo, exec_lo, s1
                                        ; implicit-def: $vgpr39
                                        ; implicit-def: $vgpr34_vgpr35
                                        ; implicit-def: $vgpr36_vgpr37
	s_and_saveexec_b32 s1, s0
	s_delay_alu instid0(SALU_CYCLE_1)
	s_xor_b32 s0, exec_lo, s1
	s_cbranch_execz .LBB137_299
; %bb.298:                              ;   in Loop: Header=BB137_201 Depth=1
	v_ldexp_f64 v[34:35], |v[12:13]|, 0xffffff80
	v_cmp_le_f64_e64 vcc_lo, 0x7b000000, |v[12:13]|
	v_trig_preop_f64 v[36:37], |v[12:13]|, 0
	v_and_b32_e32 v25, 0x7fffffff, v13
	v_trig_preop_f64 v[40:41], |v[12:13]|, 1
	v_trig_preop_f64 v[50:51], |v[12:13]|, 2
	s_delay_alu instid0(VALU_DEP_3) | instskip(NEXT) | instid1(VALU_DEP_1)
	v_dual_cndmask_b32 v35, v25, v35 :: v_dual_cndmask_b32 v34, v12, v34
	v_mul_f64_e32 v[42:43], v[36:37], v[34:35]
	s_delay_alu instid0(VALU_DEP_4) | instskip(NEXT) | instid1(VALU_DEP_4)
	v_mul_f64_e32 v[44:45], v[40:41], v[34:35]
	v_mul_f64_e32 v[56:57], v[50:51], v[34:35]
	s_delay_alu instid0(VALU_DEP_3) | instskip(NEXT) | instid1(VALU_DEP_3)
	v_fma_f64 v[36:37], v[36:37], v[34:35], -v[42:43]
	v_fma_f64 v[40:41], v[40:41], v[34:35], -v[44:45]
	s_delay_alu instid0(VALU_DEP_3) | instskip(NEXT) | instid1(VALU_DEP_3)
	v_fma_f64 v[34:35], v[50:51], v[34:35], -v[56:57]
	v_add_f64_e32 v[46:47], v[44:45], v[36:37]
	s_delay_alu instid0(VALU_DEP_1) | instskip(SKIP_1) | instid1(VALU_DEP_2)
	v_add_f64_e64 v[48:49], v[46:47], -v[44:45]
	v_add_f64_e32 v[54:55], v[42:43], v[46:47]
	v_add_f64_e64 v[52:53], v[46:47], -v[48:49]
	v_add_f64_e64 v[36:37], v[36:37], -v[48:49]
	s_delay_alu instid0(VALU_DEP_3) | instskip(NEXT) | instid1(VALU_DEP_3)
	v_ldexp_f64 v[48:49], v[54:55], -2
	v_add_f64_e64 v[44:45], v[44:45], -v[52:53]
	v_add_f64_e32 v[52:53], v[56:57], v[40:41]
	s_delay_alu instid0(VALU_DEP_3) | instskip(NEXT) | instid1(VALU_DEP_3)
	v_cmp_neq_f64_e64 vcc_lo, 0x7ff00000, |v[48:49]|
	v_add_f64_e32 v[36:37], v[36:37], v[44:45]
	v_fract_f64_e32 v[44:45], v[48:49]
	s_delay_alu instid0(VALU_DEP_1) | instskip(NEXT) | instid1(VALU_DEP_1)
	v_ldexp_f64 v[44:45], v[44:45], 2
	v_dual_add_f64 v[42:43], v[54:55], -v[42:43] :: v_dual_cndmask_b32 v45, 0, v45, vcc_lo
	s_delay_alu instid0(VALU_DEP_1) | instskip(SKIP_1) | instid1(VALU_DEP_1)
	v_dual_add_f64 v[42:43], v[46:47], -v[42:43] :: v_dual_cndmask_b32 v44, 0, v44, vcc_lo
	v_add_f64_e32 v[46:47], v[52:53], v[36:37]
	v_add_f64_e32 v[48:49], v[42:43], v[46:47]
	v_add_f64_e64 v[58:59], v[46:47], -v[52:53]
	s_delay_alu instid0(VALU_DEP_2) | instskip(NEXT) | instid1(VALU_DEP_2)
	v_add_f64_e32 v[54:55], v[48:49], v[44:45]
	v_add_f64_e64 v[64:65], v[46:47], -v[58:59]
	v_add_f64_e64 v[36:37], v[36:37], -v[58:59]
	;; [unrolled: 1-line block ×3, first 2 shown]
	s_delay_alu instid0(VALU_DEP_4) | instskip(SKIP_1) | instid1(VALU_DEP_3)
	v_cmp_gt_f64_e32 vcc_lo, 0, v[54:55]
	v_add_f64_e64 v[54:55], v[52:53], -v[56:57]
	v_add_f64_e64 v[42:43], v[46:47], -v[42:43]
	v_cndmask_b32_e64 v25, 0, 0x40100000, vcc_lo
	s_delay_alu instid0(VALU_DEP_3) | instskip(SKIP_2) | instid1(VALU_DEP_4)
	v_add_f64_e64 v[62:63], v[52:53], -v[54:55]
	v_add_f64_e64 v[40:41], v[40:41], -v[54:55]
	;; [unrolled: 1-line block ×3, first 2 shown]
	v_add_f64_e32 v[44:45], v[44:45], v[24:25]
	s_delay_alu instid0(VALU_DEP_4) | instskip(NEXT) | instid1(VALU_DEP_3)
	v_add_f64_e64 v[54:55], v[56:57], -v[62:63]
	v_add_f64_e32 v[36:37], v[36:37], v[52:53]
	s_delay_alu instid0(VALU_DEP_3) | instskip(NEXT) | instid1(VALU_DEP_3)
	v_add_f64_e32 v[60:61], v[48:49], v[44:45]
	v_add_f64_e32 v[40:41], v[40:41], v[54:55]
	s_delay_alu instid0(VALU_DEP_2) | instskip(NEXT) | instid1(VALU_DEP_2)
	v_cvt_i32_f64_e32 v25, v[60:61]
	v_add_f64_e32 v[36:37], v[40:41], v[36:37]
	s_delay_alu instid0(VALU_DEP_2) | instskip(NEXT) | instid1(VALU_DEP_2)
	v_cvt_f64_i32_e32 v[58:59], v25
	v_add_f64_e32 v[34:35], v[34:35], v[36:37]
	s_delay_alu instid0(VALU_DEP_2) | instskip(NEXT) | instid1(VALU_DEP_2)
	v_add_f64_e64 v[44:45], v[44:45], -v[58:59]
	v_add_f64_e32 v[34:35], v[42:43], v[34:35]
	s_delay_alu instid0(VALU_DEP_2) | instskip(NEXT) | instid1(VALU_DEP_1)
	v_add_f64_e32 v[40:41], v[48:49], v[44:45]
	v_add_f64_e64 v[36:37], v[40:41], -v[44:45]
	v_cmp_le_f64_e32 vcc_lo, 0.5, v[40:41]
	s_delay_alu instid0(VALU_DEP_2) | instskip(SKIP_2) | instid1(VALU_DEP_3)
	v_add_f64_e64 v[36:37], v[48:49], -v[36:37]
	v_add_co_ci_u32_e64 v39, null, 0, v25, vcc_lo
	v_cndmask_b32_e64 v25, 0, 0x3ff00000, vcc_lo
	v_add_f64_e32 v[34:35], v[34:35], v[36:37]
	s_delay_alu instid0(VALU_DEP_2) | instskip(NEXT) | instid1(VALU_DEP_1)
	v_add_f64_e64 v[36:37], v[40:41], -v[24:25]
	v_add_f64_e32 v[40:41], v[36:37], v[34:35]
	s_delay_alu instid0(VALU_DEP_1) | instskip(SKIP_1) | instid1(VALU_DEP_2)
	v_mul_f64_e32 v[42:43], 0x3ff921fb54442d18, v[40:41]
	v_add_f64_e64 v[36:37], v[40:41], -v[36:37]
	v_fma_f64 v[44:45], v[40:41], s[6:7], -v[42:43]
	s_delay_alu instid0(VALU_DEP_2) | instskip(NEXT) | instid1(VALU_DEP_2)
	v_add_f64_e64 v[34:35], v[34:35], -v[36:37]
	v_fmac_f64_e32 v[44:45], 0x3c91a62633145c07, v[40:41]
	s_delay_alu instid0(VALU_DEP_1) | instskip(NEXT) | instid1(VALU_DEP_1)
	v_fmac_f64_e32 v[44:45], 0x3ff921fb54442d18, v[34:35]
	v_add_f64_e32 v[34:35], v[42:43], v[44:45]
	s_delay_alu instid0(VALU_DEP_1) | instskip(NEXT) | instid1(VALU_DEP_1)
	v_add_f64_e64 v[36:37], v[34:35], -v[42:43]
	v_add_f64_e64 v[36:37], v[44:45], -v[36:37]
	s_and_not1_saveexec_b32 s0, s0
	s_cbranch_execnz .LBB137_300
	s_branch .LBB137_301
.LBB137_299:                            ;   in Loop: Header=BB137_201 Depth=1
	s_and_not1_saveexec_b32 s0, s0
	s_cbranch_execz .LBB137_301
.LBB137_300:                            ;   in Loop: Header=BB137_201 Depth=1
	v_mul_f64_e64 v[34:35], |v[12:13]|, s[8:9]
	s_delay_alu instid0(VALU_DEP_1) | instskip(NEXT) | instid1(VALU_DEP_1)
	v_rndne_f64_e32 v[40:41], v[34:35]
	v_fma_f64 v[34:35], v[40:41], s[10:11], |v[12:13]|
	v_mul_f64_e32 v[36:37], 0xbc91a62633145c00, v[40:41]
	v_cvt_i32_f64_e32 v39, v[40:41]
	s_delay_alu instid0(VALU_DEP_3) | instskip(NEXT) | instid1(VALU_DEP_3)
	v_fmamk_f64 v[46:47], v[40:41], 0xbc91a62633145c00, v[34:35]
	v_add_f64_e32 v[42:43], v[34:35], v[36:37]
	s_delay_alu instid0(VALU_DEP_1) | instskip(NEXT) | instid1(VALU_DEP_3)
	v_add_f64_e64 v[44:45], v[34:35], -v[42:43]
	v_add_f64_e64 v[34:35], v[42:43], -v[46:47]
	s_delay_alu instid0(VALU_DEP_2) | instskip(SKIP_1) | instid1(VALU_DEP_2)
	v_add_f64_e32 v[42:43], v[44:45], v[36:37]
	v_fmamk_f64 v[36:37], v[40:41], 0x3c91a62633145c00, v[36:37]
	v_add_f64_e32 v[34:35], v[34:35], v[42:43]
	s_delay_alu instid0(VALU_DEP_1) | instskip(NEXT) | instid1(VALU_DEP_1)
	v_add_f64_e64 v[36:37], v[34:35], -v[36:37]
	v_fmac_f64_e32 v[36:37], 0xb97b839a252049c0, v[40:41]
	s_delay_alu instid0(VALU_DEP_1) | instskip(NEXT) | instid1(VALU_DEP_1)
	v_add_f64_e32 v[34:35], v[46:47], v[36:37]
	v_add_f64_e64 v[42:43], v[34:35], -v[46:47]
	s_delay_alu instid0(VALU_DEP_1)
	v_add_f64_e64 v[36:37], v[36:37], -v[42:43]
.LBB137_301:                            ;   in Loop: Header=BB137_201 Depth=1
	s_or_b32 exec_lo, exec_lo, s0
	v_mul_f64_e32 v[40:41], 0x3ff71547652b82fe, v[10:11]
	v_cmp_ngt_f64_e64 s2, 0xc090cc00, v[10:11]
	v_mul_f64_e32 v[42:43], v[18:19], v[18:19]
	s_delay_alu instid0(VALU_DEP_4)
	v_mul_f64_e32 v[56:57], 0.5, v[20:21]
	v_cmp_nlt_f64_e64 s1, 0x40900000, v[10:11]
	v_mul_f64_e32 v[66:67], 0.5, v[36:37]
	v_cmp_class_f64_e64 s0, v[12:13], 0x1f8
	v_rndne_f64_e32 v[40:41], v[40:41]
	v_mul_f64_e32 v[46:47], 0.5, v[42:43]
	v_mul_f64_e64 v[58:59], v[18:19], -v[42:43]
	v_fmamk_f64 v[62:63], v[42:43], 0x3de5e0b2f9a43bb8, v[30:31]
	s_delay_alu instid0(VALU_DEP_1) | instskip(NEXT) | instid1(VALU_DEP_1)
	v_fmaak_f64 v[62:63], v[42:43], v[62:63], 0x3ec71de3796cde01
	v_fmaak_f64 v[62:63], v[42:43], v[62:63], 0xbf2a01a019e83e5c
	s_delay_alu instid0(VALU_DEP_1)
	v_fmaak_f64 v[62:63], v[42:43], v[62:63], 0x3f81111111110bb3
	v_fmamk_f64 v[50:51], v[40:41], 0xbfe62e42fefa39ef, v[10:11]
	v_cvt_i32_f64_e32 v25, v[40:41]
	v_add_f64_e64 v[52:53], -v[46:47], 1.0
	v_and_b32_e32 v10, 1, v39
	v_fmac_f64_e32 v[56:57], v[58:59], v[62:63]
	v_fmac_f64_e32 v[50:51], 0xbc7abc9e3b39803f, v[40:41]
	s_delay_alu instid0(VALU_DEP_3) | instskip(SKIP_4) | instid1(VALU_DEP_1)
	v_cmp_eq_u32_e64 s3, 0, v10
	v_lshlrev_b32_e32 v10, 30, v38
	v_add_f64_e64 v[60:61], -v[52:53], 1.0
	v_fma_f64 v[56:57], v[42:43], v[56:57], -v[20:21]
	v_fmamk_f64 v[64:65], v[50:51], 0x3e5ade156a5dcb37, v[26:27]
	v_fmaak_f64 v[64:65], v[50:51], v[64:65], 0x3ec71dee623fde64
	s_delay_alu instid0(VALU_DEP_1) | instskip(NEXT) | instid1(VALU_DEP_1)
	v_fmaak_f64 v[64:65], v[50:51], v[64:65], 0x3efa01997c89e6b0
	v_fmaak_f64 v[64:65], v[50:51], v[64:65], 0x3f2a01a014761f6e
	v_add_f64_e64 v[46:47], v[60:61], -v[46:47]
	s_delay_alu instid0(VALU_DEP_2) | instskip(SKIP_2) | instid1(VALU_DEP_3)
	v_fmaak_f64 v[60:61], v[50:51], v[64:65], 0x3f56c16c1852b7b0
	v_fmac_f64_e32 v[56:57], 0xbfc5555555555555, v[58:59]
	v_mul_f64_e32 v[64:65], v[42:43], v[42:43]
	v_fmaak_f64 v[60:61], v[50:51], v[60:61], 0x3f81111111122322
	s_delay_alu instid0(VALU_DEP_1) | instskip(NEXT) | instid1(VALU_DEP_1)
	v_fmaak_f64 v[60:61], v[50:51], v[60:61], 0x3fa55555555502a1
	v_fmaak_f64 v[60:61], v[50:51], v[60:61], 0x3fc5555555555511
	s_delay_alu instid0(VALU_DEP_1) | instskip(SKIP_2) | instid1(VALU_DEP_3)
	v_fmaak_f64 v[60:61], v[50:51], v[60:61], 0x3fe000000000000b
	v_fma_f64 v[20:21], v[18:19], -v[20:21], v[46:47]
	v_add_f64_e64 v[18:19], v[18:19], -v[56:57]
	v_fma_f64 v[60:61], v[50:51], v[60:61], 1.0
	s_delay_alu instid0(VALU_DEP_2) | instskip(SKIP_1) | instid1(VALU_DEP_3)
	v_xor_b32_e32 v11, 0x80000000, v19
	v_lshlrev_b32_e32 v19, 30, v39
	v_fma_f64 v[40:41], v[50:51], v[60:61], 1.0
	s_delay_alu instid0(VALU_DEP_2) | instskip(NEXT) | instid1(VALU_DEP_2)
	v_xor_b32_e32 v13, v19, v13
	v_ldexp_f64 v[40:41], v[40:41], v25
	v_mul_f64_e32 v[44:45], v[34:35], v[34:35]
	v_and_b32_e32 v25, 1, v38
	s_delay_alu instid0(VALU_DEP_1) | instskip(NEXT) | instid1(VALU_DEP_4)
	v_cmp_eq_u32_e32 vcc_lo, 0, v25
	v_cndmask_b32_e64 v12, 0x7ff00000, v41, s1
	s_delay_alu instid0(VALU_DEP_4) | instskip(SKIP_2) | instid1(VALU_DEP_1)
	v_mul_f64_e32 v[48:49], 0.5, v[44:45]
	v_mul_f64_e64 v[68:69], v[34:35], -v[44:45]
	v_fmamk_f64 v[72:73], v[44:45], 0x3de5e0b2f9a43bb8, v[30:31]
	v_fmaak_f64 v[62:63], v[44:45], v[72:73], 0x3ec71de3796cde01
	s_delay_alu instid0(VALU_DEP_1) | instskip(NEXT) | instid1(VALU_DEP_1)
	v_fmaak_f64 v[62:63], v[44:45], v[62:63], 0xbf2a01a019e83e5c
	v_fmaak_f64 v[62:63], v[44:45], v[62:63], 0x3f81111111110bb3
	v_add_f64_e64 v[54:55], -v[48:49], 1.0
	s_delay_alu instid0(VALU_DEP_2) | instskip(SKIP_1) | instid1(VALU_DEP_1)
	v_fmac_f64_e32 v[66:67], v[68:69], v[62:63]
	v_fmamk_f64 v[62:63], v[42:43], 0xbda907db46cc5e42, v[28:29]
	v_fmaak_f64 v[46:47], v[42:43], v[62:63], 0xbe927e4fa17f65f6
	v_mul_f64_e32 v[62:63], v[44:45], v[44:45]
	s_delay_alu instid0(VALU_DEP_2) | instskip(NEXT) | instid1(VALU_DEP_1)
	v_fmaak_f64 v[46:47], v[42:43], v[46:47], 0x3efa01a019f4ec90
	v_fmaak_f64 v[46:47], v[42:43], v[46:47], 0xbf56c16c16c16967
	s_delay_alu instid0(VALU_DEP_1) | instskip(SKIP_2) | instid1(VALU_DEP_3)
	v_fmaak_f64 v[42:43], v[42:43], v[46:47], 0x3fa5555555555555
	v_add_f64_e64 v[70:71], -v[54:55], 1.0
	v_fma_f64 v[46:47], v[44:45], v[66:67], -v[36:37]
	v_fmac_f64_e32 v[20:21], v[64:65], v[42:43]
	s_delay_alu instid0(VALU_DEP_3) | instskip(SKIP_1) | instid1(VALU_DEP_4)
	v_add_f64_e64 v[48:49], v[70:71], -v[48:49]
	v_fmamk_f64 v[70:71], v[44:45], 0xbda907db46cc5e42, v[28:29]
	v_fmac_f64_e32 v[46:47], 0xbfc5555555555555, v[68:69]
	s_delay_alu instid0(VALU_DEP_4) | instskip(NEXT) | instid1(VALU_DEP_4)
	v_add_f64_e32 v[20:21], v[52:53], v[20:21]
	v_fma_f64 v[36:37], v[34:35], -v[36:37], v[48:49]
	s_delay_alu instid0(VALU_DEP_4) | instskip(NEXT) | instid1(VALU_DEP_4)
	v_fmaak_f64 v[48:49], v[44:45], v[70:71], 0xbe927e4fa17f65f6
	v_add_f64_e64 v[34:35], v[34:35], -v[46:47]
	s_delay_alu instid0(VALU_DEP_4) | instskip(SKIP_1) | instid1(VALU_DEP_3)
	v_dual_cndmask_b32 v18, v18, v20 :: v_dual_cndmask_b32 v11, v11, v21
	s_and_b32 vcc_lo, s2, s1
	v_fmaak_f64 v[42:43], v[44:45], v[48:49], 0x3efa01a019f4ec90
	s_delay_alu instid0(VALU_DEP_2) | instskip(NEXT) | instid1(VALU_DEP_3)
	v_bitop3_b32 v11, v11, v10, 0x80000000 bitop3:0x78
	v_cndmask_b32_e64 v10, 0, v18, s0
	s_delay_alu instid0(VALU_DEP_3) | instskip(NEXT) | instid1(VALU_DEP_3)
	v_fmaak_f64 v[42:43], v[44:45], v[42:43], 0xbf56c16c16c16967
	v_cndmask_b32_e64 v11, 0x7ff80000, v11, s0
	s_delay_alu instid0(VALU_DEP_2) | instskip(NEXT) | instid1(VALU_DEP_1)
	v_fmaak_f64 v[42:43], v[44:45], v[42:43], 0x3fa5555555555555
	v_fmac_f64_e32 v[36:37], v[62:63], v[42:43]
	s_delay_alu instid0(VALU_DEP_1) | instskip(NEXT) | instid1(VALU_DEP_1)
	v_add_f64_e32 v[36:37], v[54:55], v[36:37]
	v_dual_cndmask_b32 v20, v37, v35, s3 :: v_dual_cndmask_b32 v19, v36, v34, s3
	s_delay_alu instid0(VALU_DEP_1) | instskip(NEXT) | instid1(VALU_DEP_2)
	v_bitop3_b32 v18, v20, v13, 0x80000000 bitop3:0x78
	v_dual_cndmask_b32 v13, 0, v12, s2 :: v_dual_cndmask_b32 v20, 0, v19, s0
	v_cndmask_b32_e32 v12, 0, v40, vcc_lo
	s_delay_alu instid0(VALU_DEP_3) | instskip(NEXT) | instid1(VALU_DEP_2)
	v_cndmask_b32_e64 v21, 0x7ff80000, v18, s0
	v_mul_f64_e32 v[18:19], v[12:13], v[10:11]
	s_delay_alu instid0(VALU_DEP_2)
	v_mul_f64_e32 v[20:21], v[12:13], v[20:21]
                                        ; implicit-def: $vgpr12_vgpr13
.LBB137_302:                            ;   in Loop: Header=BB137_201 Depth=1
	s_and_not1_saveexec_b32 s19, s19
	s_cbranch_execz .LBB137_312
; %bb.303:                              ;   in Loop: Header=BB137_201 Depth=1
	v_cmp_ngt_f64_e64 s0, 0x41d00000, |v[12:13]|
                                        ; implicit-def: $vgpr38
                                        ; implicit-def: $vgpr18_vgpr19
                                        ; implicit-def: $vgpr20_vgpr21
	s_and_saveexec_b32 s1, s0
	s_delay_alu instid0(SALU_CYCLE_1)
	s_xor_b32 s1, exec_lo, s1
	s_cbranch_execz .LBB137_305
; %bb.304:                              ;   in Loop: Header=BB137_201 Depth=1
	v_ldexp_f64 v[18:19], |v[12:13]|, 0xffffff80
	v_cmp_le_f64_e64 vcc_lo, 0x7b000000, |v[12:13]|
	v_trig_preop_f64 v[20:21], |v[12:13]|, 0
	v_and_b32_e32 v25, 0x7fffffff, v13
	v_trig_preop_f64 v[34:35], |v[12:13]|, 1
	v_trig_preop_f64 v[44:45], |v[12:13]|, 2
	s_delay_alu instid0(VALU_DEP_3) | instskip(NEXT) | instid1(VALU_DEP_1)
	v_dual_cndmask_b32 v19, v25, v19 :: v_dual_cndmask_b32 v18, v12, v18
	v_mul_f64_e32 v[36:37], v[20:21], v[18:19]
	s_delay_alu instid0(VALU_DEP_4) | instskip(NEXT) | instid1(VALU_DEP_4)
	v_mul_f64_e32 v[38:39], v[34:35], v[18:19]
	v_mul_f64_e32 v[50:51], v[44:45], v[18:19]
	s_delay_alu instid0(VALU_DEP_3) | instskip(NEXT) | instid1(VALU_DEP_3)
	v_fma_f64 v[20:21], v[20:21], v[18:19], -v[36:37]
	v_fma_f64 v[34:35], v[34:35], v[18:19], -v[38:39]
	s_delay_alu instid0(VALU_DEP_3) | instskip(NEXT) | instid1(VALU_DEP_3)
	v_fma_f64 v[18:19], v[44:45], v[18:19], -v[50:51]
	v_add_f64_e32 v[40:41], v[38:39], v[20:21]
	s_delay_alu instid0(VALU_DEP_1) | instskip(SKIP_1) | instid1(VALU_DEP_2)
	v_add_f64_e64 v[42:43], v[40:41], -v[38:39]
	v_add_f64_e32 v[48:49], v[36:37], v[40:41]
	v_add_f64_e64 v[46:47], v[40:41], -v[42:43]
	v_add_f64_e64 v[20:21], v[20:21], -v[42:43]
	s_delay_alu instid0(VALU_DEP_3) | instskip(NEXT) | instid1(VALU_DEP_3)
	v_ldexp_f64 v[42:43], v[48:49], -2
	v_add_f64_e64 v[38:39], v[38:39], -v[46:47]
	v_add_f64_e32 v[46:47], v[50:51], v[34:35]
	s_delay_alu instid0(VALU_DEP_3) | instskip(NEXT) | instid1(VALU_DEP_3)
	v_cmp_neq_f64_e64 vcc_lo, 0x7ff00000, |v[42:43]|
	v_add_f64_e32 v[20:21], v[20:21], v[38:39]
	v_fract_f64_e32 v[38:39], v[42:43]
	s_delay_alu instid0(VALU_DEP_1) | instskip(NEXT) | instid1(VALU_DEP_1)
	v_ldexp_f64 v[38:39], v[38:39], 2
	v_dual_add_f64 v[36:37], v[48:49], -v[36:37] :: v_dual_cndmask_b32 v38, 0, v38, vcc_lo
	s_delay_alu instid0(VALU_DEP_1) | instskip(SKIP_1) | instid1(VALU_DEP_1)
	v_dual_add_f64 v[36:37], v[40:41], -v[36:37] :: v_dual_cndmask_b32 v39, 0, v39, vcc_lo
	v_add_f64_e32 v[40:41], v[46:47], v[20:21]
	v_add_f64_e32 v[42:43], v[36:37], v[40:41]
	v_add_f64_e64 v[52:53], v[40:41], -v[46:47]
	s_delay_alu instid0(VALU_DEP_2) | instskip(NEXT) | instid1(VALU_DEP_2)
	v_add_f64_e32 v[48:49], v[42:43], v[38:39]
	v_add_f64_e64 v[58:59], v[40:41], -v[52:53]
	v_add_f64_e64 v[20:21], v[20:21], -v[52:53]
	;; [unrolled: 1-line block ×3, first 2 shown]
	s_delay_alu instid0(VALU_DEP_4) | instskip(SKIP_1) | instid1(VALU_DEP_3)
	v_cmp_gt_f64_e32 vcc_lo, 0, v[48:49]
	v_add_f64_e64 v[48:49], v[46:47], -v[50:51]
	v_add_f64_e64 v[36:37], v[40:41], -v[36:37]
	v_cndmask_b32_e64 v25, 0, 0x40100000, vcc_lo
	s_delay_alu instid0(VALU_DEP_3) | instskip(SKIP_2) | instid1(VALU_DEP_4)
	v_add_f64_e64 v[56:57], v[46:47], -v[48:49]
	v_add_f64_e64 v[34:35], v[34:35], -v[48:49]
	;; [unrolled: 1-line block ×3, first 2 shown]
	v_add_f64_e32 v[38:39], v[38:39], v[24:25]
	s_delay_alu instid0(VALU_DEP_4) | instskip(NEXT) | instid1(VALU_DEP_3)
	v_add_f64_e64 v[48:49], v[50:51], -v[56:57]
	v_add_f64_e32 v[20:21], v[20:21], v[46:47]
	s_delay_alu instid0(VALU_DEP_3) | instskip(NEXT) | instid1(VALU_DEP_3)
	v_add_f64_e32 v[54:55], v[42:43], v[38:39]
	v_add_f64_e32 v[34:35], v[34:35], v[48:49]
	s_delay_alu instid0(VALU_DEP_2) | instskip(NEXT) | instid1(VALU_DEP_2)
	v_cvt_i32_f64_e32 v25, v[54:55]
	v_add_f64_e32 v[20:21], v[34:35], v[20:21]
	s_delay_alu instid0(VALU_DEP_2) | instskip(NEXT) | instid1(VALU_DEP_2)
	v_cvt_f64_i32_e32 v[52:53], v25
	v_add_f64_e32 v[18:19], v[18:19], v[20:21]
	s_delay_alu instid0(VALU_DEP_2) | instskip(NEXT) | instid1(VALU_DEP_2)
	v_add_f64_e64 v[38:39], v[38:39], -v[52:53]
	v_add_f64_e32 v[18:19], v[36:37], v[18:19]
	s_delay_alu instid0(VALU_DEP_2) | instskip(NEXT) | instid1(VALU_DEP_1)
	v_add_f64_e32 v[34:35], v[42:43], v[38:39]
	v_add_f64_e64 v[20:21], v[34:35], -v[38:39]
	v_cmp_le_f64_e32 vcc_lo, 0.5, v[34:35]
	s_delay_alu instid0(VALU_DEP_2) | instskip(SKIP_2) | instid1(VALU_DEP_3)
	v_add_f64_e64 v[20:21], v[42:43], -v[20:21]
	v_add_co_ci_u32_e64 v38, null, 0, v25, vcc_lo
	v_cndmask_b32_e64 v25, 0, 0x3ff00000, vcc_lo
	v_add_f64_e32 v[18:19], v[18:19], v[20:21]
	s_delay_alu instid0(VALU_DEP_2) | instskip(NEXT) | instid1(VALU_DEP_1)
	v_add_f64_e64 v[20:21], v[34:35], -v[24:25]
	v_add_f64_e32 v[34:35], v[20:21], v[18:19]
	s_delay_alu instid0(VALU_DEP_1) | instskip(SKIP_1) | instid1(VALU_DEP_2)
	v_mul_f64_e32 v[36:37], 0x3ff921fb54442d18, v[34:35]
	v_add_f64_e64 v[20:21], v[34:35], -v[20:21]
	v_fma_f64 v[40:41], v[34:35], s[6:7], -v[36:37]
	s_delay_alu instid0(VALU_DEP_2) | instskip(NEXT) | instid1(VALU_DEP_2)
	v_add_f64_e64 v[18:19], v[18:19], -v[20:21]
	v_fmac_f64_e32 v[40:41], 0x3c91a62633145c07, v[34:35]
	s_delay_alu instid0(VALU_DEP_1) | instskip(NEXT) | instid1(VALU_DEP_1)
	v_fmac_f64_e32 v[40:41], 0x3ff921fb54442d18, v[18:19]
	v_add_f64_e32 v[18:19], v[36:37], v[40:41]
	s_delay_alu instid0(VALU_DEP_1) | instskip(NEXT) | instid1(VALU_DEP_1)
	v_add_f64_e64 v[20:21], v[18:19], -v[36:37]
	v_add_f64_e64 v[20:21], v[40:41], -v[20:21]
	s_and_not1_saveexec_b32 s1, s1
	s_cbranch_execz .LBB137_307
	s_branch .LBB137_306
.LBB137_305:                            ;   in Loop: Header=BB137_201 Depth=1
	s_and_not1_saveexec_b32 s1, s1
	s_cbranch_execz .LBB137_307
.LBB137_306:                            ;   in Loop: Header=BB137_201 Depth=1
	v_mul_f64_e64 v[18:19], |v[12:13]|, s[8:9]
	s_delay_alu instid0(VALU_DEP_1) | instskip(NEXT) | instid1(VALU_DEP_1)
	v_rndne_f64_e32 v[34:35], v[18:19]
	v_fma_f64 v[18:19], v[34:35], s[10:11], |v[12:13]|
	v_mul_f64_e32 v[20:21], 0xbc91a62633145c00, v[34:35]
	s_delay_alu instid0(VALU_DEP_2) | instskip(NEXT) | instid1(VALU_DEP_2)
	v_fmamk_f64 v[40:41], v[34:35], 0xbc91a62633145c00, v[18:19]
	v_add_f64_e32 v[36:37], v[18:19], v[20:21]
	s_delay_alu instid0(VALU_DEP_1) | instskip(NEXT) | instid1(VALU_DEP_3)
	v_add_f64_e64 v[38:39], v[18:19], -v[36:37]
	v_add_f64_e64 v[18:19], v[36:37], -v[40:41]
	s_delay_alu instid0(VALU_DEP_2) | instskip(SKIP_2) | instid1(VALU_DEP_3)
	v_add_f64_e32 v[36:37], v[38:39], v[20:21]
	v_fmamk_f64 v[20:21], v[34:35], 0x3c91a62633145c00, v[20:21]
	v_cvt_i32_f64_e32 v38, v[34:35]
	v_add_f64_e32 v[18:19], v[18:19], v[36:37]
	s_delay_alu instid0(VALU_DEP_1) | instskip(NEXT) | instid1(VALU_DEP_1)
	v_add_f64_e64 v[20:21], v[18:19], -v[20:21]
	v_fmac_f64_e32 v[20:21], 0xb97b839a252049c0, v[34:35]
	s_delay_alu instid0(VALU_DEP_1) | instskip(NEXT) | instid1(VALU_DEP_1)
	v_add_f64_e32 v[18:19], v[40:41], v[20:21]
	v_add_f64_e64 v[36:37], v[18:19], -v[40:41]
	s_delay_alu instid0(VALU_DEP_1)
	v_add_f64_e64 v[20:21], v[20:21], -v[36:37]
.LBB137_307:                            ;   in Loop: Header=BB137_201 Depth=1
	s_or_b32 exec_lo, exec_lo, s1
                                        ; implicit-def: $vgpr39
                                        ; implicit-def: $vgpr34_vgpr35
                                        ; implicit-def: $vgpr36_vgpr37
	s_and_saveexec_b32 s1, s0
	s_delay_alu instid0(SALU_CYCLE_1)
	s_xor_b32 s0, exec_lo, s1
	s_cbranch_execz .LBB137_309
; %bb.308:                              ;   in Loop: Header=BB137_201 Depth=1
	v_ldexp_f64 v[34:35], |v[12:13]|, 0xffffff80
	v_cmp_le_f64_e64 vcc_lo, 0x7b000000, |v[12:13]|
	v_trig_preop_f64 v[36:37], |v[12:13]|, 0
	v_and_b32_e32 v25, 0x7fffffff, v13
	v_trig_preop_f64 v[40:41], |v[12:13]|, 1
	v_trig_preop_f64 v[50:51], |v[12:13]|, 2
	s_delay_alu instid0(VALU_DEP_3) | instskip(NEXT) | instid1(VALU_DEP_1)
	v_dual_cndmask_b32 v35, v25, v35 :: v_dual_cndmask_b32 v34, v12, v34
	v_mul_f64_e32 v[42:43], v[36:37], v[34:35]
	s_delay_alu instid0(VALU_DEP_4) | instskip(NEXT) | instid1(VALU_DEP_4)
	v_mul_f64_e32 v[44:45], v[40:41], v[34:35]
	v_mul_f64_e32 v[56:57], v[50:51], v[34:35]
	s_delay_alu instid0(VALU_DEP_3) | instskip(NEXT) | instid1(VALU_DEP_3)
	v_fma_f64 v[36:37], v[36:37], v[34:35], -v[42:43]
	v_fma_f64 v[40:41], v[40:41], v[34:35], -v[44:45]
	s_delay_alu instid0(VALU_DEP_3) | instskip(NEXT) | instid1(VALU_DEP_3)
	v_fma_f64 v[34:35], v[50:51], v[34:35], -v[56:57]
	v_add_f64_e32 v[46:47], v[44:45], v[36:37]
	s_delay_alu instid0(VALU_DEP_1) | instskip(SKIP_1) | instid1(VALU_DEP_2)
	v_add_f64_e64 v[48:49], v[46:47], -v[44:45]
	v_add_f64_e32 v[54:55], v[42:43], v[46:47]
	v_add_f64_e64 v[52:53], v[46:47], -v[48:49]
	v_add_f64_e64 v[36:37], v[36:37], -v[48:49]
	s_delay_alu instid0(VALU_DEP_3) | instskip(NEXT) | instid1(VALU_DEP_3)
	v_ldexp_f64 v[48:49], v[54:55], -2
	v_add_f64_e64 v[44:45], v[44:45], -v[52:53]
	v_add_f64_e32 v[52:53], v[56:57], v[40:41]
	s_delay_alu instid0(VALU_DEP_3) | instskip(NEXT) | instid1(VALU_DEP_3)
	v_cmp_neq_f64_e64 vcc_lo, 0x7ff00000, |v[48:49]|
	v_add_f64_e32 v[36:37], v[36:37], v[44:45]
	v_fract_f64_e32 v[44:45], v[48:49]
	s_delay_alu instid0(VALU_DEP_1) | instskip(NEXT) | instid1(VALU_DEP_1)
	v_ldexp_f64 v[44:45], v[44:45], 2
	v_dual_add_f64 v[42:43], v[54:55], -v[42:43] :: v_dual_cndmask_b32 v45, 0, v45, vcc_lo
	s_delay_alu instid0(VALU_DEP_1) | instskip(SKIP_1) | instid1(VALU_DEP_1)
	v_dual_add_f64 v[42:43], v[46:47], -v[42:43] :: v_dual_cndmask_b32 v44, 0, v44, vcc_lo
	v_add_f64_e32 v[46:47], v[52:53], v[36:37]
	v_add_f64_e32 v[48:49], v[42:43], v[46:47]
	v_add_f64_e64 v[58:59], v[46:47], -v[52:53]
	s_delay_alu instid0(VALU_DEP_2) | instskip(NEXT) | instid1(VALU_DEP_2)
	v_add_f64_e32 v[54:55], v[48:49], v[44:45]
	v_add_f64_e64 v[64:65], v[46:47], -v[58:59]
	v_add_f64_e64 v[36:37], v[36:37], -v[58:59]
	;; [unrolled: 1-line block ×3, first 2 shown]
	s_delay_alu instid0(VALU_DEP_4) | instskip(SKIP_1) | instid1(VALU_DEP_3)
	v_cmp_gt_f64_e32 vcc_lo, 0, v[54:55]
	v_add_f64_e64 v[54:55], v[52:53], -v[56:57]
	v_add_f64_e64 v[42:43], v[46:47], -v[42:43]
	v_cndmask_b32_e64 v25, 0, 0x40100000, vcc_lo
	s_delay_alu instid0(VALU_DEP_3) | instskip(SKIP_2) | instid1(VALU_DEP_4)
	v_add_f64_e64 v[62:63], v[52:53], -v[54:55]
	v_add_f64_e64 v[40:41], v[40:41], -v[54:55]
	;; [unrolled: 1-line block ×3, first 2 shown]
	v_add_f64_e32 v[44:45], v[44:45], v[24:25]
	s_delay_alu instid0(VALU_DEP_4) | instskip(NEXT) | instid1(VALU_DEP_3)
	v_add_f64_e64 v[54:55], v[56:57], -v[62:63]
	v_add_f64_e32 v[36:37], v[36:37], v[52:53]
	s_delay_alu instid0(VALU_DEP_3) | instskip(NEXT) | instid1(VALU_DEP_3)
	v_add_f64_e32 v[60:61], v[48:49], v[44:45]
	v_add_f64_e32 v[40:41], v[40:41], v[54:55]
	s_delay_alu instid0(VALU_DEP_2) | instskip(NEXT) | instid1(VALU_DEP_2)
	v_cvt_i32_f64_e32 v25, v[60:61]
	v_add_f64_e32 v[36:37], v[40:41], v[36:37]
	s_delay_alu instid0(VALU_DEP_2) | instskip(NEXT) | instid1(VALU_DEP_2)
	v_cvt_f64_i32_e32 v[58:59], v25
	v_add_f64_e32 v[34:35], v[34:35], v[36:37]
	s_delay_alu instid0(VALU_DEP_2) | instskip(NEXT) | instid1(VALU_DEP_2)
	v_add_f64_e64 v[44:45], v[44:45], -v[58:59]
	v_add_f64_e32 v[34:35], v[42:43], v[34:35]
	s_delay_alu instid0(VALU_DEP_2) | instskip(NEXT) | instid1(VALU_DEP_1)
	v_add_f64_e32 v[40:41], v[48:49], v[44:45]
	v_add_f64_e64 v[36:37], v[40:41], -v[44:45]
	v_cmp_le_f64_e32 vcc_lo, 0.5, v[40:41]
	s_delay_alu instid0(VALU_DEP_2) | instskip(SKIP_2) | instid1(VALU_DEP_3)
	v_add_f64_e64 v[36:37], v[48:49], -v[36:37]
	v_add_co_ci_u32_e64 v39, null, 0, v25, vcc_lo
	v_cndmask_b32_e64 v25, 0, 0x3ff00000, vcc_lo
	v_add_f64_e32 v[34:35], v[34:35], v[36:37]
	s_delay_alu instid0(VALU_DEP_2) | instskip(NEXT) | instid1(VALU_DEP_1)
	v_add_f64_e64 v[36:37], v[40:41], -v[24:25]
	v_add_f64_e32 v[40:41], v[36:37], v[34:35]
	s_delay_alu instid0(VALU_DEP_1) | instskip(SKIP_1) | instid1(VALU_DEP_2)
	v_mul_f64_e32 v[42:43], 0x3ff921fb54442d18, v[40:41]
	v_add_f64_e64 v[36:37], v[40:41], -v[36:37]
	v_fma_f64 v[44:45], v[40:41], s[6:7], -v[42:43]
	s_delay_alu instid0(VALU_DEP_2) | instskip(NEXT) | instid1(VALU_DEP_2)
	v_add_f64_e64 v[34:35], v[34:35], -v[36:37]
	v_fmac_f64_e32 v[44:45], 0x3c91a62633145c07, v[40:41]
	s_delay_alu instid0(VALU_DEP_1) | instskip(NEXT) | instid1(VALU_DEP_1)
	v_fmac_f64_e32 v[44:45], 0x3ff921fb54442d18, v[34:35]
	v_add_f64_e32 v[34:35], v[42:43], v[44:45]
	s_delay_alu instid0(VALU_DEP_1) | instskip(NEXT) | instid1(VALU_DEP_1)
	v_add_f64_e64 v[36:37], v[34:35], -v[42:43]
	v_add_f64_e64 v[36:37], v[44:45], -v[36:37]
	s_and_not1_saveexec_b32 s0, s0
	s_cbranch_execnz .LBB137_310
	s_branch .LBB137_311
.LBB137_309:                            ;   in Loop: Header=BB137_201 Depth=1
	s_and_not1_saveexec_b32 s0, s0
	s_cbranch_execz .LBB137_311
.LBB137_310:                            ;   in Loop: Header=BB137_201 Depth=1
	v_mul_f64_e64 v[34:35], |v[12:13]|, s[8:9]
	s_delay_alu instid0(VALU_DEP_1) | instskip(NEXT) | instid1(VALU_DEP_1)
	v_rndne_f64_e32 v[40:41], v[34:35]
	v_fma_f64 v[34:35], v[40:41], s[10:11], |v[12:13]|
	v_mul_f64_e32 v[36:37], 0xbc91a62633145c00, v[40:41]
	v_cvt_i32_f64_e32 v39, v[40:41]
	s_delay_alu instid0(VALU_DEP_3) | instskip(NEXT) | instid1(VALU_DEP_3)
	v_fmamk_f64 v[46:47], v[40:41], 0xbc91a62633145c00, v[34:35]
	v_add_f64_e32 v[42:43], v[34:35], v[36:37]
	s_delay_alu instid0(VALU_DEP_1) | instskip(NEXT) | instid1(VALU_DEP_3)
	v_add_f64_e64 v[44:45], v[34:35], -v[42:43]
	v_add_f64_e64 v[34:35], v[42:43], -v[46:47]
	s_delay_alu instid0(VALU_DEP_2) | instskip(SKIP_1) | instid1(VALU_DEP_2)
	v_add_f64_e32 v[42:43], v[44:45], v[36:37]
	v_fmamk_f64 v[36:37], v[40:41], 0x3c91a62633145c00, v[36:37]
	v_add_f64_e32 v[34:35], v[34:35], v[42:43]
	s_delay_alu instid0(VALU_DEP_1) | instskip(NEXT) | instid1(VALU_DEP_1)
	v_add_f64_e64 v[36:37], v[34:35], -v[36:37]
	v_fmac_f64_e32 v[36:37], 0xb97b839a252049c0, v[40:41]
	s_delay_alu instid0(VALU_DEP_1) | instskip(NEXT) | instid1(VALU_DEP_1)
	v_add_f64_e32 v[34:35], v[46:47], v[36:37]
	v_add_f64_e64 v[42:43], v[34:35], -v[46:47]
	s_delay_alu instid0(VALU_DEP_1)
	v_add_f64_e64 v[36:37], v[36:37], -v[42:43]
.LBB137_311:                            ;   in Loop: Header=BB137_201 Depth=1
	s_or_b32 exec_lo, exec_lo, s0
	v_add_f64_e32 v[10:11], 0xc0937be319ba0da4, v[10:11]
	s_delay_alu instid0(VALU_DEP_2)
	v_mul_f64_e32 v[56:57], 0.5, v[20:21]
	v_cmp_class_f64_e64 s0, v[12:13], 0x1f8
	v_mul_f64_e32 v[44:45], v[34:35], v[34:35]
	v_mul_f64_e32 v[66:67], 0.5, v[36:37]
	v_mul_f64_e32 v[40:41], 0x3ff71547652b82fe, v[10:11]
	v_cmp_ngt_f64_e64 s2, 0xc090cc00, v[10:11]
	v_mul_f64_e32 v[42:43], v[18:19], v[18:19]
	v_cmp_nlt_f64_e64 s1, 0x40900000, v[10:11]
	v_mul_f64_e32 v[48:49], 0.5, v[44:45]
	v_mul_f64_e64 v[68:69], v[34:35], -v[44:45]
	v_fmamk_f64 v[72:73], v[44:45], 0x3de5e0b2f9a43bb8, v[30:31]
	v_rndne_f64_e32 v[40:41], v[40:41]
	v_mul_f64_e32 v[46:47], 0.5, v[42:43]
	v_fmamk_f64 v[62:63], v[42:43], 0x3de5e0b2f9a43bb8, v[30:31]
	s_delay_alu instid0(VALU_DEP_1) | instskip(NEXT) | instid1(VALU_DEP_1)
	v_fmaak_f64 v[62:63], v[42:43], v[62:63], 0x3ec71de3796cde01
	v_fmaak_f64 v[62:63], v[42:43], v[62:63], 0xbf2a01a019e83e5c
	s_delay_alu instid0(VALU_DEP_1) | instskip(SKIP_4) | instid1(VALU_DEP_4)
	v_fmaak_f64 v[62:63], v[42:43], v[62:63], 0x3f81111111110bb3
	v_fmamk_f64 v[50:51], v[40:41], 0xbfe62e42fefa39ef, v[10:11]
	v_cvt_i32_f64_e32 v25, v[40:41]
	v_add_f64_e64 v[52:53], -v[46:47], 1.0
	v_and_b32_e32 v10, 1, v39
	v_fmac_f64_e32 v[50:51], 0xbc7abc9e3b39803f, v[40:41]
	s_delay_alu instid0(VALU_DEP_2) | instskip(NEXT) | instid1(VALU_DEP_4)
	v_cmp_eq_u32_e64 s3, 0, v10
	v_add_f64_e64 v[60:61], -v[52:53], 1.0
	s_delay_alu instid0(VALU_DEP_3) | instskip(NEXT) | instid1(VALU_DEP_1)
	v_fmamk_f64 v[64:65], v[50:51], 0x3e5ade156a5dcb37, v[26:27]
	v_fmaak_f64 v[64:65], v[50:51], v[64:65], 0x3ec71dee623fde64
	s_delay_alu instid0(VALU_DEP_1) | instskip(NEXT) | instid1(VALU_DEP_1)
	v_fmaak_f64 v[64:65], v[50:51], v[64:65], 0x3efa01997c89e6b0
	v_fmaak_f64 v[64:65], v[50:51], v[64:65], 0x3f2a01a014761f6e
	v_add_f64_e64 v[46:47], v[60:61], -v[46:47]
	s_delay_alu instid0(VALU_DEP_2) | instskip(SKIP_1) | instid1(VALU_DEP_2)
	v_fmaak_f64 v[60:61], v[50:51], v[64:65], 0x3f56c16c1852b7b0
	v_mul_f64_e32 v[64:65], v[42:43], v[42:43]
	v_fmaak_f64 v[60:61], v[50:51], v[60:61], 0x3f81111111122322
	s_delay_alu instid0(VALU_DEP_1) | instskip(NEXT) | instid1(VALU_DEP_1)
	v_fmaak_f64 v[60:61], v[50:51], v[60:61], 0x3fa55555555502a1
	v_fmaak_f64 v[60:61], v[50:51], v[60:61], 0x3fc5555555555511
	s_delay_alu instid0(VALU_DEP_1) | instskip(NEXT) | instid1(VALU_DEP_1)
	v_fmaak_f64 v[60:61], v[50:51], v[60:61], 0x3fe000000000000b
	v_fma_f64 v[60:61], v[50:51], v[60:61], 1.0
	s_delay_alu instid0(VALU_DEP_1) | instskip(NEXT) | instid1(VALU_DEP_1)
	v_fma_f64 v[40:41], v[50:51], v[60:61], 1.0
	v_ldexp_f64 v[40:41], v[40:41], v25
	v_mul_f64_e64 v[58:59], v[18:19], -v[42:43]
	v_and_b32_e32 v25, 1, v38
	v_add_f64_e64 v[54:55], -v[48:49], 1.0
	s_delay_alu instid0(VALU_DEP_2) | instskip(SKIP_4) | instid1(VALU_DEP_2)
	v_cmp_eq_u32_e32 vcc_lo, 0, v25
	v_cndmask_b32_e64 v12, 0x7ff00000, v41, s1
	v_fmac_f64_e32 v[56:57], v[58:59], v[62:63]
	v_fmaak_f64 v[62:63], v[44:45], v[72:73], 0x3ec71de3796cde01
	v_add_f64_e64 v[70:71], -v[54:55], 1.0
	v_fmaak_f64 v[62:63], v[44:45], v[62:63], 0xbf2a01a019e83e5c
	s_delay_alu instid0(VALU_DEP_1) | instskip(SKIP_4) | instid1(VALU_DEP_4)
	v_fmaak_f64 v[62:63], v[44:45], v[62:63], 0x3f81111111110bb3
	v_fma_f64 v[56:57], v[42:43], v[56:57], -v[20:21]
	v_fma_f64 v[20:21], v[18:19], -v[20:21], v[46:47]
	v_add_f64_e64 v[48:49], v[70:71], -v[48:49]
	v_fmamk_f64 v[70:71], v[44:45], 0xbda907db46cc5e42, v[28:29]
	v_fmac_f64_e32 v[56:57], 0xbfc5555555555555, v[58:59]
	s_delay_alu instid0(VALU_DEP_1) | instskip(NEXT) | instid1(VALU_DEP_1)
	v_add_f64_e64 v[18:19], v[18:19], -v[56:57]
	v_xor_b32_e32 v11, 0x80000000, v19
	v_lshlrev_b32_e32 v19, 30, v39
	v_fmac_f64_e32 v[66:67], v[68:69], v[62:63]
	v_fmamk_f64 v[62:63], v[42:43], 0xbda907db46cc5e42, v[28:29]
	s_delay_alu instid0(VALU_DEP_1) | instskip(SKIP_1) | instid1(VALU_DEP_2)
	v_fmaak_f64 v[46:47], v[42:43], v[62:63], 0xbe927e4fa17f65f6
	v_mul_f64_e32 v[62:63], v[44:45], v[44:45]
	v_fmaak_f64 v[46:47], v[42:43], v[46:47], 0x3efa01a019f4ec90
	s_delay_alu instid0(VALU_DEP_1) | instskip(NEXT) | instid1(VALU_DEP_1)
	v_fmaak_f64 v[46:47], v[42:43], v[46:47], 0xbf56c16c16c16967
	v_fmaak_f64 v[42:43], v[42:43], v[46:47], 0x3fa5555555555555
	v_fma_f64 v[46:47], v[44:45], v[66:67], -v[36:37]
	v_fma_f64 v[36:37], v[34:35], -v[36:37], v[48:49]
	v_fmaak_f64 v[48:49], v[44:45], v[70:71], 0xbe927e4fa17f65f6
	s_delay_alu instid0(VALU_DEP_4) | instskip(NEXT) | instid1(VALU_DEP_2)
	v_fmac_f64_e32 v[20:21], v[64:65], v[42:43]
	v_fmaak_f64 v[42:43], v[44:45], v[48:49], 0x3efa01a019f4ec90
	s_delay_alu instid0(VALU_DEP_1) | instskip(NEXT) | instid1(VALU_DEP_1)
	v_fmaak_f64 v[42:43], v[44:45], v[42:43], 0xbf56c16c16c16967
	v_fmaak_f64 v[42:43], v[44:45], v[42:43], 0x3fa5555555555555
	s_delay_alu instid0(VALU_DEP_1) | instskip(SKIP_1) | instid1(VALU_DEP_2)
	v_fmac_f64_e32 v[36:37], v[62:63], v[42:43]
	v_add_f64_e32 v[20:21], v[52:53], v[20:21]
	v_add_f64_e32 v[36:37], v[54:55], v[36:37]
	s_delay_alu instid0(VALU_DEP_2) | instskip(NEXT) | instid1(VALU_DEP_3)
	v_dual_cndmask_b32 v18, v18, v20, vcc_lo :: v_dual_lshlrev_b32 v20, 30, v38
	v_cndmask_b32_e32 v10, v11, v21, vcc_lo
	v_xor_b32_e32 v11, v19, v13
	v_fmac_f64_e32 v[46:47], 0xbfc5555555555555, v[68:69]
	v_cndmask_b32_e64 v21, 0, v12, s2
	s_and_b32 vcc_lo, s2, s1
	v_bitop3_b32 v20, v10, v20, 0x80000000 bitop3:0x78
	v_dual_cndmask_b32 v10, 0, v18, s0 :: v_dual_cndmask_b32 v18, 0, v40, vcc_lo
	s_delay_alu instid0(VALU_DEP_4) | instskip(NEXT) | instid1(VALU_DEP_1)
	v_add_f64_e64 v[34:35], v[34:35], -v[46:47]
	v_dual_cndmask_b32 v19, v37, v35, s3 :: v_dual_cndmask_b32 v13, v36, v34, s3
	s_delay_alu instid0(VALU_DEP_1) | instskip(SKIP_1) | instid1(VALU_DEP_3)
	v_bitop3_b32 v25, v19, v11, 0x80000000 bitop3:0x78
	v_cndmask_b32_e64 v11, 0x7ff80000, v20, s0
	v_cndmask_b32_e64 v12, 0, v13, s0
	v_and_or_b32 v19, v21, s14, 0x7fe00000
	v_lshrrev_b32_e32 v20, 20, v21
	v_cndmask_b32_e64 v13, 0x7ff80000, v25, s0
	s_delay_alu instid0(VALU_DEP_3) | instskip(NEXT) | instid1(VALU_DEP_2)
	v_mul_f64_e32 v[10:11], v[18:19], v[10:11]
	v_mul_f64_e32 v[12:13], v[18:19], v[12:13]
	s_delay_alu instid0(VALU_DEP_4) | instskip(SKIP_1) | instid1(VALU_DEP_2)
	v_add_nc_u32_e32 v18, 0xffffff09, v20
	v_mov_b32_e32 v20, v24
	v_lshrrev_b16 v19, 15, v18
	s_delay_alu instid0(VALU_DEP_1) | instskip(NEXT) | instid1(VALU_DEP_1)
	v_add_nc_u16 v19, v18, v19
	v_ashrrev_i16 v19, 1, v19
	s_delay_alu instid0(VALU_DEP_1) | instskip(NEXT) | instid1(VALU_DEP_1)
	v_bfe_i32 v19, v19, 0, 16
	v_lshl_add_u32 v25, v19, 20, 0x3ff00000
	v_sub_nc_u32_e32 v18, v18, v19
	s_delay_alu instid0(VALU_DEP_2) | instskip(SKIP_1) | instid1(VALU_DEP_3)
	v_mul_f64_e32 v[10:11], v[10:11], v[24:25]
	v_mul_f64_e32 v[12:13], v[12:13], v[24:25]
	v_lshl_add_u32 v21, v18, 20, 0x3ff00000
	s_delay_alu instid0(VALU_DEP_1) | instskip(NEXT) | instid1(VALU_DEP_3)
	v_mul_f64_e32 v[18:19], v[10:11], v[20:21]
	v_mul_f64_e32 v[20:21], v[12:13], v[20:21]
.LBB137_312:                            ;   in Loop: Header=BB137_201 Depth=1
	s_or_b32 exec_lo, exec_lo, s19
                                        ; implicit-def: $vgpr10_vgpr11
                                        ; implicit-def: $vgpr25
.LBB137_313:                            ;   in Loop: Header=BB137_201 Depth=1
	s_and_not1_saveexec_b32 s1, s18
	s_cbranch_execz .LBB137_319
; %bb.314:                              ;   in Loop: Header=BB137_201 Depth=1
	v_add_f64_e64 v[20:21], v[12:13], -v[12:13]
	v_cmp_ne_u32_e32 vcc_lo, 0, v10
	v_cmp_ne_u32_e64 s0, 0x7ff00000, v25
	s_or_b32 s0, vcc_lo, s0
	s_delay_alu instid0(SALU_CYCLE_1) | instskip(NEXT) | instid1(SALU_CYCLE_1)
	s_and_saveexec_b32 s2, s0
	s_xor_b32 s0, exec_lo, s2
; %bb.315:                              ;   in Loop: Header=BB137_201 Depth=1
                                        ; implicit-def: $vgpr10_vgpr11
; %bb.316:                              ;   in Loop: Header=BB137_201 Depth=1
	s_delay_alu instid0(SALU_CYCLE_1)
	s_or_saveexec_b32 s0, s0
	v_mov_b64_e32 v[18:19], v[20:21]
	s_xor_b32 exec_lo, exec_lo, s0
; %bb.317:                              ;   in Loop: Header=BB137_201 Depth=1
	v_cmp_lt_i64_e32 vcc_lo, -1, v[10:11]
	v_dual_cndmask_b32 v19, 0, v11 :: v_dual_cndmask_b32 v18, 0, v10
	v_dual_cndmask_b32 v21, 0, v21 :: v_dual_cndmask_b32 v20, 0, v20
; %bb.318:                              ;   in Loop: Header=BB137_201 Depth=1
	s_or_b32 exec_lo, exec_lo, s0
.LBB137_319:                            ;   in Loop: Header=BB137_201 Depth=1
	s_delay_alu instid0(SALU_CYCLE_1)
	s_or_b32 exec_lo, exec_lo, s1
                                        ; implicit-def: $vgpr12_vgpr13
.LBB137_320:                            ;   in Loop: Header=BB137_201 Depth=1
	s_and_not1_saveexec_b32 s2, s17
	s_cbranch_execz .LBB137_330
; %bb.321:                              ;   in Loop: Header=BB137_201 Depth=1
	v_cmp_ngt_f64_e64 s0, 0x41d00000, |v[12:13]|
                                        ; implicit-def: $vgpr36
                                        ; implicit-def: $vgpr10_vgpr11
                                        ; implicit-def: $vgpr18_vgpr19
	s_and_saveexec_b32 s1, s0
	s_delay_alu instid0(SALU_CYCLE_1)
	s_xor_b32 s1, exec_lo, s1
	s_cbranch_execz .LBB137_323
; %bb.322:                              ;   in Loop: Header=BB137_201 Depth=1
	v_ldexp_f64 v[10:11], |v[12:13]|, 0xffffff80
	v_cmp_le_f64_e64 vcc_lo, 0x7b000000, |v[12:13]|
	v_trig_preop_f64 v[18:19], |v[12:13]|, 0
	v_and_b32_e32 v20, 0x7fffffff, v13
	v_trig_preop_f64 v[42:43], |v[12:13]|, 2
	s_delay_alu instid0(VALU_DEP_2) | instskip(SKIP_2) | instid1(VALU_DEP_2)
	v_cndmask_b32_e32 v11, v20, v11, vcc_lo
	v_cndmask_b32_e32 v10, v12, v10, vcc_lo
	v_trig_preop_f64 v[20:21], |v[12:13]|, 1
	v_mul_f64_e32 v[34:35], v[18:19], v[10:11]
	s_delay_alu instid0(VALU_DEP_2) | instskip(NEXT) | instid1(VALU_DEP_2)
	v_mul_f64_e32 v[36:37], v[20:21], v[10:11]
	v_fma_f64 v[18:19], v[18:19], v[10:11], -v[34:35]
	s_delay_alu instid0(VALU_DEP_1) | instskip(NEXT) | instid1(VALU_DEP_1)
	v_add_f64_e32 v[38:39], v[36:37], v[18:19]
	v_add_f64_e64 v[40:41], v[38:39], -v[36:37]
	v_add_f64_e32 v[46:47], v[34:35], v[38:39]
	s_delay_alu instid0(VALU_DEP_2) | instskip(SKIP_2) | instid1(VALU_DEP_4)
	v_add_f64_e64 v[44:45], v[38:39], -v[40:41]
	v_fma_f64 v[20:21], v[20:21], v[10:11], -v[36:37]
	v_add_f64_e64 v[18:19], v[18:19], -v[40:41]
	v_ldexp_f64 v[40:41], v[46:47], -2
	v_mul_f64_e32 v[48:49], v[42:43], v[10:11]
	v_add_f64_e64 v[36:37], v[36:37], -v[44:45]
	s_delay_alu instid0(VALU_DEP_3) | instskip(NEXT) | instid1(VALU_DEP_3)
	v_cmp_neq_f64_e64 vcc_lo, 0x7ff00000, |v[40:41]|
	v_add_f64_e32 v[44:45], v[48:49], v[20:21]
	v_fma_f64 v[10:11], v[42:43], v[10:11], -v[48:49]
	s_delay_alu instid0(VALU_DEP_4) | instskip(SKIP_1) | instid1(VALU_DEP_1)
	v_add_f64_e32 v[18:19], v[18:19], v[36:37]
	v_fract_f64_e32 v[36:37], v[40:41]
	v_ldexp_f64 v[36:37], v[36:37], 2
	s_delay_alu instid0(VALU_DEP_1) | instskip(NEXT) | instid1(VALU_DEP_1)
	v_dual_add_f64 v[34:35], v[46:47], -v[34:35] :: v_dual_cndmask_b32 v37, 0, v37, vcc_lo
	v_dual_add_f64 v[34:35], v[38:39], -v[34:35] :: v_dual_cndmask_b32 v36, 0, v36, vcc_lo
	v_add_f64_e32 v[38:39], v[44:45], v[18:19]
	s_delay_alu instid0(VALU_DEP_1) | instskip(SKIP_1) | instid1(VALU_DEP_2)
	v_add_f64_e32 v[40:41], v[34:35], v[38:39]
	v_add_f64_e64 v[50:51], v[38:39], -v[44:45]
	v_add_f64_e32 v[46:47], v[40:41], v[36:37]
	s_delay_alu instid0(VALU_DEP_2) | instskip(SKIP_2) | instid1(VALU_DEP_4)
	v_add_f64_e64 v[56:57], v[38:39], -v[50:51]
	v_add_f64_e64 v[18:19], v[18:19], -v[50:51]
	;; [unrolled: 1-line block ×3, first 2 shown]
	v_cmp_gt_f64_e32 vcc_lo, 0, v[46:47]
	v_add_f64_e64 v[46:47], v[44:45], -v[48:49]
	s_delay_alu instid0(VALU_DEP_3) | instskip(SKIP_1) | instid1(VALU_DEP_3)
	v_add_f64_e64 v[34:35], v[38:39], -v[34:35]
	v_cndmask_b32_e64 v25, 0, 0x40100000, vcc_lo
	v_add_f64_e64 v[54:55], v[44:45], -v[46:47]
	v_add_f64_e64 v[20:21], v[20:21], -v[46:47]
	;; [unrolled: 1-line block ×3, first 2 shown]
	s_delay_alu instid0(VALU_DEP_4) | instskip(NEXT) | instid1(VALU_DEP_4)
	v_add_f64_e32 v[36:37], v[36:37], v[24:25]
	v_add_f64_e64 v[46:47], v[48:49], -v[54:55]
	s_delay_alu instid0(VALU_DEP_3) | instskip(NEXT) | instid1(VALU_DEP_3)
	v_add_f64_e32 v[18:19], v[18:19], v[44:45]
	v_add_f64_e32 v[52:53], v[40:41], v[36:37]
	s_delay_alu instid0(VALU_DEP_3) | instskip(NEXT) | instid1(VALU_DEP_2)
	v_add_f64_e32 v[20:21], v[20:21], v[46:47]
	v_cvt_i32_f64_e32 v25, v[52:53]
	s_delay_alu instid0(VALU_DEP_2) | instskip(NEXT) | instid1(VALU_DEP_2)
	v_add_f64_e32 v[18:19], v[20:21], v[18:19]
	v_cvt_f64_i32_e32 v[50:51], v25
	s_delay_alu instid0(VALU_DEP_2) | instskip(NEXT) | instid1(VALU_DEP_2)
	v_add_f64_e32 v[10:11], v[10:11], v[18:19]
	v_add_f64_e64 v[36:37], v[36:37], -v[50:51]
	s_delay_alu instid0(VALU_DEP_2) | instskip(NEXT) | instid1(VALU_DEP_2)
	v_add_f64_e32 v[10:11], v[34:35], v[10:11]
	v_add_f64_e32 v[20:21], v[40:41], v[36:37]
	s_delay_alu instid0(VALU_DEP_1) | instskip(SKIP_1) | instid1(VALU_DEP_2)
	v_add_f64_e64 v[18:19], v[20:21], -v[36:37]
	v_cmp_le_f64_e32 vcc_lo, 0.5, v[20:21]
	v_add_f64_e64 v[18:19], v[40:41], -v[18:19]
	v_add_co_ci_u32_e64 v36, null, 0, v25, vcc_lo
	v_cndmask_b32_e64 v25, 0, 0x3ff00000, vcc_lo
	s_delay_alu instid0(VALU_DEP_3) | instskip(NEXT) | instid1(VALU_DEP_2)
	v_add_f64_e32 v[10:11], v[10:11], v[18:19]
	v_add_f64_e64 v[18:19], v[20:21], -v[24:25]
	s_delay_alu instid0(VALU_DEP_1) | instskip(NEXT) | instid1(VALU_DEP_1)
	v_add_f64_e32 v[20:21], v[18:19], v[10:11]
	v_mul_f64_e32 v[34:35], 0x3ff921fb54442d18, v[20:21]
	v_add_f64_e64 v[18:19], v[20:21], -v[18:19]
	s_delay_alu instid0(VALU_DEP_2) | instskip(NEXT) | instid1(VALU_DEP_2)
	v_fma_f64 v[38:39], v[20:21], s[6:7], -v[34:35]
	v_add_f64_e64 v[10:11], v[10:11], -v[18:19]
	s_delay_alu instid0(VALU_DEP_2) | instskip(NEXT) | instid1(VALU_DEP_1)
	v_fmac_f64_e32 v[38:39], 0x3c91a62633145c07, v[20:21]
	v_fmac_f64_e32 v[38:39], 0x3ff921fb54442d18, v[10:11]
	s_delay_alu instid0(VALU_DEP_1) | instskip(NEXT) | instid1(VALU_DEP_1)
	v_add_f64_e32 v[10:11], v[34:35], v[38:39]
	v_add_f64_e64 v[18:19], v[10:11], -v[34:35]
	s_delay_alu instid0(VALU_DEP_1)
	v_add_f64_e64 v[18:19], v[38:39], -v[18:19]
	s_and_not1_saveexec_b32 s1, s1
	s_cbranch_execz .LBB137_325
	s_branch .LBB137_324
.LBB137_323:                            ;   in Loop: Header=BB137_201 Depth=1
	s_and_not1_saveexec_b32 s1, s1
	s_cbranch_execz .LBB137_325
.LBB137_324:                            ;   in Loop: Header=BB137_201 Depth=1
	v_mul_f64_e64 v[10:11], |v[12:13]|, s[8:9]
	s_delay_alu instid0(VALU_DEP_1) | instskip(NEXT) | instid1(VALU_DEP_1)
	v_rndne_f64_e32 v[20:21], v[10:11]
	v_fma_f64 v[10:11], v[20:21], s[10:11], |v[12:13]|
	v_mul_f64_e32 v[18:19], 0xbc91a62633145c00, v[20:21]
	s_delay_alu instid0(VALU_DEP_2) | instskip(NEXT) | instid1(VALU_DEP_2)
	v_fmamk_f64 v[38:39], v[20:21], 0xbc91a62633145c00, v[10:11]
	v_add_f64_e32 v[34:35], v[10:11], v[18:19]
	s_delay_alu instid0(VALU_DEP_1) | instskip(NEXT) | instid1(VALU_DEP_3)
	v_add_f64_e64 v[36:37], v[10:11], -v[34:35]
	v_add_f64_e64 v[10:11], v[34:35], -v[38:39]
	s_delay_alu instid0(VALU_DEP_2) | instskip(SKIP_2) | instid1(VALU_DEP_3)
	v_add_f64_e32 v[34:35], v[36:37], v[18:19]
	v_fmamk_f64 v[18:19], v[20:21], 0x3c91a62633145c00, v[18:19]
	v_cvt_i32_f64_e32 v36, v[20:21]
	v_add_f64_e32 v[10:11], v[10:11], v[34:35]
	s_delay_alu instid0(VALU_DEP_1) | instskip(NEXT) | instid1(VALU_DEP_1)
	v_add_f64_e64 v[18:19], v[10:11], -v[18:19]
	v_fmac_f64_e32 v[18:19], 0xb97b839a252049c0, v[20:21]
	s_delay_alu instid0(VALU_DEP_1) | instskip(NEXT) | instid1(VALU_DEP_1)
	v_add_f64_e32 v[10:11], v[38:39], v[18:19]
	v_add_f64_e64 v[34:35], v[10:11], -v[38:39]
	s_delay_alu instid0(VALU_DEP_1)
	v_add_f64_e64 v[18:19], v[18:19], -v[34:35]
.LBB137_325:                            ;   in Loop: Header=BB137_201 Depth=1
	s_or_b32 exec_lo, exec_lo, s1
                                        ; implicit-def: $vgpr37
                                        ; implicit-def: $vgpr20_vgpr21
                                        ; implicit-def: $vgpr34_vgpr35
	s_and_saveexec_b32 s1, s0
	s_delay_alu instid0(SALU_CYCLE_1)
	s_xor_b32 s0, exec_lo, s1
	s_cbranch_execz .LBB137_327
; %bb.326:                              ;   in Loop: Header=BB137_201 Depth=1
	v_ldexp_f64 v[20:21], |v[12:13]|, 0xffffff80
	v_cmp_le_f64_e64 vcc_lo, 0x7b000000, |v[12:13]|
	v_trig_preop_f64 v[34:35], |v[12:13]|, 0
	v_and_b32_e32 v25, 0x7fffffff, v13
	v_trig_preop_f64 v[38:39], |v[12:13]|, 1
	v_trig_preop_f64 v[48:49], |v[12:13]|, 2
	s_delay_alu instid0(VALU_DEP_3) | instskip(NEXT) | instid1(VALU_DEP_1)
	v_dual_cndmask_b32 v21, v25, v21 :: v_dual_cndmask_b32 v20, v12, v20
	v_mul_f64_e32 v[40:41], v[34:35], v[20:21]
	s_delay_alu instid0(VALU_DEP_4) | instskip(NEXT) | instid1(VALU_DEP_4)
	v_mul_f64_e32 v[42:43], v[38:39], v[20:21]
	v_mul_f64_e32 v[54:55], v[48:49], v[20:21]
	s_delay_alu instid0(VALU_DEP_3) | instskip(NEXT) | instid1(VALU_DEP_3)
	v_fma_f64 v[34:35], v[34:35], v[20:21], -v[40:41]
	v_fma_f64 v[38:39], v[38:39], v[20:21], -v[42:43]
	s_delay_alu instid0(VALU_DEP_3) | instskip(NEXT) | instid1(VALU_DEP_3)
	v_fma_f64 v[20:21], v[48:49], v[20:21], -v[54:55]
	v_add_f64_e32 v[44:45], v[42:43], v[34:35]
	s_delay_alu instid0(VALU_DEP_1) | instskip(SKIP_1) | instid1(VALU_DEP_2)
	v_add_f64_e64 v[46:47], v[44:45], -v[42:43]
	v_add_f64_e32 v[52:53], v[40:41], v[44:45]
	v_add_f64_e64 v[50:51], v[44:45], -v[46:47]
	v_add_f64_e64 v[34:35], v[34:35], -v[46:47]
	s_delay_alu instid0(VALU_DEP_3) | instskip(NEXT) | instid1(VALU_DEP_3)
	v_ldexp_f64 v[46:47], v[52:53], -2
	v_add_f64_e64 v[42:43], v[42:43], -v[50:51]
	v_add_f64_e32 v[50:51], v[54:55], v[38:39]
	s_delay_alu instid0(VALU_DEP_3) | instskip(NEXT) | instid1(VALU_DEP_3)
	v_cmp_neq_f64_e64 vcc_lo, 0x7ff00000, |v[46:47]|
	v_add_f64_e32 v[34:35], v[34:35], v[42:43]
	v_fract_f64_e32 v[42:43], v[46:47]
	s_delay_alu instid0(VALU_DEP_1) | instskip(NEXT) | instid1(VALU_DEP_1)
	v_ldexp_f64 v[42:43], v[42:43], 2
	v_dual_add_f64 v[40:41], v[52:53], -v[40:41] :: v_dual_cndmask_b32 v43, 0, v43, vcc_lo
	s_delay_alu instid0(VALU_DEP_1) | instskip(SKIP_1) | instid1(VALU_DEP_1)
	v_dual_add_f64 v[40:41], v[44:45], -v[40:41] :: v_dual_cndmask_b32 v42, 0, v42, vcc_lo
	v_add_f64_e32 v[44:45], v[50:51], v[34:35]
	v_add_f64_e32 v[46:47], v[40:41], v[44:45]
	v_add_f64_e64 v[56:57], v[44:45], -v[50:51]
	s_delay_alu instid0(VALU_DEP_2) | instskip(NEXT) | instid1(VALU_DEP_2)
	v_add_f64_e32 v[52:53], v[46:47], v[42:43]
	v_add_f64_e64 v[62:63], v[44:45], -v[56:57]
	v_add_f64_e64 v[34:35], v[34:35], -v[56:57]
	;; [unrolled: 1-line block ×3, first 2 shown]
	s_delay_alu instid0(VALU_DEP_4) | instskip(SKIP_1) | instid1(VALU_DEP_3)
	v_cmp_gt_f64_e32 vcc_lo, 0, v[52:53]
	v_add_f64_e64 v[52:53], v[50:51], -v[54:55]
	v_add_f64_e64 v[40:41], v[44:45], -v[40:41]
	v_cndmask_b32_e64 v25, 0, 0x40100000, vcc_lo
	s_delay_alu instid0(VALU_DEP_3) | instskip(SKIP_2) | instid1(VALU_DEP_4)
	v_add_f64_e64 v[60:61], v[50:51], -v[52:53]
	v_add_f64_e64 v[38:39], v[38:39], -v[52:53]
	v_add_f64_e64 v[50:51], v[50:51], -v[62:63]
	v_add_f64_e32 v[42:43], v[42:43], v[24:25]
	s_delay_alu instid0(VALU_DEP_4) | instskip(NEXT) | instid1(VALU_DEP_3)
	v_add_f64_e64 v[52:53], v[54:55], -v[60:61]
	v_add_f64_e32 v[34:35], v[34:35], v[50:51]
	s_delay_alu instid0(VALU_DEP_3) | instskip(NEXT) | instid1(VALU_DEP_3)
	v_add_f64_e32 v[58:59], v[46:47], v[42:43]
	v_add_f64_e32 v[38:39], v[38:39], v[52:53]
	s_delay_alu instid0(VALU_DEP_2) | instskip(NEXT) | instid1(VALU_DEP_2)
	v_cvt_i32_f64_e32 v25, v[58:59]
	v_add_f64_e32 v[34:35], v[38:39], v[34:35]
	s_delay_alu instid0(VALU_DEP_2) | instskip(NEXT) | instid1(VALU_DEP_2)
	v_cvt_f64_i32_e32 v[56:57], v25
	v_add_f64_e32 v[20:21], v[20:21], v[34:35]
	s_delay_alu instid0(VALU_DEP_2) | instskip(NEXT) | instid1(VALU_DEP_2)
	v_add_f64_e64 v[42:43], v[42:43], -v[56:57]
	v_add_f64_e32 v[20:21], v[40:41], v[20:21]
	s_delay_alu instid0(VALU_DEP_2) | instskip(NEXT) | instid1(VALU_DEP_1)
	v_add_f64_e32 v[38:39], v[46:47], v[42:43]
	v_add_f64_e64 v[34:35], v[38:39], -v[42:43]
	v_cmp_le_f64_e32 vcc_lo, 0.5, v[38:39]
	s_delay_alu instid0(VALU_DEP_2) | instskip(SKIP_2) | instid1(VALU_DEP_3)
	v_add_f64_e64 v[34:35], v[46:47], -v[34:35]
	v_add_co_ci_u32_e64 v37, null, 0, v25, vcc_lo
	v_cndmask_b32_e64 v25, 0, 0x3ff00000, vcc_lo
	v_add_f64_e32 v[20:21], v[20:21], v[34:35]
	s_delay_alu instid0(VALU_DEP_2) | instskip(NEXT) | instid1(VALU_DEP_1)
	v_add_f64_e64 v[34:35], v[38:39], -v[24:25]
	v_add_f64_e32 v[38:39], v[34:35], v[20:21]
	s_delay_alu instid0(VALU_DEP_1) | instskip(SKIP_1) | instid1(VALU_DEP_2)
	v_mul_f64_e32 v[40:41], 0x3ff921fb54442d18, v[38:39]
	v_add_f64_e64 v[34:35], v[38:39], -v[34:35]
	v_fma_f64 v[42:43], v[38:39], s[6:7], -v[40:41]
	s_delay_alu instid0(VALU_DEP_2) | instskip(NEXT) | instid1(VALU_DEP_2)
	v_add_f64_e64 v[20:21], v[20:21], -v[34:35]
	v_fmac_f64_e32 v[42:43], 0x3c91a62633145c07, v[38:39]
	s_delay_alu instid0(VALU_DEP_1) | instskip(NEXT) | instid1(VALU_DEP_1)
	v_fmac_f64_e32 v[42:43], 0x3ff921fb54442d18, v[20:21]
	v_add_f64_e32 v[20:21], v[40:41], v[42:43]
	s_delay_alu instid0(VALU_DEP_1) | instskip(NEXT) | instid1(VALU_DEP_1)
	v_add_f64_e64 v[34:35], v[20:21], -v[40:41]
	v_add_f64_e64 v[34:35], v[42:43], -v[34:35]
	s_and_not1_saveexec_b32 s0, s0
	s_cbranch_execnz .LBB137_328
	s_branch .LBB137_329
.LBB137_327:                            ;   in Loop: Header=BB137_201 Depth=1
	s_and_not1_saveexec_b32 s0, s0
	s_cbranch_execz .LBB137_329
.LBB137_328:                            ;   in Loop: Header=BB137_201 Depth=1
	v_mul_f64_e64 v[20:21], |v[12:13]|, s[8:9]
	s_delay_alu instid0(VALU_DEP_1) | instskip(NEXT) | instid1(VALU_DEP_1)
	v_rndne_f64_e32 v[38:39], v[20:21]
	v_fma_f64 v[20:21], v[38:39], s[10:11], |v[12:13]|
	v_mul_f64_e32 v[34:35], 0xbc91a62633145c00, v[38:39]
	v_cvt_i32_f64_e32 v37, v[38:39]
	s_delay_alu instid0(VALU_DEP_3) | instskip(NEXT) | instid1(VALU_DEP_3)
	v_fmamk_f64 v[44:45], v[38:39], 0xbc91a62633145c00, v[20:21]
	v_add_f64_e32 v[40:41], v[20:21], v[34:35]
	s_delay_alu instid0(VALU_DEP_1) | instskip(NEXT) | instid1(VALU_DEP_3)
	v_add_f64_e64 v[42:43], v[20:21], -v[40:41]
	v_add_f64_e64 v[20:21], v[40:41], -v[44:45]
	s_delay_alu instid0(VALU_DEP_2) | instskip(SKIP_1) | instid1(VALU_DEP_2)
	v_add_f64_e32 v[40:41], v[42:43], v[34:35]
	v_fmamk_f64 v[34:35], v[38:39], 0x3c91a62633145c00, v[34:35]
	v_add_f64_e32 v[20:21], v[20:21], v[40:41]
	s_delay_alu instid0(VALU_DEP_1) | instskip(NEXT) | instid1(VALU_DEP_1)
	v_add_f64_e64 v[34:35], v[20:21], -v[34:35]
	v_fmac_f64_e32 v[34:35], 0xb97b839a252049c0, v[38:39]
	s_delay_alu instid0(VALU_DEP_1) | instskip(NEXT) | instid1(VALU_DEP_1)
	v_add_f64_e32 v[20:21], v[44:45], v[34:35]
	v_add_f64_e64 v[40:41], v[20:21], -v[44:45]
	s_delay_alu instid0(VALU_DEP_1)
	v_add_f64_e64 v[34:35], v[34:35], -v[40:41]
.LBB137_329:                            ;   in Loop: Header=BB137_201 Depth=1
	s_or_b32 exec_lo, exec_lo, s0
	v_dual_mul_f64 v[38:39], v[10:11], v[10:11] :: v_dual_bitop2_b32 v25, 1, v36 bitop3:0x40
	s_delay_alu instid0(VALU_DEP_2) | instskip(SKIP_1) | instid1(VALU_DEP_4)
	v_mul_f64_e32 v[50:51], 0.5, v[18:19]
	v_cmp_class_f64_e64 s0, v[12:13], 0x1f8
	v_dual_mul_f64 v[58:59], 0.5, v[34:35] :: v_dual_bitop2_b32 v12, 1, v37 bitop3:0x40
	s_delay_alu instid0(VALU_DEP_4) | instskip(NEXT) | instid1(VALU_DEP_2)
	v_cmp_eq_u32_e32 vcc_lo, 0, v25
	v_cmp_eq_u32_e64 s1, 0, v12
	v_dual_mul_f64 v[52:53], v[10:11], -v[38:39] :: v_dual_lshlrev_b32 v12, 30, v36
	v_mul_f64_e32 v[42:43], 0.5, v[38:39]
	v_fmamk_f64 v[56:57], v[38:39], 0x3de5e0b2f9a43bb8, v[30:31]
	s_delay_alu instid0(VALU_DEP_1) | instskip(NEXT) | instid1(VALU_DEP_1)
	v_fmaak_f64 v[56:57], v[38:39], v[56:57], 0x3ec71de3796cde01
	v_fmaak_f64 v[56:57], v[38:39], v[56:57], 0xbf2a01a019e83e5c
	s_delay_alu instid0(VALU_DEP_1) | instskip(NEXT) | instid1(VALU_DEP_1)
	v_fmaak_f64 v[56:57], v[38:39], v[56:57], 0x3f81111111110bb3
	v_fmac_f64_e32 v[50:51], v[52:53], v[56:57]
	v_add_f64_e64 v[46:47], -v[42:43], 1.0
	v_mul_f64_e32 v[56:57], v[38:39], v[38:39]
	s_delay_alu instid0(VALU_DEP_3) | instskip(NEXT) | instid1(VALU_DEP_3)
	v_fma_f64 v[50:51], v[38:39], v[50:51], -v[18:19]
	v_add_f64_e64 v[54:55], -v[46:47], 1.0
	s_delay_alu instid0(VALU_DEP_2) | instskip(NEXT) | instid1(VALU_DEP_2)
	v_fmac_f64_e32 v[50:51], 0xbfc5555555555555, v[52:53]
	v_add_f64_e64 v[42:43], v[54:55], -v[42:43]
	s_delay_alu instid0(VALU_DEP_1) | instskip(NEXT) | instid1(VALU_DEP_3)
	v_fma_f64 v[18:19], v[10:11], -v[18:19], v[42:43]
	v_add_f64_e64 v[10:11], v[10:11], -v[50:51]
	v_mul_f64_e32 v[40:41], v[20:21], v[20:21]
	s_delay_alu instid0(VALU_DEP_2) | instskip(NEXT) | instid1(VALU_DEP_2)
	v_xor_b32_e32 v11, 0x80000000, v11
	v_mul_f64_e64 v[60:61], v[20:21], -v[40:41]
	v_fmamk_f64 v[64:65], v[40:41], 0x3de5e0b2f9a43bb8, v[30:31]
	s_delay_alu instid0(VALU_DEP_1) | instskip(NEXT) | instid1(VALU_DEP_1)
	v_fmaak_f64 v[54:55], v[40:41], v[64:65], 0x3ec71de3796cde01
	v_fmaak_f64 v[54:55], v[40:41], v[54:55], 0xbf2a01a019e83e5c
	s_delay_alu instid0(VALU_DEP_1) | instskip(NEXT) | instid1(VALU_DEP_1)
	v_fmaak_f64 v[54:55], v[40:41], v[54:55], 0x3f81111111110bb3
	v_fmac_f64_e32 v[58:59], v[60:61], v[54:55]
	v_fmamk_f64 v[54:55], v[38:39], 0xbda907db46cc5e42, v[28:29]
	s_delay_alu instid0(VALU_DEP_1) | instskip(NEXT) | instid1(VALU_DEP_1)
	v_fmaak_f64 v[42:43], v[38:39], v[54:55], 0xbe927e4fa17f65f6
	v_fmaak_f64 v[42:43], v[38:39], v[42:43], 0x3efa01a019f4ec90
	s_delay_alu instid0(VALU_DEP_1) | instskip(NEXT) | instid1(VALU_DEP_1)
	v_fmaak_f64 v[42:43], v[38:39], v[42:43], 0xbf56c16c16c16967
	v_fmaak_f64 v[38:39], v[38:39], v[42:43], 0x3fa5555555555555
	s_delay_alu instid0(VALU_DEP_1) | instskip(NEXT) | instid1(VALU_DEP_1)
	v_fmac_f64_e32 v[18:19], v[56:57], v[38:39]
	v_add_f64_e32 v[18:19], v[46:47], v[18:19]
	s_delay_alu instid0(VALU_DEP_1) | instskip(NEXT) | instid1(VALU_DEP_2)
	v_dual_mul_f64 v[44:45], 0.5, v[40:41] :: v_dual_cndmask_b32 v10, v10, v18, vcc_lo
	v_cndmask_b32_e32 v11, v11, v19, vcc_lo
	v_fmamk_f64 v[54:55], v[40:41], 0xbda907db46cc5e42, v[28:29]
	v_dual_fma_f64 v[58:59], v[40:41], v[58:59], -v[34:35] :: v_dual_lshlrev_b32 v18, 30, v37
	s_delay_alu instid0(VALU_DEP_3) | instskip(NEXT) | instid1(VALU_DEP_3)
	v_bitop3_b32 v11, v11, v12, 0x80000000 bitop3:0x78
	v_fmaak_f64 v[42:43], v[40:41], v[54:55], 0xbe927e4fa17f65f6
	s_delay_alu instid0(VALU_DEP_3) | instskip(NEXT) | instid1(VALU_DEP_3)
	v_xor_b32_e32 v13, v18, v13
	v_cndmask_b32_e64 v19, 0x7ff80000, v11, s0
	s_delay_alu instid0(VALU_DEP_3) | instskip(NEXT) | instid1(VALU_DEP_1)
	v_fmaak_f64 v[38:39], v[40:41], v[42:43], 0x3efa01a019f4ec90
	v_fmaak_f64 v[38:39], v[40:41], v[38:39], 0xbf56c16c16c16967
	s_delay_alu instid0(VALU_DEP_1) | instskip(SKIP_2) | instid1(VALU_DEP_2)
	v_fmaak_f64 v[38:39], v[40:41], v[38:39], 0x3fa5555555555555
	v_add_f64_e64 v[48:49], -v[44:45], 1.0
	v_fmac_f64_e32 v[58:59], 0xbfc5555555555555, v[60:61]
	v_add_f64_e64 v[62:63], -v[48:49], 1.0
	s_delay_alu instid0(VALU_DEP_1) | instskip(SKIP_1) | instid1(VALU_DEP_2)
	v_add_f64_e64 v[44:45], v[62:63], -v[44:45]
	v_mul_f64_e32 v[62:63], v[40:41], v[40:41]
	v_fma_f64 v[34:35], v[20:21], -v[34:35], v[44:45]
	v_add_f64_e64 v[20:21], v[20:21], -v[58:59]
	s_delay_alu instid0(VALU_DEP_2) | instskip(NEXT) | instid1(VALU_DEP_1)
	v_fmac_f64_e32 v[34:35], v[62:63], v[38:39]
	v_add_f64_e32 v[34:35], v[48:49], v[34:35]
	s_delay_alu instid0(VALU_DEP_1) | instskip(NEXT) | instid1(VALU_DEP_1)
	v_dual_cndmask_b32 v18, v35, v21, s1 :: v_dual_cndmask_b32 v20, v34, v20, s1
	v_bitop3_b32 v12, v18, v13, 0x80000000 bitop3:0x78
	s_delay_alu instid0(VALU_DEP_2) | instskip(NEXT) | instid1(VALU_DEP_2)
	v_dual_cndmask_b32 v18, 0, v10, s0 :: v_dual_cndmask_b32 v20, 0, v20, s0
	v_cndmask_b32_e64 v21, 0x7ff80000, v12, s0
.LBB137_330:                            ;   in Loop: Header=BB137_201 Depth=1
	s_or_b32 exec_lo, exec_lo, s2
                                        ; implicit-def: $vgpr10_vgpr11
.LBB137_331:                            ;   in Loop: Header=BB137_201 Depth=1
	s_and_not1_saveexec_b32 s1, s16
	s_cbranch_execz .LBB137_333
; %bb.332:                              ;   in Loop: Header=BB137_201 Depth=1
	v_mul_f64_e32 v[18:19], 0x3ff71547652b82fe, v[10:11]
	v_cmp_nlt_f64_e32 vcc_lo, 0x40900000, v[10:11]
	v_cmp_ngt_f64_e64 s0, 0xc090cc00, v[10:11]
	s_delay_alu instid0(VALU_DEP_3) | instskip(NEXT) | instid1(VALU_DEP_1)
	v_rndne_f64_e32 v[18:19], v[18:19]
	v_fmamk_f64 v[20:21], v[18:19], 0xbfe62e42fefa39ef, v[10:11]
	v_cvt_i32_f64_e32 v25, v[18:19]
	s_delay_alu instid0(VALU_DEP_2) | instskip(NEXT) | instid1(VALU_DEP_1)
	v_fmac_f64_e32 v[20:21], 0xbc7abc9e3b39803f, v[18:19]
	v_fmamk_f64 v[34:35], v[20:21], 0x3e5ade156a5dcb37, v[26:27]
	s_delay_alu instid0(VALU_DEP_1) | instskip(NEXT) | instid1(VALU_DEP_1)
	v_fmaak_f64 v[34:35], v[20:21], v[34:35], 0x3ec71dee623fde64
	v_fmaak_f64 v[34:35], v[20:21], v[34:35], 0x3efa01997c89e6b0
	s_delay_alu instid0(VALU_DEP_1) | instskip(NEXT) | instid1(VALU_DEP_1)
	v_fmaak_f64 v[34:35], v[20:21], v[34:35], 0x3f2a01a014761f6e
	v_fmaak_f64 v[34:35], v[20:21], v[34:35], 0x3f56c16c1852b7b0
	;; [unrolled: 3-line block ×4, first 2 shown]
	s_delay_alu instid0(VALU_DEP_1) | instskip(NEXT) | instid1(VALU_DEP_1)
	v_fma_f64 v[34:35], v[20:21], v[34:35], 1.0
	v_fma_f64 v[18:19], v[20:21], v[34:35], 1.0
	v_mov_b64_e32 v[20:21], v[12:13]
	s_delay_alu instid0(VALU_DEP_2) | instskip(NEXT) | instid1(VALU_DEP_1)
	v_ldexp_f64 v[18:19], v[18:19], v25
	v_cndmask_b32_e32 v19, 0x7ff00000, v19, vcc_lo
	s_and_b32 vcc_lo, s0, vcc_lo
	s_delay_alu instid0(VALU_DEP_1) | instid1(SALU_CYCLE_1)
	v_dual_cndmask_b32 v18, 0, v18, vcc_lo :: v_dual_cndmask_b32 v19, 0, v19, s0
.LBB137_333:                            ;   in Loop: Header=BB137_201 Depth=1
	s_or_b32 exec_lo, exec_lo, s1
	v_and_b32_e32 v10, 0x7fffffff, v5
	s_delay_alu instid0(VALU_DEP_1) | instskip(NEXT) | instid1(VALU_DEP_1)
	v_or_b32_e32 v11, v10, v4
	v_cmp_ne_u32_e32 vcc_lo, 0, v11
                                        ; implicit-def: $vgpr12_vgpr13
	s_and_saveexec_b32 s0, vcc_lo
	s_delay_alu instid0(SALU_CYCLE_1)
	s_xor_b32 s16, exec_lo, s0
	s_cbranch_execz .LBB137_375
; %bb.334:                              ;   in Loop: Header=BB137_201 Depth=1
	v_and_b32_e32 v25, 0x7fffffff, v3
	s_delay_alu instid0(VALU_DEP_1) | instskip(NEXT) | instid1(VALU_DEP_1)
	v_or_b32_e32 v11, v25, v2
	v_cmp_ne_u32_e32 vcc_lo, 0, v11
                                        ; implicit-def: $vgpr12_vgpr13
	s_and_saveexec_b32 s0, vcc_lo
	s_delay_alu instid0(SALU_CYCLE_1)
	s_xor_b32 s17, exec_lo, s0
	s_cbranch_execz .LBB137_364
; %bb.335:                              ;   in Loop: Header=BB137_201 Depth=1
	v_cmp_gt_u32_e32 vcc_lo, 0x7ff00000, v10
                                        ; implicit-def: $vgpr12_vgpr13
	s_and_saveexec_b32 s0, vcc_lo
	s_delay_alu instid0(SALU_CYCLE_1)
	s_xor_b32 s18, exec_lo, s0
	s_cbranch_execz .LBB137_357
; %bb.336:                              ;   in Loop: Header=BB137_201 Depth=1
	v_add_nc_u32_e32 v10, 0xbf79d1be, v3
	s_delay_alu instid0(VALU_DEP_1) | instskip(SKIP_1) | instid1(SALU_CYCLE_1)
	v_cmp_lt_u32_e32 vcc_lo, 0x108aa2, v10
                                        ; implicit-def: $vgpr12_vgpr13
	s_and_saveexec_b32 s0, vcc_lo
	s_xor_b32 s19, exec_lo, s0
	s_cbranch_execz .LBB137_346
; %bb.337:                              ;   in Loop: Header=BB137_201 Depth=1
	v_cmp_ngt_f64_e64 s0, 0x41d00000, |v[4:5]|
                                        ; implicit-def: $vgpr38
                                        ; implicit-def: $vgpr10_vgpr11
                                        ; implicit-def: $vgpr12_vgpr13
	s_and_saveexec_b32 s1, s0
	s_delay_alu instid0(SALU_CYCLE_1)
	s_xor_b32 s1, exec_lo, s1
	s_cbranch_execz .LBB137_339
; %bb.338:                              ;   in Loop: Header=BB137_201 Depth=1
	v_ldexp_f64 v[10:11], |v[4:5]|, 0xffffff80
	v_cmp_le_f64_e64 vcc_lo, 0x7b000000, |v[4:5]|
	v_trig_preop_f64 v[12:13], |v[4:5]|, 0
	v_and_b32_e32 v25, 0x7fffffff, v5
	v_trig_preop_f64 v[34:35], |v[4:5]|, 1
	v_trig_preop_f64 v[44:45], |v[4:5]|, 2
	s_delay_alu instid0(VALU_DEP_3) | instskip(NEXT) | instid1(VALU_DEP_1)
	v_dual_cndmask_b32 v11, v25, v11 :: v_dual_cndmask_b32 v10, v4, v10
	v_mul_f64_e32 v[36:37], v[12:13], v[10:11]
	s_delay_alu instid0(VALU_DEP_4) | instskip(NEXT) | instid1(VALU_DEP_4)
	v_mul_f64_e32 v[38:39], v[34:35], v[10:11]
	v_mul_f64_e32 v[50:51], v[44:45], v[10:11]
	s_delay_alu instid0(VALU_DEP_3) | instskip(NEXT) | instid1(VALU_DEP_3)
	v_fma_f64 v[12:13], v[12:13], v[10:11], -v[36:37]
	v_fma_f64 v[34:35], v[34:35], v[10:11], -v[38:39]
	s_delay_alu instid0(VALU_DEP_3) | instskip(NEXT) | instid1(VALU_DEP_3)
	v_fma_f64 v[10:11], v[44:45], v[10:11], -v[50:51]
	v_add_f64_e32 v[40:41], v[38:39], v[12:13]
	s_delay_alu instid0(VALU_DEP_1) | instskip(SKIP_1) | instid1(VALU_DEP_2)
	v_add_f64_e64 v[42:43], v[40:41], -v[38:39]
	v_add_f64_e32 v[48:49], v[36:37], v[40:41]
	v_add_f64_e64 v[46:47], v[40:41], -v[42:43]
	v_add_f64_e64 v[12:13], v[12:13], -v[42:43]
	s_delay_alu instid0(VALU_DEP_3) | instskip(NEXT) | instid1(VALU_DEP_3)
	v_ldexp_f64 v[42:43], v[48:49], -2
	v_add_f64_e64 v[38:39], v[38:39], -v[46:47]
	v_add_f64_e32 v[46:47], v[50:51], v[34:35]
	s_delay_alu instid0(VALU_DEP_3) | instskip(NEXT) | instid1(VALU_DEP_3)
	v_cmp_neq_f64_e64 vcc_lo, 0x7ff00000, |v[42:43]|
	v_add_f64_e32 v[12:13], v[12:13], v[38:39]
	v_fract_f64_e32 v[38:39], v[42:43]
	s_delay_alu instid0(VALU_DEP_1) | instskip(NEXT) | instid1(VALU_DEP_1)
	v_ldexp_f64 v[38:39], v[38:39], 2
	v_dual_add_f64 v[36:37], v[48:49], -v[36:37] :: v_dual_cndmask_b32 v38, 0, v38, vcc_lo
	s_delay_alu instid0(VALU_DEP_1) | instskip(SKIP_1) | instid1(VALU_DEP_1)
	v_dual_add_f64 v[36:37], v[40:41], -v[36:37] :: v_dual_cndmask_b32 v39, 0, v39, vcc_lo
	v_add_f64_e32 v[40:41], v[46:47], v[12:13]
	v_add_f64_e32 v[42:43], v[36:37], v[40:41]
	v_add_f64_e64 v[52:53], v[40:41], -v[46:47]
	s_delay_alu instid0(VALU_DEP_2) | instskip(NEXT) | instid1(VALU_DEP_2)
	v_add_f64_e32 v[48:49], v[42:43], v[38:39]
	v_add_f64_e64 v[58:59], v[40:41], -v[52:53]
	v_add_f64_e64 v[12:13], v[12:13], -v[52:53]
	;; [unrolled: 1-line block ×3, first 2 shown]
	s_delay_alu instid0(VALU_DEP_4) | instskip(SKIP_1) | instid1(VALU_DEP_3)
	v_cmp_gt_f64_e32 vcc_lo, 0, v[48:49]
	v_add_f64_e64 v[48:49], v[46:47], -v[50:51]
	v_add_f64_e64 v[36:37], v[40:41], -v[36:37]
	v_cndmask_b32_e64 v25, 0, 0x40100000, vcc_lo
	s_delay_alu instid0(VALU_DEP_3) | instskip(SKIP_2) | instid1(VALU_DEP_4)
	v_add_f64_e64 v[56:57], v[46:47], -v[48:49]
	v_add_f64_e64 v[34:35], v[34:35], -v[48:49]
	;; [unrolled: 1-line block ×3, first 2 shown]
	v_add_f64_e32 v[38:39], v[38:39], v[24:25]
	s_delay_alu instid0(VALU_DEP_4) | instskip(NEXT) | instid1(VALU_DEP_3)
	v_add_f64_e64 v[48:49], v[50:51], -v[56:57]
	v_add_f64_e32 v[12:13], v[12:13], v[46:47]
	s_delay_alu instid0(VALU_DEP_3) | instskip(NEXT) | instid1(VALU_DEP_3)
	v_add_f64_e32 v[54:55], v[42:43], v[38:39]
	v_add_f64_e32 v[34:35], v[34:35], v[48:49]
	s_delay_alu instid0(VALU_DEP_2) | instskip(NEXT) | instid1(VALU_DEP_2)
	v_cvt_i32_f64_e32 v25, v[54:55]
	v_add_f64_e32 v[12:13], v[34:35], v[12:13]
	s_delay_alu instid0(VALU_DEP_2) | instskip(NEXT) | instid1(VALU_DEP_2)
	v_cvt_f64_i32_e32 v[52:53], v25
	v_add_f64_e32 v[10:11], v[10:11], v[12:13]
	s_delay_alu instid0(VALU_DEP_2) | instskip(NEXT) | instid1(VALU_DEP_2)
	v_add_f64_e64 v[38:39], v[38:39], -v[52:53]
	v_add_f64_e32 v[10:11], v[36:37], v[10:11]
	s_delay_alu instid0(VALU_DEP_2) | instskip(NEXT) | instid1(VALU_DEP_1)
	v_add_f64_e32 v[34:35], v[42:43], v[38:39]
	v_add_f64_e64 v[12:13], v[34:35], -v[38:39]
	v_cmp_le_f64_e32 vcc_lo, 0.5, v[34:35]
	s_delay_alu instid0(VALU_DEP_2) | instskip(SKIP_2) | instid1(VALU_DEP_3)
	v_add_f64_e64 v[12:13], v[42:43], -v[12:13]
	v_add_co_ci_u32_e64 v38, null, 0, v25, vcc_lo
	v_cndmask_b32_e64 v25, 0, 0x3ff00000, vcc_lo
	v_add_f64_e32 v[10:11], v[10:11], v[12:13]
	s_delay_alu instid0(VALU_DEP_2) | instskip(NEXT) | instid1(VALU_DEP_1)
	v_add_f64_e64 v[12:13], v[34:35], -v[24:25]
	v_add_f64_e32 v[34:35], v[12:13], v[10:11]
	s_delay_alu instid0(VALU_DEP_1) | instskip(SKIP_1) | instid1(VALU_DEP_2)
	v_mul_f64_e32 v[36:37], 0x3ff921fb54442d18, v[34:35]
	v_add_f64_e64 v[12:13], v[34:35], -v[12:13]
	v_fma_f64 v[40:41], v[34:35], s[6:7], -v[36:37]
	s_delay_alu instid0(VALU_DEP_2) | instskip(NEXT) | instid1(VALU_DEP_2)
	v_add_f64_e64 v[10:11], v[10:11], -v[12:13]
	v_fmac_f64_e32 v[40:41], 0x3c91a62633145c07, v[34:35]
	s_delay_alu instid0(VALU_DEP_1) | instskip(NEXT) | instid1(VALU_DEP_1)
	v_fmac_f64_e32 v[40:41], 0x3ff921fb54442d18, v[10:11]
	v_add_f64_e32 v[10:11], v[36:37], v[40:41]
	s_delay_alu instid0(VALU_DEP_1) | instskip(NEXT) | instid1(VALU_DEP_1)
	v_add_f64_e64 v[12:13], v[10:11], -v[36:37]
	v_add_f64_e64 v[12:13], v[40:41], -v[12:13]
	s_and_not1_saveexec_b32 s1, s1
	s_cbranch_execz .LBB137_341
	s_branch .LBB137_340
.LBB137_339:                            ;   in Loop: Header=BB137_201 Depth=1
	s_and_not1_saveexec_b32 s1, s1
	s_cbranch_execz .LBB137_341
.LBB137_340:                            ;   in Loop: Header=BB137_201 Depth=1
	v_mul_f64_e64 v[10:11], |v[4:5]|, s[8:9]
	s_delay_alu instid0(VALU_DEP_1) | instskip(NEXT) | instid1(VALU_DEP_1)
	v_rndne_f64_e32 v[34:35], v[10:11]
	v_fma_f64 v[10:11], v[34:35], s[10:11], |v[4:5]|
	v_mul_f64_e32 v[12:13], 0xbc91a62633145c00, v[34:35]
	s_delay_alu instid0(VALU_DEP_2) | instskip(NEXT) | instid1(VALU_DEP_2)
	v_fmamk_f64 v[40:41], v[34:35], 0xbc91a62633145c00, v[10:11]
	v_add_f64_e32 v[36:37], v[10:11], v[12:13]
	s_delay_alu instid0(VALU_DEP_1) | instskip(NEXT) | instid1(VALU_DEP_3)
	v_add_f64_e64 v[38:39], v[10:11], -v[36:37]
	v_add_f64_e64 v[10:11], v[36:37], -v[40:41]
	s_delay_alu instid0(VALU_DEP_2) | instskip(SKIP_2) | instid1(VALU_DEP_3)
	v_add_f64_e32 v[36:37], v[38:39], v[12:13]
	v_fmamk_f64 v[12:13], v[34:35], 0x3c91a62633145c00, v[12:13]
	v_cvt_i32_f64_e32 v38, v[34:35]
	v_add_f64_e32 v[10:11], v[10:11], v[36:37]
	s_delay_alu instid0(VALU_DEP_1) | instskip(NEXT) | instid1(VALU_DEP_1)
	v_add_f64_e64 v[12:13], v[10:11], -v[12:13]
	v_fmac_f64_e32 v[12:13], 0xb97b839a252049c0, v[34:35]
	s_delay_alu instid0(VALU_DEP_1) | instskip(NEXT) | instid1(VALU_DEP_1)
	v_add_f64_e32 v[10:11], v[40:41], v[12:13]
	v_add_f64_e64 v[36:37], v[10:11], -v[40:41]
	s_delay_alu instid0(VALU_DEP_1)
	v_add_f64_e64 v[12:13], v[12:13], -v[36:37]
.LBB137_341:                            ;   in Loop: Header=BB137_201 Depth=1
	s_or_b32 exec_lo, exec_lo, s1
                                        ; implicit-def: $vgpr39
                                        ; implicit-def: $vgpr34_vgpr35
                                        ; implicit-def: $vgpr36_vgpr37
	s_and_saveexec_b32 s1, s0
	s_delay_alu instid0(SALU_CYCLE_1)
	s_xor_b32 s0, exec_lo, s1
	s_cbranch_execz .LBB137_343
; %bb.342:                              ;   in Loop: Header=BB137_201 Depth=1
	v_ldexp_f64 v[34:35], |v[4:5]|, 0xffffff80
	v_cmp_le_f64_e64 vcc_lo, 0x7b000000, |v[4:5]|
	v_trig_preop_f64 v[36:37], |v[4:5]|, 0
	v_and_b32_e32 v25, 0x7fffffff, v5
	v_trig_preop_f64 v[40:41], |v[4:5]|, 1
	v_trig_preop_f64 v[50:51], |v[4:5]|, 2
	s_delay_alu instid0(VALU_DEP_3) | instskip(NEXT) | instid1(VALU_DEP_1)
	v_dual_cndmask_b32 v35, v25, v35 :: v_dual_cndmask_b32 v34, v4, v34
	v_mul_f64_e32 v[42:43], v[36:37], v[34:35]
	s_delay_alu instid0(VALU_DEP_4) | instskip(NEXT) | instid1(VALU_DEP_4)
	v_mul_f64_e32 v[44:45], v[40:41], v[34:35]
	v_mul_f64_e32 v[56:57], v[50:51], v[34:35]
	s_delay_alu instid0(VALU_DEP_3) | instskip(NEXT) | instid1(VALU_DEP_3)
	v_fma_f64 v[36:37], v[36:37], v[34:35], -v[42:43]
	v_fma_f64 v[40:41], v[40:41], v[34:35], -v[44:45]
	s_delay_alu instid0(VALU_DEP_3) | instskip(NEXT) | instid1(VALU_DEP_3)
	v_fma_f64 v[34:35], v[50:51], v[34:35], -v[56:57]
	v_add_f64_e32 v[46:47], v[44:45], v[36:37]
	s_delay_alu instid0(VALU_DEP_1) | instskip(SKIP_1) | instid1(VALU_DEP_2)
	v_add_f64_e64 v[48:49], v[46:47], -v[44:45]
	v_add_f64_e32 v[54:55], v[42:43], v[46:47]
	v_add_f64_e64 v[52:53], v[46:47], -v[48:49]
	v_add_f64_e64 v[36:37], v[36:37], -v[48:49]
	s_delay_alu instid0(VALU_DEP_3) | instskip(NEXT) | instid1(VALU_DEP_3)
	v_ldexp_f64 v[48:49], v[54:55], -2
	v_add_f64_e64 v[44:45], v[44:45], -v[52:53]
	v_add_f64_e32 v[52:53], v[56:57], v[40:41]
	s_delay_alu instid0(VALU_DEP_3) | instskip(NEXT) | instid1(VALU_DEP_3)
	v_cmp_neq_f64_e64 vcc_lo, 0x7ff00000, |v[48:49]|
	v_add_f64_e32 v[36:37], v[36:37], v[44:45]
	v_fract_f64_e32 v[44:45], v[48:49]
	s_delay_alu instid0(VALU_DEP_1) | instskip(NEXT) | instid1(VALU_DEP_1)
	v_ldexp_f64 v[44:45], v[44:45], 2
	v_dual_add_f64 v[42:43], v[54:55], -v[42:43] :: v_dual_cndmask_b32 v45, 0, v45, vcc_lo
	s_delay_alu instid0(VALU_DEP_1) | instskip(SKIP_1) | instid1(VALU_DEP_1)
	v_dual_add_f64 v[42:43], v[46:47], -v[42:43] :: v_dual_cndmask_b32 v44, 0, v44, vcc_lo
	v_add_f64_e32 v[46:47], v[52:53], v[36:37]
	v_add_f64_e32 v[48:49], v[42:43], v[46:47]
	v_add_f64_e64 v[58:59], v[46:47], -v[52:53]
	s_delay_alu instid0(VALU_DEP_2) | instskip(NEXT) | instid1(VALU_DEP_2)
	v_add_f64_e32 v[54:55], v[48:49], v[44:45]
	v_add_f64_e64 v[64:65], v[46:47], -v[58:59]
	v_add_f64_e64 v[36:37], v[36:37], -v[58:59]
	;; [unrolled: 1-line block ×3, first 2 shown]
	s_delay_alu instid0(VALU_DEP_4) | instskip(SKIP_1) | instid1(VALU_DEP_3)
	v_cmp_gt_f64_e32 vcc_lo, 0, v[54:55]
	v_add_f64_e64 v[54:55], v[52:53], -v[56:57]
	v_add_f64_e64 v[42:43], v[46:47], -v[42:43]
	v_cndmask_b32_e64 v25, 0, 0x40100000, vcc_lo
	s_delay_alu instid0(VALU_DEP_3) | instskip(SKIP_2) | instid1(VALU_DEP_4)
	v_add_f64_e64 v[62:63], v[52:53], -v[54:55]
	v_add_f64_e64 v[40:41], v[40:41], -v[54:55]
	;; [unrolled: 1-line block ×3, first 2 shown]
	v_add_f64_e32 v[44:45], v[44:45], v[24:25]
	s_delay_alu instid0(VALU_DEP_4) | instskip(NEXT) | instid1(VALU_DEP_3)
	v_add_f64_e64 v[54:55], v[56:57], -v[62:63]
	v_add_f64_e32 v[36:37], v[36:37], v[52:53]
	s_delay_alu instid0(VALU_DEP_3) | instskip(NEXT) | instid1(VALU_DEP_3)
	v_add_f64_e32 v[60:61], v[48:49], v[44:45]
	v_add_f64_e32 v[40:41], v[40:41], v[54:55]
	s_delay_alu instid0(VALU_DEP_2) | instskip(NEXT) | instid1(VALU_DEP_2)
	v_cvt_i32_f64_e32 v25, v[60:61]
	v_add_f64_e32 v[36:37], v[40:41], v[36:37]
	s_delay_alu instid0(VALU_DEP_2) | instskip(NEXT) | instid1(VALU_DEP_2)
	v_cvt_f64_i32_e32 v[58:59], v25
	v_add_f64_e32 v[34:35], v[34:35], v[36:37]
	s_delay_alu instid0(VALU_DEP_2) | instskip(NEXT) | instid1(VALU_DEP_2)
	v_add_f64_e64 v[44:45], v[44:45], -v[58:59]
	v_add_f64_e32 v[34:35], v[42:43], v[34:35]
	s_delay_alu instid0(VALU_DEP_2) | instskip(NEXT) | instid1(VALU_DEP_1)
	v_add_f64_e32 v[40:41], v[48:49], v[44:45]
	v_add_f64_e64 v[36:37], v[40:41], -v[44:45]
	v_cmp_le_f64_e32 vcc_lo, 0.5, v[40:41]
	s_delay_alu instid0(VALU_DEP_2) | instskip(SKIP_2) | instid1(VALU_DEP_3)
	v_add_f64_e64 v[36:37], v[48:49], -v[36:37]
	v_add_co_ci_u32_e64 v39, null, 0, v25, vcc_lo
	v_cndmask_b32_e64 v25, 0, 0x3ff00000, vcc_lo
	v_add_f64_e32 v[34:35], v[34:35], v[36:37]
	s_delay_alu instid0(VALU_DEP_2) | instskip(NEXT) | instid1(VALU_DEP_1)
	v_add_f64_e64 v[36:37], v[40:41], -v[24:25]
	v_add_f64_e32 v[40:41], v[36:37], v[34:35]
	s_delay_alu instid0(VALU_DEP_1) | instskip(SKIP_1) | instid1(VALU_DEP_2)
	v_mul_f64_e32 v[42:43], 0x3ff921fb54442d18, v[40:41]
	v_add_f64_e64 v[36:37], v[40:41], -v[36:37]
	v_fma_f64 v[44:45], v[40:41], s[6:7], -v[42:43]
	s_delay_alu instid0(VALU_DEP_2) | instskip(NEXT) | instid1(VALU_DEP_2)
	v_add_f64_e64 v[34:35], v[34:35], -v[36:37]
	v_fmac_f64_e32 v[44:45], 0x3c91a62633145c07, v[40:41]
	s_delay_alu instid0(VALU_DEP_1) | instskip(NEXT) | instid1(VALU_DEP_1)
	v_fmac_f64_e32 v[44:45], 0x3ff921fb54442d18, v[34:35]
	v_add_f64_e32 v[34:35], v[42:43], v[44:45]
	s_delay_alu instid0(VALU_DEP_1) | instskip(NEXT) | instid1(VALU_DEP_1)
	v_add_f64_e64 v[36:37], v[34:35], -v[42:43]
	v_add_f64_e64 v[36:37], v[44:45], -v[36:37]
	s_and_not1_saveexec_b32 s0, s0
	s_cbranch_execnz .LBB137_344
	s_branch .LBB137_345
.LBB137_343:                            ;   in Loop: Header=BB137_201 Depth=1
	s_and_not1_saveexec_b32 s0, s0
	s_cbranch_execz .LBB137_345
.LBB137_344:                            ;   in Loop: Header=BB137_201 Depth=1
	v_mul_f64_e64 v[34:35], |v[4:5]|, s[8:9]
	s_delay_alu instid0(VALU_DEP_1) | instskip(NEXT) | instid1(VALU_DEP_1)
	v_rndne_f64_e32 v[40:41], v[34:35]
	v_fma_f64 v[34:35], v[40:41], s[10:11], |v[4:5]|
	v_mul_f64_e32 v[36:37], 0xbc91a62633145c00, v[40:41]
	v_cvt_i32_f64_e32 v39, v[40:41]
	s_delay_alu instid0(VALU_DEP_3) | instskip(NEXT) | instid1(VALU_DEP_3)
	v_fmamk_f64 v[46:47], v[40:41], 0xbc91a62633145c00, v[34:35]
	v_add_f64_e32 v[42:43], v[34:35], v[36:37]
	s_delay_alu instid0(VALU_DEP_1) | instskip(NEXT) | instid1(VALU_DEP_3)
	v_add_f64_e64 v[44:45], v[34:35], -v[42:43]
	v_add_f64_e64 v[34:35], v[42:43], -v[46:47]
	s_delay_alu instid0(VALU_DEP_2) | instskip(SKIP_1) | instid1(VALU_DEP_2)
	v_add_f64_e32 v[42:43], v[44:45], v[36:37]
	v_fmamk_f64 v[36:37], v[40:41], 0x3c91a62633145c00, v[36:37]
	v_add_f64_e32 v[34:35], v[34:35], v[42:43]
	s_delay_alu instid0(VALU_DEP_1) | instskip(NEXT) | instid1(VALU_DEP_1)
	v_add_f64_e64 v[36:37], v[34:35], -v[36:37]
	v_fmac_f64_e32 v[36:37], 0xb97b839a252049c0, v[40:41]
	s_delay_alu instid0(VALU_DEP_1) | instskip(NEXT) | instid1(VALU_DEP_1)
	v_add_f64_e32 v[34:35], v[46:47], v[36:37]
	v_add_f64_e64 v[42:43], v[34:35], -v[46:47]
	s_delay_alu instid0(VALU_DEP_1)
	v_add_f64_e64 v[36:37], v[36:37], -v[42:43]
.LBB137_345:                            ;   in Loop: Header=BB137_201 Depth=1
	s_or_b32 exec_lo, exec_lo, s0
	v_mul_f64_e32 v[40:41], 0x3ff71547652b82fe, v[2:3]
	v_cmp_ngt_f64_e64 s2, 0xc090cc00, v[2:3]
	v_mul_f64_e32 v[42:43], v[10:11], v[10:11]
	s_delay_alu instid0(VALU_DEP_4)
	v_mul_f64_e32 v[56:57], 0.5, v[12:13]
	v_cmp_nlt_f64_e64 s1, 0x40900000, v[2:3]
	v_mul_f64_e32 v[66:67], 0.5, v[36:37]
	v_cmp_class_f64_e64 s0, v[4:5], 0x1f8
	v_rndne_f64_e32 v[40:41], v[40:41]
	v_mul_f64_e32 v[46:47], 0.5, v[42:43]
	v_mul_f64_e64 v[58:59], v[10:11], -v[42:43]
	v_fmamk_f64 v[62:63], v[42:43], 0x3de5e0b2f9a43bb8, v[30:31]
	s_delay_alu instid0(VALU_DEP_1) | instskip(NEXT) | instid1(VALU_DEP_1)
	v_fmaak_f64 v[62:63], v[42:43], v[62:63], 0x3ec71de3796cde01
	v_fmaak_f64 v[62:63], v[42:43], v[62:63], 0xbf2a01a019e83e5c
	s_delay_alu instid0(VALU_DEP_1)
	v_fmaak_f64 v[62:63], v[42:43], v[62:63], 0x3f81111111110bb3
	v_fmamk_f64 v[50:51], v[40:41], 0xbfe62e42fefa39ef, v[2:3]
	v_cvt_i32_f64_e32 v25, v[40:41]
	v_add_f64_e64 v[52:53], -v[46:47], 1.0
	v_and_b32_e32 v2, 1, v39
	v_fmac_f64_e32 v[56:57], v[58:59], v[62:63]
	v_fmac_f64_e32 v[50:51], 0xbc7abc9e3b39803f, v[40:41]
	s_delay_alu instid0(VALU_DEP_3) | instskip(SKIP_4) | instid1(VALU_DEP_1)
	v_cmp_eq_u32_e64 s3, 0, v2
	v_lshlrev_b32_e32 v2, 30, v38
	v_add_f64_e64 v[60:61], -v[52:53], 1.0
	v_fma_f64 v[56:57], v[42:43], v[56:57], -v[12:13]
	v_fmamk_f64 v[64:65], v[50:51], 0x3e5ade156a5dcb37, v[26:27]
	v_fmaak_f64 v[64:65], v[50:51], v[64:65], 0x3ec71dee623fde64
	s_delay_alu instid0(VALU_DEP_1) | instskip(NEXT) | instid1(VALU_DEP_1)
	v_fmaak_f64 v[64:65], v[50:51], v[64:65], 0x3efa01997c89e6b0
	v_fmaak_f64 v[64:65], v[50:51], v[64:65], 0x3f2a01a014761f6e
	v_add_f64_e64 v[46:47], v[60:61], -v[46:47]
	s_delay_alu instid0(VALU_DEP_2) | instskip(SKIP_2) | instid1(VALU_DEP_3)
	v_fmaak_f64 v[60:61], v[50:51], v[64:65], 0x3f56c16c1852b7b0
	v_fmac_f64_e32 v[56:57], 0xbfc5555555555555, v[58:59]
	v_mul_f64_e32 v[64:65], v[42:43], v[42:43]
	v_fmaak_f64 v[60:61], v[50:51], v[60:61], 0x3f81111111122322
	s_delay_alu instid0(VALU_DEP_1) | instskip(NEXT) | instid1(VALU_DEP_1)
	v_fmaak_f64 v[60:61], v[50:51], v[60:61], 0x3fa55555555502a1
	v_fmaak_f64 v[60:61], v[50:51], v[60:61], 0x3fc5555555555511
	s_delay_alu instid0(VALU_DEP_1) | instskip(SKIP_2) | instid1(VALU_DEP_3)
	v_fmaak_f64 v[60:61], v[50:51], v[60:61], 0x3fe000000000000b
	v_fma_f64 v[12:13], v[10:11], -v[12:13], v[46:47]
	v_add_f64_e64 v[10:11], v[10:11], -v[56:57]
	v_fma_f64 v[60:61], v[50:51], v[60:61], 1.0
	s_delay_alu instid0(VALU_DEP_2) | instskip(SKIP_1) | instid1(VALU_DEP_3)
	v_xor_b32_e32 v3, 0x80000000, v11
	v_lshlrev_b32_e32 v11, 30, v39
	v_fma_f64 v[40:41], v[50:51], v[60:61], 1.0
	s_delay_alu instid0(VALU_DEP_2) | instskip(NEXT) | instid1(VALU_DEP_2)
	v_xor_b32_e32 v5, v11, v5
	v_ldexp_f64 v[40:41], v[40:41], v25
	v_mul_f64_e32 v[44:45], v[34:35], v[34:35]
	v_and_b32_e32 v25, 1, v38
	s_delay_alu instid0(VALU_DEP_1) | instskip(NEXT) | instid1(VALU_DEP_4)
	v_cmp_eq_u32_e32 vcc_lo, 0, v25
	v_cndmask_b32_e64 v4, 0x7ff00000, v41, s1
	s_delay_alu instid0(VALU_DEP_4) | instskip(SKIP_2) | instid1(VALU_DEP_1)
	v_mul_f64_e32 v[48:49], 0.5, v[44:45]
	v_mul_f64_e64 v[68:69], v[34:35], -v[44:45]
	v_fmamk_f64 v[72:73], v[44:45], 0x3de5e0b2f9a43bb8, v[30:31]
	v_fmaak_f64 v[62:63], v[44:45], v[72:73], 0x3ec71de3796cde01
	s_delay_alu instid0(VALU_DEP_1) | instskip(NEXT) | instid1(VALU_DEP_1)
	v_fmaak_f64 v[62:63], v[44:45], v[62:63], 0xbf2a01a019e83e5c
	v_fmaak_f64 v[62:63], v[44:45], v[62:63], 0x3f81111111110bb3
	v_add_f64_e64 v[54:55], -v[48:49], 1.0
	s_delay_alu instid0(VALU_DEP_2) | instskip(SKIP_1) | instid1(VALU_DEP_1)
	v_fmac_f64_e32 v[66:67], v[68:69], v[62:63]
	v_fmamk_f64 v[62:63], v[42:43], 0xbda907db46cc5e42, v[28:29]
	v_fmaak_f64 v[46:47], v[42:43], v[62:63], 0xbe927e4fa17f65f6
	v_mul_f64_e32 v[62:63], v[44:45], v[44:45]
	s_delay_alu instid0(VALU_DEP_2) | instskip(NEXT) | instid1(VALU_DEP_1)
	v_fmaak_f64 v[46:47], v[42:43], v[46:47], 0x3efa01a019f4ec90
	v_fmaak_f64 v[46:47], v[42:43], v[46:47], 0xbf56c16c16c16967
	s_delay_alu instid0(VALU_DEP_1) | instskip(SKIP_2) | instid1(VALU_DEP_3)
	v_fmaak_f64 v[42:43], v[42:43], v[46:47], 0x3fa5555555555555
	v_add_f64_e64 v[70:71], -v[54:55], 1.0
	v_fma_f64 v[46:47], v[44:45], v[66:67], -v[36:37]
	v_fmac_f64_e32 v[12:13], v[64:65], v[42:43]
	s_delay_alu instid0(VALU_DEP_3) | instskip(SKIP_1) | instid1(VALU_DEP_4)
	v_add_f64_e64 v[48:49], v[70:71], -v[48:49]
	v_fmamk_f64 v[70:71], v[44:45], 0xbda907db46cc5e42, v[28:29]
	v_fmac_f64_e32 v[46:47], 0xbfc5555555555555, v[68:69]
	s_delay_alu instid0(VALU_DEP_4) | instskip(NEXT) | instid1(VALU_DEP_4)
	v_add_f64_e32 v[12:13], v[52:53], v[12:13]
	v_fma_f64 v[36:37], v[34:35], -v[36:37], v[48:49]
	s_delay_alu instid0(VALU_DEP_4) | instskip(NEXT) | instid1(VALU_DEP_4)
	v_fmaak_f64 v[48:49], v[44:45], v[70:71], 0xbe927e4fa17f65f6
	v_add_f64_e64 v[34:35], v[34:35], -v[46:47]
	s_delay_alu instid0(VALU_DEP_4) | instskip(SKIP_1) | instid1(VALU_DEP_3)
	v_dual_cndmask_b32 v10, v10, v12 :: v_dual_cndmask_b32 v3, v3, v13
	s_and_b32 vcc_lo, s2, s1
	v_fmaak_f64 v[42:43], v[44:45], v[48:49], 0x3efa01a019f4ec90
	s_delay_alu instid0(VALU_DEP_2) | instskip(NEXT) | instid1(VALU_DEP_3)
	v_bitop3_b32 v3, v3, v2, 0x80000000 bitop3:0x78
	v_cndmask_b32_e64 v2, 0, v10, s0
	s_delay_alu instid0(VALU_DEP_3) | instskip(NEXT) | instid1(VALU_DEP_3)
	v_fmaak_f64 v[42:43], v[44:45], v[42:43], 0xbf56c16c16c16967
	v_cndmask_b32_e64 v3, 0x7ff80000, v3, s0
	s_delay_alu instid0(VALU_DEP_2) | instskip(NEXT) | instid1(VALU_DEP_1)
	v_fmaak_f64 v[42:43], v[44:45], v[42:43], 0x3fa5555555555555
	v_fmac_f64_e32 v[36:37], v[62:63], v[42:43]
	s_delay_alu instid0(VALU_DEP_1) | instskip(NEXT) | instid1(VALU_DEP_1)
	v_add_f64_e32 v[36:37], v[54:55], v[36:37]
	v_dual_cndmask_b32 v12, v37, v35, s3 :: v_dual_cndmask_b32 v11, v36, v34, s3
	s_delay_alu instid0(VALU_DEP_1) | instskip(NEXT) | instid1(VALU_DEP_2)
	v_bitop3_b32 v10, v12, v5, 0x80000000 bitop3:0x78
	v_dual_cndmask_b32 v5, 0, v4, s2 :: v_dual_cndmask_b32 v12, 0, v11, s0
	v_cndmask_b32_e32 v4, 0, v40, vcc_lo
	s_delay_alu instid0(VALU_DEP_3) | instskip(NEXT) | instid1(VALU_DEP_2)
	v_cndmask_b32_e64 v13, 0x7ff80000, v10, s0
	v_mul_f64_e32 v[10:11], v[4:5], v[2:3]
	s_delay_alu instid0(VALU_DEP_2)
	v_mul_f64_e32 v[12:13], v[4:5], v[12:13]
                                        ; implicit-def: $vgpr4_vgpr5
.LBB137_346:                            ;   in Loop: Header=BB137_201 Depth=1
	s_and_not1_saveexec_b32 s19, s19
	s_cbranch_execz .LBB137_356
; %bb.347:                              ;   in Loop: Header=BB137_201 Depth=1
	v_cmp_ngt_f64_e64 s0, 0x41d00000, |v[4:5]|
                                        ; implicit-def: $vgpr38
                                        ; implicit-def: $vgpr10_vgpr11
                                        ; implicit-def: $vgpr12_vgpr13
	s_and_saveexec_b32 s1, s0
	s_delay_alu instid0(SALU_CYCLE_1)
	s_xor_b32 s1, exec_lo, s1
	s_cbranch_execz .LBB137_349
; %bb.348:                              ;   in Loop: Header=BB137_201 Depth=1
	v_ldexp_f64 v[10:11], |v[4:5]|, 0xffffff80
	v_cmp_le_f64_e64 vcc_lo, 0x7b000000, |v[4:5]|
	v_trig_preop_f64 v[12:13], |v[4:5]|, 0
	v_and_b32_e32 v25, 0x7fffffff, v5
	v_trig_preop_f64 v[34:35], |v[4:5]|, 1
	v_trig_preop_f64 v[44:45], |v[4:5]|, 2
	s_delay_alu instid0(VALU_DEP_3) | instskip(NEXT) | instid1(VALU_DEP_1)
	v_dual_cndmask_b32 v11, v25, v11 :: v_dual_cndmask_b32 v10, v4, v10
	v_mul_f64_e32 v[36:37], v[12:13], v[10:11]
	s_delay_alu instid0(VALU_DEP_4) | instskip(NEXT) | instid1(VALU_DEP_4)
	v_mul_f64_e32 v[38:39], v[34:35], v[10:11]
	v_mul_f64_e32 v[50:51], v[44:45], v[10:11]
	s_delay_alu instid0(VALU_DEP_3) | instskip(NEXT) | instid1(VALU_DEP_3)
	v_fma_f64 v[12:13], v[12:13], v[10:11], -v[36:37]
	v_fma_f64 v[34:35], v[34:35], v[10:11], -v[38:39]
	s_delay_alu instid0(VALU_DEP_3) | instskip(NEXT) | instid1(VALU_DEP_3)
	v_fma_f64 v[10:11], v[44:45], v[10:11], -v[50:51]
	v_add_f64_e32 v[40:41], v[38:39], v[12:13]
	s_delay_alu instid0(VALU_DEP_1) | instskip(SKIP_1) | instid1(VALU_DEP_2)
	v_add_f64_e64 v[42:43], v[40:41], -v[38:39]
	v_add_f64_e32 v[48:49], v[36:37], v[40:41]
	v_add_f64_e64 v[46:47], v[40:41], -v[42:43]
	v_add_f64_e64 v[12:13], v[12:13], -v[42:43]
	s_delay_alu instid0(VALU_DEP_3) | instskip(NEXT) | instid1(VALU_DEP_3)
	v_ldexp_f64 v[42:43], v[48:49], -2
	v_add_f64_e64 v[38:39], v[38:39], -v[46:47]
	v_add_f64_e32 v[46:47], v[50:51], v[34:35]
	s_delay_alu instid0(VALU_DEP_3) | instskip(NEXT) | instid1(VALU_DEP_3)
	v_cmp_neq_f64_e64 vcc_lo, 0x7ff00000, |v[42:43]|
	v_add_f64_e32 v[12:13], v[12:13], v[38:39]
	v_fract_f64_e32 v[38:39], v[42:43]
	s_delay_alu instid0(VALU_DEP_1) | instskip(NEXT) | instid1(VALU_DEP_1)
	v_ldexp_f64 v[38:39], v[38:39], 2
	v_dual_add_f64 v[36:37], v[48:49], -v[36:37] :: v_dual_cndmask_b32 v38, 0, v38, vcc_lo
	s_delay_alu instid0(VALU_DEP_1) | instskip(SKIP_1) | instid1(VALU_DEP_1)
	v_dual_add_f64 v[36:37], v[40:41], -v[36:37] :: v_dual_cndmask_b32 v39, 0, v39, vcc_lo
	v_add_f64_e32 v[40:41], v[46:47], v[12:13]
	v_add_f64_e32 v[42:43], v[36:37], v[40:41]
	v_add_f64_e64 v[52:53], v[40:41], -v[46:47]
	s_delay_alu instid0(VALU_DEP_2) | instskip(NEXT) | instid1(VALU_DEP_2)
	v_add_f64_e32 v[48:49], v[42:43], v[38:39]
	v_add_f64_e64 v[58:59], v[40:41], -v[52:53]
	v_add_f64_e64 v[12:13], v[12:13], -v[52:53]
	;; [unrolled: 1-line block ×3, first 2 shown]
	s_delay_alu instid0(VALU_DEP_4) | instskip(SKIP_1) | instid1(VALU_DEP_3)
	v_cmp_gt_f64_e32 vcc_lo, 0, v[48:49]
	v_add_f64_e64 v[48:49], v[46:47], -v[50:51]
	v_add_f64_e64 v[36:37], v[40:41], -v[36:37]
	v_cndmask_b32_e64 v25, 0, 0x40100000, vcc_lo
	s_delay_alu instid0(VALU_DEP_3) | instskip(SKIP_2) | instid1(VALU_DEP_4)
	v_add_f64_e64 v[56:57], v[46:47], -v[48:49]
	v_add_f64_e64 v[34:35], v[34:35], -v[48:49]
	v_add_f64_e64 v[46:47], v[46:47], -v[58:59]
	v_add_f64_e32 v[38:39], v[38:39], v[24:25]
	s_delay_alu instid0(VALU_DEP_4) | instskip(NEXT) | instid1(VALU_DEP_3)
	v_add_f64_e64 v[48:49], v[50:51], -v[56:57]
	v_add_f64_e32 v[12:13], v[12:13], v[46:47]
	s_delay_alu instid0(VALU_DEP_3) | instskip(NEXT) | instid1(VALU_DEP_3)
	v_add_f64_e32 v[54:55], v[42:43], v[38:39]
	v_add_f64_e32 v[34:35], v[34:35], v[48:49]
	s_delay_alu instid0(VALU_DEP_2) | instskip(NEXT) | instid1(VALU_DEP_2)
	v_cvt_i32_f64_e32 v25, v[54:55]
	v_add_f64_e32 v[12:13], v[34:35], v[12:13]
	s_delay_alu instid0(VALU_DEP_2) | instskip(NEXT) | instid1(VALU_DEP_2)
	v_cvt_f64_i32_e32 v[52:53], v25
	v_add_f64_e32 v[10:11], v[10:11], v[12:13]
	s_delay_alu instid0(VALU_DEP_2) | instskip(NEXT) | instid1(VALU_DEP_2)
	v_add_f64_e64 v[38:39], v[38:39], -v[52:53]
	v_add_f64_e32 v[10:11], v[36:37], v[10:11]
	s_delay_alu instid0(VALU_DEP_2) | instskip(NEXT) | instid1(VALU_DEP_1)
	v_add_f64_e32 v[34:35], v[42:43], v[38:39]
	v_add_f64_e64 v[12:13], v[34:35], -v[38:39]
	v_cmp_le_f64_e32 vcc_lo, 0.5, v[34:35]
	s_delay_alu instid0(VALU_DEP_2) | instskip(SKIP_2) | instid1(VALU_DEP_3)
	v_add_f64_e64 v[12:13], v[42:43], -v[12:13]
	v_add_co_ci_u32_e64 v38, null, 0, v25, vcc_lo
	v_cndmask_b32_e64 v25, 0, 0x3ff00000, vcc_lo
	v_add_f64_e32 v[10:11], v[10:11], v[12:13]
	s_delay_alu instid0(VALU_DEP_2) | instskip(NEXT) | instid1(VALU_DEP_1)
	v_add_f64_e64 v[12:13], v[34:35], -v[24:25]
	v_add_f64_e32 v[34:35], v[12:13], v[10:11]
	s_delay_alu instid0(VALU_DEP_1) | instskip(SKIP_1) | instid1(VALU_DEP_2)
	v_mul_f64_e32 v[36:37], 0x3ff921fb54442d18, v[34:35]
	v_add_f64_e64 v[12:13], v[34:35], -v[12:13]
	v_fma_f64 v[40:41], v[34:35], s[6:7], -v[36:37]
	s_delay_alu instid0(VALU_DEP_2) | instskip(NEXT) | instid1(VALU_DEP_2)
	v_add_f64_e64 v[10:11], v[10:11], -v[12:13]
	v_fmac_f64_e32 v[40:41], 0x3c91a62633145c07, v[34:35]
	s_delay_alu instid0(VALU_DEP_1) | instskip(NEXT) | instid1(VALU_DEP_1)
	v_fmac_f64_e32 v[40:41], 0x3ff921fb54442d18, v[10:11]
	v_add_f64_e32 v[10:11], v[36:37], v[40:41]
	s_delay_alu instid0(VALU_DEP_1) | instskip(NEXT) | instid1(VALU_DEP_1)
	v_add_f64_e64 v[12:13], v[10:11], -v[36:37]
	v_add_f64_e64 v[12:13], v[40:41], -v[12:13]
	s_and_not1_saveexec_b32 s1, s1
	s_cbranch_execz .LBB137_351
	s_branch .LBB137_350
.LBB137_349:                            ;   in Loop: Header=BB137_201 Depth=1
	s_and_not1_saveexec_b32 s1, s1
	s_cbranch_execz .LBB137_351
.LBB137_350:                            ;   in Loop: Header=BB137_201 Depth=1
	v_mul_f64_e64 v[10:11], |v[4:5]|, s[8:9]
	s_delay_alu instid0(VALU_DEP_1) | instskip(NEXT) | instid1(VALU_DEP_1)
	v_rndne_f64_e32 v[34:35], v[10:11]
	v_fma_f64 v[10:11], v[34:35], s[10:11], |v[4:5]|
	v_mul_f64_e32 v[12:13], 0xbc91a62633145c00, v[34:35]
	s_delay_alu instid0(VALU_DEP_2) | instskip(NEXT) | instid1(VALU_DEP_2)
	v_fmamk_f64 v[40:41], v[34:35], 0xbc91a62633145c00, v[10:11]
	v_add_f64_e32 v[36:37], v[10:11], v[12:13]
	s_delay_alu instid0(VALU_DEP_1) | instskip(NEXT) | instid1(VALU_DEP_3)
	v_add_f64_e64 v[38:39], v[10:11], -v[36:37]
	v_add_f64_e64 v[10:11], v[36:37], -v[40:41]
	s_delay_alu instid0(VALU_DEP_2) | instskip(SKIP_2) | instid1(VALU_DEP_3)
	v_add_f64_e32 v[36:37], v[38:39], v[12:13]
	v_fmamk_f64 v[12:13], v[34:35], 0x3c91a62633145c00, v[12:13]
	v_cvt_i32_f64_e32 v38, v[34:35]
	v_add_f64_e32 v[10:11], v[10:11], v[36:37]
	s_delay_alu instid0(VALU_DEP_1) | instskip(NEXT) | instid1(VALU_DEP_1)
	v_add_f64_e64 v[12:13], v[10:11], -v[12:13]
	v_fmac_f64_e32 v[12:13], 0xb97b839a252049c0, v[34:35]
	s_delay_alu instid0(VALU_DEP_1) | instskip(NEXT) | instid1(VALU_DEP_1)
	v_add_f64_e32 v[10:11], v[40:41], v[12:13]
	v_add_f64_e64 v[36:37], v[10:11], -v[40:41]
	s_delay_alu instid0(VALU_DEP_1)
	v_add_f64_e64 v[12:13], v[12:13], -v[36:37]
.LBB137_351:                            ;   in Loop: Header=BB137_201 Depth=1
	s_or_b32 exec_lo, exec_lo, s1
                                        ; implicit-def: $vgpr39
                                        ; implicit-def: $vgpr34_vgpr35
                                        ; implicit-def: $vgpr36_vgpr37
	s_and_saveexec_b32 s1, s0
	s_delay_alu instid0(SALU_CYCLE_1)
	s_xor_b32 s0, exec_lo, s1
	s_cbranch_execz .LBB137_353
; %bb.352:                              ;   in Loop: Header=BB137_201 Depth=1
	v_ldexp_f64 v[34:35], |v[4:5]|, 0xffffff80
	v_cmp_le_f64_e64 vcc_lo, 0x7b000000, |v[4:5]|
	v_trig_preop_f64 v[36:37], |v[4:5]|, 0
	v_and_b32_e32 v25, 0x7fffffff, v5
	v_trig_preop_f64 v[40:41], |v[4:5]|, 1
	v_trig_preop_f64 v[50:51], |v[4:5]|, 2
	s_delay_alu instid0(VALU_DEP_3) | instskip(NEXT) | instid1(VALU_DEP_1)
	v_dual_cndmask_b32 v35, v25, v35 :: v_dual_cndmask_b32 v34, v4, v34
	v_mul_f64_e32 v[42:43], v[36:37], v[34:35]
	s_delay_alu instid0(VALU_DEP_4) | instskip(NEXT) | instid1(VALU_DEP_4)
	v_mul_f64_e32 v[44:45], v[40:41], v[34:35]
	v_mul_f64_e32 v[56:57], v[50:51], v[34:35]
	s_delay_alu instid0(VALU_DEP_3) | instskip(NEXT) | instid1(VALU_DEP_3)
	v_fma_f64 v[36:37], v[36:37], v[34:35], -v[42:43]
	v_fma_f64 v[40:41], v[40:41], v[34:35], -v[44:45]
	s_delay_alu instid0(VALU_DEP_3) | instskip(NEXT) | instid1(VALU_DEP_3)
	v_fma_f64 v[34:35], v[50:51], v[34:35], -v[56:57]
	v_add_f64_e32 v[46:47], v[44:45], v[36:37]
	s_delay_alu instid0(VALU_DEP_1) | instskip(SKIP_1) | instid1(VALU_DEP_2)
	v_add_f64_e64 v[48:49], v[46:47], -v[44:45]
	v_add_f64_e32 v[54:55], v[42:43], v[46:47]
	v_add_f64_e64 v[52:53], v[46:47], -v[48:49]
	v_add_f64_e64 v[36:37], v[36:37], -v[48:49]
	s_delay_alu instid0(VALU_DEP_3) | instskip(NEXT) | instid1(VALU_DEP_3)
	v_ldexp_f64 v[48:49], v[54:55], -2
	v_add_f64_e64 v[44:45], v[44:45], -v[52:53]
	v_add_f64_e32 v[52:53], v[56:57], v[40:41]
	s_delay_alu instid0(VALU_DEP_3) | instskip(NEXT) | instid1(VALU_DEP_3)
	v_cmp_neq_f64_e64 vcc_lo, 0x7ff00000, |v[48:49]|
	v_add_f64_e32 v[36:37], v[36:37], v[44:45]
	v_fract_f64_e32 v[44:45], v[48:49]
	s_delay_alu instid0(VALU_DEP_1) | instskip(NEXT) | instid1(VALU_DEP_1)
	v_ldexp_f64 v[44:45], v[44:45], 2
	v_dual_add_f64 v[42:43], v[54:55], -v[42:43] :: v_dual_cndmask_b32 v45, 0, v45, vcc_lo
	s_delay_alu instid0(VALU_DEP_1) | instskip(SKIP_1) | instid1(VALU_DEP_1)
	v_dual_add_f64 v[42:43], v[46:47], -v[42:43] :: v_dual_cndmask_b32 v44, 0, v44, vcc_lo
	v_add_f64_e32 v[46:47], v[52:53], v[36:37]
	v_add_f64_e32 v[48:49], v[42:43], v[46:47]
	v_add_f64_e64 v[58:59], v[46:47], -v[52:53]
	s_delay_alu instid0(VALU_DEP_2) | instskip(NEXT) | instid1(VALU_DEP_2)
	v_add_f64_e32 v[54:55], v[48:49], v[44:45]
	v_add_f64_e64 v[64:65], v[46:47], -v[58:59]
	v_add_f64_e64 v[36:37], v[36:37], -v[58:59]
	;; [unrolled: 1-line block ×3, first 2 shown]
	s_delay_alu instid0(VALU_DEP_4) | instskip(SKIP_1) | instid1(VALU_DEP_3)
	v_cmp_gt_f64_e32 vcc_lo, 0, v[54:55]
	v_add_f64_e64 v[54:55], v[52:53], -v[56:57]
	v_add_f64_e64 v[42:43], v[46:47], -v[42:43]
	v_cndmask_b32_e64 v25, 0, 0x40100000, vcc_lo
	s_delay_alu instid0(VALU_DEP_3) | instskip(SKIP_2) | instid1(VALU_DEP_4)
	v_add_f64_e64 v[62:63], v[52:53], -v[54:55]
	v_add_f64_e64 v[40:41], v[40:41], -v[54:55]
	;; [unrolled: 1-line block ×3, first 2 shown]
	v_add_f64_e32 v[44:45], v[44:45], v[24:25]
	s_delay_alu instid0(VALU_DEP_4) | instskip(NEXT) | instid1(VALU_DEP_3)
	v_add_f64_e64 v[54:55], v[56:57], -v[62:63]
	v_add_f64_e32 v[36:37], v[36:37], v[52:53]
	s_delay_alu instid0(VALU_DEP_3) | instskip(NEXT) | instid1(VALU_DEP_3)
	v_add_f64_e32 v[60:61], v[48:49], v[44:45]
	v_add_f64_e32 v[40:41], v[40:41], v[54:55]
	s_delay_alu instid0(VALU_DEP_2) | instskip(NEXT) | instid1(VALU_DEP_2)
	v_cvt_i32_f64_e32 v25, v[60:61]
	v_add_f64_e32 v[36:37], v[40:41], v[36:37]
	s_delay_alu instid0(VALU_DEP_2) | instskip(NEXT) | instid1(VALU_DEP_2)
	v_cvt_f64_i32_e32 v[58:59], v25
	v_add_f64_e32 v[34:35], v[34:35], v[36:37]
	s_delay_alu instid0(VALU_DEP_2) | instskip(NEXT) | instid1(VALU_DEP_2)
	v_add_f64_e64 v[44:45], v[44:45], -v[58:59]
	v_add_f64_e32 v[34:35], v[42:43], v[34:35]
	s_delay_alu instid0(VALU_DEP_2) | instskip(NEXT) | instid1(VALU_DEP_1)
	v_add_f64_e32 v[40:41], v[48:49], v[44:45]
	v_add_f64_e64 v[36:37], v[40:41], -v[44:45]
	v_cmp_le_f64_e32 vcc_lo, 0.5, v[40:41]
	s_delay_alu instid0(VALU_DEP_2) | instskip(SKIP_2) | instid1(VALU_DEP_3)
	v_add_f64_e64 v[36:37], v[48:49], -v[36:37]
	v_add_co_ci_u32_e64 v39, null, 0, v25, vcc_lo
	v_cndmask_b32_e64 v25, 0, 0x3ff00000, vcc_lo
	v_add_f64_e32 v[34:35], v[34:35], v[36:37]
	s_delay_alu instid0(VALU_DEP_2) | instskip(NEXT) | instid1(VALU_DEP_1)
	v_add_f64_e64 v[36:37], v[40:41], -v[24:25]
	v_add_f64_e32 v[40:41], v[36:37], v[34:35]
	s_delay_alu instid0(VALU_DEP_1) | instskip(SKIP_1) | instid1(VALU_DEP_2)
	v_mul_f64_e32 v[42:43], 0x3ff921fb54442d18, v[40:41]
	v_add_f64_e64 v[36:37], v[40:41], -v[36:37]
	v_fma_f64 v[44:45], v[40:41], s[6:7], -v[42:43]
	s_delay_alu instid0(VALU_DEP_2) | instskip(NEXT) | instid1(VALU_DEP_2)
	v_add_f64_e64 v[34:35], v[34:35], -v[36:37]
	v_fmac_f64_e32 v[44:45], 0x3c91a62633145c07, v[40:41]
	s_delay_alu instid0(VALU_DEP_1) | instskip(NEXT) | instid1(VALU_DEP_1)
	v_fmac_f64_e32 v[44:45], 0x3ff921fb54442d18, v[34:35]
	v_add_f64_e32 v[34:35], v[42:43], v[44:45]
	s_delay_alu instid0(VALU_DEP_1) | instskip(NEXT) | instid1(VALU_DEP_1)
	v_add_f64_e64 v[36:37], v[34:35], -v[42:43]
	v_add_f64_e64 v[36:37], v[44:45], -v[36:37]
	s_and_not1_saveexec_b32 s0, s0
	s_cbranch_execnz .LBB137_354
	s_branch .LBB137_355
.LBB137_353:                            ;   in Loop: Header=BB137_201 Depth=1
	s_and_not1_saveexec_b32 s0, s0
	s_cbranch_execz .LBB137_355
.LBB137_354:                            ;   in Loop: Header=BB137_201 Depth=1
	v_mul_f64_e64 v[34:35], |v[4:5]|, s[8:9]
	s_delay_alu instid0(VALU_DEP_1) | instskip(NEXT) | instid1(VALU_DEP_1)
	v_rndne_f64_e32 v[40:41], v[34:35]
	v_fma_f64 v[34:35], v[40:41], s[10:11], |v[4:5]|
	v_mul_f64_e32 v[36:37], 0xbc91a62633145c00, v[40:41]
	v_cvt_i32_f64_e32 v39, v[40:41]
	s_delay_alu instid0(VALU_DEP_3) | instskip(NEXT) | instid1(VALU_DEP_3)
	v_fmamk_f64 v[46:47], v[40:41], 0xbc91a62633145c00, v[34:35]
	v_add_f64_e32 v[42:43], v[34:35], v[36:37]
	s_delay_alu instid0(VALU_DEP_1) | instskip(NEXT) | instid1(VALU_DEP_3)
	v_add_f64_e64 v[44:45], v[34:35], -v[42:43]
	v_add_f64_e64 v[34:35], v[42:43], -v[46:47]
	s_delay_alu instid0(VALU_DEP_2) | instskip(SKIP_1) | instid1(VALU_DEP_2)
	v_add_f64_e32 v[42:43], v[44:45], v[36:37]
	v_fmamk_f64 v[36:37], v[40:41], 0x3c91a62633145c00, v[36:37]
	v_add_f64_e32 v[34:35], v[34:35], v[42:43]
	s_delay_alu instid0(VALU_DEP_1) | instskip(NEXT) | instid1(VALU_DEP_1)
	v_add_f64_e64 v[36:37], v[34:35], -v[36:37]
	v_fmac_f64_e32 v[36:37], 0xb97b839a252049c0, v[40:41]
	s_delay_alu instid0(VALU_DEP_1) | instskip(NEXT) | instid1(VALU_DEP_1)
	v_add_f64_e32 v[34:35], v[46:47], v[36:37]
	v_add_f64_e64 v[42:43], v[34:35], -v[46:47]
	s_delay_alu instid0(VALU_DEP_1)
	v_add_f64_e64 v[36:37], v[36:37], -v[42:43]
.LBB137_355:                            ;   in Loop: Header=BB137_201 Depth=1
	s_or_b32 exec_lo, exec_lo, s0
	v_add_f64_e32 v[2:3], 0xc0937be319ba0da4, v[2:3]
	s_delay_alu instid0(VALU_DEP_2)
	v_mul_f64_e32 v[56:57], 0.5, v[12:13]
	v_cmp_class_f64_e64 s0, v[4:5], 0x1f8
	v_mul_f64_e32 v[44:45], v[34:35], v[34:35]
	v_mul_f64_e32 v[66:67], 0.5, v[36:37]
	v_mul_f64_e32 v[40:41], 0x3ff71547652b82fe, v[2:3]
	v_cmp_ngt_f64_e64 s2, 0xc090cc00, v[2:3]
	v_mul_f64_e32 v[42:43], v[10:11], v[10:11]
	v_cmp_nlt_f64_e64 s1, 0x40900000, v[2:3]
	v_mul_f64_e32 v[48:49], 0.5, v[44:45]
	v_mul_f64_e64 v[68:69], v[34:35], -v[44:45]
	v_fmamk_f64 v[72:73], v[44:45], 0x3de5e0b2f9a43bb8, v[30:31]
	v_rndne_f64_e32 v[40:41], v[40:41]
	v_mul_f64_e32 v[46:47], 0.5, v[42:43]
	v_fmamk_f64 v[62:63], v[42:43], 0x3de5e0b2f9a43bb8, v[30:31]
	s_delay_alu instid0(VALU_DEP_1) | instskip(NEXT) | instid1(VALU_DEP_1)
	v_fmaak_f64 v[62:63], v[42:43], v[62:63], 0x3ec71de3796cde01
	v_fmaak_f64 v[62:63], v[42:43], v[62:63], 0xbf2a01a019e83e5c
	s_delay_alu instid0(VALU_DEP_1) | instskip(SKIP_4) | instid1(VALU_DEP_4)
	v_fmaak_f64 v[62:63], v[42:43], v[62:63], 0x3f81111111110bb3
	v_fmamk_f64 v[50:51], v[40:41], 0xbfe62e42fefa39ef, v[2:3]
	v_cvt_i32_f64_e32 v25, v[40:41]
	v_add_f64_e64 v[52:53], -v[46:47], 1.0
	v_and_b32_e32 v2, 1, v39
	v_fmac_f64_e32 v[50:51], 0xbc7abc9e3b39803f, v[40:41]
	s_delay_alu instid0(VALU_DEP_2) | instskip(NEXT) | instid1(VALU_DEP_4)
	v_cmp_eq_u32_e64 s3, 0, v2
	v_add_f64_e64 v[60:61], -v[52:53], 1.0
	s_delay_alu instid0(VALU_DEP_3) | instskip(NEXT) | instid1(VALU_DEP_1)
	v_fmamk_f64 v[64:65], v[50:51], 0x3e5ade156a5dcb37, v[26:27]
	v_fmaak_f64 v[64:65], v[50:51], v[64:65], 0x3ec71dee623fde64
	s_delay_alu instid0(VALU_DEP_1) | instskip(NEXT) | instid1(VALU_DEP_1)
	v_fmaak_f64 v[64:65], v[50:51], v[64:65], 0x3efa01997c89e6b0
	v_fmaak_f64 v[64:65], v[50:51], v[64:65], 0x3f2a01a014761f6e
	v_add_f64_e64 v[46:47], v[60:61], -v[46:47]
	s_delay_alu instid0(VALU_DEP_2) | instskip(SKIP_1) | instid1(VALU_DEP_2)
	v_fmaak_f64 v[60:61], v[50:51], v[64:65], 0x3f56c16c1852b7b0
	v_mul_f64_e32 v[64:65], v[42:43], v[42:43]
	v_fmaak_f64 v[60:61], v[50:51], v[60:61], 0x3f81111111122322
	s_delay_alu instid0(VALU_DEP_1) | instskip(NEXT) | instid1(VALU_DEP_1)
	v_fmaak_f64 v[60:61], v[50:51], v[60:61], 0x3fa55555555502a1
	v_fmaak_f64 v[60:61], v[50:51], v[60:61], 0x3fc5555555555511
	s_delay_alu instid0(VALU_DEP_1) | instskip(NEXT) | instid1(VALU_DEP_1)
	v_fmaak_f64 v[60:61], v[50:51], v[60:61], 0x3fe000000000000b
	v_fma_f64 v[60:61], v[50:51], v[60:61], 1.0
	s_delay_alu instid0(VALU_DEP_1) | instskip(NEXT) | instid1(VALU_DEP_1)
	v_fma_f64 v[40:41], v[50:51], v[60:61], 1.0
	v_ldexp_f64 v[40:41], v[40:41], v25
	v_mul_f64_e64 v[58:59], v[10:11], -v[42:43]
	v_and_b32_e32 v25, 1, v38
	v_add_f64_e64 v[54:55], -v[48:49], 1.0
	s_delay_alu instid0(VALU_DEP_2) | instskip(SKIP_4) | instid1(VALU_DEP_2)
	v_cmp_eq_u32_e32 vcc_lo, 0, v25
	v_cndmask_b32_e64 v4, 0x7ff00000, v41, s1
	v_fmac_f64_e32 v[56:57], v[58:59], v[62:63]
	v_fmaak_f64 v[62:63], v[44:45], v[72:73], 0x3ec71de3796cde01
	v_add_f64_e64 v[70:71], -v[54:55], 1.0
	v_fmaak_f64 v[62:63], v[44:45], v[62:63], 0xbf2a01a019e83e5c
	s_delay_alu instid0(VALU_DEP_1) | instskip(SKIP_4) | instid1(VALU_DEP_4)
	v_fmaak_f64 v[62:63], v[44:45], v[62:63], 0x3f81111111110bb3
	v_fma_f64 v[56:57], v[42:43], v[56:57], -v[12:13]
	v_fma_f64 v[12:13], v[10:11], -v[12:13], v[46:47]
	v_add_f64_e64 v[48:49], v[70:71], -v[48:49]
	v_fmamk_f64 v[70:71], v[44:45], 0xbda907db46cc5e42, v[28:29]
	v_fmac_f64_e32 v[56:57], 0xbfc5555555555555, v[58:59]
	s_delay_alu instid0(VALU_DEP_1) | instskip(NEXT) | instid1(VALU_DEP_1)
	v_add_f64_e64 v[10:11], v[10:11], -v[56:57]
	v_xor_b32_e32 v3, 0x80000000, v11
	v_lshlrev_b32_e32 v11, 30, v39
	v_fmac_f64_e32 v[66:67], v[68:69], v[62:63]
	v_fmamk_f64 v[62:63], v[42:43], 0xbda907db46cc5e42, v[28:29]
	s_delay_alu instid0(VALU_DEP_1) | instskip(SKIP_1) | instid1(VALU_DEP_2)
	v_fmaak_f64 v[46:47], v[42:43], v[62:63], 0xbe927e4fa17f65f6
	v_mul_f64_e32 v[62:63], v[44:45], v[44:45]
	v_fmaak_f64 v[46:47], v[42:43], v[46:47], 0x3efa01a019f4ec90
	s_delay_alu instid0(VALU_DEP_1) | instskip(NEXT) | instid1(VALU_DEP_1)
	v_fmaak_f64 v[46:47], v[42:43], v[46:47], 0xbf56c16c16c16967
	v_fmaak_f64 v[42:43], v[42:43], v[46:47], 0x3fa5555555555555
	v_fma_f64 v[46:47], v[44:45], v[66:67], -v[36:37]
	v_fma_f64 v[36:37], v[34:35], -v[36:37], v[48:49]
	v_fmaak_f64 v[48:49], v[44:45], v[70:71], 0xbe927e4fa17f65f6
	s_delay_alu instid0(VALU_DEP_4) | instskip(NEXT) | instid1(VALU_DEP_2)
	v_fmac_f64_e32 v[12:13], v[64:65], v[42:43]
	v_fmaak_f64 v[42:43], v[44:45], v[48:49], 0x3efa01a019f4ec90
	s_delay_alu instid0(VALU_DEP_1) | instskip(NEXT) | instid1(VALU_DEP_1)
	v_fmaak_f64 v[42:43], v[44:45], v[42:43], 0xbf56c16c16c16967
	v_fmaak_f64 v[42:43], v[44:45], v[42:43], 0x3fa5555555555555
	s_delay_alu instid0(VALU_DEP_1) | instskip(SKIP_1) | instid1(VALU_DEP_2)
	v_fmac_f64_e32 v[36:37], v[62:63], v[42:43]
	v_add_f64_e32 v[12:13], v[52:53], v[12:13]
	v_add_f64_e32 v[36:37], v[54:55], v[36:37]
	s_delay_alu instid0(VALU_DEP_2) | instskip(NEXT) | instid1(VALU_DEP_3)
	v_dual_cndmask_b32 v10, v10, v12, vcc_lo :: v_dual_lshlrev_b32 v12, 30, v38
	v_cndmask_b32_e32 v2, v3, v13, vcc_lo
	v_xor_b32_e32 v3, v11, v5
	v_fmac_f64_e32 v[46:47], 0xbfc5555555555555, v[68:69]
	v_cndmask_b32_e64 v13, 0, v4, s2
	s_and_b32 vcc_lo, s2, s1
	v_bitop3_b32 v12, v2, v12, 0x80000000 bitop3:0x78
	v_dual_cndmask_b32 v2, 0, v10, s0 :: v_dual_cndmask_b32 v10, 0, v40, vcc_lo
	s_delay_alu instid0(VALU_DEP_4) | instskip(NEXT) | instid1(VALU_DEP_1)
	v_add_f64_e64 v[34:35], v[34:35], -v[46:47]
	v_dual_cndmask_b32 v11, v37, v35, s3 :: v_dual_cndmask_b32 v5, v36, v34, s3
	s_delay_alu instid0(VALU_DEP_1) | instskip(SKIP_1) | instid1(VALU_DEP_3)
	v_bitop3_b32 v25, v11, v3, 0x80000000 bitop3:0x78
	v_cndmask_b32_e64 v3, 0x7ff80000, v12, s0
	v_cndmask_b32_e64 v4, 0, v5, s0
	v_and_or_b32 v11, v13, s14, 0x7fe00000
	v_lshrrev_b32_e32 v12, 20, v13
	v_cndmask_b32_e64 v5, 0x7ff80000, v25, s0
	s_delay_alu instid0(VALU_DEP_3) | instskip(NEXT) | instid1(VALU_DEP_2)
	v_mul_f64_e32 v[2:3], v[10:11], v[2:3]
	v_mul_f64_e32 v[4:5], v[10:11], v[4:5]
	s_delay_alu instid0(VALU_DEP_4) | instskip(SKIP_1) | instid1(VALU_DEP_2)
	v_add_nc_u32_e32 v10, 0xffffff09, v12
	v_mov_b32_e32 v12, v24
	v_lshrrev_b16 v11, 15, v10
	s_delay_alu instid0(VALU_DEP_1) | instskip(NEXT) | instid1(VALU_DEP_1)
	v_add_nc_u16 v11, v10, v11
	v_ashrrev_i16 v11, 1, v11
	s_delay_alu instid0(VALU_DEP_1) | instskip(NEXT) | instid1(VALU_DEP_1)
	v_bfe_i32 v11, v11, 0, 16
	v_lshl_add_u32 v25, v11, 20, 0x3ff00000
	v_sub_nc_u32_e32 v10, v10, v11
	s_delay_alu instid0(VALU_DEP_2) | instskip(SKIP_1) | instid1(VALU_DEP_3)
	v_mul_f64_e32 v[2:3], v[2:3], v[24:25]
	v_mul_f64_e32 v[4:5], v[4:5], v[24:25]
	v_lshl_add_u32 v13, v10, 20, 0x3ff00000
	s_delay_alu instid0(VALU_DEP_1) | instskip(NEXT) | instid1(VALU_DEP_3)
	v_mul_f64_e32 v[10:11], v[2:3], v[12:13]
	v_mul_f64_e32 v[12:13], v[4:5], v[12:13]
.LBB137_356:                            ;   in Loop: Header=BB137_201 Depth=1
	s_or_b32 exec_lo, exec_lo, s19
                                        ; implicit-def: $vgpr2_vgpr3
                                        ; implicit-def: $vgpr25
.LBB137_357:                            ;   in Loop: Header=BB137_201 Depth=1
	s_and_not1_saveexec_b32 s1, s18
	s_cbranch_execz .LBB137_363
; %bb.358:                              ;   in Loop: Header=BB137_201 Depth=1
	v_add_f64_e64 v[12:13], v[4:5], -v[4:5]
	v_cmp_ne_u32_e32 vcc_lo, 0, v2
	v_cmp_ne_u32_e64 s0, 0x7ff00000, v25
	s_or_b32 s0, vcc_lo, s0
	s_delay_alu instid0(SALU_CYCLE_1) | instskip(NEXT) | instid1(SALU_CYCLE_1)
	s_and_saveexec_b32 s2, s0
	s_xor_b32 s0, exec_lo, s2
; %bb.359:                              ;   in Loop: Header=BB137_201 Depth=1
                                        ; implicit-def: $vgpr2_vgpr3
; %bb.360:                              ;   in Loop: Header=BB137_201 Depth=1
	s_delay_alu instid0(SALU_CYCLE_1)
	s_or_saveexec_b32 s0, s0
	v_mov_b64_e32 v[10:11], v[12:13]
	s_xor_b32 exec_lo, exec_lo, s0
; %bb.361:                              ;   in Loop: Header=BB137_201 Depth=1
	v_cmp_lt_i64_e32 vcc_lo, -1, v[2:3]
	v_dual_cndmask_b32 v11, 0, v3 :: v_dual_cndmask_b32 v10, 0, v2
	v_dual_cndmask_b32 v13, 0, v13 :: v_dual_cndmask_b32 v12, 0, v12
; %bb.362:                              ;   in Loop: Header=BB137_201 Depth=1
	s_or_b32 exec_lo, exec_lo, s0
.LBB137_363:                            ;   in Loop: Header=BB137_201 Depth=1
	s_delay_alu instid0(SALU_CYCLE_1)
	s_or_b32 exec_lo, exec_lo, s1
                                        ; implicit-def: $vgpr4_vgpr5
.LBB137_364:                            ;   in Loop: Header=BB137_201 Depth=1
	s_and_not1_saveexec_b32 s2, s17
	s_cbranch_execz .LBB137_374
; %bb.365:                              ;   in Loop: Header=BB137_201 Depth=1
	v_cmp_ngt_f64_e64 s0, 0x41d00000, |v[4:5]|
                                        ; implicit-def: $vgpr36
                                        ; implicit-def: $vgpr2_vgpr3
                                        ; implicit-def: $vgpr10_vgpr11
	s_and_saveexec_b32 s1, s0
	s_delay_alu instid0(SALU_CYCLE_1)
	s_xor_b32 s1, exec_lo, s1
	s_cbranch_execz .LBB137_367
; %bb.366:                              ;   in Loop: Header=BB137_201 Depth=1
	v_ldexp_f64 v[2:3], |v[4:5]|, 0xffffff80
	v_cmp_le_f64_e64 vcc_lo, 0x7b000000, |v[4:5]|
	v_trig_preop_f64 v[10:11], |v[4:5]|, 0
	v_and_b32_e32 v12, 0x7fffffff, v5
	v_trig_preop_f64 v[42:43], |v[4:5]|, 2
	s_delay_alu instid0(VALU_DEP_2) | instskip(SKIP_2) | instid1(VALU_DEP_2)
	v_cndmask_b32_e32 v3, v12, v3, vcc_lo
	v_cndmask_b32_e32 v2, v4, v2, vcc_lo
	v_trig_preop_f64 v[12:13], |v[4:5]|, 1
	v_mul_f64_e32 v[34:35], v[10:11], v[2:3]
	s_delay_alu instid0(VALU_DEP_2) | instskip(NEXT) | instid1(VALU_DEP_2)
	v_mul_f64_e32 v[36:37], v[12:13], v[2:3]
	v_fma_f64 v[10:11], v[10:11], v[2:3], -v[34:35]
	s_delay_alu instid0(VALU_DEP_1) | instskip(NEXT) | instid1(VALU_DEP_1)
	v_add_f64_e32 v[38:39], v[36:37], v[10:11]
	v_add_f64_e64 v[40:41], v[38:39], -v[36:37]
	v_add_f64_e32 v[46:47], v[34:35], v[38:39]
	s_delay_alu instid0(VALU_DEP_2) | instskip(SKIP_2) | instid1(VALU_DEP_4)
	v_add_f64_e64 v[44:45], v[38:39], -v[40:41]
	v_fma_f64 v[12:13], v[12:13], v[2:3], -v[36:37]
	v_add_f64_e64 v[10:11], v[10:11], -v[40:41]
	v_ldexp_f64 v[40:41], v[46:47], -2
	v_mul_f64_e32 v[48:49], v[42:43], v[2:3]
	v_add_f64_e64 v[36:37], v[36:37], -v[44:45]
	s_delay_alu instid0(VALU_DEP_3) | instskip(NEXT) | instid1(VALU_DEP_3)
	v_cmp_neq_f64_e64 vcc_lo, 0x7ff00000, |v[40:41]|
	v_add_f64_e32 v[44:45], v[48:49], v[12:13]
	v_fma_f64 v[2:3], v[42:43], v[2:3], -v[48:49]
	s_delay_alu instid0(VALU_DEP_4) | instskip(SKIP_1) | instid1(VALU_DEP_1)
	v_add_f64_e32 v[10:11], v[10:11], v[36:37]
	v_fract_f64_e32 v[36:37], v[40:41]
	v_ldexp_f64 v[36:37], v[36:37], 2
	s_delay_alu instid0(VALU_DEP_1) | instskip(NEXT) | instid1(VALU_DEP_1)
	v_dual_add_f64 v[34:35], v[46:47], -v[34:35] :: v_dual_cndmask_b32 v37, 0, v37, vcc_lo
	v_dual_add_f64 v[34:35], v[38:39], -v[34:35] :: v_dual_cndmask_b32 v36, 0, v36, vcc_lo
	v_add_f64_e32 v[38:39], v[44:45], v[10:11]
	s_delay_alu instid0(VALU_DEP_1) | instskip(SKIP_1) | instid1(VALU_DEP_2)
	v_add_f64_e32 v[40:41], v[34:35], v[38:39]
	v_add_f64_e64 v[50:51], v[38:39], -v[44:45]
	v_add_f64_e32 v[46:47], v[40:41], v[36:37]
	s_delay_alu instid0(VALU_DEP_2) | instskip(SKIP_2) | instid1(VALU_DEP_4)
	v_add_f64_e64 v[56:57], v[38:39], -v[50:51]
	v_add_f64_e64 v[10:11], v[10:11], -v[50:51]
	;; [unrolled: 1-line block ×3, first 2 shown]
	v_cmp_gt_f64_e32 vcc_lo, 0, v[46:47]
	v_add_f64_e64 v[46:47], v[44:45], -v[48:49]
	s_delay_alu instid0(VALU_DEP_3) | instskip(SKIP_1) | instid1(VALU_DEP_3)
	v_add_f64_e64 v[34:35], v[38:39], -v[34:35]
	v_cndmask_b32_e64 v25, 0, 0x40100000, vcc_lo
	v_add_f64_e64 v[54:55], v[44:45], -v[46:47]
	v_add_f64_e64 v[12:13], v[12:13], -v[46:47]
	;; [unrolled: 1-line block ×3, first 2 shown]
	s_delay_alu instid0(VALU_DEP_4) | instskip(NEXT) | instid1(VALU_DEP_4)
	v_add_f64_e32 v[36:37], v[36:37], v[24:25]
	v_add_f64_e64 v[46:47], v[48:49], -v[54:55]
	s_delay_alu instid0(VALU_DEP_3) | instskip(NEXT) | instid1(VALU_DEP_3)
	v_add_f64_e32 v[10:11], v[10:11], v[44:45]
	v_add_f64_e32 v[52:53], v[40:41], v[36:37]
	s_delay_alu instid0(VALU_DEP_3) | instskip(NEXT) | instid1(VALU_DEP_2)
	v_add_f64_e32 v[12:13], v[12:13], v[46:47]
	v_cvt_i32_f64_e32 v25, v[52:53]
	s_delay_alu instid0(VALU_DEP_2) | instskip(NEXT) | instid1(VALU_DEP_2)
	v_add_f64_e32 v[10:11], v[12:13], v[10:11]
	v_cvt_f64_i32_e32 v[50:51], v25
	s_delay_alu instid0(VALU_DEP_2) | instskip(NEXT) | instid1(VALU_DEP_2)
	v_add_f64_e32 v[2:3], v[2:3], v[10:11]
	v_add_f64_e64 v[36:37], v[36:37], -v[50:51]
	s_delay_alu instid0(VALU_DEP_2) | instskip(NEXT) | instid1(VALU_DEP_2)
	v_add_f64_e32 v[2:3], v[34:35], v[2:3]
	v_add_f64_e32 v[12:13], v[40:41], v[36:37]
	s_delay_alu instid0(VALU_DEP_1) | instskip(SKIP_1) | instid1(VALU_DEP_2)
	v_add_f64_e64 v[10:11], v[12:13], -v[36:37]
	v_cmp_le_f64_e32 vcc_lo, 0.5, v[12:13]
	v_add_f64_e64 v[10:11], v[40:41], -v[10:11]
	v_add_co_ci_u32_e64 v36, null, 0, v25, vcc_lo
	v_cndmask_b32_e64 v25, 0, 0x3ff00000, vcc_lo
	s_delay_alu instid0(VALU_DEP_3) | instskip(NEXT) | instid1(VALU_DEP_2)
	v_add_f64_e32 v[2:3], v[2:3], v[10:11]
	v_add_f64_e64 v[10:11], v[12:13], -v[24:25]
	s_delay_alu instid0(VALU_DEP_1) | instskip(NEXT) | instid1(VALU_DEP_1)
	v_add_f64_e32 v[12:13], v[10:11], v[2:3]
	v_mul_f64_e32 v[34:35], 0x3ff921fb54442d18, v[12:13]
	v_add_f64_e64 v[10:11], v[12:13], -v[10:11]
	s_delay_alu instid0(VALU_DEP_2) | instskip(NEXT) | instid1(VALU_DEP_2)
	v_fma_f64 v[38:39], v[12:13], s[6:7], -v[34:35]
	v_add_f64_e64 v[2:3], v[2:3], -v[10:11]
	s_delay_alu instid0(VALU_DEP_2) | instskip(NEXT) | instid1(VALU_DEP_1)
	v_fmac_f64_e32 v[38:39], 0x3c91a62633145c07, v[12:13]
	v_fmac_f64_e32 v[38:39], 0x3ff921fb54442d18, v[2:3]
	s_delay_alu instid0(VALU_DEP_1) | instskip(NEXT) | instid1(VALU_DEP_1)
	v_add_f64_e32 v[2:3], v[34:35], v[38:39]
	v_add_f64_e64 v[10:11], v[2:3], -v[34:35]
	s_delay_alu instid0(VALU_DEP_1)
	v_add_f64_e64 v[10:11], v[38:39], -v[10:11]
	s_and_not1_saveexec_b32 s1, s1
	s_cbranch_execz .LBB137_369
	s_branch .LBB137_368
.LBB137_367:                            ;   in Loop: Header=BB137_201 Depth=1
	s_and_not1_saveexec_b32 s1, s1
	s_cbranch_execz .LBB137_369
.LBB137_368:                            ;   in Loop: Header=BB137_201 Depth=1
	v_mul_f64_e64 v[2:3], |v[4:5]|, s[8:9]
	s_delay_alu instid0(VALU_DEP_1) | instskip(NEXT) | instid1(VALU_DEP_1)
	v_rndne_f64_e32 v[12:13], v[2:3]
	v_fma_f64 v[2:3], v[12:13], s[10:11], |v[4:5]|
	v_mul_f64_e32 v[10:11], 0xbc91a62633145c00, v[12:13]
	s_delay_alu instid0(VALU_DEP_2) | instskip(NEXT) | instid1(VALU_DEP_2)
	v_fmamk_f64 v[38:39], v[12:13], 0xbc91a62633145c00, v[2:3]
	v_add_f64_e32 v[34:35], v[2:3], v[10:11]
	s_delay_alu instid0(VALU_DEP_1) | instskip(NEXT) | instid1(VALU_DEP_3)
	v_add_f64_e64 v[36:37], v[2:3], -v[34:35]
	v_add_f64_e64 v[2:3], v[34:35], -v[38:39]
	s_delay_alu instid0(VALU_DEP_2) | instskip(SKIP_2) | instid1(VALU_DEP_3)
	v_add_f64_e32 v[34:35], v[36:37], v[10:11]
	v_fmamk_f64 v[10:11], v[12:13], 0x3c91a62633145c00, v[10:11]
	v_cvt_i32_f64_e32 v36, v[12:13]
	v_add_f64_e32 v[2:3], v[2:3], v[34:35]
	s_delay_alu instid0(VALU_DEP_1) | instskip(NEXT) | instid1(VALU_DEP_1)
	v_add_f64_e64 v[10:11], v[2:3], -v[10:11]
	v_fmac_f64_e32 v[10:11], 0xb97b839a252049c0, v[12:13]
	s_delay_alu instid0(VALU_DEP_1) | instskip(NEXT) | instid1(VALU_DEP_1)
	v_add_f64_e32 v[2:3], v[38:39], v[10:11]
	v_add_f64_e64 v[34:35], v[2:3], -v[38:39]
	s_delay_alu instid0(VALU_DEP_1)
	v_add_f64_e64 v[10:11], v[10:11], -v[34:35]
.LBB137_369:                            ;   in Loop: Header=BB137_201 Depth=1
	s_or_b32 exec_lo, exec_lo, s1
                                        ; implicit-def: $vgpr37
                                        ; implicit-def: $vgpr12_vgpr13
                                        ; implicit-def: $vgpr34_vgpr35
	s_and_saveexec_b32 s1, s0
	s_delay_alu instid0(SALU_CYCLE_1)
	s_xor_b32 s0, exec_lo, s1
	s_cbranch_execz .LBB137_371
; %bb.370:                              ;   in Loop: Header=BB137_201 Depth=1
	v_ldexp_f64 v[12:13], |v[4:5]|, 0xffffff80
	v_cmp_le_f64_e64 vcc_lo, 0x7b000000, |v[4:5]|
	v_trig_preop_f64 v[34:35], |v[4:5]|, 0
	v_and_b32_e32 v25, 0x7fffffff, v5
	v_trig_preop_f64 v[38:39], |v[4:5]|, 1
	v_trig_preop_f64 v[48:49], |v[4:5]|, 2
	s_delay_alu instid0(VALU_DEP_3) | instskip(NEXT) | instid1(VALU_DEP_1)
	v_dual_cndmask_b32 v13, v25, v13 :: v_dual_cndmask_b32 v12, v4, v12
	v_mul_f64_e32 v[40:41], v[34:35], v[12:13]
	s_delay_alu instid0(VALU_DEP_4) | instskip(NEXT) | instid1(VALU_DEP_4)
	v_mul_f64_e32 v[42:43], v[38:39], v[12:13]
	v_mul_f64_e32 v[54:55], v[48:49], v[12:13]
	s_delay_alu instid0(VALU_DEP_3) | instskip(NEXT) | instid1(VALU_DEP_3)
	v_fma_f64 v[34:35], v[34:35], v[12:13], -v[40:41]
	v_fma_f64 v[38:39], v[38:39], v[12:13], -v[42:43]
	s_delay_alu instid0(VALU_DEP_3) | instskip(NEXT) | instid1(VALU_DEP_3)
	v_fma_f64 v[12:13], v[48:49], v[12:13], -v[54:55]
	v_add_f64_e32 v[44:45], v[42:43], v[34:35]
	s_delay_alu instid0(VALU_DEP_1) | instskip(SKIP_1) | instid1(VALU_DEP_2)
	v_add_f64_e64 v[46:47], v[44:45], -v[42:43]
	v_add_f64_e32 v[52:53], v[40:41], v[44:45]
	v_add_f64_e64 v[50:51], v[44:45], -v[46:47]
	v_add_f64_e64 v[34:35], v[34:35], -v[46:47]
	s_delay_alu instid0(VALU_DEP_3) | instskip(NEXT) | instid1(VALU_DEP_3)
	v_ldexp_f64 v[46:47], v[52:53], -2
	v_add_f64_e64 v[42:43], v[42:43], -v[50:51]
	v_add_f64_e32 v[50:51], v[54:55], v[38:39]
	s_delay_alu instid0(VALU_DEP_3) | instskip(NEXT) | instid1(VALU_DEP_3)
	v_cmp_neq_f64_e64 vcc_lo, 0x7ff00000, |v[46:47]|
	v_add_f64_e32 v[34:35], v[34:35], v[42:43]
	v_fract_f64_e32 v[42:43], v[46:47]
	s_delay_alu instid0(VALU_DEP_1) | instskip(NEXT) | instid1(VALU_DEP_1)
	v_ldexp_f64 v[42:43], v[42:43], 2
	v_dual_add_f64 v[40:41], v[52:53], -v[40:41] :: v_dual_cndmask_b32 v43, 0, v43, vcc_lo
	s_delay_alu instid0(VALU_DEP_1) | instskip(SKIP_1) | instid1(VALU_DEP_1)
	v_dual_add_f64 v[40:41], v[44:45], -v[40:41] :: v_dual_cndmask_b32 v42, 0, v42, vcc_lo
	v_add_f64_e32 v[44:45], v[50:51], v[34:35]
	v_add_f64_e32 v[46:47], v[40:41], v[44:45]
	v_add_f64_e64 v[56:57], v[44:45], -v[50:51]
	s_delay_alu instid0(VALU_DEP_2) | instskip(NEXT) | instid1(VALU_DEP_2)
	v_add_f64_e32 v[52:53], v[46:47], v[42:43]
	v_add_f64_e64 v[62:63], v[44:45], -v[56:57]
	v_add_f64_e64 v[34:35], v[34:35], -v[56:57]
	;; [unrolled: 1-line block ×3, first 2 shown]
	s_delay_alu instid0(VALU_DEP_4) | instskip(SKIP_1) | instid1(VALU_DEP_3)
	v_cmp_gt_f64_e32 vcc_lo, 0, v[52:53]
	v_add_f64_e64 v[52:53], v[50:51], -v[54:55]
	v_add_f64_e64 v[40:41], v[44:45], -v[40:41]
	v_cndmask_b32_e64 v25, 0, 0x40100000, vcc_lo
	s_delay_alu instid0(VALU_DEP_3) | instskip(SKIP_2) | instid1(VALU_DEP_4)
	v_add_f64_e64 v[60:61], v[50:51], -v[52:53]
	v_add_f64_e64 v[38:39], v[38:39], -v[52:53]
	;; [unrolled: 1-line block ×3, first 2 shown]
	v_add_f64_e32 v[42:43], v[42:43], v[24:25]
	s_delay_alu instid0(VALU_DEP_4) | instskip(NEXT) | instid1(VALU_DEP_3)
	v_add_f64_e64 v[52:53], v[54:55], -v[60:61]
	v_add_f64_e32 v[34:35], v[34:35], v[50:51]
	s_delay_alu instid0(VALU_DEP_3) | instskip(NEXT) | instid1(VALU_DEP_3)
	v_add_f64_e32 v[58:59], v[46:47], v[42:43]
	v_add_f64_e32 v[38:39], v[38:39], v[52:53]
	s_delay_alu instid0(VALU_DEP_2) | instskip(NEXT) | instid1(VALU_DEP_2)
	v_cvt_i32_f64_e32 v25, v[58:59]
	v_add_f64_e32 v[34:35], v[38:39], v[34:35]
	s_delay_alu instid0(VALU_DEP_2) | instskip(NEXT) | instid1(VALU_DEP_2)
	v_cvt_f64_i32_e32 v[56:57], v25
	v_add_f64_e32 v[12:13], v[12:13], v[34:35]
	s_delay_alu instid0(VALU_DEP_2) | instskip(NEXT) | instid1(VALU_DEP_2)
	v_add_f64_e64 v[42:43], v[42:43], -v[56:57]
	v_add_f64_e32 v[12:13], v[40:41], v[12:13]
	s_delay_alu instid0(VALU_DEP_2) | instskip(NEXT) | instid1(VALU_DEP_1)
	v_add_f64_e32 v[38:39], v[46:47], v[42:43]
	v_add_f64_e64 v[34:35], v[38:39], -v[42:43]
	v_cmp_le_f64_e32 vcc_lo, 0.5, v[38:39]
	s_delay_alu instid0(VALU_DEP_2) | instskip(SKIP_2) | instid1(VALU_DEP_3)
	v_add_f64_e64 v[34:35], v[46:47], -v[34:35]
	v_add_co_ci_u32_e64 v37, null, 0, v25, vcc_lo
	v_cndmask_b32_e64 v25, 0, 0x3ff00000, vcc_lo
	v_add_f64_e32 v[12:13], v[12:13], v[34:35]
	s_delay_alu instid0(VALU_DEP_2) | instskip(NEXT) | instid1(VALU_DEP_1)
	v_add_f64_e64 v[34:35], v[38:39], -v[24:25]
	v_add_f64_e32 v[38:39], v[34:35], v[12:13]
	s_delay_alu instid0(VALU_DEP_1) | instskip(SKIP_1) | instid1(VALU_DEP_2)
	v_mul_f64_e32 v[40:41], 0x3ff921fb54442d18, v[38:39]
	v_add_f64_e64 v[34:35], v[38:39], -v[34:35]
	v_fma_f64 v[42:43], v[38:39], s[6:7], -v[40:41]
	s_delay_alu instid0(VALU_DEP_2) | instskip(NEXT) | instid1(VALU_DEP_2)
	v_add_f64_e64 v[12:13], v[12:13], -v[34:35]
	v_fmac_f64_e32 v[42:43], 0x3c91a62633145c07, v[38:39]
	s_delay_alu instid0(VALU_DEP_1) | instskip(NEXT) | instid1(VALU_DEP_1)
	v_fmac_f64_e32 v[42:43], 0x3ff921fb54442d18, v[12:13]
	v_add_f64_e32 v[12:13], v[40:41], v[42:43]
	s_delay_alu instid0(VALU_DEP_1) | instskip(NEXT) | instid1(VALU_DEP_1)
	v_add_f64_e64 v[34:35], v[12:13], -v[40:41]
	v_add_f64_e64 v[34:35], v[42:43], -v[34:35]
	s_and_not1_saveexec_b32 s0, s0
	s_cbranch_execnz .LBB137_372
	s_branch .LBB137_373
.LBB137_371:                            ;   in Loop: Header=BB137_201 Depth=1
	s_and_not1_saveexec_b32 s0, s0
	s_cbranch_execz .LBB137_373
.LBB137_372:                            ;   in Loop: Header=BB137_201 Depth=1
	v_mul_f64_e64 v[12:13], |v[4:5]|, s[8:9]
	s_delay_alu instid0(VALU_DEP_1) | instskip(NEXT) | instid1(VALU_DEP_1)
	v_rndne_f64_e32 v[38:39], v[12:13]
	v_fma_f64 v[12:13], v[38:39], s[10:11], |v[4:5]|
	v_mul_f64_e32 v[34:35], 0xbc91a62633145c00, v[38:39]
	v_cvt_i32_f64_e32 v37, v[38:39]
	s_delay_alu instid0(VALU_DEP_3) | instskip(NEXT) | instid1(VALU_DEP_3)
	v_fmamk_f64 v[44:45], v[38:39], 0xbc91a62633145c00, v[12:13]
	v_add_f64_e32 v[40:41], v[12:13], v[34:35]
	s_delay_alu instid0(VALU_DEP_1) | instskip(NEXT) | instid1(VALU_DEP_3)
	v_add_f64_e64 v[42:43], v[12:13], -v[40:41]
	v_add_f64_e64 v[12:13], v[40:41], -v[44:45]
	s_delay_alu instid0(VALU_DEP_2) | instskip(SKIP_1) | instid1(VALU_DEP_2)
	v_add_f64_e32 v[40:41], v[42:43], v[34:35]
	v_fmamk_f64 v[34:35], v[38:39], 0x3c91a62633145c00, v[34:35]
	v_add_f64_e32 v[12:13], v[12:13], v[40:41]
	s_delay_alu instid0(VALU_DEP_1) | instskip(NEXT) | instid1(VALU_DEP_1)
	v_add_f64_e64 v[34:35], v[12:13], -v[34:35]
	v_fmac_f64_e32 v[34:35], 0xb97b839a252049c0, v[38:39]
	s_delay_alu instid0(VALU_DEP_1) | instskip(NEXT) | instid1(VALU_DEP_1)
	v_add_f64_e32 v[12:13], v[44:45], v[34:35]
	v_add_f64_e64 v[40:41], v[12:13], -v[44:45]
	s_delay_alu instid0(VALU_DEP_1)
	v_add_f64_e64 v[34:35], v[34:35], -v[40:41]
.LBB137_373:                            ;   in Loop: Header=BB137_201 Depth=1
	s_or_b32 exec_lo, exec_lo, s0
	v_dual_mul_f64 v[38:39], v[2:3], v[2:3] :: v_dual_bitop2_b32 v25, 1, v36 bitop3:0x40
	s_delay_alu instid0(VALU_DEP_2) | instskip(SKIP_1) | instid1(VALU_DEP_4)
	v_mul_f64_e32 v[50:51], 0.5, v[10:11]
	v_cmp_class_f64_e64 s0, v[4:5], 0x1f8
	v_dual_mul_f64 v[58:59], 0.5, v[34:35] :: v_dual_bitop2_b32 v4, 1, v37 bitop3:0x40
	s_delay_alu instid0(VALU_DEP_4) | instskip(NEXT) | instid1(VALU_DEP_2)
	v_cmp_eq_u32_e32 vcc_lo, 0, v25
	v_cmp_eq_u32_e64 s1, 0, v4
	v_dual_mul_f64 v[52:53], v[2:3], -v[38:39] :: v_dual_lshlrev_b32 v4, 30, v36
	v_mul_f64_e32 v[42:43], 0.5, v[38:39]
	v_fmamk_f64 v[56:57], v[38:39], 0x3de5e0b2f9a43bb8, v[30:31]
	s_delay_alu instid0(VALU_DEP_1) | instskip(NEXT) | instid1(VALU_DEP_1)
	v_fmaak_f64 v[56:57], v[38:39], v[56:57], 0x3ec71de3796cde01
	v_fmaak_f64 v[56:57], v[38:39], v[56:57], 0xbf2a01a019e83e5c
	s_delay_alu instid0(VALU_DEP_1) | instskip(NEXT) | instid1(VALU_DEP_1)
	v_fmaak_f64 v[56:57], v[38:39], v[56:57], 0x3f81111111110bb3
	v_fmac_f64_e32 v[50:51], v[52:53], v[56:57]
	v_add_f64_e64 v[46:47], -v[42:43], 1.0
	v_mul_f64_e32 v[56:57], v[38:39], v[38:39]
	s_delay_alu instid0(VALU_DEP_3) | instskip(NEXT) | instid1(VALU_DEP_3)
	v_fma_f64 v[50:51], v[38:39], v[50:51], -v[10:11]
	v_add_f64_e64 v[54:55], -v[46:47], 1.0
	s_delay_alu instid0(VALU_DEP_2) | instskip(NEXT) | instid1(VALU_DEP_2)
	v_fmac_f64_e32 v[50:51], 0xbfc5555555555555, v[52:53]
	v_add_f64_e64 v[42:43], v[54:55], -v[42:43]
	s_delay_alu instid0(VALU_DEP_1) | instskip(NEXT) | instid1(VALU_DEP_3)
	v_fma_f64 v[10:11], v[2:3], -v[10:11], v[42:43]
	v_add_f64_e64 v[2:3], v[2:3], -v[50:51]
	v_mul_f64_e32 v[40:41], v[12:13], v[12:13]
	s_delay_alu instid0(VALU_DEP_2) | instskip(NEXT) | instid1(VALU_DEP_2)
	v_xor_b32_e32 v3, 0x80000000, v3
	v_mul_f64_e64 v[60:61], v[12:13], -v[40:41]
	v_fmamk_f64 v[64:65], v[40:41], 0x3de5e0b2f9a43bb8, v[30:31]
	s_delay_alu instid0(VALU_DEP_1) | instskip(NEXT) | instid1(VALU_DEP_1)
	v_fmaak_f64 v[54:55], v[40:41], v[64:65], 0x3ec71de3796cde01
	v_fmaak_f64 v[54:55], v[40:41], v[54:55], 0xbf2a01a019e83e5c
	s_delay_alu instid0(VALU_DEP_1) | instskip(NEXT) | instid1(VALU_DEP_1)
	v_fmaak_f64 v[54:55], v[40:41], v[54:55], 0x3f81111111110bb3
	v_fmac_f64_e32 v[58:59], v[60:61], v[54:55]
	v_fmamk_f64 v[54:55], v[38:39], 0xbda907db46cc5e42, v[28:29]
	s_delay_alu instid0(VALU_DEP_1) | instskip(NEXT) | instid1(VALU_DEP_1)
	v_fmaak_f64 v[42:43], v[38:39], v[54:55], 0xbe927e4fa17f65f6
	v_fmaak_f64 v[42:43], v[38:39], v[42:43], 0x3efa01a019f4ec90
	s_delay_alu instid0(VALU_DEP_1) | instskip(NEXT) | instid1(VALU_DEP_1)
	v_fmaak_f64 v[42:43], v[38:39], v[42:43], 0xbf56c16c16c16967
	v_fmaak_f64 v[38:39], v[38:39], v[42:43], 0x3fa5555555555555
	s_delay_alu instid0(VALU_DEP_1) | instskip(NEXT) | instid1(VALU_DEP_1)
	v_fmac_f64_e32 v[10:11], v[56:57], v[38:39]
	v_add_f64_e32 v[10:11], v[46:47], v[10:11]
	s_delay_alu instid0(VALU_DEP_1) | instskip(NEXT) | instid1(VALU_DEP_2)
	v_dual_mul_f64 v[44:45], 0.5, v[40:41] :: v_dual_cndmask_b32 v2, v2, v10, vcc_lo
	v_cndmask_b32_e32 v3, v3, v11, vcc_lo
	v_fmamk_f64 v[54:55], v[40:41], 0xbda907db46cc5e42, v[28:29]
	v_dual_fma_f64 v[58:59], v[40:41], v[58:59], -v[34:35] :: v_dual_lshlrev_b32 v10, 30, v37
	s_delay_alu instid0(VALU_DEP_3) | instskip(NEXT) | instid1(VALU_DEP_3)
	v_bitop3_b32 v3, v3, v4, 0x80000000 bitop3:0x78
	v_fmaak_f64 v[42:43], v[40:41], v[54:55], 0xbe927e4fa17f65f6
	s_delay_alu instid0(VALU_DEP_3) | instskip(NEXT) | instid1(VALU_DEP_3)
	v_xor_b32_e32 v5, v10, v5
	v_cndmask_b32_e64 v11, 0x7ff80000, v3, s0
	s_delay_alu instid0(VALU_DEP_3) | instskip(NEXT) | instid1(VALU_DEP_1)
	v_fmaak_f64 v[38:39], v[40:41], v[42:43], 0x3efa01a019f4ec90
	v_fmaak_f64 v[38:39], v[40:41], v[38:39], 0xbf56c16c16c16967
	s_delay_alu instid0(VALU_DEP_1) | instskip(SKIP_2) | instid1(VALU_DEP_2)
	v_fmaak_f64 v[38:39], v[40:41], v[38:39], 0x3fa5555555555555
	v_add_f64_e64 v[48:49], -v[44:45], 1.0
	v_fmac_f64_e32 v[58:59], 0xbfc5555555555555, v[60:61]
	v_add_f64_e64 v[62:63], -v[48:49], 1.0
	s_delay_alu instid0(VALU_DEP_1) | instskip(SKIP_1) | instid1(VALU_DEP_2)
	v_add_f64_e64 v[44:45], v[62:63], -v[44:45]
	v_mul_f64_e32 v[62:63], v[40:41], v[40:41]
	v_fma_f64 v[34:35], v[12:13], -v[34:35], v[44:45]
	v_add_f64_e64 v[12:13], v[12:13], -v[58:59]
	s_delay_alu instid0(VALU_DEP_2) | instskip(NEXT) | instid1(VALU_DEP_1)
	v_fmac_f64_e32 v[34:35], v[62:63], v[38:39]
	v_add_f64_e32 v[34:35], v[48:49], v[34:35]
	s_delay_alu instid0(VALU_DEP_1) | instskip(NEXT) | instid1(VALU_DEP_1)
	v_dual_cndmask_b32 v10, v35, v13, s1 :: v_dual_cndmask_b32 v12, v34, v12, s1
	v_bitop3_b32 v4, v10, v5, 0x80000000 bitop3:0x78
	s_delay_alu instid0(VALU_DEP_2) | instskip(NEXT) | instid1(VALU_DEP_2)
	v_dual_cndmask_b32 v10, 0, v2, s0 :: v_dual_cndmask_b32 v12, 0, v12, s0
	v_cndmask_b32_e64 v13, 0x7ff80000, v4, s0
.LBB137_374:                            ;   in Loop: Header=BB137_201 Depth=1
	s_or_b32 exec_lo, exec_lo, s2
                                        ; implicit-def: $vgpr2_vgpr3
.LBB137_375:                            ;   in Loop: Header=BB137_201 Depth=1
	s_and_not1_saveexec_b32 s1, s16
	s_cbranch_execz .LBB137_200
; %bb.376:                              ;   in Loop: Header=BB137_201 Depth=1
	v_mul_f64_e32 v[10:11], 0x3ff71547652b82fe, v[2:3]
	v_cmp_nlt_f64_e32 vcc_lo, 0x40900000, v[2:3]
	v_cmp_ngt_f64_e64 s0, 0xc090cc00, v[2:3]
	s_delay_alu instid0(VALU_DEP_3) | instskip(NEXT) | instid1(VALU_DEP_1)
	v_rndne_f64_e32 v[10:11], v[10:11]
	v_fmamk_f64 v[12:13], v[10:11], 0xbfe62e42fefa39ef, v[2:3]
	v_cvt_i32_f64_e32 v25, v[10:11]
	s_delay_alu instid0(VALU_DEP_2) | instskip(NEXT) | instid1(VALU_DEP_1)
	v_fmac_f64_e32 v[12:13], 0xbc7abc9e3b39803f, v[10:11]
	v_fmamk_f64 v[34:35], v[12:13], 0x3e5ade156a5dcb37, v[26:27]
	s_delay_alu instid0(VALU_DEP_1) | instskip(NEXT) | instid1(VALU_DEP_1)
	v_fmaak_f64 v[34:35], v[12:13], v[34:35], 0x3ec71dee623fde64
	v_fmaak_f64 v[34:35], v[12:13], v[34:35], 0x3efa01997c89e6b0
	s_delay_alu instid0(VALU_DEP_1) | instskip(NEXT) | instid1(VALU_DEP_1)
	v_fmaak_f64 v[34:35], v[12:13], v[34:35], 0x3f2a01a014761f6e
	v_fmaak_f64 v[34:35], v[12:13], v[34:35], 0x3f56c16c1852b7b0
	s_delay_alu instid0(VALU_DEP_1) | instskip(NEXT) | instid1(VALU_DEP_1)
	v_fmaak_f64 v[34:35], v[12:13], v[34:35], 0x3f81111111122322
	v_fmaak_f64 v[34:35], v[12:13], v[34:35], 0x3fa55555555502a1
	s_delay_alu instid0(VALU_DEP_1) | instskip(NEXT) | instid1(VALU_DEP_1)
	v_fmaak_f64 v[34:35], v[12:13], v[34:35], 0x3fc5555555555511
	v_fmaak_f64 v[34:35], v[12:13], v[34:35], 0x3fe000000000000b
	s_delay_alu instid0(VALU_DEP_1) | instskip(NEXT) | instid1(VALU_DEP_1)
	v_fma_f64 v[34:35], v[12:13], v[34:35], 1.0
	v_fma_f64 v[10:11], v[12:13], v[34:35], 1.0
	v_mov_b64_e32 v[12:13], v[4:5]
	s_delay_alu instid0(VALU_DEP_2) | instskip(NEXT) | instid1(VALU_DEP_1)
	v_ldexp_f64 v[10:11], v[10:11], v25
	v_cndmask_b32_e32 v11, 0x7ff00000, v11, vcc_lo
	s_and_b32 vcc_lo, s0, vcc_lo
	s_delay_alu instid0(VALU_DEP_1) | instid1(SALU_CYCLE_1)
	v_dual_cndmask_b32 v10, 0, v10, vcc_lo :: v_dual_cndmask_b32 v11, 0, v11, s0
	s_branch .LBB137_200
.LBB137_377:
	s_sendmsg sendmsg(MSG_DEALLOC_VGPRS)
	s_endpgm
	.section	.rodata,"a",@progbits
	.p2align	6, 0x0
	.amdhsa_kernel _ZN2at6native12_GLOBAL__N_125multi_tensor_apply_kernelINS1_18TensorListMetadataILi1EEENS1_14UnaryOpFunctorIN3c107complexIdEELi1ELi1ELi0EEEJNS0_3ExpIS8_EEEEEvT_T0_DpT1_
		.amdhsa_group_segment_fixed_size 0
		.amdhsa_private_segment_fixed_size 0
		.amdhsa_kernarg_size 3632
		.amdhsa_user_sgpr_count 2
		.amdhsa_user_sgpr_dispatch_ptr 0
		.amdhsa_user_sgpr_queue_ptr 0
		.amdhsa_user_sgpr_kernarg_segment_ptr 1
		.amdhsa_user_sgpr_dispatch_id 0
		.amdhsa_user_sgpr_kernarg_preload_length 0
		.amdhsa_user_sgpr_kernarg_preload_offset 0
		.amdhsa_user_sgpr_private_segment_size 0
		.amdhsa_wavefront_size32 1
		.amdhsa_uses_dynamic_stack 0
		.amdhsa_enable_private_segment 0
		.amdhsa_system_sgpr_workgroup_id_x 1
		.amdhsa_system_sgpr_workgroup_id_y 0
		.amdhsa_system_sgpr_workgroup_id_z 0
		.amdhsa_system_sgpr_workgroup_info 0
		.amdhsa_system_vgpr_workitem_id 0
		.amdhsa_next_free_vgpr 96
		.amdhsa_next_free_sgpr 36
		.amdhsa_named_barrier_count 0
		.amdhsa_reserve_vcc 1
		.amdhsa_float_round_mode_32 0
		.amdhsa_float_round_mode_16_64 0
		.amdhsa_float_denorm_mode_32 3
		.amdhsa_float_denorm_mode_16_64 3
		.amdhsa_fp16_overflow 0
		.amdhsa_memory_ordered 1
		.amdhsa_forward_progress 1
		.amdhsa_inst_pref_size 255
		.amdhsa_round_robin_scheduling 0
		.amdhsa_exception_fp_ieee_invalid_op 0
		.amdhsa_exception_fp_denorm_src 0
		.amdhsa_exception_fp_ieee_div_zero 0
		.amdhsa_exception_fp_ieee_overflow 0
		.amdhsa_exception_fp_ieee_underflow 0
		.amdhsa_exception_fp_ieee_inexact 0
		.amdhsa_exception_int_div_zero 0
	.end_amdhsa_kernel
	.section	.text._ZN2at6native12_GLOBAL__N_125multi_tensor_apply_kernelINS1_18TensorListMetadataILi1EEENS1_14UnaryOpFunctorIN3c107complexIdEELi1ELi1ELi0EEEJNS0_3ExpIS8_EEEEEvT_T0_DpT1_,"axG",@progbits,_ZN2at6native12_GLOBAL__N_125multi_tensor_apply_kernelINS1_18TensorListMetadataILi1EEENS1_14UnaryOpFunctorIN3c107complexIdEELi1ELi1ELi0EEEJNS0_3ExpIS8_EEEEEvT_T0_DpT1_,comdat
.Lfunc_end137:
	.size	_ZN2at6native12_GLOBAL__N_125multi_tensor_apply_kernelINS1_18TensorListMetadataILi1EEENS1_14UnaryOpFunctorIN3c107complexIdEELi1ELi1ELi0EEEJNS0_3ExpIS8_EEEEEvT_T0_DpT1_, .Lfunc_end137-_ZN2at6native12_GLOBAL__N_125multi_tensor_apply_kernelINS1_18TensorListMetadataILi1EEENS1_14UnaryOpFunctorIN3c107complexIdEELi1ELi1ELi0EEEJNS0_3ExpIS8_EEEEEvT_T0_DpT1_
                                        ; -- End function
	.set _ZN2at6native12_GLOBAL__N_125multi_tensor_apply_kernelINS1_18TensorListMetadataILi1EEENS1_14UnaryOpFunctorIN3c107complexIdEELi1ELi1ELi0EEEJNS0_3ExpIS8_EEEEEvT_T0_DpT1_.num_vgpr, 96
	.set _ZN2at6native12_GLOBAL__N_125multi_tensor_apply_kernelINS1_18TensorListMetadataILi1EEENS1_14UnaryOpFunctorIN3c107complexIdEELi1ELi1ELi0EEEJNS0_3ExpIS8_EEEEEvT_T0_DpT1_.num_agpr, 0
	.set _ZN2at6native12_GLOBAL__N_125multi_tensor_apply_kernelINS1_18TensorListMetadataILi1EEENS1_14UnaryOpFunctorIN3c107complexIdEELi1ELi1ELi0EEEJNS0_3ExpIS8_EEEEEvT_T0_DpT1_.numbered_sgpr, 36
	.set _ZN2at6native12_GLOBAL__N_125multi_tensor_apply_kernelINS1_18TensorListMetadataILi1EEENS1_14UnaryOpFunctorIN3c107complexIdEELi1ELi1ELi0EEEJNS0_3ExpIS8_EEEEEvT_T0_DpT1_.num_named_barrier, 0
	.set _ZN2at6native12_GLOBAL__N_125multi_tensor_apply_kernelINS1_18TensorListMetadataILi1EEENS1_14UnaryOpFunctorIN3c107complexIdEELi1ELi1ELi0EEEJNS0_3ExpIS8_EEEEEvT_T0_DpT1_.private_seg_size, 0
	.set _ZN2at6native12_GLOBAL__N_125multi_tensor_apply_kernelINS1_18TensorListMetadataILi1EEENS1_14UnaryOpFunctorIN3c107complexIdEELi1ELi1ELi0EEEJNS0_3ExpIS8_EEEEEvT_T0_DpT1_.uses_vcc, 1
	.set _ZN2at6native12_GLOBAL__N_125multi_tensor_apply_kernelINS1_18TensorListMetadataILi1EEENS1_14UnaryOpFunctorIN3c107complexIdEELi1ELi1ELi0EEEJNS0_3ExpIS8_EEEEEvT_T0_DpT1_.uses_flat_scratch, 0
	.set _ZN2at6native12_GLOBAL__N_125multi_tensor_apply_kernelINS1_18TensorListMetadataILi1EEENS1_14UnaryOpFunctorIN3c107complexIdEELi1ELi1ELi0EEEJNS0_3ExpIS8_EEEEEvT_T0_DpT1_.has_dyn_sized_stack, 0
	.set _ZN2at6native12_GLOBAL__N_125multi_tensor_apply_kernelINS1_18TensorListMetadataILi1EEENS1_14UnaryOpFunctorIN3c107complexIdEELi1ELi1ELi0EEEJNS0_3ExpIS8_EEEEEvT_T0_DpT1_.has_recursion, 0
	.set _ZN2at6native12_GLOBAL__N_125multi_tensor_apply_kernelINS1_18TensorListMetadataILi1EEENS1_14UnaryOpFunctorIN3c107complexIdEELi1ELi1ELi0EEEJNS0_3ExpIS8_EEEEEvT_T0_DpT1_.has_indirect_call, 0
	.section	.AMDGPU.csdata,"",@progbits
; Kernel info:
; codeLenInByte = 63980
; TotalNumSgprs: 38
; NumVgprs: 96
; ScratchSize: 0
; MemoryBound: 1
; FloatMode: 240
; IeeeMode: 1
; LDSByteSize: 0 bytes/workgroup (compile time only)
; SGPRBlocks: 0
; VGPRBlocks: 5
; NumSGPRsForWavesPerEU: 38
; NumVGPRsForWavesPerEU: 96
; NamedBarCnt: 0
; Occupancy: 10
; WaveLimiterHint : 0
; COMPUTE_PGM_RSRC2:SCRATCH_EN: 0
; COMPUTE_PGM_RSRC2:USER_SGPR: 2
; COMPUTE_PGM_RSRC2:TRAP_HANDLER: 0
; COMPUTE_PGM_RSRC2:TGID_X_EN: 1
; COMPUTE_PGM_RSRC2:TGID_Y_EN: 0
; COMPUTE_PGM_RSRC2:TGID_Z_EN: 0
; COMPUTE_PGM_RSRC2:TIDIG_COMP_CNT: 0
	.section	.text._ZN2at6native12_GLOBAL__N_125multi_tensor_apply_kernelINS1_18TensorListMetadataILi1EEENS1_14UnaryOpFunctorIN3c107complexIfEELi1ELi1ELi0EEEJNS0_3ExpIS8_EEEEEvT_T0_DpT1_,"axG",@progbits,_ZN2at6native12_GLOBAL__N_125multi_tensor_apply_kernelINS1_18TensorListMetadataILi1EEENS1_14UnaryOpFunctorIN3c107complexIfEELi1ELi1ELi0EEEJNS0_3ExpIS8_EEEEEvT_T0_DpT1_,comdat
	.globl	_ZN2at6native12_GLOBAL__N_125multi_tensor_apply_kernelINS1_18TensorListMetadataILi1EEENS1_14UnaryOpFunctorIN3c107complexIfEELi1ELi1ELi0EEEJNS0_3ExpIS8_EEEEEvT_T0_DpT1_ ; -- Begin function _ZN2at6native12_GLOBAL__N_125multi_tensor_apply_kernelINS1_18TensorListMetadataILi1EEENS1_14UnaryOpFunctorIN3c107complexIfEELi1ELi1ELi0EEEJNS0_3ExpIS8_EEEEEvT_T0_DpT1_
	.p2align	8
	.type	_ZN2at6native12_GLOBAL__N_125multi_tensor_apply_kernelINS1_18TensorListMetadataILi1EEENS1_14UnaryOpFunctorIN3c107complexIfEELi1ELi1ELi0EEEJNS0_3ExpIS8_EEEEEvT_T0_DpT1_,@function
_ZN2at6native12_GLOBAL__N_125multi_tensor_apply_kernelINS1_18TensorListMetadataILi1EEENS1_14UnaryOpFunctorIN3c107complexIfEELi1ELi1ELi0EEEJNS0_3ExpIS8_EEEEEvT_T0_DpT1_: ; @_ZN2at6native12_GLOBAL__N_125multi_tensor_apply_kernelINS1_18TensorListMetadataILi1EEENS1_14UnaryOpFunctorIN3c107complexIfEELi1ELi1ELi0EEEJNS0_3ExpIS8_EEEEEvT_T0_DpT1_
; %bb.0:
	s_bfe_u32 s2, ttmp6, 0x4000c
	s_and_b32 s3, ttmp6, 15
	s_add_co_i32 s2, s2, 1
	s_getreg_b32 s4, hwreg(HW_REG_IB_STS2, 6, 4)
	s_mul_i32 s2, ttmp9, s2
	s_delay_alu instid0(SALU_CYCLE_1)
	s_add_co_i32 s3, s3, s2
	s_cmp_eq_u32 s4, 0
	s_cselect_b32 s2, ttmp9, s3
	s_mov_b32 s3, 0
	s_load_u8 s10, s[0:1], s2 offset:0x6e0
	s_add_nc_u64 s[4:5], s[0:1], s[2:3]
	s_mul_u64 s[6:7], s[2:3], 3
	s_delay_alu instid0(SALU_CYCLE_1)
	s_add_nc_u64 s[4:5], s[4:5], s[6:7]
	s_load_b32 s6, s[4:5], 0x820
	s_wait_kmcnt 0x0
	s_clause 0x1
	s_load_b64 s[8:9], s[0:1], s10 offset:0x0 scale_offset
	s_load_b64 s[12:13], s[0:1], s10 offset:0x370 scale_offset
	s_ashr_i32 s7, s6, 31
	s_wait_xcnt 0x0
	s_lshl_b64 s[10:11], s[6:7], 19
	s_wait_kmcnt 0x0
	s_and_b32 s2, s12, 3
	s_add_nc_u64 s[14:15], s[8:9], s[10:11]
	s_delay_alu instid0(SALU_CYCLE_1) | instskip(NEXT) | instid1(SALU_CYCLE_1)
	s_and_b64 s[4:5], s[14:15], 31
	s_or_b64 s[2:3], s[4:5], s[2:3]
	s_lshl_b64 s[4:5], s[6:7], 16
	s_cmp_eq_u64 s[2:3], 0
	s_sub_nc_u64 s[12:13], s[12:13], s[4:5]
	s_cbranch_scc1 .LBB138_197
; %bb.1:
	v_cmp_lt_i64_e64 s2, s[12:13], 1
	s_and_b32 vcc_lo, exec_lo, s2
	s_cbranch_vccnz .LBB138_196
; %bb.2:
	s_load_b32 s2, s[0:1], 0xd3c
	v_min_i64 v[2:3], 0x10000, s[12:13]
	v_min_u64 v[4:5], 0x10000, s[12:13]
	v_dual_mov_b32 v7, 0 :: v_dual_lshlrev_b32 v8, 3, v0
	s_mov_b32 s3, 0
	s_mov_b64 s[16:17], 0
	s_mov_b32 s5, s3
	s_delay_alu instid0(VALU_DEP_1)
	v_dual_mov_b32 v1, v7 :: v_dual_mov_b32 v9, v7
	s_mov_b32 s7, s3
	s_mov_b32 s25, s3
	s_mov_b64 s[18:19], 0xfe5163ab
	s_mov_b32 s21, s3
	s_mov_b32 s23, s3
	s_mov_b32 s26, 0x37d75334
	s_mov_b32 s27, 0x7f000000
	s_wait_kmcnt 0x0
	s_and_b32 s2, s2, 0xffff
	s_delay_alu instid0(SALU_CYCLE_1)
	v_add_nc_u64_e32 v[12:13], s[2:3], v[0:1]
	v_mad_nc_u64_u32 v[14:15], s2, 24, v[8:9]
	s_lshl_b32 s4, s2, 1
	s_mul_i32 s6, s2, 3
	s_lshl_b32 s24, s2, 4
	v_add_nc_u64_e32 v[16:17], s[6:7], v[0:1]
	v_add_nc_u64_e32 v[18:19], s[24:25], v[8:9]
	v_add_nc_u64_e32 v[20:21], s[4:5], v[0:1]
	v_dual_mov_b32 v11, v7 :: v_dual_lshlrev_b32 v10, 3, v12
	s_lshl_b32 s20, s2, 2
	s_lshl_b32 s22, s2, 5
	s_mov_b32 s24, 0x7fffff
	s_mov_b32 s25, 0xb94c1982
	s_branch .LBB138_4
.LBB138_3:                              ;   in Loop: Header=BB138_4 Depth=1
	s_wait_xcnt 0x0
	s_or_b32 exec_lo, exec_lo, s2
	s_add_nc_u64 s[16:17], s[16:17], s[20:21]
	s_add_nc_u64 s[14:15], s[14:15], s[22:23]
	v_cmp_ge_i64_e32 vcc_lo, s[16:17], v[2:3]
	s_cbranch_vccnz .LBB138_196
.LBB138_4:                              ; =>This Inner Loop Header: Depth=1
	v_add_nc_u64_e32 v[22:23], s[16:17], v[0:1]
	v_dual_mov_b32 v36, 0 :: v_dual_mov_b32 v37, 0
	s_delay_alu instid0(VALU_DEP_2)
	v_cmp_lt_u64_e32 vcc_lo, v[22:23], v[4:5]
	v_add_nc_u64_e32 v[22:23], s[14:15], v[8:9]
	s_and_saveexec_b32 s2, vcc_lo
	s_cbranch_execz .LBB138_6
; %bb.5:                                ;   in Loop: Header=BB138_4 Depth=1
	global_load_b64 v[36:37], v[22:23], off
.LBB138_6:                              ;   in Loop: Header=BB138_4 Depth=1
	s_wait_xcnt 0x0
	s_or_b32 exec_lo, exec_lo, s2
	v_add_nc_u64_e32 v[24:25], s[16:17], v[12:13]
	v_dual_mov_b32 v34, 0 :: v_dual_mov_b32 v38, 0
	v_mov_b32_e32 v39, 0
	s_delay_alu instid0(VALU_DEP_3)
	v_cmp_lt_u64_e64 s2, v[24:25], v[4:5]
	v_add_nc_u64_e32 v[24:25], s[14:15], v[10:11]
	s_and_saveexec_b32 s3, s2
	s_cbranch_execz .LBB138_8
; %bb.7:                                ;   in Loop: Header=BB138_4 Depth=1
	global_load_b64 v[38:39], v[24:25], off
.LBB138_8:                              ;   in Loop: Header=BB138_4 Depth=1
	s_wait_xcnt 0x0
	s_or_b32 exec_lo, exec_lo, s3
	v_add_nc_u64_e32 v[26:27], s[16:17], v[20:21]
	v_mov_b32_e32 v35, 0
	s_delay_alu instid0(VALU_DEP_2)
	v_cmp_lt_u64_e64 s3, v[26:27], v[4:5]
	v_add_nc_u64_e32 v[26:27], s[14:15], v[18:19]
	s_and_saveexec_b32 s4, s3
	s_cbranch_execz .LBB138_10
; %bb.9:                                ;   in Loop: Header=BB138_4 Depth=1
	global_load_b64 v[34:35], v[26:27], off
.LBB138_10:                             ;   in Loop: Header=BB138_4 Depth=1
	s_wait_xcnt 0x0
	s_or_b32 exec_lo, exec_lo, s4
	v_add_nc_u64_e32 v[28:29], s[16:17], v[16:17]
	v_dual_mov_b32 v30, 0 :: v_dual_mov_b32 v31, 0
	s_delay_alu instid0(VALU_DEP_2)
	v_cmp_lt_u64_e64 s4, v[28:29], v[4:5]
	v_add_nc_u64_e32 v[28:29], s[14:15], v[14:15]
	s_and_saveexec_b32 s5, s4
	s_cbranch_execz .LBB138_12
; %bb.11:                               ;   in Loop: Header=BB138_4 Depth=1
	global_load_b64 v[30:31], v[28:29], off
.LBB138_12:                             ;   in Loop: Header=BB138_4 Depth=1
	s_wait_xcnt 0x0
	s_or_b32 exec_lo, exec_lo, s5
	s_wait_loadcnt 0x0
	v_and_b32_e32 v40, 0x7fffffff, v37
                                        ; implicit-def: $vgpr33
	s_mov_b32 s6, exec_lo
	s_delay_alu instid0(VALU_DEP_1)
	v_cmpx_ne_u32_e32 0, v40
	s_xor_b32 s28, exec_lo, s6
	s_cbranch_execz .LBB138_54
; %bb.13:                               ;   in Loop: Header=BB138_4 Depth=1
	v_and_b32_e32 v6, 0x7fffffff, v36
                                        ; implicit-def: $vgpr33
	s_mov_b32 s6, exec_lo
	s_delay_alu instid0(VALU_DEP_1)
	v_cmpx_ne_u32_e32 0, v6
	s_xor_b32 s29, exec_lo, s6
	s_cbranch_execz .LBB138_43
; %bb.14:                               ;   in Loop: Header=BB138_4 Depth=1
                                        ; implicit-def: $vgpr33
	s_mov_b32 s6, exec_lo
	v_cmpx_gt_u32_e32 0x7f800000, v40
	s_xor_b32 s30, exec_lo, s6
	s_cbranch_execz .LBB138_36
; %bb.15:                               ;   in Loop: Header=BB138_4 Depth=1
	v_add_nc_u32_e32 v6, 0xbd4e8de8, v36
                                        ; implicit-def: $vgpr33
	s_mov_b32 s6, exec_lo
	s_delay_alu instid0(VALU_DEP_1)
	v_cmpx_lt_u32_e32 0x8e8e5c, v6
	s_xor_b32 s31, exec_lo, s6
	s_cbranch_execz .LBB138_25
; %bb.16:                               ;   in Loop: Header=BB138_4 Depth=1
	v_cmp_ngt_f32_e64 s33, 0x48000000, |v37|
                                        ; implicit-def: $vgpr33
                                        ; implicit-def: $vgpr32
	s_and_saveexec_b32 s5, s33
	s_delay_alu instid0(SALU_CYCLE_1)
	s_xor_b32 s34, exec_lo, s5
	s_cbranch_execz .LBB138_18
; %bb.17:                               ;   in Loop: Header=BB138_4 Depth=1
	v_and_or_b32 v6, v40, s24, 0x800000
	v_dual_mov_b32 v51, v7 :: v_dual_mov_b32 v53, v7
	s_delay_alu instid0(VALU_DEP_2) | instskip(NEXT) | instid1(VALU_DEP_1)
	v_mul_u64_e32 v[32:33], s[18:19], v[6:7]
	v_dual_mov_b32 v43, v7 :: v_dual_mov_b32 v42, v33
	v_lshrrev_b32_e32 v33, 23, v40
	s_delay_alu instid0(VALU_DEP_2) | instskip(SKIP_1) | instid1(VALU_DEP_3)
	v_mad_nc_u64_u32 v[42:43], 0x3c439041, v6, v[42:43]
	v_mov_b32_e32 v45, v7
	v_add_nc_u32_e32 v33, 0xffffff88, v33
	s_delay_alu instid0(VALU_DEP_1) | instskip(NEXT) | instid1(VALU_DEP_4)
	v_cmp_lt_u32_e64 s5, 63, v33
	v_mov_b32_e32 v44, v43
	s_delay_alu instid0(VALU_DEP_2) | instskip(NEXT) | instid1(VALU_DEP_2)
	v_cndmask_b32_e64 v41, 0, 0xffffffc0, s5
	v_mad_nc_u64_u32 v[44:45], 0xdb629599, v6, v[44:45]
	s_delay_alu instid0(VALU_DEP_2) | instskip(NEXT) | instid1(VALU_DEP_1)
	v_dual_mov_b32 v47, v7 :: v_dual_add_nc_u32 v33, v41, v33
	v_cmp_lt_u32_e64 s6, 31, v33
	s_delay_alu instid0(VALU_DEP_3) | instskip(NEXT) | instid1(VALU_DEP_2)
	v_mov_b32_e32 v46, v45
	v_cndmask_b32_e64 v41, 0, 0xffffffe0, s6
	v_cndmask_b32_e64 v32, v44, v32, s5
	s_delay_alu instid0(VALU_DEP_3) | instskip(NEXT) | instid1(VALU_DEP_1)
	v_mad_nc_u64_u32 v[46:47], 0xf534ddc0, v6, v[46:47]
	v_dual_mov_b32 v49, v7 :: v_dual_mov_b32 v48, v47
	s_delay_alu instid0(VALU_DEP_1) | instskip(NEXT) | instid1(VALU_DEP_1)
	v_mad_nc_u64_u32 v[48:49], 0xfc2757d1, v6, v[48:49]
	v_dual_mov_b32 v50, v49 :: v_dual_cndmask_b32 v47, v48, v44, s5
	s_delay_alu instid0(VALU_DEP_1) | instskip(NEXT) | instid1(VALU_DEP_1)
	v_mad_nc_u64_u32 v[50:51], 0x4e441529, v6, v[50:51]
	v_mov_b32_e32 v52, v51
	s_delay_alu instid0(VALU_DEP_1) | instskip(NEXT) | instid1(VALU_DEP_3)
	v_mad_nc_u64_u32 v[52:53], 0xa2f9836e, v6, v[52:53]
	v_dual_add_nc_u32 v6, v41, v33 :: v_dual_cndmask_b32 v41, v50, v46, s5
	s_delay_alu instid0(VALU_DEP_1) | instskip(NEXT) | instid1(VALU_DEP_1)
	v_cmp_lt_u32_e64 s7, 31, v6
	v_cndmask_b32_e64 v33, 0, 0xffffffe0, s7
	s_delay_alu instid0(VALU_DEP_4) | instskip(NEXT) | instid1(VALU_DEP_2)
	v_dual_cndmask_b32 v43, v52, v48, s5 :: v_dual_cndmask_b32 v45, v53, v50, s5
	v_add_nc_u32_e32 v6, v33, v6
	s_delay_alu instid0(VALU_DEP_2) | instskip(NEXT) | instid1(VALU_DEP_3)
	v_dual_cndmask_b32 v33, v46, v42, s5 :: v_dual_cndmask_b32 v42, v43, v41, s6
	v_cndmask_b32_e64 v43, v45, v43, s6
	s_delay_alu instid0(VALU_DEP_3) | instskip(NEXT) | instid1(VALU_DEP_3)
	v_dual_cndmask_b32 v41, v41, v47, s6 :: v_dual_sub_nc_u32 v45, 32, v6
	v_cndmask_b32_e64 v46, v47, v33, s6
	v_cmp_eq_u32_e64 s5, 0, v6
	s_delay_alu instid0(VALU_DEP_3) | instskip(NEXT) | instid1(VALU_DEP_1)
	v_dual_cndmask_b32 v43, v43, v42, s7 :: v_dual_cndmask_b32 v42, v42, v41, s7
	v_alignbit_b32 v47, v43, v42, v45
	s_delay_alu instid0(VALU_DEP_1) | instskip(NEXT) | instid1(VALU_DEP_1)
	v_dual_cndmask_b32 v41, v41, v46, s7 :: v_dual_cndmask_b32 v6, v47, v43, s5
	v_alignbit_b32 v44, v42, v41, v45
	s_delay_alu instid0(VALU_DEP_1) | instskip(NEXT) | instid1(VALU_DEP_3)
	v_dual_cndmask_b32 v32, v33, v32, s6 :: v_dual_cndmask_b32 v33, v44, v42, s5
	v_bfe_u32 v42, v6, 29, 1
	s_delay_alu instid0(VALU_DEP_2) | instskip(NEXT) | instid1(VALU_DEP_3)
	v_cndmask_b32_e64 v32, v46, v32, s7
	v_alignbit_b32 v43, v6, v33, 30
	s_delay_alu instid0(VALU_DEP_3) | instskip(NEXT) | instid1(VALU_DEP_3)
	v_sub_nc_u32_e32 v44, 0, v42
	v_alignbit_b32 v45, v41, v32, v45
	s_delay_alu instid0(VALU_DEP_1) | instskip(NEXT) | instid1(VALU_DEP_1)
	v_dual_cndmask_b32 v41, v45, v41, s5 :: v_dual_bitop2_b32 v43, v43, v44 bitop3:0x14
	v_clz_i32_u32_e32 v45, v43
	s_delay_alu instid0(VALU_DEP_2) | instskip(SKIP_1) | instid1(VALU_DEP_3)
	v_alignbit_b32 v33, v33, v41, 30
	v_alignbit_b32 v32, v41, v32, 30
	v_min_u32_e32 v45, 32, v45
	s_delay_alu instid0(VALU_DEP_3) | instskip(NEXT) | instid1(VALU_DEP_3)
	v_xor_b32_e32 v33, v33, v44
	v_dual_lshrrev_b32 v44, 29, v6 :: v_dual_bitop2_b32 v32, v32, v44 bitop3:0x14
	s_delay_alu instid0(VALU_DEP_3) | instskip(SKIP_1) | instid1(VALU_DEP_2)
	v_dual_lshrrev_b32 v6, 30, v6 :: v_dual_sub_nc_u32 v41, 31, v45
	v_lshlrev_b32_e32 v46, 23, v45
	v_alignbit_b32 v43, v43, v33, v41
	s_delay_alu instid0(VALU_DEP_4) | instskip(SKIP_1) | instid1(VALU_DEP_2)
	v_alignbit_b32 v32, v33, v32, v41
	v_lshlrev_b32_e32 v33, 31, v44
	v_alignbit_b32 v41, v43, v32, 9
	s_delay_alu instid0(VALU_DEP_2) | instskip(SKIP_1) | instid1(VALU_DEP_3)
	v_dual_lshrrev_b32 v43, 9, v43 :: v_dual_bitop2_b32 v44, 0.5, v33 bitop3:0x54
	v_or_b32_e32 v33, 0x33000000, v33
	v_clz_i32_u32_e32 v47, v41
	s_delay_alu instid0(VALU_DEP_3) | instskip(NEXT) | instid1(VALU_DEP_2)
	v_sub_nc_u32_e32 v44, v44, v46
	v_min_u32_e32 v46, 32, v47
	s_delay_alu instid0(VALU_DEP_1) | instskip(NEXT) | instid1(VALU_DEP_3)
	v_add_lshl_u32 v45, v46, v45, 23
	v_or_b32_e32 v43, v43, v44
	v_not_b32_e32 v44, v46
	s_delay_alu instid0(VALU_DEP_3) | instskip(NEXT) | instid1(VALU_DEP_3)
	v_sub_nc_u32_e32 v33, v33, v45
	v_mul_f32_e32 v47, 0x3fc90fda, v43
	s_delay_alu instid0(VALU_DEP_3) | instskip(NEXT) | instid1(VALU_DEP_2)
	v_alignbit_b32 v32, v41, v32, v44
	v_fma_f32 v41, 0x3fc90fda, v43, -v47
	s_delay_alu instid0(VALU_DEP_1) | instskip(NEXT) | instid1(VALU_DEP_1)
	v_dual_fmac_f32 v41, 0x33a22168, v43 :: v_dual_lshrrev_b32 v32, 9, v32
	v_dual_add_nc_u32 v33, v42, v6 :: v_dual_bitop2_b32 v32, v33, v32 bitop3:0x54
	s_delay_alu instid0(VALU_DEP_1) | instskip(NEXT) | instid1(VALU_DEP_1)
	v_fmac_f32_e32 v41, 0x3fc90fda, v32
	v_add_f32_e32 v32, v47, v41
	s_and_not1_saveexec_b32 s5, s34
	s_branch .LBB138_19
.LBB138_18:                             ;   in Loop: Header=BB138_4 Depth=1
	s_and_not1_saveexec_b32 s5, s34
.LBB138_19:                             ;   in Loop: Header=BB138_4 Depth=1
	v_mul_f32_e64 v6, 0x3f22f983, |v37|
	s_delay_alu instid0(VALU_DEP_1) | instskip(NEXT) | instid1(VALU_DEP_1)
	v_rndne_f32_e32 v6, v6
	v_fma_f32 v32, 0xbfc90fda, v6, |v37|
	v_cvt_i32_f32_e32 v33, v6
	s_delay_alu instid0(VALU_DEP_2) | instskip(NEXT) | instid1(VALU_DEP_1)
	v_fmac_f32_e32 v32, 0xb3a22168, v6
	v_fmac_f32_e32 v32, 0xa7c234c4, v6
; %bb.20:                               ;   in Loop: Header=BB138_4 Depth=1
	s_or_b32 exec_lo, exec_lo, s5
                                        ; implicit-def: $vgpr41
                                        ; implicit-def: $vgpr6
	s_and_saveexec_b32 s5, s33
	s_delay_alu instid0(SALU_CYCLE_1)
	s_xor_b32 s33, exec_lo, s5
	s_cbranch_execz .LBB138_22
; %bb.21:                               ;   in Loop: Header=BB138_4 Depth=1
	v_and_or_b32 v6, v40, s24, 0x800000
	v_dual_lshrrev_b32 v41, 23, v40 :: v_dual_mov_b32 v53, v7
	s_delay_alu instid0(VALU_DEP_2) | instskip(SKIP_1) | instid1(VALU_DEP_3)
	v_mul_u64_e32 v[42:43], s[18:19], v[6:7]
	v_mov_b32_e32 v45, v7
	v_add_nc_u32_e32 v41, 0xffffff88, v41
	s_delay_alu instid0(VALU_DEP_1) | instskip(NEXT) | instid1(VALU_DEP_4)
	v_cmp_lt_u32_e64 s5, 63, v41
	v_mov_b32_e32 v44, v43
	s_delay_alu instid0(VALU_DEP_2) | instskip(NEXT) | instid1(VALU_DEP_2)
	v_cndmask_b32_e64 v43, 0, 0xffffffc0, s5
	v_mad_nc_u64_u32 v[44:45], 0x3c439041, v6, v[44:45]
	s_delay_alu instid0(VALU_DEP_1) | instskip(NEXT) | instid1(VALU_DEP_1)
	v_dual_mov_b32 v47, v7 :: v_dual_mov_b32 v46, v45
	v_mad_nc_u64_u32 v[46:47], 0xdb629599, v6, v[46:47]
	s_delay_alu instid0(VALU_DEP_1) | instskip(NEXT) | instid1(VALU_DEP_2)
	v_dual_mov_b32 v49, v7 :: v_dual_mov_b32 v48, v47
	v_cndmask_b32_e64 v42, v46, v42, s5
	s_delay_alu instid0(VALU_DEP_2) | instskip(NEXT) | instid1(VALU_DEP_1)
	v_mad_nc_u64_u32 v[48:49], 0xf534ddc0, v6, v[48:49]
	v_dual_mov_b32 v51, v7 :: v_dual_mov_b32 v50, v49
	s_delay_alu instid0(VALU_DEP_1) | instskip(NEXT) | instid1(VALU_DEP_1)
	v_mad_nc_u64_u32 v[50:51], 0xfc2757d1, v6, v[50:51]
	v_dual_mov_b32 v52, v51 :: v_dual_cndmask_b32 v49, v50, v46, s5
	s_delay_alu instid0(VALU_DEP_1) | instskip(SKIP_1) | instid1(VALU_DEP_2)
	v_mad_nc_u64_u32 v[52:53], 0x4e441529, v6, v[52:53]
	v_add_nc_u32_e32 v41, v43, v41
	v_dual_mov_b32 v55, v7 :: v_dual_mov_b32 v54, v53
	s_delay_alu instid0(VALU_DEP_2) | instskip(NEXT) | instid1(VALU_DEP_2)
	v_cmp_lt_u32_e64 s6, 31, v41
	v_mad_nc_u64_u32 v[54:55], 0xa2f9836e, v6, v[54:55]
	s_delay_alu instid0(VALU_DEP_2) | instskip(NEXT) | instid1(VALU_DEP_1)
	v_cndmask_b32_e64 v43, 0, 0xffffffe0, s6
	v_dual_add_nc_u32 v6, v43, v41 :: v_dual_cndmask_b32 v43, v52, v48, s5
	s_delay_alu instid0(VALU_DEP_3) | instskip(NEXT) | instid1(VALU_DEP_2)
	v_cndmask_b32_e64 v45, v54, v50, s5
	v_cmp_lt_u32_e64 s7, 31, v6
	v_cndmask_b32_e64 v47, v55, v52, s5
	s_delay_alu instid0(VALU_DEP_2) | instskip(NEXT) | instid1(VALU_DEP_1)
	v_cndmask_b32_e64 v41, 0, 0xffffffe0, s7
	v_dual_add_nc_u32 v6, v41, v6 :: v_dual_cndmask_b32 v41, v48, v44, s5
	s_delay_alu instid0(VALU_DEP_3) | instskip(NEXT) | instid1(VALU_DEP_2)
	v_dual_cndmask_b32 v44, v45, v43, s6 :: v_dual_cndmask_b32 v45, v47, v45, s6
	v_dual_cndmask_b32 v43, v43, v49, s6 :: v_dual_sub_nc_u32 v47, 32, v6
	s_delay_alu instid0(VALU_DEP_3) | instskip(SKIP_1) | instid1(VALU_DEP_3)
	v_cndmask_b32_e64 v48, v49, v41, s6
	v_cmp_eq_u32_e64 s5, 0, v6
	v_dual_cndmask_b32 v45, v45, v44, s7 :: v_dual_cndmask_b32 v44, v44, v43, s7
	s_delay_alu instid0(VALU_DEP_1) | instskip(NEXT) | instid1(VALU_DEP_1)
	v_alignbit_b32 v49, v45, v44, v47
	v_dual_cndmask_b32 v43, v43, v48, s7 :: v_dual_cndmask_b32 v6, v49, v45, s5
	s_delay_alu instid0(VALU_DEP_1) | instskip(NEXT) | instid1(VALU_DEP_1)
	v_alignbit_b32 v46, v44, v43, v47
	v_dual_cndmask_b32 v41, v41, v42, s6 :: v_dual_cndmask_b32 v42, v46, v44, s5
	s_delay_alu instid0(VALU_DEP_3) | instskip(NEXT) | instid1(VALU_DEP_2)
	v_bfe_u32 v44, v6, 29, 1
	v_cndmask_b32_e64 v41, v48, v41, s7
	s_delay_alu instid0(VALU_DEP_3) | instskip(NEXT) | instid1(VALU_DEP_3)
	v_alignbit_b32 v45, v6, v42, 30
	v_sub_nc_u32_e32 v46, 0, v44
	s_delay_alu instid0(VALU_DEP_3) | instskip(NEXT) | instid1(VALU_DEP_1)
	v_alignbit_b32 v47, v43, v41, v47
	v_dual_cndmask_b32 v43, v47, v43, s5 :: v_dual_bitop2_b32 v45, v45, v46 bitop3:0x14
	s_delay_alu instid0(VALU_DEP_1) | instskip(NEXT) | instid1(VALU_DEP_2)
	v_clz_i32_u32_e32 v47, v45
	v_alignbit_b32 v42, v42, v43, 30
	v_alignbit_b32 v41, v43, v41, 30
	s_delay_alu instid0(VALU_DEP_3) | instskip(NEXT) | instid1(VALU_DEP_3)
	v_min_u32_e32 v47, 32, v47
	v_xor_b32_e32 v42, v42, v46
	s_delay_alu instid0(VALU_DEP_3) | instskip(NEXT) | instid1(VALU_DEP_3)
	v_xor_b32_e32 v41, v41, v46
	v_dual_lshrrev_b32 v46, 29, v6 :: v_dual_lshlrev_b32 v48, 23, v47
	v_sub_nc_u32_e32 v43, 31, v47
	s_delay_alu instid0(VALU_DEP_1) | instskip(NEXT) | instid1(VALU_DEP_4)
	v_alignbit_b32 v45, v45, v42, v43
	v_alignbit_b32 v41, v42, v41, v43
	s_delay_alu instid0(VALU_DEP_4) | instskip(NEXT) | instid1(VALU_DEP_2)
	v_lshlrev_b32_e32 v42, 31, v46
	v_alignbit_b32 v43, v45, v41, 9
	s_delay_alu instid0(VALU_DEP_2) | instskip(SKIP_1) | instid1(VALU_DEP_3)
	v_dual_lshrrev_b32 v45, 9, v45 :: v_dual_bitop2_b32 v46, 0.5, v42 bitop3:0x54
	v_or_b32_e32 v42, 0x33000000, v42
	v_clz_i32_u32_e32 v49, v43
	s_delay_alu instid0(VALU_DEP_3) | instskip(NEXT) | instid1(VALU_DEP_2)
	v_sub_nc_u32_e32 v46, v46, v48
	v_min_u32_e32 v48, 32, v49
	s_delay_alu instid0(VALU_DEP_1) | instskip(NEXT) | instid1(VALU_DEP_3)
	v_add_lshl_u32 v47, v48, v47, 23
	v_or_b32_e32 v45, v45, v46
	v_not_b32_e32 v46, v48
	s_delay_alu instid0(VALU_DEP_2) | instskip(NEXT) | instid1(VALU_DEP_2)
	v_dual_mul_f32 v49, 0x3fc90fda, v45 :: v_dual_sub_nc_u32 v42, v42, v47
	v_alignbit_b32 v41, v43, v41, v46
	s_delay_alu instid0(VALU_DEP_2) | instskip(NEXT) | instid1(VALU_DEP_2)
	v_fma_f32 v43, 0x3fc90fda, v45, -v49
	v_lshrrev_b32_e32 v41, 9, v41
	s_delay_alu instid0(VALU_DEP_2) | instskip(NEXT) | instid1(VALU_DEP_2)
	v_fmac_f32_e32 v43, 0x33a22168, v45
	v_or_b32_e32 v41, v42, v41
	s_delay_alu instid0(VALU_DEP_1) | instskip(NEXT) | instid1(VALU_DEP_1)
	v_fmac_f32_e32 v43, 0x3fc90fda, v41
	v_dual_add_f32 v6, v49, v43 :: v_dual_lshrrev_b32 v41, 30, v6
	s_delay_alu instid0(VALU_DEP_1)
	v_add_nc_u32_e32 v41, v44, v41
	s_and_not1_saveexec_b32 s5, s33
	s_cbranch_execnz .LBB138_23
	s_branch .LBB138_24
.LBB138_22:                             ;   in Loop: Header=BB138_4 Depth=1
	s_and_not1_saveexec_b32 s5, s33
.LBB138_23:                             ;   in Loop: Header=BB138_4 Depth=1
	v_mul_f32_e64 v6, 0x3f22f983, |v37|
	s_delay_alu instid0(VALU_DEP_1) | instskip(NEXT) | instid1(VALU_DEP_1)
	v_rndne_f32_e32 v41, v6
	v_fma_f32 v6, 0xbfc90fda, v41, |v37|
	s_delay_alu instid0(VALU_DEP_1) | instskip(NEXT) | instid1(VALU_DEP_1)
	v_fmac_f32_e32 v6, 0xb3a22168, v41
	v_fmac_f32_e32 v6, 0xa7c234c4, v41
	v_cvt_i32_f32_e32 v41, v41
.LBB138_24:                             ;   in Loop: Header=BB138_4 Depth=1
	s_or_b32 exec_lo, exec_lo, s5
	s_delay_alu instid0(VALU_DEP_2) | instskip(SKIP_2) | instid1(VALU_DEP_3)
	v_dual_mul_f32 v42, 0x3fb8aa3b, v36 :: v_dual_mul_f32 v45, v6, v6
	v_dual_mul_f32 v43, v32, v32 :: v_dual_bitop2_b32 v44, 1, v33 bitop3:0x40
	v_cmp_nlt_f32_e64 s6, 0x42b17218, v36
	v_rndne_f32_e32 v46, v42
	v_fma_f32 v47, 0x3fb8aa3b, v36, -v42
	v_fmaak_f32 v50, s25, v45, 0x3c0881c4
	v_fmaak_f32 v49, s26, v43, 0xbab64f3b
	;; [unrolled: 1-line block ×3, first 2 shown]
	v_sub_f32_e32 v42, v42, v46
	v_cvt_i32_f32_e32 v46, v46
	v_fmaak_f32 v50, v45, v50, 0xbe2aaa9d
	v_fmac_f32_e32 v47, 0x32a5705f, v36
	v_cmp_eq_u32_e64 s5, 0, v44
	s_delay_alu instid0(VALU_DEP_3) | instskip(NEXT) | instid1(VALU_DEP_3)
	v_dual_mul_f32 v50, v45, v50 :: v_dual_lshlrev_b32 v33, 30, v33
	v_dual_fmaak_f32 v51, s26, v45, 0xbab64f3b :: v_dual_add_f32 v42, v42, v47
	s_delay_alu instid0(VALU_DEP_2) | instskip(NEXT) | instid1(VALU_DEP_2)
	v_fmac_f32_e32 v6, v6, v50
	v_exp_f32_e32 v42, v42
	v_nop
	s_delay_alu instid0(TRANS32_DEP_1) | instskip(SKIP_3) | instid1(VALU_DEP_3)
	v_ldexp_f32 v42, v42, v46
	v_dual_lshlrev_b32 v41, 30, v41 :: v_dual_bitop2_b32 v46, 1, v41 bitop3:0x40
	v_fmaak_f32 v48, v43, v48, 0xbe2aaa9d
	v_fmaak_f32 v49, v43, v49, 0x3d2aabf7
	v_and_or_b32 v40, 0x80000000, v41, v40
	s_delay_alu instid0(VALU_DEP_3) | instskip(NEXT) | instid1(VALU_DEP_1)
	v_dual_mul_f32 v48, v43, v48 :: v_dual_fmaak_f32 v47, v45, v51, 0x3d2aabf7
	v_dual_fmaak_f32 v49, v43, v49, 0xbf000004 :: v_dual_fmac_f32 v32, v32, v48
	s_delay_alu instid0(VALU_DEP_2) | instskip(NEXT) | instid1(VALU_DEP_2)
	v_fmaak_f32 v47, v45, v47, 0xbf000004
	v_fma_f32 v43, v43, v49, 1.0
	s_delay_alu instid0(VALU_DEP_2) | instskip(NEXT) | instid1(VALU_DEP_2)
	v_fma_f32 v45, v45, v47, 1.0
	v_cndmask_b32_e64 v32, -v32, v43, s5
	v_cmp_eq_u32_e64 s5, 0, v46
	s_delay_alu instid0(VALU_DEP_2) | instskip(NEXT) | instid1(VALU_DEP_2)
	v_bitop3_b32 v32, v33, v32, 0x80000000 bitop3:0x6c
	v_cndmask_b32_e64 v6, v45, v6, s5
	v_cmp_ngt_f32_e64 s5, 0xc2ce8ed0, v36
	s_delay_alu instid0(VALU_DEP_2) | instskip(NEXT) | instid1(VALU_DEP_2)
	v_xor3_b32 v6, v40, v6, v37
	v_cndmask_b32_e64 v41, 0, v42, s5
	v_cmp_class_f32_e64 s5, v37, 0x1f8
                                        ; implicit-def: $vgpr37
                                        ; implicit-def: $vgpr40
	s_delay_alu instid0(VALU_DEP_2) | instskip(NEXT) | instid1(VALU_DEP_2)
	v_cndmask_b32_e64 v33, 0x7f800000, v41, s6
	v_cndmask_b32_e64 v32, 0x7fc00000, v32, s5
	;; [unrolled: 1-line block ×3, first 2 shown]
	s_delay_alu instid0(VALU_DEP_1)
	v_dual_mul_f32 v32, v33, v32 :: v_dual_mul_f32 v33, v33, v6
.LBB138_25:                             ;   in Loop: Header=BB138_4 Depth=1
	s_and_not1_saveexec_b32 s31, s31
	s_cbranch_execz .LBB138_28
; %bb.26:                               ;   in Loop: Header=BB138_4 Depth=1
	v_cmp_ngt_f32_e64 s33, 0x48000000, |v37|
                                        ; implicit-def: $vgpr33
                                        ; implicit-def: $vgpr32
	s_and_saveexec_b32 s5, s33
	s_delay_alu instid0(SALU_CYCLE_1)
	s_xor_b32 s34, exec_lo, s5
	s_cbranch_execz .LBB138_29
; %bb.27:                               ;   in Loop: Header=BB138_4 Depth=1
	v_and_or_b32 v6, v40, s24, 0x800000
	v_dual_mov_b32 v51, v7 :: v_dual_mov_b32 v53, v7
	s_delay_alu instid0(VALU_DEP_2) | instskip(NEXT) | instid1(VALU_DEP_1)
	v_mul_u64_e32 v[32:33], s[18:19], v[6:7]
	v_dual_mov_b32 v43, v7 :: v_dual_mov_b32 v42, v33
	v_lshrrev_b32_e32 v33, 23, v40
	s_delay_alu instid0(VALU_DEP_2) | instskip(SKIP_1) | instid1(VALU_DEP_3)
	v_mad_nc_u64_u32 v[42:43], 0x3c439041, v6, v[42:43]
	v_mov_b32_e32 v45, v7
	v_add_nc_u32_e32 v33, 0xffffff88, v33
	s_delay_alu instid0(VALU_DEP_1) | instskip(NEXT) | instid1(VALU_DEP_4)
	v_cmp_lt_u32_e64 s5, 63, v33
	v_mov_b32_e32 v44, v43
	s_delay_alu instid0(VALU_DEP_2) | instskip(NEXT) | instid1(VALU_DEP_2)
	v_cndmask_b32_e64 v41, 0, 0xffffffc0, s5
	v_mad_nc_u64_u32 v[44:45], 0xdb629599, v6, v[44:45]
	s_delay_alu instid0(VALU_DEP_2) | instskip(NEXT) | instid1(VALU_DEP_1)
	v_dual_mov_b32 v47, v7 :: v_dual_add_nc_u32 v33, v41, v33
	v_cmp_lt_u32_e64 s6, 31, v33
	s_delay_alu instid0(VALU_DEP_3) | instskip(NEXT) | instid1(VALU_DEP_2)
	v_mov_b32_e32 v46, v45
	v_cndmask_b32_e64 v41, 0, 0xffffffe0, s6
	v_cndmask_b32_e64 v32, v44, v32, s5
	s_delay_alu instid0(VALU_DEP_3) | instskip(NEXT) | instid1(VALU_DEP_1)
	v_mad_nc_u64_u32 v[46:47], 0xf534ddc0, v6, v[46:47]
	v_dual_mov_b32 v49, v7 :: v_dual_mov_b32 v48, v47
	s_delay_alu instid0(VALU_DEP_1) | instskip(NEXT) | instid1(VALU_DEP_1)
	v_mad_nc_u64_u32 v[48:49], 0xfc2757d1, v6, v[48:49]
	v_dual_mov_b32 v50, v49 :: v_dual_cndmask_b32 v47, v48, v44, s5
	s_delay_alu instid0(VALU_DEP_1) | instskip(NEXT) | instid1(VALU_DEP_1)
	v_mad_nc_u64_u32 v[50:51], 0x4e441529, v6, v[50:51]
	v_mov_b32_e32 v52, v51
	s_delay_alu instid0(VALU_DEP_1) | instskip(NEXT) | instid1(VALU_DEP_3)
	v_mad_nc_u64_u32 v[52:53], 0xa2f9836e, v6, v[52:53]
	v_dual_add_nc_u32 v6, v41, v33 :: v_dual_cndmask_b32 v41, v50, v46, s5
	s_delay_alu instid0(VALU_DEP_1) | instskip(NEXT) | instid1(VALU_DEP_1)
	v_cmp_lt_u32_e64 s7, 31, v6
	v_cndmask_b32_e64 v33, 0, 0xffffffe0, s7
	s_delay_alu instid0(VALU_DEP_4) | instskip(NEXT) | instid1(VALU_DEP_2)
	v_dual_cndmask_b32 v43, v52, v48, s5 :: v_dual_cndmask_b32 v45, v53, v50, s5
	v_add_nc_u32_e32 v6, v33, v6
	s_delay_alu instid0(VALU_DEP_2) | instskip(NEXT) | instid1(VALU_DEP_3)
	v_dual_cndmask_b32 v33, v46, v42, s5 :: v_dual_cndmask_b32 v42, v43, v41, s6
	v_cndmask_b32_e64 v43, v45, v43, s6
	s_delay_alu instid0(VALU_DEP_3) | instskip(NEXT) | instid1(VALU_DEP_3)
	v_dual_cndmask_b32 v41, v41, v47, s6 :: v_dual_sub_nc_u32 v45, 32, v6
	v_cndmask_b32_e64 v46, v47, v33, s6
	v_cmp_eq_u32_e64 s5, 0, v6
	s_delay_alu instid0(VALU_DEP_3) | instskip(NEXT) | instid1(VALU_DEP_1)
	v_dual_cndmask_b32 v43, v43, v42, s7 :: v_dual_cndmask_b32 v42, v42, v41, s7
	v_alignbit_b32 v47, v43, v42, v45
	s_delay_alu instid0(VALU_DEP_1) | instskip(NEXT) | instid1(VALU_DEP_1)
	v_dual_cndmask_b32 v41, v41, v46, s7 :: v_dual_cndmask_b32 v6, v47, v43, s5
	v_alignbit_b32 v44, v42, v41, v45
	s_delay_alu instid0(VALU_DEP_1) | instskip(NEXT) | instid1(VALU_DEP_3)
	v_dual_cndmask_b32 v32, v33, v32, s6 :: v_dual_cndmask_b32 v33, v44, v42, s5
	v_bfe_u32 v42, v6, 29, 1
	s_delay_alu instid0(VALU_DEP_2) | instskip(NEXT) | instid1(VALU_DEP_3)
	v_cndmask_b32_e64 v32, v46, v32, s7
	v_alignbit_b32 v43, v6, v33, 30
	s_delay_alu instid0(VALU_DEP_3) | instskip(NEXT) | instid1(VALU_DEP_3)
	v_sub_nc_u32_e32 v44, 0, v42
	v_alignbit_b32 v45, v41, v32, v45
	s_delay_alu instid0(VALU_DEP_1) | instskip(NEXT) | instid1(VALU_DEP_1)
	v_dual_cndmask_b32 v41, v45, v41, s5 :: v_dual_bitop2_b32 v43, v43, v44 bitop3:0x14
	v_clz_i32_u32_e32 v45, v43
	s_delay_alu instid0(VALU_DEP_2) | instskip(SKIP_1) | instid1(VALU_DEP_3)
	v_alignbit_b32 v33, v33, v41, 30
	v_alignbit_b32 v32, v41, v32, 30
	v_min_u32_e32 v45, 32, v45
	s_delay_alu instid0(VALU_DEP_3) | instskip(NEXT) | instid1(VALU_DEP_3)
	v_xor_b32_e32 v33, v33, v44
	v_dual_lshrrev_b32 v44, 29, v6 :: v_dual_bitop2_b32 v32, v32, v44 bitop3:0x14
	s_delay_alu instid0(VALU_DEP_3) | instskip(SKIP_1) | instid1(VALU_DEP_2)
	v_dual_lshrrev_b32 v6, 30, v6 :: v_dual_sub_nc_u32 v41, 31, v45
	v_lshlrev_b32_e32 v46, 23, v45
	v_alignbit_b32 v43, v43, v33, v41
	s_delay_alu instid0(VALU_DEP_4) | instskip(SKIP_1) | instid1(VALU_DEP_2)
	v_alignbit_b32 v32, v33, v32, v41
	v_lshlrev_b32_e32 v33, 31, v44
	v_alignbit_b32 v41, v43, v32, 9
	s_delay_alu instid0(VALU_DEP_2) | instskip(SKIP_1) | instid1(VALU_DEP_3)
	v_dual_lshrrev_b32 v43, 9, v43 :: v_dual_bitop2_b32 v44, 0.5, v33 bitop3:0x54
	v_or_b32_e32 v33, 0x33000000, v33
	v_clz_i32_u32_e32 v47, v41
	s_delay_alu instid0(VALU_DEP_3) | instskip(NEXT) | instid1(VALU_DEP_2)
	v_sub_nc_u32_e32 v44, v44, v46
	v_min_u32_e32 v46, 32, v47
	s_delay_alu instid0(VALU_DEP_1) | instskip(NEXT) | instid1(VALU_DEP_3)
	v_add_lshl_u32 v45, v46, v45, 23
	v_or_b32_e32 v43, v43, v44
	v_not_b32_e32 v44, v46
	s_delay_alu instid0(VALU_DEP_3) | instskip(NEXT) | instid1(VALU_DEP_3)
	v_sub_nc_u32_e32 v33, v33, v45
	v_mul_f32_e32 v47, 0x3fc90fda, v43
	s_delay_alu instid0(VALU_DEP_3) | instskip(NEXT) | instid1(VALU_DEP_2)
	v_alignbit_b32 v32, v41, v32, v44
	v_fma_f32 v41, 0x3fc90fda, v43, -v47
	s_delay_alu instid0(VALU_DEP_1) | instskip(NEXT) | instid1(VALU_DEP_1)
	v_dual_fmac_f32 v41, 0x33a22168, v43 :: v_dual_lshrrev_b32 v32, 9, v32
	v_dual_add_nc_u32 v33, v42, v6 :: v_dual_bitop2_b32 v32, v33, v32 bitop3:0x54
	s_delay_alu instid0(VALU_DEP_1) | instskip(NEXT) | instid1(VALU_DEP_1)
	v_fmac_f32_e32 v41, 0x3fc90fda, v32
	v_add_f32_e32 v32, v47, v41
	s_and_not1_saveexec_b32 s5, s34
	s_branch .LBB138_30
.LBB138_28:                             ;   in Loop: Header=BB138_4 Depth=1
	s_or_b32 exec_lo, exec_lo, s31
                                        ; implicit-def: $vgpr36
                                        ; implicit-def: $vgpr6
	s_and_not1_saveexec_b32 s6, s30
	s_cbranch_execnz .LBB138_37
	s_branch .LBB138_42
.LBB138_29:                             ;   in Loop: Header=BB138_4 Depth=1
	s_and_not1_saveexec_b32 s5, s34
.LBB138_30:                             ;   in Loop: Header=BB138_4 Depth=1
	v_mul_f32_e64 v6, 0x3f22f983, |v37|
	s_delay_alu instid0(VALU_DEP_1) | instskip(NEXT) | instid1(VALU_DEP_1)
	v_rndne_f32_e32 v6, v6
	v_fma_f32 v32, 0xbfc90fda, v6, |v37|
	v_cvt_i32_f32_e32 v33, v6
	s_delay_alu instid0(VALU_DEP_2) | instskip(NEXT) | instid1(VALU_DEP_1)
	v_fmac_f32_e32 v32, 0xb3a22168, v6
	v_fmac_f32_e32 v32, 0xa7c234c4, v6
; %bb.31:                               ;   in Loop: Header=BB138_4 Depth=1
	s_or_b32 exec_lo, exec_lo, s5
                                        ; implicit-def: $vgpr41
                                        ; implicit-def: $vgpr6
	s_and_saveexec_b32 s5, s33
	s_delay_alu instid0(SALU_CYCLE_1)
	s_xor_b32 s33, exec_lo, s5
	s_cbranch_execz .LBB138_33
; %bb.32:                               ;   in Loop: Header=BB138_4 Depth=1
	v_and_or_b32 v6, v40, s24, 0x800000
	v_dual_lshrrev_b32 v41, 23, v40 :: v_dual_mov_b32 v53, v7
	s_delay_alu instid0(VALU_DEP_2) | instskip(SKIP_1) | instid1(VALU_DEP_3)
	v_mul_u64_e32 v[42:43], s[18:19], v[6:7]
	v_mov_b32_e32 v45, v7
	v_add_nc_u32_e32 v41, 0xffffff88, v41
	s_delay_alu instid0(VALU_DEP_1) | instskip(NEXT) | instid1(VALU_DEP_4)
	v_cmp_lt_u32_e64 s5, 63, v41
	v_mov_b32_e32 v44, v43
	s_delay_alu instid0(VALU_DEP_2) | instskip(NEXT) | instid1(VALU_DEP_2)
	v_cndmask_b32_e64 v43, 0, 0xffffffc0, s5
	v_mad_nc_u64_u32 v[44:45], 0x3c439041, v6, v[44:45]
	s_delay_alu instid0(VALU_DEP_1) | instskip(NEXT) | instid1(VALU_DEP_1)
	v_dual_mov_b32 v47, v7 :: v_dual_mov_b32 v46, v45
	v_mad_nc_u64_u32 v[46:47], 0xdb629599, v6, v[46:47]
	s_delay_alu instid0(VALU_DEP_1) | instskip(NEXT) | instid1(VALU_DEP_2)
	v_dual_mov_b32 v49, v7 :: v_dual_mov_b32 v48, v47
	v_cndmask_b32_e64 v42, v46, v42, s5
	s_delay_alu instid0(VALU_DEP_2) | instskip(NEXT) | instid1(VALU_DEP_1)
	v_mad_nc_u64_u32 v[48:49], 0xf534ddc0, v6, v[48:49]
	v_dual_mov_b32 v51, v7 :: v_dual_mov_b32 v50, v49
	s_delay_alu instid0(VALU_DEP_1) | instskip(NEXT) | instid1(VALU_DEP_1)
	v_mad_nc_u64_u32 v[50:51], 0xfc2757d1, v6, v[50:51]
	v_dual_mov_b32 v52, v51 :: v_dual_cndmask_b32 v49, v50, v46, s5
	s_delay_alu instid0(VALU_DEP_1) | instskip(SKIP_1) | instid1(VALU_DEP_2)
	v_mad_nc_u64_u32 v[52:53], 0x4e441529, v6, v[52:53]
	v_add_nc_u32_e32 v41, v43, v41
	v_dual_mov_b32 v55, v7 :: v_dual_mov_b32 v54, v53
	s_delay_alu instid0(VALU_DEP_2) | instskip(NEXT) | instid1(VALU_DEP_2)
	v_cmp_lt_u32_e64 s6, 31, v41
	v_mad_nc_u64_u32 v[54:55], 0xa2f9836e, v6, v[54:55]
	s_delay_alu instid0(VALU_DEP_2) | instskip(NEXT) | instid1(VALU_DEP_1)
	v_cndmask_b32_e64 v43, 0, 0xffffffe0, s6
	v_dual_add_nc_u32 v6, v43, v41 :: v_dual_cndmask_b32 v43, v52, v48, s5
	s_delay_alu instid0(VALU_DEP_3) | instskip(NEXT) | instid1(VALU_DEP_2)
	v_cndmask_b32_e64 v45, v54, v50, s5
	v_cmp_lt_u32_e64 s7, 31, v6
	v_cndmask_b32_e64 v47, v55, v52, s5
	s_delay_alu instid0(VALU_DEP_2) | instskip(NEXT) | instid1(VALU_DEP_1)
	v_cndmask_b32_e64 v41, 0, 0xffffffe0, s7
	v_dual_add_nc_u32 v6, v41, v6 :: v_dual_cndmask_b32 v41, v48, v44, s5
	s_delay_alu instid0(VALU_DEP_3) | instskip(NEXT) | instid1(VALU_DEP_2)
	v_dual_cndmask_b32 v44, v45, v43, s6 :: v_dual_cndmask_b32 v45, v47, v45, s6
	v_dual_cndmask_b32 v43, v43, v49, s6 :: v_dual_sub_nc_u32 v47, 32, v6
	s_delay_alu instid0(VALU_DEP_3) | instskip(SKIP_1) | instid1(VALU_DEP_3)
	v_cndmask_b32_e64 v48, v49, v41, s6
	v_cmp_eq_u32_e64 s5, 0, v6
	v_dual_cndmask_b32 v45, v45, v44, s7 :: v_dual_cndmask_b32 v44, v44, v43, s7
	s_delay_alu instid0(VALU_DEP_1) | instskip(NEXT) | instid1(VALU_DEP_1)
	v_alignbit_b32 v49, v45, v44, v47
	v_dual_cndmask_b32 v43, v43, v48, s7 :: v_dual_cndmask_b32 v6, v49, v45, s5
	s_delay_alu instid0(VALU_DEP_1) | instskip(NEXT) | instid1(VALU_DEP_1)
	v_alignbit_b32 v46, v44, v43, v47
	v_dual_cndmask_b32 v41, v41, v42, s6 :: v_dual_cndmask_b32 v42, v46, v44, s5
	s_delay_alu instid0(VALU_DEP_3) | instskip(NEXT) | instid1(VALU_DEP_2)
	v_bfe_u32 v44, v6, 29, 1
	v_cndmask_b32_e64 v41, v48, v41, s7
	s_delay_alu instid0(VALU_DEP_3) | instskip(NEXT) | instid1(VALU_DEP_3)
	v_alignbit_b32 v45, v6, v42, 30
	v_sub_nc_u32_e32 v46, 0, v44
	s_delay_alu instid0(VALU_DEP_3) | instskip(NEXT) | instid1(VALU_DEP_1)
	v_alignbit_b32 v47, v43, v41, v47
	v_dual_cndmask_b32 v43, v47, v43, s5 :: v_dual_bitop2_b32 v45, v45, v46 bitop3:0x14
	s_delay_alu instid0(VALU_DEP_1) | instskip(NEXT) | instid1(VALU_DEP_2)
	v_clz_i32_u32_e32 v47, v45
	v_alignbit_b32 v42, v42, v43, 30
	v_alignbit_b32 v41, v43, v41, 30
	s_delay_alu instid0(VALU_DEP_3) | instskip(NEXT) | instid1(VALU_DEP_3)
	v_min_u32_e32 v47, 32, v47
	v_xor_b32_e32 v42, v42, v46
	s_delay_alu instid0(VALU_DEP_3) | instskip(NEXT) | instid1(VALU_DEP_3)
	v_xor_b32_e32 v41, v41, v46
	v_dual_lshrrev_b32 v46, 29, v6 :: v_dual_lshlrev_b32 v48, 23, v47
	v_sub_nc_u32_e32 v43, 31, v47
	s_delay_alu instid0(VALU_DEP_1) | instskip(NEXT) | instid1(VALU_DEP_4)
	v_alignbit_b32 v45, v45, v42, v43
	v_alignbit_b32 v41, v42, v41, v43
	s_delay_alu instid0(VALU_DEP_4) | instskip(NEXT) | instid1(VALU_DEP_2)
	v_lshlrev_b32_e32 v42, 31, v46
	v_alignbit_b32 v43, v45, v41, 9
	s_delay_alu instid0(VALU_DEP_2) | instskip(SKIP_1) | instid1(VALU_DEP_3)
	v_dual_lshrrev_b32 v45, 9, v45 :: v_dual_bitop2_b32 v46, 0.5, v42 bitop3:0x54
	v_or_b32_e32 v42, 0x33000000, v42
	v_clz_i32_u32_e32 v49, v43
	s_delay_alu instid0(VALU_DEP_3) | instskip(NEXT) | instid1(VALU_DEP_2)
	v_sub_nc_u32_e32 v46, v46, v48
	v_min_u32_e32 v48, 32, v49
	s_delay_alu instid0(VALU_DEP_1) | instskip(NEXT) | instid1(VALU_DEP_3)
	v_add_lshl_u32 v47, v48, v47, 23
	v_or_b32_e32 v45, v45, v46
	v_not_b32_e32 v46, v48
	s_delay_alu instid0(VALU_DEP_2) | instskip(NEXT) | instid1(VALU_DEP_2)
	v_dual_mul_f32 v49, 0x3fc90fda, v45 :: v_dual_sub_nc_u32 v42, v42, v47
	v_alignbit_b32 v41, v43, v41, v46
	s_delay_alu instid0(VALU_DEP_2) | instskip(NEXT) | instid1(VALU_DEP_2)
	v_fma_f32 v43, 0x3fc90fda, v45, -v49
	v_lshrrev_b32_e32 v41, 9, v41
	s_delay_alu instid0(VALU_DEP_2) | instskip(NEXT) | instid1(VALU_DEP_2)
	v_fmac_f32_e32 v43, 0x33a22168, v45
	v_or_b32_e32 v41, v42, v41
	s_delay_alu instid0(VALU_DEP_1) | instskip(NEXT) | instid1(VALU_DEP_1)
	v_fmac_f32_e32 v43, 0x3fc90fda, v41
	v_dual_add_f32 v6, v49, v43 :: v_dual_lshrrev_b32 v41, 30, v6
	s_delay_alu instid0(VALU_DEP_1)
	v_add_nc_u32_e32 v41, v44, v41
	s_and_not1_saveexec_b32 s5, s33
	s_cbranch_execnz .LBB138_34
	s_branch .LBB138_35
.LBB138_33:                             ;   in Loop: Header=BB138_4 Depth=1
	s_and_not1_saveexec_b32 s5, s33
.LBB138_34:                             ;   in Loop: Header=BB138_4 Depth=1
	v_mul_f32_e64 v6, 0x3f22f983, |v37|
	s_delay_alu instid0(VALU_DEP_1) | instskip(NEXT) | instid1(VALU_DEP_1)
	v_rndne_f32_e32 v41, v6
	v_fma_f32 v6, 0xbfc90fda, v41, |v37|
	s_delay_alu instid0(VALU_DEP_1) | instskip(NEXT) | instid1(VALU_DEP_1)
	v_fmac_f32_e32 v6, 0xb3a22168, v41
	v_fmac_f32_e32 v6, 0xa7c234c4, v41
	v_cvt_i32_f32_e32 v41, v41
.LBB138_35:                             ;   in Loop: Header=BB138_4 Depth=1
	s_or_b32 exec_lo, exec_lo, s5
	v_add_f32_e32 v36, 0xc322e3bc, v36
	s_delay_alu instid0(VALU_DEP_2) | instskip(SKIP_1) | instid1(VALU_DEP_3)
	v_dual_lshlrev_b32 v41, 30, v41 :: v_dual_bitop2_b32 v46, 1, v41 bitop3:0x40
	v_mul_f32_e32 v45, v32, v32
	v_mul_f32_e32 v42, 0x3fb8aa3b, v36
	s_delay_alu instid0(VALU_DEP_3) | instskip(NEXT) | instid1(VALU_DEP_2)
	v_and_or_b32 v40, 0x80000000, v41, v40
	v_fma_f32 v43, 0x3fb8aa3b, v36, -v42
	v_rndne_f32_e32 v44, v42
	s_delay_alu instid0(VALU_DEP_2) | instskip(NEXT) | instid1(VALU_DEP_2)
	v_fmac_f32_e32 v43, 0x32a5705f, v36
	v_sub_f32_e32 v42, v42, v44
	s_delay_alu instid0(VALU_DEP_1) | instskip(SKIP_2) | instid1(VALU_DEP_3)
	v_add_f32_e32 v42, v42, v43
	v_cvt_i32_f32_e32 v43, v44
	v_dual_lshlrev_b32 v44, 30, v33 :: v_dual_bitop2_b32 v33, 1, v33 bitop3:0x40
	v_exp_f32_e32 v42, v42
	v_nop
	s_delay_alu instid0(TRANS32_DEP_1) | instskip(SKIP_4) | instid1(VALU_DEP_4)
	v_ldexp_f32 v42, v42, v43
	v_mul_f32_e32 v43, v6, v6
	v_cmp_ngt_f32_e64 s5, 0xc2ce8ed0, v36
	v_fmaak_f32 v48, s25, v45, 0x3c0881c4
	v_fmaak_f32 v47, s26, v45, 0xbab64f3b
	;; [unrolled: 1-line block ×3, first 2 shown]
	s_delay_alu instid0(VALU_DEP_4) | instskip(SKIP_1) | instid1(VALU_DEP_3)
	v_cndmask_b32_e64 v42, 0, v42, s5
	v_cmp_nlt_f32_e64 s5, 0x42b17218, v36
	v_fmaak_f32 v49, v43, v49, 0xbe2aaa9d
	s_delay_alu instid0(VALU_DEP_2) | instskip(SKIP_2) | instid1(VALU_DEP_4)
	v_cndmask_b32_e64 v36, 0x7f800000, v42, s5
	v_fmaak_f32 v42, s26, v43, 0xbab64f3b
	v_fmaak_f32 v41, v45, v47, 0x3d2aabf7
	v_mul_f32_e32 v49, v43, v49
	v_fmaak_f32 v47, v45, v48, 0xbe2aaa9d
	v_lshrrev_b32_e32 v48, 23, v36
	v_cmp_eq_u32_e64 s5, 0, v33
	v_and_or_b32 v36, 0x7fffff, v36, s27
	v_fmac_f32_e32 v6, v6, v49
	v_dual_fmaak_f32 v42, v43, v42, 0x3d2aabf7 :: v_dual_mul_f32 v47, v45, v47
	v_fmaak_f32 v41, v45, v41, 0xbf000004
	v_subrev_nc_u32_e32 v48, 19, v48
	s_delay_alu instid0(VALU_DEP_3) | instskip(NEXT) | instid1(VALU_DEP_4)
	v_fmaak_f32 v42, v43, v42, 0xbf000004
	v_fmac_f32_e32 v32, v32, v47
	s_delay_alu instid0(VALU_DEP_4) | instskip(NEXT) | instid1(VALU_DEP_4)
	v_fma_f32 v41, v45, v41, 1.0
	v_lshrrev_b16 v45, 15, v48
	s_delay_alu instid0(VALU_DEP_4) | instskip(NEXT) | instid1(VALU_DEP_3)
	v_fma_f32 v42, v43, v42, 1.0
	v_cndmask_b32_e64 v32, -v32, v41, s5
	v_cmp_eq_u32_e64 s5, 0, v46
	s_delay_alu instid0(VALU_DEP_4) | instskip(NEXT) | instid1(VALU_DEP_2)
	v_add_nc_u16 v33, v48, v45
	v_cndmask_b32_e64 v6, v42, v6, s5
	v_cmp_class_f32_e64 s5, v37, 0x1f8
	s_delay_alu instid0(VALU_DEP_3) | instskip(NEXT) | instid1(VALU_DEP_3)
	v_ashrrev_i16 v33, 1, v33
	v_xor3_b32 v6, v40, v6, v37
	s_delay_alu instid0(VALU_DEP_2) | instskip(NEXT) | instid1(VALU_DEP_2)
	v_bfe_i32 v33, v33, 0, 16
	v_cndmask_b32_e64 v6, 0x7fc00000, v6, s5
	s_delay_alu instid0(VALU_DEP_2) | instskip(NEXT) | instid1(VALU_DEP_2)
	v_lshl_add_u32 v37, v33, 23, 1.0
	v_dual_mul_f32 v6, v6, v36 :: v_dual_sub_nc_u32 v33, v48, v33
	v_bitop3_b32 v32, v44, v32, 0x80000000 bitop3:0x6c
	s_delay_alu instid0(VALU_DEP_2) | instskip(NEXT) | instid1(VALU_DEP_3)
	v_lshl_add_u32 v33, v33, 23, 1.0
	v_mul_f32_e32 v6, v6, v37
	s_delay_alu instid0(VALU_DEP_3) | instskip(NEXT) | instid1(VALU_DEP_1)
	v_cndmask_b32_e64 v32, 0x7fc00000, v32, s5
	v_mul_f32_e32 v32, v32, v36
	s_delay_alu instid0(VALU_DEP_1) | instskip(NEXT) | instid1(VALU_DEP_1)
	v_mul_f32_e32 v32, v32, v37
	v_dual_mul_f32 v32, v32, v33 :: v_dual_mul_f32 v33, v6, v33
	s_or_b32 exec_lo, exec_lo, s31
                                        ; implicit-def: $vgpr36
                                        ; implicit-def: $vgpr6
.LBB138_36:                             ;   in Loop: Header=BB138_4 Depth=1
	s_and_not1_saveexec_b32 s6, s30
	s_cbranch_execz .LBB138_42
.LBB138_37:                             ;   in Loop: Header=BB138_4 Depth=1
	v_cmp_ne_u32_e64 s5, 0x7f800000, v6
	v_sub_f32_e32 v33, v37, v37
	s_and_saveexec_b32 s7, s5
	s_delay_alu instid0(SALU_CYCLE_1)
	s_xor_b32 s5, exec_lo, s7
; %bb.38:                               ;   in Loop: Header=BB138_4 Depth=1
                                        ; implicit-def: $vgpr36
; %bb.39:                               ;   in Loop: Header=BB138_4 Depth=1
	s_delay_alu instid0(SALU_CYCLE_1) | instskip(NEXT) | instid1(VALU_DEP_1)
	s_or_saveexec_b32 s7, s5
	v_mov_b32_e32 v32, v33
	s_xor_b32 exec_lo, exec_lo, s7
; %bb.40:                               ;   in Loop: Header=BB138_4 Depth=1
	v_cmp_lt_i32_e64 s5, -1, v36
	s_delay_alu instid0(VALU_DEP_1)
	v_dual_cndmask_b32 v32, 0, v36, s5 :: v_dual_cndmask_b32 v33, 0, v33, s5
; %bb.41:                               ;   in Loop: Header=BB138_4 Depth=1
	s_or_b32 exec_lo, exec_lo, s7
.LBB138_42:                             ;   in Loop: Header=BB138_4 Depth=1
	s_delay_alu instid0(SALU_CYCLE_1)
	s_or_b32 exec_lo, exec_lo, s6
                                        ; implicit-def: $vgpr37
                                        ; implicit-def: $vgpr40
.LBB138_43:                             ;   in Loop: Header=BB138_4 Depth=1
	s_and_not1_saveexec_b32 s29, s29
	s_cbranch_execz .LBB138_53
; %bb.44:                               ;   in Loop: Header=BB138_4 Depth=1
	v_lshrrev_b32_e32 v32, 23, v40
	v_cmp_ngt_f32_e64 s30, 0x48000000, |v37|
	v_and_or_b32 v6, v40, s24, 0x800000
                                        ; implicit-def: $vgpr33
	s_delay_alu instid0(VALU_DEP_3) | instskip(SKIP_1) | instid1(SALU_CYCLE_1)
	v_add_nc_u32_e32 v36, 0xffffff88, v32
                                        ; implicit-def: $vgpr32
	s_and_saveexec_b32 s5, s30
	s_xor_b32 s31, exec_lo, s5
	s_cbranch_execz .LBB138_46
; %bb.45:                               ;   in Loop: Header=BB138_4 Depth=1
	v_mul_u64_e32 v[32:33], s[18:19], v[6:7]
	v_mov_b32_e32 v43, v7
	v_cmp_lt_u32_e64 s5, 63, v36
	s_delay_alu instid0(VALU_DEP_3) | instskip(NEXT) | instid1(VALU_DEP_2)
	v_dual_mov_b32 v53, v7 :: v_dual_mov_b32 v42, v33
	v_cndmask_b32_e64 v33, 0, 0xffffffc0, s5
	s_delay_alu instid0(VALU_DEP_2) | instskip(NEXT) | instid1(VALU_DEP_2)
	v_mad_nc_u64_u32 v[42:43], 0x3c439041, v6, v[42:43]
	v_dual_mov_b32 v45, v7 :: v_dual_add_nc_u32 v33, v33, v36
	s_delay_alu instid0(VALU_DEP_1) | instskip(NEXT) | instid1(VALU_DEP_3)
	v_cmp_lt_u32_e64 s6, 31, v33
	v_mov_b32_e32 v44, v43
	s_delay_alu instid0(VALU_DEP_2) | instskip(NEXT) | instid1(VALU_DEP_2)
	v_cndmask_b32_e64 v41, 0, 0xffffffe0, s6
	v_mad_nc_u64_u32 v[44:45], 0xdb629599, v6, v[44:45]
	s_delay_alu instid0(VALU_DEP_2) | instskip(NEXT) | instid1(VALU_DEP_1)
	v_dual_mov_b32 v47, v7 :: v_dual_add_nc_u32 v33, v41, v33
	v_cmp_lt_u32_e64 s7, 31, v33
	s_delay_alu instid0(VALU_DEP_3) | instskip(NEXT) | instid1(VALU_DEP_2)
	v_mov_b32_e32 v46, v45
	v_cndmask_b32_e64 v41, 0, 0xffffffe0, s7
	v_cndmask_b32_e64 v32, v44, v32, s5
	s_delay_alu instid0(VALU_DEP_3) | instskip(NEXT) | instid1(VALU_DEP_3)
	v_mad_nc_u64_u32 v[46:47], 0xf534ddc0, v6, v[46:47]
	v_dual_mov_b32 v49, v7 :: v_dual_add_nc_u32 v33, v41, v33
	s_delay_alu instid0(VALU_DEP_2) | instskip(NEXT) | instid1(VALU_DEP_1)
	v_dual_cndmask_b32 v41, v46, v42, s5 :: v_dual_mov_b32 v48, v47
	v_mad_nc_u64_u32 v[48:49], 0xfc2757d1, v6, v[48:49]
	s_delay_alu instid0(VALU_DEP_1) | instskip(NEXT) | instid1(VALU_DEP_1)
	v_dual_mov_b32 v51, v7 :: v_dual_mov_b32 v50, v49
	v_mad_nc_u64_u32 v[50:51], 0x4e441529, v6, v[50:51]
	s_delay_alu instid0(VALU_DEP_1) | instskip(NEXT) | instid1(VALU_DEP_1)
	v_mov_b32_e32 v52, v51
	v_mad_nc_u64_u32 v[52:53], 0xa2f9836e, v6, v[52:53]
	s_delay_alu instid0(VALU_DEP_3) | instskip(NEXT) | instid1(VALU_DEP_2)
	v_dual_cndmask_b32 v43, v50, v46, s5 :: v_dual_sub_nc_u32 v46, 32, v33
	v_dual_cndmask_b32 v45, v52, v48, s5 :: v_dual_cndmask_b32 v47, v53, v50, s5
	v_cndmask_b32_e64 v48, v48, v44, s5
	v_cmp_eq_u32_e64 s5, 0, v33
	s_delay_alu instid0(VALU_DEP_3) | instskip(NEXT) | instid1(VALU_DEP_3)
	v_dual_cndmask_b32 v42, v45, v43, s6 :: v_dual_cndmask_b32 v45, v47, v45, s6
	v_dual_cndmask_b32 v43, v43, v48, s6 :: v_dual_cndmask_b32 v47, v48, v41, s6
	s_delay_alu instid0(VALU_DEP_1) | instskip(NEXT) | instid1(VALU_DEP_1)
	v_dual_cndmask_b32 v45, v45, v42, s7 :: v_dual_cndmask_b32 v42, v42, v43, s7
	v_alignbit_b32 v48, v45, v42, v46
	s_delay_alu instid0(VALU_DEP_1) | instskip(NEXT) | instid1(VALU_DEP_1)
	v_dual_cndmask_b32 v43, v43, v47, s7 :: v_dual_cndmask_b32 v33, v48, v45, s5
	v_alignbit_b32 v44, v42, v43, v46
	s_delay_alu instid0(VALU_DEP_1) | instskip(NEXT) | instid1(VALU_DEP_3)
	v_dual_cndmask_b32 v32, v41, v32, s6 :: v_dual_cndmask_b32 v41, v44, v42, s5
	v_bfe_u32 v42, v33, 29, 1
	s_delay_alu instid0(VALU_DEP_2) | instskip(NEXT) | instid1(VALU_DEP_3)
	v_cndmask_b32_e64 v32, v47, v32, s7
	v_alignbit_b32 v44, v33, v41, 30
	s_delay_alu instid0(VALU_DEP_3) | instskip(NEXT) | instid1(VALU_DEP_3)
	v_sub_nc_u32_e32 v45, 0, v42
	v_alignbit_b32 v46, v43, v32, v46
	s_delay_alu instid0(VALU_DEP_1) | instskip(NEXT) | instid1(VALU_DEP_1)
	v_dual_cndmask_b32 v43, v46, v43, s5 :: v_dual_bitop2_b32 v44, v44, v45 bitop3:0x14
	v_clz_i32_u32_e32 v46, v44
	s_delay_alu instid0(VALU_DEP_2) | instskip(SKIP_1) | instid1(VALU_DEP_3)
	v_alignbit_b32 v41, v41, v43, 30
	v_alignbit_b32 v32, v43, v32, 30
	v_min_u32_e32 v46, 32, v46
	s_delay_alu instid0(VALU_DEP_3) | instskip(NEXT) | instid1(VALU_DEP_3)
	v_xor_b32_e32 v41, v41, v45
	v_xor_b32_e32 v32, v32, v45
	v_dual_lshrrev_b32 v45, 29, v33 :: v_dual_lshrrev_b32 v33, 30, v33
	s_delay_alu instid0(VALU_DEP_4) | instskip(NEXT) | instid1(VALU_DEP_2)
	v_dual_sub_nc_u32 v43, 31, v46 :: v_dual_lshlrev_b32 v47, 23, v46
	v_add_nc_u32_e32 v33, v42, v33
	s_delay_alu instid0(VALU_DEP_2) | instskip(SKIP_2) | instid1(VALU_DEP_2)
	v_alignbit_b32 v44, v44, v41, v43
	v_alignbit_b32 v32, v41, v32, v43
	v_lshlrev_b32_e32 v41, 31, v45
	v_alignbit_b32 v43, v44, v32, 9
	s_delay_alu instid0(VALU_DEP_2) | instskip(SKIP_1) | instid1(VALU_DEP_3)
	v_dual_lshrrev_b32 v44, 9, v44 :: v_dual_bitop2_b32 v45, 0.5, v41 bitop3:0x54
	v_or_b32_e32 v41, 0x33000000, v41
	v_clz_i32_u32_e32 v48, v43
	s_delay_alu instid0(VALU_DEP_3) | instskip(NEXT) | instid1(VALU_DEP_2)
	v_sub_nc_u32_e32 v45, v45, v47
	v_min_u32_e32 v47, 32, v48
	s_delay_alu instid0(VALU_DEP_1) | instskip(NEXT) | instid1(VALU_DEP_3)
	v_add_lshl_u32 v46, v47, v46, 23
	v_or_b32_e32 v44, v44, v45
	v_not_b32_e32 v45, v47
	s_delay_alu instid0(VALU_DEP_2) | instskip(NEXT) | instid1(VALU_DEP_2)
	v_dual_mul_f32 v48, 0x3fc90fda, v44 :: v_dual_sub_nc_u32 v41, v41, v46
	v_alignbit_b32 v32, v43, v32, v45
	s_delay_alu instid0(VALU_DEP_2) | instskip(NEXT) | instid1(VALU_DEP_2)
	v_fma_f32 v43, 0x3fc90fda, v44, -v48
	v_lshrrev_b32_e32 v32, 9, v32
	s_delay_alu instid0(VALU_DEP_2) | instskip(NEXT) | instid1(VALU_DEP_2)
	v_fmac_f32_e32 v43, 0x33a22168, v44
	v_or_b32_e32 v32, v41, v32
	s_delay_alu instid0(VALU_DEP_1) | instskip(NEXT) | instid1(VALU_DEP_1)
	v_fmac_f32_e32 v43, 0x3fc90fda, v32
	v_add_f32_e32 v32, v48, v43
.LBB138_46:                             ;   in Loop: Header=BB138_4 Depth=1
	s_or_saveexec_b32 s5, s31
	v_mul_f32_e64 v41, 0x3f22f983, |v37|
	s_delay_alu instid0(VALU_DEP_1)
	v_rndne_f32_e32 v43, v41
	s_xor_b32 exec_lo, exec_lo, s5
; %bb.47:                               ;   in Loop: Header=BB138_4 Depth=1
	s_delay_alu instid0(VALU_DEP_1) | instskip(SKIP_1) | instid1(VALU_DEP_2)
	v_fma_f32 v32, 0xbfc90fda, v43, |v37|
	v_cvt_i32_f32_e32 v33, v43
	v_fmac_f32_e32 v32, 0xb3a22168, v43
	s_delay_alu instid0(VALU_DEP_1)
	v_fmac_f32_e32 v32, 0xa7c234c4, v43
; %bb.48:                               ;   in Loop: Header=BB138_4 Depth=1
	s_or_b32 exec_lo, exec_lo, s5
                                        ; implicit-def: $vgpr42
                                        ; implicit-def: $vgpr41
	s_and_saveexec_b32 s5, s30
	s_delay_alu instid0(SALU_CYCLE_1)
	s_xor_b32 s30, exec_lo, s5
	s_cbranch_execz .LBB138_50
; %bb.49:                               ;   in Loop: Header=BB138_4 Depth=1
	v_mul_u64_e32 v[42:43], s[18:19], v[6:7]
	v_mov_b32_e32 v45, v7
	v_cmp_lt_u32_e64 s5, 63, v36
	v_mov_b32_e32 v55, v7
	s_delay_alu instid0(VALU_DEP_2) | instskip(NEXT) | instid1(VALU_DEP_1)
	v_cndmask_b32_e64 v41, 0, 0xffffffc0, s5
	v_add_nc_u32_e32 v36, v41, v36
	s_delay_alu instid0(VALU_DEP_1) | instskip(NEXT) | instid1(VALU_DEP_1)
	v_cmp_lt_u32_e64 s6, 31, v36
	v_cndmask_b32_e64 v41, 0, 0xffffffe0, s6
	v_mov_b32_e32 v44, v43
	s_delay_alu instid0(VALU_DEP_1) | instskip(NEXT) | instid1(VALU_DEP_1)
	v_mad_nc_u64_u32 v[44:45], 0x3c439041, v6, v[44:45]
	v_dual_mov_b32 v47, v7 :: v_dual_mov_b32 v46, v45
	s_delay_alu instid0(VALU_DEP_1) | instskip(NEXT) | instid1(VALU_DEP_1)
	v_mad_nc_u64_u32 v[46:47], 0xdb629599, v6, v[46:47]
	v_dual_mov_b32 v49, v7 :: v_dual_mov_b32 v48, v47
	;; [unrolled: 3-line block ×4, first 2 shown]
	s_delay_alu instid0(VALU_DEP_2) | instskip(NEXT) | instid1(VALU_DEP_2)
	v_cndmask_b32_e64 v47, v50, v46, s5
	v_mad_nc_u64_u32 v[52:53], 0x4e441529, v6, v[52:53]
	s_delay_alu instid0(VALU_DEP_1) | instskip(NEXT) | instid1(VALU_DEP_1)
	v_mov_b32_e32 v54, v53
	v_mad_nc_u64_u32 v[54:55], 0xa2f9836e, v6, v[54:55]
	v_add_nc_u32_e32 v6, v41, v36
	s_delay_alu instid0(VALU_DEP_2) | instskip(NEXT) | instid1(VALU_DEP_2)
	v_dual_cndmask_b32 v41, v52, v48, s5 :: v_dual_cndmask_b32 v43, v54, v50, s5
	v_cmp_lt_u32_e64 s7, 31, v6
	s_delay_alu instid0(VALU_DEP_4) | instskip(NEXT) | instid1(VALU_DEP_2)
	v_cndmask_b32_e64 v45, v55, v52, s5
	v_cndmask_b32_e64 v36, 0, 0xffffffe0, s7
	s_delay_alu instid0(VALU_DEP_1) | instskip(SKIP_1) | instid1(VALU_DEP_4)
	v_add_nc_u32_e32 v6, v36, v6
	v_dual_cndmask_b32 v36, v48, v44, s5 :: v_dual_cndmask_b32 v44, v43, v41, s6
	v_cndmask_b32_e64 v43, v45, v43, s6
	s_delay_alu instid0(VALU_DEP_3) | instskip(NEXT) | instid1(VALU_DEP_3)
	v_dual_cndmask_b32 v41, v41, v47, s6 :: v_dual_sub_nc_u32 v45, 32, v6
	v_cndmask_b32_e64 v47, v47, v36, s6
	s_delay_alu instid0(VALU_DEP_2) | instskip(NEXT) | instid1(VALU_DEP_2)
	v_dual_cndmask_b32 v43, v43, v44, s7 :: v_dual_cndmask_b32 v44, v44, v41, s7
	v_cndmask_b32_e64 v41, v41, v47, s7
	s_delay_alu instid0(VALU_DEP_2) | instskip(SKIP_2) | instid1(VALU_DEP_4)
	v_alignbit_b32 v48, v43, v44, v45
	v_cndmask_b32_e64 v42, v46, v42, s5
	v_cmp_eq_u32_e64 s5, 0, v6
	v_alignbit_b32 v46, v44, v41, v45
	s_delay_alu instid0(VALU_DEP_2) | instskip(NEXT) | instid1(VALU_DEP_2)
	v_cndmask_b32_e64 v6, v48, v43, s5
	v_dual_cndmask_b32 v36, v36, v42, s6 :: v_dual_cndmask_b32 v42, v46, v44, s5
	s_delay_alu instid0(VALU_DEP_2) | instskip(NEXT) | instid1(VALU_DEP_2)
	v_bfe_u32 v43, v6, 29, 1
	v_cndmask_b32_e64 v36, v47, v36, s7
	s_delay_alu instid0(VALU_DEP_3) | instskip(NEXT) | instid1(VALU_DEP_3)
	v_alignbit_b32 v44, v6, v42, 30
	v_sub_nc_u32_e32 v46, 0, v43
	s_delay_alu instid0(VALU_DEP_3) | instskip(NEXT) | instid1(VALU_DEP_1)
	v_alignbit_b32 v45, v41, v36, v45
	v_dual_cndmask_b32 v41, v45, v41, s5 :: v_dual_bitop2_b32 v44, v44, v46 bitop3:0x14
	s_delay_alu instid0(VALU_DEP_1) | instskip(NEXT) | instid1(VALU_DEP_2)
	v_clz_i32_u32_e32 v45, v44
	v_alignbit_b32 v42, v42, v41, 30
	v_alignbit_b32 v36, v41, v36, 30
	s_delay_alu instid0(VALU_DEP_3) | instskip(NEXT) | instid1(VALU_DEP_3)
	v_min_u32_e32 v45, 32, v45
	v_xor_b32_e32 v41, v42, v46
	s_delay_alu instid0(VALU_DEP_3) | instskip(SKIP_1) | instid1(VALU_DEP_4)
	v_xor_b32_e32 v36, v36, v46
	v_dual_lshrrev_b32 v46, 29, v6 :: v_dual_lshrrev_b32 v6, 30, v6
	v_dual_sub_nc_u32 v42, 31, v45 :: v_dual_lshlrev_b32 v47, 23, v45
	s_delay_alu instid0(VALU_DEP_1) | instskip(NEXT) | instid1(VALU_DEP_4)
	v_alignbit_b32 v44, v44, v41, v42
	v_alignbit_b32 v36, v41, v36, v42
	s_delay_alu instid0(VALU_DEP_4) | instskip(NEXT) | instid1(VALU_DEP_2)
	v_lshlrev_b32_e32 v41, 31, v46
	v_alignbit_b32 v42, v44, v36, 9
	s_delay_alu instid0(VALU_DEP_2) | instskip(SKIP_1) | instid1(VALU_DEP_3)
	v_dual_lshrrev_b32 v44, 9, v44 :: v_dual_bitop2_b32 v46, 0.5, v41 bitop3:0x54
	v_or_b32_e32 v41, 0x33000000, v41
	v_clz_i32_u32_e32 v48, v42
	s_delay_alu instid0(VALU_DEP_3) | instskip(NEXT) | instid1(VALU_DEP_2)
	v_sub_nc_u32_e32 v46, v46, v47
	v_min_u32_e32 v47, 32, v48
	s_delay_alu instid0(VALU_DEP_1) | instskip(NEXT) | instid1(VALU_DEP_1)
	v_add_lshl_u32 v45, v47, v45, 23
	v_dual_sub_nc_u32 v41, v41, v45 :: v_dual_bitop2_b32 v44, v44, v46 bitop3:0x54
	v_not_b32_e32 v46, v47
	s_delay_alu instid0(VALU_DEP_1) | instskip(NEXT) | instid1(VALU_DEP_1)
	v_alignbit_b32 v36, v42, v36, v46
	v_lshrrev_b32_e32 v36, 9, v36
	s_delay_alu instid0(VALU_DEP_4) | instskip(NEXT) | instid1(VALU_DEP_2)
	v_mul_f32_e32 v48, 0x3fc90fda, v44
	v_or_b32_e32 v36, v41, v36
	s_delay_alu instid0(VALU_DEP_2) | instskip(NEXT) | instid1(VALU_DEP_1)
	v_fma_f32 v42, 0x3fc90fda, v44, -v48
	v_fmac_f32_e32 v42, 0x33a22168, v44
	s_delay_alu instid0(VALU_DEP_1) | instskip(NEXT) | instid1(VALU_DEP_1)
	v_fmac_f32_e32 v42, 0x3fc90fda, v36
	v_add_f32_e32 v41, v48, v42
	v_add_nc_u32_e32 v42, v43, v6
                                        ; implicit-def: $vgpr43
	s_and_not1_saveexec_b32 s5, s30
	s_cbranch_execnz .LBB138_51
	s_branch .LBB138_52
.LBB138_50:                             ;   in Loop: Header=BB138_4 Depth=1
	s_and_not1_saveexec_b32 s5, s30
.LBB138_51:                             ;   in Loop: Header=BB138_4 Depth=1
	v_fma_f32 v41, 0xbfc90fda, v43, |v37|
	v_cvt_i32_f32_e32 v42, v43
	s_delay_alu instid0(VALU_DEP_2) | instskip(NEXT) | instid1(VALU_DEP_1)
	v_fmac_f32_e32 v41, 0xb3a22168, v43
	v_fmac_f32_e32 v41, 0xa7c234c4, v43
.LBB138_52:                             ;   in Loop: Header=BB138_4 Depth=1
	s_or_b32 exec_lo, exec_lo, s5
	s_delay_alu instid0(VALU_DEP_1) | instskip(SKIP_1) | instid1(VALU_DEP_2)
	v_dual_mul_f32 v6, v32, v32 :: v_dual_mul_f32 v36, v41, v41
	v_dual_lshlrev_b32 v33, 30, v33 :: v_dual_bitop2_b32 v43, 1, v33 bitop3:0x40
	v_fmaak_f32 v44, s25, v6, 0x3c0881c4
	s_delay_alu instid0(VALU_DEP_3) | instskip(NEXT) | instid1(VALU_DEP_3)
	v_fmaak_f32 v46, s25, v36, 0x3c0881c4
	v_cmp_eq_u32_e64 s5, 0, v43
	s_delay_alu instid0(VALU_DEP_2) | instskip(NEXT) | instid1(VALU_DEP_1)
	v_fmaak_f32 v46, v36, v46, 0xbe2aaa9d
	v_dual_fmaak_f32 v47, s26, v36, 0xbab64f3b :: v_dual_mul_f32 v46, v36, v46
	v_fmaak_f32 v44, v6, v44, 0xbe2aaa9d
	s_delay_alu instid0(VALU_DEP_2) | instskip(NEXT) | instid1(VALU_DEP_3)
	v_fmaak_f32 v47, v36, v47, 0x3d2aabf7
	v_fmac_f32_e32 v41, v41, v46
	s_delay_alu instid0(VALU_DEP_3) | instskip(SKIP_1) | instid1(VALU_DEP_4)
	v_dual_fmaak_f32 v45, s26, v6, 0xbab64f3b :: v_dual_mul_f32 v44, v6, v44
	v_dual_lshlrev_b32 v42, 30, v42 :: v_dual_bitop2_b32 v48, 1, v42 bitop3:0x40
	v_fmaak_f32 v47, v36, v47, 0xbf000004
	s_delay_alu instid0(VALU_DEP_3) | instskip(NEXT) | instid1(VALU_DEP_3)
	v_dual_fmaak_f32 v45, v6, v45, 0x3d2aabf7 :: v_dual_fmac_f32 v32, v32, v44
	v_and_or_b32 v40, 0x80000000, v42, v40
	s_delay_alu instid0(VALU_DEP_3) | instskip(NEXT) | instid1(VALU_DEP_3)
	v_fma_f32 v36, v36, v47, 1.0
	v_fmaak_f32 v45, v6, v45, 0xbf000004
	s_delay_alu instid0(VALU_DEP_1) | instskip(NEXT) | instid1(VALU_DEP_1)
	v_fma_f32 v6, v6, v45, 1.0
	v_cndmask_b32_e64 v6, -v32, v6, s5
	v_cmp_eq_u32_e64 s5, 0, v48
	s_delay_alu instid0(VALU_DEP_2) | instskip(NEXT) | instid1(VALU_DEP_2)
	v_bitop3_b32 v6, v33, v6, 0x80000000 bitop3:0x6c
	v_cndmask_b32_e64 v32, v36, v41, s5
	v_cmp_class_f32_e64 s5, v37, 0x1f8
	s_delay_alu instid0(VALU_DEP_2) | instskip(NEXT) | instid1(VALU_DEP_2)
	v_xor3_b32 v33, v40, v32, v37
	v_cndmask_b32_e64 v32, 0x7fc00000, v6, s5
	s_delay_alu instid0(VALU_DEP_2)
	v_cndmask_b32_e64 v33, 0x7fc00000, v33, s5
.LBB138_53:                             ;   in Loop: Header=BB138_4 Depth=1
	s_or_b32 exec_lo, exec_lo, s29
                                        ; implicit-def: $vgpr36
.LBB138_54:                             ;   in Loop: Header=BB138_4 Depth=1
	s_and_not1_saveexec_b32 s6, s28
	s_cbranch_execz .LBB138_56
; %bb.55:                               ;   in Loop: Header=BB138_4 Depth=1
	v_mul_f32_e32 v6, 0x3fb8aa3b, v36
	v_cmp_ngt_f32_e64 s5, 0xc2ce8ed0, v36
	s_delay_alu instid0(VALU_DEP_2) | instskip(SKIP_1) | instid1(VALU_DEP_2)
	v_rndne_f32_e32 v32, v6
	v_fma_f32 v33, 0x3fb8aa3b, v36, -v6
	v_sub_f32_e32 v6, v6, v32
	s_delay_alu instid0(VALU_DEP_2) | instskip(SKIP_1) | instid1(VALU_DEP_2)
	v_fmac_f32_e32 v33, 0x32a5705f, v36
	v_cvt_i32_f32_e32 v32, v32
	v_dual_add_f32 v6, v6, v33 :: v_dual_mov_b32 v33, v37
	s_delay_alu instid0(VALU_DEP_1) | instskip(SKIP_1) | instid1(TRANS32_DEP_1)
	v_exp_f32_e32 v6, v6
	v_nop
	v_ldexp_f32 v6, v6, v32
	s_delay_alu instid0(VALU_DEP_1) | instskip(SKIP_1) | instid1(VALU_DEP_1)
	v_cndmask_b32_e64 v6, 0, v6, s5
	v_cmp_nlt_f32_e64 s5, 0x42b17218, v36
	v_cndmask_b32_e64 v32, 0x7f800000, v6, s5
.LBB138_56:                             ;   in Loop: Header=BB138_4 Depth=1
	s_or_b32 exec_lo, exec_lo, s6
	v_and_b32_e32 v40, 0x7fffffff, v39
                                        ; implicit-def: $vgpr37
	s_mov_b32 s6, exec_lo
	s_delay_alu instid0(VALU_DEP_1)
	v_cmpx_ne_u32_e32 0, v40
	s_xor_b32 s28, exec_lo, s6
	s_cbranch_execz .LBB138_98
; %bb.57:                               ;   in Loop: Header=BB138_4 Depth=1
	v_and_b32_e32 v6, 0x7fffffff, v38
                                        ; implicit-def: $vgpr37
	s_mov_b32 s6, exec_lo
	s_delay_alu instid0(VALU_DEP_1)
	v_cmpx_ne_u32_e32 0, v6
	s_xor_b32 s29, exec_lo, s6
	s_cbranch_execz .LBB138_87
; %bb.58:                               ;   in Loop: Header=BB138_4 Depth=1
                                        ; implicit-def: $vgpr37
	s_mov_b32 s6, exec_lo
	v_cmpx_gt_u32_e32 0x7f800000, v40
	s_xor_b32 s30, exec_lo, s6
	s_cbranch_execz .LBB138_80
; %bb.59:                               ;   in Loop: Header=BB138_4 Depth=1
	v_add_nc_u32_e32 v6, 0xbd4e8de8, v38
                                        ; implicit-def: $vgpr37
	s_mov_b32 s6, exec_lo
	s_delay_alu instid0(VALU_DEP_1)
	v_cmpx_lt_u32_e32 0x8e8e5c, v6
	s_xor_b32 s31, exec_lo, s6
	s_cbranch_execz .LBB138_69
; %bb.60:                               ;   in Loop: Header=BB138_4 Depth=1
	v_cmp_ngt_f32_e64 s33, 0x48000000, |v39|
                                        ; implicit-def: $vgpr37
                                        ; implicit-def: $vgpr36
	s_and_saveexec_b32 s5, s33
	s_delay_alu instid0(SALU_CYCLE_1)
	s_xor_b32 s34, exec_lo, s5
	s_cbranch_execz .LBB138_62
; %bb.61:                               ;   in Loop: Header=BB138_4 Depth=1
	v_and_or_b32 v6, v40, s24, 0x800000
	v_dual_mov_b32 v51, v7 :: v_dual_mov_b32 v53, v7
	s_delay_alu instid0(VALU_DEP_2) | instskip(NEXT) | instid1(VALU_DEP_1)
	v_mul_u64_e32 v[36:37], s[18:19], v[6:7]
	v_dual_mov_b32 v43, v7 :: v_dual_mov_b32 v42, v37
	v_lshrrev_b32_e32 v37, 23, v40
	s_delay_alu instid0(VALU_DEP_2) | instskip(SKIP_1) | instid1(VALU_DEP_3)
	v_mad_nc_u64_u32 v[42:43], 0x3c439041, v6, v[42:43]
	v_mov_b32_e32 v45, v7
	v_add_nc_u32_e32 v37, 0xffffff88, v37
	s_delay_alu instid0(VALU_DEP_1) | instskip(NEXT) | instid1(VALU_DEP_4)
	v_cmp_lt_u32_e64 s5, 63, v37
	v_mov_b32_e32 v44, v43
	s_delay_alu instid0(VALU_DEP_2) | instskip(NEXT) | instid1(VALU_DEP_2)
	v_cndmask_b32_e64 v41, 0, 0xffffffc0, s5
	v_mad_nc_u64_u32 v[44:45], 0xdb629599, v6, v[44:45]
	s_delay_alu instid0(VALU_DEP_2) | instskip(NEXT) | instid1(VALU_DEP_1)
	v_dual_mov_b32 v47, v7 :: v_dual_add_nc_u32 v37, v41, v37
	v_cmp_lt_u32_e64 s6, 31, v37
	s_delay_alu instid0(VALU_DEP_3) | instskip(NEXT) | instid1(VALU_DEP_2)
	v_mov_b32_e32 v46, v45
	v_cndmask_b32_e64 v41, 0, 0xffffffe0, s6
	v_cndmask_b32_e64 v36, v44, v36, s5
	s_delay_alu instid0(VALU_DEP_3) | instskip(NEXT) | instid1(VALU_DEP_1)
	v_mad_nc_u64_u32 v[46:47], 0xf534ddc0, v6, v[46:47]
	v_dual_mov_b32 v49, v7 :: v_dual_mov_b32 v48, v47
	s_delay_alu instid0(VALU_DEP_1) | instskip(NEXT) | instid1(VALU_DEP_1)
	v_mad_nc_u64_u32 v[48:49], 0xfc2757d1, v6, v[48:49]
	v_dual_mov_b32 v50, v49 :: v_dual_cndmask_b32 v47, v48, v44, s5
	s_delay_alu instid0(VALU_DEP_1) | instskip(NEXT) | instid1(VALU_DEP_1)
	v_mad_nc_u64_u32 v[50:51], 0x4e441529, v6, v[50:51]
	v_mov_b32_e32 v52, v51
	s_delay_alu instid0(VALU_DEP_1) | instskip(NEXT) | instid1(VALU_DEP_3)
	v_mad_nc_u64_u32 v[52:53], 0xa2f9836e, v6, v[52:53]
	v_dual_add_nc_u32 v6, v41, v37 :: v_dual_cndmask_b32 v41, v50, v46, s5
	s_delay_alu instid0(VALU_DEP_1) | instskip(NEXT) | instid1(VALU_DEP_1)
	v_cmp_lt_u32_e64 s7, 31, v6
	v_cndmask_b32_e64 v37, 0, 0xffffffe0, s7
	s_delay_alu instid0(VALU_DEP_4) | instskip(NEXT) | instid1(VALU_DEP_2)
	v_dual_cndmask_b32 v43, v52, v48, s5 :: v_dual_cndmask_b32 v45, v53, v50, s5
	v_add_nc_u32_e32 v6, v37, v6
	s_delay_alu instid0(VALU_DEP_2) | instskip(NEXT) | instid1(VALU_DEP_3)
	v_dual_cndmask_b32 v37, v46, v42, s5 :: v_dual_cndmask_b32 v42, v43, v41, s6
	v_cndmask_b32_e64 v43, v45, v43, s6
	s_delay_alu instid0(VALU_DEP_3) | instskip(NEXT) | instid1(VALU_DEP_3)
	v_dual_cndmask_b32 v41, v41, v47, s6 :: v_dual_sub_nc_u32 v45, 32, v6
	v_cndmask_b32_e64 v46, v47, v37, s6
	v_cmp_eq_u32_e64 s5, 0, v6
	s_delay_alu instid0(VALU_DEP_3) | instskip(NEXT) | instid1(VALU_DEP_1)
	v_dual_cndmask_b32 v43, v43, v42, s7 :: v_dual_cndmask_b32 v42, v42, v41, s7
	v_alignbit_b32 v47, v43, v42, v45
	s_delay_alu instid0(VALU_DEP_1) | instskip(NEXT) | instid1(VALU_DEP_1)
	v_dual_cndmask_b32 v41, v41, v46, s7 :: v_dual_cndmask_b32 v6, v47, v43, s5
	v_alignbit_b32 v44, v42, v41, v45
	s_delay_alu instid0(VALU_DEP_1) | instskip(NEXT) | instid1(VALU_DEP_3)
	v_dual_cndmask_b32 v36, v37, v36, s6 :: v_dual_cndmask_b32 v37, v44, v42, s5
	v_bfe_u32 v42, v6, 29, 1
	s_delay_alu instid0(VALU_DEP_2) | instskip(NEXT) | instid1(VALU_DEP_3)
	v_cndmask_b32_e64 v36, v46, v36, s7
	v_alignbit_b32 v43, v6, v37, 30
	s_delay_alu instid0(VALU_DEP_3) | instskip(NEXT) | instid1(VALU_DEP_3)
	v_sub_nc_u32_e32 v44, 0, v42
	v_alignbit_b32 v45, v41, v36, v45
	s_delay_alu instid0(VALU_DEP_1) | instskip(NEXT) | instid1(VALU_DEP_1)
	v_dual_cndmask_b32 v41, v45, v41, s5 :: v_dual_bitop2_b32 v43, v43, v44 bitop3:0x14
	v_clz_i32_u32_e32 v45, v43
	s_delay_alu instid0(VALU_DEP_2) | instskip(SKIP_1) | instid1(VALU_DEP_3)
	v_alignbit_b32 v37, v37, v41, 30
	v_alignbit_b32 v36, v41, v36, 30
	v_min_u32_e32 v45, 32, v45
	s_delay_alu instid0(VALU_DEP_3) | instskip(NEXT) | instid1(VALU_DEP_3)
	v_xor_b32_e32 v37, v37, v44
	v_dual_lshrrev_b32 v44, 29, v6 :: v_dual_bitop2_b32 v36, v36, v44 bitop3:0x14
	s_delay_alu instid0(VALU_DEP_3) | instskip(SKIP_1) | instid1(VALU_DEP_2)
	v_dual_lshrrev_b32 v6, 30, v6 :: v_dual_sub_nc_u32 v41, 31, v45
	v_lshlrev_b32_e32 v46, 23, v45
	v_alignbit_b32 v43, v43, v37, v41
	s_delay_alu instid0(VALU_DEP_4) | instskip(SKIP_1) | instid1(VALU_DEP_2)
	v_alignbit_b32 v36, v37, v36, v41
	v_lshlrev_b32_e32 v37, 31, v44
	v_alignbit_b32 v41, v43, v36, 9
	s_delay_alu instid0(VALU_DEP_2) | instskip(SKIP_1) | instid1(VALU_DEP_3)
	v_dual_lshrrev_b32 v43, 9, v43 :: v_dual_bitop2_b32 v44, 0.5, v37 bitop3:0x54
	v_or_b32_e32 v37, 0x33000000, v37
	v_clz_i32_u32_e32 v47, v41
	s_delay_alu instid0(VALU_DEP_3) | instskip(NEXT) | instid1(VALU_DEP_2)
	v_sub_nc_u32_e32 v44, v44, v46
	v_min_u32_e32 v46, 32, v47
	s_delay_alu instid0(VALU_DEP_1) | instskip(NEXT) | instid1(VALU_DEP_3)
	v_add_lshl_u32 v45, v46, v45, 23
	v_or_b32_e32 v43, v43, v44
	v_not_b32_e32 v44, v46
	s_delay_alu instid0(VALU_DEP_3) | instskip(NEXT) | instid1(VALU_DEP_3)
	v_sub_nc_u32_e32 v37, v37, v45
	v_mul_f32_e32 v47, 0x3fc90fda, v43
	s_delay_alu instid0(VALU_DEP_3) | instskip(NEXT) | instid1(VALU_DEP_2)
	v_alignbit_b32 v36, v41, v36, v44
	v_fma_f32 v41, 0x3fc90fda, v43, -v47
	s_delay_alu instid0(VALU_DEP_1) | instskip(NEXT) | instid1(VALU_DEP_1)
	v_dual_fmac_f32 v41, 0x33a22168, v43 :: v_dual_lshrrev_b32 v36, 9, v36
	v_dual_add_nc_u32 v37, v42, v6 :: v_dual_bitop2_b32 v36, v37, v36 bitop3:0x54
	s_delay_alu instid0(VALU_DEP_1) | instskip(NEXT) | instid1(VALU_DEP_1)
	v_fmac_f32_e32 v41, 0x3fc90fda, v36
	v_add_f32_e32 v36, v47, v41
	s_and_not1_saveexec_b32 s5, s34
	s_branch .LBB138_63
.LBB138_62:                             ;   in Loop: Header=BB138_4 Depth=1
	s_and_not1_saveexec_b32 s5, s34
.LBB138_63:                             ;   in Loop: Header=BB138_4 Depth=1
	v_mul_f32_e64 v6, 0x3f22f983, |v39|
	s_delay_alu instid0(VALU_DEP_1) | instskip(NEXT) | instid1(VALU_DEP_1)
	v_rndne_f32_e32 v6, v6
	v_fma_f32 v36, 0xbfc90fda, v6, |v39|
	v_cvt_i32_f32_e32 v37, v6
	s_delay_alu instid0(VALU_DEP_2) | instskip(NEXT) | instid1(VALU_DEP_1)
	v_fmac_f32_e32 v36, 0xb3a22168, v6
	v_fmac_f32_e32 v36, 0xa7c234c4, v6
; %bb.64:                               ;   in Loop: Header=BB138_4 Depth=1
	s_or_b32 exec_lo, exec_lo, s5
                                        ; implicit-def: $vgpr41
                                        ; implicit-def: $vgpr6
	s_and_saveexec_b32 s5, s33
	s_delay_alu instid0(SALU_CYCLE_1)
	s_xor_b32 s33, exec_lo, s5
	s_cbranch_execz .LBB138_66
; %bb.65:                               ;   in Loop: Header=BB138_4 Depth=1
	v_and_or_b32 v6, v40, s24, 0x800000
	v_dual_lshrrev_b32 v41, 23, v40 :: v_dual_mov_b32 v53, v7
	s_delay_alu instid0(VALU_DEP_2) | instskip(SKIP_1) | instid1(VALU_DEP_3)
	v_mul_u64_e32 v[42:43], s[18:19], v[6:7]
	v_mov_b32_e32 v45, v7
	v_add_nc_u32_e32 v41, 0xffffff88, v41
	s_delay_alu instid0(VALU_DEP_1) | instskip(NEXT) | instid1(VALU_DEP_4)
	v_cmp_lt_u32_e64 s5, 63, v41
	v_mov_b32_e32 v44, v43
	s_delay_alu instid0(VALU_DEP_2) | instskip(NEXT) | instid1(VALU_DEP_2)
	v_cndmask_b32_e64 v43, 0, 0xffffffc0, s5
	v_mad_nc_u64_u32 v[44:45], 0x3c439041, v6, v[44:45]
	s_delay_alu instid0(VALU_DEP_1) | instskip(NEXT) | instid1(VALU_DEP_1)
	v_dual_mov_b32 v47, v7 :: v_dual_mov_b32 v46, v45
	v_mad_nc_u64_u32 v[46:47], 0xdb629599, v6, v[46:47]
	s_delay_alu instid0(VALU_DEP_1) | instskip(NEXT) | instid1(VALU_DEP_2)
	v_dual_mov_b32 v49, v7 :: v_dual_mov_b32 v48, v47
	v_cndmask_b32_e64 v42, v46, v42, s5
	s_delay_alu instid0(VALU_DEP_2) | instskip(NEXT) | instid1(VALU_DEP_1)
	v_mad_nc_u64_u32 v[48:49], 0xf534ddc0, v6, v[48:49]
	v_dual_mov_b32 v51, v7 :: v_dual_mov_b32 v50, v49
	s_delay_alu instid0(VALU_DEP_1) | instskip(NEXT) | instid1(VALU_DEP_1)
	v_mad_nc_u64_u32 v[50:51], 0xfc2757d1, v6, v[50:51]
	v_dual_mov_b32 v52, v51 :: v_dual_cndmask_b32 v49, v50, v46, s5
	s_delay_alu instid0(VALU_DEP_1) | instskip(SKIP_1) | instid1(VALU_DEP_2)
	v_mad_nc_u64_u32 v[52:53], 0x4e441529, v6, v[52:53]
	v_add_nc_u32_e32 v41, v43, v41
	v_dual_mov_b32 v55, v7 :: v_dual_mov_b32 v54, v53
	s_delay_alu instid0(VALU_DEP_2) | instskip(NEXT) | instid1(VALU_DEP_2)
	v_cmp_lt_u32_e64 s6, 31, v41
	v_mad_nc_u64_u32 v[54:55], 0xa2f9836e, v6, v[54:55]
	s_delay_alu instid0(VALU_DEP_2) | instskip(NEXT) | instid1(VALU_DEP_1)
	v_cndmask_b32_e64 v43, 0, 0xffffffe0, s6
	v_dual_add_nc_u32 v6, v43, v41 :: v_dual_cndmask_b32 v43, v52, v48, s5
	s_delay_alu instid0(VALU_DEP_3) | instskip(NEXT) | instid1(VALU_DEP_2)
	v_cndmask_b32_e64 v45, v54, v50, s5
	v_cmp_lt_u32_e64 s7, 31, v6
	v_cndmask_b32_e64 v47, v55, v52, s5
	s_delay_alu instid0(VALU_DEP_2) | instskip(NEXT) | instid1(VALU_DEP_1)
	v_cndmask_b32_e64 v41, 0, 0xffffffe0, s7
	v_dual_add_nc_u32 v6, v41, v6 :: v_dual_cndmask_b32 v41, v48, v44, s5
	s_delay_alu instid0(VALU_DEP_3) | instskip(NEXT) | instid1(VALU_DEP_2)
	v_dual_cndmask_b32 v44, v45, v43, s6 :: v_dual_cndmask_b32 v45, v47, v45, s6
	v_dual_cndmask_b32 v43, v43, v49, s6 :: v_dual_sub_nc_u32 v47, 32, v6
	s_delay_alu instid0(VALU_DEP_3) | instskip(SKIP_1) | instid1(VALU_DEP_3)
	v_cndmask_b32_e64 v48, v49, v41, s6
	v_cmp_eq_u32_e64 s5, 0, v6
	v_dual_cndmask_b32 v45, v45, v44, s7 :: v_dual_cndmask_b32 v44, v44, v43, s7
	s_delay_alu instid0(VALU_DEP_1) | instskip(NEXT) | instid1(VALU_DEP_1)
	v_alignbit_b32 v49, v45, v44, v47
	v_dual_cndmask_b32 v43, v43, v48, s7 :: v_dual_cndmask_b32 v6, v49, v45, s5
	s_delay_alu instid0(VALU_DEP_1) | instskip(NEXT) | instid1(VALU_DEP_1)
	v_alignbit_b32 v46, v44, v43, v47
	v_dual_cndmask_b32 v41, v41, v42, s6 :: v_dual_cndmask_b32 v42, v46, v44, s5
	s_delay_alu instid0(VALU_DEP_3) | instskip(NEXT) | instid1(VALU_DEP_2)
	v_bfe_u32 v44, v6, 29, 1
	v_cndmask_b32_e64 v41, v48, v41, s7
	s_delay_alu instid0(VALU_DEP_3) | instskip(NEXT) | instid1(VALU_DEP_3)
	v_alignbit_b32 v45, v6, v42, 30
	v_sub_nc_u32_e32 v46, 0, v44
	s_delay_alu instid0(VALU_DEP_3) | instskip(NEXT) | instid1(VALU_DEP_1)
	v_alignbit_b32 v47, v43, v41, v47
	v_dual_cndmask_b32 v43, v47, v43, s5 :: v_dual_bitop2_b32 v45, v45, v46 bitop3:0x14
	s_delay_alu instid0(VALU_DEP_1) | instskip(NEXT) | instid1(VALU_DEP_2)
	v_clz_i32_u32_e32 v47, v45
	v_alignbit_b32 v42, v42, v43, 30
	v_alignbit_b32 v41, v43, v41, 30
	s_delay_alu instid0(VALU_DEP_3) | instskip(NEXT) | instid1(VALU_DEP_3)
	v_min_u32_e32 v47, 32, v47
	v_xor_b32_e32 v42, v42, v46
	s_delay_alu instid0(VALU_DEP_3) | instskip(NEXT) | instid1(VALU_DEP_3)
	v_xor_b32_e32 v41, v41, v46
	v_dual_lshrrev_b32 v46, 29, v6 :: v_dual_lshlrev_b32 v48, 23, v47
	v_sub_nc_u32_e32 v43, 31, v47
	s_delay_alu instid0(VALU_DEP_1) | instskip(NEXT) | instid1(VALU_DEP_4)
	v_alignbit_b32 v45, v45, v42, v43
	v_alignbit_b32 v41, v42, v41, v43
	s_delay_alu instid0(VALU_DEP_4) | instskip(NEXT) | instid1(VALU_DEP_2)
	v_lshlrev_b32_e32 v42, 31, v46
	v_alignbit_b32 v43, v45, v41, 9
	s_delay_alu instid0(VALU_DEP_2) | instskip(SKIP_1) | instid1(VALU_DEP_3)
	v_dual_lshrrev_b32 v45, 9, v45 :: v_dual_bitop2_b32 v46, 0.5, v42 bitop3:0x54
	v_or_b32_e32 v42, 0x33000000, v42
	v_clz_i32_u32_e32 v49, v43
	s_delay_alu instid0(VALU_DEP_3) | instskip(NEXT) | instid1(VALU_DEP_2)
	v_sub_nc_u32_e32 v46, v46, v48
	v_min_u32_e32 v48, 32, v49
	s_delay_alu instid0(VALU_DEP_1) | instskip(NEXT) | instid1(VALU_DEP_3)
	v_add_lshl_u32 v47, v48, v47, 23
	v_or_b32_e32 v45, v45, v46
	v_not_b32_e32 v46, v48
	s_delay_alu instid0(VALU_DEP_2) | instskip(NEXT) | instid1(VALU_DEP_2)
	v_dual_mul_f32 v49, 0x3fc90fda, v45 :: v_dual_sub_nc_u32 v42, v42, v47
	v_alignbit_b32 v41, v43, v41, v46
	s_delay_alu instid0(VALU_DEP_2) | instskip(NEXT) | instid1(VALU_DEP_2)
	v_fma_f32 v43, 0x3fc90fda, v45, -v49
	v_lshrrev_b32_e32 v41, 9, v41
	s_delay_alu instid0(VALU_DEP_2) | instskip(NEXT) | instid1(VALU_DEP_2)
	v_fmac_f32_e32 v43, 0x33a22168, v45
	v_or_b32_e32 v41, v42, v41
	s_delay_alu instid0(VALU_DEP_1) | instskip(NEXT) | instid1(VALU_DEP_1)
	v_fmac_f32_e32 v43, 0x3fc90fda, v41
	v_dual_add_f32 v6, v49, v43 :: v_dual_lshrrev_b32 v41, 30, v6
	s_delay_alu instid0(VALU_DEP_1)
	v_add_nc_u32_e32 v41, v44, v41
	s_and_not1_saveexec_b32 s5, s33
	s_cbranch_execnz .LBB138_67
	s_branch .LBB138_68
.LBB138_66:                             ;   in Loop: Header=BB138_4 Depth=1
	s_and_not1_saveexec_b32 s5, s33
.LBB138_67:                             ;   in Loop: Header=BB138_4 Depth=1
	v_mul_f32_e64 v6, 0x3f22f983, |v39|
	s_delay_alu instid0(VALU_DEP_1) | instskip(NEXT) | instid1(VALU_DEP_1)
	v_rndne_f32_e32 v41, v6
	v_fma_f32 v6, 0xbfc90fda, v41, |v39|
	s_delay_alu instid0(VALU_DEP_1) | instskip(NEXT) | instid1(VALU_DEP_1)
	v_fmac_f32_e32 v6, 0xb3a22168, v41
	v_fmac_f32_e32 v6, 0xa7c234c4, v41
	v_cvt_i32_f32_e32 v41, v41
.LBB138_68:                             ;   in Loop: Header=BB138_4 Depth=1
	s_or_b32 exec_lo, exec_lo, s5
	v_dual_mul_f32 v42, 0x3fb8aa3b, v38 :: v_dual_mul_f32 v43, v36, v36
	s_delay_alu instid0(VALU_DEP_3) | instskip(SKIP_1) | instid1(VALU_DEP_3)
	v_dual_mul_f32 v45, v6, v6 :: v_dual_bitop2_b32 v44, 1, v37 bitop3:0x40
	v_cmp_nlt_f32_e64 s6, 0x42b17218, v38
	v_rndne_f32_e32 v46, v42
	v_fma_f32 v47, 0x3fb8aa3b, v38, -v42
	v_fmaak_f32 v49, s26, v43, 0xbab64f3b
	v_fmaak_f32 v48, s25, v43, 0x3c0881c4
	;; [unrolled: 1-line block ×3, first 2 shown]
	v_sub_f32_e32 v42, v42, v46
	v_fmac_f32_e32 v47, 0x32a5705f, v38
	v_fmaak_f32 v51, s26, v45, 0xbab64f3b
	v_cvt_i32_f32_e32 v46, v46
	v_fmaak_f32 v50, v45, v50, 0xbe2aaa9d
	s_delay_alu instid0(VALU_DEP_4) | instskip(SKIP_1) | instid1(VALU_DEP_3)
	v_dual_fmaak_f32 v49, v43, v49, 0x3d2aabf7 :: v_dual_add_f32 v42, v42, v47
	v_cmp_eq_u32_e64 s5, 0, v44
	v_dual_mul_f32 v50, v45, v50 :: v_dual_lshlrev_b32 v37, 30, v37
	s_delay_alu instid0(VALU_DEP_3) | instskip(NEXT) | instid1(VALU_DEP_4)
	v_fmaak_f32 v49, v43, v49, 0xbf000004
	v_exp_f32_e32 v42, v42
	s_delay_alu instid0(VALU_DEP_2) | instskip(NEXT) | instid1(TRANS32_DEP_1)
	v_fmac_f32_e32 v6, v6, v50
	v_ldexp_f32 v42, v42, v46
	v_dual_lshlrev_b32 v41, 30, v41 :: v_dual_bitop2_b32 v46, 1, v41 bitop3:0x40
	v_fmaak_f32 v48, v43, v48, 0xbe2aaa9d
	s_delay_alu instid0(VALU_DEP_2) | instskip(NEXT) | instid1(VALU_DEP_2)
	v_and_or_b32 v40, 0x80000000, v41, v40
	v_dual_mul_f32 v48, v43, v48 :: v_dual_fmaak_f32 v47, v45, v51, 0x3d2aabf7
	v_fma_f32 v43, v43, v49, 1.0
	s_delay_alu instid0(VALU_DEP_2) | instskip(NEXT) | instid1(VALU_DEP_1)
	v_dual_fmac_f32 v36, v36, v48 :: v_dual_fmaak_f32 v47, v45, v47, 0xbf000004
	v_cndmask_b32_e64 v36, -v36, v43, s5
	s_delay_alu instid0(VALU_DEP_2) | instskip(SKIP_1) | instid1(VALU_DEP_3)
	v_fma_f32 v45, v45, v47, 1.0
	v_cmp_eq_u32_e64 s5, 0, v46
	v_bitop3_b32 v36, v37, v36, 0x80000000 bitop3:0x6c
	s_delay_alu instid0(VALU_DEP_2) | instskip(SKIP_1) | instid1(VALU_DEP_2)
	v_cndmask_b32_e64 v6, v45, v6, s5
	v_cmp_ngt_f32_e64 s5, 0xc2ce8ed0, v38
	v_xor3_b32 v6, v40, v6, v39
	s_delay_alu instid0(VALU_DEP_2) | instskip(SKIP_1) | instid1(VALU_DEP_2)
	v_cndmask_b32_e64 v41, 0, v42, s5
	v_cmp_class_f32_e64 s5, v39, 0x1f8
                                        ; implicit-def: $vgpr39
                                        ; implicit-def: $vgpr40
	v_cndmask_b32_e64 v37, 0x7f800000, v41, s6
	s_delay_alu instid0(VALU_DEP_2) | instskip(SKIP_1) | instid1(VALU_DEP_1)
	v_cndmask_b32_e64 v36, 0x7fc00000, v36, s5
	v_cndmask_b32_e64 v6, 0x7fc00000, v6, s5
	v_dual_mul_f32 v36, v37, v36 :: v_dual_mul_f32 v37, v37, v6
.LBB138_69:                             ;   in Loop: Header=BB138_4 Depth=1
	s_and_not1_saveexec_b32 s31, s31
	s_cbranch_execz .LBB138_79
; %bb.70:                               ;   in Loop: Header=BB138_4 Depth=1
	v_cmp_ngt_f32_e64 s33, 0x48000000, |v39|
                                        ; implicit-def: $vgpr37
                                        ; implicit-def: $vgpr36
	s_and_saveexec_b32 s5, s33
	s_delay_alu instid0(SALU_CYCLE_1)
	s_xor_b32 s34, exec_lo, s5
	s_cbranch_execz .LBB138_72
; %bb.71:                               ;   in Loop: Header=BB138_4 Depth=1
	v_and_or_b32 v6, v40, s24, 0x800000
	v_dual_mov_b32 v51, v7 :: v_dual_mov_b32 v53, v7
	s_delay_alu instid0(VALU_DEP_2) | instskip(NEXT) | instid1(VALU_DEP_1)
	v_mul_u64_e32 v[36:37], s[18:19], v[6:7]
	v_dual_mov_b32 v43, v7 :: v_dual_mov_b32 v42, v37
	v_lshrrev_b32_e32 v37, 23, v40
	s_delay_alu instid0(VALU_DEP_2) | instskip(SKIP_1) | instid1(VALU_DEP_3)
	v_mad_nc_u64_u32 v[42:43], 0x3c439041, v6, v[42:43]
	v_mov_b32_e32 v45, v7
	v_add_nc_u32_e32 v37, 0xffffff88, v37
	s_delay_alu instid0(VALU_DEP_1) | instskip(NEXT) | instid1(VALU_DEP_4)
	v_cmp_lt_u32_e64 s5, 63, v37
	v_mov_b32_e32 v44, v43
	s_delay_alu instid0(VALU_DEP_2) | instskip(NEXT) | instid1(VALU_DEP_2)
	v_cndmask_b32_e64 v41, 0, 0xffffffc0, s5
	v_mad_nc_u64_u32 v[44:45], 0xdb629599, v6, v[44:45]
	s_delay_alu instid0(VALU_DEP_2) | instskip(NEXT) | instid1(VALU_DEP_1)
	v_dual_mov_b32 v47, v7 :: v_dual_add_nc_u32 v37, v41, v37
	v_cmp_lt_u32_e64 s6, 31, v37
	s_delay_alu instid0(VALU_DEP_3) | instskip(NEXT) | instid1(VALU_DEP_2)
	v_mov_b32_e32 v46, v45
	v_cndmask_b32_e64 v41, 0, 0xffffffe0, s6
	v_cndmask_b32_e64 v36, v44, v36, s5
	s_delay_alu instid0(VALU_DEP_3) | instskip(NEXT) | instid1(VALU_DEP_1)
	v_mad_nc_u64_u32 v[46:47], 0xf534ddc0, v6, v[46:47]
	v_dual_mov_b32 v49, v7 :: v_dual_mov_b32 v48, v47
	s_delay_alu instid0(VALU_DEP_1) | instskip(NEXT) | instid1(VALU_DEP_1)
	v_mad_nc_u64_u32 v[48:49], 0xfc2757d1, v6, v[48:49]
	v_dual_mov_b32 v50, v49 :: v_dual_cndmask_b32 v47, v48, v44, s5
	s_delay_alu instid0(VALU_DEP_1) | instskip(NEXT) | instid1(VALU_DEP_1)
	v_mad_nc_u64_u32 v[50:51], 0x4e441529, v6, v[50:51]
	v_mov_b32_e32 v52, v51
	s_delay_alu instid0(VALU_DEP_1) | instskip(NEXT) | instid1(VALU_DEP_3)
	v_mad_nc_u64_u32 v[52:53], 0xa2f9836e, v6, v[52:53]
	v_dual_add_nc_u32 v6, v41, v37 :: v_dual_cndmask_b32 v41, v50, v46, s5
	s_delay_alu instid0(VALU_DEP_1) | instskip(NEXT) | instid1(VALU_DEP_1)
	v_cmp_lt_u32_e64 s7, 31, v6
	v_cndmask_b32_e64 v37, 0, 0xffffffe0, s7
	s_delay_alu instid0(VALU_DEP_4) | instskip(NEXT) | instid1(VALU_DEP_2)
	v_dual_cndmask_b32 v43, v52, v48, s5 :: v_dual_cndmask_b32 v45, v53, v50, s5
	v_add_nc_u32_e32 v6, v37, v6
	s_delay_alu instid0(VALU_DEP_2) | instskip(NEXT) | instid1(VALU_DEP_3)
	v_dual_cndmask_b32 v37, v46, v42, s5 :: v_dual_cndmask_b32 v42, v43, v41, s6
	v_cndmask_b32_e64 v43, v45, v43, s6
	s_delay_alu instid0(VALU_DEP_3) | instskip(NEXT) | instid1(VALU_DEP_3)
	v_dual_cndmask_b32 v41, v41, v47, s6 :: v_dual_sub_nc_u32 v45, 32, v6
	v_cndmask_b32_e64 v46, v47, v37, s6
	v_cmp_eq_u32_e64 s5, 0, v6
	s_delay_alu instid0(VALU_DEP_3) | instskip(NEXT) | instid1(VALU_DEP_1)
	v_dual_cndmask_b32 v43, v43, v42, s7 :: v_dual_cndmask_b32 v42, v42, v41, s7
	v_alignbit_b32 v47, v43, v42, v45
	s_delay_alu instid0(VALU_DEP_1) | instskip(NEXT) | instid1(VALU_DEP_1)
	v_dual_cndmask_b32 v41, v41, v46, s7 :: v_dual_cndmask_b32 v6, v47, v43, s5
	v_alignbit_b32 v44, v42, v41, v45
	s_delay_alu instid0(VALU_DEP_1) | instskip(NEXT) | instid1(VALU_DEP_3)
	v_dual_cndmask_b32 v36, v37, v36, s6 :: v_dual_cndmask_b32 v37, v44, v42, s5
	v_bfe_u32 v42, v6, 29, 1
	s_delay_alu instid0(VALU_DEP_2) | instskip(NEXT) | instid1(VALU_DEP_3)
	v_cndmask_b32_e64 v36, v46, v36, s7
	v_alignbit_b32 v43, v6, v37, 30
	s_delay_alu instid0(VALU_DEP_3) | instskip(NEXT) | instid1(VALU_DEP_3)
	v_sub_nc_u32_e32 v44, 0, v42
	v_alignbit_b32 v45, v41, v36, v45
	s_delay_alu instid0(VALU_DEP_1) | instskip(NEXT) | instid1(VALU_DEP_1)
	v_dual_cndmask_b32 v41, v45, v41, s5 :: v_dual_bitop2_b32 v43, v43, v44 bitop3:0x14
	v_clz_i32_u32_e32 v45, v43
	s_delay_alu instid0(VALU_DEP_2) | instskip(SKIP_1) | instid1(VALU_DEP_3)
	v_alignbit_b32 v37, v37, v41, 30
	v_alignbit_b32 v36, v41, v36, 30
	v_min_u32_e32 v45, 32, v45
	s_delay_alu instid0(VALU_DEP_3) | instskip(NEXT) | instid1(VALU_DEP_3)
	v_xor_b32_e32 v37, v37, v44
	v_dual_lshrrev_b32 v44, 29, v6 :: v_dual_bitop2_b32 v36, v36, v44 bitop3:0x14
	s_delay_alu instid0(VALU_DEP_3) | instskip(SKIP_1) | instid1(VALU_DEP_2)
	v_dual_lshrrev_b32 v6, 30, v6 :: v_dual_sub_nc_u32 v41, 31, v45
	v_lshlrev_b32_e32 v46, 23, v45
	v_alignbit_b32 v43, v43, v37, v41
	s_delay_alu instid0(VALU_DEP_4) | instskip(SKIP_1) | instid1(VALU_DEP_2)
	v_alignbit_b32 v36, v37, v36, v41
	v_lshlrev_b32_e32 v37, 31, v44
	v_alignbit_b32 v41, v43, v36, 9
	s_delay_alu instid0(VALU_DEP_2) | instskip(SKIP_1) | instid1(VALU_DEP_3)
	v_dual_lshrrev_b32 v43, 9, v43 :: v_dual_bitop2_b32 v44, 0.5, v37 bitop3:0x54
	v_or_b32_e32 v37, 0x33000000, v37
	v_clz_i32_u32_e32 v47, v41
	s_delay_alu instid0(VALU_DEP_3) | instskip(NEXT) | instid1(VALU_DEP_2)
	v_sub_nc_u32_e32 v44, v44, v46
	v_min_u32_e32 v46, 32, v47
	s_delay_alu instid0(VALU_DEP_1) | instskip(NEXT) | instid1(VALU_DEP_3)
	v_add_lshl_u32 v45, v46, v45, 23
	v_or_b32_e32 v43, v43, v44
	v_not_b32_e32 v44, v46
	s_delay_alu instid0(VALU_DEP_3) | instskip(NEXT) | instid1(VALU_DEP_3)
	v_sub_nc_u32_e32 v37, v37, v45
	v_mul_f32_e32 v47, 0x3fc90fda, v43
	s_delay_alu instid0(VALU_DEP_3) | instskip(NEXT) | instid1(VALU_DEP_2)
	v_alignbit_b32 v36, v41, v36, v44
	v_fma_f32 v41, 0x3fc90fda, v43, -v47
	s_delay_alu instid0(VALU_DEP_1) | instskip(NEXT) | instid1(VALU_DEP_1)
	v_dual_fmac_f32 v41, 0x33a22168, v43 :: v_dual_lshrrev_b32 v36, 9, v36
	v_dual_add_nc_u32 v37, v42, v6 :: v_dual_bitop2_b32 v36, v37, v36 bitop3:0x54
	s_delay_alu instid0(VALU_DEP_1) | instskip(NEXT) | instid1(VALU_DEP_1)
	v_fmac_f32_e32 v41, 0x3fc90fda, v36
	v_add_f32_e32 v36, v47, v41
	s_and_not1_saveexec_b32 s5, s34
	s_branch .LBB138_73
.LBB138_72:                             ;   in Loop: Header=BB138_4 Depth=1
	s_and_not1_saveexec_b32 s5, s34
.LBB138_73:                             ;   in Loop: Header=BB138_4 Depth=1
	v_mul_f32_e64 v6, 0x3f22f983, |v39|
	s_delay_alu instid0(VALU_DEP_1) | instskip(NEXT) | instid1(VALU_DEP_1)
	v_rndne_f32_e32 v6, v6
	v_fma_f32 v36, 0xbfc90fda, v6, |v39|
	v_cvt_i32_f32_e32 v37, v6
	s_delay_alu instid0(VALU_DEP_2) | instskip(NEXT) | instid1(VALU_DEP_1)
	v_fmac_f32_e32 v36, 0xb3a22168, v6
	v_fmac_f32_e32 v36, 0xa7c234c4, v6
; %bb.74:                               ;   in Loop: Header=BB138_4 Depth=1
	s_or_b32 exec_lo, exec_lo, s5
                                        ; implicit-def: $vgpr41
                                        ; implicit-def: $vgpr6
	s_and_saveexec_b32 s5, s33
	s_delay_alu instid0(SALU_CYCLE_1)
	s_xor_b32 s33, exec_lo, s5
	s_cbranch_execz .LBB138_76
; %bb.75:                               ;   in Loop: Header=BB138_4 Depth=1
	v_and_or_b32 v6, v40, s24, 0x800000
	v_dual_lshrrev_b32 v41, 23, v40 :: v_dual_mov_b32 v53, v7
	s_delay_alu instid0(VALU_DEP_2) | instskip(SKIP_1) | instid1(VALU_DEP_3)
	v_mul_u64_e32 v[42:43], s[18:19], v[6:7]
	v_mov_b32_e32 v45, v7
	v_add_nc_u32_e32 v41, 0xffffff88, v41
	s_delay_alu instid0(VALU_DEP_1) | instskip(NEXT) | instid1(VALU_DEP_4)
	v_cmp_lt_u32_e64 s5, 63, v41
	v_mov_b32_e32 v44, v43
	s_delay_alu instid0(VALU_DEP_2) | instskip(NEXT) | instid1(VALU_DEP_2)
	v_cndmask_b32_e64 v43, 0, 0xffffffc0, s5
	v_mad_nc_u64_u32 v[44:45], 0x3c439041, v6, v[44:45]
	s_delay_alu instid0(VALU_DEP_1) | instskip(NEXT) | instid1(VALU_DEP_1)
	v_dual_mov_b32 v47, v7 :: v_dual_mov_b32 v46, v45
	v_mad_nc_u64_u32 v[46:47], 0xdb629599, v6, v[46:47]
	s_delay_alu instid0(VALU_DEP_1) | instskip(NEXT) | instid1(VALU_DEP_2)
	v_dual_mov_b32 v49, v7 :: v_dual_mov_b32 v48, v47
	v_cndmask_b32_e64 v42, v46, v42, s5
	s_delay_alu instid0(VALU_DEP_2) | instskip(NEXT) | instid1(VALU_DEP_1)
	v_mad_nc_u64_u32 v[48:49], 0xf534ddc0, v6, v[48:49]
	v_dual_mov_b32 v51, v7 :: v_dual_mov_b32 v50, v49
	s_delay_alu instid0(VALU_DEP_1) | instskip(NEXT) | instid1(VALU_DEP_1)
	v_mad_nc_u64_u32 v[50:51], 0xfc2757d1, v6, v[50:51]
	v_dual_mov_b32 v52, v51 :: v_dual_cndmask_b32 v49, v50, v46, s5
	s_delay_alu instid0(VALU_DEP_1) | instskip(SKIP_1) | instid1(VALU_DEP_2)
	v_mad_nc_u64_u32 v[52:53], 0x4e441529, v6, v[52:53]
	v_add_nc_u32_e32 v41, v43, v41
	v_dual_mov_b32 v55, v7 :: v_dual_mov_b32 v54, v53
	s_delay_alu instid0(VALU_DEP_2) | instskip(NEXT) | instid1(VALU_DEP_2)
	v_cmp_lt_u32_e64 s6, 31, v41
	v_mad_nc_u64_u32 v[54:55], 0xa2f9836e, v6, v[54:55]
	s_delay_alu instid0(VALU_DEP_2) | instskip(NEXT) | instid1(VALU_DEP_1)
	v_cndmask_b32_e64 v43, 0, 0xffffffe0, s6
	v_dual_add_nc_u32 v6, v43, v41 :: v_dual_cndmask_b32 v43, v52, v48, s5
	s_delay_alu instid0(VALU_DEP_3) | instskip(NEXT) | instid1(VALU_DEP_2)
	v_cndmask_b32_e64 v45, v54, v50, s5
	v_cmp_lt_u32_e64 s7, 31, v6
	v_cndmask_b32_e64 v47, v55, v52, s5
	s_delay_alu instid0(VALU_DEP_2) | instskip(NEXT) | instid1(VALU_DEP_1)
	v_cndmask_b32_e64 v41, 0, 0xffffffe0, s7
	v_dual_add_nc_u32 v6, v41, v6 :: v_dual_cndmask_b32 v41, v48, v44, s5
	s_delay_alu instid0(VALU_DEP_3) | instskip(NEXT) | instid1(VALU_DEP_2)
	v_dual_cndmask_b32 v44, v45, v43, s6 :: v_dual_cndmask_b32 v45, v47, v45, s6
	v_dual_cndmask_b32 v43, v43, v49, s6 :: v_dual_sub_nc_u32 v47, 32, v6
	s_delay_alu instid0(VALU_DEP_3) | instskip(SKIP_1) | instid1(VALU_DEP_3)
	v_cndmask_b32_e64 v48, v49, v41, s6
	v_cmp_eq_u32_e64 s5, 0, v6
	v_dual_cndmask_b32 v45, v45, v44, s7 :: v_dual_cndmask_b32 v44, v44, v43, s7
	s_delay_alu instid0(VALU_DEP_1) | instskip(NEXT) | instid1(VALU_DEP_1)
	v_alignbit_b32 v49, v45, v44, v47
	v_dual_cndmask_b32 v43, v43, v48, s7 :: v_dual_cndmask_b32 v6, v49, v45, s5
	s_delay_alu instid0(VALU_DEP_1) | instskip(NEXT) | instid1(VALU_DEP_1)
	v_alignbit_b32 v46, v44, v43, v47
	v_dual_cndmask_b32 v41, v41, v42, s6 :: v_dual_cndmask_b32 v42, v46, v44, s5
	s_delay_alu instid0(VALU_DEP_3) | instskip(NEXT) | instid1(VALU_DEP_2)
	v_bfe_u32 v44, v6, 29, 1
	v_cndmask_b32_e64 v41, v48, v41, s7
	s_delay_alu instid0(VALU_DEP_3) | instskip(NEXT) | instid1(VALU_DEP_3)
	v_alignbit_b32 v45, v6, v42, 30
	v_sub_nc_u32_e32 v46, 0, v44
	s_delay_alu instid0(VALU_DEP_3) | instskip(NEXT) | instid1(VALU_DEP_1)
	v_alignbit_b32 v47, v43, v41, v47
	v_dual_cndmask_b32 v43, v47, v43, s5 :: v_dual_bitop2_b32 v45, v45, v46 bitop3:0x14
	s_delay_alu instid0(VALU_DEP_1) | instskip(NEXT) | instid1(VALU_DEP_2)
	v_clz_i32_u32_e32 v47, v45
	v_alignbit_b32 v42, v42, v43, 30
	v_alignbit_b32 v41, v43, v41, 30
	s_delay_alu instid0(VALU_DEP_3) | instskip(NEXT) | instid1(VALU_DEP_3)
	v_min_u32_e32 v47, 32, v47
	v_xor_b32_e32 v42, v42, v46
	s_delay_alu instid0(VALU_DEP_3) | instskip(NEXT) | instid1(VALU_DEP_3)
	v_xor_b32_e32 v41, v41, v46
	v_dual_lshrrev_b32 v46, 29, v6 :: v_dual_lshlrev_b32 v48, 23, v47
	v_sub_nc_u32_e32 v43, 31, v47
	s_delay_alu instid0(VALU_DEP_1) | instskip(NEXT) | instid1(VALU_DEP_4)
	v_alignbit_b32 v45, v45, v42, v43
	v_alignbit_b32 v41, v42, v41, v43
	s_delay_alu instid0(VALU_DEP_4) | instskip(NEXT) | instid1(VALU_DEP_2)
	v_lshlrev_b32_e32 v42, 31, v46
	v_alignbit_b32 v43, v45, v41, 9
	s_delay_alu instid0(VALU_DEP_2) | instskip(SKIP_1) | instid1(VALU_DEP_3)
	v_dual_lshrrev_b32 v45, 9, v45 :: v_dual_bitop2_b32 v46, 0.5, v42 bitop3:0x54
	v_or_b32_e32 v42, 0x33000000, v42
	v_clz_i32_u32_e32 v49, v43
	s_delay_alu instid0(VALU_DEP_3) | instskip(NEXT) | instid1(VALU_DEP_2)
	v_sub_nc_u32_e32 v46, v46, v48
	v_min_u32_e32 v48, 32, v49
	s_delay_alu instid0(VALU_DEP_1) | instskip(NEXT) | instid1(VALU_DEP_3)
	v_add_lshl_u32 v47, v48, v47, 23
	v_or_b32_e32 v45, v45, v46
	v_not_b32_e32 v46, v48
	s_delay_alu instid0(VALU_DEP_2) | instskip(NEXT) | instid1(VALU_DEP_2)
	v_dual_mul_f32 v49, 0x3fc90fda, v45 :: v_dual_sub_nc_u32 v42, v42, v47
	v_alignbit_b32 v41, v43, v41, v46
	s_delay_alu instid0(VALU_DEP_2) | instskip(NEXT) | instid1(VALU_DEP_2)
	v_fma_f32 v43, 0x3fc90fda, v45, -v49
	v_lshrrev_b32_e32 v41, 9, v41
	s_delay_alu instid0(VALU_DEP_2) | instskip(NEXT) | instid1(VALU_DEP_2)
	v_fmac_f32_e32 v43, 0x33a22168, v45
	v_or_b32_e32 v41, v42, v41
	s_delay_alu instid0(VALU_DEP_1) | instskip(NEXT) | instid1(VALU_DEP_1)
	v_fmac_f32_e32 v43, 0x3fc90fda, v41
	v_dual_add_f32 v6, v49, v43 :: v_dual_lshrrev_b32 v41, 30, v6
	s_delay_alu instid0(VALU_DEP_1)
	v_add_nc_u32_e32 v41, v44, v41
	s_and_not1_saveexec_b32 s5, s33
	s_cbranch_execnz .LBB138_77
	s_branch .LBB138_78
.LBB138_76:                             ;   in Loop: Header=BB138_4 Depth=1
	s_and_not1_saveexec_b32 s5, s33
.LBB138_77:                             ;   in Loop: Header=BB138_4 Depth=1
	v_mul_f32_e64 v6, 0x3f22f983, |v39|
	s_delay_alu instid0(VALU_DEP_1) | instskip(NEXT) | instid1(VALU_DEP_1)
	v_rndne_f32_e32 v41, v6
	v_fma_f32 v6, 0xbfc90fda, v41, |v39|
	s_delay_alu instid0(VALU_DEP_1) | instskip(NEXT) | instid1(VALU_DEP_1)
	v_fmac_f32_e32 v6, 0xb3a22168, v41
	v_fmac_f32_e32 v6, 0xa7c234c4, v41
	v_cvt_i32_f32_e32 v41, v41
.LBB138_78:                             ;   in Loop: Header=BB138_4 Depth=1
	s_or_b32 exec_lo, exec_lo, s5
	v_dual_add_f32 v38, 0xc322e3bc, v38 :: v_dual_mul_f32 v45, v36, v36
	s_delay_alu instid0(VALU_DEP_1) | instskip(SKIP_2) | instid1(VALU_DEP_3)
	v_mul_f32_e32 v42, 0x3fb8aa3b, v38
	v_cmp_ngt_f32_e64 s5, 0xc2ce8ed0, v38
	v_dual_lshlrev_b32 v41, 30, v41 :: v_dual_bitop2_b32 v46, 1, v41 bitop3:0x40
	v_fma_f32 v43, 0x3fb8aa3b, v38, -v42
	v_rndne_f32_e32 v44, v42
	s_delay_alu instid0(VALU_DEP_3) | instskip(NEXT) | instid1(VALU_DEP_2)
	v_and_or_b32 v40, 0x80000000, v41, v40
	v_dual_fmac_f32 v43, 0x32a5705f, v38 :: v_dual_sub_f32 v42, v42, v44
	s_delay_alu instid0(VALU_DEP_1) | instskip(SKIP_2) | instid1(VALU_DEP_3)
	v_add_f32_e32 v42, v42, v43
	v_cvt_i32_f32_e32 v43, v44
	v_dual_lshlrev_b32 v44, 30, v37 :: v_dual_bitop2_b32 v37, 1, v37 bitop3:0x40
	v_exp_f32_e32 v42, v42
	v_nop
	s_delay_alu instid0(TRANS32_DEP_1) | instskip(SKIP_2) | instid1(VALU_DEP_3)
	v_ldexp_f32 v42, v42, v43
	v_dual_mul_f32 v43, v6, v6 :: v_dual_fmaak_f32 v48, s25, v45, 0x3c0881c4
	v_fmaak_f32 v47, s26, v45, 0xbab64f3b
	v_cndmask_b32_e64 v42, 0, v42, s5
	s_delay_alu instid0(VALU_DEP_3) | instskip(SKIP_1) | instid1(VALU_DEP_2)
	v_fmaak_f32 v49, s25, v43, 0x3c0881c4
	v_cmp_nlt_f32_e64 s5, 0x42b17218, v38
	v_fmaak_f32 v49, v43, v49, 0xbe2aaa9d
	s_delay_alu instid0(VALU_DEP_2)
	v_cndmask_b32_e64 v38, 0x7f800000, v42, s5
	v_fmaak_f32 v42, s26, v43, 0xbab64f3b
	v_fmaak_f32 v41, v45, v47, 0x3d2aabf7
	v_cmp_eq_u32_e64 s5, 0, v37
	v_mul_f32_e32 v49, v43, v49
	v_dual_fmaak_f32 v47, v45, v48, 0xbe2aaa9d :: v_dual_lshrrev_b32 v48, 23, v38
	v_and_or_b32 v38, 0x7fffff, v38, s27
	s_delay_alu instid0(VALU_DEP_3) | instskip(NEXT) | instid1(VALU_DEP_3)
	v_fmac_f32_e32 v6, v6, v49
	v_dual_fmaak_f32 v42, v43, v42, 0x3d2aabf7 :: v_dual_mul_f32 v47, v45, v47
	v_fmaak_f32 v41, v45, v41, 0xbf000004
	v_subrev_nc_u32_e32 v48, 19, v48
	s_delay_alu instid0(VALU_DEP_3) | instskip(NEXT) | instid1(VALU_DEP_4)
	v_fmaak_f32 v42, v43, v42, 0xbf000004
	v_fmac_f32_e32 v36, v36, v47
	s_delay_alu instid0(VALU_DEP_4) | instskip(NEXT) | instid1(VALU_DEP_4)
	v_fma_f32 v41, v45, v41, 1.0
	v_lshrrev_b16 v45, 15, v48
	s_delay_alu instid0(VALU_DEP_4) | instskip(NEXT) | instid1(VALU_DEP_3)
	v_fma_f32 v42, v43, v42, 1.0
	v_cndmask_b32_e64 v36, -v36, v41, s5
	v_cmp_eq_u32_e64 s5, 0, v46
	s_delay_alu instid0(VALU_DEP_4) | instskip(NEXT) | instid1(VALU_DEP_2)
	v_add_nc_u16 v37, v48, v45
	v_cndmask_b32_e64 v6, v42, v6, s5
	v_cmp_class_f32_e64 s5, v39, 0x1f8
	s_delay_alu instid0(VALU_DEP_3) | instskip(NEXT) | instid1(VALU_DEP_3)
	v_ashrrev_i16 v37, 1, v37
	v_xor3_b32 v6, v40, v6, v39
	s_delay_alu instid0(VALU_DEP_2) | instskip(NEXT) | instid1(VALU_DEP_2)
	v_bfe_i32 v37, v37, 0, 16
	v_cndmask_b32_e64 v6, 0x7fc00000, v6, s5
	s_delay_alu instid0(VALU_DEP_2) | instskip(NEXT) | instid1(VALU_DEP_2)
	v_lshl_add_u32 v39, v37, 23, 1.0
	v_dual_mul_f32 v6, v6, v38 :: v_dual_sub_nc_u32 v37, v48, v37
	v_bitop3_b32 v36, v44, v36, 0x80000000 bitop3:0x6c
	s_delay_alu instid0(VALU_DEP_2) | instskip(NEXT) | instid1(VALU_DEP_3)
	v_lshl_add_u32 v37, v37, 23, 1.0
	v_mul_f32_e32 v6, v6, v39
	s_delay_alu instid0(VALU_DEP_3) | instskip(NEXT) | instid1(VALU_DEP_1)
	v_cndmask_b32_e64 v36, 0x7fc00000, v36, s5
	v_mul_f32_e32 v36, v36, v38
	s_delay_alu instid0(VALU_DEP_1) | instskip(NEXT) | instid1(VALU_DEP_1)
	v_mul_f32_e32 v36, v36, v39
	v_dual_mul_f32 v36, v36, v37 :: v_dual_mul_f32 v37, v6, v37
.LBB138_79:                             ;   in Loop: Header=BB138_4 Depth=1
	s_or_b32 exec_lo, exec_lo, s31
                                        ; implicit-def: $vgpr38
                                        ; implicit-def: $vgpr6
.LBB138_80:                             ;   in Loop: Header=BB138_4 Depth=1
	s_and_not1_saveexec_b32 s6, s30
	s_cbranch_execz .LBB138_86
; %bb.81:                               ;   in Loop: Header=BB138_4 Depth=1
	v_cmp_ne_u32_e64 s5, 0x7f800000, v6
	v_sub_f32_e32 v37, v39, v39
	s_and_saveexec_b32 s7, s5
	s_delay_alu instid0(SALU_CYCLE_1)
	s_xor_b32 s5, exec_lo, s7
; %bb.82:                               ;   in Loop: Header=BB138_4 Depth=1
                                        ; implicit-def: $vgpr38
; %bb.83:                               ;   in Loop: Header=BB138_4 Depth=1
	s_delay_alu instid0(SALU_CYCLE_1) | instskip(NEXT) | instid1(VALU_DEP_1)
	s_or_saveexec_b32 s7, s5
	v_mov_b32_e32 v36, v37
	s_xor_b32 exec_lo, exec_lo, s7
; %bb.84:                               ;   in Loop: Header=BB138_4 Depth=1
	v_cmp_lt_i32_e64 s5, -1, v38
	s_delay_alu instid0(VALU_DEP_1)
	v_dual_cndmask_b32 v36, 0, v38, s5 :: v_dual_cndmask_b32 v37, 0, v37, s5
; %bb.85:                               ;   in Loop: Header=BB138_4 Depth=1
	s_or_b32 exec_lo, exec_lo, s7
.LBB138_86:                             ;   in Loop: Header=BB138_4 Depth=1
	s_delay_alu instid0(SALU_CYCLE_1)
	s_or_b32 exec_lo, exec_lo, s6
                                        ; implicit-def: $vgpr39
                                        ; implicit-def: $vgpr40
.LBB138_87:                             ;   in Loop: Header=BB138_4 Depth=1
	s_and_not1_saveexec_b32 s29, s29
	s_cbranch_execz .LBB138_97
; %bb.88:                               ;   in Loop: Header=BB138_4 Depth=1
	v_lshrrev_b32_e32 v36, 23, v40
	v_cmp_ngt_f32_e64 s30, 0x48000000, |v39|
	v_and_or_b32 v6, v40, s24, 0x800000
                                        ; implicit-def: $vgpr37
	s_delay_alu instid0(VALU_DEP_3) | instskip(SKIP_1) | instid1(SALU_CYCLE_1)
	v_add_nc_u32_e32 v38, 0xffffff88, v36
                                        ; implicit-def: $vgpr36
	s_and_saveexec_b32 s5, s30
	s_xor_b32 s31, exec_lo, s5
	s_cbranch_execz .LBB138_90
; %bb.89:                               ;   in Loop: Header=BB138_4 Depth=1
	v_mul_u64_e32 v[36:37], s[18:19], v[6:7]
	v_mov_b32_e32 v43, v7
	v_cmp_lt_u32_e64 s5, 63, v38
	s_delay_alu instid0(VALU_DEP_3) | instskip(NEXT) | instid1(VALU_DEP_2)
	v_dual_mov_b32 v53, v7 :: v_dual_mov_b32 v42, v37
	v_cndmask_b32_e64 v37, 0, 0xffffffc0, s5
	s_delay_alu instid0(VALU_DEP_2) | instskip(NEXT) | instid1(VALU_DEP_2)
	v_mad_nc_u64_u32 v[42:43], 0x3c439041, v6, v[42:43]
	v_dual_mov_b32 v45, v7 :: v_dual_add_nc_u32 v37, v37, v38
	s_delay_alu instid0(VALU_DEP_1) | instskip(NEXT) | instid1(VALU_DEP_3)
	v_cmp_lt_u32_e64 s6, 31, v37
	v_mov_b32_e32 v44, v43
	s_delay_alu instid0(VALU_DEP_2) | instskip(NEXT) | instid1(VALU_DEP_2)
	v_cndmask_b32_e64 v41, 0, 0xffffffe0, s6
	v_mad_nc_u64_u32 v[44:45], 0xdb629599, v6, v[44:45]
	s_delay_alu instid0(VALU_DEP_2) | instskip(NEXT) | instid1(VALU_DEP_1)
	v_dual_mov_b32 v47, v7 :: v_dual_add_nc_u32 v37, v41, v37
	v_cmp_lt_u32_e64 s7, 31, v37
	s_delay_alu instid0(VALU_DEP_3) | instskip(NEXT) | instid1(VALU_DEP_2)
	v_mov_b32_e32 v46, v45
	v_cndmask_b32_e64 v41, 0, 0xffffffe0, s7
	v_cndmask_b32_e64 v36, v44, v36, s5
	s_delay_alu instid0(VALU_DEP_3) | instskip(NEXT) | instid1(VALU_DEP_3)
	v_mad_nc_u64_u32 v[46:47], 0xf534ddc0, v6, v[46:47]
	v_dual_mov_b32 v49, v7 :: v_dual_add_nc_u32 v37, v41, v37
	s_delay_alu instid0(VALU_DEP_2) | instskip(NEXT) | instid1(VALU_DEP_1)
	v_dual_cndmask_b32 v41, v46, v42, s5 :: v_dual_mov_b32 v48, v47
	v_mad_nc_u64_u32 v[48:49], 0xfc2757d1, v6, v[48:49]
	s_delay_alu instid0(VALU_DEP_1) | instskip(NEXT) | instid1(VALU_DEP_1)
	v_dual_mov_b32 v51, v7 :: v_dual_mov_b32 v50, v49
	v_mad_nc_u64_u32 v[50:51], 0x4e441529, v6, v[50:51]
	s_delay_alu instid0(VALU_DEP_1) | instskip(NEXT) | instid1(VALU_DEP_1)
	v_mov_b32_e32 v52, v51
	v_mad_nc_u64_u32 v[52:53], 0xa2f9836e, v6, v[52:53]
	s_delay_alu instid0(VALU_DEP_3) | instskip(NEXT) | instid1(VALU_DEP_2)
	v_dual_cndmask_b32 v43, v50, v46, s5 :: v_dual_sub_nc_u32 v46, 32, v37
	v_dual_cndmask_b32 v45, v52, v48, s5 :: v_dual_cndmask_b32 v47, v53, v50, s5
	v_cndmask_b32_e64 v48, v48, v44, s5
	v_cmp_eq_u32_e64 s5, 0, v37
	s_delay_alu instid0(VALU_DEP_3) | instskip(NEXT) | instid1(VALU_DEP_3)
	v_dual_cndmask_b32 v42, v45, v43, s6 :: v_dual_cndmask_b32 v45, v47, v45, s6
	v_dual_cndmask_b32 v43, v43, v48, s6 :: v_dual_cndmask_b32 v47, v48, v41, s6
	s_delay_alu instid0(VALU_DEP_1) | instskip(NEXT) | instid1(VALU_DEP_1)
	v_dual_cndmask_b32 v45, v45, v42, s7 :: v_dual_cndmask_b32 v42, v42, v43, s7
	v_alignbit_b32 v48, v45, v42, v46
	s_delay_alu instid0(VALU_DEP_1) | instskip(NEXT) | instid1(VALU_DEP_1)
	v_dual_cndmask_b32 v43, v43, v47, s7 :: v_dual_cndmask_b32 v37, v48, v45, s5
	v_alignbit_b32 v44, v42, v43, v46
	s_delay_alu instid0(VALU_DEP_1) | instskip(NEXT) | instid1(VALU_DEP_3)
	v_dual_cndmask_b32 v36, v41, v36, s6 :: v_dual_cndmask_b32 v41, v44, v42, s5
	v_bfe_u32 v42, v37, 29, 1
	s_delay_alu instid0(VALU_DEP_2) | instskip(NEXT) | instid1(VALU_DEP_3)
	v_cndmask_b32_e64 v36, v47, v36, s7
	v_alignbit_b32 v44, v37, v41, 30
	s_delay_alu instid0(VALU_DEP_3) | instskip(NEXT) | instid1(VALU_DEP_3)
	v_sub_nc_u32_e32 v45, 0, v42
	v_alignbit_b32 v46, v43, v36, v46
	s_delay_alu instid0(VALU_DEP_1) | instskip(NEXT) | instid1(VALU_DEP_1)
	v_dual_cndmask_b32 v43, v46, v43, s5 :: v_dual_bitop2_b32 v44, v44, v45 bitop3:0x14
	v_clz_i32_u32_e32 v46, v44
	s_delay_alu instid0(VALU_DEP_2) | instskip(SKIP_1) | instid1(VALU_DEP_3)
	v_alignbit_b32 v41, v41, v43, 30
	v_alignbit_b32 v36, v43, v36, 30
	v_min_u32_e32 v46, 32, v46
	s_delay_alu instid0(VALU_DEP_3) | instskip(NEXT) | instid1(VALU_DEP_3)
	v_xor_b32_e32 v41, v41, v45
	v_xor_b32_e32 v36, v36, v45
	v_dual_lshrrev_b32 v45, 29, v37 :: v_dual_lshrrev_b32 v37, 30, v37
	s_delay_alu instid0(VALU_DEP_4) | instskip(NEXT) | instid1(VALU_DEP_2)
	v_dual_sub_nc_u32 v43, 31, v46 :: v_dual_lshlrev_b32 v47, 23, v46
	v_add_nc_u32_e32 v37, v42, v37
	s_delay_alu instid0(VALU_DEP_2) | instskip(SKIP_2) | instid1(VALU_DEP_2)
	v_alignbit_b32 v44, v44, v41, v43
	v_alignbit_b32 v36, v41, v36, v43
	v_lshlrev_b32_e32 v41, 31, v45
	v_alignbit_b32 v43, v44, v36, 9
	s_delay_alu instid0(VALU_DEP_2) | instskip(SKIP_1) | instid1(VALU_DEP_3)
	v_dual_lshrrev_b32 v44, 9, v44 :: v_dual_bitop2_b32 v45, 0.5, v41 bitop3:0x54
	v_or_b32_e32 v41, 0x33000000, v41
	v_clz_i32_u32_e32 v48, v43
	s_delay_alu instid0(VALU_DEP_3) | instskip(NEXT) | instid1(VALU_DEP_2)
	v_sub_nc_u32_e32 v45, v45, v47
	v_min_u32_e32 v47, 32, v48
	s_delay_alu instid0(VALU_DEP_1) | instskip(NEXT) | instid1(VALU_DEP_3)
	v_add_lshl_u32 v46, v47, v46, 23
	v_or_b32_e32 v44, v44, v45
	v_not_b32_e32 v45, v47
	s_delay_alu instid0(VALU_DEP_2) | instskip(NEXT) | instid1(VALU_DEP_2)
	v_dual_mul_f32 v48, 0x3fc90fda, v44 :: v_dual_sub_nc_u32 v41, v41, v46
	v_alignbit_b32 v36, v43, v36, v45
	s_delay_alu instid0(VALU_DEP_2) | instskip(NEXT) | instid1(VALU_DEP_2)
	v_fma_f32 v43, 0x3fc90fda, v44, -v48
	v_lshrrev_b32_e32 v36, 9, v36
	s_delay_alu instid0(VALU_DEP_2) | instskip(NEXT) | instid1(VALU_DEP_2)
	v_fmac_f32_e32 v43, 0x33a22168, v44
	v_or_b32_e32 v36, v41, v36
	s_delay_alu instid0(VALU_DEP_1) | instskip(NEXT) | instid1(VALU_DEP_1)
	v_fmac_f32_e32 v43, 0x3fc90fda, v36
	v_add_f32_e32 v36, v48, v43
.LBB138_90:                             ;   in Loop: Header=BB138_4 Depth=1
	s_or_saveexec_b32 s5, s31
	v_mul_f32_e64 v41, 0x3f22f983, |v39|
	s_delay_alu instid0(VALU_DEP_1)
	v_rndne_f32_e32 v43, v41
	s_xor_b32 exec_lo, exec_lo, s5
; %bb.91:                               ;   in Loop: Header=BB138_4 Depth=1
	s_delay_alu instid0(VALU_DEP_1) | instskip(SKIP_1) | instid1(VALU_DEP_2)
	v_fma_f32 v36, 0xbfc90fda, v43, |v39|
	v_cvt_i32_f32_e32 v37, v43
	v_fmac_f32_e32 v36, 0xb3a22168, v43
	s_delay_alu instid0(VALU_DEP_1)
	v_fmac_f32_e32 v36, 0xa7c234c4, v43
; %bb.92:                               ;   in Loop: Header=BB138_4 Depth=1
	s_or_b32 exec_lo, exec_lo, s5
                                        ; implicit-def: $vgpr42
                                        ; implicit-def: $vgpr41
	s_and_saveexec_b32 s5, s30
	s_delay_alu instid0(SALU_CYCLE_1)
	s_xor_b32 s30, exec_lo, s5
	s_cbranch_execz .LBB138_94
; %bb.93:                               ;   in Loop: Header=BB138_4 Depth=1
	v_mul_u64_e32 v[42:43], s[18:19], v[6:7]
	v_mov_b32_e32 v45, v7
	v_cmp_lt_u32_e64 s5, 63, v38
	v_mov_b32_e32 v55, v7
	s_delay_alu instid0(VALU_DEP_2) | instskip(NEXT) | instid1(VALU_DEP_1)
	v_cndmask_b32_e64 v41, 0, 0xffffffc0, s5
	v_add_nc_u32_e32 v38, v41, v38
	s_delay_alu instid0(VALU_DEP_1) | instskip(NEXT) | instid1(VALU_DEP_1)
	v_cmp_lt_u32_e64 s6, 31, v38
	v_cndmask_b32_e64 v41, 0, 0xffffffe0, s6
	v_mov_b32_e32 v44, v43
	s_delay_alu instid0(VALU_DEP_1) | instskip(NEXT) | instid1(VALU_DEP_1)
	v_mad_nc_u64_u32 v[44:45], 0x3c439041, v6, v[44:45]
	v_dual_mov_b32 v47, v7 :: v_dual_mov_b32 v46, v45
	s_delay_alu instid0(VALU_DEP_1) | instskip(NEXT) | instid1(VALU_DEP_1)
	v_mad_nc_u64_u32 v[46:47], 0xdb629599, v6, v[46:47]
	v_dual_mov_b32 v49, v7 :: v_dual_mov_b32 v48, v47
	;; [unrolled: 3-line block ×4, first 2 shown]
	s_delay_alu instid0(VALU_DEP_1) | instskip(NEXT) | instid1(VALU_DEP_1)
	v_mad_nc_u64_u32 v[52:53], 0x4e441529, v6, v[52:53]
	v_mov_b32_e32 v54, v53
	s_delay_alu instid0(VALU_DEP_1) | instskip(NEXT) | instid1(VALU_DEP_3)
	v_mad_nc_u64_u32 v[54:55], 0xa2f9836e, v6, v[54:55]
	v_dual_add_nc_u32 v6, v41, v38 :: v_dual_cndmask_b32 v41, v52, v48, s5
	s_delay_alu instid0(VALU_DEP_2) | instskip(NEXT) | instid1(VALU_DEP_2)
	v_cndmask_b32_e64 v45, v55, v52, s5
	v_cmp_lt_u32_e64 s7, 31, v6
	s_delay_alu instid0(VALU_DEP_4) | instskip(SKIP_1) | instid1(VALU_DEP_3)
	v_cndmask_b32_e64 v43, v54, v50, s5
	v_cndmask_b32_e64 v47, v50, v46, s5
	;; [unrolled: 1-line block ×3, first 2 shown]
	s_delay_alu instid0(VALU_DEP_1) | instskip(NEXT) | instid1(VALU_DEP_4)
	v_dual_add_nc_u32 v6, v38, v6 :: v_dual_cndmask_b32 v38, v48, v44, s5
	v_dual_cndmask_b32 v44, v43, v41, s6 :: v_dual_cndmask_b32 v43, v45, v43, s6
	s_delay_alu instid0(VALU_DEP_2) | instskip(NEXT) | instid1(VALU_DEP_3)
	v_dual_cndmask_b32 v41, v41, v47, s6 :: v_dual_sub_nc_u32 v45, 32, v6
	v_cndmask_b32_e64 v47, v47, v38, s6
	s_delay_alu instid0(VALU_DEP_2) | instskip(NEXT) | instid1(VALU_DEP_2)
	v_dual_cndmask_b32 v43, v43, v44, s7 :: v_dual_cndmask_b32 v44, v44, v41, s7
	v_cndmask_b32_e64 v41, v41, v47, s7
	s_delay_alu instid0(VALU_DEP_2) | instskip(SKIP_2) | instid1(VALU_DEP_4)
	v_alignbit_b32 v48, v43, v44, v45
	v_cndmask_b32_e64 v42, v46, v42, s5
	v_cmp_eq_u32_e64 s5, 0, v6
	v_alignbit_b32 v46, v44, v41, v45
	s_delay_alu instid0(VALU_DEP_2) | instskip(NEXT) | instid1(VALU_DEP_1)
	v_cndmask_b32_e64 v6, v48, v43, s5
	v_bfe_u32 v43, v6, 29, 1
	v_cndmask_b32_e64 v38, v38, v42, s6
	s_delay_alu instid0(VALU_DEP_2) | instskip(NEXT) | instid1(VALU_DEP_2)
	v_dual_cndmask_b32 v42, v46, v44, s5 :: v_dual_sub_nc_u32 v46, 0, v43
	v_cndmask_b32_e64 v38, v47, v38, s7
	s_delay_alu instid0(VALU_DEP_2) | instskip(NEXT) | instid1(VALU_DEP_2)
	v_alignbit_b32 v44, v6, v42, 30
	v_alignbit_b32 v45, v41, v38, v45
	s_delay_alu instid0(VALU_DEP_1) | instskip(NEXT) | instid1(VALU_DEP_1)
	v_dual_cndmask_b32 v41, v45, v41, s5 :: v_dual_bitop2_b32 v44, v44, v46 bitop3:0x14
	v_clz_i32_u32_e32 v45, v44
	s_delay_alu instid0(VALU_DEP_2) | instskip(NEXT) | instid1(VALU_DEP_2)
	v_alignbit_b32 v42, v42, v41, 30
	v_min_u32_e32 v45, 32, v45
	v_alignbit_b32 v38, v41, v38, 30
	s_delay_alu instid0(VALU_DEP_2) | instskip(NEXT) | instid1(VALU_DEP_2)
	v_dual_sub_nc_u32 v42, 31, v45 :: v_dual_bitop2_b32 v41, v42, v46 bitop3:0x14
	v_xor_b32_e32 v38, v38, v46
	v_dual_lshrrev_b32 v46, 29, v6 :: v_dual_lshlrev_b32 v47, 23, v45
	v_lshrrev_b32_e32 v6, 30, v6
	s_delay_alu instid0(VALU_DEP_4) | instskip(NEXT) | instid1(VALU_DEP_4)
	v_alignbit_b32 v44, v44, v41, v42
	v_alignbit_b32 v38, v41, v38, v42
	s_delay_alu instid0(VALU_DEP_4) | instskip(NEXT) | instid1(VALU_DEP_2)
	v_lshlrev_b32_e32 v41, 31, v46
	v_alignbit_b32 v42, v44, v38, 9
	s_delay_alu instid0(VALU_DEP_2) | instskip(SKIP_1) | instid1(VALU_DEP_3)
	v_dual_lshrrev_b32 v44, 9, v44 :: v_dual_bitop2_b32 v46, 0.5, v41 bitop3:0x54
	v_or_b32_e32 v41, 0x33000000, v41
	v_clz_i32_u32_e32 v48, v42
	s_delay_alu instid0(VALU_DEP_3) | instskip(NEXT) | instid1(VALU_DEP_2)
	v_sub_nc_u32_e32 v46, v46, v47
	v_min_u32_e32 v47, 32, v48
	s_delay_alu instid0(VALU_DEP_1) | instskip(NEXT) | instid1(VALU_DEP_1)
	v_add_lshl_u32 v45, v47, v45, 23
	v_dual_sub_nc_u32 v41, v41, v45 :: v_dual_bitop2_b32 v44, v44, v46 bitop3:0x54
	v_not_b32_e32 v46, v47
	s_delay_alu instid0(VALU_DEP_2) | instskip(NEXT) | instid1(VALU_DEP_2)
	v_mul_f32_e32 v48, 0x3fc90fda, v44
	v_alignbit_b32 v38, v42, v38, v46
	s_delay_alu instid0(VALU_DEP_2) | instskip(NEXT) | instid1(VALU_DEP_2)
	v_fma_f32 v42, 0x3fc90fda, v44, -v48
	v_lshrrev_b32_e32 v38, 9, v38
	s_delay_alu instid0(VALU_DEP_2) | instskip(NEXT) | instid1(VALU_DEP_2)
	v_fmac_f32_e32 v42, 0x33a22168, v44
	v_or_b32_e32 v38, v41, v38
	s_delay_alu instid0(VALU_DEP_1) | instskip(NEXT) | instid1(VALU_DEP_1)
	v_fmac_f32_e32 v42, 0x3fc90fda, v38
	v_add_f32_e32 v41, v48, v42
	v_add_nc_u32_e32 v42, v43, v6
                                        ; implicit-def: $vgpr43
	s_and_not1_saveexec_b32 s5, s30
	s_cbranch_execnz .LBB138_95
	s_branch .LBB138_96
.LBB138_94:                             ;   in Loop: Header=BB138_4 Depth=1
	s_and_not1_saveexec_b32 s5, s30
.LBB138_95:                             ;   in Loop: Header=BB138_4 Depth=1
	v_fma_f32 v41, 0xbfc90fda, v43, |v39|
	v_cvt_i32_f32_e32 v42, v43
	s_delay_alu instid0(VALU_DEP_2) | instskip(NEXT) | instid1(VALU_DEP_1)
	v_fmac_f32_e32 v41, 0xb3a22168, v43
	v_fmac_f32_e32 v41, 0xa7c234c4, v43
.LBB138_96:                             ;   in Loop: Header=BB138_4 Depth=1
	s_or_b32 exec_lo, exec_lo, s5
	s_delay_alu instid0(VALU_DEP_1) | instskip(SKIP_1) | instid1(VALU_DEP_2)
	v_dual_mul_f32 v6, v36, v36 :: v_dual_mul_f32 v38, v41, v41
	v_dual_lshlrev_b32 v37, 30, v37 :: v_dual_bitop2_b32 v43, 1, v37 bitop3:0x40
	v_fmaak_f32 v44, s25, v6, 0x3c0881c4
	s_delay_alu instid0(VALU_DEP_3) | instskip(NEXT) | instid1(VALU_DEP_3)
	v_fmaak_f32 v46, s25, v38, 0x3c0881c4
	v_cmp_eq_u32_e64 s5, 0, v43
	s_delay_alu instid0(VALU_DEP_2) | instskip(NEXT) | instid1(VALU_DEP_1)
	v_fmaak_f32 v46, v38, v46, 0xbe2aaa9d
	v_mul_f32_e32 v46, v38, v46
	s_delay_alu instid0(VALU_DEP_1) | instskip(NEXT) | instid1(VALU_DEP_1)
	v_dual_fmaak_f32 v44, v6, v44, 0xbe2aaa9d :: v_dual_fmac_f32 v41, v41, v46
	v_dual_fmaak_f32 v45, s26, v6, 0xbab64f3b :: v_dual_mul_f32 v44, v6, v44
	v_fmaak_f32 v47, s26, v38, 0xbab64f3b
	s_delay_alu instid0(VALU_DEP_2) | instskip(NEXT) | instid1(VALU_DEP_2)
	v_dual_fmaak_f32 v45, v6, v45, 0x3d2aabf7 :: v_dual_fmac_f32 v36, v36, v44
	v_fmaak_f32 v47, v38, v47, 0x3d2aabf7
	s_delay_alu instid0(VALU_DEP_1) | instskip(NEXT) | instid1(VALU_DEP_1)
	v_fmaak_f32 v47, v38, v47, 0xbf000004
	v_fma_f32 v38, v38, v47, 1.0
	v_dual_lshlrev_b32 v42, 30, v42 :: v_dual_bitop2_b32 v48, 1, v42 bitop3:0x40
	v_fmaak_f32 v45, v6, v45, 0xbf000004
	s_delay_alu instid0(VALU_DEP_2) | instskip(NEXT) | instid1(VALU_DEP_2)
	v_and_or_b32 v40, 0x80000000, v42, v40
	v_fma_f32 v6, v6, v45, 1.0
	s_delay_alu instid0(VALU_DEP_1) | instskip(SKIP_1) | instid1(VALU_DEP_2)
	v_cndmask_b32_e64 v6, -v36, v6, s5
	v_cmp_eq_u32_e64 s5, 0, v48
	v_bitop3_b32 v6, v37, v6, 0x80000000 bitop3:0x6c
	s_delay_alu instid0(VALU_DEP_2) | instskip(SKIP_1) | instid1(VALU_DEP_2)
	v_cndmask_b32_e64 v36, v38, v41, s5
	v_cmp_class_f32_e64 s5, v39, 0x1f8
	v_xor3_b32 v37, v40, v36, v39
	s_delay_alu instid0(VALU_DEP_2) | instskip(NEXT) | instid1(VALU_DEP_2)
	v_cndmask_b32_e64 v36, 0x7fc00000, v6, s5
	v_cndmask_b32_e64 v37, 0x7fc00000, v37, s5
.LBB138_97:                             ;   in Loop: Header=BB138_4 Depth=1
	s_or_b32 exec_lo, exec_lo, s29
                                        ; implicit-def: $vgpr38
.LBB138_98:                             ;   in Loop: Header=BB138_4 Depth=1
	s_and_not1_saveexec_b32 s6, s28
	s_cbranch_execz .LBB138_100
; %bb.99:                               ;   in Loop: Header=BB138_4 Depth=1
	v_mul_f32_e32 v6, 0x3fb8aa3b, v38
	v_cmp_ngt_f32_e64 s5, 0xc2ce8ed0, v38
	s_delay_alu instid0(VALU_DEP_2) | instskip(SKIP_1) | instid1(VALU_DEP_1)
	v_rndne_f32_e32 v36, v6
	v_fma_f32 v37, 0x3fb8aa3b, v38, -v6
	v_dual_sub_f32 v6, v6, v36 :: v_dual_fmac_f32 v37, 0x32a5705f, v38
	v_cvt_i32_f32_e32 v36, v36
	s_delay_alu instid0(VALU_DEP_2) | instskip(NEXT) | instid1(VALU_DEP_1)
	v_dual_add_f32 v6, v6, v37 :: v_dual_mov_b32 v37, v39
	v_exp_f32_e32 v6, v6
	v_nop
	s_delay_alu instid0(TRANS32_DEP_1) | instskip(NEXT) | instid1(VALU_DEP_1)
	v_ldexp_f32 v6, v6, v36
	v_cndmask_b32_e64 v6, 0, v6, s5
	v_cmp_nlt_f32_e64 s5, 0x42b17218, v38
	s_delay_alu instid0(VALU_DEP_1)
	v_cndmask_b32_e64 v36, 0x7f800000, v6, s5
.LBB138_100:                            ;   in Loop: Header=BB138_4 Depth=1
	s_or_b32 exec_lo, exec_lo, s6
	v_and_b32_e32 v40, 0x7fffffff, v35
                                        ; implicit-def: $vgpr39
	s_mov_b32 s6, exec_lo
	s_delay_alu instid0(VALU_DEP_1)
	v_cmpx_ne_u32_e32 0, v40
	s_xor_b32 s28, exec_lo, s6
	s_cbranch_execz .LBB138_142
; %bb.101:                              ;   in Loop: Header=BB138_4 Depth=1
	v_and_b32_e32 v6, 0x7fffffff, v34
                                        ; implicit-def: $vgpr39
	s_mov_b32 s6, exec_lo
	s_delay_alu instid0(VALU_DEP_1)
	v_cmpx_ne_u32_e32 0, v6
	s_xor_b32 s29, exec_lo, s6
	s_cbranch_execz .LBB138_131
; %bb.102:                              ;   in Loop: Header=BB138_4 Depth=1
                                        ; implicit-def: $vgpr39
	s_mov_b32 s6, exec_lo
	v_cmpx_gt_u32_e32 0x7f800000, v40
	s_xor_b32 s30, exec_lo, s6
	s_cbranch_execz .LBB138_124
; %bb.103:                              ;   in Loop: Header=BB138_4 Depth=1
	v_add_nc_u32_e32 v6, 0xbd4e8de8, v34
                                        ; implicit-def: $vgpr39
	s_mov_b32 s6, exec_lo
	s_delay_alu instid0(VALU_DEP_1)
	v_cmpx_lt_u32_e32 0x8e8e5c, v6
	s_xor_b32 s31, exec_lo, s6
	s_cbranch_execz .LBB138_113
; %bb.104:                              ;   in Loop: Header=BB138_4 Depth=1
	v_cmp_ngt_f32_e64 s33, 0x48000000, |v35|
                                        ; implicit-def: $vgpr39
                                        ; implicit-def: $vgpr38
	s_and_saveexec_b32 s5, s33
	s_delay_alu instid0(SALU_CYCLE_1)
	s_xor_b32 s34, exec_lo, s5
	s_cbranch_execz .LBB138_106
; %bb.105:                              ;   in Loop: Header=BB138_4 Depth=1
	v_and_or_b32 v6, v40, s24, 0x800000
	v_dual_mov_b32 v51, v7 :: v_dual_mov_b32 v53, v7
	s_delay_alu instid0(VALU_DEP_2) | instskip(NEXT) | instid1(VALU_DEP_1)
	v_mul_u64_e32 v[38:39], s[18:19], v[6:7]
	v_dual_mov_b32 v43, v7 :: v_dual_mov_b32 v42, v39
	v_lshrrev_b32_e32 v39, 23, v40
	s_delay_alu instid0(VALU_DEP_2) | instskip(SKIP_1) | instid1(VALU_DEP_3)
	v_mad_nc_u64_u32 v[42:43], 0x3c439041, v6, v[42:43]
	v_mov_b32_e32 v45, v7
	v_add_nc_u32_e32 v39, 0xffffff88, v39
	s_delay_alu instid0(VALU_DEP_1) | instskip(NEXT) | instid1(VALU_DEP_4)
	v_cmp_lt_u32_e64 s5, 63, v39
	v_mov_b32_e32 v44, v43
	s_delay_alu instid0(VALU_DEP_2) | instskip(NEXT) | instid1(VALU_DEP_2)
	v_cndmask_b32_e64 v41, 0, 0xffffffc0, s5
	v_mad_nc_u64_u32 v[44:45], 0xdb629599, v6, v[44:45]
	s_delay_alu instid0(VALU_DEP_2) | instskip(NEXT) | instid1(VALU_DEP_1)
	v_dual_mov_b32 v47, v7 :: v_dual_add_nc_u32 v39, v41, v39
	v_cmp_lt_u32_e64 s6, 31, v39
	s_delay_alu instid0(VALU_DEP_3) | instskip(NEXT) | instid1(VALU_DEP_2)
	v_dual_mov_b32 v46, v45 :: v_dual_cndmask_b32 v38, v44, v38, s5
	v_cndmask_b32_e64 v41, 0, 0xffffffe0, s6
	s_delay_alu instid0(VALU_DEP_2) | instskip(NEXT) | instid1(VALU_DEP_1)
	v_mad_nc_u64_u32 v[46:47], 0xf534ddc0, v6, v[46:47]
	v_dual_mov_b32 v49, v7 :: v_dual_mov_b32 v48, v47
	s_delay_alu instid0(VALU_DEP_1) | instskip(NEXT) | instid1(VALU_DEP_1)
	v_mad_nc_u64_u32 v[48:49], 0xfc2757d1, v6, v[48:49]
	v_dual_mov_b32 v50, v49 :: v_dual_cndmask_b32 v47, v48, v44, s5
	s_delay_alu instid0(VALU_DEP_1) | instskip(NEXT) | instid1(VALU_DEP_1)
	v_mad_nc_u64_u32 v[50:51], 0x4e441529, v6, v[50:51]
	v_mov_b32_e32 v52, v51
	s_delay_alu instid0(VALU_DEP_1) | instskip(NEXT) | instid1(VALU_DEP_3)
	v_mad_nc_u64_u32 v[52:53], 0xa2f9836e, v6, v[52:53]
	v_dual_add_nc_u32 v6, v41, v39 :: v_dual_cndmask_b32 v41, v50, v46, s5
	s_delay_alu instid0(VALU_DEP_1) | instskip(NEXT) | instid1(VALU_DEP_1)
	v_cmp_lt_u32_e64 s7, 31, v6
	v_cndmask_b32_e64 v39, 0, 0xffffffe0, s7
	s_delay_alu instid0(VALU_DEP_4) | instskip(NEXT) | instid1(VALU_DEP_2)
	v_dual_cndmask_b32 v43, v52, v48, s5 :: v_dual_cndmask_b32 v45, v53, v50, s5
	v_add_nc_u32_e32 v6, v39, v6
	s_delay_alu instid0(VALU_DEP_2) | instskip(NEXT) | instid1(VALU_DEP_3)
	v_dual_cndmask_b32 v39, v46, v42, s5 :: v_dual_cndmask_b32 v42, v43, v41, s6
	v_cndmask_b32_e64 v43, v45, v43, s6
	s_delay_alu instid0(VALU_DEP_3) | instskip(NEXT) | instid1(VALU_DEP_3)
	v_dual_cndmask_b32 v41, v41, v47, s6 :: v_dual_sub_nc_u32 v45, 32, v6
	v_cndmask_b32_e64 v46, v47, v39, s6
	v_cmp_eq_u32_e64 s5, 0, v6
	s_delay_alu instid0(VALU_DEP_3) | instskip(NEXT) | instid1(VALU_DEP_3)
	v_dual_cndmask_b32 v43, v43, v42, s7 :: v_dual_cndmask_b32 v42, v42, v41, s7
	v_cndmask_b32_e64 v41, v41, v46, s7
	v_cndmask_b32_e64 v38, v39, v38, s6
	s_delay_alu instid0(VALU_DEP_2) | instskip(NEXT) | instid1(VALU_DEP_1)
	v_alignbit_b32 v44, v42, v41, v45
	v_cndmask_b32_e64 v39, v44, v42, s5
	v_alignbit_b32 v47, v43, v42, v45
	s_delay_alu instid0(VALU_DEP_1) | instskip(NEXT) | instid1(VALU_DEP_1)
	v_cndmask_b32_e64 v6, v47, v43, s5
	v_bfe_u32 v42, v6, 29, 1
	s_delay_alu instid0(VALU_DEP_4) | instskip(NEXT) | instid1(VALU_DEP_2)
	v_alignbit_b32 v43, v6, v39, 30
	v_sub_nc_u32_e32 v44, 0, v42
	s_delay_alu instid0(VALU_DEP_1) | instskip(NEXT) | instid1(VALU_DEP_1)
	v_dual_cndmask_b32 v38, v46, v38, s7 :: v_dual_bitop2_b32 v43, v43, v44 bitop3:0x14
	v_alignbit_b32 v45, v41, v38, v45
	s_delay_alu instid0(VALU_DEP_1) | instskip(NEXT) | instid1(VALU_DEP_3)
	v_cndmask_b32_e64 v41, v45, v41, s5
	v_clz_i32_u32_e32 v45, v43
	s_delay_alu instid0(VALU_DEP_2) | instskip(NEXT) | instid1(VALU_DEP_2)
	v_alignbit_b32 v39, v39, v41, 30
	v_min_u32_e32 v45, 32, v45
	s_delay_alu instid0(VALU_DEP_2) | instskip(SKIP_1) | instid1(VALU_DEP_3)
	v_xor_b32_e32 v39, v39, v44
	v_alignbit_b32 v38, v41, v38, 30
	v_dual_sub_nc_u32 v41, 31, v45 :: v_dual_lshlrev_b32 v46, 23, v45
	s_delay_alu instid0(VALU_DEP_2) | instskip(NEXT) | instid1(VALU_DEP_2)
	v_dual_lshrrev_b32 v44, 29, v6 :: v_dual_bitop2_b32 v38, v38, v44 bitop3:0x14
	v_alignbit_b32 v43, v43, v39, v41
	v_lshrrev_b32_e32 v6, 30, v6
	s_delay_alu instid0(VALU_DEP_3) | instskip(NEXT) | instid1(VALU_DEP_4)
	v_alignbit_b32 v38, v39, v38, v41
	v_lshlrev_b32_e32 v39, 31, v44
	s_delay_alu instid0(VALU_DEP_2) | instskip(NEXT) | instid1(VALU_DEP_2)
	v_alignbit_b32 v41, v43, v38, 9
	v_or_b32_e32 v44, 0.5, v39
	v_lshrrev_b32_e32 v43, 9, v43
	v_or_b32_e32 v39, 0x33000000, v39
	s_delay_alu instid0(VALU_DEP_4) | instskip(NEXT) | instid1(VALU_DEP_4)
	v_clz_i32_u32_e32 v47, v41
	v_sub_nc_u32_e32 v44, v44, v46
	s_delay_alu instid0(VALU_DEP_2) | instskip(NEXT) | instid1(VALU_DEP_2)
	v_min_u32_e32 v46, 32, v47
	v_or_b32_e32 v43, v43, v44
	s_delay_alu instid0(VALU_DEP_2) | instskip(SKIP_1) | instid1(VALU_DEP_2)
	v_not_b32_e32 v44, v46
	v_add_lshl_u32 v45, v46, v45, 23
	v_alignbit_b32 v38, v41, v38, v44
	s_delay_alu instid0(VALU_DEP_1) | instskip(SKIP_1) | instid1(VALU_DEP_2)
	v_dual_sub_nc_u32 v39, v39, v45 :: v_dual_lshrrev_b32 v38, 9, v38
	v_mul_f32_e32 v47, 0x3fc90fda, v43
	v_or_b32_e32 v38, v39, v38
	s_delay_alu instid0(VALU_DEP_2) | instskip(SKIP_1) | instid1(VALU_DEP_2)
	v_fma_f32 v41, 0x3fc90fda, v43, -v47
	v_add_nc_u32_e32 v39, v42, v6
	v_fmac_f32_e32 v41, 0x33a22168, v43
	s_delay_alu instid0(VALU_DEP_1) | instskip(NEXT) | instid1(VALU_DEP_1)
	v_fmac_f32_e32 v41, 0x3fc90fda, v38
	v_add_f32_e32 v38, v47, v41
	s_and_not1_saveexec_b32 s5, s34
	s_branch .LBB138_107
.LBB138_106:                            ;   in Loop: Header=BB138_4 Depth=1
	s_and_not1_saveexec_b32 s5, s34
.LBB138_107:                            ;   in Loop: Header=BB138_4 Depth=1
	v_mul_f32_e64 v6, 0x3f22f983, |v35|
	s_delay_alu instid0(VALU_DEP_1) | instskip(NEXT) | instid1(VALU_DEP_1)
	v_rndne_f32_e32 v6, v6
	v_fma_f32 v38, 0xbfc90fda, v6, |v35|
	v_cvt_i32_f32_e32 v39, v6
	s_delay_alu instid0(VALU_DEP_2) | instskip(NEXT) | instid1(VALU_DEP_1)
	v_fmac_f32_e32 v38, 0xb3a22168, v6
	v_fmac_f32_e32 v38, 0xa7c234c4, v6
; %bb.108:                              ;   in Loop: Header=BB138_4 Depth=1
	s_or_b32 exec_lo, exec_lo, s5
                                        ; implicit-def: $vgpr41
                                        ; implicit-def: $vgpr6
	s_and_saveexec_b32 s5, s33
	s_delay_alu instid0(SALU_CYCLE_1)
	s_xor_b32 s33, exec_lo, s5
	s_cbranch_execz .LBB138_110
; %bb.109:                              ;   in Loop: Header=BB138_4 Depth=1
	v_and_or_b32 v6, v40, s24, 0x800000
	v_dual_lshrrev_b32 v41, 23, v40 :: v_dual_mov_b32 v53, v7
	s_delay_alu instid0(VALU_DEP_2) | instskip(SKIP_1) | instid1(VALU_DEP_3)
	v_mul_u64_e32 v[42:43], s[18:19], v[6:7]
	v_mov_b32_e32 v45, v7
	v_add_nc_u32_e32 v41, 0xffffff88, v41
	s_delay_alu instid0(VALU_DEP_1) | instskip(NEXT) | instid1(VALU_DEP_4)
	v_cmp_lt_u32_e64 s5, 63, v41
	v_mov_b32_e32 v44, v43
	s_delay_alu instid0(VALU_DEP_2) | instskip(NEXT) | instid1(VALU_DEP_2)
	v_cndmask_b32_e64 v43, 0, 0xffffffc0, s5
	v_mad_nc_u64_u32 v[44:45], 0x3c439041, v6, v[44:45]
	s_delay_alu instid0(VALU_DEP_1) | instskip(NEXT) | instid1(VALU_DEP_1)
	v_dual_mov_b32 v47, v7 :: v_dual_mov_b32 v46, v45
	v_mad_nc_u64_u32 v[46:47], 0xdb629599, v6, v[46:47]
	s_delay_alu instid0(VALU_DEP_1) | instskip(NEXT) | instid1(VALU_DEP_2)
	v_dual_mov_b32 v49, v7 :: v_dual_mov_b32 v48, v47
	v_cndmask_b32_e64 v42, v46, v42, s5
	s_delay_alu instid0(VALU_DEP_2) | instskip(NEXT) | instid1(VALU_DEP_1)
	v_mad_nc_u64_u32 v[48:49], 0xf534ddc0, v6, v[48:49]
	v_dual_mov_b32 v51, v7 :: v_dual_mov_b32 v50, v49
	s_delay_alu instid0(VALU_DEP_1) | instskip(NEXT) | instid1(VALU_DEP_1)
	v_mad_nc_u64_u32 v[50:51], 0xfc2757d1, v6, v[50:51]
	v_dual_mov_b32 v52, v51 :: v_dual_cndmask_b32 v49, v50, v46, s5
	s_delay_alu instid0(VALU_DEP_1) | instskip(SKIP_1) | instid1(VALU_DEP_2)
	v_mad_nc_u64_u32 v[52:53], 0x4e441529, v6, v[52:53]
	v_add_nc_u32_e32 v41, v43, v41
	v_dual_mov_b32 v55, v7 :: v_dual_mov_b32 v54, v53
	s_delay_alu instid0(VALU_DEP_2) | instskip(NEXT) | instid1(VALU_DEP_2)
	v_cmp_lt_u32_e64 s6, 31, v41
	v_mad_nc_u64_u32 v[54:55], 0xa2f9836e, v6, v[54:55]
	s_delay_alu instid0(VALU_DEP_2) | instskip(NEXT) | instid1(VALU_DEP_1)
	v_cndmask_b32_e64 v43, 0, 0xffffffe0, s6
	v_dual_add_nc_u32 v6, v43, v41 :: v_dual_cndmask_b32 v43, v52, v48, s5
	s_delay_alu instid0(VALU_DEP_3) | instskip(NEXT) | instid1(VALU_DEP_2)
	v_cndmask_b32_e64 v45, v54, v50, s5
	v_cmp_lt_u32_e64 s7, 31, v6
	v_cndmask_b32_e64 v47, v55, v52, s5
	s_delay_alu instid0(VALU_DEP_2) | instskip(NEXT) | instid1(VALU_DEP_1)
	v_cndmask_b32_e64 v41, 0, 0xffffffe0, s7
	v_dual_add_nc_u32 v6, v41, v6 :: v_dual_cndmask_b32 v41, v48, v44, s5
	s_delay_alu instid0(VALU_DEP_3) | instskip(NEXT) | instid1(VALU_DEP_2)
	v_dual_cndmask_b32 v44, v45, v43, s6 :: v_dual_cndmask_b32 v45, v47, v45, s6
	v_dual_cndmask_b32 v43, v43, v49, s6 :: v_dual_sub_nc_u32 v47, 32, v6
	s_delay_alu instid0(VALU_DEP_3) | instskip(SKIP_1) | instid1(VALU_DEP_3)
	v_cndmask_b32_e64 v48, v49, v41, s6
	v_cmp_eq_u32_e64 s5, 0, v6
	v_dual_cndmask_b32 v45, v45, v44, s7 :: v_dual_cndmask_b32 v44, v44, v43, s7
	s_delay_alu instid0(VALU_DEP_1) | instskip(NEXT) | instid1(VALU_DEP_1)
	v_alignbit_b32 v49, v45, v44, v47
	v_dual_cndmask_b32 v43, v43, v48, s7 :: v_dual_cndmask_b32 v6, v49, v45, s5
	s_delay_alu instid0(VALU_DEP_1) | instskip(NEXT) | instid1(VALU_DEP_1)
	v_alignbit_b32 v46, v44, v43, v47
	v_dual_cndmask_b32 v41, v41, v42, s6 :: v_dual_cndmask_b32 v42, v46, v44, s5
	s_delay_alu instid0(VALU_DEP_3) | instskip(NEXT) | instid1(VALU_DEP_2)
	v_bfe_u32 v44, v6, 29, 1
	v_cndmask_b32_e64 v41, v48, v41, s7
	s_delay_alu instid0(VALU_DEP_3) | instskip(NEXT) | instid1(VALU_DEP_3)
	v_alignbit_b32 v45, v6, v42, 30
	v_sub_nc_u32_e32 v46, 0, v44
	s_delay_alu instid0(VALU_DEP_3) | instskip(NEXT) | instid1(VALU_DEP_1)
	v_alignbit_b32 v47, v43, v41, v47
	v_dual_cndmask_b32 v43, v47, v43, s5 :: v_dual_bitop2_b32 v45, v45, v46 bitop3:0x14
	s_delay_alu instid0(VALU_DEP_1) | instskip(NEXT) | instid1(VALU_DEP_2)
	v_clz_i32_u32_e32 v47, v45
	v_alignbit_b32 v42, v42, v43, 30
	v_alignbit_b32 v41, v43, v41, 30
	s_delay_alu instid0(VALU_DEP_3) | instskip(NEXT) | instid1(VALU_DEP_3)
	v_min_u32_e32 v47, 32, v47
	v_xor_b32_e32 v42, v42, v46
	s_delay_alu instid0(VALU_DEP_3) | instskip(NEXT) | instid1(VALU_DEP_3)
	v_xor_b32_e32 v41, v41, v46
	v_dual_lshrrev_b32 v46, 29, v6 :: v_dual_lshlrev_b32 v48, 23, v47
	v_sub_nc_u32_e32 v43, 31, v47
	s_delay_alu instid0(VALU_DEP_1) | instskip(NEXT) | instid1(VALU_DEP_4)
	v_alignbit_b32 v45, v45, v42, v43
	v_alignbit_b32 v41, v42, v41, v43
	s_delay_alu instid0(VALU_DEP_4) | instskip(NEXT) | instid1(VALU_DEP_2)
	v_lshlrev_b32_e32 v42, 31, v46
	v_alignbit_b32 v43, v45, v41, 9
	s_delay_alu instid0(VALU_DEP_2) | instskip(SKIP_1) | instid1(VALU_DEP_3)
	v_dual_lshrrev_b32 v45, 9, v45 :: v_dual_bitop2_b32 v46, 0.5, v42 bitop3:0x54
	v_or_b32_e32 v42, 0x33000000, v42
	v_clz_i32_u32_e32 v49, v43
	s_delay_alu instid0(VALU_DEP_3) | instskip(NEXT) | instid1(VALU_DEP_2)
	v_sub_nc_u32_e32 v46, v46, v48
	v_min_u32_e32 v48, 32, v49
	s_delay_alu instid0(VALU_DEP_1) | instskip(NEXT) | instid1(VALU_DEP_3)
	v_add_lshl_u32 v47, v48, v47, 23
	v_or_b32_e32 v45, v45, v46
	v_not_b32_e32 v46, v48
	s_delay_alu instid0(VALU_DEP_2) | instskip(NEXT) | instid1(VALU_DEP_2)
	v_dual_mul_f32 v49, 0x3fc90fda, v45 :: v_dual_sub_nc_u32 v42, v42, v47
	v_alignbit_b32 v41, v43, v41, v46
	s_delay_alu instid0(VALU_DEP_2) | instskip(NEXT) | instid1(VALU_DEP_2)
	v_fma_f32 v43, 0x3fc90fda, v45, -v49
	v_lshrrev_b32_e32 v41, 9, v41
	s_delay_alu instid0(VALU_DEP_2) | instskip(NEXT) | instid1(VALU_DEP_2)
	v_fmac_f32_e32 v43, 0x33a22168, v45
	v_or_b32_e32 v41, v42, v41
	s_delay_alu instid0(VALU_DEP_1) | instskip(NEXT) | instid1(VALU_DEP_1)
	v_fmac_f32_e32 v43, 0x3fc90fda, v41
	v_dual_add_f32 v6, v49, v43 :: v_dual_lshrrev_b32 v41, 30, v6
	s_delay_alu instid0(VALU_DEP_1)
	v_add_nc_u32_e32 v41, v44, v41
	s_and_not1_saveexec_b32 s5, s33
	s_cbranch_execnz .LBB138_111
	s_branch .LBB138_112
.LBB138_110:                            ;   in Loop: Header=BB138_4 Depth=1
	s_and_not1_saveexec_b32 s5, s33
.LBB138_111:                            ;   in Loop: Header=BB138_4 Depth=1
	v_mul_f32_e64 v6, 0x3f22f983, |v35|
	s_delay_alu instid0(VALU_DEP_1) | instskip(NEXT) | instid1(VALU_DEP_1)
	v_rndne_f32_e32 v41, v6
	v_fma_f32 v6, 0xbfc90fda, v41, |v35|
	s_delay_alu instid0(VALU_DEP_1) | instskip(NEXT) | instid1(VALU_DEP_1)
	v_fmac_f32_e32 v6, 0xb3a22168, v41
	v_fmac_f32_e32 v6, 0xa7c234c4, v41
	v_cvt_i32_f32_e32 v41, v41
.LBB138_112:                            ;   in Loop: Header=BB138_4 Depth=1
	s_or_b32 exec_lo, exec_lo, s5
	v_mul_f32_e32 v42, 0x3fb8aa3b, v34
	v_dual_mul_f32 v43, v38, v38 :: v_dual_bitop2_b32 v44, 1, v39 bitop3:0x40
	v_mul_f32_e32 v45, v6, v6
	v_cmp_nlt_f32_e64 s6, 0x42b17218, v34
	s_delay_alu instid0(VALU_DEP_4)
	v_rndne_f32_e32 v46, v42
	v_fma_f32 v47, 0x3fb8aa3b, v34, -v42
	v_fmaak_f32 v48, s25, v43, 0x3c0881c4
	v_fmaak_f32 v49, s26, v43, 0xbab64f3b
	v_dual_fmaak_f32 v50, s25, v45, 0x3c0881c4 :: v_dual_lshlrev_b32 v39, 30, v39
	v_sub_f32_e32 v42, v42, v46
	s_delay_alu instid0(VALU_DEP_4) | instskip(SKIP_1) | instid1(VALU_DEP_4)
	v_fmaak_f32 v48, v43, v48, 0xbe2aaa9d
	v_fmac_f32_e32 v47, 0x32a5705f, v34
	v_fmaak_f32 v50, v45, v50, 0xbe2aaa9d
	v_fmaak_f32 v49, v43, v49, 0x3d2aabf7
	v_cvt_i32_f32_e32 v46, v46
	v_dual_mul_f32 v48, v43, v48 :: v_dual_fmaak_f32 v51, s26, v45, 0xbab64f3b
	s_delay_alu instid0(VALU_DEP_4) | instskip(NEXT) | instid1(VALU_DEP_2)
	v_dual_add_f32 v42, v42, v47 :: v_dual_mul_f32 v50, v45, v50
	v_dual_fmaak_f32 v49, v43, v49, 0xbf000004 :: v_dual_fmac_f32 v38, v38, v48
	s_delay_alu instid0(VALU_DEP_3) | instskip(NEXT) | instid1(VALU_DEP_3)
	v_fmaak_f32 v47, v45, v51, 0x3d2aabf7
	v_exp_f32_e32 v42, v42
	s_delay_alu instid0(VALU_DEP_3) | instskip(NEXT) | instid1(VALU_DEP_3)
	v_fmac_f32_e32 v6, v6, v50
	v_fma_f32 v43, v43, v49, 1.0
	v_cmp_eq_u32_e64 s5, 0, v44
	v_fmaak_f32 v47, v45, v47, 0xbf000004
	s_delay_alu instid0(TRANS32_DEP_1) | instskip(NEXT) | instid1(VALU_DEP_3)
	v_ldexp_f32 v42, v42, v46
	v_dual_cndmask_b32 v38, -v38, v43, s5 :: v_dual_bitop2_b32 v46, 1, v41 bitop3:0x40
	s_delay_alu instid0(VALU_DEP_3) | instskip(SKIP_1) | instid1(VALU_DEP_3)
	v_fma_f32 v45, v45, v47, 1.0
	v_lshlrev_b32_e32 v41, 30, v41
	v_cmp_eq_u32_e64 s5, 0, v46
	s_delay_alu instid0(VALU_DEP_4) | instskip(NEXT) | instid1(VALU_DEP_3)
	v_bitop3_b32 v38, v39, v38, 0x80000000 bitop3:0x6c
	v_and_or_b32 v40, 0x80000000, v41, v40
	s_delay_alu instid0(VALU_DEP_3) | instskip(SKIP_1) | instid1(VALU_DEP_2)
	v_cndmask_b32_e64 v6, v45, v6, s5
	v_cmp_ngt_f32_e64 s5, 0xc2ce8ed0, v34
	v_xor3_b32 v6, v40, v6, v35
	s_delay_alu instid0(VALU_DEP_2) | instskip(SKIP_1) | instid1(VALU_DEP_2)
	v_cndmask_b32_e64 v41, 0, v42, s5
	v_cmp_class_f32_e64 s5, v35, 0x1f8
                                        ; implicit-def: $vgpr40
	v_cndmask_b32_e64 v34, 0x7f800000, v41, s6
	s_delay_alu instid0(VALU_DEP_2) | instskip(SKIP_1) | instid1(VALU_DEP_1)
	v_cndmask_b32_e64 v35, 0x7fc00000, v38, s5
	v_cndmask_b32_e64 v6, 0x7fc00000, v6, s5
	v_dual_mul_f32 v38, v34, v35 :: v_dual_mul_f32 v39, v34, v6
                                        ; implicit-def: $vgpr35
.LBB138_113:                            ;   in Loop: Header=BB138_4 Depth=1
	s_and_not1_saveexec_b32 s31, s31
	s_cbranch_execz .LBB138_123
; %bb.114:                              ;   in Loop: Header=BB138_4 Depth=1
	v_cmp_ngt_f32_e64 s33, 0x48000000, |v35|
                                        ; implicit-def: $vgpr39
                                        ; implicit-def: $vgpr38
	s_and_saveexec_b32 s5, s33
	s_delay_alu instid0(SALU_CYCLE_1)
	s_xor_b32 s34, exec_lo, s5
	s_cbranch_execz .LBB138_116
; %bb.115:                              ;   in Loop: Header=BB138_4 Depth=1
	v_and_or_b32 v6, v40, s24, 0x800000
	v_dual_mov_b32 v51, v7 :: v_dual_mov_b32 v53, v7
	s_delay_alu instid0(VALU_DEP_2) | instskip(NEXT) | instid1(VALU_DEP_1)
	v_mul_u64_e32 v[38:39], s[18:19], v[6:7]
	v_dual_mov_b32 v43, v7 :: v_dual_mov_b32 v42, v39
	v_lshrrev_b32_e32 v39, 23, v40
	s_delay_alu instid0(VALU_DEP_2) | instskip(SKIP_1) | instid1(VALU_DEP_3)
	v_mad_nc_u64_u32 v[42:43], 0x3c439041, v6, v[42:43]
	v_mov_b32_e32 v45, v7
	v_add_nc_u32_e32 v39, 0xffffff88, v39
	s_delay_alu instid0(VALU_DEP_1) | instskip(NEXT) | instid1(VALU_DEP_4)
	v_cmp_lt_u32_e64 s5, 63, v39
	v_mov_b32_e32 v44, v43
	s_delay_alu instid0(VALU_DEP_2) | instskip(NEXT) | instid1(VALU_DEP_2)
	v_cndmask_b32_e64 v41, 0, 0xffffffc0, s5
	v_mad_nc_u64_u32 v[44:45], 0xdb629599, v6, v[44:45]
	s_delay_alu instid0(VALU_DEP_2) | instskip(NEXT) | instid1(VALU_DEP_1)
	v_dual_mov_b32 v47, v7 :: v_dual_add_nc_u32 v39, v41, v39
	v_cmp_lt_u32_e64 s6, 31, v39
	s_delay_alu instid0(VALU_DEP_3) | instskip(NEXT) | instid1(VALU_DEP_2)
	v_dual_mov_b32 v46, v45 :: v_dual_cndmask_b32 v38, v44, v38, s5
	v_cndmask_b32_e64 v41, 0, 0xffffffe0, s6
	s_delay_alu instid0(VALU_DEP_2) | instskip(NEXT) | instid1(VALU_DEP_1)
	v_mad_nc_u64_u32 v[46:47], 0xf534ddc0, v6, v[46:47]
	v_dual_mov_b32 v49, v7 :: v_dual_mov_b32 v48, v47
	s_delay_alu instid0(VALU_DEP_1) | instskip(NEXT) | instid1(VALU_DEP_1)
	v_mad_nc_u64_u32 v[48:49], 0xfc2757d1, v6, v[48:49]
	v_dual_mov_b32 v50, v49 :: v_dual_cndmask_b32 v47, v48, v44, s5
	s_delay_alu instid0(VALU_DEP_1) | instskip(NEXT) | instid1(VALU_DEP_1)
	v_mad_nc_u64_u32 v[50:51], 0x4e441529, v6, v[50:51]
	v_mov_b32_e32 v52, v51
	s_delay_alu instid0(VALU_DEP_1) | instskip(NEXT) | instid1(VALU_DEP_3)
	v_mad_nc_u64_u32 v[52:53], 0xa2f9836e, v6, v[52:53]
	v_dual_add_nc_u32 v6, v41, v39 :: v_dual_cndmask_b32 v41, v50, v46, s5
	s_delay_alu instid0(VALU_DEP_1) | instskip(NEXT) | instid1(VALU_DEP_1)
	v_cmp_lt_u32_e64 s7, 31, v6
	v_cndmask_b32_e64 v39, 0, 0xffffffe0, s7
	s_delay_alu instid0(VALU_DEP_4) | instskip(NEXT) | instid1(VALU_DEP_2)
	v_dual_cndmask_b32 v43, v52, v48, s5 :: v_dual_cndmask_b32 v45, v53, v50, s5
	v_add_nc_u32_e32 v6, v39, v6
	s_delay_alu instid0(VALU_DEP_2) | instskip(NEXT) | instid1(VALU_DEP_3)
	v_dual_cndmask_b32 v39, v46, v42, s5 :: v_dual_cndmask_b32 v42, v43, v41, s6
	v_cndmask_b32_e64 v43, v45, v43, s6
	s_delay_alu instid0(VALU_DEP_3) | instskip(NEXT) | instid1(VALU_DEP_3)
	v_dual_cndmask_b32 v41, v41, v47, s6 :: v_dual_sub_nc_u32 v45, 32, v6
	v_cndmask_b32_e64 v46, v47, v39, s6
	v_cmp_eq_u32_e64 s5, 0, v6
	s_delay_alu instid0(VALU_DEP_3) | instskip(NEXT) | instid1(VALU_DEP_3)
	v_dual_cndmask_b32 v43, v43, v42, s7 :: v_dual_cndmask_b32 v42, v42, v41, s7
	v_cndmask_b32_e64 v41, v41, v46, s7
	v_cndmask_b32_e64 v38, v39, v38, s6
	s_delay_alu instid0(VALU_DEP_2) | instskip(NEXT) | instid1(VALU_DEP_1)
	v_alignbit_b32 v44, v42, v41, v45
	v_cndmask_b32_e64 v39, v44, v42, s5
	v_alignbit_b32 v47, v43, v42, v45
	s_delay_alu instid0(VALU_DEP_1) | instskip(NEXT) | instid1(VALU_DEP_1)
	v_cndmask_b32_e64 v6, v47, v43, s5
	v_bfe_u32 v42, v6, 29, 1
	s_delay_alu instid0(VALU_DEP_4) | instskip(NEXT) | instid1(VALU_DEP_2)
	v_alignbit_b32 v43, v6, v39, 30
	v_sub_nc_u32_e32 v44, 0, v42
	s_delay_alu instid0(VALU_DEP_1) | instskip(NEXT) | instid1(VALU_DEP_1)
	v_dual_cndmask_b32 v38, v46, v38, s7 :: v_dual_bitop2_b32 v43, v43, v44 bitop3:0x14
	v_alignbit_b32 v45, v41, v38, v45
	s_delay_alu instid0(VALU_DEP_1) | instskip(NEXT) | instid1(VALU_DEP_3)
	v_cndmask_b32_e64 v41, v45, v41, s5
	v_clz_i32_u32_e32 v45, v43
	s_delay_alu instid0(VALU_DEP_2) | instskip(NEXT) | instid1(VALU_DEP_2)
	v_alignbit_b32 v39, v39, v41, 30
	v_min_u32_e32 v45, 32, v45
	s_delay_alu instid0(VALU_DEP_2) | instskip(SKIP_1) | instid1(VALU_DEP_3)
	v_xor_b32_e32 v39, v39, v44
	v_alignbit_b32 v38, v41, v38, 30
	v_dual_sub_nc_u32 v41, 31, v45 :: v_dual_lshlrev_b32 v46, 23, v45
	s_delay_alu instid0(VALU_DEP_2) | instskip(NEXT) | instid1(VALU_DEP_2)
	v_dual_lshrrev_b32 v44, 29, v6 :: v_dual_bitop2_b32 v38, v38, v44 bitop3:0x14
	v_alignbit_b32 v43, v43, v39, v41
	v_lshrrev_b32_e32 v6, 30, v6
	s_delay_alu instid0(VALU_DEP_3) | instskip(NEXT) | instid1(VALU_DEP_4)
	v_alignbit_b32 v38, v39, v38, v41
	v_lshlrev_b32_e32 v39, 31, v44
	s_delay_alu instid0(VALU_DEP_2) | instskip(NEXT) | instid1(VALU_DEP_2)
	v_alignbit_b32 v41, v43, v38, 9
	v_or_b32_e32 v44, 0.5, v39
	v_lshrrev_b32_e32 v43, 9, v43
	v_or_b32_e32 v39, 0x33000000, v39
	s_delay_alu instid0(VALU_DEP_4) | instskip(NEXT) | instid1(VALU_DEP_4)
	v_clz_i32_u32_e32 v47, v41
	v_sub_nc_u32_e32 v44, v44, v46
	s_delay_alu instid0(VALU_DEP_2) | instskip(NEXT) | instid1(VALU_DEP_2)
	v_min_u32_e32 v46, 32, v47
	v_or_b32_e32 v43, v43, v44
	s_delay_alu instid0(VALU_DEP_2) | instskip(SKIP_1) | instid1(VALU_DEP_2)
	v_not_b32_e32 v44, v46
	v_add_lshl_u32 v45, v46, v45, 23
	v_alignbit_b32 v38, v41, v38, v44
	s_delay_alu instid0(VALU_DEP_1) | instskip(SKIP_1) | instid1(VALU_DEP_2)
	v_dual_sub_nc_u32 v39, v39, v45 :: v_dual_lshrrev_b32 v38, 9, v38
	v_mul_f32_e32 v47, 0x3fc90fda, v43
	v_or_b32_e32 v38, v39, v38
	s_delay_alu instid0(VALU_DEP_2) | instskip(SKIP_1) | instid1(VALU_DEP_2)
	v_fma_f32 v41, 0x3fc90fda, v43, -v47
	v_add_nc_u32_e32 v39, v42, v6
	v_fmac_f32_e32 v41, 0x33a22168, v43
	s_delay_alu instid0(VALU_DEP_1) | instskip(NEXT) | instid1(VALU_DEP_1)
	v_fmac_f32_e32 v41, 0x3fc90fda, v38
	v_add_f32_e32 v38, v47, v41
	s_and_not1_saveexec_b32 s5, s34
	s_branch .LBB138_117
.LBB138_116:                            ;   in Loop: Header=BB138_4 Depth=1
	s_and_not1_saveexec_b32 s5, s34
.LBB138_117:                            ;   in Loop: Header=BB138_4 Depth=1
	v_mul_f32_e64 v6, 0x3f22f983, |v35|
	s_delay_alu instid0(VALU_DEP_1) | instskip(NEXT) | instid1(VALU_DEP_1)
	v_rndne_f32_e32 v6, v6
	v_fma_f32 v38, 0xbfc90fda, v6, |v35|
	v_cvt_i32_f32_e32 v39, v6
	s_delay_alu instid0(VALU_DEP_2) | instskip(NEXT) | instid1(VALU_DEP_1)
	v_fmac_f32_e32 v38, 0xb3a22168, v6
	v_fmac_f32_e32 v38, 0xa7c234c4, v6
; %bb.118:                              ;   in Loop: Header=BB138_4 Depth=1
	s_or_b32 exec_lo, exec_lo, s5
                                        ; implicit-def: $vgpr41
                                        ; implicit-def: $vgpr6
	s_and_saveexec_b32 s5, s33
	s_delay_alu instid0(SALU_CYCLE_1)
	s_xor_b32 s33, exec_lo, s5
	s_cbranch_execz .LBB138_120
; %bb.119:                              ;   in Loop: Header=BB138_4 Depth=1
	v_and_or_b32 v6, v40, s24, 0x800000
	v_dual_lshrrev_b32 v41, 23, v40 :: v_dual_mov_b32 v53, v7
	s_delay_alu instid0(VALU_DEP_2) | instskip(SKIP_1) | instid1(VALU_DEP_3)
	v_mul_u64_e32 v[42:43], s[18:19], v[6:7]
	v_mov_b32_e32 v45, v7
	v_add_nc_u32_e32 v41, 0xffffff88, v41
	s_delay_alu instid0(VALU_DEP_1) | instskip(NEXT) | instid1(VALU_DEP_4)
	v_cmp_lt_u32_e64 s5, 63, v41
	v_mov_b32_e32 v44, v43
	s_delay_alu instid0(VALU_DEP_2) | instskip(NEXT) | instid1(VALU_DEP_2)
	v_cndmask_b32_e64 v43, 0, 0xffffffc0, s5
	v_mad_nc_u64_u32 v[44:45], 0x3c439041, v6, v[44:45]
	s_delay_alu instid0(VALU_DEP_1) | instskip(NEXT) | instid1(VALU_DEP_1)
	v_dual_mov_b32 v47, v7 :: v_dual_mov_b32 v46, v45
	v_mad_nc_u64_u32 v[46:47], 0xdb629599, v6, v[46:47]
	s_delay_alu instid0(VALU_DEP_1) | instskip(NEXT) | instid1(VALU_DEP_2)
	v_dual_mov_b32 v49, v7 :: v_dual_mov_b32 v48, v47
	v_cndmask_b32_e64 v42, v46, v42, s5
	s_delay_alu instid0(VALU_DEP_2) | instskip(NEXT) | instid1(VALU_DEP_1)
	v_mad_nc_u64_u32 v[48:49], 0xf534ddc0, v6, v[48:49]
	v_dual_mov_b32 v51, v7 :: v_dual_mov_b32 v50, v49
	s_delay_alu instid0(VALU_DEP_1) | instskip(NEXT) | instid1(VALU_DEP_1)
	v_mad_nc_u64_u32 v[50:51], 0xfc2757d1, v6, v[50:51]
	v_dual_mov_b32 v52, v51 :: v_dual_cndmask_b32 v49, v50, v46, s5
	s_delay_alu instid0(VALU_DEP_1) | instskip(SKIP_1) | instid1(VALU_DEP_2)
	v_mad_nc_u64_u32 v[52:53], 0x4e441529, v6, v[52:53]
	v_add_nc_u32_e32 v41, v43, v41
	v_dual_mov_b32 v55, v7 :: v_dual_mov_b32 v54, v53
	s_delay_alu instid0(VALU_DEP_2) | instskip(NEXT) | instid1(VALU_DEP_2)
	v_cmp_lt_u32_e64 s6, 31, v41
	v_mad_nc_u64_u32 v[54:55], 0xa2f9836e, v6, v[54:55]
	s_delay_alu instid0(VALU_DEP_2) | instskip(NEXT) | instid1(VALU_DEP_1)
	v_cndmask_b32_e64 v43, 0, 0xffffffe0, s6
	v_dual_add_nc_u32 v6, v43, v41 :: v_dual_cndmask_b32 v43, v52, v48, s5
	s_delay_alu instid0(VALU_DEP_3) | instskip(NEXT) | instid1(VALU_DEP_2)
	v_cndmask_b32_e64 v45, v54, v50, s5
	v_cmp_lt_u32_e64 s7, 31, v6
	v_cndmask_b32_e64 v47, v55, v52, s5
	s_delay_alu instid0(VALU_DEP_2) | instskip(NEXT) | instid1(VALU_DEP_1)
	v_cndmask_b32_e64 v41, 0, 0xffffffe0, s7
	v_dual_add_nc_u32 v6, v41, v6 :: v_dual_cndmask_b32 v41, v48, v44, s5
	s_delay_alu instid0(VALU_DEP_3) | instskip(NEXT) | instid1(VALU_DEP_2)
	v_dual_cndmask_b32 v44, v45, v43, s6 :: v_dual_cndmask_b32 v45, v47, v45, s6
	v_dual_cndmask_b32 v43, v43, v49, s6 :: v_dual_sub_nc_u32 v47, 32, v6
	s_delay_alu instid0(VALU_DEP_3) | instskip(SKIP_1) | instid1(VALU_DEP_3)
	v_cndmask_b32_e64 v48, v49, v41, s6
	v_cmp_eq_u32_e64 s5, 0, v6
	v_dual_cndmask_b32 v45, v45, v44, s7 :: v_dual_cndmask_b32 v44, v44, v43, s7
	s_delay_alu instid0(VALU_DEP_1) | instskip(NEXT) | instid1(VALU_DEP_1)
	v_alignbit_b32 v49, v45, v44, v47
	v_dual_cndmask_b32 v43, v43, v48, s7 :: v_dual_cndmask_b32 v6, v49, v45, s5
	s_delay_alu instid0(VALU_DEP_1) | instskip(NEXT) | instid1(VALU_DEP_1)
	v_alignbit_b32 v46, v44, v43, v47
	v_dual_cndmask_b32 v41, v41, v42, s6 :: v_dual_cndmask_b32 v42, v46, v44, s5
	s_delay_alu instid0(VALU_DEP_3) | instskip(NEXT) | instid1(VALU_DEP_2)
	v_bfe_u32 v44, v6, 29, 1
	v_cndmask_b32_e64 v41, v48, v41, s7
	s_delay_alu instid0(VALU_DEP_3) | instskip(NEXT) | instid1(VALU_DEP_3)
	v_alignbit_b32 v45, v6, v42, 30
	v_sub_nc_u32_e32 v46, 0, v44
	s_delay_alu instid0(VALU_DEP_3) | instskip(NEXT) | instid1(VALU_DEP_1)
	v_alignbit_b32 v47, v43, v41, v47
	v_dual_cndmask_b32 v43, v47, v43, s5 :: v_dual_bitop2_b32 v45, v45, v46 bitop3:0x14
	s_delay_alu instid0(VALU_DEP_1) | instskip(NEXT) | instid1(VALU_DEP_2)
	v_clz_i32_u32_e32 v47, v45
	v_alignbit_b32 v42, v42, v43, 30
	v_alignbit_b32 v41, v43, v41, 30
	s_delay_alu instid0(VALU_DEP_3) | instskip(NEXT) | instid1(VALU_DEP_3)
	v_min_u32_e32 v47, 32, v47
	v_xor_b32_e32 v42, v42, v46
	s_delay_alu instid0(VALU_DEP_3) | instskip(NEXT) | instid1(VALU_DEP_3)
	v_xor_b32_e32 v41, v41, v46
	v_dual_lshrrev_b32 v46, 29, v6 :: v_dual_lshlrev_b32 v48, 23, v47
	v_sub_nc_u32_e32 v43, 31, v47
	s_delay_alu instid0(VALU_DEP_1) | instskip(NEXT) | instid1(VALU_DEP_4)
	v_alignbit_b32 v45, v45, v42, v43
	v_alignbit_b32 v41, v42, v41, v43
	s_delay_alu instid0(VALU_DEP_4) | instskip(NEXT) | instid1(VALU_DEP_2)
	v_lshlrev_b32_e32 v42, 31, v46
	v_alignbit_b32 v43, v45, v41, 9
	s_delay_alu instid0(VALU_DEP_2) | instskip(SKIP_1) | instid1(VALU_DEP_3)
	v_dual_lshrrev_b32 v45, 9, v45 :: v_dual_bitop2_b32 v46, 0.5, v42 bitop3:0x54
	v_or_b32_e32 v42, 0x33000000, v42
	v_clz_i32_u32_e32 v49, v43
	s_delay_alu instid0(VALU_DEP_3) | instskip(NEXT) | instid1(VALU_DEP_2)
	v_sub_nc_u32_e32 v46, v46, v48
	v_min_u32_e32 v48, 32, v49
	s_delay_alu instid0(VALU_DEP_1) | instskip(NEXT) | instid1(VALU_DEP_3)
	v_add_lshl_u32 v47, v48, v47, 23
	v_or_b32_e32 v45, v45, v46
	v_not_b32_e32 v46, v48
	s_delay_alu instid0(VALU_DEP_2) | instskip(NEXT) | instid1(VALU_DEP_2)
	v_dual_mul_f32 v49, 0x3fc90fda, v45 :: v_dual_sub_nc_u32 v42, v42, v47
	v_alignbit_b32 v41, v43, v41, v46
	s_delay_alu instid0(VALU_DEP_2) | instskip(NEXT) | instid1(VALU_DEP_2)
	v_fma_f32 v43, 0x3fc90fda, v45, -v49
	v_lshrrev_b32_e32 v41, 9, v41
	s_delay_alu instid0(VALU_DEP_2) | instskip(NEXT) | instid1(VALU_DEP_2)
	v_fmac_f32_e32 v43, 0x33a22168, v45
	v_or_b32_e32 v41, v42, v41
	s_delay_alu instid0(VALU_DEP_1) | instskip(NEXT) | instid1(VALU_DEP_1)
	v_fmac_f32_e32 v43, 0x3fc90fda, v41
	v_dual_add_f32 v6, v49, v43 :: v_dual_lshrrev_b32 v41, 30, v6
	s_delay_alu instid0(VALU_DEP_1)
	v_add_nc_u32_e32 v41, v44, v41
	s_and_not1_saveexec_b32 s5, s33
	s_cbranch_execnz .LBB138_121
	s_branch .LBB138_122
.LBB138_120:                            ;   in Loop: Header=BB138_4 Depth=1
	s_and_not1_saveexec_b32 s5, s33
.LBB138_121:                            ;   in Loop: Header=BB138_4 Depth=1
	v_mul_f32_e64 v6, 0x3f22f983, |v35|
	s_delay_alu instid0(VALU_DEP_1) | instskip(NEXT) | instid1(VALU_DEP_1)
	v_rndne_f32_e32 v41, v6
	v_fma_f32 v6, 0xbfc90fda, v41, |v35|
	s_delay_alu instid0(VALU_DEP_1) | instskip(NEXT) | instid1(VALU_DEP_1)
	v_fmac_f32_e32 v6, 0xb3a22168, v41
	v_fmac_f32_e32 v6, 0xa7c234c4, v41
	v_cvt_i32_f32_e32 v41, v41
.LBB138_122:                            ;   in Loop: Header=BB138_4 Depth=1
	s_or_b32 exec_lo, exec_lo, s5
	s_delay_alu instid0(VALU_DEP_1) | instskip(SKIP_1) | instid1(VALU_DEP_2)
	v_dual_mul_f32 v45, v38, v38 :: v_dual_bitop2_b32 v46, 1, v41 bitop3:0x40
	v_dual_add_f32 v34, 0xc322e3bc, v34 :: v_dual_lshlrev_b32 v41, 30, v41
	v_fmaak_f32 v47, s26, v45, 0xbab64f3b
	v_fmaak_f32 v48, s25, v45, 0x3c0881c4
	s_delay_alu instid0(VALU_DEP_3) | instskip(NEXT) | instid1(VALU_DEP_4)
	v_cmp_ngt_f32_e64 s5, 0xc2ce8ed0, v34
	v_and_or_b32 v40, 0x80000000, v41, v40
	s_delay_alu instid0(VALU_DEP_4) | instskip(NEXT) | instid1(VALU_DEP_4)
	v_fmaak_f32 v41, v45, v47, 0x3d2aabf7
	v_fmaak_f32 v47, v45, v48, 0xbe2aaa9d
	s_delay_alu instid0(VALU_DEP_1) | instskip(NEXT) | instid1(VALU_DEP_1)
	v_dual_mul_f32 v42, 0x3fb8aa3b, v34 :: v_dual_mul_f32 v47, v45, v47
	v_fma_f32 v43, 0x3fb8aa3b, v34, -v42
	v_rndne_f32_e32 v44, v42
	s_delay_alu instid0(VALU_DEP_2) | instskip(NEXT) | instid1(VALU_DEP_2)
	v_dual_fmac_f32 v38, v38, v47 :: v_dual_fmac_f32 v43, 0x32a5705f, v34
	v_sub_f32_e32 v42, v42, v44
	s_delay_alu instid0(VALU_DEP_1) | instskip(SKIP_2) | instid1(VALU_DEP_3)
	v_add_f32_e32 v42, v42, v43
	v_cvt_i32_f32_e32 v43, v44
	v_dual_lshlrev_b32 v44, 30, v39 :: v_dual_bitop2_b32 v39, 1, v39 bitop3:0x40
	v_exp_f32_e32 v42, v42
	v_nop
	s_delay_alu instid0(TRANS32_DEP_1) | instskip(SKIP_1) | instid1(VALU_DEP_1)
	v_ldexp_f32 v42, v42, v43
	v_mul_f32_e32 v43, v6, v6
	v_fmaak_f32 v49, s25, v43, 0x3c0881c4
	s_delay_alu instid0(VALU_DEP_1) | instskip(NEXT) | instid1(VALU_DEP_4)
	v_fmaak_f32 v49, v43, v49, 0xbe2aaa9d
	v_cndmask_b32_e64 v42, 0, v42, s5
	v_cmp_nlt_f32_e64 s5, 0x42b17218, v34
	s_delay_alu instid0(VALU_DEP_3) | instskip(NEXT) | instid1(VALU_DEP_2)
	v_mul_f32_e32 v49, v43, v49
	v_cndmask_b32_e64 v34, 0x7f800000, v42, s5
	v_cmp_eq_u32_e64 s5, 0, v39
	s_delay_alu instid0(VALU_DEP_3) | instskip(SKIP_1) | instid1(VALU_DEP_4)
	v_fmac_f32_e32 v6, v6, v49
	v_fmaak_f32 v42, s26, v43, 0xbab64f3b
	v_lshrrev_b32_e32 v48, 23, v34
	v_and_or_b32 v34, 0x7fffff, v34, s27
	s_delay_alu instid0(VALU_DEP_3) | instskip(SKIP_1) | instid1(VALU_DEP_4)
	v_fmaak_f32 v42, v43, v42, 0x3d2aabf7
	v_fmaak_f32 v41, v45, v41, 0xbf000004
	v_subrev_nc_u32_e32 v48, 19, v48
	s_delay_alu instid0(VALU_DEP_3) | instskip(NEXT) | instid1(VALU_DEP_3)
	v_fmaak_f32 v42, v43, v42, 0xbf000004
	v_fma_f32 v41, v45, v41, 1.0
	s_delay_alu instid0(VALU_DEP_3) | instskip(NEXT) | instid1(VALU_DEP_3)
	v_lshrrev_b16 v45, 15, v48
	v_fma_f32 v42, v43, v42, 1.0
	s_delay_alu instid0(VALU_DEP_3) | instskip(SKIP_1) | instid1(VALU_DEP_4)
	v_cndmask_b32_e64 v38, -v38, v41, s5
	v_cmp_eq_u32_e64 s5, 0, v46
	v_add_nc_u16 v39, v48, v45
	s_delay_alu instid0(VALU_DEP_3) | instskip(NEXT) | instid1(VALU_DEP_3)
	v_bitop3_b32 v38, v44, v38, 0x80000000 bitop3:0x6c
	v_cndmask_b32_e64 v6, v42, v6, s5
	s_delay_alu instid0(VALU_DEP_3) | instskip(SKIP_1) | instid1(VALU_DEP_3)
	v_ashrrev_i16 v39, 1, v39
	v_cmp_class_f32_e64 s5, v35, 0x1f8
	v_xor3_b32 v6, v40, v6, v35
	s_delay_alu instid0(VALU_DEP_2) | instskip(NEXT) | instid1(VALU_DEP_4)
	v_cndmask_b32_e64 v35, 0x7fc00000, v38, s5
	v_bfe_i32 v38, v39, 0, 16
	s_delay_alu instid0(VALU_DEP_3) | instskip(NEXT) | instid1(VALU_DEP_3)
	v_cndmask_b32_e64 v6, 0x7fc00000, v6, s5
	v_mul_f32_e32 v35, v35, v34
	s_delay_alu instid0(VALU_DEP_3) | instskip(SKIP_1) | instid1(VALU_DEP_2)
	v_lshl_add_u32 v39, v38, 23, 1.0
	v_sub_nc_u32_e32 v38, v48, v38
	v_dual_mul_f32 v6, v6, v34 :: v_dual_mul_f32 v34, v35, v39
	s_delay_alu instid0(VALU_DEP_2) | instskip(NEXT) | instid1(VALU_DEP_2)
	v_lshl_add_u32 v35, v38, 23, 1.0
	v_mul_f32_e32 v6, v6, v39
	s_delay_alu instid0(VALU_DEP_2) | instskip(NEXT) | instid1(VALU_DEP_2)
	v_mul_f32_e32 v38, v34, v35
	v_mul_f32_e32 v39, v6, v35
.LBB138_123:                            ;   in Loop: Header=BB138_4 Depth=1
	s_or_b32 exec_lo, exec_lo, s31
                                        ; implicit-def: $vgpr34
                                        ; implicit-def: $vgpr6
.LBB138_124:                            ;   in Loop: Header=BB138_4 Depth=1
	s_and_not1_saveexec_b32 s6, s30
	s_cbranch_execz .LBB138_130
; %bb.125:                              ;   in Loop: Header=BB138_4 Depth=1
	v_cmp_ne_u32_e64 s5, 0x7f800000, v6
	v_sub_f32_e32 v39, v35, v35
	s_and_saveexec_b32 s7, s5
	s_delay_alu instid0(SALU_CYCLE_1)
	s_xor_b32 s5, exec_lo, s7
; %bb.126:                              ;   in Loop: Header=BB138_4 Depth=1
                                        ; implicit-def: $vgpr34
; %bb.127:                              ;   in Loop: Header=BB138_4 Depth=1
	s_delay_alu instid0(SALU_CYCLE_1) | instskip(NEXT) | instid1(VALU_DEP_1)
	s_or_saveexec_b32 s7, s5
	v_mov_b32_e32 v38, v39
	s_xor_b32 exec_lo, exec_lo, s7
; %bb.128:                              ;   in Loop: Header=BB138_4 Depth=1
	v_cmp_lt_i32_e64 s5, -1, v34
	s_delay_alu instid0(VALU_DEP_1)
	v_dual_cndmask_b32 v38, 0, v34, s5 :: v_dual_cndmask_b32 v39, 0, v39, s5
; %bb.129:                              ;   in Loop: Header=BB138_4 Depth=1
	s_or_b32 exec_lo, exec_lo, s7
.LBB138_130:                            ;   in Loop: Header=BB138_4 Depth=1
	s_delay_alu instid0(SALU_CYCLE_1)
	s_or_b32 exec_lo, exec_lo, s6
                                        ; implicit-def: $vgpr35
                                        ; implicit-def: $vgpr40
.LBB138_131:                            ;   in Loop: Header=BB138_4 Depth=1
	s_and_not1_saveexec_b32 s29, s29
	s_cbranch_execz .LBB138_141
; %bb.132:                              ;   in Loop: Header=BB138_4 Depth=1
	v_lshrrev_b32_e32 v34, 23, v40
	v_cmp_ngt_f32_e64 s30, 0x48000000, |v35|
	v_and_or_b32 v6, v40, s24, 0x800000
                                        ; implicit-def: $vgpr38
	s_delay_alu instid0(VALU_DEP_3) | instskip(SKIP_1) | instid1(SALU_CYCLE_1)
	v_add_nc_u32_e32 v39, 0xffffff88, v34
                                        ; implicit-def: $vgpr34
	s_and_saveexec_b32 s5, s30
	s_xor_b32 s31, exec_lo, s5
	s_cbranch_execz .LBB138_134
; %bb.133:                              ;   in Loop: Header=BB138_4 Depth=1
	v_mul_u64_e32 v[42:43], s[18:19], v[6:7]
	v_mov_b32_e32 v45, v7
	v_cmp_lt_u32_e64 s5, 63, v39
	v_mov_b32_e32 v55, v7
	s_delay_alu instid0(VALU_DEP_2) | instskip(NEXT) | instid1(VALU_DEP_1)
	v_cndmask_b32_e64 v34, 0, 0xffffffc0, s5
	v_add_nc_u32_e32 v34, v34, v39
	s_delay_alu instid0(VALU_DEP_1) | instskip(NEXT) | instid1(VALU_DEP_1)
	v_cmp_lt_u32_e64 s6, 31, v34
	v_cndmask_b32_e64 v38, 0, 0xffffffe0, s6
	s_delay_alu instid0(VALU_DEP_1) | instskip(NEXT) | instid1(VALU_DEP_1)
	v_dual_add_nc_u32 v34, v38, v34 :: v_dual_mov_b32 v44, v43
	v_cmp_lt_u32_e64 s7, 31, v34
	s_delay_alu instid0(VALU_DEP_2) | instskip(SKIP_1) | instid1(VALU_DEP_3)
	v_mad_nc_u64_u32 v[44:45], 0x3c439041, v6, v[44:45]
	v_mov_b32_e32 v47, v7
	v_cndmask_b32_e64 v38, 0, 0xffffffe0, s7
	s_delay_alu instid0(VALU_DEP_3) | instskip(NEXT) | instid1(VALU_DEP_1)
	v_mov_b32_e32 v46, v45
	v_mad_nc_u64_u32 v[46:47], 0xdb629599, v6, v[46:47]
	s_delay_alu instid0(VALU_DEP_1) | instskip(NEXT) | instid1(VALU_DEP_1)
	v_dual_mov_b32 v49, v7 :: v_dual_mov_b32 v48, v47
	v_mad_nc_u64_u32 v[48:49], 0xf534ddc0, v6, v[48:49]
	v_dual_mov_b32 v51, v7 :: v_dual_add_nc_u32 v34, v38, v34
	s_delay_alu instid0(VALU_DEP_2) | instskip(NEXT) | instid1(VALU_DEP_1)
	v_dual_cndmask_b32 v38, v48, v44, s5 :: v_dual_mov_b32 v50, v49
	v_mad_nc_u64_u32 v[50:51], 0xfc2757d1, v6, v[50:51]
	s_delay_alu instid0(VALU_DEP_1) | instskip(NEXT) | instid1(VALU_DEP_2)
	v_dual_mov_b32 v53, v7 :: v_dual_mov_b32 v52, v51
	v_cndmask_b32_e64 v47, v50, v46, s5
	s_delay_alu instid0(VALU_DEP_2) | instskip(NEXT) | instid1(VALU_DEP_1)
	v_mad_nc_u64_u32 v[52:53], 0x4e441529, v6, v[52:53]
	v_mov_b32_e32 v54, v53
	s_delay_alu instid0(VALU_DEP_1) | instskip(NEXT) | instid1(VALU_DEP_1)
	v_mad_nc_u64_u32 v[54:55], 0xa2f9836e, v6, v[54:55]
	v_dual_cndmask_b32 v41, v52, v48, s5 :: v_dual_cndmask_b32 v43, v54, v50, s5
	s_delay_alu instid0(VALU_DEP_2) | instskip(NEXT) | instid1(VALU_DEP_1)
	v_cndmask_b32_e64 v45, v55, v52, s5
	v_dual_cndmask_b32 v44, v43, v41, s6 :: v_dual_cndmask_b32 v43, v45, v43, s6
	v_dual_cndmask_b32 v41, v41, v47, s6 :: v_dual_sub_nc_u32 v45, 32, v34
	v_cndmask_b32_e64 v47, v47, v38, s6
	s_delay_alu instid0(VALU_DEP_2) | instskip(NEXT) | instid1(VALU_DEP_2)
	v_dual_cndmask_b32 v43, v43, v44, s7 :: v_dual_cndmask_b32 v44, v44, v41, s7
	v_cndmask_b32_e64 v41, v41, v47, s7
	s_delay_alu instid0(VALU_DEP_2) | instskip(SKIP_2) | instid1(VALU_DEP_4)
	v_alignbit_b32 v48, v43, v44, v45
	v_cndmask_b32_e64 v42, v46, v42, s5
	v_cmp_eq_u32_e64 s5, 0, v34
	v_alignbit_b32 v46, v44, v41, v45
	s_delay_alu instid0(VALU_DEP_2) | instskip(NEXT) | instid1(VALU_DEP_1)
	v_cndmask_b32_e64 v34, v48, v43, s5
	v_bfe_u32 v43, v34, 29, 1
	v_cndmask_b32_e64 v38, v38, v42, s6
	s_delay_alu instid0(VALU_DEP_2) | instskip(NEXT) | instid1(VALU_DEP_2)
	v_dual_cndmask_b32 v42, v46, v44, s5 :: v_dual_sub_nc_u32 v46, 0, v43
	v_cndmask_b32_e64 v38, v47, v38, s7
	s_delay_alu instid0(VALU_DEP_2) | instskip(NEXT) | instid1(VALU_DEP_2)
	v_alignbit_b32 v44, v34, v42, 30
	v_alignbit_b32 v45, v41, v38, v45
	s_delay_alu instid0(VALU_DEP_1) | instskip(NEXT) | instid1(VALU_DEP_1)
	v_dual_cndmask_b32 v41, v45, v41, s5 :: v_dual_bitop2_b32 v44, v44, v46 bitop3:0x14
	v_clz_i32_u32_e32 v45, v44
	s_delay_alu instid0(VALU_DEP_2) | instskip(NEXT) | instid1(VALU_DEP_2)
	v_alignbit_b32 v42, v42, v41, 30
	v_min_u32_e32 v45, 32, v45
	v_alignbit_b32 v38, v41, v38, 30
	s_delay_alu instid0(VALU_DEP_2) | instskip(NEXT) | instid1(VALU_DEP_2)
	v_dual_sub_nc_u32 v42, 31, v45 :: v_dual_bitop2_b32 v41, v42, v46 bitop3:0x14
	v_xor_b32_e32 v38, v38, v46
	v_dual_lshrrev_b32 v46, 29, v34 :: v_dual_lshlrev_b32 v47, 23, v45
	s_delay_alu instid0(VALU_DEP_3) | instskip(NEXT) | instid1(VALU_DEP_3)
	v_alignbit_b32 v44, v44, v41, v42
	v_alignbit_b32 v38, v41, v38, v42
	s_delay_alu instid0(VALU_DEP_3) | instskip(NEXT) | instid1(VALU_DEP_2)
	v_lshlrev_b32_e32 v41, 31, v46
	v_alignbit_b32 v42, v44, v38, 9
	s_delay_alu instid0(VALU_DEP_2) | instskip(SKIP_1) | instid1(VALU_DEP_3)
	v_dual_lshrrev_b32 v44, 9, v44 :: v_dual_bitop2_b32 v46, 0.5, v41 bitop3:0x54
	v_or_b32_e32 v41, 0x33000000, v41
	v_clz_i32_u32_e32 v48, v42
	s_delay_alu instid0(VALU_DEP_3) | instskip(NEXT) | instid1(VALU_DEP_2)
	v_sub_nc_u32_e32 v46, v46, v47
	v_min_u32_e32 v47, 32, v48
	s_delay_alu instid0(VALU_DEP_1) | instskip(NEXT) | instid1(VALU_DEP_1)
	v_add_lshl_u32 v45, v47, v45, 23
	v_dual_sub_nc_u32 v41, v41, v45 :: v_dual_bitop2_b32 v44, v44, v46 bitop3:0x54
	v_not_b32_e32 v46, v47
	s_delay_alu instid0(VALU_DEP_2) | instskip(NEXT) | instid1(VALU_DEP_2)
	v_mul_f32_e32 v48, 0x3fc90fda, v44
	v_alignbit_b32 v38, v42, v38, v46
	s_delay_alu instid0(VALU_DEP_2) | instskip(NEXT) | instid1(VALU_DEP_2)
	v_fma_f32 v42, 0x3fc90fda, v44, -v48
	v_lshrrev_b32_e32 v38, 9, v38
	s_delay_alu instid0(VALU_DEP_2) | instskip(NEXT) | instid1(VALU_DEP_2)
	v_fmac_f32_e32 v42, 0x33a22168, v44
	v_or_b32_e32 v38, v41, v38
	s_delay_alu instid0(VALU_DEP_1) | instskip(SKIP_1) | instid1(VALU_DEP_2)
	v_fmac_f32_e32 v42, 0x3fc90fda, v38
	v_lshrrev_b32_e32 v38, 30, v34
	v_add_f32_e32 v34, v48, v42
	s_delay_alu instid0(VALU_DEP_2)
	v_add_nc_u32_e32 v38, v43, v38
.LBB138_134:                            ;   in Loop: Header=BB138_4 Depth=1
	s_or_saveexec_b32 s5, s31
	v_mul_f32_e64 v41, 0x3f22f983, |v35|
	s_delay_alu instid0(VALU_DEP_1)
	v_rndne_f32_e32 v43, v41
	s_xor_b32 exec_lo, exec_lo, s5
; %bb.135:                              ;   in Loop: Header=BB138_4 Depth=1
	s_delay_alu instid0(VALU_DEP_1) | instskip(SKIP_1) | instid1(VALU_DEP_2)
	v_fma_f32 v34, 0xbfc90fda, v43, |v35|
	v_cvt_i32_f32_e32 v38, v43
	v_fmac_f32_e32 v34, 0xb3a22168, v43
	s_delay_alu instid0(VALU_DEP_1)
	v_fmac_f32_e32 v34, 0xa7c234c4, v43
; %bb.136:                              ;   in Loop: Header=BB138_4 Depth=1
	s_or_b32 exec_lo, exec_lo, s5
                                        ; implicit-def: $vgpr42
                                        ; implicit-def: $vgpr41
	s_and_saveexec_b32 s5, s30
	s_delay_alu instid0(SALU_CYCLE_1)
	s_xor_b32 s30, exec_lo, s5
	s_cbranch_execz .LBB138_138
; %bb.137:                              ;   in Loop: Header=BB138_4 Depth=1
	v_mul_u64_e32 v[42:43], s[18:19], v[6:7]
	v_mov_b32_e32 v45, v7
	v_cmp_lt_u32_e64 s5, 63, v39
	v_mov_b32_e32 v55, v7
	s_delay_alu instid0(VALU_DEP_2) | instskip(NEXT) | instid1(VALU_DEP_1)
	v_cndmask_b32_e64 v41, 0, 0xffffffc0, s5
	v_add_nc_u32_e32 v39, v41, v39
	s_delay_alu instid0(VALU_DEP_1) | instskip(NEXT) | instid1(VALU_DEP_1)
	v_cmp_lt_u32_e64 s6, 31, v39
	v_cndmask_b32_e64 v41, 0, 0xffffffe0, s6
	v_mov_b32_e32 v44, v43
	s_delay_alu instid0(VALU_DEP_1) | instskip(NEXT) | instid1(VALU_DEP_1)
	v_mad_nc_u64_u32 v[44:45], 0x3c439041, v6, v[44:45]
	v_dual_mov_b32 v47, v7 :: v_dual_mov_b32 v46, v45
	s_delay_alu instid0(VALU_DEP_1) | instskip(NEXT) | instid1(VALU_DEP_1)
	v_mad_nc_u64_u32 v[46:47], 0xdb629599, v6, v[46:47]
	v_dual_mov_b32 v49, v7 :: v_dual_mov_b32 v48, v47
	;; [unrolled: 3-line block ×4, first 2 shown]
	s_delay_alu instid0(VALU_DEP_2) | instskip(NEXT) | instid1(VALU_DEP_2)
	v_cndmask_b32_e64 v47, v50, v46, s5
	v_mad_nc_u64_u32 v[52:53], 0x4e441529, v6, v[52:53]
	s_delay_alu instid0(VALU_DEP_1) | instskip(NEXT) | instid1(VALU_DEP_1)
	v_mov_b32_e32 v54, v53
	v_mad_nc_u64_u32 v[54:55], 0xa2f9836e, v6, v[54:55]
	s_delay_alu instid0(VALU_DEP_3) | instskip(NEXT) | instid1(VALU_DEP_2)
	v_dual_add_nc_u32 v6, v41, v39 :: v_dual_cndmask_b32 v41, v52, v48, s5
	v_cndmask_b32_e64 v43, v54, v50, s5
	s_delay_alu instid0(VALU_DEP_2) | instskip(NEXT) | instid1(VALU_DEP_4)
	v_cmp_lt_u32_e64 s7, 31, v6
	v_cndmask_b32_e64 v45, v55, v52, s5
	s_delay_alu instid0(VALU_DEP_2) | instskip(NEXT) | instid1(VALU_DEP_1)
	v_cndmask_b32_e64 v39, 0, 0xffffffe0, s7
	v_dual_add_nc_u32 v6, v39, v6 :: v_dual_cndmask_b32 v39, v48, v44, s5
	s_delay_alu instid0(VALU_DEP_3) | instskip(NEXT) | instid1(VALU_DEP_2)
	v_dual_cndmask_b32 v44, v43, v41, s6 :: v_dual_cndmask_b32 v43, v45, v43, s6
	v_dual_cndmask_b32 v41, v41, v47, s6 :: v_dual_sub_nc_u32 v45, 32, v6
	s_delay_alu instid0(VALU_DEP_3) | instskip(NEXT) | instid1(VALU_DEP_2)
	v_cndmask_b32_e64 v47, v47, v39, s6
	v_dual_cndmask_b32 v43, v43, v44, s7 :: v_dual_cndmask_b32 v44, v44, v41, s7
	s_delay_alu instid0(VALU_DEP_2) | instskip(NEXT) | instid1(VALU_DEP_2)
	v_cndmask_b32_e64 v41, v41, v47, s7
	v_alignbit_b32 v48, v43, v44, v45
	v_cndmask_b32_e64 v42, v46, v42, s5
	v_cmp_eq_u32_e64 s5, 0, v6
	s_delay_alu instid0(VALU_DEP_4) | instskip(NEXT) | instid1(VALU_DEP_2)
	v_alignbit_b32 v46, v44, v41, v45
	v_dual_cndmask_b32 v6, v48, v43, s5 :: v_dual_cndmask_b32 v39, v39, v42, s6
	s_delay_alu instid0(VALU_DEP_2) | instskip(NEXT) | instid1(VALU_DEP_2)
	v_cndmask_b32_e64 v42, v46, v44, s5
	v_bfe_u32 v43, v6, 29, 1
	s_delay_alu instid0(VALU_DEP_2) | instskip(NEXT) | instid1(VALU_DEP_2)
	v_alignbit_b32 v44, v6, v42, 30
	v_sub_nc_u32_e32 v46, 0, v43
	s_delay_alu instid0(VALU_DEP_1) | instskip(NEXT) | instid1(VALU_DEP_1)
	v_dual_cndmask_b32 v39, v47, v39, s7 :: v_dual_bitop2_b32 v44, v44, v46 bitop3:0x14
	v_alignbit_b32 v45, v41, v39, v45
	s_delay_alu instid0(VALU_DEP_1) | instskip(NEXT) | instid1(VALU_DEP_3)
	v_cndmask_b32_e64 v41, v45, v41, s5
	v_clz_i32_u32_e32 v45, v44
	s_delay_alu instid0(VALU_DEP_2) | instskip(NEXT) | instid1(VALU_DEP_2)
	v_alignbit_b32 v42, v42, v41, 30
	v_min_u32_e32 v45, 32, v45
	v_alignbit_b32 v39, v41, v39, 30
	s_delay_alu instid0(VALU_DEP_2) | instskip(NEXT) | instid1(VALU_DEP_2)
	v_dual_sub_nc_u32 v42, 31, v45 :: v_dual_bitop2_b32 v41, v42, v46 bitop3:0x14
	v_xor_b32_e32 v39, v39, v46
	v_dual_lshrrev_b32 v46, 29, v6 :: v_dual_lshlrev_b32 v47, 23, v45
	v_lshrrev_b32_e32 v6, 30, v6
	s_delay_alu instid0(VALU_DEP_4) | instskip(NEXT) | instid1(VALU_DEP_4)
	v_alignbit_b32 v44, v44, v41, v42
	v_alignbit_b32 v39, v41, v39, v42
	s_delay_alu instid0(VALU_DEP_4) | instskip(NEXT) | instid1(VALU_DEP_2)
	v_lshlrev_b32_e32 v41, 31, v46
	v_alignbit_b32 v42, v44, v39, 9
	s_delay_alu instid0(VALU_DEP_2) | instskip(SKIP_1) | instid1(VALU_DEP_3)
	v_dual_lshrrev_b32 v44, 9, v44 :: v_dual_bitop2_b32 v46, 0.5, v41 bitop3:0x54
	v_or_b32_e32 v41, 0x33000000, v41
	v_clz_i32_u32_e32 v48, v42
	s_delay_alu instid0(VALU_DEP_3) | instskip(NEXT) | instid1(VALU_DEP_2)
	v_sub_nc_u32_e32 v46, v46, v47
	v_min_u32_e32 v47, 32, v48
	s_delay_alu instid0(VALU_DEP_1) | instskip(NEXT) | instid1(VALU_DEP_1)
	v_add_lshl_u32 v45, v47, v45, 23
	v_dual_sub_nc_u32 v41, v41, v45 :: v_dual_bitop2_b32 v44, v44, v46 bitop3:0x54
	v_not_b32_e32 v46, v47
	s_delay_alu instid0(VALU_DEP_1) | instskip(NEXT) | instid1(VALU_DEP_1)
	v_alignbit_b32 v39, v42, v39, v46
	v_dual_mul_f32 v48, 0x3fc90fda, v44 :: v_dual_lshrrev_b32 v39, 9, v39
	s_delay_alu instid0(VALU_DEP_1) | instskip(NEXT) | instid1(VALU_DEP_2)
	v_or_b32_e32 v39, v41, v39
	v_fma_f32 v42, 0x3fc90fda, v44, -v48
	s_delay_alu instid0(VALU_DEP_1) | instskip(NEXT) | instid1(VALU_DEP_1)
	v_fmac_f32_e32 v42, 0x33a22168, v44
	v_fmac_f32_e32 v42, 0x3fc90fda, v39
	s_delay_alu instid0(VALU_DEP_1)
	v_add_f32_e32 v41, v48, v42
	v_add_nc_u32_e32 v42, v43, v6
                                        ; implicit-def: $vgpr43
	s_and_not1_saveexec_b32 s5, s30
	s_cbranch_execnz .LBB138_139
	s_branch .LBB138_140
.LBB138_138:                            ;   in Loop: Header=BB138_4 Depth=1
	s_and_not1_saveexec_b32 s5, s30
.LBB138_139:                            ;   in Loop: Header=BB138_4 Depth=1
	v_fma_f32 v41, 0xbfc90fda, v43, |v35|
	v_cvt_i32_f32_e32 v42, v43
	s_delay_alu instid0(VALU_DEP_2) | instskip(NEXT) | instid1(VALU_DEP_1)
	v_fmac_f32_e32 v41, 0xb3a22168, v43
	v_fmac_f32_e32 v41, 0xa7c234c4, v43
.LBB138_140:                            ;   in Loop: Header=BB138_4 Depth=1
	s_or_b32 exec_lo, exec_lo, s5
	s_delay_alu instid0(VALU_DEP_1) | instskip(SKIP_1) | instid1(VALU_DEP_2)
	v_dual_mul_f32 v6, v34, v34 :: v_dual_mul_f32 v39, v41, v41
	v_dual_lshlrev_b32 v38, 30, v38 :: v_dual_bitop2_b32 v43, 1, v38 bitop3:0x40
	v_fmaak_f32 v44, s25, v6, 0x3c0881c4
	s_delay_alu instid0(VALU_DEP_3) | instskip(NEXT) | instid1(VALU_DEP_3)
	v_fmaak_f32 v46, s25, v39, 0x3c0881c4
	v_cmp_eq_u32_e64 s5, 0, v43
	s_delay_alu instid0(VALU_DEP_2) | instskip(NEXT) | instid1(VALU_DEP_1)
	v_fmaak_f32 v46, v39, v46, 0xbe2aaa9d
	v_dual_fmaak_f32 v47, s26, v39, 0xbab64f3b :: v_dual_mul_f32 v46, v39, v46
	s_delay_alu instid0(VALU_DEP_1) | instskip(NEXT) | instid1(VALU_DEP_1)
	v_dual_fmaak_f32 v44, v6, v44, 0xbe2aaa9d :: v_dual_fmac_f32 v41, v41, v46
	v_dual_fmaak_f32 v45, s26, v6, 0xbab64f3b :: v_dual_mul_f32 v44, v6, v44
	s_delay_alu instid0(VALU_DEP_3) | instskip(NEXT) | instid1(VALU_DEP_2)
	v_fmaak_f32 v47, v39, v47, 0x3d2aabf7
	v_fmaak_f32 v45, v6, v45, 0x3d2aabf7
	s_delay_alu instid0(VALU_DEP_2) | instskip(NEXT) | instid1(VALU_DEP_1)
	v_dual_fmac_f32 v34, v34, v44 :: v_dual_fmaak_f32 v47, v39, v47, 0xbf000004
	v_fma_f32 v39, v39, v47, 1.0
	v_dual_lshlrev_b32 v42, 30, v42 :: v_dual_bitop2_b32 v48, 1, v42 bitop3:0x40
	s_delay_alu instid0(VALU_DEP_4) | instskip(NEXT) | instid1(VALU_DEP_2)
	v_fmaak_f32 v45, v6, v45, 0xbf000004
	v_and_or_b32 v40, 0x80000000, v42, v40
	s_delay_alu instid0(VALU_DEP_2) | instskip(NEXT) | instid1(VALU_DEP_1)
	v_fma_f32 v6, v6, v45, 1.0
	v_cndmask_b32_e64 v6, -v34, v6, s5
	v_cmp_eq_u32_e64 s5, 0, v48
	s_delay_alu instid0(VALU_DEP_2) | instskip(NEXT) | instid1(VALU_DEP_2)
	v_bitop3_b32 v6, v38, v6, 0x80000000 bitop3:0x6c
	v_cndmask_b32_e64 v34, v39, v41, s5
	v_cmp_class_f32_e64 s5, v35, 0x1f8
	s_delay_alu instid0(VALU_DEP_2) | instskip(NEXT) | instid1(VALU_DEP_2)
	v_xor3_b32 v34, v40, v34, v35
	v_cndmask_b32_e64 v38, 0x7fc00000, v6, s5
	s_delay_alu instid0(VALU_DEP_2)
	v_cndmask_b32_e64 v39, 0x7fc00000, v34, s5
.LBB138_141:                            ;   in Loop: Header=BB138_4 Depth=1
	s_or_b32 exec_lo, exec_lo, s29
                                        ; implicit-def: $vgpr34
.LBB138_142:                            ;   in Loop: Header=BB138_4 Depth=1
	s_and_not1_saveexec_b32 s6, s28
	s_cbranch_execz .LBB138_144
; %bb.143:                              ;   in Loop: Header=BB138_4 Depth=1
	v_mul_f32_e32 v6, 0x3fb8aa3b, v34
	v_cmp_ngt_f32_e64 s5, 0xc2ce8ed0, v34
	s_delay_alu instid0(VALU_DEP_2) | instskip(SKIP_1) | instid1(VALU_DEP_2)
	v_rndne_f32_e32 v38, v6
	v_fma_f32 v39, 0x3fb8aa3b, v34, -v6
	v_sub_f32_e32 v6, v6, v38
	s_delay_alu instid0(VALU_DEP_2) | instskip(SKIP_1) | instid1(VALU_DEP_2)
	v_fmac_f32_e32 v39, 0x32a5705f, v34
	v_cvt_i32_f32_e32 v38, v38
	v_dual_add_f32 v6, v6, v39 :: v_dual_mov_b32 v39, v35
	s_delay_alu instid0(VALU_DEP_1) | instskip(SKIP_1) | instid1(TRANS32_DEP_1)
	v_exp_f32_e32 v6, v6
	v_nop
	v_ldexp_f32 v6, v6, v38
	s_delay_alu instid0(VALU_DEP_1) | instskip(SKIP_1) | instid1(VALU_DEP_1)
	v_cndmask_b32_e64 v6, 0, v6, s5
	v_cmp_nlt_f32_e64 s5, 0x42b17218, v34
	v_cndmask_b32_e64 v38, 0x7f800000, v6, s5
.LBB138_144:                            ;   in Loop: Header=BB138_4 Depth=1
	s_or_b32 exec_lo, exec_lo, s6
	v_and_b32_e32 v40, 0x7fffffff, v31
                                        ; implicit-def: $vgpr35
	s_mov_b32 s6, exec_lo
	s_delay_alu instid0(VALU_DEP_1)
	v_cmpx_ne_u32_e32 0, v40
	s_xor_b32 s28, exec_lo, s6
	s_cbranch_execz .LBB138_150
; %bb.145:                              ;   in Loop: Header=BB138_4 Depth=1
	v_and_b32_e32 v6, 0x7fffffff, v30
                                        ; implicit-def: $vgpr35
	s_mov_b32 s6, exec_lo
	s_delay_alu instid0(VALU_DEP_1)
	v_cmpx_ne_u32_e32 0, v6
	s_xor_b32 s29, exec_lo, s6
	s_cbranch_execz .LBB138_180
; %bb.146:                              ;   in Loop: Header=BB138_4 Depth=1
                                        ; implicit-def: $vgpr35
	s_mov_b32 s6, exec_lo
	v_cmpx_gt_u32_e32 0x7f800000, v40
	s_xor_b32 s30, exec_lo, s6
	s_cbranch_execz .LBB138_173
; %bb.147:                              ;   in Loop: Header=BB138_4 Depth=1
	v_add_nc_u32_e32 v6, 0xbd4e8de8, v30
                                        ; implicit-def: $vgpr35
	s_mov_b32 s6, exec_lo
	s_delay_alu instid0(VALU_DEP_1)
	v_cmpx_lt_u32_e32 0x8e8e5c, v6
	s_xor_b32 s31, exec_lo, s6
	s_cbranch_execz .LBB138_162
; %bb.148:                              ;   in Loop: Header=BB138_4 Depth=1
	v_cmp_ngt_f32_e64 s33, 0x48000000, |v31|
                                        ; implicit-def: $vgpr35
                                        ; implicit-def: $vgpr34
	s_and_saveexec_b32 s5, s33
	s_delay_alu instid0(SALU_CYCLE_1)
	s_xor_b32 s34, exec_lo, s5
	s_cbranch_execz .LBB138_155
; %bb.149:                              ;   in Loop: Header=BB138_4 Depth=1
	v_and_or_b32 v6, v40, s24, 0x800000
	v_dual_mov_b32 v51, v7 :: v_dual_mov_b32 v53, v7
	s_delay_alu instid0(VALU_DEP_2) | instskip(NEXT) | instid1(VALU_DEP_1)
	v_mul_u64_e32 v[34:35], s[18:19], v[6:7]
	v_dual_mov_b32 v43, v7 :: v_dual_mov_b32 v42, v35
	v_lshrrev_b32_e32 v35, 23, v40
	s_delay_alu instid0(VALU_DEP_2) | instskip(SKIP_1) | instid1(VALU_DEP_3)
	v_mad_nc_u64_u32 v[42:43], 0x3c439041, v6, v[42:43]
	v_mov_b32_e32 v45, v7
	v_add_nc_u32_e32 v35, 0xffffff88, v35
	s_delay_alu instid0(VALU_DEP_1) | instskip(NEXT) | instid1(VALU_DEP_4)
	v_cmp_lt_u32_e64 s5, 63, v35
	v_mov_b32_e32 v44, v43
	s_delay_alu instid0(VALU_DEP_2) | instskip(NEXT) | instid1(VALU_DEP_2)
	v_cndmask_b32_e64 v41, 0, 0xffffffc0, s5
	v_mad_nc_u64_u32 v[44:45], 0xdb629599, v6, v[44:45]
	s_delay_alu instid0(VALU_DEP_2) | instskip(NEXT) | instid1(VALU_DEP_1)
	v_dual_mov_b32 v47, v7 :: v_dual_add_nc_u32 v35, v41, v35
	v_cmp_lt_u32_e64 s6, 31, v35
	s_delay_alu instid0(VALU_DEP_3) | instskip(NEXT) | instid1(VALU_DEP_2)
	v_dual_mov_b32 v46, v45 :: v_dual_cndmask_b32 v34, v44, v34, s5
	v_cndmask_b32_e64 v41, 0, 0xffffffe0, s6
	s_delay_alu instid0(VALU_DEP_2) | instskip(NEXT) | instid1(VALU_DEP_1)
	v_mad_nc_u64_u32 v[46:47], 0xf534ddc0, v6, v[46:47]
	v_dual_mov_b32 v49, v7 :: v_dual_mov_b32 v48, v47
	s_delay_alu instid0(VALU_DEP_1) | instskip(NEXT) | instid1(VALU_DEP_1)
	v_mad_nc_u64_u32 v[48:49], 0xfc2757d1, v6, v[48:49]
	v_dual_mov_b32 v50, v49 :: v_dual_cndmask_b32 v47, v48, v44, s5
	s_delay_alu instid0(VALU_DEP_1) | instskip(NEXT) | instid1(VALU_DEP_1)
	v_mad_nc_u64_u32 v[50:51], 0x4e441529, v6, v[50:51]
	v_mov_b32_e32 v52, v51
	s_delay_alu instid0(VALU_DEP_1) | instskip(NEXT) | instid1(VALU_DEP_3)
	v_mad_nc_u64_u32 v[52:53], 0xa2f9836e, v6, v[52:53]
	v_dual_add_nc_u32 v6, v41, v35 :: v_dual_cndmask_b32 v41, v50, v46, s5
	s_delay_alu instid0(VALU_DEP_1) | instskip(NEXT) | instid1(VALU_DEP_1)
	v_cmp_lt_u32_e64 s7, 31, v6
	v_cndmask_b32_e64 v35, 0, 0xffffffe0, s7
	s_delay_alu instid0(VALU_DEP_4) | instskip(NEXT) | instid1(VALU_DEP_2)
	v_dual_cndmask_b32 v43, v52, v48, s5 :: v_dual_cndmask_b32 v45, v53, v50, s5
	v_add_nc_u32_e32 v6, v35, v6
	s_delay_alu instid0(VALU_DEP_2) | instskip(NEXT) | instid1(VALU_DEP_3)
	v_dual_cndmask_b32 v35, v46, v42, s5 :: v_dual_cndmask_b32 v42, v43, v41, s6
	v_cndmask_b32_e64 v43, v45, v43, s6
	s_delay_alu instid0(VALU_DEP_3) | instskip(NEXT) | instid1(VALU_DEP_3)
	v_dual_cndmask_b32 v41, v41, v47, s6 :: v_dual_sub_nc_u32 v45, 32, v6
	v_cndmask_b32_e64 v46, v47, v35, s6
	v_cmp_eq_u32_e64 s5, 0, v6
	s_delay_alu instid0(VALU_DEP_3) | instskip(NEXT) | instid1(VALU_DEP_3)
	v_dual_cndmask_b32 v43, v43, v42, s7 :: v_dual_cndmask_b32 v42, v42, v41, s7
	v_cndmask_b32_e64 v41, v41, v46, s7
	v_cndmask_b32_e64 v34, v35, v34, s6
	s_delay_alu instid0(VALU_DEP_2) | instskip(NEXT) | instid1(VALU_DEP_1)
	v_alignbit_b32 v44, v42, v41, v45
	v_cndmask_b32_e64 v35, v44, v42, s5
	v_alignbit_b32 v47, v43, v42, v45
	s_delay_alu instid0(VALU_DEP_1) | instskip(NEXT) | instid1(VALU_DEP_1)
	v_cndmask_b32_e64 v6, v47, v43, s5
	v_bfe_u32 v42, v6, 29, 1
	s_delay_alu instid0(VALU_DEP_4) | instskip(NEXT) | instid1(VALU_DEP_2)
	v_alignbit_b32 v43, v6, v35, 30
	v_sub_nc_u32_e32 v44, 0, v42
	s_delay_alu instid0(VALU_DEP_1) | instskip(NEXT) | instid1(VALU_DEP_1)
	v_dual_cndmask_b32 v34, v46, v34, s7 :: v_dual_bitop2_b32 v43, v43, v44 bitop3:0x14
	v_alignbit_b32 v45, v41, v34, v45
	s_delay_alu instid0(VALU_DEP_1) | instskip(NEXT) | instid1(VALU_DEP_3)
	v_cndmask_b32_e64 v41, v45, v41, s5
	v_clz_i32_u32_e32 v45, v43
	s_delay_alu instid0(VALU_DEP_2) | instskip(NEXT) | instid1(VALU_DEP_2)
	v_alignbit_b32 v35, v35, v41, 30
	v_min_u32_e32 v45, 32, v45
	s_delay_alu instid0(VALU_DEP_2) | instskip(SKIP_1) | instid1(VALU_DEP_3)
	v_xor_b32_e32 v35, v35, v44
	v_alignbit_b32 v34, v41, v34, 30
	v_dual_sub_nc_u32 v41, 31, v45 :: v_dual_lshlrev_b32 v46, 23, v45
	s_delay_alu instid0(VALU_DEP_2) | instskip(NEXT) | instid1(VALU_DEP_2)
	v_dual_lshrrev_b32 v44, 29, v6 :: v_dual_bitop2_b32 v34, v34, v44 bitop3:0x14
	v_alignbit_b32 v43, v43, v35, v41
	v_lshrrev_b32_e32 v6, 30, v6
	s_delay_alu instid0(VALU_DEP_3) | instskip(NEXT) | instid1(VALU_DEP_4)
	v_alignbit_b32 v34, v35, v34, v41
	v_lshlrev_b32_e32 v35, 31, v44
	s_delay_alu instid0(VALU_DEP_2) | instskip(NEXT) | instid1(VALU_DEP_2)
	v_alignbit_b32 v41, v43, v34, 9
	v_or_b32_e32 v44, 0.5, v35
	v_lshrrev_b32_e32 v43, 9, v43
	v_or_b32_e32 v35, 0x33000000, v35
	s_delay_alu instid0(VALU_DEP_4) | instskip(NEXT) | instid1(VALU_DEP_4)
	v_clz_i32_u32_e32 v47, v41
	v_sub_nc_u32_e32 v44, v44, v46
	s_delay_alu instid0(VALU_DEP_2) | instskip(NEXT) | instid1(VALU_DEP_2)
	v_min_u32_e32 v46, 32, v47
	v_or_b32_e32 v43, v43, v44
	s_delay_alu instid0(VALU_DEP_2) | instskip(SKIP_1) | instid1(VALU_DEP_2)
	v_not_b32_e32 v44, v46
	v_add_lshl_u32 v45, v46, v45, 23
	v_alignbit_b32 v34, v41, v34, v44
	s_delay_alu instid0(VALU_DEP_1) | instskip(SKIP_1) | instid1(VALU_DEP_2)
	v_dual_sub_nc_u32 v35, v35, v45 :: v_dual_lshrrev_b32 v34, 9, v34
	v_mul_f32_e32 v47, 0x3fc90fda, v43
	v_or_b32_e32 v34, v35, v34
	s_delay_alu instid0(VALU_DEP_2) | instskip(SKIP_1) | instid1(VALU_DEP_2)
	v_fma_f32 v41, 0x3fc90fda, v43, -v47
	v_add_nc_u32_e32 v35, v42, v6
	v_fmac_f32_e32 v41, 0x33a22168, v43
	s_delay_alu instid0(VALU_DEP_1) | instskip(NEXT) | instid1(VALU_DEP_1)
	v_fmac_f32_e32 v41, 0x3fc90fda, v34
	v_add_f32_e32 v34, v47, v41
	s_and_not1_saveexec_b32 s5, s34
	s_branch .LBB138_156
.LBB138_150:                            ;   in Loop: Header=BB138_4 Depth=1
	s_and_not1_saveexec_b32 s6, s28
	s_cbranch_execz .LBB138_191
.LBB138_151:                            ;   in Loop: Header=BB138_4 Depth=1
	v_mul_f32_e32 v6, 0x3fb8aa3b, v30
	v_cmp_ngt_f32_e64 s5, 0xc2ce8ed0, v30
	s_delay_alu instid0(VALU_DEP_2) | instskip(SKIP_1) | instid1(VALU_DEP_2)
	v_rndne_f32_e32 v34, v6
	v_fma_f32 v35, 0x3fb8aa3b, v30, -v6
	v_sub_f32_e32 v6, v6, v34
	s_delay_alu instid0(VALU_DEP_2) | instskip(SKIP_1) | instid1(VALU_DEP_2)
	v_fmac_f32_e32 v35, 0x32a5705f, v30
	v_cvt_i32_f32_e32 v34, v34
	v_dual_add_f32 v6, v6, v35 :: v_dual_mov_b32 v35, v31
	s_delay_alu instid0(VALU_DEP_1) | instskip(SKIP_1) | instid1(TRANS32_DEP_1)
	v_exp_f32_e32 v6, v6
	v_nop
	v_ldexp_f32 v6, v6, v34
	s_delay_alu instid0(VALU_DEP_1) | instskip(SKIP_1) | instid1(VALU_DEP_1)
	v_cndmask_b32_e64 v6, 0, v6, s5
	v_cmp_nlt_f32_e64 s5, 0x42b17218, v30
	v_cndmask_b32_e64 v34, 0x7f800000, v6, s5
	s_or_b32 exec_lo, exec_lo, s6
	s_and_saveexec_b32 s5, vcc_lo
	s_delay_alu instid0(SALU_CYCLE_1)
	s_xor_b32 s5, exec_lo, s5
	s_cbranch_execnz .LBB138_192
.LBB138_152:                            ;   in Loop: Header=BB138_4 Depth=1
	s_or_b32 exec_lo, exec_lo, s5
	s_and_saveexec_b32 s5, s2
	s_cbranch_execz .LBB138_193
.LBB138_153:                            ;   in Loop: Header=BB138_4 Depth=1
	global_store_b64 v[24:25], v[36:37], off
	s_wait_xcnt 0x0
	s_or_b32 exec_lo, exec_lo, s5
	s_and_saveexec_b32 s2, s3
	s_cbranch_execnz .LBB138_194
.LBB138_154:                            ;   in Loop: Header=BB138_4 Depth=1
	s_or_b32 exec_lo, exec_lo, s2
	s_and_saveexec_b32 s2, s4
	s_cbranch_execz .LBB138_3
	s_branch .LBB138_195
.LBB138_155:                            ;   in Loop: Header=BB138_4 Depth=1
	s_and_not1_saveexec_b32 s5, s34
.LBB138_156:                            ;   in Loop: Header=BB138_4 Depth=1
	v_mul_f32_e64 v6, 0x3f22f983, |v31|
	s_delay_alu instid0(VALU_DEP_1) | instskip(NEXT) | instid1(VALU_DEP_1)
	v_rndne_f32_e32 v6, v6
	v_fma_f32 v34, 0xbfc90fda, v6, |v31|
	v_cvt_i32_f32_e32 v35, v6
	s_delay_alu instid0(VALU_DEP_2) | instskip(NEXT) | instid1(VALU_DEP_1)
	v_fmac_f32_e32 v34, 0xb3a22168, v6
	v_fmac_f32_e32 v34, 0xa7c234c4, v6
; %bb.157:                              ;   in Loop: Header=BB138_4 Depth=1
	s_or_b32 exec_lo, exec_lo, s5
                                        ; implicit-def: $vgpr41
                                        ; implicit-def: $vgpr6
	s_and_saveexec_b32 s5, s33
	s_delay_alu instid0(SALU_CYCLE_1)
	s_xor_b32 s33, exec_lo, s5
	s_cbranch_execz .LBB138_159
; %bb.158:                              ;   in Loop: Header=BB138_4 Depth=1
	v_and_or_b32 v6, v40, s24, 0x800000
	v_dual_lshrrev_b32 v41, 23, v40 :: v_dual_mov_b32 v53, v7
	s_delay_alu instid0(VALU_DEP_2) | instskip(SKIP_1) | instid1(VALU_DEP_3)
	v_mul_u64_e32 v[42:43], s[18:19], v[6:7]
	v_mov_b32_e32 v45, v7
	v_add_nc_u32_e32 v41, 0xffffff88, v41
	s_delay_alu instid0(VALU_DEP_1) | instskip(NEXT) | instid1(VALU_DEP_4)
	v_cmp_lt_u32_e64 s5, 63, v41
	v_mov_b32_e32 v44, v43
	s_delay_alu instid0(VALU_DEP_2) | instskip(NEXT) | instid1(VALU_DEP_2)
	v_cndmask_b32_e64 v43, 0, 0xffffffc0, s5
	v_mad_nc_u64_u32 v[44:45], 0x3c439041, v6, v[44:45]
	s_delay_alu instid0(VALU_DEP_1) | instskip(NEXT) | instid1(VALU_DEP_1)
	v_dual_mov_b32 v47, v7 :: v_dual_mov_b32 v46, v45
	v_mad_nc_u64_u32 v[46:47], 0xdb629599, v6, v[46:47]
	s_delay_alu instid0(VALU_DEP_1) | instskip(NEXT) | instid1(VALU_DEP_2)
	v_dual_mov_b32 v49, v7 :: v_dual_mov_b32 v48, v47
	v_cndmask_b32_e64 v42, v46, v42, s5
	s_delay_alu instid0(VALU_DEP_2) | instskip(NEXT) | instid1(VALU_DEP_1)
	v_mad_nc_u64_u32 v[48:49], 0xf534ddc0, v6, v[48:49]
	v_dual_mov_b32 v51, v7 :: v_dual_mov_b32 v50, v49
	s_delay_alu instid0(VALU_DEP_1) | instskip(NEXT) | instid1(VALU_DEP_1)
	v_mad_nc_u64_u32 v[50:51], 0xfc2757d1, v6, v[50:51]
	v_dual_mov_b32 v52, v51 :: v_dual_cndmask_b32 v49, v50, v46, s5
	s_delay_alu instid0(VALU_DEP_1) | instskip(SKIP_1) | instid1(VALU_DEP_2)
	v_mad_nc_u64_u32 v[52:53], 0x4e441529, v6, v[52:53]
	v_add_nc_u32_e32 v41, v43, v41
	v_dual_mov_b32 v55, v7 :: v_dual_mov_b32 v54, v53
	s_delay_alu instid0(VALU_DEP_2) | instskip(NEXT) | instid1(VALU_DEP_2)
	v_cmp_lt_u32_e64 s6, 31, v41
	v_mad_nc_u64_u32 v[54:55], 0xa2f9836e, v6, v[54:55]
	s_delay_alu instid0(VALU_DEP_2) | instskip(NEXT) | instid1(VALU_DEP_1)
	v_cndmask_b32_e64 v43, 0, 0xffffffe0, s6
	v_dual_add_nc_u32 v6, v43, v41 :: v_dual_cndmask_b32 v43, v52, v48, s5
	s_delay_alu instid0(VALU_DEP_3) | instskip(NEXT) | instid1(VALU_DEP_2)
	v_cndmask_b32_e64 v45, v54, v50, s5
	v_cmp_lt_u32_e64 s7, 31, v6
	v_cndmask_b32_e64 v47, v55, v52, s5
	s_delay_alu instid0(VALU_DEP_2) | instskip(NEXT) | instid1(VALU_DEP_1)
	v_cndmask_b32_e64 v41, 0, 0xffffffe0, s7
	v_dual_add_nc_u32 v6, v41, v6 :: v_dual_cndmask_b32 v41, v48, v44, s5
	s_delay_alu instid0(VALU_DEP_3) | instskip(NEXT) | instid1(VALU_DEP_2)
	v_dual_cndmask_b32 v44, v45, v43, s6 :: v_dual_cndmask_b32 v45, v47, v45, s6
	v_dual_cndmask_b32 v43, v43, v49, s6 :: v_dual_sub_nc_u32 v47, 32, v6
	s_delay_alu instid0(VALU_DEP_3) | instskip(SKIP_1) | instid1(VALU_DEP_3)
	v_cndmask_b32_e64 v48, v49, v41, s6
	v_cmp_eq_u32_e64 s5, 0, v6
	v_dual_cndmask_b32 v45, v45, v44, s7 :: v_dual_cndmask_b32 v44, v44, v43, s7
	s_delay_alu instid0(VALU_DEP_1) | instskip(NEXT) | instid1(VALU_DEP_1)
	v_alignbit_b32 v49, v45, v44, v47
	v_dual_cndmask_b32 v43, v43, v48, s7 :: v_dual_cndmask_b32 v6, v49, v45, s5
	s_delay_alu instid0(VALU_DEP_1) | instskip(NEXT) | instid1(VALU_DEP_1)
	v_alignbit_b32 v46, v44, v43, v47
	v_dual_cndmask_b32 v41, v41, v42, s6 :: v_dual_cndmask_b32 v42, v46, v44, s5
	s_delay_alu instid0(VALU_DEP_3) | instskip(NEXT) | instid1(VALU_DEP_2)
	v_bfe_u32 v44, v6, 29, 1
	v_cndmask_b32_e64 v41, v48, v41, s7
	s_delay_alu instid0(VALU_DEP_3) | instskip(NEXT) | instid1(VALU_DEP_3)
	v_alignbit_b32 v45, v6, v42, 30
	v_sub_nc_u32_e32 v46, 0, v44
	s_delay_alu instid0(VALU_DEP_3) | instskip(NEXT) | instid1(VALU_DEP_1)
	v_alignbit_b32 v47, v43, v41, v47
	v_dual_cndmask_b32 v43, v47, v43, s5 :: v_dual_bitop2_b32 v45, v45, v46 bitop3:0x14
	s_delay_alu instid0(VALU_DEP_1) | instskip(NEXT) | instid1(VALU_DEP_2)
	v_clz_i32_u32_e32 v47, v45
	v_alignbit_b32 v42, v42, v43, 30
	v_alignbit_b32 v41, v43, v41, 30
	s_delay_alu instid0(VALU_DEP_3) | instskip(NEXT) | instid1(VALU_DEP_3)
	v_min_u32_e32 v47, 32, v47
	v_xor_b32_e32 v42, v42, v46
	s_delay_alu instid0(VALU_DEP_3) | instskip(NEXT) | instid1(VALU_DEP_3)
	v_xor_b32_e32 v41, v41, v46
	v_dual_lshrrev_b32 v46, 29, v6 :: v_dual_lshlrev_b32 v48, 23, v47
	v_sub_nc_u32_e32 v43, 31, v47
	s_delay_alu instid0(VALU_DEP_1) | instskip(NEXT) | instid1(VALU_DEP_4)
	v_alignbit_b32 v45, v45, v42, v43
	v_alignbit_b32 v41, v42, v41, v43
	s_delay_alu instid0(VALU_DEP_4) | instskip(NEXT) | instid1(VALU_DEP_2)
	v_lshlrev_b32_e32 v42, 31, v46
	v_alignbit_b32 v43, v45, v41, 9
	s_delay_alu instid0(VALU_DEP_2) | instskip(SKIP_1) | instid1(VALU_DEP_3)
	v_dual_lshrrev_b32 v45, 9, v45 :: v_dual_bitop2_b32 v46, 0.5, v42 bitop3:0x54
	v_or_b32_e32 v42, 0x33000000, v42
	v_clz_i32_u32_e32 v49, v43
	s_delay_alu instid0(VALU_DEP_3) | instskip(NEXT) | instid1(VALU_DEP_2)
	v_sub_nc_u32_e32 v46, v46, v48
	v_min_u32_e32 v48, 32, v49
	s_delay_alu instid0(VALU_DEP_1) | instskip(NEXT) | instid1(VALU_DEP_3)
	v_add_lshl_u32 v47, v48, v47, 23
	v_or_b32_e32 v45, v45, v46
	v_not_b32_e32 v46, v48
	s_delay_alu instid0(VALU_DEP_2) | instskip(NEXT) | instid1(VALU_DEP_2)
	v_dual_mul_f32 v49, 0x3fc90fda, v45 :: v_dual_sub_nc_u32 v42, v42, v47
	v_alignbit_b32 v41, v43, v41, v46
	s_delay_alu instid0(VALU_DEP_2) | instskip(NEXT) | instid1(VALU_DEP_2)
	v_fma_f32 v43, 0x3fc90fda, v45, -v49
	v_lshrrev_b32_e32 v41, 9, v41
	s_delay_alu instid0(VALU_DEP_2) | instskip(NEXT) | instid1(VALU_DEP_2)
	v_fmac_f32_e32 v43, 0x33a22168, v45
	v_or_b32_e32 v41, v42, v41
	s_delay_alu instid0(VALU_DEP_1) | instskip(NEXT) | instid1(VALU_DEP_1)
	v_fmac_f32_e32 v43, 0x3fc90fda, v41
	v_dual_add_f32 v6, v49, v43 :: v_dual_lshrrev_b32 v41, 30, v6
	s_delay_alu instid0(VALU_DEP_1)
	v_add_nc_u32_e32 v41, v44, v41
	s_and_not1_saveexec_b32 s5, s33
	s_cbranch_execnz .LBB138_160
	s_branch .LBB138_161
.LBB138_159:                            ;   in Loop: Header=BB138_4 Depth=1
	s_and_not1_saveexec_b32 s5, s33
.LBB138_160:                            ;   in Loop: Header=BB138_4 Depth=1
	v_mul_f32_e64 v6, 0x3f22f983, |v31|
	s_delay_alu instid0(VALU_DEP_1) | instskip(NEXT) | instid1(VALU_DEP_1)
	v_rndne_f32_e32 v41, v6
	v_fma_f32 v6, 0xbfc90fda, v41, |v31|
	s_delay_alu instid0(VALU_DEP_1) | instskip(NEXT) | instid1(VALU_DEP_1)
	v_fmac_f32_e32 v6, 0xb3a22168, v41
	v_fmac_f32_e32 v6, 0xa7c234c4, v41
	v_cvt_i32_f32_e32 v41, v41
.LBB138_161:                            ;   in Loop: Header=BB138_4 Depth=1
	s_or_b32 exec_lo, exec_lo, s5
	v_mul_f32_e32 v42, 0x3fb8aa3b, v30
	v_dual_mul_f32 v43, v34, v34 :: v_dual_bitop2_b32 v44, 1, v35 bitop3:0x40
	v_mul_f32_e32 v45, v6, v6
	v_cmp_nlt_f32_e64 s6, 0x42b17218, v30
	s_delay_alu instid0(VALU_DEP_4)
	v_rndne_f32_e32 v46, v42
	v_fma_f32 v47, 0x3fb8aa3b, v30, -v42
	v_fmaak_f32 v48, s25, v43, 0x3c0881c4
	v_fmaak_f32 v49, s26, v43, 0xbab64f3b
	v_dual_fmaak_f32 v50, s25, v45, 0x3c0881c4 :: v_dual_lshlrev_b32 v35, 30, v35
	v_sub_f32_e32 v42, v42, v46
	s_delay_alu instid0(VALU_DEP_4) | instskip(SKIP_1) | instid1(VALU_DEP_4)
	v_fmaak_f32 v48, v43, v48, 0xbe2aaa9d
	v_fmac_f32_e32 v47, 0x32a5705f, v30
	v_fmaak_f32 v50, v45, v50, 0xbe2aaa9d
	v_fmaak_f32 v49, v43, v49, 0x3d2aabf7
	v_cvt_i32_f32_e32 v46, v46
	v_dual_mul_f32 v48, v43, v48 :: v_dual_fmaak_f32 v51, s26, v45, 0xbab64f3b
	s_delay_alu instid0(VALU_DEP_4) | instskip(NEXT) | instid1(VALU_DEP_2)
	v_dual_add_f32 v42, v42, v47 :: v_dual_mul_f32 v50, v45, v50
	v_dual_fmaak_f32 v49, v43, v49, 0xbf000004 :: v_dual_fmac_f32 v34, v34, v48
	s_delay_alu instid0(VALU_DEP_3) | instskip(NEXT) | instid1(VALU_DEP_3)
	v_fmaak_f32 v47, v45, v51, 0x3d2aabf7
	v_exp_f32_e32 v42, v42
	s_delay_alu instid0(VALU_DEP_3) | instskip(NEXT) | instid1(VALU_DEP_3)
	v_fmac_f32_e32 v6, v6, v50
	v_fma_f32 v43, v43, v49, 1.0
	v_cmp_eq_u32_e64 s5, 0, v44
	v_fmaak_f32 v47, v45, v47, 0xbf000004
	s_delay_alu instid0(TRANS32_DEP_1) | instskip(NEXT) | instid1(VALU_DEP_3)
	v_ldexp_f32 v42, v42, v46
	v_dual_cndmask_b32 v34, -v34, v43, s5 :: v_dual_bitop2_b32 v46, 1, v41 bitop3:0x40
	s_delay_alu instid0(VALU_DEP_3) | instskip(SKIP_1) | instid1(VALU_DEP_3)
	v_fma_f32 v45, v45, v47, 1.0
	v_lshlrev_b32_e32 v41, 30, v41
	v_cmp_eq_u32_e64 s5, 0, v46
	s_delay_alu instid0(VALU_DEP_4) | instskip(NEXT) | instid1(VALU_DEP_3)
	v_bitop3_b32 v34, v35, v34, 0x80000000 bitop3:0x6c
	v_and_or_b32 v40, 0x80000000, v41, v40
	s_delay_alu instid0(VALU_DEP_3) | instskip(SKIP_1) | instid1(VALU_DEP_2)
	v_cndmask_b32_e64 v6, v45, v6, s5
	v_cmp_ngt_f32_e64 s5, 0xc2ce8ed0, v30
	v_xor3_b32 v6, v40, v6, v31
	s_delay_alu instid0(VALU_DEP_2) | instskip(SKIP_1) | instid1(VALU_DEP_2)
	v_cndmask_b32_e64 v41, 0, v42, s5
	v_cmp_class_f32_e64 s5, v31, 0x1f8
                                        ; implicit-def: $vgpr40
	v_cndmask_b32_e64 v30, 0x7f800000, v41, s6
	s_delay_alu instid0(VALU_DEP_2) | instskip(SKIP_1) | instid1(VALU_DEP_1)
	v_cndmask_b32_e64 v31, 0x7fc00000, v34, s5
	v_cndmask_b32_e64 v6, 0x7fc00000, v6, s5
	v_dual_mul_f32 v34, v30, v31 :: v_dual_mul_f32 v35, v30, v6
                                        ; implicit-def: $vgpr31
.LBB138_162:                            ;   in Loop: Header=BB138_4 Depth=1
	s_and_not1_saveexec_b32 s31, s31
	s_cbranch_execz .LBB138_172
; %bb.163:                              ;   in Loop: Header=BB138_4 Depth=1
	v_cmp_ngt_f32_e64 s33, 0x48000000, |v31|
                                        ; implicit-def: $vgpr35
                                        ; implicit-def: $vgpr34
	s_and_saveexec_b32 s5, s33
	s_delay_alu instid0(SALU_CYCLE_1)
	s_xor_b32 s34, exec_lo, s5
	s_cbranch_execz .LBB138_165
; %bb.164:                              ;   in Loop: Header=BB138_4 Depth=1
	v_and_or_b32 v6, v40, s24, 0x800000
	v_dual_mov_b32 v51, v7 :: v_dual_mov_b32 v53, v7
	s_delay_alu instid0(VALU_DEP_2) | instskip(NEXT) | instid1(VALU_DEP_1)
	v_mul_u64_e32 v[34:35], s[18:19], v[6:7]
	v_dual_mov_b32 v43, v7 :: v_dual_mov_b32 v42, v35
	v_lshrrev_b32_e32 v35, 23, v40
	s_delay_alu instid0(VALU_DEP_2) | instskip(SKIP_1) | instid1(VALU_DEP_3)
	v_mad_nc_u64_u32 v[42:43], 0x3c439041, v6, v[42:43]
	v_mov_b32_e32 v45, v7
	v_add_nc_u32_e32 v35, 0xffffff88, v35
	s_delay_alu instid0(VALU_DEP_1) | instskip(NEXT) | instid1(VALU_DEP_4)
	v_cmp_lt_u32_e64 s5, 63, v35
	v_mov_b32_e32 v44, v43
	s_delay_alu instid0(VALU_DEP_2) | instskip(NEXT) | instid1(VALU_DEP_2)
	v_cndmask_b32_e64 v41, 0, 0xffffffc0, s5
	v_mad_nc_u64_u32 v[44:45], 0xdb629599, v6, v[44:45]
	s_delay_alu instid0(VALU_DEP_2) | instskip(NEXT) | instid1(VALU_DEP_1)
	v_dual_mov_b32 v47, v7 :: v_dual_add_nc_u32 v35, v41, v35
	v_cmp_lt_u32_e64 s6, 31, v35
	s_delay_alu instid0(VALU_DEP_3) | instskip(NEXT) | instid1(VALU_DEP_2)
	v_dual_mov_b32 v46, v45 :: v_dual_cndmask_b32 v34, v44, v34, s5
	v_cndmask_b32_e64 v41, 0, 0xffffffe0, s6
	s_delay_alu instid0(VALU_DEP_2) | instskip(NEXT) | instid1(VALU_DEP_1)
	v_mad_nc_u64_u32 v[46:47], 0xf534ddc0, v6, v[46:47]
	v_dual_mov_b32 v49, v7 :: v_dual_mov_b32 v48, v47
	s_delay_alu instid0(VALU_DEP_1) | instskip(NEXT) | instid1(VALU_DEP_1)
	v_mad_nc_u64_u32 v[48:49], 0xfc2757d1, v6, v[48:49]
	v_dual_mov_b32 v50, v49 :: v_dual_cndmask_b32 v47, v48, v44, s5
	s_delay_alu instid0(VALU_DEP_1) | instskip(NEXT) | instid1(VALU_DEP_1)
	v_mad_nc_u64_u32 v[50:51], 0x4e441529, v6, v[50:51]
	v_mov_b32_e32 v52, v51
	s_delay_alu instid0(VALU_DEP_1) | instskip(NEXT) | instid1(VALU_DEP_3)
	v_mad_nc_u64_u32 v[52:53], 0xa2f9836e, v6, v[52:53]
	v_dual_add_nc_u32 v6, v41, v35 :: v_dual_cndmask_b32 v41, v50, v46, s5
	s_delay_alu instid0(VALU_DEP_1) | instskip(NEXT) | instid1(VALU_DEP_1)
	v_cmp_lt_u32_e64 s7, 31, v6
	v_cndmask_b32_e64 v35, 0, 0xffffffe0, s7
	s_delay_alu instid0(VALU_DEP_4) | instskip(NEXT) | instid1(VALU_DEP_2)
	v_dual_cndmask_b32 v43, v52, v48, s5 :: v_dual_cndmask_b32 v45, v53, v50, s5
	v_add_nc_u32_e32 v6, v35, v6
	s_delay_alu instid0(VALU_DEP_2) | instskip(NEXT) | instid1(VALU_DEP_3)
	v_dual_cndmask_b32 v35, v46, v42, s5 :: v_dual_cndmask_b32 v42, v43, v41, s6
	v_cndmask_b32_e64 v43, v45, v43, s6
	s_delay_alu instid0(VALU_DEP_3) | instskip(NEXT) | instid1(VALU_DEP_3)
	v_dual_cndmask_b32 v41, v41, v47, s6 :: v_dual_sub_nc_u32 v45, 32, v6
	v_cndmask_b32_e64 v46, v47, v35, s6
	v_cmp_eq_u32_e64 s5, 0, v6
	s_delay_alu instid0(VALU_DEP_3) | instskip(NEXT) | instid1(VALU_DEP_3)
	v_dual_cndmask_b32 v43, v43, v42, s7 :: v_dual_cndmask_b32 v42, v42, v41, s7
	v_cndmask_b32_e64 v41, v41, v46, s7
	v_cndmask_b32_e64 v34, v35, v34, s6
	s_delay_alu instid0(VALU_DEP_2) | instskip(NEXT) | instid1(VALU_DEP_1)
	v_alignbit_b32 v44, v42, v41, v45
	v_cndmask_b32_e64 v35, v44, v42, s5
	v_alignbit_b32 v47, v43, v42, v45
	s_delay_alu instid0(VALU_DEP_1) | instskip(NEXT) | instid1(VALU_DEP_1)
	v_cndmask_b32_e64 v6, v47, v43, s5
	v_bfe_u32 v42, v6, 29, 1
	s_delay_alu instid0(VALU_DEP_4) | instskip(NEXT) | instid1(VALU_DEP_2)
	v_alignbit_b32 v43, v6, v35, 30
	v_sub_nc_u32_e32 v44, 0, v42
	s_delay_alu instid0(VALU_DEP_1) | instskip(NEXT) | instid1(VALU_DEP_1)
	v_dual_cndmask_b32 v34, v46, v34, s7 :: v_dual_bitop2_b32 v43, v43, v44 bitop3:0x14
	v_alignbit_b32 v45, v41, v34, v45
	s_delay_alu instid0(VALU_DEP_1) | instskip(NEXT) | instid1(VALU_DEP_3)
	v_cndmask_b32_e64 v41, v45, v41, s5
	v_clz_i32_u32_e32 v45, v43
	s_delay_alu instid0(VALU_DEP_2) | instskip(NEXT) | instid1(VALU_DEP_2)
	v_alignbit_b32 v35, v35, v41, 30
	v_min_u32_e32 v45, 32, v45
	s_delay_alu instid0(VALU_DEP_2) | instskip(SKIP_1) | instid1(VALU_DEP_3)
	v_xor_b32_e32 v35, v35, v44
	v_alignbit_b32 v34, v41, v34, 30
	v_dual_sub_nc_u32 v41, 31, v45 :: v_dual_lshlrev_b32 v46, 23, v45
	s_delay_alu instid0(VALU_DEP_2) | instskip(NEXT) | instid1(VALU_DEP_2)
	v_dual_lshrrev_b32 v44, 29, v6 :: v_dual_bitop2_b32 v34, v34, v44 bitop3:0x14
	v_alignbit_b32 v43, v43, v35, v41
	v_lshrrev_b32_e32 v6, 30, v6
	s_delay_alu instid0(VALU_DEP_3) | instskip(NEXT) | instid1(VALU_DEP_4)
	v_alignbit_b32 v34, v35, v34, v41
	v_lshlrev_b32_e32 v35, 31, v44
	s_delay_alu instid0(VALU_DEP_2) | instskip(NEXT) | instid1(VALU_DEP_2)
	v_alignbit_b32 v41, v43, v34, 9
	v_or_b32_e32 v44, 0.5, v35
	v_lshrrev_b32_e32 v43, 9, v43
	v_or_b32_e32 v35, 0x33000000, v35
	s_delay_alu instid0(VALU_DEP_4) | instskip(NEXT) | instid1(VALU_DEP_4)
	v_clz_i32_u32_e32 v47, v41
	v_sub_nc_u32_e32 v44, v44, v46
	s_delay_alu instid0(VALU_DEP_2) | instskip(NEXT) | instid1(VALU_DEP_2)
	v_min_u32_e32 v46, 32, v47
	v_or_b32_e32 v43, v43, v44
	s_delay_alu instid0(VALU_DEP_2) | instskip(SKIP_1) | instid1(VALU_DEP_2)
	v_not_b32_e32 v44, v46
	v_add_lshl_u32 v45, v46, v45, 23
	v_alignbit_b32 v34, v41, v34, v44
	s_delay_alu instid0(VALU_DEP_1) | instskip(SKIP_1) | instid1(VALU_DEP_2)
	v_dual_sub_nc_u32 v35, v35, v45 :: v_dual_lshrrev_b32 v34, 9, v34
	v_mul_f32_e32 v47, 0x3fc90fda, v43
	v_or_b32_e32 v34, v35, v34
	s_delay_alu instid0(VALU_DEP_2) | instskip(SKIP_1) | instid1(VALU_DEP_2)
	v_fma_f32 v41, 0x3fc90fda, v43, -v47
	v_add_nc_u32_e32 v35, v42, v6
	v_fmac_f32_e32 v41, 0x33a22168, v43
	s_delay_alu instid0(VALU_DEP_1) | instskip(NEXT) | instid1(VALU_DEP_1)
	v_fmac_f32_e32 v41, 0x3fc90fda, v34
	v_add_f32_e32 v34, v47, v41
	s_and_not1_saveexec_b32 s5, s34
	s_branch .LBB138_166
.LBB138_165:                            ;   in Loop: Header=BB138_4 Depth=1
	s_and_not1_saveexec_b32 s5, s34
.LBB138_166:                            ;   in Loop: Header=BB138_4 Depth=1
	v_mul_f32_e64 v6, 0x3f22f983, |v31|
	s_delay_alu instid0(VALU_DEP_1) | instskip(NEXT) | instid1(VALU_DEP_1)
	v_rndne_f32_e32 v6, v6
	v_fma_f32 v34, 0xbfc90fda, v6, |v31|
	v_cvt_i32_f32_e32 v35, v6
	s_delay_alu instid0(VALU_DEP_2) | instskip(NEXT) | instid1(VALU_DEP_1)
	v_fmac_f32_e32 v34, 0xb3a22168, v6
	v_fmac_f32_e32 v34, 0xa7c234c4, v6
; %bb.167:                              ;   in Loop: Header=BB138_4 Depth=1
	s_or_b32 exec_lo, exec_lo, s5
                                        ; implicit-def: $vgpr41
                                        ; implicit-def: $vgpr6
	s_and_saveexec_b32 s5, s33
	s_delay_alu instid0(SALU_CYCLE_1)
	s_xor_b32 s33, exec_lo, s5
	s_cbranch_execz .LBB138_169
; %bb.168:                              ;   in Loop: Header=BB138_4 Depth=1
	v_and_or_b32 v6, v40, s24, 0x800000
	v_dual_lshrrev_b32 v41, 23, v40 :: v_dual_mov_b32 v53, v7
	s_delay_alu instid0(VALU_DEP_2) | instskip(SKIP_1) | instid1(VALU_DEP_3)
	v_mul_u64_e32 v[42:43], s[18:19], v[6:7]
	v_mov_b32_e32 v45, v7
	v_add_nc_u32_e32 v41, 0xffffff88, v41
	s_delay_alu instid0(VALU_DEP_1) | instskip(NEXT) | instid1(VALU_DEP_4)
	v_cmp_lt_u32_e64 s5, 63, v41
	v_mov_b32_e32 v44, v43
	s_delay_alu instid0(VALU_DEP_2) | instskip(NEXT) | instid1(VALU_DEP_2)
	v_cndmask_b32_e64 v43, 0, 0xffffffc0, s5
	v_mad_nc_u64_u32 v[44:45], 0x3c439041, v6, v[44:45]
	s_delay_alu instid0(VALU_DEP_1) | instskip(NEXT) | instid1(VALU_DEP_1)
	v_dual_mov_b32 v47, v7 :: v_dual_mov_b32 v46, v45
	v_mad_nc_u64_u32 v[46:47], 0xdb629599, v6, v[46:47]
	s_delay_alu instid0(VALU_DEP_1) | instskip(NEXT) | instid1(VALU_DEP_2)
	v_dual_mov_b32 v49, v7 :: v_dual_mov_b32 v48, v47
	v_cndmask_b32_e64 v42, v46, v42, s5
	s_delay_alu instid0(VALU_DEP_2) | instskip(NEXT) | instid1(VALU_DEP_1)
	v_mad_nc_u64_u32 v[48:49], 0xf534ddc0, v6, v[48:49]
	v_dual_mov_b32 v51, v7 :: v_dual_mov_b32 v50, v49
	s_delay_alu instid0(VALU_DEP_1) | instskip(NEXT) | instid1(VALU_DEP_1)
	v_mad_nc_u64_u32 v[50:51], 0xfc2757d1, v6, v[50:51]
	v_dual_mov_b32 v52, v51 :: v_dual_cndmask_b32 v49, v50, v46, s5
	s_delay_alu instid0(VALU_DEP_1) | instskip(SKIP_1) | instid1(VALU_DEP_2)
	v_mad_nc_u64_u32 v[52:53], 0x4e441529, v6, v[52:53]
	v_add_nc_u32_e32 v41, v43, v41
	v_dual_mov_b32 v55, v7 :: v_dual_mov_b32 v54, v53
	s_delay_alu instid0(VALU_DEP_2) | instskip(NEXT) | instid1(VALU_DEP_2)
	v_cmp_lt_u32_e64 s6, 31, v41
	v_mad_nc_u64_u32 v[54:55], 0xa2f9836e, v6, v[54:55]
	s_delay_alu instid0(VALU_DEP_2) | instskip(NEXT) | instid1(VALU_DEP_1)
	v_cndmask_b32_e64 v43, 0, 0xffffffe0, s6
	v_dual_add_nc_u32 v6, v43, v41 :: v_dual_cndmask_b32 v43, v52, v48, s5
	s_delay_alu instid0(VALU_DEP_3) | instskip(NEXT) | instid1(VALU_DEP_2)
	v_cndmask_b32_e64 v45, v54, v50, s5
	v_cmp_lt_u32_e64 s7, 31, v6
	v_cndmask_b32_e64 v47, v55, v52, s5
	s_delay_alu instid0(VALU_DEP_2) | instskip(NEXT) | instid1(VALU_DEP_1)
	v_cndmask_b32_e64 v41, 0, 0xffffffe0, s7
	v_dual_add_nc_u32 v6, v41, v6 :: v_dual_cndmask_b32 v41, v48, v44, s5
	s_delay_alu instid0(VALU_DEP_3) | instskip(NEXT) | instid1(VALU_DEP_2)
	v_dual_cndmask_b32 v44, v45, v43, s6 :: v_dual_cndmask_b32 v45, v47, v45, s6
	v_dual_cndmask_b32 v43, v43, v49, s6 :: v_dual_sub_nc_u32 v47, 32, v6
	s_delay_alu instid0(VALU_DEP_3) | instskip(SKIP_1) | instid1(VALU_DEP_3)
	v_cndmask_b32_e64 v48, v49, v41, s6
	v_cmp_eq_u32_e64 s5, 0, v6
	v_dual_cndmask_b32 v45, v45, v44, s7 :: v_dual_cndmask_b32 v44, v44, v43, s7
	s_delay_alu instid0(VALU_DEP_1) | instskip(NEXT) | instid1(VALU_DEP_1)
	v_alignbit_b32 v49, v45, v44, v47
	v_dual_cndmask_b32 v43, v43, v48, s7 :: v_dual_cndmask_b32 v6, v49, v45, s5
	s_delay_alu instid0(VALU_DEP_1) | instskip(NEXT) | instid1(VALU_DEP_1)
	v_alignbit_b32 v46, v44, v43, v47
	v_dual_cndmask_b32 v41, v41, v42, s6 :: v_dual_cndmask_b32 v42, v46, v44, s5
	s_delay_alu instid0(VALU_DEP_3) | instskip(NEXT) | instid1(VALU_DEP_2)
	v_bfe_u32 v44, v6, 29, 1
	v_cndmask_b32_e64 v41, v48, v41, s7
	s_delay_alu instid0(VALU_DEP_3) | instskip(NEXT) | instid1(VALU_DEP_3)
	v_alignbit_b32 v45, v6, v42, 30
	v_sub_nc_u32_e32 v46, 0, v44
	s_delay_alu instid0(VALU_DEP_3) | instskip(NEXT) | instid1(VALU_DEP_1)
	v_alignbit_b32 v47, v43, v41, v47
	v_dual_cndmask_b32 v43, v47, v43, s5 :: v_dual_bitop2_b32 v45, v45, v46 bitop3:0x14
	s_delay_alu instid0(VALU_DEP_1) | instskip(NEXT) | instid1(VALU_DEP_2)
	v_clz_i32_u32_e32 v47, v45
	v_alignbit_b32 v42, v42, v43, 30
	v_alignbit_b32 v41, v43, v41, 30
	s_delay_alu instid0(VALU_DEP_3) | instskip(NEXT) | instid1(VALU_DEP_3)
	v_min_u32_e32 v47, 32, v47
	v_xor_b32_e32 v42, v42, v46
	s_delay_alu instid0(VALU_DEP_3) | instskip(NEXT) | instid1(VALU_DEP_3)
	v_xor_b32_e32 v41, v41, v46
	v_dual_lshrrev_b32 v46, 29, v6 :: v_dual_lshlrev_b32 v48, 23, v47
	v_sub_nc_u32_e32 v43, 31, v47
	s_delay_alu instid0(VALU_DEP_1) | instskip(NEXT) | instid1(VALU_DEP_4)
	v_alignbit_b32 v45, v45, v42, v43
	v_alignbit_b32 v41, v42, v41, v43
	s_delay_alu instid0(VALU_DEP_4) | instskip(NEXT) | instid1(VALU_DEP_2)
	v_lshlrev_b32_e32 v42, 31, v46
	v_alignbit_b32 v43, v45, v41, 9
	s_delay_alu instid0(VALU_DEP_2) | instskip(SKIP_1) | instid1(VALU_DEP_3)
	v_dual_lshrrev_b32 v45, 9, v45 :: v_dual_bitop2_b32 v46, 0.5, v42 bitop3:0x54
	v_or_b32_e32 v42, 0x33000000, v42
	v_clz_i32_u32_e32 v49, v43
	s_delay_alu instid0(VALU_DEP_3) | instskip(NEXT) | instid1(VALU_DEP_2)
	v_sub_nc_u32_e32 v46, v46, v48
	v_min_u32_e32 v48, 32, v49
	s_delay_alu instid0(VALU_DEP_1) | instskip(NEXT) | instid1(VALU_DEP_3)
	v_add_lshl_u32 v47, v48, v47, 23
	v_or_b32_e32 v45, v45, v46
	v_not_b32_e32 v46, v48
	s_delay_alu instid0(VALU_DEP_2) | instskip(NEXT) | instid1(VALU_DEP_2)
	v_dual_mul_f32 v49, 0x3fc90fda, v45 :: v_dual_sub_nc_u32 v42, v42, v47
	v_alignbit_b32 v41, v43, v41, v46
	s_delay_alu instid0(VALU_DEP_2) | instskip(NEXT) | instid1(VALU_DEP_2)
	v_fma_f32 v43, 0x3fc90fda, v45, -v49
	v_lshrrev_b32_e32 v41, 9, v41
	s_delay_alu instid0(VALU_DEP_2) | instskip(NEXT) | instid1(VALU_DEP_2)
	v_fmac_f32_e32 v43, 0x33a22168, v45
	v_or_b32_e32 v41, v42, v41
	s_delay_alu instid0(VALU_DEP_1) | instskip(NEXT) | instid1(VALU_DEP_1)
	v_fmac_f32_e32 v43, 0x3fc90fda, v41
	v_dual_add_f32 v6, v49, v43 :: v_dual_lshrrev_b32 v41, 30, v6
	s_delay_alu instid0(VALU_DEP_1)
	v_add_nc_u32_e32 v41, v44, v41
	s_and_not1_saveexec_b32 s5, s33
	s_cbranch_execnz .LBB138_170
	s_branch .LBB138_171
.LBB138_169:                            ;   in Loop: Header=BB138_4 Depth=1
	s_and_not1_saveexec_b32 s5, s33
.LBB138_170:                            ;   in Loop: Header=BB138_4 Depth=1
	v_mul_f32_e64 v6, 0x3f22f983, |v31|
	s_delay_alu instid0(VALU_DEP_1) | instskip(NEXT) | instid1(VALU_DEP_1)
	v_rndne_f32_e32 v41, v6
	v_fma_f32 v6, 0xbfc90fda, v41, |v31|
	s_delay_alu instid0(VALU_DEP_1) | instskip(NEXT) | instid1(VALU_DEP_1)
	v_fmac_f32_e32 v6, 0xb3a22168, v41
	v_fmac_f32_e32 v6, 0xa7c234c4, v41
	v_cvt_i32_f32_e32 v41, v41
.LBB138_171:                            ;   in Loop: Header=BB138_4 Depth=1
	s_or_b32 exec_lo, exec_lo, s5
	s_delay_alu instid0(VALU_DEP_1) | instskip(SKIP_1) | instid1(VALU_DEP_2)
	v_dual_mul_f32 v45, v34, v34 :: v_dual_bitop2_b32 v46, 1, v41 bitop3:0x40
	v_dual_add_f32 v30, 0xc322e3bc, v30 :: v_dual_lshlrev_b32 v41, 30, v41
	v_fmaak_f32 v47, s26, v45, 0xbab64f3b
	v_fmaak_f32 v48, s25, v45, 0x3c0881c4
	s_delay_alu instid0(VALU_DEP_3) | instskip(NEXT) | instid1(VALU_DEP_4)
	v_cmp_ngt_f32_e64 s5, 0xc2ce8ed0, v30
	v_and_or_b32 v40, 0x80000000, v41, v40
	s_delay_alu instid0(VALU_DEP_4) | instskip(NEXT) | instid1(VALU_DEP_4)
	v_fmaak_f32 v41, v45, v47, 0x3d2aabf7
	v_fmaak_f32 v47, v45, v48, 0xbe2aaa9d
	s_delay_alu instid0(VALU_DEP_1) | instskip(NEXT) | instid1(VALU_DEP_1)
	v_dual_mul_f32 v42, 0x3fb8aa3b, v30 :: v_dual_mul_f32 v47, v45, v47
	v_fma_f32 v43, 0x3fb8aa3b, v30, -v42
	v_rndne_f32_e32 v44, v42
	s_delay_alu instid0(VALU_DEP_2) | instskip(NEXT) | instid1(VALU_DEP_2)
	v_dual_fmac_f32 v34, v34, v47 :: v_dual_fmac_f32 v43, 0x32a5705f, v30
	v_sub_f32_e32 v42, v42, v44
	s_delay_alu instid0(VALU_DEP_1) | instskip(SKIP_2) | instid1(VALU_DEP_3)
	v_add_f32_e32 v42, v42, v43
	v_cvt_i32_f32_e32 v43, v44
	v_dual_lshlrev_b32 v44, 30, v35 :: v_dual_bitop2_b32 v35, 1, v35 bitop3:0x40
	v_exp_f32_e32 v42, v42
	v_nop
	s_delay_alu instid0(TRANS32_DEP_1) | instskip(SKIP_1) | instid1(VALU_DEP_1)
	v_ldexp_f32 v42, v42, v43
	v_mul_f32_e32 v43, v6, v6
	v_fmaak_f32 v49, s25, v43, 0x3c0881c4
	s_delay_alu instid0(VALU_DEP_1) | instskip(NEXT) | instid1(VALU_DEP_4)
	v_fmaak_f32 v49, v43, v49, 0xbe2aaa9d
	v_cndmask_b32_e64 v42, 0, v42, s5
	v_cmp_nlt_f32_e64 s5, 0x42b17218, v30
	s_delay_alu instid0(VALU_DEP_3) | instskip(NEXT) | instid1(VALU_DEP_2)
	v_mul_f32_e32 v49, v43, v49
	v_cndmask_b32_e64 v30, 0x7f800000, v42, s5
	v_cmp_eq_u32_e64 s5, 0, v35
	s_delay_alu instid0(VALU_DEP_3) | instskip(SKIP_1) | instid1(VALU_DEP_4)
	v_fmac_f32_e32 v6, v6, v49
	v_fmaak_f32 v42, s26, v43, 0xbab64f3b
	v_lshrrev_b32_e32 v48, 23, v30
	v_and_or_b32 v30, 0x7fffff, v30, s27
	s_delay_alu instid0(VALU_DEP_3) | instskip(SKIP_1) | instid1(VALU_DEP_4)
	v_fmaak_f32 v42, v43, v42, 0x3d2aabf7
	v_fmaak_f32 v41, v45, v41, 0xbf000004
	v_subrev_nc_u32_e32 v48, 19, v48
	s_delay_alu instid0(VALU_DEP_3) | instskip(NEXT) | instid1(VALU_DEP_3)
	v_fmaak_f32 v42, v43, v42, 0xbf000004
	v_fma_f32 v41, v45, v41, 1.0
	s_delay_alu instid0(VALU_DEP_3) | instskip(NEXT) | instid1(VALU_DEP_3)
	v_lshrrev_b16 v45, 15, v48
	v_fma_f32 v42, v43, v42, 1.0
	s_delay_alu instid0(VALU_DEP_3) | instskip(SKIP_1) | instid1(VALU_DEP_4)
	v_cndmask_b32_e64 v34, -v34, v41, s5
	v_cmp_eq_u32_e64 s5, 0, v46
	v_add_nc_u16 v35, v48, v45
	s_delay_alu instid0(VALU_DEP_3) | instskip(NEXT) | instid1(VALU_DEP_3)
	v_bitop3_b32 v34, v44, v34, 0x80000000 bitop3:0x6c
	v_cndmask_b32_e64 v6, v42, v6, s5
	s_delay_alu instid0(VALU_DEP_3) | instskip(SKIP_1) | instid1(VALU_DEP_3)
	v_ashrrev_i16 v35, 1, v35
	v_cmp_class_f32_e64 s5, v31, 0x1f8
	v_xor3_b32 v6, v40, v6, v31
	s_delay_alu instid0(VALU_DEP_2) | instskip(NEXT) | instid1(VALU_DEP_4)
	v_cndmask_b32_e64 v31, 0x7fc00000, v34, s5
	v_bfe_i32 v34, v35, 0, 16
	s_delay_alu instid0(VALU_DEP_3) | instskip(NEXT) | instid1(VALU_DEP_3)
	v_cndmask_b32_e64 v6, 0x7fc00000, v6, s5
	v_mul_f32_e32 v31, v31, v30
	s_delay_alu instid0(VALU_DEP_3) | instskip(SKIP_1) | instid1(VALU_DEP_2)
	v_lshl_add_u32 v35, v34, 23, 1.0
	v_sub_nc_u32_e32 v34, v48, v34
	v_dual_mul_f32 v6, v6, v30 :: v_dual_mul_f32 v30, v31, v35
	s_delay_alu instid0(VALU_DEP_2) | instskip(NEXT) | instid1(VALU_DEP_2)
	v_lshl_add_u32 v31, v34, 23, 1.0
	v_mul_f32_e32 v6, v6, v35
	s_delay_alu instid0(VALU_DEP_2) | instskip(NEXT) | instid1(VALU_DEP_2)
	v_mul_f32_e32 v34, v30, v31
	v_mul_f32_e32 v35, v6, v31
.LBB138_172:                            ;   in Loop: Header=BB138_4 Depth=1
	s_or_b32 exec_lo, exec_lo, s31
                                        ; implicit-def: $vgpr30
                                        ; implicit-def: $vgpr6
.LBB138_173:                            ;   in Loop: Header=BB138_4 Depth=1
	s_and_not1_saveexec_b32 s6, s30
	s_cbranch_execz .LBB138_179
; %bb.174:                              ;   in Loop: Header=BB138_4 Depth=1
	v_cmp_ne_u32_e64 s5, 0x7f800000, v6
	v_sub_f32_e32 v35, v31, v31
	s_and_saveexec_b32 s7, s5
	s_delay_alu instid0(SALU_CYCLE_1)
	s_xor_b32 s5, exec_lo, s7
; %bb.175:                              ;   in Loop: Header=BB138_4 Depth=1
                                        ; implicit-def: $vgpr30
; %bb.176:                              ;   in Loop: Header=BB138_4 Depth=1
	s_delay_alu instid0(SALU_CYCLE_1) | instskip(NEXT) | instid1(VALU_DEP_1)
	s_or_saveexec_b32 s7, s5
	v_mov_b32_e32 v34, v35
	s_xor_b32 exec_lo, exec_lo, s7
; %bb.177:                              ;   in Loop: Header=BB138_4 Depth=1
	v_cmp_lt_i32_e64 s5, -1, v30
	s_delay_alu instid0(VALU_DEP_1)
	v_dual_cndmask_b32 v34, 0, v30, s5 :: v_dual_cndmask_b32 v35, 0, v35, s5
; %bb.178:                              ;   in Loop: Header=BB138_4 Depth=1
	s_or_b32 exec_lo, exec_lo, s7
.LBB138_179:                            ;   in Loop: Header=BB138_4 Depth=1
	s_delay_alu instid0(SALU_CYCLE_1)
	s_or_b32 exec_lo, exec_lo, s6
                                        ; implicit-def: $vgpr31
                                        ; implicit-def: $vgpr40
.LBB138_180:                            ;   in Loop: Header=BB138_4 Depth=1
	s_and_not1_saveexec_b32 s29, s29
	s_cbranch_execz .LBB138_190
; %bb.181:                              ;   in Loop: Header=BB138_4 Depth=1
	v_lshrrev_b32_e32 v30, 23, v40
	v_cmp_ngt_f32_e64 s30, 0x48000000, |v31|
	v_and_or_b32 v6, v40, s24, 0x800000
                                        ; implicit-def: $vgpr34
	s_delay_alu instid0(VALU_DEP_3) | instskip(SKIP_1) | instid1(SALU_CYCLE_1)
	v_add_nc_u32_e32 v35, 0xffffff88, v30
                                        ; implicit-def: $vgpr30
	s_and_saveexec_b32 s5, s30
	s_xor_b32 s31, exec_lo, s5
	s_cbranch_execz .LBB138_183
; %bb.182:                              ;   in Loop: Header=BB138_4 Depth=1
	v_mul_u64_e32 v[42:43], s[18:19], v[6:7]
	v_mov_b32_e32 v45, v7
	v_cmp_lt_u32_e64 s5, 63, v35
	v_mov_b32_e32 v55, v7
	s_delay_alu instid0(VALU_DEP_2) | instskip(NEXT) | instid1(VALU_DEP_1)
	v_cndmask_b32_e64 v30, 0, 0xffffffc0, s5
	v_add_nc_u32_e32 v30, v30, v35
	s_delay_alu instid0(VALU_DEP_1) | instskip(NEXT) | instid1(VALU_DEP_1)
	v_cmp_lt_u32_e64 s6, 31, v30
	v_cndmask_b32_e64 v34, 0, 0xffffffe0, s6
	s_delay_alu instid0(VALU_DEP_1) | instskip(NEXT) | instid1(VALU_DEP_1)
	v_dual_add_nc_u32 v30, v34, v30 :: v_dual_mov_b32 v44, v43
	v_cmp_lt_u32_e64 s7, 31, v30
	s_delay_alu instid0(VALU_DEP_2) | instskip(SKIP_1) | instid1(VALU_DEP_3)
	v_mad_nc_u64_u32 v[44:45], 0x3c439041, v6, v[44:45]
	v_mov_b32_e32 v47, v7
	v_cndmask_b32_e64 v34, 0, 0xffffffe0, s7
	s_delay_alu instid0(VALU_DEP_3) | instskip(NEXT) | instid1(VALU_DEP_1)
	v_mov_b32_e32 v46, v45
	v_mad_nc_u64_u32 v[46:47], 0xdb629599, v6, v[46:47]
	s_delay_alu instid0(VALU_DEP_1) | instskip(NEXT) | instid1(VALU_DEP_1)
	v_dual_mov_b32 v49, v7 :: v_dual_mov_b32 v48, v47
	v_mad_nc_u64_u32 v[48:49], 0xf534ddc0, v6, v[48:49]
	v_dual_mov_b32 v51, v7 :: v_dual_add_nc_u32 v30, v34, v30
	s_delay_alu instid0(VALU_DEP_2) | instskip(NEXT) | instid1(VALU_DEP_1)
	v_dual_cndmask_b32 v34, v48, v44, s5 :: v_dual_mov_b32 v50, v49
	v_mad_nc_u64_u32 v[50:51], 0xfc2757d1, v6, v[50:51]
	s_delay_alu instid0(VALU_DEP_1) | instskip(NEXT) | instid1(VALU_DEP_2)
	v_dual_mov_b32 v53, v7 :: v_dual_mov_b32 v52, v51
	v_cndmask_b32_e64 v47, v50, v46, s5
	s_delay_alu instid0(VALU_DEP_2) | instskip(NEXT) | instid1(VALU_DEP_1)
	v_mad_nc_u64_u32 v[52:53], 0x4e441529, v6, v[52:53]
	v_mov_b32_e32 v54, v53
	s_delay_alu instid0(VALU_DEP_1) | instskip(NEXT) | instid1(VALU_DEP_1)
	v_mad_nc_u64_u32 v[54:55], 0xa2f9836e, v6, v[54:55]
	v_dual_cndmask_b32 v41, v52, v48, s5 :: v_dual_cndmask_b32 v43, v54, v50, s5
	s_delay_alu instid0(VALU_DEP_2) | instskip(NEXT) | instid1(VALU_DEP_1)
	v_cndmask_b32_e64 v45, v55, v52, s5
	v_dual_cndmask_b32 v44, v43, v41, s6 :: v_dual_cndmask_b32 v43, v45, v43, s6
	v_dual_cndmask_b32 v41, v41, v47, s6 :: v_dual_sub_nc_u32 v45, 32, v30
	v_cndmask_b32_e64 v47, v47, v34, s6
	s_delay_alu instid0(VALU_DEP_2) | instskip(NEXT) | instid1(VALU_DEP_2)
	v_dual_cndmask_b32 v43, v43, v44, s7 :: v_dual_cndmask_b32 v44, v44, v41, s7
	v_cndmask_b32_e64 v41, v41, v47, s7
	s_delay_alu instid0(VALU_DEP_2) | instskip(SKIP_2) | instid1(VALU_DEP_4)
	v_alignbit_b32 v48, v43, v44, v45
	v_cndmask_b32_e64 v42, v46, v42, s5
	v_cmp_eq_u32_e64 s5, 0, v30
	v_alignbit_b32 v46, v44, v41, v45
	s_delay_alu instid0(VALU_DEP_2) | instskip(NEXT) | instid1(VALU_DEP_1)
	v_cndmask_b32_e64 v30, v48, v43, s5
	v_bfe_u32 v43, v30, 29, 1
	v_cndmask_b32_e64 v34, v34, v42, s6
	s_delay_alu instid0(VALU_DEP_2) | instskip(NEXT) | instid1(VALU_DEP_2)
	v_dual_cndmask_b32 v42, v46, v44, s5 :: v_dual_sub_nc_u32 v46, 0, v43
	v_cndmask_b32_e64 v34, v47, v34, s7
	s_delay_alu instid0(VALU_DEP_2) | instskip(NEXT) | instid1(VALU_DEP_2)
	v_alignbit_b32 v44, v30, v42, 30
	v_alignbit_b32 v45, v41, v34, v45
	s_delay_alu instid0(VALU_DEP_1) | instskip(NEXT) | instid1(VALU_DEP_1)
	v_dual_cndmask_b32 v41, v45, v41, s5 :: v_dual_bitop2_b32 v44, v44, v46 bitop3:0x14
	v_clz_i32_u32_e32 v45, v44
	s_delay_alu instid0(VALU_DEP_2) | instskip(NEXT) | instid1(VALU_DEP_2)
	v_alignbit_b32 v42, v42, v41, 30
	v_min_u32_e32 v45, 32, v45
	v_alignbit_b32 v34, v41, v34, 30
	s_delay_alu instid0(VALU_DEP_2) | instskip(NEXT) | instid1(VALU_DEP_2)
	v_dual_sub_nc_u32 v42, 31, v45 :: v_dual_bitop2_b32 v41, v42, v46 bitop3:0x14
	v_xor_b32_e32 v34, v34, v46
	v_dual_lshrrev_b32 v46, 29, v30 :: v_dual_lshlrev_b32 v47, 23, v45
	s_delay_alu instid0(VALU_DEP_3) | instskip(NEXT) | instid1(VALU_DEP_3)
	v_alignbit_b32 v44, v44, v41, v42
	v_alignbit_b32 v34, v41, v34, v42
	s_delay_alu instid0(VALU_DEP_3) | instskip(NEXT) | instid1(VALU_DEP_2)
	v_lshlrev_b32_e32 v41, 31, v46
	v_alignbit_b32 v42, v44, v34, 9
	s_delay_alu instid0(VALU_DEP_2) | instskip(SKIP_1) | instid1(VALU_DEP_3)
	v_dual_lshrrev_b32 v44, 9, v44 :: v_dual_bitop2_b32 v46, 0.5, v41 bitop3:0x54
	v_or_b32_e32 v41, 0x33000000, v41
	v_clz_i32_u32_e32 v48, v42
	s_delay_alu instid0(VALU_DEP_3) | instskip(NEXT) | instid1(VALU_DEP_2)
	v_sub_nc_u32_e32 v46, v46, v47
	v_min_u32_e32 v47, 32, v48
	s_delay_alu instid0(VALU_DEP_1) | instskip(NEXT) | instid1(VALU_DEP_1)
	v_add_lshl_u32 v45, v47, v45, 23
	v_dual_sub_nc_u32 v41, v41, v45 :: v_dual_bitop2_b32 v44, v44, v46 bitop3:0x54
	v_not_b32_e32 v46, v47
	s_delay_alu instid0(VALU_DEP_2) | instskip(NEXT) | instid1(VALU_DEP_2)
	v_mul_f32_e32 v48, 0x3fc90fda, v44
	v_alignbit_b32 v34, v42, v34, v46
	s_delay_alu instid0(VALU_DEP_2) | instskip(NEXT) | instid1(VALU_DEP_2)
	v_fma_f32 v42, 0x3fc90fda, v44, -v48
	v_lshrrev_b32_e32 v34, 9, v34
	s_delay_alu instid0(VALU_DEP_2) | instskip(NEXT) | instid1(VALU_DEP_2)
	v_fmac_f32_e32 v42, 0x33a22168, v44
	v_or_b32_e32 v34, v41, v34
	s_delay_alu instid0(VALU_DEP_1) | instskip(SKIP_1) | instid1(VALU_DEP_2)
	v_fmac_f32_e32 v42, 0x3fc90fda, v34
	v_lshrrev_b32_e32 v34, 30, v30
	v_add_f32_e32 v30, v48, v42
	s_delay_alu instid0(VALU_DEP_2)
	v_add_nc_u32_e32 v34, v43, v34
.LBB138_183:                            ;   in Loop: Header=BB138_4 Depth=1
	s_or_saveexec_b32 s5, s31
	v_mul_f32_e64 v41, 0x3f22f983, |v31|
	s_delay_alu instid0(VALU_DEP_1)
	v_rndne_f32_e32 v43, v41
	s_xor_b32 exec_lo, exec_lo, s5
; %bb.184:                              ;   in Loop: Header=BB138_4 Depth=1
	s_delay_alu instid0(VALU_DEP_1) | instskip(SKIP_1) | instid1(VALU_DEP_2)
	v_fma_f32 v30, 0xbfc90fda, v43, |v31|
	v_cvt_i32_f32_e32 v34, v43
	v_fmac_f32_e32 v30, 0xb3a22168, v43
	s_delay_alu instid0(VALU_DEP_1)
	v_fmac_f32_e32 v30, 0xa7c234c4, v43
; %bb.185:                              ;   in Loop: Header=BB138_4 Depth=1
	s_or_b32 exec_lo, exec_lo, s5
                                        ; implicit-def: $vgpr42
                                        ; implicit-def: $vgpr41
	s_and_saveexec_b32 s5, s30
	s_delay_alu instid0(SALU_CYCLE_1)
	s_xor_b32 s30, exec_lo, s5
	s_cbranch_execz .LBB138_187
; %bb.186:                              ;   in Loop: Header=BB138_4 Depth=1
	v_mul_u64_e32 v[42:43], s[18:19], v[6:7]
	v_mov_b32_e32 v45, v7
	v_cmp_lt_u32_e64 s5, 63, v35
	v_mov_b32_e32 v55, v7
	s_delay_alu instid0(VALU_DEP_2) | instskip(NEXT) | instid1(VALU_DEP_1)
	v_cndmask_b32_e64 v41, 0, 0xffffffc0, s5
	v_add_nc_u32_e32 v35, v41, v35
	s_delay_alu instid0(VALU_DEP_1) | instskip(NEXT) | instid1(VALU_DEP_1)
	v_cmp_lt_u32_e64 s6, 31, v35
	v_cndmask_b32_e64 v41, 0, 0xffffffe0, s6
	v_mov_b32_e32 v44, v43
	s_delay_alu instid0(VALU_DEP_1) | instskip(NEXT) | instid1(VALU_DEP_1)
	v_mad_nc_u64_u32 v[44:45], 0x3c439041, v6, v[44:45]
	v_dual_mov_b32 v47, v7 :: v_dual_mov_b32 v46, v45
	s_delay_alu instid0(VALU_DEP_1) | instskip(NEXT) | instid1(VALU_DEP_1)
	v_mad_nc_u64_u32 v[46:47], 0xdb629599, v6, v[46:47]
	v_dual_mov_b32 v49, v7 :: v_dual_mov_b32 v48, v47
	;; [unrolled: 3-line block ×4, first 2 shown]
	s_delay_alu instid0(VALU_DEP_2) | instskip(NEXT) | instid1(VALU_DEP_2)
	v_cndmask_b32_e64 v47, v50, v46, s5
	v_mad_nc_u64_u32 v[52:53], 0x4e441529, v6, v[52:53]
	s_delay_alu instid0(VALU_DEP_1) | instskip(NEXT) | instid1(VALU_DEP_1)
	v_mov_b32_e32 v54, v53
	v_mad_nc_u64_u32 v[54:55], 0xa2f9836e, v6, v[54:55]
	s_delay_alu instid0(VALU_DEP_3) | instskip(NEXT) | instid1(VALU_DEP_2)
	v_dual_add_nc_u32 v6, v41, v35 :: v_dual_cndmask_b32 v41, v52, v48, s5
	v_cndmask_b32_e64 v43, v54, v50, s5
	s_delay_alu instid0(VALU_DEP_2) | instskip(NEXT) | instid1(VALU_DEP_4)
	v_cmp_lt_u32_e64 s7, 31, v6
	v_cndmask_b32_e64 v45, v55, v52, s5
	s_delay_alu instid0(VALU_DEP_2) | instskip(NEXT) | instid1(VALU_DEP_1)
	v_cndmask_b32_e64 v35, 0, 0xffffffe0, s7
	v_dual_add_nc_u32 v6, v35, v6 :: v_dual_cndmask_b32 v35, v48, v44, s5
	s_delay_alu instid0(VALU_DEP_3) | instskip(NEXT) | instid1(VALU_DEP_2)
	v_dual_cndmask_b32 v44, v43, v41, s6 :: v_dual_cndmask_b32 v43, v45, v43, s6
	v_dual_cndmask_b32 v41, v41, v47, s6 :: v_dual_sub_nc_u32 v45, 32, v6
	s_delay_alu instid0(VALU_DEP_3) | instskip(NEXT) | instid1(VALU_DEP_2)
	v_cndmask_b32_e64 v47, v47, v35, s6
	v_dual_cndmask_b32 v43, v43, v44, s7 :: v_dual_cndmask_b32 v44, v44, v41, s7
	s_delay_alu instid0(VALU_DEP_2) | instskip(NEXT) | instid1(VALU_DEP_2)
	v_cndmask_b32_e64 v41, v41, v47, s7
	v_alignbit_b32 v48, v43, v44, v45
	v_cndmask_b32_e64 v42, v46, v42, s5
	v_cmp_eq_u32_e64 s5, 0, v6
	s_delay_alu instid0(VALU_DEP_4) | instskip(NEXT) | instid1(VALU_DEP_2)
	v_alignbit_b32 v46, v44, v41, v45
	v_dual_cndmask_b32 v6, v48, v43, s5 :: v_dual_cndmask_b32 v35, v35, v42, s6
	s_delay_alu instid0(VALU_DEP_2) | instskip(NEXT) | instid1(VALU_DEP_2)
	v_cndmask_b32_e64 v42, v46, v44, s5
	v_bfe_u32 v43, v6, 29, 1
	s_delay_alu instid0(VALU_DEP_2) | instskip(NEXT) | instid1(VALU_DEP_2)
	v_alignbit_b32 v44, v6, v42, 30
	v_sub_nc_u32_e32 v46, 0, v43
	s_delay_alu instid0(VALU_DEP_1) | instskip(NEXT) | instid1(VALU_DEP_1)
	v_dual_cndmask_b32 v35, v47, v35, s7 :: v_dual_bitop2_b32 v44, v44, v46 bitop3:0x14
	v_alignbit_b32 v45, v41, v35, v45
	s_delay_alu instid0(VALU_DEP_1) | instskip(NEXT) | instid1(VALU_DEP_3)
	v_cndmask_b32_e64 v41, v45, v41, s5
	v_clz_i32_u32_e32 v45, v44
	s_delay_alu instid0(VALU_DEP_2) | instskip(NEXT) | instid1(VALU_DEP_2)
	v_alignbit_b32 v42, v42, v41, 30
	v_min_u32_e32 v45, 32, v45
	v_alignbit_b32 v35, v41, v35, 30
	s_delay_alu instid0(VALU_DEP_2) | instskip(NEXT) | instid1(VALU_DEP_2)
	v_dual_sub_nc_u32 v42, 31, v45 :: v_dual_bitop2_b32 v41, v42, v46 bitop3:0x14
	v_xor_b32_e32 v35, v35, v46
	v_dual_lshrrev_b32 v46, 29, v6 :: v_dual_lshlrev_b32 v47, 23, v45
	v_lshrrev_b32_e32 v6, 30, v6
	s_delay_alu instid0(VALU_DEP_4) | instskip(NEXT) | instid1(VALU_DEP_4)
	v_alignbit_b32 v44, v44, v41, v42
	v_alignbit_b32 v35, v41, v35, v42
	s_delay_alu instid0(VALU_DEP_4) | instskip(NEXT) | instid1(VALU_DEP_2)
	v_lshlrev_b32_e32 v41, 31, v46
	v_alignbit_b32 v42, v44, v35, 9
	s_delay_alu instid0(VALU_DEP_2) | instskip(SKIP_1) | instid1(VALU_DEP_3)
	v_dual_lshrrev_b32 v44, 9, v44 :: v_dual_bitop2_b32 v46, 0.5, v41 bitop3:0x54
	v_or_b32_e32 v41, 0x33000000, v41
	v_clz_i32_u32_e32 v48, v42
	s_delay_alu instid0(VALU_DEP_3) | instskip(NEXT) | instid1(VALU_DEP_2)
	v_sub_nc_u32_e32 v46, v46, v47
	v_min_u32_e32 v47, 32, v48
	s_delay_alu instid0(VALU_DEP_1) | instskip(NEXT) | instid1(VALU_DEP_1)
	v_add_lshl_u32 v45, v47, v45, 23
	v_dual_sub_nc_u32 v41, v41, v45 :: v_dual_bitop2_b32 v44, v44, v46 bitop3:0x54
	v_not_b32_e32 v46, v47
	s_delay_alu instid0(VALU_DEP_1) | instskip(NEXT) | instid1(VALU_DEP_1)
	v_alignbit_b32 v35, v42, v35, v46
	v_dual_mul_f32 v48, 0x3fc90fda, v44 :: v_dual_lshrrev_b32 v35, 9, v35
	s_delay_alu instid0(VALU_DEP_1) | instskip(NEXT) | instid1(VALU_DEP_2)
	v_or_b32_e32 v35, v41, v35
	v_fma_f32 v42, 0x3fc90fda, v44, -v48
	s_delay_alu instid0(VALU_DEP_1) | instskip(NEXT) | instid1(VALU_DEP_1)
	v_fmac_f32_e32 v42, 0x33a22168, v44
	v_fmac_f32_e32 v42, 0x3fc90fda, v35
	s_delay_alu instid0(VALU_DEP_1)
	v_add_f32_e32 v41, v48, v42
	v_add_nc_u32_e32 v42, v43, v6
                                        ; implicit-def: $vgpr43
	s_and_not1_saveexec_b32 s5, s30
	s_cbranch_execnz .LBB138_188
	s_branch .LBB138_189
.LBB138_187:                            ;   in Loop: Header=BB138_4 Depth=1
	s_and_not1_saveexec_b32 s5, s30
.LBB138_188:                            ;   in Loop: Header=BB138_4 Depth=1
	v_fma_f32 v41, 0xbfc90fda, v43, |v31|
	v_cvt_i32_f32_e32 v42, v43
	s_delay_alu instid0(VALU_DEP_2) | instskip(NEXT) | instid1(VALU_DEP_1)
	v_fmac_f32_e32 v41, 0xb3a22168, v43
	v_fmac_f32_e32 v41, 0xa7c234c4, v43
.LBB138_189:                            ;   in Loop: Header=BB138_4 Depth=1
	s_or_b32 exec_lo, exec_lo, s5
	s_delay_alu instid0(VALU_DEP_1) | instskip(SKIP_1) | instid1(VALU_DEP_2)
	v_dual_mul_f32 v6, v30, v30 :: v_dual_mul_f32 v35, v41, v41
	v_dual_lshlrev_b32 v34, 30, v34 :: v_dual_bitop2_b32 v43, 1, v34 bitop3:0x40
	v_fmaak_f32 v44, s25, v6, 0x3c0881c4
	s_delay_alu instid0(VALU_DEP_3) | instskip(NEXT) | instid1(VALU_DEP_3)
	v_fmaak_f32 v46, s25, v35, 0x3c0881c4
	v_cmp_eq_u32_e64 s5, 0, v43
	s_delay_alu instid0(VALU_DEP_2) | instskip(NEXT) | instid1(VALU_DEP_1)
	v_fmaak_f32 v46, v35, v46, 0xbe2aaa9d
	v_dual_fmaak_f32 v47, s26, v35, 0xbab64f3b :: v_dual_mul_f32 v46, v35, v46
	s_delay_alu instid0(VALU_DEP_1) | instskip(NEXT) | instid1(VALU_DEP_1)
	v_dual_fmaak_f32 v44, v6, v44, 0xbe2aaa9d :: v_dual_fmac_f32 v41, v41, v46
	v_dual_fmaak_f32 v45, s26, v6, 0xbab64f3b :: v_dual_mul_f32 v44, v6, v44
	s_delay_alu instid0(VALU_DEP_3) | instskip(NEXT) | instid1(VALU_DEP_2)
	v_fmaak_f32 v47, v35, v47, 0x3d2aabf7
	v_fmaak_f32 v45, v6, v45, 0x3d2aabf7
	s_delay_alu instid0(VALU_DEP_2) | instskip(NEXT) | instid1(VALU_DEP_1)
	v_dual_fmac_f32 v30, v30, v44 :: v_dual_fmaak_f32 v47, v35, v47, 0xbf000004
	v_fma_f32 v35, v35, v47, 1.0
	v_dual_lshlrev_b32 v42, 30, v42 :: v_dual_bitop2_b32 v48, 1, v42 bitop3:0x40
	s_delay_alu instid0(VALU_DEP_4) | instskip(NEXT) | instid1(VALU_DEP_2)
	v_fmaak_f32 v45, v6, v45, 0xbf000004
	v_and_or_b32 v40, 0x80000000, v42, v40
	s_delay_alu instid0(VALU_DEP_2) | instskip(NEXT) | instid1(VALU_DEP_1)
	v_fma_f32 v6, v6, v45, 1.0
	v_cndmask_b32_e64 v6, -v30, v6, s5
	v_cmp_eq_u32_e64 s5, 0, v48
	s_delay_alu instid0(VALU_DEP_2) | instskip(NEXT) | instid1(VALU_DEP_2)
	v_bitop3_b32 v6, v34, v6, 0x80000000 bitop3:0x6c
	v_cndmask_b32_e64 v30, v35, v41, s5
	v_cmp_class_f32_e64 s5, v31, 0x1f8
	s_delay_alu instid0(VALU_DEP_2) | instskip(NEXT) | instid1(VALU_DEP_2)
	v_xor3_b32 v30, v40, v30, v31
	v_cndmask_b32_e64 v34, 0x7fc00000, v6, s5
	s_delay_alu instid0(VALU_DEP_2)
	v_cndmask_b32_e64 v35, 0x7fc00000, v30, s5
.LBB138_190:                            ;   in Loop: Header=BB138_4 Depth=1
	s_or_b32 exec_lo, exec_lo, s29
                                        ; implicit-def: $vgpr30
	s_and_not1_saveexec_b32 s6, s28
	s_cbranch_execnz .LBB138_151
.LBB138_191:                            ;   in Loop: Header=BB138_4 Depth=1
	s_or_b32 exec_lo, exec_lo, s6
	s_and_saveexec_b32 s5, vcc_lo
	s_delay_alu instid0(SALU_CYCLE_1)
	s_xor_b32 s5, exec_lo, s5
	s_cbranch_execz .LBB138_152
.LBB138_192:                            ;   in Loop: Header=BB138_4 Depth=1
	global_store_b64 v[22:23], v[32:33], off
	s_wait_xcnt 0x0
	s_or_b32 exec_lo, exec_lo, s5
	s_and_saveexec_b32 s5, s2
	s_cbranch_execnz .LBB138_153
.LBB138_193:                            ;   in Loop: Header=BB138_4 Depth=1
	s_or_b32 exec_lo, exec_lo, s5
	s_and_saveexec_b32 s2, s3
	s_cbranch_execz .LBB138_154
.LBB138_194:                            ;   in Loop: Header=BB138_4 Depth=1
	global_store_b64 v[26:27], v[38:39], off
	s_wait_xcnt 0x0
	s_or_b32 exec_lo, exec_lo, s2
	s_and_saveexec_b32 s2, s4
	s_cbranch_execz .LBB138_3
.LBB138_195:                            ;   in Loop: Header=BB138_4 Depth=1
	global_store_b64 v[28:29], v[34:35], off
	s_branch .LBB138_3
.LBB138_196:
	s_cbranch_execz .LBB138_198
	s_branch .LBB138_373
.LBB138_197:
.LBB138_198:
	v_min_i64 v[14:15], 0x10000, s[12:13]
	v_dual_mov_b32 v17, 0 :: v_dual_lshlrev_b32 v16, 2, v0
	s_mov_b32 s2, exec_lo
	s_delay_alu instid0(VALU_DEP_1)
	v_cmpx_lt_i64_e64 v[16:17], v[14:15]
	s_cbranch_execz .LBB138_373
; %bb.199:
	s_load_b32 s2, s[0:1], 0xd3c
	v_dual_mov_b32 v1, v17 :: v_dual_lshlrev_b32 v16, 5, v0
	s_wait_xcnt 0x0
	s_add_nc_u64 s[0:1], s[8:9], s[10:11]
	s_mov_b32 s3, 0
	s_mov_b32 s8, 0x7fffff
	s_mov_b64 s[4:5], 0xfe5163ab
	v_add_nc_u64_e32 v[18:19], s[0:1], v[16:17]
	s_mov_b32 s9, 0xb94c1982
	s_mov_b32 s10, 0x37d75334
	s_mov_b32 s11, 0x7f000000
	s_mov_b32 s7, s3
	s_mov_b32 s12, s3
	s_wait_kmcnt 0x0
	s_and_b32 s2, s2, 0xffff
	s_delay_alu instid0(SALU_CYCLE_1)
	s_lshl_b32 s6, s2, 5
	s_branch .LBB138_201
.LBB138_200:                            ;   in Loop: Header=BB138_201 Depth=1
	s_or_b32 exec_lo, exec_lo, s0
	v_add_nc_u64_e32 v[0:1], s[2:3], v[0:1]
	s_clause 0x1
	global_store_b128 v[18:19], v[6:9], off
	global_store_b128 v[18:19], v[10:13], off offset:16
	s_wait_xcnt 0x0
	v_add_nc_u64_e32 v[18:19], s[6:7], v[18:19]
	v_lshlrev_b64_e32 v[2:3], 2, v[0:1]
	s_delay_alu instid0(VALU_DEP_1) | instskip(SKIP_1) | instid1(SALU_CYCLE_1)
	v_cmp_ge_i64_e32 vcc_lo, v[2:3], v[14:15]
	s_or_b32 s12, vcc_lo, s12
	s_and_not1_b32 exec_lo, exec_lo, s12
	s_cbranch_execz .LBB138_373
.LBB138_201:                            ; =>This Inner Loop Header: Depth=1
	s_clause 0x1
	global_load_b128 v[10:13], v[18:19], off
	global_load_b128 v[2:5], v[18:19], off offset:16
                                        ; implicit-def: $vgpr7
	s_mov_b32 s0, exec_lo
	s_wait_loadcnt 0x1
	v_and_b32_e32 v8, 0x7fffffff, v11
	s_wait_xcnt 0x0
	s_delay_alu instid0(VALU_DEP_1)
	v_cmpx_ne_u32_e32 0, v8
	s_xor_b32 s13, exec_lo, s0
	s_cbranch_execz .LBB138_241
; %bb.202:                              ;   in Loop: Header=BB138_201 Depth=1
	v_and_b32_e32 v9, 0x7fffffff, v10
                                        ; implicit-def: $vgpr7
	s_mov_b32 s0, exec_lo
	s_delay_alu instid0(VALU_DEP_1)
	v_cmpx_ne_u32_e32 0, v9
	s_xor_b32 s14, exec_lo, s0
	s_cbranch_execz .LBB138_230
; %bb.203:                              ;   in Loop: Header=BB138_201 Depth=1
                                        ; implicit-def: $vgpr7
	s_mov_b32 s0, exec_lo
	v_cmpx_gt_u32_e32 0x7f800000, v8
	s_xor_b32 s15, exec_lo, s0
	s_cbranch_execz .LBB138_225
; %bb.204:                              ;   in Loop: Header=BB138_201 Depth=1
	v_add_nc_u32_e32 v6, 0xbd4e8de8, v10
	s_delay_alu instid0(VALU_DEP_1) | instskip(SKIP_1) | instid1(SALU_CYCLE_1)
	v_cmp_lt_u32_e32 vcc_lo, 0x8e8e5c, v6
                                        ; implicit-def: $vgpr7
	s_and_saveexec_b32 s0, vcc_lo
	s_xor_b32 s16, exec_lo, s0
	s_cbranch_execz .LBB138_214
; %bb.205:                              ;   in Loop: Header=BB138_201 Depth=1
	v_cmp_ngt_f32_e64 s17, 0x48000000, |v11|
                                        ; implicit-def: $vgpr7
                                        ; implicit-def: $vgpr6
	s_and_saveexec_b32 s0, s17
	s_delay_alu instid0(SALU_CYCLE_1)
	s_xor_b32 s18, exec_lo, s0
	s_cbranch_execz .LBB138_207
; %bb.206:                              ;   in Loop: Header=BB138_201 Depth=1
	v_and_or_b32 v16, v8, s8, 0x800000
	v_mov_b32_e32 v29, v17
	s_delay_alu instid0(VALU_DEP_2) | instskip(NEXT) | instid1(VALU_DEP_1)
	v_mul_u64_e32 v[6:7], s[4:5], v[16:17]
	v_dual_mov_b32 v21, v17 :: v_dual_mov_b32 v20, v7
	v_lshrrev_b32_e32 v7, 23, v8
	s_delay_alu instid0(VALU_DEP_2) | instskip(SKIP_1) | instid1(VALU_DEP_3)
	v_mad_nc_u64_u32 v[20:21], 0x3c439041, v16, v[20:21]
	v_mov_b32_e32 v23, v17
	v_add_nc_u32_e32 v7, 0xffffff88, v7
	s_delay_alu instid0(VALU_DEP_1) | instskip(NEXT) | instid1(VALU_DEP_4)
	v_cmp_lt_u32_e32 vcc_lo, 63, v7
	v_mov_b32_e32 v22, v21
	v_cndmask_b32_e64 v9, 0, 0xffffffc0, vcc_lo
	s_delay_alu instid0(VALU_DEP_2) | instskip(NEXT) | instid1(VALU_DEP_1)
	v_mad_nc_u64_u32 v[22:23], 0xdb629599, v16, v[22:23]
	v_dual_mov_b32 v25, v17 :: v_dual_mov_b32 v24, v23
	s_delay_alu instid0(VALU_DEP_2) | instskip(NEXT) | instid1(VALU_DEP_2)
	v_cndmask_b32_e32 v6, v22, v6, vcc_lo
	v_mad_nc_u64_u32 v[24:25], 0xf534ddc0, v16, v[24:25]
	s_delay_alu instid0(VALU_DEP_1) | instskip(NEXT) | instid1(VALU_DEP_1)
	v_dual_mov_b32 v27, v17 :: v_dual_mov_b32 v26, v25
	v_mad_nc_u64_u32 v[26:27], 0xfc2757d1, v16, v[26:27]
	s_delay_alu instid0(VALU_DEP_1) | instskip(NEXT) | instid1(VALU_DEP_1)
	v_dual_mov_b32 v28, v27 :: v_dual_cndmask_b32 v25, v26, v22
	v_mad_nc_u64_u32 v[28:29], 0x4e441529, v16, v[28:29]
	v_add_nc_u32_e32 v7, v9, v7
	s_delay_alu instid0(VALU_DEP_2) | instskip(NEXT) | instid1(VALU_DEP_1)
	v_dual_mov_b32 v31, v17 :: v_dual_mov_b32 v30, v29
	v_mad_nc_u64_u32 v[30:31], 0xa2f9836e, v16, v[30:31]
	s_delay_alu instid0(VALU_DEP_4) | instskip(NEXT) | instid1(VALU_DEP_4)
	v_cndmask_b32_e32 v16, v28, v24, vcc_lo
	v_cmp_lt_u32_e64 s0, 31, v7
	s_delay_alu instid0(VALU_DEP_1) | instskip(NEXT) | instid1(VALU_DEP_1)
	v_cndmask_b32_e64 v9, 0, 0xffffffe0, s0
	v_dual_cndmask_b32 v21, v30, v26, vcc_lo :: v_dual_add_nc_u32 v7, v9, v7
	v_cndmask_b32_e32 v23, v31, v28, vcc_lo
	s_delay_alu instid0(VALU_DEP_2) | instskip(NEXT) | instid1(VALU_DEP_1)
	v_cmp_lt_u32_e64 s1, 31, v7
	v_cndmask_b32_e64 v9, 0, 0xffffffe0, s1
	s_delay_alu instid0(VALU_DEP_1) | instskip(NEXT) | instid1(VALU_DEP_4)
	v_dual_add_nc_u32 v7, v9, v7 :: v_dual_cndmask_b32 v9, v24, v20, vcc_lo
	v_dual_cndmask_b32 v20, v21, v16, s0 :: v_dual_cndmask_b32 v21, v23, v21, s0
	s_delay_alu instid0(VALU_DEP_2) | instskip(NEXT) | instid1(VALU_DEP_3)
	v_dual_cndmask_b32 v16, v16, v25, s0 :: v_dual_sub_nc_u32 v23, 32, v7
	v_cndmask_b32_e64 v24, v25, v9, s0
	v_cmp_eq_u32_e32 vcc_lo, 0, v7
	s_delay_alu instid0(VALU_DEP_4) | instskip(NEXT) | instid1(VALU_DEP_4)
	v_cndmask_b32_e64 v21, v21, v20, s1
	v_cndmask_b32_e64 v20, v20, v16, s1
	s_delay_alu instid0(VALU_DEP_1) | instskip(NEXT) | instid1(VALU_DEP_1)
	v_alignbit_b32 v25, v21, v20, v23
	v_dual_cndmask_b32 v16, v16, v24, s1 :: v_dual_cndmask_b32 v7, v25, v21, vcc_lo
	s_delay_alu instid0(VALU_DEP_1) | instskip(NEXT) | instid1(VALU_DEP_1)
	v_alignbit_b32 v22, v20, v16, v23
	v_dual_cndmask_b32 v6, v9, v6, s0 :: v_dual_cndmask_b32 v9, v22, v20, vcc_lo
	s_delay_alu instid0(VALU_DEP_3) | instskip(NEXT) | instid1(VALU_DEP_2)
	v_bfe_u32 v20, v7, 29, 1
	v_cndmask_b32_e64 v6, v24, v6, s1
	s_delay_alu instid0(VALU_DEP_3) | instskip(NEXT) | instid1(VALU_DEP_3)
	v_alignbit_b32 v21, v7, v9, 30
	v_sub_nc_u32_e32 v22, 0, v20
	s_delay_alu instid0(VALU_DEP_3) | instskip(NEXT) | instid1(VALU_DEP_1)
	v_alignbit_b32 v23, v16, v6, v23
	v_dual_cndmask_b32 v16, v23, v16, vcc_lo :: v_dual_bitop2_b32 v21, v21, v22 bitop3:0x14
	s_delay_alu instid0(VALU_DEP_1) | instskip(NEXT) | instid1(VALU_DEP_2)
	v_clz_i32_u32_e32 v23, v21
	v_alignbit_b32 v9, v9, v16, 30
	v_alignbit_b32 v6, v16, v6, 30
	s_delay_alu instid0(VALU_DEP_3) | instskip(NEXT) | instid1(VALU_DEP_3)
	v_min_u32_e32 v23, 32, v23
	v_xor_b32_e32 v9, v9, v22
	s_delay_alu instid0(VALU_DEP_3) | instskip(SKIP_1) | instid1(VALU_DEP_4)
	v_dual_lshrrev_b32 v22, 29, v7 :: v_dual_bitop2_b32 v6, v6, v22 bitop3:0x14
	v_lshrrev_b32_e32 v7, 30, v7
	v_dual_sub_nc_u32 v16, 31, v23 :: v_dual_lshlrev_b32 v24, 23, v23
	s_delay_alu instid0(VALU_DEP_2) | instskip(NEXT) | instid1(VALU_DEP_2)
	v_add_nc_u32_e32 v7, v20, v7
	v_alignbit_b32 v21, v21, v9, v16
	v_alignbit_b32 v6, v9, v6, v16
	v_lshlrev_b32_e32 v9, 31, v22
	s_delay_alu instid0(VALU_DEP_2) | instskip(NEXT) | instid1(VALU_DEP_2)
	v_alignbit_b32 v16, v21, v6, 9
	v_or_b32_e32 v22, 0.5, v9
	v_lshrrev_b32_e32 v21, 9, v21
	v_or_b32_e32 v9, 0x33000000, v9
	s_delay_alu instid0(VALU_DEP_4) | instskip(NEXT) | instid1(VALU_DEP_4)
	v_clz_i32_u32_e32 v25, v16
	v_sub_nc_u32_e32 v22, v22, v24
	s_delay_alu instid0(VALU_DEP_2) | instskip(NEXT) | instid1(VALU_DEP_2)
	v_min_u32_e32 v24, 32, v25
	v_or_b32_e32 v21, v21, v22
	s_delay_alu instid0(VALU_DEP_2) | instskip(SKIP_1) | instid1(VALU_DEP_2)
	v_not_b32_e32 v22, v24
	v_add_lshl_u32 v23, v24, v23, 23
	v_alignbit_b32 v6, v16, v6, v22
	s_delay_alu instid0(VALU_DEP_4) | instskip(NEXT) | instid1(VALU_DEP_2)
	v_mul_f32_e32 v25, 0x3fc90fda, v21
	v_dual_sub_nc_u32 v9, v9, v23 :: v_dual_lshrrev_b32 v6, 9, v6
	s_delay_alu instid0(VALU_DEP_2) | instskip(NEXT) | instid1(VALU_DEP_2)
	v_fma_f32 v16, 0x3fc90fda, v21, -v25
	v_or_b32_e32 v6, v9, v6
	s_delay_alu instid0(VALU_DEP_2) | instskip(NEXT) | instid1(VALU_DEP_1)
	v_fmac_f32_e32 v16, 0x33a22168, v21
	v_fmac_f32_e32 v16, 0x3fc90fda, v6
	s_delay_alu instid0(VALU_DEP_1)
	v_add_f32_e32 v6, v25, v16
	s_and_not1_saveexec_b32 s0, s18
	s_branch .LBB138_208
.LBB138_207:                            ;   in Loop: Header=BB138_201 Depth=1
	s_and_not1_saveexec_b32 s0, s18
.LBB138_208:                            ;   in Loop: Header=BB138_201 Depth=1
	v_mul_f32_e64 v6, 0x3f22f983, |v11|
	s_delay_alu instid0(VALU_DEP_1) | instskip(NEXT) | instid1(VALU_DEP_1)
	v_rndne_f32_e32 v7, v6
	v_fma_f32 v6, 0xbfc90fda, v7, |v11|
	s_delay_alu instid0(VALU_DEP_1) | instskip(NEXT) | instid1(VALU_DEP_1)
	v_fmac_f32_e32 v6, 0xb3a22168, v7
	v_fmac_f32_e32 v6, 0xa7c234c4, v7
	v_cvt_i32_f32_e32 v7, v7
; %bb.209:                              ;   in Loop: Header=BB138_201 Depth=1
	s_or_b32 exec_lo, exec_lo, s0
                                        ; implicit-def: $vgpr16
                                        ; implicit-def: $vgpr9
	s_and_saveexec_b32 s0, s17
	s_delay_alu instid0(SALU_CYCLE_1)
	s_xor_b32 s17, exec_lo, s0
	s_cbranch_execz .LBB138_211
; %bb.210:                              ;   in Loop: Header=BB138_201 Depth=1
	v_and_or_b32 v16, v8, s8, 0x800000
	v_dual_lshrrev_b32 v9, 23, v8 :: v_dual_mov_b32 v31, v17
	s_delay_alu instid0(VALU_DEP_2) | instskip(SKIP_1) | instid1(VALU_DEP_3)
	v_mul_u64_e32 v[20:21], s[4:5], v[16:17]
	v_mov_b32_e32 v23, v17
	v_add_nc_u32_e32 v9, 0xffffff88, v9
	s_delay_alu instid0(VALU_DEP_1) | instskip(NEXT) | instid1(VALU_DEP_4)
	v_cmp_lt_u32_e32 vcc_lo, 63, v9
	v_mov_b32_e32 v22, v21
	v_cndmask_b32_e64 v21, 0, 0xffffffc0, vcc_lo
	s_delay_alu instid0(VALU_DEP_2) | instskip(NEXT) | instid1(VALU_DEP_1)
	v_mad_nc_u64_u32 v[22:23], 0x3c439041, v16, v[22:23]
	v_dual_mov_b32 v25, v17 :: v_dual_mov_b32 v24, v23
	s_delay_alu instid0(VALU_DEP_1) | instskip(NEXT) | instid1(VALU_DEP_1)
	v_mad_nc_u64_u32 v[24:25], 0xdb629599, v16, v[24:25]
	v_dual_mov_b32 v27, v17 :: v_dual_mov_b32 v26, v25
	s_delay_alu instid0(VALU_DEP_2) | instskip(NEXT) | instid1(VALU_DEP_2)
	v_cndmask_b32_e32 v20, v24, v20, vcc_lo
	v_mad_nc_u64_u32 v[26:27], 0xf534ddc0, v16, v[26:27]
	s_delay_alu instid0(VALU_DEP_1) | instskip(NEXT) | instid1(VALU_DEP_1)
	v_dual_mov_b32 v29, v17 :: v_dual_mov_b32 v28, v27
	v_mad_nc_u64_u32 v[28:29], 0xfc2757d1, v16, v[28:29]
	s_delay_alu instid0(VALU_DEP_1) | instskip(NEXT) | instid1(VALU_DEP_1)
	v_dual_mov_b32 v30, v29 :: v_dual_cndmask_b32 v27, v28, v24
	v_mad_nc_u64_u32 v[30:31], 0x4e441529, v16, v[30:31]
	v_add_nc_u32_e32 v9, v21, v9
	s_delay_alu instid0(VALU_DEP_2) | instskip(NEXT) | instid1(VALU_DEP_2)
	v_dual_mov_b32 v33, v17 :: v_dual_mov_b32 v32, v31
	v_cmp_lt_u32_e64 s0, 31, v9
	s_delay_alu instid0(VALU_DEP_1) | instskip(NEXT) | instid1(VALU_DEP_1)
	v_cndmask_b32_e64 v21, 0, 0xffffffe0, s0
	v_dual_add_nc_u32 v9, v21, v9 :: v_dual_cndmask_b32 v21, v30, v26, vcc_lo
	s_delay_alu instid0(VALU_DEP_4) | instskip(NEXT) | instid1(VALU_DEP_1)
	v_mad_nc_u64_u32 v[32:33], 0xa2f9836e, v16, v[32:33]
	v_cndmask_b32_e32 v23, v32, v28, vcc_lo
	s_delay_alu instid0(VALU_DEP_3) | instskip(NEXT) | instid1(VALU_DEP_3)
	v_cmp_lt_u32_e64 s1, 31, v9
	v_cndmask_b32_e32 v25, v33, v30, vcc_lo
	s_delay_alu instid0(VALU_DEP_2) | instskip(NEXT) | instid1(VALU_DEP_1)
	v_cndmask_b32_e64 v16, 0, 0xffffffe0, s1
	v_dual_cndmask_b32 v16, v26, v22 :: v_dual_add_nc_u32 v9, v16, v9
	s_delay_alu instid0(VALU_DEP_3) | instskip(NEXT) | instid1(VALU_DEP_2)
	v_dual_cndmask_b32 v22, v23, v21, s0 :: v_dual_cndmask_b32 v23, v25, v23, s0
	v_dual_cndmask_b32 v21, v21, v27, s0 :: v_dual_sub_nc_u32 v25, 32, v9
	s_delay_alu instid0(VALU_DEP_3) | instskip(SKIP_1) | instid1(VALU_DEP_3)
	v_cndmask_b32_e64 v26, v27, v16, s0
	v_cmp_eq_u32_e32 vcc_lo, 0, v9
	v_dual_cndmask_b32 v23, v23, v22, s1 :: v_dual_cndmask_b32 v22, v22, v21, s1
	v_cndmask_b32_e64 v16, v16, v20, s0
	s_delay_alu instid0(VALU_DEP_2) | instskip(NEXT) | instid1(VALU_DEP_1)
	v_alignbit_b32 v27, v23, v22, v25
	v_dual_cndmask_b32 v21, v21, v26, s1 :: v_dual_cndmask_b32 v9, v27, v23, vcc_lo
	s_delay_alu instid0(VALU_DEP_1) | instskip(NEXT) | instid1(VALU_DEP_1)
	v_alignbit_b32 v24, v22, v21, v25
	v_cndmask_b32_e32 v20, v24, v22, vcc_lo
	s_delay_alu instid0(VALU_DEP_3) | instskip(NEXT) | instid1(VALU_DEP_1)
	v_bfe_u32 v22, v9, 29, 1
	v_dual_sub_nc_u32 v24, 0, v22 :: v_dual_cndmask_b32 v16, v26, v16, s1
	s_delay_alu instid0(VALU_DEP_3) | instskip(NEXT) | instid1(VALU_DEP_2)
	v_alignbit_b32 v23, v9, v20, 30
	v_alignbit_b32 v25, v21, v16, v25
	s_delay_alu instid0(VALU_DEP_1) | instskip(NEXT) | instid1(VALU_DEP_1)
	v_dual_cndmask_b32 v21, v25, v21, vcc_lo :: v_dual_bitop2_b32 v23, v23, v24 bitop3:0x14
	v_clz_i32_u32_e32 v25, v23
	s_delay_alu instid0(VALU_DEP_2) | instskip(NEXT) | instid1(VALU_DEP_2)
	v_alignbit_b32 v20, v20, v21, 30
	v_min_u32_e32 v25, 32, v25
	v_alignbit_b32 v16, v21, v16, 30
	s_delay_alu instid0(VALU_DEP_2) | instskip(NEXT) | instid1(VALU_DEP_2)
	v_dual_sub_nc_u32 v21, 31, v25 :: v_dual_bitop2_b32 v20, v20, v24 bitop3:0x14
	v_dual_lshrrev_b32 v24, 29, v9 :: v_dual_bitop2_b32 v16, v16, v24 bitop3:0x14
	v_lshlrev_b32_e32 v26, 23, v25
	s_delay_alu instid0(VALU_DEP_3) | instskip(NEXT) | instid1(VALU_DEP_3)
	v_alignbit_b32 v23, v23, v20, v21
	v_alignbit_b32 v16, v20, v16, v21
	s_delay_alu instid0(VALU_DEP_4) | instskip(NEXT) | instid1(VALU_DEP_2)
	v_lshlrev_b32_e32 v20, 31, v24
	v_alignbit_b32 v21, v23, v16, 9
	s_delay_alu instid0(VALU_DEP_2) | instskip(SKIP_1) | instid1(VALU_DEP_3)
	v_dual_lshrrev_b32 v23, 9, v23 :: v_dual_bitop2_b32 v24, 0.5, v20 bitop3:0x54
	v_or_b32_e32 v20, 0x33000000, v20
	v_clz_i32_u32_e32 v27, v21
	s_delay_alu instid0(VALU_DEP_3) | instskip(NEXT) | instid1(VALU_DEP_2)
	v_sub_nc_u32_e32 v24, v24, v26
	v_min_u32_e32 v26, 32, v27
	s_delay_alu instid0(VALU_DEP_1) | instskip(NEXT) | instid1(VALU_DEP_3)
	v_add_lshl_u32 v25, v26, v25, 23
	v_or_b32_e32 v23, v23, v24
	v_not_b32_e32 v24, v26
	s_delay_alu instid0(VALU_DEP_2) | instskip(NEXT) | instid1(VALU_DEP_2)
	v_dual_mul_f32 v27, 0x3fc90fda, v23 :: v_dual_sub_nc_u32 v20, v20, v25
	v_alignbit_b32 v16, v21, v16, v24
	s_delay_alu instid0(VALU_DEP_2) | instskip(NEXT) | instid1(VALU_DEP_1)
	v_fma_f32 v21, 0x3fc90fda, v23, -v27
	v_dual_fmac_f32 v21, 0x33a22168, v23 :: v_dual_lshrrev_b32 v16, 9, v16
	s_delay_alu instid0(VALU_DEP_1) | instskip(NEXT) | instid1(VALU_DEP_1)
	v_or_b32_e32 v16, v20, v16
	v_dual_fmac_f32 v21, 0x3fc90fda, v16 :: v_dual_lshrrev_b32 v16, 30, v9
	s_delay_alu instid0(VALU_DEP_1)
	v_dual_add_f32 v9, v27, v21 :: v_dual_add_nc_u32 v16, v22, v16
	s_and_not1_saveexec_b32 s0, s17
	s_cbranch_execnz .LBB138_212
	s_branch .LBB138_213
.LBB138_211:                            ;   in Loop: Header=BB138_201 Depth=1
	s_and_not1_saveexec_b32 s0, s17
.LBB138_212:                            ;   in Loop: Header=BB138_201 Depth=1
	v_mul_f32_e64 v9, 0x3f22f983, |v11|
	s_delay_alu instid0(VALU_DEP_1) | instskip(NEXT) | instid1(VALU_DEP_1)
	v_rndne_f32_e32 v16, v9
	v_fma_f32 v9, 0xbfc90fda, v16, |v11|
	s_delay_alu instid0(VALU_DEP_1) | instskip(NEXT) | instid1(VALU_DEP_1)
	v_fmac_f32_e32 v9, 0xb3a22168, v16
	v_fmac_f32_e32 v9, 0xa7c234c4, v16
	v_cvt_i32_f32_e32 v16, v16
.LBB138_213:                            ;   in Loop: Header=BB138_201 Depth=1
	s_or_b32 exec_lo, exec_lo, s0
	s_delay_alu instid0(VALU_DEP_1) | instskip(SKIP_2) | instid1(VALU_DEP_3)
	v_dual_mul_f32 v20, 0x3fb8aa3b, v10 :: v_dual_mul_f32 v23, v9, v9
	v_dual_mul_f32 v21, v6, v6 :: v_dual_bitop2_b32 v22, 1, v7 bitop3:0x40
	v_cmp_nlt_f32_e64 s0, 0x42b17218, v10
	v_rndne_f32_e32 v24, v20
	s_delay_alu instid0(VALU_DEP_4)
	v_fmaak_f32 v28, s9, v23, 0x3c0881c4
	v_fma_f32 v25, 0x3fb8aa3b, v10, -v20
	v_fmaak_f32 v27, s10, v21, 0xbab64f3b
	v_cmp_eq_u32_e32 vcc_lo, 0, v22
	v_sub_f32_e32 v20, v20, v24
	v_fmaak_f32 v28, v23, v28, 0xbe2aaa9d
	v_fmac_f32_e32 v25, 0x32a5705f, v10
	v_cvt_i32_f32_e32 v24, v24
	s_delay_alu instid0(VALU_DEP_3) | instskip(SKIP_1) | instid1(VALU_DEP_4)
	v_dual_mul_f32 v28, v23, v28 :: v_dual_lshlrev_b32 v7, 30, v7
	v_fmaak_f32 v26, s9, v21, 0x3c0881c4
	v_dual_fmaak_f32 v29, s10, v23, 0xbab64f3b :: v_dual_add_f32 v20, v20, v25
	s_delay_alu instid0(VALU_DEP_3) | instskip(NEXT) | instid1(VALU_DEP_3)
	v_fmac_f32_e32 v9, v9, v28
	v_fmaak_f32 v26, v21, v26, 0xbe2aaa9d
	v_fmaak_f32 v27, v21, v27, 0x3d2aabf7
	s_delay_alu instid0(VALU_DEP_4) | instskip(NEXT) | instid1(VALU_DEP_2)
	v_exp_f32_e32 v20, v20
	v_dual_mul_f32 v26, v21, v26 :: v_dual_fmaak_f32 v25, v23, v29, 0x3d2aabf7
	s_delay_alu instid0(VALU_DEP_2) | instskip(NEXT) | instid1(TRANS32_DEP_1)
	v_fmaak_f32 v27, v21, v27, 0xbf000004
	v_ldexp_f32 v20, v20, v24
	s_delay_alu instid0(VALU_DEP_3) | instskip(SKIP_1) | instid1(VALU_DEP_4)
	v_dual_fmac_f32 v6, v6, v26 :: v_dual_fmaak_f32 v25, v23, v25, 0xbf000004
	v_dual_lshlrev_b32 v16, 30, v16 :: v_dual_bitop2_b32 v24, 1, v16 bitop3:0x40
	v_fma_f32 v21, v21, v27, 1.0
	s_delay_alu instid0(VALU_DEP_3) | instskip(NEXT) | instid1(VALU_DEP_3)
	v_fma_f32 v23, v23, v25, 1.0
	v_and_or_b32 v8, 0x80000000, v16, v8
	s_delay_alu instid0(VALU_DEP_3) | instskip(SKIP_1) | instid1(VALU_DEP_2)
	v_cndmask_b32_e64 v6, -v6, v21, vcc_lo
	v_cmp_eq_u32_e32 vcc_lo, 0, v24
	v_bitop3_b32 v6, v7, v6, 0x80000000 bitop3:0x6c
	v_cndmask_b32_e32 v9, v23, v9, vcc_lo
	v_cmp_ngt_f32_e32 vcc_lo, 0xc2ce8ed0, v10
	s_delay_alu instid0(VALU_DEP_2) | instskip(SKIP_2) | instid1(VALU_DEP_2)
	v_xor3_b32 v7, v8, v9, v11
	v_cndmask_b32_e32 v16, 0, v20, vcc_lo
	v_cmp_class_f32_e64 vcc_lo, v11, 0x1f8
	v_cndmask_b32_e64 v8, 0x7f800000, v16, s0
	s_delay_alu instid0(VALU_DEP_4) | instskip(NEXT) | instid1(VALU_DEP_1)
	v_cndmask_b32_e32 v7, 0x7fc00000, v7, vcc_lo
	v_dual_cndmask_b32 v6, 0x7fc00000, v6 :: v_dual_mul_f32 v7, v8, v7
	s_delay_alu instid0(VALU_DEP_1)
	v_mul_f32_e32 v6, v8, v6
                                        ; implicit-def: $vgpr8
.LBB138_214:                            ;   in Loop: Header=BB138_201 Depth=1
	s_and_not1_saveexec_b32 s16, s16
	s_cbranch_execz .LBB138_217
; %bb.215:                              ;   in Loop: Header=BB138_201 Depth=1
	v_cmp_ngt_f32_e64 s17, 0x48000000, |v11|
                                        ; implicit-def: $vgpr7
                                        ; implicit-def: $vgpr6
	s_and_saveexec_b32 s0, s17
	s_delay_alu instid0(SALU_CYCLE_1)
	s_xor_b32 s18, exec_lo, s0
	s_cbranch_execz .LBB138_218
; %bb.216:                              ;   in Loop: Header=BB138_201 Depth=1
	v_and_or_b32 v16, v8, s8, 0x800000
	v_mov_b32_e32 v29, v17
	s_delay_alu instid0(VALU_DEP_2) | instskip(NEXT) | instid1(VALU_DEP_1)
	v_mul_u64_e32 v[6:7], s[4:5], v[16:17]
	v_dual_mov_b32 v21, v17 :: v_dual_mov_b32 v20, v7
	v_lshrrev_b32_e32 v7, 23, v8
	s_delay_alu instid0(VALU_DEP_2) | instskip(SKIP_1) | instid1(VALU_DEP_3)
	v_mad_nc_u64_u32 v[20:21], 0x3c439041, v16, v[20:21]
	v_mov_b32_e32 v23, v17
	v_add_nc_u32_e32 v7, 0xffffff88, v7
	s_delay_alu instid0(VALU_DEP_1) | instskip(NEXT) | instid1(VALU_DEP_4)
	v_cmp_lt_u32_e32 vcc_lo, 63, v7
	v_mov_b32_e32 v22, v21
	v_cndmask_b32_e64 v9, 0, 0xffffffc0, vcc_lo
	s_delay_alu instid0(VALU_DEP_2) | instskip(NEXT) | instid1(VALU_DEP_1)
	v_mad_nc_u64_u32 v[22:23], 0xdb629599, v16, v[22:23]
	v_dual_mov_b32 v25, v17 :: v_dual_mov_b32 v24, v23
	s_delay_alu instid0(VALU_DEP_2) | instskip(NEXT) | instid1(VALU_DEP_2)
	v_cndmask_b32_e32 v6, v22, v6, vcc_lo
	v_mad_nc_u64_u32 v[24:25], 0xf534ddc0, v16, v[24:25]
	s_delay_alu instid0(VALU_DEP_1) | instskip(NEXT) | instid1(VALU_DEP_1)
	v_dual_mov_b32 v27, v17 :: v_dual_mov_b32 v26, v25
	v_mad_nc_u64_u32 v[26:27], 0xfc2757d1, v16, v[26:27]
	s_delay_alu instid0(VALU_DEP_1) | instskip(NEXT) | instid1(VALU_DEP_1)
	v_dual_mov_b32 v28, v27 :: v_dual_cndmask_b32 v25, v26, v22
	v_mad_nc_u64_u32 v[28:29], 0x4e441529, v16, v[28:29]
	v_add_nc_u32_e32 v7, v9, v7
	s_delay_alu instid0(VALU_DEP_2) | instskip(NEXT) | instid1(VALU_DEP_1)
	v_dual_mov_b32 v31, v17 :: v_dual_mov_b32 v30, v29
	v_mad_nc_u64_u32 v[30:31], 0xa2f9836e, v16, v[30:31]
	s_delay_alu instid0(VALU_DEP_4) | instskip(NEXT) | instid1(VALU_DEP_4)
	v_cndmask_b32_e32 v16, v28, v24, vcc_lo
	v_cmp_lt_u32_e64 s0, 31, v7
	s_delay_alu instid0(VALU_DEP_1) | instskip(NEXT) | instid1(VALU_DEP_1)
	v_cndmask_b32_e64 v9, 0, 0xffffffe0, s0
	v_dual_cndmask_b32 v21, v30, v26, vcc_lo :: v_dual_add_nc_u32 v7, v9, v7
	v_cndmask_b32_e32 v23, v31, v28, vcc_lo
	s_delay_alu instid0(VALU_DEP_2) | instskip(NEXT) | instid1(VALU_DEP_1)
	v_cmp_lt_u32_e64 s1, 31, v7
	v_cndmask_b32_e64 v9, 0, 0xffffffe0, s1
	s_delay_alu instid0(VALU_DEP_1) | instskip(NEXT) | instid1(VALU_DEP_4)
	v_dual_add_nc_u32 v7, v9, v7 :: v_dual_cndmask_b32 v9, v24, v20, vcc_lo
	v_dual_cndmask_b32 v20, v21, v16, s0 :: v_dual_cndmask_b32 v21, v23, v21, s0
	s_delay_alu instid0(VALU_DEP_2) | instskip(NEXT) | instid1(VALU_DEP_3)
	v_dual_cndmask_b32 v16, v16, v25, s0 :: v_dual_sub_nc_u32 v23, 32, v7
	v_cndmask_b32_e64 v24, v25, v9, s0
	v_cmp_eq_u32_e32 vcc_lo, 0, v7
	s_delay_alu instid0(VALU_DEP_4) | instskip(NEXT) | instid1(VALU_DEP_4)
	v_cndmask_b32_e64 v21, v21, v20, s1
	v_cndmask_b32_e64 v20, v20, v16, s1
	s_delay_alu instid0(VALU_DEP_1) | instskip(NEXT) | instid1(VALU_DEP_1)
	v_alignbit_b32 v25, v21, v20, v23
	v_dual_cndmask_b32 v16, v16, v24, s1 :: v_dual_cndmask_b32 v7, v25, v21, vcc_lo
	s_delay_alu instid0(VALU_DEP_1) | instskip(NEXT) | instid1(VALU_DEP_1)
	v_alignbit_b32 v22, v20, v16, v23
	v_dual_cndmask_b32 v6, v9, v6, s0 :: v_dual_cndmask_b32 v9, v22, v20, vcc_lo
	s_delay_alu instid0(VALU_DEP_3) | instskip(NEXT) | instid1(VALU_DEP_2)
	v_bfe_u32 v20, v7, 29, 1
	v_cndmask_b32_e64 v6, v24, v6, s1
	s_delay_alu instid0(VALU_DEP_3) | instskip(NEXT) | instid1(VALU_DEP_3)
	v_alignbit_b32 v21, v7, v9, 30
	v_sub_nc_u32_e32 v22, 0, v20
	s_delay_alu instid0(VALU_DEP_3) | instskip(NEXT) | instid1(VALU_DEP_1)
	v_alignbit_b32 v23, v16, v6, v23
	v_dual_cndmask_b32 v16, v23, v16, vcc_lo :: v_dual_bitop2_b32 v21, v21, v22 bitop3:0x14
	s_delay_alu instid0(VALU_DEP_1) | instskip(NEXT) | instid1(VALU_DEP_2)
	v_clz_i32_u32_e32 v23, v21
	v_alignbit_b32 v9, v9, v16, 30
	v_alignbit_b32 v6, v16, v6, 30
	s_delay_alu instid0(VALU_DEP_3) | instskip(NEXT) | instid1(VALU_DEP_3)
	v_min_u32_e32 v23, 32, v23
	v_xor_b32_e32 v9, v9, v22
	s_delay_alu instid0(VALU_DEP_3) | instskip(SKIP_1) | instid1(VALU_DEP_4)
	v_dual_lshrrev_b32 v22, 29, v7 :: v_dual_bitop2_b32 v6, v6, v22 bitop3:0x14
	v_lshrrev_b32_e32 v7, 30, v7
	v_dual_sub_nc_u32 v16, 31, v23 :: v_dual_lshlrev_b32 v24, 23, v23
	s_delay_alu instid0(VALU_DEP_2) | instskip(NEXT) | instid1(VALU_DEP_2)
	v_add_nc_u32_e32 v7, v20, v7
	v_alignbit_b32 v21, v21, v9, v16
	v_alignbit_b32 v6, v9, v6, v16
	v_lshlrev_b32_e32 v9, 31, v22
	s_delay_alu instid0(VALU_DEP_2) | instskip(NEXT) | instid1(VALU_DEP_2)
	v_alignbit_b32 v16, v21, v6, 9
	v_or_b32_e32 v22, 0.5, v9
	v_lshrrev_b32_e32 v21, 9, v21
	v_or_b32_e32 v9, 0x33000000, v9
	s_delay_alu instid0(VALU_DEP_4) | instskip(NEXT) | instid1(VALU_DEP_4)
	v_clz_i32_u32_e32 v25, v16
	v_sub_nc_u32_e32 v22, v22, v24
	s_delay_alu instid0(VALU_DEP_2) | instskip(NEXT) | instid1(VALU_DEP_2)
	v_min_u32_e32 v24, 32, v25
	v_or_b32_e32 v21, v21, v22
	s_delay_alu instid0(VALU_DEP_2) | instskip(SKIP_1) | instid1(VALU_DEP_2)
	v_not_b32_e32 v22, v24
	v_add_lshl_u32 v23, v24, v23, 23
	v_alignbit_b32 v6, v16, v6, v22
	s_delay_alu instid0(VALU_DEP_4) | instskip(NEXT) | instid1(VALU_DEP_2)
	v_mul_f32_e32 v25, 0x3fc90fda, v21
	v_dual_sub_nc_u32 v9, v9, v23 :: v_dual_lshrrev_b32 v6, 9, v6
	s_delay_alu instid0(VALU_DEP_2) | instskip(NEXT) | instid1(VALU_DEP_2)
	v_fma_f32 v16, 0x3fc90fda, v21, -v25
	v_or_b32_e32 v6, v9, v6
	s_delay_alu instid0(VALU_DEP_2) | instskip(NEXT) | instid1(VALU_DEP_1)
	v_fmac_f32_e32 v16, 0x33a22168, v21
	v_fmac_f32_e32 v16, 0x3fc90fda, v6
	s_delay_alu instid0(VALU_DEP_1)
	v_add_f32_e32 v6, v25, v16
	s_and_not1_saveexec_b32 s0, s18
	s_branch .LBB138_219
.LBB138_217:                            ;   in Loop: Header=BB138_201 Depth=1
	s_or_b32 exec_lo, exec_lo, s16
                                        ; implicit-def: $vgpr9
	s_and_not1_saveexec_b32 s0, s15
	s_cbranch_execnz .LBB138_226
	s_branch .LBB138_229
.LBB138_218:                            ;   in Loop: Header=BB138_201 Depth=1
	s_and_not1_saveexec_b32 s0, s18
.LBB138_219:                            ;   in Loop: Header=BB138_201 Depth=1
	v_mul_f32_e64 v6, 0x3f22f983, |v11|
	s_delay_alu instid0(VALU_DEP_1) | instskip(NEXT) | instid1(VALU_DEP_1)
	v_rndne_f32_e32 v7, v6
	v_fma_f32 v6, 0xbfc90fda, v7, |v11|
	s_delay_alu instid0(VALU_DEP_1) | instskip(NEXT) | instid1(VALU_DEP_1)
	v_fmac_f32_e32 v6, 0xb3a22168, v7
	v_fmac_f32_e32 v6, 0xa7c234c4, v7
	v_cvt_i32_f32_e32 v7, v7
; %bb.220:                              ;   in Loop: Header=BB138_201 Depth=1
	s_or_b32 exec_lo, exec_lo, s0
                                        ; implicit-def: $vgpr16
                                        ; implicit-def: $vgpr9
	s_and_saveexec_b32 s0, s17
	s_delay_alu instid0(SALU_CYCLE_1)
	s_xor_b32 s17, exec_lo, s0
	s_cbranch_execz .LBB138_222
; %bb.221:                              ;   in Loop: Header=BB138_201 Depth=1
	v_and_or_b32 v16, v8, s8, 0x800000
	v_dual_lshrrev_b32 v9, 23, v8 :: v_dual_mov_b32 v31, v17
	s_delay_alu instid0(VALU_DEP_2) | instskip(SKIP_1) | instid1(VALU_DEP_3)
	v_mul_u64_e32 v[20:21], s[4:5], v[16:17]
	v_mov_b32_e32 v23, v17
	v_add_nc_u32_e32 v9, 0xffffff88, v9
	s_delay_alu instid0(VALU_DEP_1) | instskip(NEXT) | instid1(VALU_DEP_4)
	v_cmp_lt_u32_e32 vcc_lo, 63, v9
	v_mov_b32_e32 v22, v21
	v_cndmask_b32_e64 v21, 0, 0xffffffc0, vcc_lo
	s_delay_alu instid0(VALU_DEP_2) | instskip(NEXT) | instid1(VALU_DEP_1)
	v_mad_nc_u64_u32 v[22:23], 0x3c439041, v16, v[22:23]
	v_dual_mov_b32 v25, v17 :: v_dual_mov_b32 v24, v23
	s_delay_alu instid0(VALU_DEP_1) | instskip(NEXT) | instid1(VALU_DEP_1)
	v_mad_nc_u64_u32 v[24:25], 0xdb629599, v16, v[24:25]
	v_dual_mov_b32 v27, v17 :: v_dual_mov_b32 v26, v25
	s_delay_alu instid0(VALU_DEP_2) | instskip(NEXT) | instid1(VALU_DEP_2)
	v_cndmask_b32_e32 v20, v24, v20, vcc_lo
	v_mad_nc_u64_u32 v[26:27], 0xf534ddc0, v16, v[26:27]
	s_delay_alu instid0(VALU_DEP_1) | instskip(NEXT) | instid1(VALU_DEP_1)
	v_dual_mov_b32 v29, v17 :: v_dual_mov_b32 v28, v27
	v_mad_nc_u64_u32 v[28:29], 0xfc2757d1, v16, v[28:29]
	s_delay_alu instid0(VALU_DEP_1) | instskip(NEXT) | instid1(VALU_DEP_1)
	v_dual_mov_b32 v30, v29 :: v_dual_cndmask_b32 v27, v28, v24
	v_mad_nc_u64_u32 v[30:31], 0x4e441529, v16, v[30:31]
	v_add_nc_u32_e32 v9, v21, v9
	s_delay_alu instid0(VALU_DEP_2) | instskip(NEXT) | instid1(VALU_DEP_2)
	v_dual_mov_b32 v33, v17 :: v_dual_mov_b32 v32, v31
	v_cmp_lt_u32_e64 s0, 31, v9
	s_delay_alu instid0(VALU_DEP_1) | instskip(NEXT) | instid1(VALU_DEP_1)
	v_cndmask_b32_e64 v21, 0, 0xffffffe0, s0
	v_dual_add_nc_u32 v9, v21, v9 :: v_dual_cndmask_b32 v21, v30, v26, vcc_lo
	s_delay_alu instid0(VALU_DEP_4) | instskip(NEXT) | instid1(VALU_DEP_1)
	v_mad_nc_u64_u32 v[32:33], 0xa2f9836e, v16, v[32:33]
	v_cndmask_b32_e32 v23, v32, v28, vcc_lo
	s_delay_alu instid0(VALU_DEP_3) | instskip(NEXT) | instid1(VALU_DEP_3)
	v_cmp_lt_u32_e64 s1, 31, v9
	v_cndmask_b32_e32 v25, v33, v30, vcc_lo
	s_delay_alu instid0(VALU_DEP_2) | instskip(NEXT) | instid1(VALU_DEP_1)
	v_cndmask_b32_e64 v16, 0, 0xffffffe0, s1
	v_dual_cndmask_b32 v16, v26, v22 :: v_dual_add_nc_u32 v9, v16, v9
	s_delay_alu instid0(VALU_DEP_3) | instskip(NEXT) | instid1(VALU_DEP_2)
	v_dual_cndmask_b32 v22, v23, v21, s0 :: v_dual_cndmask_b32 v23, v25, v23, s0
	v_dual_cndmask_b32 v21, v21, v27, s0 :: v_dual_sub_nc_u32 v25, 32, v9
	s_delay_alu instid0(VALU_DEP_3) | instskip(SKIP_1) | instid1(VALU_DEP_3)
	v_cndmask_b32_e64 v26, v27, v16, s0
	v_cmp_eq_u32_e32 vcc_lo, 0, v9
	v_dual_cndmask_b32 v23, v23, v22, s1 :: v_dual_cndmask_b32 v22, v22, v21, s1
	v_cndmask_b32_e64 v16, v16, v20, s0
	s_delay_alu instid0(VALU_DEP_2) | instskip(NEXT) | instid1(VALU_DEP_1)
	v_alignbit_b32 v27, v23, v22, v25
	v_dual_cndmask_b32 v21, v21, v26, s1 :: v_dual_cndmask_b32 v9, v27, v23, vcc_lo
	s_delay_alu instid0(VALU_DEP_1) | instskip(NEXT) | instid1(VALU_DEP_1)
	v_alignbit_b32 v24, v22, v21, v25
	v_cndmask_b32_e32 v20, v24, v22, vcc_lo
	s_delay_alu instid0(VALU_DEP_3) | instskip(NEXT) | instid1(VALU_DEP_1)
	v_bfe_u32 v22, v9, 29, 1
	v_dual_sub_nc_u32 v24, 0, v22 :: v_dual_cndmask_b32 v16, v26, v16, s1
	s_delay_alu instid0(VALU_DEP_3) | instskip(NEXT) | instid1(VALU_DEP_2)
	v_alignbit_b32 v23, v9, v20, 30
	v_alignbit_b32 v25, v21, v16, v25
	s_delay_alu instid0(VALU_DEP_1) | instskip(NEXT) | instid1(VALU_DEP_1)
	v_dual_cndmask_b32 v21, v25, v21, vcc_lo :: v_dual_bitop2_b32 v23, v23, v24 bitop3:0x14
	v_clz_i32_u32_e32 v25, v23
	s_delay_alu instid0(VALU_DEP_2) | instskip(NEXT) | instid1(VALU_DEP_2)
	v_alignbit_b32 v20, v20, v21, 30
	v_min_u32_e32 v25, 32, v25
	v_alignbit_b32 v16, v21, v16, 30
	s_delay_alu instid0(VALU_DEP_2) | instskip(NEXT) | instid1(VALU_DEP_2)
	v_dual_sub_nc_u32 v21, 31, v25 :: v_dual_bitop2_b32 v20, v20, v24 bitop3:0x14
	v_dual_lshrrev_b32 v24, 29, v9 :: v_dual_bitop2_b32 v16, v16, v24 bitop3:0x14
	v_lshlrev_b32_e32 v26, 23, v25
	s_delay_alu instid0(VALU_DEP_3) | instskip(NEXT) | instid1(VALU_DEP_3)
	v_alignbit_b32 v23, v23, v20, v21
	v_alignbit_b32 v16, v20, v16, v21
	s_delay_alu instid0(VALU_DEP_4) | instskip(NEXT) | instid1(VALU_DEP_2)
	v_lshlrev_b32_e32 v20, 31, v24
	v_alignbit_b32 v21, v23, v16, 9
	s_delay_alu instid0(VALU_DEP_2) | instskip(SKIP_1) | instid1(VALU_DEP_3)
	v_dual_lshrrev_b32 v23, 9, v23 :: v_dual_bitop2_b32 v24, 0.5, v20 bitop3:0x54
	v_or_b32_e32 v20, 0x33000000, v20
	v_clz_i32_u32_e32 v27, v21
	s_delay_alu instid0(VALU_DEP_3) | instskip(NEXT) | instid1(VALU_DEP_2)
	v_sub_nc_u32_e32 v24, v24, v26
	v_min_u32_e32 v26, 32, v27
	s_delay_alu instid0(VALU_DEP_1) | instskip(NEXT) | instid1(VALU_DEP_3)
	v_add_lshl_u32 v25, v26, v25, 23
	v_or_b32_e32 v23, v23, v24
	v_not_b32_e32 v24, v26
	s_delay_alu instid0(VALU_DEP_2) | instskip(NEXT) | instid1(VALU_DEP_2)
	v_dual_mul_f32 v27, 0x3fc90fda, v23 :: v_dual_sub_nc_u32 v20, v20, v25
	v_alignbit_b32 v16, v21, v16, v24
	s_delay_alu instid0(VALU_DEP_2) | instskip(NEXT) | instid1(VALU_DEP_1)
	v_fma_f32 v21, 0x3fc90fda, v23, -v27
	v_dual_fmac_f32 v21, 0x33a22168, v23 :: v_dual_lshrrev_b32 v16, 9, v16
	s_delay_alu instid0(VALU_DEP_1) | instskip(NEXT) | instid1(VALU_DEP_1)
	v_or_b32_e32 v16, v20, v16
	v_dual_fmac_f32 v21, 0x3fc90fda, v16 :: v_dual_lshrrev_b32 v16, 30, v9
	s_delay_alu instid0(VALU_DEP_1)
	v_dual_add_f32 v9, v27, v21 :: v_dual_add_nc_u32 v16, v22, v16
	s_and_not1_saveexec_b32 s0, s17
	s_cbranch_execnz .LBB138_223
	s_branch .LBB138_224
.LBB138_222:                            ;   in Loop: Header=BB138_201 Depth=1
	s_and_not1_saveexec_b32 s0, s17
.LBB138_223:                            ;   in Loop: Header=BB138_201 Depth=1
	v_mul_f32_e64 v9, 0x3f22f983, |v11|
	s_delay_alu instid0(VALU_DEP_1) | instskip(NEXT) | instid1(VALU_DEP_1)
	v_rndne_f32_e32 v16, v9
	v_fma_f32 v9, 0xbfc90fda, v16, |v11|
	s_delay_alu instid0(VALU_DEP_1) | instskip(NEXT) | instid1(VALU_DEP_1)
	v_fmac_f32_e32 v9, 0xb3a22168, v16
	v_fmac_f32_e32 v9, 0xa7c234c4, v16
	v_cvt_i32_f32_e32 v16, v16
.LBB138_224:                            ;   in Loop: Header=BB138_201 Depth=1
	s_or_b32 exec_lo, exec_lo, s0
	v_add_f32_e32 v20, 0xc322e3bc, v10
	s_delay_alu instid0(VALU_DEP_2) | instskip(NEXT) | instid1(VALU_DEP_2)
	v_dual_mul_f32 v24, v6, v6 :: v_dual_bitop2_b32 v25, 1, v16 bitop3:0x40
	v_mul_f32_e32 v21, 0x3fb8aa3b, v20
	s_delay_alu instid0(VALU_DEP_1) | instskip(SKIP_1) | instid1(VALU_DEP_1)
	v_fma_f32 v22, 0x3fb8aa3b, v20, -v21
	v_rndne_f32_e32 v23, v21
	v_dual_sub_f32 v21, v21, v23 :: v_dual_fmac_f32 v22, 0x32a5705f, v20
	v_cmp_ngt_f32_e32 vcc_lo, 0xc2ce8ed0, v20
	s_delay_alu instid0(VALU_DEP_2) | instskip(SKIP_2) | instid1(VALU_DEP_3)
	v_add_f32_e32 v21, v21, v22
	v_cvt_i32_f32_e32 v22, v23
	v_dual_lshlrev_b32 v23, 30, v7 :: v_dual_bitop2_b32 v7, 1, v7 bitop3:0x40
	v_exp_f32_e32 v21, v21
	v_nop
	s_delay_alu instid0(TRANS32_DEP_1) | instskip(SKIP_3) | instid1(VALU_DEP_4)
	v_ldexp_f32 v21, v21, v22
	v_dual_mul_f32 v22, v9, v9 :: v_dual_fmaak_f32 v27, s9, v24, 0x3c0881c4
	v_lshlrev_b32_e32 v16, 30, v16
	v_fmaak_f32 v26, s10, v24, 0xbab64f3b
	v_cndmask_b32_e32 v21, 0, v21, vcc_lo
	s_delay_alu instid0(VALU_DEP_4) | instskip(SKIP_2) | instid1(VALU_DEP_3)
	v_fmaak_f32 v28, s9, v22, 0x3c0881c4
	v_cmp_nlt_f32_e32 vcc_lo, 0x42b17218, v20
	v_and_or_b32 v8, 0x80000000, v16, v8
	v_fmaak_f32 v28, v22, v28, 0xbe2aaa9d
	s_delay_alu instid0(VALU_DEP_1) | instskip(SKIP_3) | instid1(VALU_DEP_2)
	v_mul_f32_e32 v28, v22, v28
	v_cndmask_b32_e32 v20, 0x7f800000, v21, vcc_lo
	v_fmaak_f32 v21, s10, v22, 0xbab64f3b
	v_cmp_eq_u32_e32 vcc_lo, 0, v7
	v_fmaak_f32 v21, v22, v21, 0x3d2aabf7
	s_delay_alu instid0(VALU_DEP_1) | instskip(SKIP_1) | instid1(VALU_DEP_2)
	v_fmaak_f32 v21, v22, v21, 0xbf000004
	v_dual_fmac_f32 v9, v9, v28 :: v_dual_fmaak_f32 v16, v24, v26, 0x3d2aabf7
	v_fma_f32 v21, v22, v21, 1.0
	v_dual_fmaak_f32 v26, v24, v27, 0xbe2aaa9d :: v_dual_lshrrev_b32 v27, 23, v20
	s_delay_alu instid0(VALU_DEP_3) | instskip(NEXT) | instid1(VALU_DEP_2)
	v_fmaak_f32 v16, v24, v16, 0xbf000004
	v_mul_f32_e32 v26, v24, v26
	s_delay_alu instid0(VALU_DEP_3) | instskip(NEXT) | instid1(VALU_DEP_3)
	v_subrev_nc_u32_e32 v27, 19, v27
	v_fma_f32 v16, v24, v16, 1.0
	s_delay_alu instid0(VALU_DEP_3) | instskip(NEXT) | instid1(VALU_DEP_3)
	v_fmac_f32_e32 v6, v6, v26
	v_lshrrev_b16 v24, 15, v27
	s_delay_alu instid0(VALU_DEP_2) | instskip(SKIP_1) | instid1(VALU_DEP_3)
	v_cndmask_b32_e64 v6, -v6, v16, vcc_lo
	v_cmp_eq_u32_e32 vcc_lo, 0, v25
	v_add_nc_u16 v7, v27, v24
	v_cndmask_b32_e32 v9, v21, v9, vcc_lo
	s_delay_alu instid0(VALU_DEP_2) | instskip(SKIP_1) | instid1(VALU_DEP_3)
	v_ashrrev_i16 v7, 1, v7
	v_cmp_class_f32_e64 vcc_lo, v11, 0x1f8
	v_xor3_b32 v8, v8, v9, v11
	v_and_or_b32 v9, 0x7fffff, v20, s11
	s_delay_alu instid0(VALU_DEP_4) | instskip(NEXT) | instid1(VALU_DEP_3)
	v_bfe_i32 v7, v7, 0, 16
	v_cndmask_b32_e32 v8, 0x7fc00000, v8, vcc_lo
	s_delay_alu instid0(VALU_DEP_2) | instskip(NEXT) | instid1(VALU_DEP_2)
	v_lshl_add_u32 v16, v7, 23, 1.0
	v_dual_mul_f32 v8, v8, v9 :: v_dual_sub_nc_u32 v7, v27, v7
	s_delay_alu instid0(VALU_DEP_1) | instskip(NEXT) | instid1(VALU_DEP_2)
	v_lshl_add_u32 v7, v7, 23, 1.0
	v_mul_f32_e32 v8, v8, v16
	v_bitop3_b32 v6, v23, v6, 0x80000000 bitop3:0x6c
	s_delay_alu instid0(VALU_DEP_1) | instskip(NEXT) | instid1(VALU_DEP_1)
	v_cndmask_b32_e32 v6, 0x7fc00000, v6, vcc_lo
	v_mul_f32_e32 v6, v6, v9
	s_delay_alu instid0(VALU_DEP_1) | instskip(NEXT) | instid1(VALU_DEP_1)
	v_mul_f32_e32 v6, v6, v16
	v_dual_mul_f32 v6, v6, v7 :: v_dual_mul_f32 v7, v8, v7
	s_or_b32 exec_lo, exec_lo, s16
                                        ; implicit-def: $vgpr9
.LBB138_225:                            ;   in Loop: Header=BB138_201 Depth=1
	s_and_not1_saveexec_b32 s0, s15
	s_cbranch_execz .LBB138_229
.LBB138_226:                            ;   in Loop: Header=BB138_201 Depth=1
	v_sub_f32_e32 v7, v11, v11
	s_mov_b32 s1, exec_lo
	v_cmpx_ne_u32_e32 0x7f800000, v9
	s_xor_b32 s1, exec_lo, s1
	s_delay_alu instid0(SALU_CYCLE_1)
	s_or_saveexec_b32 s1, s1
	v_mov_b32_e32 v6, v7
	s_xor_b32 exec_lo, exec_lo, s1
; %bb.227:                              ;   in Loop: Header=BB138_201 Depth=1
	v_cmp_lt_i32_e32 vcc_lo, -1, v10
	v_dual_cndmask_b32 v6, 0, v10 :: v_dual_cndmask_b32 v7, 0, v7
; %bb.228:                              ;   in Loop: Header=BB138_201 Depth=1
	s_or_b32 exec_lo, exec_lo, s1
.LBB138_229:                            ;   in Loop: Header=BB138_201 Depth=1
	s_delay_alu instid0(SALU_CYCLE_1)
	s_or_b32 exec_lo, exec_lo, s0
                                        ; implicit-def: $vgpr8
.LBB138_230:                            ;   in Loop: Header=BB138_201 Depth=1
	s_and_not1_saveexec_b32 s14, s14
	s_cbranch_execz .LBB138_240
; %bb.231:                              ;   in Loop: Header=BB138_201 Depth=1
	v_cmp_ngt_f32_e64 s15, 0x48000000, |v11|
                                        ; implicit-def: $vgpr7
                                        ; implicit-def: $vgpr6
	s_and_saveexec_b32 s0, s15
	s_delay_alu instid0(SALU_CYCLE_1)
	s_xor_b32 s16, exec_lo, s0
	s_cbranch_execz .LBB138_233
; %bb.232:                              ;   in Loop: Header=BB138_201 Depth=1
	v_and_or_b32 v16, v8, s8, 0x800000
	v_mov_b32_e32 v29, v17
	s_delay_alu instid0(VALU_DEP_2) | instskip(NEXT) | instid1(VALU_DEP_1)
	v_mul_u64_e32 v[6:7], s[4:5], v[16:17]
	v_dual_mov_b32 v21, v17 :: v_dual_mov_b32 v20, v7
	v_lshrrev_b32_e32 v7, 23, v8
	s_delay_alu instid0(VALU_DEP_2) | instskip(SKIP_1) | instid1(VALU_DEP_3)
	v_mad_nc_u64_u32 v[20:21], 0x3c439041, v16, v[20:21]
	v_mov_b32_e32 v23, v17
	v_add_nc_u32_e32 v7, 0xffffff88, v7
	s_delay_alu instid0(VALU_DEP_1) | instskip(NEXT) | instid1(VALU_DEP_4)
	v_cmp_lt_u32_e32 vcc_lo, 63, v7
	v_mov_b32_e32 v22, v21
	v_cndmask_b32_e64 v9, 0, 0xffffffc0, vcc_lo
	s_delay_alu instid0(VALU_DEP_2) | instskip(NEXT) | instid1(VALU_DEP_1)
	v_mad_nc_u64_u32 v[22:23], 0xdb629599, v16, v[22:23]
	v_dual_mov_b32 v25, v17 :: v_dual_mov_b32 v24, v23
	s_delay_alu instid0(VALU_DEP_2) | instskip(NEXT) | instid1(VALU_DEP_2)
	v_cndmask_b32_e32 v6, v22, v6, vcc_lo
	v_mad_nc_u64_u32 v[24:25], 0xf534ddc0, v16, v[24:25]
	s_delay_alu instid0(VALU_DEP_1) | instskip(NEXT) | instid1(VALU_DEP_1)
	v_dual_mov_b32 v27, v17 :: v_dual_mov_b32 v26, v25
	v_mad_nc_u64_u32 v[26:27], 0xfc2757d1, v16, v[26:27]
	s_delay_alu instid0(VALU_DEP_1) | instskip(NEXT) | instid1(VALU_DEP_1)
	v_dual_mov_b32 v28, v27 :: v_dual_cndmask_b32 v25, v26, v22
	v_mad_nc_u64_u32 v[28:29], 0x4e441529, v16, v[28:29]
	v_add_nc_u32_e32 v7, v9, v7
	s_delay_alu instid0(VALU_DEP_2) | instskip(NEXT) | instid1(VALU_DEP_1)
	v_dual_mov_b32 v31, v17 :: v_dual_mov_b32 v30, v29
	v_mad_nc_u64_u32 v[30:31], 0xa2f9836e, v16, v[30:31]
	s_delay_alu instid0(VALU_DEP_4) | instskip(NEXT) | instid1(VALU_DEP_4)
	v_cndmask_b32_e32 v16, v28, v24, vcc_lo
	v_cmp_lt_u32_e64 s0, 31, v7
	s_delay_alu instid0(VALU_DEP_1) | instskip(NEXT) | instid1(VALU_DEP_1)
	v_cndmask_b32_e64 v9, 0, 0xffffffe0, s0
	v_dual_cndmask_b32 v21, v30, v26, vcc_lo :: v_dual_add_nc_u32 v7, v9, v7
	v_cndmask_b32_e32 v23, v31, v28, vcc_lo
	s_delay_alu instid0(VALU_DEP_2) | instskip(NEXT) | instid1(VALU_DEP_1)
	v_cmp_lt_u32_e64 s1, 31, v7
	v_cndmask_b32_e64 v9, 0, 0xffffffe0, s1
	s_delay_alu instid0(VALU_DEP_1) | instskip(NEXT) | instid1(VALU_DEP_4)
	v_dual_add_nc_u32 v7, v9, v7 :: v_dual_cndmask_b32 v9, v24, v20, vcc_lo
	v_dual_cndmask_b32 v20, v21, v16, s0 :: v_dual_cndmask_b32 v21, v23, v21, s0
	s_delay_alu instid0(VALU_DEP_2) | instskip(NEXT) | instid1(VALU_DEP_3)
	v_dual_cndmask_b32 v16, v16, v25, s0 :: v_dual_sub_nc_u32 v23, 32, v7
	v_cndmask_b32_e64 v24, v25, v9, s0
	v_cmp_eq_u32_e32 vcc_lo, 0, v7
	s_delay_alu instid0(VALU_DEP_4) | instskip(NEXT) | instid1(VALU_DEP_4)
	v_cndmask_b32_e64 v21, v21, v20, s1
	v_cndmask_b32_e64 v20, v20, v16, s1
	s_delay_alu instid0(VALU_DEP_1) | instskip(NEXT) | instid1(VALU_DEP_1)
	v_alignbit_b32 v25, v21, v20, v23
	v_dual_cndmask_b32 v16, v16, v24, s1 :: v_dual_cndmask_b32 v7, v25, v21, vcc_lo
	s_delay_alu instid0(VALU_DEP_1) | instskip(NEXT) | instid1(VALU_DEP_1)
	v_alignbit_b32 v22, v20, v16, v23
	v_dual_cndmask_b32 v6, v9, v6, s0 :: v_dual_cndmask_b32 v9, v22, v20, vcc_lo
	s_delay_alu instid0(VALU_DEP_3) | instskip(NEXT) | instid1(VALU_DEP_2)
	v_bfe_u32 v20, v7, 29, 1
	v_cndmask_b32_e64 v6, v24, v6, s1
	s_delay_alu instid0(VALU_DEP_3) | instskip(NEXT) | instid1(VALU_DEP_3)
	v_alignbit_b32 v21, v7, v9, 30
	v_sub_nc_u32_e32 v22, 0, v20
	s_delay_alu instid0(VALU_DEP_3) | instskip(NEXT) | instid1(VALU_DEP_1)
	v_alignbit_b32 v23, v16, v6, v23
	v_dual_cndmask_b32 v16, v23, v16, vcc_lo :: v_dual_bitop2_b32 v21, v21, v22 bitop3:0x14
	s_delay_alu instid0(VALU_DEP_1) | instskip(NEXT) | instid1(VALU_DEP_2)
	v_clz_i32_u32_e32 v23, v21
	v_alignbit_b32 v9, v9, v16, 30
	v_alignbit_b32 v6, v16, v6, 30
	s_delay_alu instid0(VALU_DEP_3) | instskip(NEXT) | instid1(VALU_DEP_3)
	v_min_u32_e32 v23, 32, v23
	v_xor_b32_e32 v9, v9, v22
	s_delay_alu instid0(VALU_DEP_3) | instskip(SKIP_1) | instid1(VALU_DEP_4)
	v_dual_lshrrev_b32 v22, 29, v7 :: v_dual_bitop2_b32 v6, v6, v22 bitop3:0x14
	v_lshrrev_b32_e32 v7, 30, v7
	v_dual_sub_nc_u32 v16, 31, v23 :: v_dual_lshlrev_b32 v24, 23, v23
	s_delay_alu instid0(VALU_DEP_2) | instskip(NEXT) | instid1(VALU_DEP_2)
	v_add_nc_u32_e32 v7, v20, v7
	v_alignbit_b32 v21, v21, v9, v16
	v_alignbit_b32 v6, v9, v6, v16
	v_lshlrev_b32_e32 v9, 31, v22
	s_delay_alu instid0(VALU_DEP_2) | instskip(NEXT) | instid1(VALU_DEP_2)
	v_alignbit_b32 v16, v21, v6, 9
	v_or_b32_e32 v22, 0.5, v9
	v_lshrrev_b32_e32 v21, 9, v21
	v_or_b32_e32 v9, 0x33000000, v9
	s_delay_alu instid0(VALU_DEP_4) | instskip(NEXT) | instid1(VALU_DEP_4)
	v_clz_i32_u32_e32 v25, v16
	v_sub_nc_u32_e32 v22, v22, v24
	s_delay_alu instid0(VALU_DEP_2) | instskip(NEXT) | instid1(VALU_DEP_2)
	v_min_u32_e32 v24, 32, v25
	v_or_b32_e32 v21, v21, v22
	s_delay_alu instid0(VALU_DEP_2) | instskip(SKIP_1) | instid1(VALU_DEP_2)
	v_not_b32_e32 v22, v24
	v_add_lshl_u32 v23, v24, v23, 23
	v_alignbit_b32 v6, v16, v6, v22
	s_delay_alu instid0(VALU_DEP_4) | instskip(NEXT) | instid1(VALU_DEP_2)
	v_mul_f32_e32 v25, 0x3fc90fda, v21
	v_dual_sub_nc_u32 v9, v9, v23 :: v_dual_lshrrev_b32 v6, 9, v6
	s_delay_alu instid0(VALU_DEP_2) | instskip(NEXT) | instid1(VALU_DEP_2)
	v_fma_f32 v16, 0x3fc90fda, v21, -v25
	v_or_b32_e32 v6, v9, v6
	s_delay_alu instid0(VALU_DEP_2) | instskip(NEXT) | instid1(VALU_DEP_1)
	v_fmac_f32_e32 v16, 0x33a22168, v21
	v_fmac_f32_e32 v16, 0x3fc90fda, v6
	s_delay_alu instid0(VALU_DEP_1)
	v_add_f32_e32 v6, v25, v16
	s_and_not1_saveexec_b32 s0, s16
	s_branch .LBB138_234
.LBB138_233:                            ;   in Loop: Header=BB138_201 Depth=1
	s_and_not1_saveexec_b32 s0, s16
.LBB138_234:                            ;   in Loop: Header=BB138_201 Depth=1
	v_mul_f32_e64 v6, 0x3f22f983, |v11|
	s_delay_alu instid0(VALU_DEP_1) | instskip(NEXT) | instid1(VALU_DEP_1)
	v_rndne_f32_e32 v7, v6
	v_fma_f32 v6, 0xbfc90fda, v7, |v11|
	s_delay_alu instid0(VALU_DEP_1) | instskip(NEXT) | instid1(VALU_DEP_1)
	v_fmac_f32_e32 v6, 0xb3a22168, v7
	v_fmac_f32_e32 v6, 0xa7c234c4, v7
	v_cvt_i32_f32_e32 v7, v7
; %bb.235:                              ;   in Loop: Header=BB138_201 Depth=1
	s_or_b32 exec_lo, exec_lo, s0
                                        ; implicit-def: $vgpr16
                                        ; implicit-def: $vgpr9
	s_and_saveexec_b32 s0, s15
	s_delay_alu instid0(SALU_CYCLE_1)
	s_xor_b32 s15, exec_lo, s0
	s_cbranch_execz .LBB138_237
; %bb.236:                              ;   in Loop: Header=BB138_201 Depth=1
	v_and_or_b32 v16, v8, s8, 0x800000
	v_dual_lshrrev_b32 v9, 23, v8 :: v_dual_mov_b32 v31, v17
	s_delay_alu instid0(VALU_DEP_2) | instskip(SKIP_1) | instid1(VALU_DEP_3)
	v_mul_u64_e32 v[20:21], s[4:5], v[16:17]
	v_mov_b32_e32 v23, v17
	v_add_nc_u32_e32 v9, 0xffffff88, v9
	s_delay_alu instid0(VALU_DEP_1) | instskip(NEXT) | instid1(VALU_DEP_4)
	v_cmp_lt_u32_e32 vcc_lo, 63, v9
	v_mov_b32_e32 v22, v21
	v_cndmask_b32_e64 v21, 0, 0xffffffc0, vcc_lo
	s_delay_alu instid0(VALU_DEP_2) | instskip(NEXT) | instid1(VALU_DEP_1)
	v_mad_nc_u64_u32 v[22:23], 0x3c439041, v16, v[22:23]
	v_dual_mov_b32 v25, v17 :: v_dual_mov_b32 v24, v23
	s_delay_alu instid0(VALU_DEP_1) | instskip(NEXT) | instid1(VALU_DEP_1)
	v_mad_nc_u64_u32 v[24:25], 0xdb629599, v16, v[24:25]
	v_dual_mov_b32 v27, v17 :: v_dual_mov_b32 v26, v25
	s_delay_alu instid0(VALU_DEP_2) | instskip(NEXT) | instid1(VALU_DEP_2)
	v_cndmask_b32_e32 v20, v24, v20, vcc_lo
	v_mad_nc_u64_u32 v[26:27], 0xf534ddc0, v16, v[26:27]
	s_delay_alu instid0(VALU_DEP_1) | instskip(NEXT) | instid1(VALU_DEP_1)
	v_dual_mov_b32 v29, v17 :: v_dual_mov_b32 v28, v27
	v_mad_nc_u64_u32 v[28:29], 0xfc2757d1, v16, v[28:29]
	s_delay_alu instid0(VALU_DEP_1) | instskip(NEXT) | instid1(VALU_DEP_1)
	v_dual_mov_b32 v30, v29 :: v_dual_cndmask_b32 v27, v28, v24
	v_mad_nc_u64_u32 v[30:31], 0x4e441529, v16, v[30:31]
	v_add_nc_u32_e32 v9, v21, v9
	s_delay_alu instid0(VALU_DEP_2) | instskip(NEXT) | instid1(VALU_DEP_2)
	v_dual_mov_b32 v33, v17 :: v_dual_mov_b32 v32, v31
	v_cmp_lt_u32_e64 s0, 31, v9
	s_delay_alu instid0(VALU_DEP_1) | instskip(NEXT) | instid1(VALU_DEP_1)
	v_cndmask_b32_e64 v21, 0, 0xffffffe0, s0
	v_dual_add_nc_u32 v9, v21, v9 :: v_dual_cndmask_b32 v21, v30, v26, vcc_lo
	s_delay_alu instid0(VALU_DEP_4) | instskip(NEXT) | instid1(VALU_DEP_1)
	v_mad_nc_u64_u32 v[32:33], 0xa2f9836e, v16, v[32:33]
	v_cndmask_b32_e32 v23, v32, v28, vcc_lo
	s_delay_alu instid0(VALU_DEP_3) | instskip(NEXT) | instid1(VALU_DEP_3)
	v_cmp_lt_u32_e64 s1, 31, v9
	v_cndmask_b32_e32 v25, v33, v30, vcc_lo
	s_delay_alu instid0(VALU_DEP_2) | instskip(NEXT) | instid1(VALU_DEP_1)
	v_cndmask_b32_e64 v16, 0, 0xffffffe0, s1
	v_dual_cndmask_b32 v16, v26, v22 :: v_dual_add_nc_u32 v9, v16, v9
	s_delay_alu instid0(VALU_DEP_3) | instskip(NEXT) | instid1(VALU_DEP_2)
	v_dual_cndmask_b32 v22, v23, v21, s0 :: v_dual_cndmask_b32 v23, v25, v23, s0
	v_dual_cndmask_b32 v21, v21, v27, s0 :: v_dual_sub_nc_u32 v25, 32, v9
	s_delay_alu instid0(VALU_DEP_3) | instskip(SKIP_1) | instid1(VALU_DEP_3)
	v_cndmask_b32_e64 v26, v27, v16, s0
	v_cmp_eq_u32_e32 vcc_lo, 0, v9
	v_dual_cndmask_b32 v23, v23, v22, s1 :: v_dual_cndmask_b32 v22, v22, v21, s1
	v_cndmask_b32_e64 v16, v16, v20, s0
	s_delay_alu instid0(VALU_DEP_2) | instskip(NEXT) | instid1(VALU_DEP_1)
	v_alignbit_b32 v27, v23, v22, v25
	v_dual_cndmask_b32 v21, v21, v26, s1 :: v_dual_cndmask_b32 v9, v27, v23, vcc_lo
	s_delay_alu instid0(VALU_DEP_1) | instskip(NEXT) | instid1(VALU_DEP_1)
	v_alignbit_b32 v24, v22, v21, v25
	v_cndmask_b32_e32 v20, v24, v22, vcc_lo
	s_delay_alu instid0(VALU_DEP_3) | instskip(NEXT) | instid1(VALU_DEP_1)
	v_bfe_u32 v22, v9, 29, 1
	v_dual_sub_nc_u32 v24, 0, v22 :: v_dual_cndmask_b32 v16, v26, v16, s1
	s_delay_alu instid0(VALU_DEP_3) | instskip(NEXT) | instid1(VALU_DEP_2)
	v_alignbit_b32 v23, v9, v20, 30
	v_alignbit_b32 v25, v21, v16, v25
	s_delay_alu instid0(VALU_DEP_1) | instskip(NEXT) | instid1(VALU_DEP_1)
	v_dual_cndmask_b32 v21, v25, v21, vcc_lo :: v_dual_bitop2_b32 v23, v23, v24 bitop3:0x14
	v_clz_i32_u32_e32 v25, v23
	s_delay_alu instid0(VALU_DEP_2) | instskip(NEXT) | instid1(VALU_DEP_2)
	v_alignbit_b32 v20, v20, v21, 30
	v_min_u32_e32 v25, 32, v25
	v_alignbit_b32 v16, v21, v16, 30
	s_delay_alu instid0(VALU_DEP_2) | instskip(NEXT) | instid1(VALU_DEP_2)
	v_dual_sub_nc_u32 v21, 31, v25 :: v_dual_bitop2_b32 v20, v20, v24 bitop3:0x14
	v_dual_lshrrev_b32 v24, 29, v9 :: v_dual_bitop2_b32 v16, v16, v24 bitop3:0x14
	v_lshlrev_b32_e32 v26, 23, v25
	s_delay_alu instid0(VALU_DEP_3) | instskip(NEXT) | instid1(VALU_DEP_3)
	v_alignbit_b32 v23, v23, v20, v21
	v_alignbit_b32 v16, v20, v16, v21
	s_delay_alu instid0(VALU_DEP_4) | instskip(NEXT) | instid1(VALU_DEP_2)
	v_lshlrev_b32_e32 v20, 31, v24
	v_alignbit_b32 v21, v23, v16, 9
	s_delay_alu instid0(VALU_DEP_2) | instskip(SKIP_1) | instid1(VALU_DEP_3)
	v_dual_lshrrev_b32 v23, 9, v23 :: v_dual_bitop2_b32 v24, 0.5, v20 bitop3:0x54
	v_or_b32_e32 v20, 0x33000000, v20
	v_clz_i32_u32_e32 v27, v21
	s_delay_alu instid0(VALU_DEP_3) | instskip(NEXT) | instid1(VALU_DEP_2)
	v_sub_nc_u32_e32 v24, v24, v26
	v_min_u32_e32 v26, 32, v27
	s_delay_alu instid0(VALU_DEP_1) | instskip(NEXT) | instid1(VALU_DEP_3)
	v_add_lshl_u32 v25, v26, v25, 23
	v_or_b32_e32 v23, v23, v24
	v_not_b32_e32 v24, v26
	s_delay_alu instid0(VALU_DEP_2) | instskip(NEXT) | instid1(VALU_DEP_2)
	v_dual_mul_f32 v27, 0x3fc90fda, v23 :: v_dual_sub_nc_u32 v20, v20, v25
	v_alignbit_b32 v16, v21, v16, v24
	s_delay_alu instid0(VALU_DEP_2) | instskip(NEXT) | instid1(VALU_DEP_1)
	v_fma_f32 v21, 0x3fc90fda, v23, -v27
	v_dual_fmac_f32 v21, 0x33a22168, v23 :: v_dual_lshrrev_b32 v16, 9, v16
	s_delay_alu instid0(VALU_DEP_1) | instskip(NEXT) | instid1(VALU_DEP_1)
	v_or_b32_e32 v16, v20, v16
	v_dual_fmac_f32 v21, 0x3fc90fda, v16 :: v_dual_lshrrev_b32 v16, 30, v9
	s_delay_alu instid0(VALU_DEP_1)
	v_dual_add_f32 v9, v27, v21 :: v_dual_add_nc_u32 v16, v22, v16
	s_and_not1_saveexec_b32 s0, s15
	s_cbranch_execnz .LBB138_238
	s_branch .LBB138_239
.LBB138_237:                            ;   in Loop: Header=BB138_201 Depth=1
	s_and_not1_saveexec_b32 s0, s15
.LBB138_238:                            ;   in Loop: Header=BB138_201 Depth=1
	v_mul_f32_e64 v9, 0x3f22f983, |v11|
	s_delay_alu instid0(VALU_DEP_1) | instskip(NEXT) | instid1(VALU_DEP_1)
	v_rndne_f32_e32 v16, v9
	v_fma_f32 v9, 0xbfc90fda, v16, |v11|
	s_delay_alu instid0(VALU_DEP_1) | instskip(NEXT) | instid1(VALU_DEP_1)
	v_fmac_f32_e32 v9, 0xb3a22168, v16
	v_fmac_f32_e32 v9, 0xa7c234c4, v16
	v_cvt_i32_f32_e32 v16, v16
.LBB138_239:                            ;   in Loop: Header=BB138_201 Depth=1
	s_or_b32 exec_lo, exec_lo, s0
	s_delay_alu instid0(VALU_DEP_1) | instskip(NEXT) | instid1(VALU_DEP_2)
	v_dual_mul_f32 v20, v6, v6 :: v_dual_mul_f32 v21, v9, v9
	v_and_b32_e32 v27, 1, v16
	v_dual_lshlrev_b32 v7, 30, v7 :: v_dual_bitop2_b32 v22, 1, v7 bitop3:0x40
	s_delay_alu instid0(VALU_DEP_3) | instskip(NEXT) | instid1(VALU_DEP_4)
	v_fmaak_f32 v23, s9, v20, 0x3c0881c4
	v_dual_fmaak_f32 v25, s9, v21, 0x3c0881c4 :: v_dual_lshlrev_b32 v16, 30, v16
	v_fmaak_f32 v26, s10, v21, 0xbab64f3b
	s_delay_alu instid0(VALU_DEP_4) | instskip(NEXT) | instid1(VALU_DEP_4)
	v_cmp_eq_u32_e32 vcc_lo, 0, v22
	v_fmaak_f32 v23, v20, v23, 0xbe2aaa9d
	v_fmaak_f32 v24, s10, v20, 0xbab64f3b
	v_and_or_b32 v8, 0x80000000, v16, v8
	s_delay_alu instid0(VALU_DEP_3) | instskip(NEXT) | instid1(VALU_DEP_1)
	v_mul_f32_e32 v23, v20, v23
	v_dual_fmaak_f32 v25, v21, v25, 0xbe2aaa9d :: v_dual_fmac_f32 v6, v6, v23
	s_delay_alu instid0(VALU_DEP_1) | instskip(NEXT) | instid1(VALU_DEP_1)
	v_dual_fmaak_f32 v24, v20, v24, 0x3d2aabf7 :: v_dual_mul_f32 v25, v21, v25
	v_dual_fmaak_f32 v24, v20, v24, 0xbf000004 :: v_dual_fmac_f32 v9, v9, v25
	s_delay_alu instid0(VALU_DEP_1) | instskip(NEXT) | instid1(VALU_DEP_1)
	v_fma_f32 v20, v20, v24, 1.0
	v_cndmask_b32_e64 v6, -v6, v20, vcc_lo
	v_cmp_eq_u32_e32 vcc_lo, 0, v27
	v_fmaak_f32 v26, v21, v26, 0x3d2aabf7
	s_delay_alu instid0(VALU_DEP_3) | instskip(NEXT) | instid1(VALU_DEP_2)
	v_bitop3_b32 v6, v7, v6, 0x80000000 bitop3:0x6c
	v_fmaak_f32 v26, v21, v26, 0xbf000004
	s_delay_alu instid0(VALU_DEP_1) | instskip(NEXT) | instid1(VALU_DEP_1)
	v_fma_f32 v21, v21, v26, 1.0
	v_cndmask_b32_e32 v9, v21, v9, vcc_lo
	v_cmp_class_f32_e64 vcc_lo, v11, 0x1f8
	s_delay_alu instid0(VALU_DEP_2) | instskip(SKIP_1) | instid1(VALU_DEP_2)
	v_xor3_b32 v7, v8, v9, v11
	v_cndmask_b32_e32 v6, 0x7fc00000, v6, vcc_lo
	v_cndmask_b32_e32 v7, 0x7fc00000, v7, vcc_lo
.LBB138_240:                            ;   in Loop: Header=BB138_201 Depth=1
	s_or_b32 exec_lo, exec_lo, s14
.LBB138_241:                            ;   in Loop: Header=BB138_201 Depth=1
	s_and_not1_saveexec_b32 s0, s13
	s_cbranch_execz .LBB138_243
; %bb.242:                              ;   in Loop: Header=BB138_201 Depth=1
	v_mul_f32_e32 v6, 0x3fb8aa3b, v10
	v_cmp_ngt_f32_e32 vcc_lo, 0xc2ce8ed0, v10
	s_delay_alu instid0(VALU_DEP_2) | instskip(SKIP_1) | instid1(VALU_DEP_2)
	v_rndne_f32_e32 v7, v6
	v_fma_f32 v8, 0x3fb8aa3b, v10, -v6
	v_sub_f32_e32 v6, v6, v7
	s_delay_alu instid0(VALU_DEP_2) | instskip(SKIP_1) | instid1(VALU_DEP_2)
	v_fmac_f32_e32 v8, 0x32a5705f, v10
	v_cvt_i32_f32_e32 v7, v7
	v_add_f32_e32 v6, v6, v8
	s_delay_alu instid0(VALU_DEP_1) | instskip(SKIP_1) | instid1(TRANS32_DEP_1)
	v_exp_f32_e32 v6, v6
	v_nop
	v_ldexp_f32 v6, v6, v7
	s_delay_alu instid0(VALU_DEP_1) | instskip(SKIP_1) | instid1(VALU_DEP_2)
	v_dual_mov_b32 v7, v11 :: v_dual_cndmask_b32 v6, 0, v6
	v_cmp_nlt_f32_e32 vcc_lo, 0x42b17218, v10
	v_cndmask_b32_e32 v6, 0x7f800000, v6, vcc_lo
.LBB138_243:                            ;   in Loop: Header=BB138_201 Depth=1
	s_or_b32 exec_lo, exec_lo, s0
	v_and_b32_e32 v10, 0x7fffffff, v13
	s_mov_b32 s0, exec_lo
	s_delay_alu instid0(VALU_DEP_1)
	v_cmpx_ne_u32_e32 0, v10
	s_xor_b32 s13, exec_lo, s0
	s_cbranch_execz .LBB138_285
; %bb.244:                              ;   in Loop: Header=BB138_201 Depth=1
	v_and_b32_e32 v11, 0x7fffffff, v12
	s_mov_b32 s0, exec_lo
	s_delay_alu instid0(VALU_DEP_1)
	v_cmpx_ne_u32_e32 0, v11
	s_xor_b32 s14, exec_lo, s0
	s_cbranch_execz .LBB138_274
; %bb.245:                              ;   in Loop: Header=BB138_201 Depth=1
	s_mov_b32 s0, exec_lo
	v_cmpx_gt_u32_e32 0x7f800000, v10
	s_xor_b32 s15, exec_lo, s0
	s_cbranch_execz .LBB138_267
; %bb.246:                              ;   in Loop: Header=BB138_201 Depth=1
	v_add_nc_u32_e32 v8, 0xbd4e8de8, v12
	s_mov_b32 s0, exec_lo
	s_delay_alu instid0(VALU_DEP_1)
	v_cmpx_lt_u32_e32 0x8e8e5c, v8
	s_xor_b32 s16, exec_lo, s0
	s_cbranch_execz .LBB138_256
; %bb.247:                              ;   in Loop: Header=BB138_201 Depth=1
	v_cmp_ngt_f32_e64 s17, 0x48000000, |v13|
                                        ; implicit-def: $vgpr9
                                        ; implicit-def: $vgpr8
	s_and_saveexec_b32 s0, s17
	s_delay_alu instid0(SALU_CYCLE_1)
	s_xor_b32 s18, exec_lo, s0
	s_cbranch_execz .LBB138_249
; %bb.248:                              ;   in Loop: Header=BB138_201 Depth=1
	v_and_or_b32 v16, v10, s8, 0x800000
	v_dual_mov_b32 v29, v17 :: v_dual_mov_b32 v31, v17
	s_delay_alu instid0(VALU_DEP_2) | instskip(NEXT) | instid1(VALU_DEP_1)
	v_mul_u64_e32 v[8:9], s[4:5], v[16:17]
	v_dual_mov_b32 v21, v17 :: v_dual_mov_b32 v20, v9
	v_lshrrev_b32_e32 v9, 23, v10
	s_delay_alu instid0(VALU_DEP_2) | instskip(SKIP_1) | instid1(VALU_DEP_3)
	v_mad_nc_u64_u32 v[20:21], 0x3c439041, v16, v[20:21]
	v_mov_b32_e32 v23, v17
	v_add_nc_u32_e32 v9, 0xffffff88, v9
	s_delay_alu instid0(VALU_DEP_1) | instskip(NEXT) | instid1(VALU_DEP_4)
	v_cmp_lt_u32_e32 vcc_lo, 63, v9
	v_mov_b32_e32 v22, v21
	v_cndmask_b32_e64 v11, 0, 0xffffffc0, vcc_lo
	s_delay_alu instid0(VALU_DEP_2) | instskip(NEXT) | instid1(VALU_DEP_2)
	v_mad_nc_u64_u32 v[22:23], 0xdb629599, v16, v[22:23]
	v_dual_mov_b32 v25, v17 :: v_dual_add_nc_u32 v9, v11, v9
	s_delay_alu instid0(VALU_DEP_1) | instskip(NEXT) | instid1(VALU_DEP_3)
	v_cmp_lt_u32_e64 s0, 31, v9
	v_dual_mov_b32 v24, v23 :: v_dual_cndmask_b32 v8, v22, v8, vcc_lo
	s_delay_alu instid0(VALU_DEP_2) | instskip(NEXT) | instid1(VALU_DEP_2)
	v_cndmask_b32_e64 v11, 0, 0xffffffe0, s0
	v_mad_nc_u64_u32 v[24:25], 0xf534ddc0, v16, v[24:25]
	s_delay_alu instid0(VALU_DEP_2) | instskip(NEXT) | instid1(VALU_DEP_1)
	v_dual_mov_b32 v27, v17 :: v_dual_add_nc_u32 v9, v11, v9
	v_cmp_lt_u32_e64 s1, 31, v9
	s_delay_alu instid0(VALU_DEP_3) | instskip(NEXT) | instid1(VALU_DEP_2)
	v_mov_b32_e32 v26, v25
	v_cndmask_b32_e64 v11, 0, 0xffffffe0, s1
	s_delay_alu instid0(VALU_DEP_2) | instskip(NEXT) | instid1(VALU_DEP_2)
	v_mad_nc_u64_u32 v[26:27], 0xfc2757d1, v16, v[26:27]
	v_dual_add_nc_u32 v9, v11, v9 :: v_dual_cndmask_b32 v11, v24, v20, vcc_lo
	s_delay_alu instid0(VALU_DEP_1) | instskip(NEXT) | instid1(VALU_DEP_3)
	v_cndmask_b32_e64 v8, v11, v8, s0
	v_dual_mov_b32 v28, v27 :: v_dual_cndmask_b32 v25, v26, v22
	s_delay_alu instid0(VALU_DEP_1) | instskip(NEXT) | instid1(VALU_DEP_1)
	v_mad_nc_u64_u32 v[28:29], 0x4e441529, v16, v[28:29]
	v_mov_b32_e32 v30, v29
	s_delay_alu instid0(VALU_DEP_1) | instskip(NEXT) | instid1(VALU_DEP_3)
	v_mad_nc_u64_u32 v[30:31], 0xa2f9836e, v16, v[30:31]
	v_dual_cndmask_b32 v16, v28, v24, vcc_lo :: v_dual_cndmask_b32 v24, v25, v11, s0
	s_delay_alu instid0(VALU_DEP_2) | instskip(SKIP_1) | instid1(VALU_DEP_2)
	v_dual_cndmask_b32 v21, v30, v26, vcc_lo :: v_dual_cndmask_b32 v23, v31, v28, vcc_lo
	v_cmp_eq_u32_e32 vcc_lo, 0, v9
	v_dual_cndmask_b32 v20, v21, v16, s0 :: v_dual_cndmask_b32 v21, v23, v21, s0
	v_cndmask_b32_e64 v16, v16, v25, s0
	s_delay_alu instid0(VALU_DEP_2) | instskip(NEXT) | instid1(VALU_DEP_2)
	v_dual_sub_nc_u32 v23, 32, v9 :: v_dual_cndmask_b32 v21, v21, v20, s1
	v_cndmask_b32_e64 v20, v20, v16, s1
	v_cndmask_b32_e64 v16, v16, v24, s1
	s_delay_alu instid0(VALU_DEP_2) | instskip(NEXT) | instid1(VALU_DEP_1)
	v_alignbit_b32 v25, v21, v20, v23
	v_cndmask_b32_e32 v9, v25, v21, vcc_lo
	s_delay_alu instid0(VALU_DEP_3) | instskip(SKIP_1) | instid1(VALU_DEP_2)
	v_alignbit_b32 v22, v20, v16, v23
	v_cndmask_b32_e64 v8, v24, v8, s1
	v_cndmask_b32_e32 v11, v22, v20, vcc_lo
	s_delay_alu instid0(VALU_DEP_4) | instskip(NEXT) | instid1(VALU_DEP_1)
	v_bfe_u32 v20, v9, 29, 1
	v_sub_nc_u32_e32 v22, 0, v20
	s_delay_alu instid0(VALU_DEP_3) | instskip(NEXT) | instid1(VALU_DEP_1)
	v_alignbit_b32 v21, v9, v11, 30
	v_xor_b32_e32 v21, v21, v22
	v_alignbit_b32 v23, v16, v8, v23
	s_delay_alu instid0(VALU_DEP_1) | instskip(NEXT) | instid1(VALU_DEP_3)
	v_cndmask_b32_e32 v16, v23, v16, vcc_lo
	v_clz_i32_u32_e32 v23, v21
	s_delay_alu instid0(VALU_DEP_2) | instskip(NEXT) | instid1(VALU_DEP_2)
	v_alignbit_b32 v8, v16, v8, 30
	v_min_u32_e32 v23, 32, v23
	s_delay_alu instid0(VALU_DEP_2) | instskip(SKIP_1) | instid1(VALU_DEP_3)
	v_xor_b32_e32 v8, v8, v22
	v_alignbit_b32 v11, v11, v16, 30
	v_dual_sub_nc_u32 v16, 31, v23 :: v_dual_lshlrev_b32 v24, 23, v23
	s_delay_alu instid0(VALU_DEP_2) | instskip(SKIP_1) | instid1(VALU_DEP_2)
	v_dual_lshrrev_b32 v22, 29, v9 :: v_dual_bitop2_b32 v11, v11, v22 bitop3:0x14
	v_lshrrev_b32_e32 v9, 30, v9
	v_alignbit_b32 v21, v21, v11, v16
	v_alignbit_b32 v8, v11, v8, v16
	s_delay_alu instid0(VALU_DEP_3) | instskip(NEXT) | instid1(VALU_DEP_2)
	v_dual_lshlrev_b32 v11, 31, v22 :: v_dual_add_nc_u32 v9, v20, v9
	v_alignbit_b32 v16, v21, v8, 9
	s_delay_alu instid0(VALU_DEP_2) | instskip(SKIP_1) | instid1(VALU_DEP_3)
	v_dual_lshrrev_b32 v21, 9, v21 :: v_dual_bitop2_b32 v22, 0.5, v11 bitop3:0x54
	v_or_b32_e32 v11, 0x33000000, v11
	v_clz_i32_u32_e32 v25, v16
	s_delay_alu instid0(VALU_DEP_3) | instskip(NEXT) | instid1(VALU_DEP_2)
	v_sub_nc_u32_e32 v22, v22, v24
	v_min_u32_e32 v24, 32, v25
	s_delay_alu instid0(VALU_DEP_1) | instskip(NEXT) | instid1(VALU_DEP_3)
	v_add_lshl_u32 v23, v24, v23, 23
	v_or_b32_e32 v21, v21, v22
	v_not_b32_e32 v22, v24
	s_delay_alu instid0(VALU_DEP_3) | instskip(NEXT) | instid1(VALU_DEP_3)
	v_sub_nc_u32_e32 v11, v11, v23
	v_mul_f32_e32 v25, 0x3fc90fda, v21
	s_delay_alu instid0(VALU_DEP_3) | instskip(NEXT) | instid1(VALU_DEP_2)
	v_alignbit_b32 v8, v16, v8, v22
	v_fma_f32 v16, 0x3fc90fda, v21, -v25
	s_delay_alu instid0(VALU_DEP_2) | instskip(NEXT) | instid1(VALU_DEP_2)
	v_lshrrev_b32_e32 v8, 9, v8
	v_fmac_f32_e32 v16, 0x33a22168, v21
	s_delay_alu instid0(VALU_DEP_2) | instskip(NEXT) | instid1(VALU_DEP_1)
	v_or_b32_e32 v8, v11, v8
	v_fmac_f32_e32 v16, 0x3fc90fda, v8
	s_delay_alu instid0(VALU_DEP_1)
	v_add_f32_e32 v8, v25, v16
	s_and_not1_saveexec_b32 s0, s18
	s_branch .LBB138_250
.LBB138_249:                            ;   in Loop: Header=BB138_201 Depth=1
	s_and_not1_saveexec_b32 s0, s18
.LBB138_250:                            ;   in Loop: Header=BB138_201 Depth=1
	v_mul_f32_e64 v8, 0x3f22f983, |v13|
	s_delay_alu instid0(VALU_DEP_1) | instskip(NEXT) | instid1(VALU_DEP_1)
	v_rndne_f32_e32 v9, v8
	v_fma_f32 v8, 0xbfc90fda, v9, |v13|
	s_delay_alu instid0(VALU_DEP_1) | instskip(NEXT) | instid1(VALU_DEP_1)
	v_fmac_f32_e32 v8, 0xb3a22168, v9
	v_fmac_f32_e32 v8, 0xa7c234c4, v9
	v_cvt_i32_f32_e32 v9, v9
; %bb.251:                              ;   in Loop: Header=BB138_201 Depth=1
	s_or_b32 exec_lo, exec_lo, s0
                                        ; implicit-def: $vgpr16
                                        ; implicit-def: $vgpr11
	s_and_saveexec_b32 s0, s17
	s_delay_alu instid0(SALU_CYCLE_1)
	s_xor_b32 s17, exec_lo, s0
	s_cbranch_execz .LBB138_253
; %bb.252:                              ;   in Loop: Header=BB138_201 Depth=1
	v_and_or_b32 v16, v10, s8, 0x800000
	v_dual_lshrrev_b32 v11, 23, v10 :: v_dual_mov_b32 v31, v17
	s_delay_alu instid0(VALU_DEP_2) | instskip(SKIP_1) | instid1(VALU_DEP_3)
	v_mul_u64_e32 v[20:21], s[4:5], v[16:17]
	v_mov_b32_e32 v23, v17
	v_add_nc_u32_e32 v11, 0xffffff88, v11
	s_delay_alu instid0(VALU_DEP_1) | instskip(NEXT) | instid1(VALU_DEP_4)
	v_cmp_lt_u32_e32 vcc_lo, 63, v11
	v_mov_b32_e32 v22, v21
	v_cndmask_b32_e64 v21, 0, 0xffffffc0, vcc_lo
	s_delay_alu instid0(VALU_DEP_2) | instskip(NEXT) | instid1(VALU_DEP_1)
	v_mad_nc_u64_u32 v[22:23], 0x3c439041, v16, v[22:23]
	v_dual_mov_b32 v25, v17 :: v_dual_mov_b32 v24, v23
	s_delay_alu instid0(VALU_DEP_1) | instskip(NEXT) | instid1(VALU_DEP_1)
	v_mad_nc_u64_u32 v[24:25], 0xdb629599, v16, v[24:25]
	v_dual_mov_b32 v27, v17 :: v_dual_mov_b32 v26, v25
	s_delay_alu instid0(VALU_DEP_1) | instskip(NEXT) | instid1(VALU_DEP_1)
	;; [unrolled: 3-line block ×3, first 2 shown]
	v_mad_nc_u64_u32 v[28:29], 0xfc2757d1, v16, v[28:29]
	v_dual_mov_b32 v30, v29 :: v_dual_cndmask_b32 v27, v28, v24
	s_delay_alu instid0(VALU_DEP_1) | instskip(SKIP_1) | instid1(VALU_DEP_2)
	v_mad_nc_u64_u32 v[30:31], 0x4e441529, v16, v[30:31]
	v_add_nc_u32_e32 v11, v21, v11
	v_dual_mov_b32 v33, v17 :: v_dual_mov_b32 v32, v31
	s_delay_alu instid0(VALU_DEP_2) | instskip(NEXT) | instid1(VALU_DEP_1)
	v_cmp_lt_u32_e64 s0, 31, v11
	v_cndmask_b32_e64 v21, 0, 0xffffffe0, s0
	s_delay_alu instid0(VALU_DEP_1) | instskip(NEXT) | instid1(VALU_DEP_4)
	v_dual_add_nc_u32 v11, v21, v11 :: v_dual_cndmask_b32 v21, v30, v26, vcc_lo
	v_mad_nc_u64_u32 v[32:33], 0xa2f9836e, v16, v[32:33]
	s_delay_alu instid0(VALU_DEP_1) | instskip(NEXT) | instid1(VALU_DEP_3)
	v_cndmask_b32_e32 v23, v32, v28, vcc_lo
	v_cmp_lt_u32_e64 s1, 31, v11
	s_delay_alu instid0(VALU_DEP_3) | instskip(NEXT) | instid1(VALU_DEP_2)
	v_cndmask_b32_e32 v25, v33, v30, vcc_lo
	v_cndmask_b32_e64 v16, 0, 0xffffffe0, s1
	s_delay_alu instid0(VALU_DEP_1) | instskip(NEXT) | instid1(VALU_DEP_3)
	v_dual_cndmask_b32 v16, v26, v22 :: v_dual_add_nc_u32 v11, v16, v11
	v_dual_cndmask_b32 v22, v23, v21, s0 :: v_dual_cndmask_b32 v23, v25, v23, s0
	v_cndmask_b32_e64 v21, v21, v27, s0
	s_delay_alu instid0(VALU_DEP_3) | instskip(NEXT) | instid1(VALU_DEP_2)
	v_dual_sub_nc_u32 v25, 32, v11 :: v_dual_cndmask_b32 v26, v27, v16, s0
	v_dual_cndmask_b32 v23, v23, v22, s1 :: v_dual_cndmask_b32 v22, v22, v21, s1
	s_delay_alu instid0(VALU_DEP_2) | instskip(NEXT) | instid1(VALU_DEP_2)
	v_cndmask_b32_e64 v21, v21, v26, s1
	v_alignbit_b32 v27, v23, v22, v25
	v_cndmask_b32_e32 v20, v24, v20, vcc_lo
	v_cmp_eq_u32_e32 vcc_lo, 0, v11
	s_delay_alu instid0(VALU_DEP_4) | instskip(NEXT) | instid1(VALU_DEP_3)
	v_alignbit_b32 v24, v22, v21, v25
	v_dual_cndmask_b32 v11, v27, v23, vcc_lo :: v_dual_cndmask_b32 v16, v16, v20, s0
	s_delay_alu instid0(VALU_DEP_2) | instskip(NEXT) | instid1(VALU_DEP_2)
	v_cndmask_b32_e32 v20, v24, v22, vcc_lo
	v_bfe_u32 v22, v11, 29, 1
	s_delay_alu instid0(VALU_DEP_1) | instskip(NEXT) | instid1(VALU_DEP_3)
	v_dual_sub_nc_u32 v24, 0, v22 :: v_dual_cndmask_b32 v16, v26, v16, s1
	v_alignbit_b32 v23, v11, v20, 30
	s_delay_alu instid0(VALU_DEP_2) | instskip(NEXT) | instid1(VALU_DEP_1)
	v_alignbit_b32 v25, v21, v16, v25
	v_dual_cndmask_b32 v21, v25, v21, vcc_lo :: v_dual_bitop2_b32 v23, v23, v24 bitop3:0x14
	s_delay_alu instid0(VALU_DEP_1) | instskip(NEXT) | instid1(VALU_DEP_2)
	v_clz_i32_u32_e32 v25, v23
	v_alignbit_b32 v20, v20, v21, 30
	s_delay_alu instid0(VALU_DEP_2) | instskip(SKIP_1) | instid1(VALU_DEP_2)
	v_min_u32_e32 v25, 32, v25
	v_alignbit_b32 v16, v21, v16, 30
	v_dual_sub_nc_u32 v21, 31, v25 :: v_dual_bitop2_b32 v20, v20, v24 bitop3:0x14
	s_delay_alu instid0(VALU_DEP_2) | instskip(SKIP_1) | instid1(VALU_DEP_3)
	v_dual_lshrrev_b32 v24, 29, v11 :: v_dual_bitop2_b32 v16, v16, v24 bitop3:0x14
	v_lshlrev_b32_e32 v26, 23, v25
	v_alignbit_b32 v23, v23, v20, v21
	s_delay_alu instid0(VALU_DEP_3) | instskip(NEXT) | instid1(VALU_DEP_4)
	v_alignbit_b32 v16, v20, v16, v21
	v_lshlrev_b32_e32 v20, 31, v24
	s_delay_alu instid0(VALU_DEP_2) | instskip(NEXT) | instid1(VALU_DEP_2)
	v_alignbit_b32 v21, v23, v16, 9
	v_dual_lshrrev_b32 v23, 9, v23 :: v_dual_bitop2_b32 v24, 0.5, v20 bitop3:0x54
	v_or_b32_e32 v20, 0x33000000, v20
	s_delay_alu instid0(VALU_DEP_3) | instskip(NEXT) | instid1(VALU_DEP_3)
	v_clz_i32_u32_e32 v27, v21
	v_sub_nc_u32_e32 v24, v24, v26
	s_delay_alu instid0(VALU_DEP_2) | instskip(NEXT) | instid1(VALU_DEP_1)
	v_min_u32_e32 v26, 32, v27
	v_add_lshl_u32 v25, v26, v25, 23
	s_delay_alu instid0(VALU_DEP_3) | instskip(SKIP_1) | instid1(VALU_DEP_2)
	v_or_b32_e32 v23, v23, v24
	v_not_b32_e32 v24, v26
	v_dual_mul_f32 v27, 0x3fc90fda, v23 :: v_dual_sub_nc_u32 v20, v20, v25
	s_delay_alu instid0(VALU_DEP_2) | instskip(NEXT) | instid1(VALU_DEP_2)
	v_alignbit_b32 v16, v21, v16, v24
	v_fma_f32 v21, 0x3fc90fda, v23, -v27
	s_delay_alu instid0(VALU_DEP_1) | instskip(NEXT) | instid1(VALU_DEP_1)
	v_dual_fmac_f32 v21, 0x33a22168, v23 :: v_dual_lshrrev_b32 v16, 9, v16
	v_or_b32_e32 v16, v20, v16
	s_delay_alu instid0(VALU_DEP_1) | instskip(NEXT) | instid1(VALU_DEP_1)
	v_dual_fmac_f32 v21, 0x3fc90fda, v16 :: v_dual_lshrrev_b32 v16, 30, v11
	v_dual_add_f32 v11, v27, v21 :: v_dual_add_nc_u32 v16, v22, v16
	s_and_not1_saveexec_b32 s0, s17
	s_cbranch_execnz .LBB138_254
	s_branch .LBB138_255
.LBB138_253:                            ;   in Loop: Header=BB138_201 Depth=1
	s_and_not1_saveexec_b32 s0, s17
.LBB138_254:                            ;   in Loop: Header=BB138_201 Depth=1
	v_mul_f32_e64 v11, 0x3f22f983, |v13|
	s_delay_alu instid0(VALU_DEP_1) | instskip(NEXT) | instid1(VALU_DEP_1)
	v_rndne_f32_e32 v16, v11
	v_fma_f32 v11, 0xbfc90fda, v16, |v13|
	s_delay_alu instid0(VALU_DEP_1) | instskip(NEXT) | instid1(VALU_DEP_1)
	v_fmac_f32_e32 v11, 0xb3a22168, v16
	v_fmac_f32_e32 v11, 0xa7c234c4, v16
	v_cvt_i32_f32_e32 v16, v16
.LBB138_255:                            ;   in Loop: Header=BB138_201 Depth=1
	s_or_b32 exec_lo, exec_lo, s0
	s_delay_alu instid0(VALU_DEP_1) | instskip(SKIP_2) | instid1(VALU_DEP_3)
	v_dual_mul_f32 v20, 0x3fb8aa3b, v12 :: v_dual_mul_f32 v23, v11, v11
	v_dual_mul_f32 v21, v8, v8 :: v_dual_bitop2_b32 v22, 1, v9 bitop3:0x40
	v_cmp_nlt_f32_e64 s0, 0x42b17218, v12
	v_rndne_f32_e32 v24, v20
	s_delay_alu instid0(VALU_DEP_4) | instskip(NEXT) | instid1(VALU_DEP_4)
	v_dual_fmaak_f32 v28, s9, v23, 0x3c0881c4 :: v_dual_lshlrev_b32 v9, 30, v9
	v_fmaak_f32 v27, s10, v21, 0xbab64f3b
	v_fma_f32 v25, 0x3fb8aa3b, v12, -v20
	s_delay_alu instid0(VALU_DEP_4) | instskip(NEXT) | instid1(VALU_DEP_4)
	v_sub_f32_e32 v20, v20, v24
	v_fmaak_f32 v28, v23, v28, 0xbe2aaa9d
	v_cvt_i32_f32_e32 v24, v24
	v_fmaak_f32 v27, v21, v27, 0x3d2aabf7
	v_cmp_eq_u32_e32 vcc_lo, 0, v22
	s_delay_alu instid0(VALU_DEP_4) | instskip(SKIP_1) | instid1(VALU_DEP_4)
	v_mul_f32_e32 v28, v23, v28
	v_fmaak_f32 v26, s9, v21, 0x3c0881c4
	v_fmaak_f32 v27, v21, v27, 0xbf000004
	s_delay_alu instid0(VALU_DEP_2) | instskip(NEXT) | instid1(VALU_DEP_1)
	v_dual_fmac_f32 v11, v11, v28 :: v_dual_fmaak_f32 v26, v21, v26, 0xbe2aaa9d
	v_dual_fmac_f32 v25, 0x32a5705f, v12 :: v_dual_mul_f32 v26, v21, v26
	s_delay_alu instid0(VALU_DEP_1) | instskip(NEXT) | instid1(VALU_DEP_1)
	v_dual_fmaak_f32 v29, s10, v23, 0xbab64f3b :: v_dual_add_f32 v20, v20, v25
	v_dual_fmac_f32 v8, v8, v26 :: v_dual_fmaak_f32 v25, v23, v29, 0x3d2aabf7
	s_delay_alu instid0(VALU_DEP_2) | instskip(SKIP_1) | instid1(TRANS32_DEP_1)
	v_exp_f32_e32 v20, v20
	v_nop
	v_ldexp_f32 v20, v20, v24
	s_delay_alu instid0(VALU_DEP_3) | instskip(SKIP_2) | instid1(VALU_DEP_3)
	v_fmaak_f32 v25, v23, v25, 0xbf000004
	v_dual_lshlrev_b32 v16, 30, v16 :: v_dual_bitop2_b32 v24, 1, v16 bitop3:0x40
	v_fma_f32 v21, v21, v27, 1.0
	v_fma_f32 v23, v23, v25, 1.0
	s_delay_alu instid0(VALU_DEP_3) | instskip(NEXT) | instid1(VALU_DEP_3)
	v_and_or_b32 v10, 0x80000000, v16, v10
	v_cndmask_b32_e64 v8, -v8, v21, vcc_lo
	v_cmp_eq_u32_e32 vcc_lo, 0, v24
	s_delay_alu instid0(VALU_DEP_2) | instskip(SKIP_2) | instid1(VALU_DEP_2)
	v_bitop3_b32 v8, v9, v8, 0x80000000 bitop3:0x6c
	v_cndmask_b32_e32 v11, v23, v11, vcc_lo
	v_cmp_ngt_f32_e32 vcc_lo, 0xc2ce8ed0, v12
	v_xor3_b32 v9, v10, v11, v13
	v_cndmask_b32_e32 v16, 0, v20, vcc_lo
	v_cmp_class_f32_e64 vcc_lo, v13, 0x1f8
	s_delay_alu instid0(VALU_DEP_2) | instskip(SKIP_1) | instid1(VALU_DEP_1)
	v_cndmask_b32_e64 v10, 0x7f800000, v16, s0
	v_cndmask_b32_e32 v8, 0x7fc00000, v8, vcc_lo
	v_dual_cndmask_b32 v9, 0x7fc00000, v9 :: v_dual_mul_f32 v8, v10, v8
	s_delay_alu instid0(VALU_DEP_1)
	v_mul_f32_e32 v9, v10, v9
                                        ; implicit-def: $vgpr10_vgpr11_vgpr12_vgpr13
                                        ; implicit-def: $vgpr10
.LBB138_256:                            ;   in Loop: Header=BB138_201 Depth=1
	s_and_not1_saveexec_b32 s16, s16
	s_cbranch_execz .LBB138_266
; %bb.257:                              ;   in Loop: Header=BB138_201 Depth=1
	v_cmp_ngt_f32_e64 s17, 0x48000000, |v13|
                                        ; implicit-def: $vgpr9
                                        ; implicit-def: $vgpr8
	s_and_saveexec_b32 s0, s17
	s_delay_alu instid0(SALU_CYCLE_1)
	s_xor_b32 s18, exec_lo, s0
	s_cbranch_execz .LBB138_259
; %bb.258:                              ;   in Loop: Header=BB138_201 Depth=1
	v_and_or_b32 v16, v10, s8, 0x800000
	v_dual_mov_b32 v29, v17 :: v_dual_mov_b32 v31, v17
	s_delay_alu instid0(VALU_DEP_2) | instskip(NEXT) | instid1(VALU_DEP_1)
	v_mul_u64_e32 v[8:9], s[4:5], v[16:17]
	v_dual_mov_b32 v21, v17 :: v_dual_mov_b32 v20, v9
	v_lshrrev_b32_e32 v9, 23, v10
	s_delay_alu instid0(VALU_DEP_2) | instskip(SKIP_1) | instid1(VALU_DEP_3)
	v_mad_nc_u64_u32 v[20:21], 0x3c439041, v16, v[20:21]
	v_mov_b32_e32 v23, v17
	v_add_nc_u32_e32 v9, 0xffffff88, v9
	s_delay_alu instid0(VALU_DEP_1) | instskip(NEXT) | instid1(VALU_DEP_4)
	v_cmp_lt_u32_e32 vcc_lo, 63, v9
	v_mov_b32_e32 v22, v21
	v_cndmask_b32_e64 v11, 0, 0xffffffc0, vcc_lo
	s_delay_alu instid0(VALU_DEP_2) | instskip(NEXT) | instid1(VALU_DEP_2)
	v_mad_nc_u64_u32 v[22:23], 0xdb629599, v16, v[22:23]
	v_dual_mov_b32 v25, v17 :: v_dual_add_nc_u32 v9, v11, v9
	s_delay_alu instid0(VALU_DEP_1) | instskip(NEXT) | instid1(VALU_DEP_3)
	v_cmp_lt_u32_e64 s0, 31, v9
	v_dual_mov_b32 v24, v23 :: v_dual_cndmask_b32 v8, v22, v8, vcc_lo
	s_delay_alu instid0(VALU_DEP_2) | instskip(NEXT) | instid1(VALU_DEP_2)
	v_cndmask_b32_e64 v11, 0, 0xffffffe0, s0
	v_mad_nc_u64_u32 v[24:25], 0xf534ddc0, v16, v[24:25]
	s_delay_alu instid0(VALU_DEP_2) | instskip(NEXT) | instid1(VALU_DEP_1)
	v_dual_mov_b32 v27, v17 :: v_dual_add_nc_u32 v9, v11, v9
	v_cmp_lt_u32_e64 s1, 31, v9
	s_delay_alu instid0(VALU_DEP_3) | instskip(NEXT) | instid1(VALU_DEP_2)
	v_mov_b32_e32 v26, v25
	v_cndmask_b32_e64 v11, 0, 0xffffffe0, s1
	s_delay_alu instid0(VALU_DEP_2) | instskip(NEXT) | instid1(VALU_DEP_2)
	v_mad_nc_u64_u32 v[26:27], 0xfc2757d1, v16, v[26:27]
	v_dual_add_nc_u32 v9, v11, v9 :: v_dual_cndmask_b32 v11, v24, v20, vcc_lo
	s_delay_alu instid0(VALU_DEP_1) | instskip(NEXT) | instid1(VALU_DEP_3)
	v_cndmask_b32_e64 v8, v11, v8, s0
	v_dual_mov_b32 v28, v27 :: v_dual_cndmask_b32 v25, v26, v22
	s_delay_alu instid0(VALU_DEP_1) | instskip(NEXT) | instid1(VALU_DEP_1)
	v_mad_nc_u64_u32 v[28:29], 0x4e441529, v16, v[28:29]
	v_mov_b32_e32 v30, v29
	s_delay_alu instid0(VALU_DEP_1) | instskip(NEXT) | instid1(VALU_DEP_3)
	v_mad_nc_u64_u32 v[30:31], 0xa2f9836e, v16, v[30:31]
	v_dual_cndmask_b32 v16, v28, v24, vcc_lo :: v_dual_cndmask_b32 v24, v25, v11, s0
	s_delay_alu instid0(VALU_DEP_2) | instskip(SKIP_1) | instid1(VALU_DEP_2)
	v_dual_cndmask_b32 v21, v30, v26, vcc_lo :: v_dual_cndmask_b32 v23, v31, v28, vcc_lo
	v_cmp_eq_u32_e32 vcc_lo, 0, v9
	v_dual_cndmask_b32 v20, v21, v16, s0 :: v_dual_cndmask_b32 v21, v23, v21, s0
	v_cndmask_b32_e64 v16, v16, v25, s0
	s_delay_alu instid0(VALU_DEP_2) | instskip(NEXT) | instid1(VALU_DEP_2)
	v_dual_sub_nc_u32 v23, 32, v9 :: v_dual_cndmask_b32 v21, v21, v20, s1
	v_cndmask_b32_e64 v20, v20, v16, s1
	v_cndmask_b32_e64 v16, v16, v24, s1
	s_delay_alu instid0(VALU_DEP_2) | instskip(NEXT) | instid1(VALU_DEP_1)
	v_alignbit_b32 v25, v21, v20, v23
	v_cndmask_b32_e32 v9, v25, v21, vcc_lo
	s_delay_alu instid0(VALU_DEP_3) | instskip(SKIP_1) | instid1(VALU_DEP_2)
	v_alignbit_b32 v22, v20, v16, v23
	v_cndmask_b32_e64 v8, v24, v8, s1
	v_cndmask_b32_e32 v11, v22, v20, vcc_lo
	s_delay_alu instid0(VALU_DEP_4) | instskip(NEXT) | instid1(VALU_DEP_1)
	v_bfe_u32 v20, v9, 29, 1
	v_sub_nc_u32_e32 v22, 0, v20
	s_delay_alu instid0(VALU_DEP_3) | instskip(NEXT) | instid1(VALU_DEP_1)
	v_alignbit_b32 v21, v9, v11, 30
	v_xor_b32_e32 v21, v21, v22
	v_alignbit_b32 v23, v16, v8, v23
	s_delay_alu instid0(VALU_DEP_1) | instskip(NEXT) | instid1(VALU_DEP_3)
	v_cndmask_b32_e32 v16, v23, v16, vcc_lo
	v_clz_i32_u32_e32 v23, v21
	s_delay_alu instid0(VALU_DEP_2) | instskip(NEXT) | instid1(VALU_DEP_2)
	v_alignbit_b32 v8, v16, v8, 30
	v_min_u32_e32 v23, 32, v23
	s_delay_alu instid0(VALU_DEP_2) | instskip(SKIP_1) | instid1(VALU_DEP_3)
	v_xor_b32_e32 v8, v8, v22
	v_alignbit_b32 v11, v11, v16, 30
	v_dual_sub_nc_u32 v16, 31, v23 :: v_dual_lshlrev_b32 v24, 23, v23
	s_delay_alu instid0(VALU_DEP_2) | instskip(SKIP_1) | instid1(VALU_DEP_2)
	v_dual_lshrrev_b32 v22, 29, v9 :: v_dual_bitop2_b32 v11, v11, v22 bitop3:0x14
	v_lshrrev_b32_e32 v9, 30, v9
	v_alignbit_b32 v21, v21, v11, v16
	v_alignbit_b32 v8, v11, v8, v16
	s_delay_alu instid0(VALU_DEP_3) | instskip(NEXT) | instid1(VALU_DEP_2)
	v_dual_lshlrev_b32 v11, 31, v22 :: v_dual_add_nc_u32 v9, v20, v9
	v_alignbit_b32 v16, v21, v8, 9
	s_delay_alu instid0(VALU_DEP_2) | instskip(SKIP_1) | instid1(VALU_DEP_3)
	v_dual_lshrrev_b32 v21, 9, v21 :: v_dual_bitop2_b32 v22, 0.5, v11 bitop3:0x54
	v_or_b32_e32 v11, 0x33000000, v11
	v_clz_i32_u32_e32 v25, v16
	s_delay_alu instid0(VALU_DEP_3) | instskip(NEXT) | instid1(VALU_DEP_2)
	v_sub_nc_u32_e32 v22, v22, v24
	v_min_u32_e32 v24, 32, v25
	s_delay_alu instid0(VALU_DEP_1) | instskip(NEXT) | instid1(VALU_DEP_3)
	v_add_lshl_u32 v23, v24, v23, 23
	v_or_b32_e32 v21, v21, v22
	v_not_b32_e32 v22, v24
	s_delay_alu instid0(VALU_DEP_3) | instskip(NEXT) | instid1(VALU_DEP_3)
	v_sub_nc_u32_e32 v11, v11, v23
	v_mul_f32_e32 v25, 0x3fc90fda, v21
	s_delay_alu instid0(VALU_DEP_3) | instskip(NEXT) | instid1(VALU_DEP_2)
	v_alignbit_b32 v8, v16, v8, v22
	v_fma_f32 v16, 0x3fc90fda, v21, -v25
	s_delay_alu instid0(VALU_DEP_2) | instskip(NEXT) | instid1(VALU_DEP_2)
	v_lshrrev_b32_e32 v8, 9, v8
	v_fmac_f32_e32 v16, 0x33a22168, v21
	s_delay_alu instid0(VALU_DEP_2) | instskip(NEXT) | instid1(VALU_DEP_1)
	v_or_b32_e32 v8, v11, v8
	v_fmac_f32_e32 v16, 0x3fc90fda, v8
	s_delay_alu instid0(VALU_DEP_1)
	v_add_f32_e32 v8, v25, v16
	s_and_not1_saveexec_b32 s0, s18
	s_branch .LBB138_260
.LBB138_259:                            ;   in Loop: Header=BB138_201 Depth=1
	s_and_not1_saveexec_b32 s0, s18
.LBB138_260:                            ;   in Loop: Header=BB138_201 Depth=1
	v_mul_f32_e64 v8, 0x3f22f983, |v13|
	s_delay_alu instid0(VALU_DEP_1) | instskip(NEXT) | instid1(VALU_DEP_1)
	v_rndne_f32_e32 v9, v8
	v_fma_f32 v8, 0xbfc90fda, v9, |v13|
	s_delay_alu instid0(VALU_DEP_1) | instskip(NEXT) | instid1(VALU_DEP_1)
	v_fmac_f32_e32 v8, 0xb3a22168, v9
	v_fmac_f32_e32 v8, 0xa7c234c4, v9
	v_cvt_i32_f32_e32 v9, v9
; %bb.261:                              ;   in Loop: Header=BB138_201 Depth=1
	s_or_b32 exec_lo, exec_lo, s0
                                        ; implicit-def: $vgpr16
                                        ; implicit-def: $vgpr11
	s_and_saveexec_b32 s0, s17
	s_delay_alu instid0(SALU_CYCLE_1)
	s_xor_b32 s17, exec_lo, s0
	s_cbranch_execz .LBB138_263
; %bb.262:                              ;   in Loop: Header=BB138_201 Depth=1
	v_and_or_b32 v16, v10, s8, 0x800000
	v_dual_lshrrev_b32 v11, 23, v10 :: v_dual_mov_b32 v31, v17
	s_delay_alu instid0(VALU_DEP_2) | instskip(SKIP_1) | instid1(VALU_DEP_3)
	v_mul_u64_e32 v[20:21], s[4:5], v[16:17]
	v_mov_b32_e32 v23, v17
	v_add_nc_u32_e32 v11, 0xffffff88, v11
	s_delay_alu instid0(VALU_DEP_1) | instskip(NEXT) | instid1(VALU_DEP_4)
	v_cmp_lt_u32_e32 vcc_lo, 63, v11
	v_mov_b32_e32 v22, v21
	v_cndmask_b32_e64 v21, 0, 0xffffffc0, vcc_lo
	s_delay_alu instid0(VALU_DEP_2) | instskip(NEXT) | instid1(VALU_DEP_1)
	v_mad_nc_u64_u32 v[22:23], 0x3c439041, v16, v[22:23]
	v_dual_mov_b32 v25, v17 :: v_dual_mov_b32 v24, v23
	s_delay_alu instid0(VALU_DEP_1) | instskip(NEXT) | instid1(VALU_DEP_1)
	v_mad_nc_u64_u32 v[24:25], 0xdb629599, v16, v[24:25]
	v_dual_mov_b32 v27, v17 :: v_dual_mov_b32 v26, v25
	s_delay_alu instid0(VALU_DEP_1) | instskip(NEXT) | instid1(VALU_DEP_1)
	;; [unrolled: 3-line block ×3, first 2 shown]
	v_mad_nc_u64_u32 v[28:29], 0xfc2757d1, v16, v[28:29]
	v_dual_mov_b32 v30, v29 :: v_dual_cndmask_b32 v27, v28, v24
	s_delay_alu instid0(VALU_DEP_1) | instskip(SKIP_1) | instid1(VALU_DEP_2)
	v_mad_nc_u64_u32 v[30:31], 0x4e441529, v16, v[30:31]
	v_add_nc_u32_e32 v11, v21, v11
	v_dual_mov_b32 v33, v17 :: v_dual_mov_b32 v32, v31
	s_delay_alu instid0(VALU_DEP_2) | instskip(NEXT) | instid1(VALU_DEP_1)
	v_cmp_lt_u32_e64 s0, 31, v11
	v_cndmask_b32_e64 v21, 0, 0xffffffe0, s0
	s_delay_alu instid0(VALU_DEP_1) | instskip(NEXT) | instid1(VALU_DEP_4)
	v_dual_add_nc_u32 v11, v21, v11 :: v_dual_cndmask_b32 v21, v30, v26, vcc_lo
	v_mad_nc_u64_u32 v[32:33], 0xa2f9836e, v16, v[32:33]
	s_delay_alu instid0(VALU_DEP_1) | instskip(NEXT) | instid1(VALU_DEP_3)
	v_cndmask_b32_e32 v23, v32, v28, vcc_lo
	v_cmp_lt_u32_e64 s1, 31, v11
	s_delay_alu instid0(VALU_DEP_3) | instskip(NEXT) | instid1(VALU_DEP_2)
	v_cndmask_b32_e32 v25, v33, v30, vcc_lo
	v_cndmask_b32_e64 v16, 0, 0xffffffe0, s1
	s_delay_alu instid0(VALU_DEP_1) | instskip(NEXT) | instid1(VALU_DEP_3)
	v_dual_cndmask_b32 v16, v26, v22 :: v_dual_add_nc_u32 v11, v16, v11
	v_dual_cndmask_b32 v22, v23, v21, s0 :: v_dual_cndmask_b32 v23, v25, v23, s0
	v_cndmask_b32_e64 v21, v21, v27, s0
	s_delay_alu instid0(VALU_DEP_3) | instskip(NEXT) | instid1(VALU_DEP_2)
	v_dual_sub_nc_u32 v25, 32, v11 :: v_dual_cndmask_b32 v26, v27, v16, s0
	v_dual_cndmask_b32 v23, v23, v22, s1 :: v_dual_cndmask_b32 v22, v22, v21, s1
	s_delay_alu instid0(VALU_DEP_2) | instskip(NEXT) | instid1(VALU_DEP_2)
	v_cndmask_b32_e64 v21, v21, v26, s1
	v_alignbit_b32 v27, v23, v22, v25
	v_cndmask_b32_e32 v20, v24, v20, vcc_lo
	v_cmp_eq_u32_e32 vcc_lo, 0, v11
	s_delay_alu instid0(VALU_DEP_4) | instskip(NEXT) | instid1(VALU_DEP_3)
	v_alignbit_b32 v24, v22, v21, v25
	v_dual_cndmask_b32 v11, v27, v23, vcc_lo :: v_dual_cndmask_b32 v16, v16, v20, s0
	s_delay_alu instid0(VALU_DEP_2) | instskip(NEXT) | instid1(VALU_DEP_2)
	v_cndmask_b32_e32 v20, v24, v22, vcc_lo
	v_bfe_u32 v22, v11, 29, 1
	s_delay_alu instid0(VALU_DEP_1) | instskip(NEXT) | instid1(VALU_DEP_3)
	v_dual_sub_nc_u32 v24, 0, v22 :: v_dual_cndmask_b32 v16, v26, v16, s1
	v_alignbit_b32 v23, v11, v20, 30
	s_delay_alu instid0(VALU_DEP_2) | instskip(NEXT) | instid1(VALU_DEP_1)
	v_alignbit_b32 v25, v21, v16, v25
	v_dual_cndmask_b32 v21, v25, v21, vcc_lo :: v_dual_bitop2_b32 v23, v23, v24 bitop3:0x14
	s_delay_alu instid0(VALU_DEP_1) | instskip(NEXT) | instid1(VALU_DEP_2)
	v_clz_i32_u32_e32 v25, v23
	v_alignbit_b32 v20, v20, v21, 30
	s_delay_alu instid0(VALU_DEP_2) | instskip(SKIP_1) | instid1(VALU_DEP_2)
	v_min_u32_e32 v25, 32, v25
	v_alignbit_b32 v16, v21, v16, 30
	v_dual_sub_nc_u32 v21, 31, v25 :: v_dual_bitop2_b32 v20, v20, v24 bitop3:0x14
	s_delay_alu instid0(VALU_DEP_2) | instskip(SKIP_1) | instid1(VALU_DEP_3)
	v_dual_lshrrev_b32 v24, 29, v11 :: v_dual_bitop2_b32 v16, v16, v24 bitop3:0x14
	v_lshlrev_b32_e32 v26, 23, v25
	v_alignbit_b32 v23, v23, v20, v21
	s_delay_alu instid0(VALU_DEP_3) | instskip(NEXT) | instid1(VALU_DEP_4)
	v_alignbit_b32 v16, v20, v16, v21
	v_lshlrev_b32_e32 v20, 31, v24
	s_delay_alu instid0(VALU_DEP_2) | instskip(NEXT) | instid1(VALU_DEP_2)
	v_alignbit_b32 v21, v23, v16, 9
	v_dual_lshrrev_b32 v23, 9, v23 :: v_dual_bitop2_b32 v24, 0.5, v20 bitop3:0x54
	v_or_b32_e32 v20, 0x33000000, v20
	s_delay_alu instid0(VALU_DEP_3) | instskip(NEXT) | instid1(VALU_DEP_3)
	v_clz_i32_u32_e32 v27, v21
	v_sub_nc_u32_e32 v24, v24, v26
	s_delay_alu instid0(VALU_DEP_2) | instskip(NEXT) | instid1(VALU_DEP_1)
	v_min_u32_e32 v26, 32, v27
	v_add_lshl_u32 v25, v26, v25, 23
	s_delay_alu instid0(VALU_DEP_3) | instskip(SKIP_1) | instid1(VALU_DEP_2)
	v_or_b32_e32 v23, v23, v24
	v_not_b32_e32 v24, v26
	v_dual_mul_f32 v27, 0x3fc90fda, v23 :: v_dual_sub_nc_u32 v20, v20, v25
	s_delay_alu instid0(VALU_DEP_2) | instskip(NEXT) | instid1(VALU_DEP_2)
	v_alignbit_b32 v16, v21, v16, v24
	v_fma_f32 v21, 0x3fc90fda, v23, -v27
	s_delay_alu instid0(VALU_DEP_1) | instskip(NEXT) | instid1(VALU_DEP_1)
	v_dual_fmac_f32 v21, 0x33a22168, v23 :: v_dual_lshrrev_b32 v16, 9, v16
	v_or_b32_e32 v16, v20, v16
	s_delay_alu instid0(VALU_DEP_1) | instskip(NEXT) | instid1(VALU_DEP_1)
	v_dual_fmac_f32 v21, 0x3fc90fda, v16 :: v_dual_lshrrev_b32 v16, 30, v11
	v_dual_add_f32 v11, v27, v21 :: v_dual_add_nc_u32 v16, v22, v16
	s_and_not1_saveexec_b32 s0, s17
	s_cbranch_execnz .LBB138_264
	s_branch .LBB138_265
.LBB138_263:                            ;   in Loop: Header=BB138_201 Depth=1
	s_and_not1_saveexec_b32 s0, s17
.LBB138_264:                            ;   in Loop: Header=BB138_201 Depth=1
	v_mul_f32_e64 v11, 0x3f22f983, |v13|
	s_delay_alu instid0(VALU_DEP_1) | instskip(NEXT) | instid1(VALU_DEP_1)
	v_rndne_f32_e32 v16, v11
	v_fma_f32 v11, 0xbfc90fda, v16, |v13|
	s_delay_alu instid0(VALU_DEP_1) | instskip(NEXT) | instid1(VALU_DEP_1)
	v_fmac_f32_e32 v11, 0xb3a22168, v16
	v_fmac_f32_e32 v11, 0xa7c234c4, v16
	v_cvt_i32_f32_e32 v16, v16
.LBB138_265:                            ;   in Loop: Header=BB138_201 Depth=1
	s_or_b32 exec_lo, exec_lo, s0
	v_mul_f32_e32 v23, v8, v8
	v_add_f32_e32 v12, 0xc322e3bc, v12
	s_delay_alu instid0(VALU_DEP_3) | instskip(NEXT) | instid1(VALU_DEP_3)
	v_dual_lshlrev_b32 v16, 30, v16 :: v_dual_bitop2_b32 v24, 1, v16 bitop3:0x40
	v_fmaak_f32 v25, s10, v23, 0xbab64f3b
	v_fmaak_f32 v26, s9, v23, 0x3c0881c4
	s_delay_alu instid0(VALU_DEP_3) | instskip(NEXT) | instid1(VALU_DEP_3)
	v_and_or_b32 v10, 0x80000000, v16, v10
	v_fmaak_f32 v16, v23, v25, 0x3d2aabf7
	s_delay_alu instid0(VALU_DEP_3) | instskip(NEXT) | instid1(VALU_DEP_1)
	v_fmaak_f32 v25, v23, v26, 0xbe2aaa9d
	v_dual_mul_f32 v20, 0x3fb8aa3b, v12 :: v_dual_mul_f32 v25, v23, v25
	s_delay_alu instid0(VALU_DEP_1) | instskip(SKIP_1) | instid1(VALU_DEP_2)
	v_fma_f32 v21, 0x3fb8aa3b, v12, -v20
	v_rndne_f32_e32 v22, v20
	v_dual_fmac_f32 v8, v8, v25 :: v_dual_fmac_f32 v21, 0x32a5705f, v12
	s_delay_alu instid0(VALU_DEP_2) | instskip(NEXT) | instid1(VALU_DEP_1)
	v_sub_f32_e32 v20, v20, v22
	v_add_f32_e32 v20, v20, v21
	v_cvt_i32_f32_e32 v21, v22
	v_dual_lshlrev_b32 v22, 30, v9 :: v_dual_bitop2_b32 v9, 1, v9 bitop3:0x40
	s_delay_alu instid0(VALU_DEP_3) | instskip(SKIP_1) | instid1(TRANS32_DEP_1)
	v_exp_f32_e32 v20, v20
	v_nop
	v_ldexp_f32 v20, v20, v21
	v_mul_f32_e32 v21, v11, v11
	v_cmp_ngt_f32_e32 vcc_lo, 0xc2ce8ed0, v12
	s_delay_alu instid0(VALU_DEP_2) | instskip(NEXT) | instid1(VALU_DEP_4)
	v_fmaak_f32 v27, s9, v21, 0x3c0881c4
	v_cndmask_b32_e32 v20, 0, v20, vcc_lo
	v_cmp_nlt_f32_e32 vcc_lo, 0x42b17218, v12
	s_delay_alu instid0(VALU_DEP_3) | instskip(NEXT) | instid1(VALU_DEP_3)
	v_fmaak_f32 v27, v21, v27, 0xbe2aaa9d
	v_cndmask_b32_e32 v12, 0x7f800000, v20, vcc_lo
	v_fmaak_f32 v20, s10, v21, 0xbab64f3b
	v_cmp_eq_u32_e32 vcc_lo, 0, v9
	s_delay_alu instid0(VALU_DEP_3) | instskip(NEXT) | instid1(VALU_DEP_1)
	v_dual_mul_f32 v27, v21, v27 :: v_dual_lshrrev_b32 v26, 23, v12
	v_dual_fmaak_f32 v20, v21, v20, 0x3d2aabf7 :: v_dual_fmac_f32 v11, v11, v27
	s_delay_alu instid0(VALU_DEP_2) | instskip(SKIP_1) | instid1(VALU_DEP_3)
	v_subrev_nc_u32_e32 v26, 19, v26
	v_fmaak_f32 v16, v23, v16, 0xbf000004
	v_fmaak_f32 v20, v21, v20, 0xbf000004
	s_delay_alu instid0(VALU_DEP_2) | instskip(NEXT) | instid1(VALU_DEP_4)
	v_fma_f32 v16, v23, v16, 1.0
	v_lshrrev_b16 v23, 15, v26
	s_delay_alu instid0(VALU_DEP_3) | instskip(NEXT) | instid1(VALU_DEP_3)
	v_fma_f32 v20, v21, v20, 1.0
	v_cndmask_b32_e64 v8, -v8, v16, vcc_lo
	v_cmp_eq_u32_e32 vcc_lo, 0, v24
	s_delay_alu instid0(VALU_DEP_4) | instskip(NEXT) | instid1(VALU_DEP_3)
	v_add_nc_u16 v9, v26, v23
	v_bitop3_b32 v8, v22, v8, 0x80000000 bitop3:0x6c
	v_cndmask_b32_e32 v11, v20, v11, vcc_lo
	s_delay_alu instid0(VALU_DEP_3) | instskip(SKIP_1) | instid1(VALU_DEP_3)
	v_ashrrev_i16 v9, 1, v9
	v_cmp_class_f32_e64 vcc_lo, v13, 0x1f8
	v_xor3_b32 v10, v10, v11, v13
	v_and_or_b32 v11, 0x7fffff, v12, s11
	v_cndmask_b32_e32 v8, 0x7fc00000, v8, vcc_lo
	v_bfe_i32 v9, v9, 0, 16
	s_delay_alu instid0(VALU_DEP_4) | instskip(NEXT) | instid1(VALU_DEP_3)
	v_cndmask_b32_e32 v10, 0x7fc00000, v10, vcc_lo
	v_mul_f32_e32 v8, v8, v11
	s_delay_alu instid0(VALU_DEP_3) | instskip(SKIP_1) | instid1(VALU_DEP_2)
	v_lshl_add_u32 v12, v9, 23, 1.0
	v_sub_nc_u32_e32 v9, v26, v9
	v_dual_mul_f32 v10, v10, v11 :: v_dual_mul_f32 v8, v8, v12
	s_delay_alu instid0(VALU_DEP_2) | instskip(NEXT) | instid1(VALU_DEP_1)
	v_lshl_add_u32 v9, v9, 23, 1.0
	v_dual_mul_f32 v10, v10, v12 :: v_dual_mul_f32 v8, v8, v9
	s_delay_alu instid0(VALU_DEP_1)
	v_mul_f32_e32 v9, v10, v9
.LBB138_266:                            ;   in Loop: Header=BB138_201 Depth=1
	s_or_b32 exec_lo, exec_lo, s16
                                        ; implicit-def: $vgpr10_vgpr11_vgpr12_vgpr13
                                        ; implicit-def: $vgpr11
.LBB138_267:                            ;   in Loop: Header=BB138_201 Depth=1
	s_and_not1_saveexec_b32 s0, s15
	s_cbranch_execz .LBB138_273
; %bb.268:                              ;   in Loop: Header=BB138_201 Depth=1
	v_sub_f32_e32 v9, v13, v13
	s_mov_b32 s1, exec_lo
	v_cmpx_ne_u32_e32 0x7f800000, v11
	s_xor_b32 s1, exec_lo, s1
; %bb.269:                              ;   in Loop: Header=BB138_201 Depth=1
                                        ; implicit-def: $vgpr10_vgpr11_vgpr12_vgpr13
; %bb.270:                              ;   in Loop: Header=BB138_201 Depth=1
	s_delay_alu instid0(SALU_CYCLE_1)
	s_or_saveexec_b32 s1, s1
	v_mov_b32_e32 v8, v9
	s_xor_b32 exec_lo, exec_lo, s1
; %bb.271:                              ;   in Loop: Header=BB138_201 Depth=1
	v_cmp_lt_i32_e32 vcc_lo, -1, v12
	v_dual_cndmask_b32 v8, 0, v12 :: v_dual_cndmask_b32 v9, 0, v9
; %bb.272:                              ;   in Loop: Header=BB138_201 Depth=1
	s_or_b32 exec_lo, exec_lo, s1
.LBB138_273:                            ;   in Loop: Header=BB138_201 Depth=1
	s_delay_alu instid0(SALU_CYCLE_1)
	s_or_b32 exec_lo, exec_lo, s0
                                        ; implicit-def: $vgpr10_vgpr11_vgpr12_vgpr13
                                        ; implicit-def: $vgpr10
.LBB138_274:                            ;   in Loop: Header=BB138_201 Depth=1
	s_and_not1_saveexec_b32 s14, s14
	s_cbranch_execz .LBB138_284
; %bb.275:                              ;   in Loop: Header=BB138_201 Depth=1
	v_cmp_ngt_f32_e64 s15, 0x48000000, |v13|
                                        ; implicit-def: $vgpr9
                                        ; implicit-def: $vgpr8
	s_and_saveexec_b32 s0, s15
	s_delay_alu instid0(SALU_CYCLE_1)
	s_xor_b32 s16, exec_lo, s0
	s_cbranch_execz .LBB138_277
; %bb.276:                              ;   in Loop: Header=BB138_201 Depth=1
	v_and_or_b32 v16, v10, s8, 0x800000
	v_dual_mov_b32 v29, v17 :: v_dual_mov_b32 v31, v17
	s_delay_alu instid0(VALU_DEP_2) | instskip(NEXT) | instid1(VALU_DEP_1)
	v_mul_u64_e32 v[8:9], s[4:5], v[16:17]
	v_dual_mov_b32 v21, v17 :: v_dual_mov_b32 v20, v9
	v_lshrrev_b32_e32 v9, 23, v10
	s_delay_alu instid0(VALU_DEP_2) | instskip(SKIP_1) | instid1(VALU_DEP_3)
	v_mad_nc_u64_u32 v[20:21], 0x3c439041, v16, v[20:21]
	v_mov_b32_e32 v23, v17
	v_add_nc_u32_e32 v9, 0xffffff88, v9
	s_delay_alu instid0(VALU_DEP_1) | instskip(NEXT) | instid1(VALU_DEP_4)
	v_cmp_lt_u32_e32 vcc_lo, 63, v9
	v_mov_b32_e32 v22, v21
	v_cndmask_b32_e64 v11, 0, 0xffffffc0, vcc_lo
	s_delay_alu instid0(VALU_DEP_2) | instskip(NEXT) | instid1(VALU_DEP_2)
	v_mad_nc_u64_u32 v[22:23], 0xdb629599, v16, v[22:23]
	v_dual_mov_b32 v25, v17 :: v_dual_add_nc_u32 v9, v11, v9
	s_delay_alu instid0(VALU_DEP_1) | instskip(NEXT) | instid1(VALU_DEP_3)
	v_cmp_lt_u32_e64 s0, 31, v9
	v_dual_mov_b32 v24, v23 :: v_dual_cndmask_b32 v8, v22, v8, vcc_lo
	s_delay_alu instid0(VALU_DEP_2) | instskip(NEXT) | instid1(VALU_DEP_2)
	v_cndmask_b32_e64 v11, 0, 0xffffffe0, s0
	v_mad_nc_u64_u32 v[24:25], 0xf534ddc0, v16, v[24:25]
	s_delay_alu instid0(VALU_DEP_2) | instskip(NEXT) | instid1(VALU_DEP_1)
	v_dual_mov_b32 v27, v17 :: v_dual_add_nc_u32 v9, v11, v9
	v_cmp_lt_u32_e64 s1, 31, v9
	s_delay_alu instid0(VALU_DEP_3) | instskip(NEXT) | instid1(VALU_DEP_2)
	v_mov_b32_e32 v26, v25
	v_cndmask_b32_e64 v11, 0, 0xffffffe0, s1
	s_delay_alu instid0(VALU_DEP_2) | instskip(NEXT) | instid1(VALU_DEP_2)
	v_mad_nc_u64_u32 v[26:27], 0xfc2757d1, v16, v[26:27]
	v_dual_add_nc_u32 v9, v11, v9 :: v_dual_cndmask_b32 v11, v24, v20, vcc_lo
	s_delay_alu instid0(VALU_DEP_1) | instskip(NEXT) | instid1(VALU_DEP_3)
	v_cndmask_b32_e64 v8, v11, v8, s0
	v_dual_mov_b32 v28, v27 :: v_dual_cndmask_b32 v23, v26, v22
	s_delay_alu instid0(VALU_DEP_1) | instskip(NEXT) | instid1(VALU_DEP_1)
	v_mad_nc_u64_u32 v[28:29], 0x4e441529, v16, v[28:29]
	v_mov_b32_e32 v30, v29
	s_delay_alu instid0(VALU_DEP_1) | instskip(NEXT) | instid1(VALU_DEP_1)
	v_mad_nc_u64_u32 v[30:31], 0xa2f9836e, v16, v[30:31]
	v_dual_cndmask_b32 v12, v28, v24, vcc_lo :: v_dual_cndmask_b32 v16, v30, v26, vcc_lo
	s_delay_alu instid0(VALU_DEP_2) | instskip(SKIP_1) | instid1(VALU_DEP_3)
	v_cndmask_b32_e32 v21, v31, v28, vcc_lo
	v_cmp_eq_u32_e32 vcc_lo, 0, v9
	v_cndmask_b32_e64 v20, v16, v12, s0
	s_delay_alu instid0(VALU_DEP_3) | instskip(SKIP_1) | instid1(VALU_DEP_2)
	v_dual_cndmask_b32 v16, v21, v16, s0 :: v_dual_cndmask_b32 v12, v12, v23, s0
	v_dual_sub_nc_u32 v21, 32, v9 :: v_dual_cndmask_b32 v23, v23, v11, s0
	v_cndmask_b32_e64 v16, v16, v20, s1
	s_delay_alu instid0(VALU_DEP_3) | instskip(NEXT) | instid1(VALU_DEP_3)
	v_cndmask_b32_e64 v20, v20, v12, s1
	v_cndmask_b32_e64 v12, v12, v23, s1
	s_delay_alu instid0(VALU_DEP_2) | instskip(NEXT) | instid1(VALU_DEP_2)
	v_alignbit_b32 v24, v16, v20, v21
	v_alignbit_b32 v22, v20, v12, v21
	s_delay_alu instid0(VALU_DEP_2) | instskip(SKIP_1) | instid1(VALU_DEP_2)
	v_cndmask_b32_e32 v9, v24, v16, vcc_lo
	v_cndmask_b32_e64 v8, v23, v8, s1
	v_bfe_u32 v16, v9, 29, 1
	s_delay_alu instid0(VALU_DEP_2) | instskip(NEXT) | instid1(VALU_DEP_1)
	v_alignbit_b32 v21, v12, v8, v21
	v_cndmask_b32_e32 v12, v21, v12, vcc_lo
	v_cndmask_b32_e32 v11, v22, v20, vcc_lo
	s_delay_alu instid0(VALU_DEP_4) | instskip(NEXT) | instid1(VALU_DEP_3)
	v_sub_nc_u32_e32 v22, 0, v16
	v_alignbit_b32 v8, v12, v8, 30
	s_delay_alu instid0(VALU_DEP_3) | instskip(SKIP_1) | instid1(VALU_DEP_3)
	v_alignbit_b32 v20, v9, v11, 30
	v_alignbit_b32 v11, v11, v12, 30
	v_xor_b32_e32 v8, v8, v22
	s_delay_alu instid0(VALU_DEP_3) | instskip(NEXT) | instid1(VALU_DEP_1)
	v_xor_b32_e32 v20, v20, v22
	v_clz_i32_u32_e32 v21, v20
	s_delay_alu instid0(VALU_DEP_1) | instskip(SKIP_2) | instid1(VALU_DEP_3)
	v_min_u32_e32 v21, 32, v21
	v_dual_lshrrev_b32 v22, 29, v9 :: v_dual_bitop2_b32 v11, v11, v22 bitop3:0x14
	v_lshrrev_b32_e32 v9, 30, v9
	v_dual_sub_nc_u32 v12, 31, v21 :: v_dual_lshlrev_b32 v23, 23, v21
	s_delay_alu instid0(VALU_DEP_2) | instskip(NEXT) | instid1(VALU_DEP_2)
	v_add_nc_u32_e32 v9, v16, v9
	v_alignbit_b32 v20, v20, v11, v12
	v_alignbit_b32 v8, v11, v8, v12
	v_lshlrev_b32_e32 v11, 31, v22
	s_delay_alu instid0(VALU_DEP_2) | instskip(NEXT) | instid1(VALU_DEP_2)
	v_alignbit_b32 v12, v20, v8, 9
	v_dual_lshrrev_b32 v20, 9, v20 :: v_dual_bitop2_b32 v22, 0.5, v11 bitop3:0x54
	v_or_b32_e32 v11, 0x33000000, v11
	s_delay_alu instid0(VALU_DEP_3) | instskip(NEXT) | instid1(VALU_DEP_3)
	v_clz_i32_u32_e32 v24, v12
	v_sub_nc_u32_e32 v22, v22, v23
	s_delay_alu instid0(VALU_DEP_2) | instskip(NEXT) | instid1(VALU_DEP_1)
	v_min_u32_e32 v23, 32, v24
	v_add_lshl_u32 v21, v23, v21, 23
	s_delay_alu instid0(VALU_DEP_1) | instskip(SKIP_1) | instid1(VALU_DEP_1)
	v_dual_sub_nc_u32 v11, v11, v21 :: v_dual_bitop2_b32 v20, v20, v22 bitop3:0x54
	v_not_b32_e32 v22, v23
	v_alignbit_b32 v8, v12, v8, v22
	s_delay_alu instid0(VALU_DEP_1) | instskip(NEXT) | instid1(VALU_DEP_4)
	v_lshrrev_b32_e32 v8, 9, v8
	v_mul_f32_e32 v24, 0x3fc90fda, v20
	s_delay_alu instid0(VALU_DEP_2) | instskip(NEXT) | instid1(VALU_DEP_2)
	v_or_b32_e32 v8, v11, v8
	v_fma_f32 v12, 0x3fc90fda, v20, -v24
	s_delay_alu instid0(VALU_DEP_1) | instskip(NEXT) | instid1(VALU_DEP_1)
	v_fmac_f32_e32 v12, 0x33a22168, v20
	v_fmac_f32_e32 v12, 0x3fc90fda, v8
	s_delay_alu instid0(VALU_DEP_1)
	v_add_f32_e32 v8, v24, v12
	s_and_not1_saveexec_b32 s0, s16
	s_branch .LBB138_278
.LBB138_277:                            ;   in Loop: Header=BB138_201 Depth=1
	s_and_not1_saveexec_b32 s0, s16
.LBB138_278:                            ;   in Loop: Header=BB138_201 Depth=1
	v_mul_f32_e64 v8, 0x3f22f983, |v13|
	s_delay_alu instid0(VALU_DEP_1) | instskip(NEXT) | instid1(VALU_DEP_1)
	v_rndne_f32_e32 v9, v8
	v_fma_f32 v8, 0xbfc90fda, v9, |v13|
	s_delay_alu instid0(VALU_DEP_1) | instskip(NEXT) | instid1(VALU_DEP_1)
	v_fmac_f32_e32 v8, 0xb3a22168, v9
	v_fmac_f32_e32 v8, 0xa7c234c4, v9
	v_cvt_i32_f32_e32 v9, v9
; %bb.279:                              ;   in Loop: Header=BB138_201 Depth=1
	s_or_b32 exec_lo, exec_lo, s0
                                        ; implicit-def: $vgpr12
                                        ; implicit-def: $vgpr11
	s_and_saveexec_b32 s0, s15
	s_delay_alu instid0(SALU_CYCLE_1)
	s_xor_b32 s15, exec_lo, s0
	s_cbranch_execz .LBB138_281
; %bb.280:                              ;   in Loop: Header=BB138_201 Depth=1
	v_and_or_b32 v16, v10, s8, 0x800000
	v_dual_lshrrev_b32 v11, 23, v10 :: v_dual_mov_b32 v31, v17
	v_mov_b32_e32 v33, v17
	s_delay_alu instid0(VALU_DEP_3) | instskip(SKIP_1) | instid1(VALU_DEP_4)
	v_mul_u64_e32 v[20:21], s[4:5], v[16:17]
	v_mov_b32_e32 v23, v17
	v_add_nc_u32_e32 v11, 0xffffff88, v11
	s_delay_alu instid0(VALU_DEP_1) | instskip(SKIP_1) | instid1(VALU_DEP_1)
	v_cmp_lt_u32_e32 vcc_lo, 63, v11
	v_cndmask_b32_e64 v12, 0, 0xffffffc0, vcc_lo
	v_add_nc_u32_e32 v11, v12, v11
	s_delay_alu instid0(VALU_DEP_1) | instskip(NEXT) | instid1(VALU_DEP_1)
	v_cmp_lt_u32_e64 s0, 31, v11
	v_cndmask_b32_e64 v12, 0, 0xffffffe0, s0
	s_delay_alu instid0(VALU_DEP_1) | instskip(NEXT) | instid1(VALU_DEP_1)
	v_dual_mov_b32 v22, v21 :: v_dual_add_nc_u32 v11, v12, v11
	v_mad_nc_u64_u32 v[22:23], 0x3c439041, v16, v[22:23]
	v_mov_b32_e32 v25, v17
	s_delay_alu instid0(VALU_DEP_3) | instskip(NEXT) | instid1(VALU_DEP_1)
	v_cmp_lt_u32_e64 s1, 31, v11
	v_cndmask_b32_e64 v12, 0, 0xffffffe0, s1
	s_delay_alu instid0(VALU_DEP_4) | instskip(NEXT) | instid1(VALU_DEP_1)
	v_mov_b32_e32 v24, v23
	v_mad_nc_u64_u32 v[24:25], 0xdb629599, v16, v[24:25]
	s_delay_alu instid0(VALU_DEP_1) | instskip(NEXT) | instid1(VALU_DEP_2)
	v_dual_mov_b32 v27, v17 :: v_dual_mov_b32 v26, v25
	v_cndmask_b32_e32 v20, v24, v20, vcc_lo
	s_delay_alu instid0(VALU_DEP_2) | instskip(SKIP_1) | instid1(VALU_DEP_2)
	v_mad_nc_u64_u32 v[26:27], 0xf534ddc0, v16, v[26:27]
	v_dual_mov_b32 v29, v17 :: v_dual_add_nc_u32 v11, v12, v11
	v_dual_cndmask_b32 v12, v26, v22, vcc_lo :: v_dual_mov_b32 v28, v27
	s_delay_alu instid0(VALU_DEP_1) | instskip(NEXT) | instid1(VALU_DEP_1)
	v_mad_nc_u64_u32 v[28:29], 0xfc2757d1, v16, v[28:29]
	v_dual_mov_b32 v30, v29 :: v_dual_cndmask_b32 v25, v28, v24
	s_delay_alu instid0(VALU_DEP_1) | instskip(NEXT) | instid1(VALU_DEP_1)
	v_mad_nc_u64_u32 v[30:31], 0x4e441529, v16, v[30:31]
	v_mov_b32_e32 v32, v31
	s_delay_alu instid0(VALU_DEP_1) | instskip(NEXT) | instid1(VALU_DEP_1)
	v_mad_nc_u64_u32 v[32:33], 0xa2f9836e, v16, v[32:33]
	v_dual_cndmask_b32 v16, v30, v26 :: v_dual_cndmask_b32 v21, v32, v28
	s_delay_alu instid0(VALU_DEP_2) | instskip(SKIP_1) | instid1(VALU_DEP_2)
	v_cndmask_b32_e32 v23, v33, v30, vcc_lo
	v_cmp_eq_u32_e32 vcc_lo, 0, v11
	v_dual_cndmask_b32 v22, v21, v16, s0 :: v_dual_cndmask_b32 v21, v23, v21, s0
	v_dual_cndmask_b32 v16, v16, v25, s0 :: v_dual_sub_nc_u32 v23, 32, v11
	s_delay_alu instid0(VALU_DEP_1) | instskip(NEXT) | instid1(VALU_DEP_1)
	v_dual_cndmask_b32 v21, v21, v22, s1 :: v_dual_cndmask_b32 v22, v22, v16, s1
	v_alignbit_b32 v26, v21, v22, v23
	v_cndmask_b32_e64 v25, v25, v12, s0
	s_delay_alu instid0(VALU_DEP_2) | instskip(NEXT) | instid1(VALU_DEP_1)
	v_dual_cndmask_b32 v12, v12, v20, s0 :: v_dual_cndmask_b32 v11, v26, v21, vcc_lo
	v_dual_cndmask_b32 v16, v16, v25, s1 :: v_dual_cndmask_b32 v12, v25, v12, s1
	s_delay_alu instid0(VALU_DEP_2) | instskip(NEXT) | instid1(VALU_DEP_2)
	v_bfe_u32 v21, v11, 29, 1
	v_alignbit_b32 v24, v22, v16, v23
	s_delay_alu instid0(VALU_DEP_3) | instskip(NEXT) | instid1(VALU_DEP_2)
	v_alignbit_b32 v23, v16, v12, v23
	v_dual_cndmask_b32 v20, v24, v22, vcc_lo :: v_dual_sub_nc_u32 v24, 0, v21
	s_delay_alu instid0(VALU_DEP_2) | instskip(NEXT) | instid1(VALU_DEP_2)
	v_cndmask_b32_e32 v16, v23, v16, vcc_lo
	v_alignbit_b32 v22, v11, v20, 30
	s_delay_alu instid0(VALU_DEP_2) | instskip(NEXT) | instid1(VALU_DEP_2)
	v_alignbit_b32 v12, v16, v12, 30
	v_xor_b32_e32 v22, v22, v24
	v_alignbit_b32 v20, v20, v16, 30
	s_delay_alu instid0(VALU_DEP_3) | instskip(NEXT) | instid1(VALU_DEP_3)
	v_xor_b32_e32 v12, v12, v24
	v_clz_i32_u32_e32 v23, v22
	s_delay_alu instid0(VALU_DEP_1) | instskip(NEXT) | instid1(VALU_DEP_4)
	v_min_u32_e32 v23, 32, v23
	v_dual_lshrrev_b32 v24, 29, v11 :: v_dual_bitop2_b32 v16, v20, v24 bitop3:0x14
	s_delay_alu instid0(VALU_DEP_2) | instskip(NEXT) | instid1(VALU_DEP_1)
	v_dual_sub_nc_u32 v20, 31, v23 :: v_dual_lshlrev_b32 v25, 23, v23
	v_alignbit_b32 v22, v22, v16, v20
	v_alignbit_b32 v12, v16, v12, v20
	s_delay_alu instid0(VALU_DEP_4) | instskip(NEXT) | instid1(VALU_DEP_2)
	v_lshlrev_b32_e32 v16, 31, v24
	v_alignbit_b32 v20, v22, v12, 9
	s_delay_alu instid0(VALU_DEP_2) | instskip(SKIP_1) | instid1(VALU_DEP_3)
	v_dual_lshrrev_b32 v22, 9, v22 :: v_dual_bitop2_b32 v24, 0.5, v16 bitop3:0x54
	v_or_b32_e32 v16, 0x33000000, v16
	v_clz_i32_u32_e32 v26, v20
	s_delay_alu instid0(VALU_DEP_3) | instskip(NEXT) | instid1(VALU_DEP_2)
	v_sub_nc_u32_e32 v24, v24, v25
	v_min_u32_e32 v25, 32, v26
	s_delay_alu instid0(VALU_DEP_1) | instskip(NEXT) | instid1(VALU_DEP_3)
	v_add_lshl_u32 v23, v25, v23, 23
	v_or_b32_e32 v22, v22, v24
	v_not_b32_e32 v24, v25
	s_delay_alu instid0(VALU_DEP_3) | instskip(NEXT) | instid1(VALU_DEP_3)
	v_sub_nc_u32_e32 v16, v16, v23
	v_mul_f32_e32 v26, 0x3fc90fda, v22
	s_delay_alu instid0(VALU_DEP_3) | instskip(NEXT) | instid1(VALU_DEP_2)
	v_alignbit_b32 v12, v20, v12, v24
	v_fma_f32 v20, 0x3fc90fda, v22, -v26
	s_delay_alu instid0(VALU_DEP_2) | instskip(NEXT) | instid1(VALU_DEP_2)
	v_lshrrev_b32_e32 v12, 9, v12
	v_fmac_f32_e32 v20, 0x33a22168, v22
	s_delay_alu instid0(VALU_DEP_2) | instskip(NEXT) | instid1(VALU_DEP_1)
	v_or_b32_e32 v12, v16, v12
	v_fmac_f32_e32 v20, 0x3fc90fda, v12
	s_delay_alu instid0(VALU_DEP_1) | instskip(NEXT) | instid1(VALU_DEP_1)
	v_dual_add_f32 v11, v26, v20 :: v_dual_lshrrev_b32 v12, 30, v11
	v_add_nc_u32_e32 v12, v21, v12
	s_and_not1_saveexec_b32 s0, s15
	s_cbranch_execnz .LBB138_282
	s_branch .LBB138_283
.LBB138_281:                            ;   in Loop: Header=BB138_201 Depth=1
	s_and_not1_saveexec_b32 s0, s15
.LBB138_282:                            ;   in Loop: Header=BB138_201 Depth=1
	v_mul_f32_e64 v11, 0x3f22f983, |v13|
	s_delay_alu instid0(VALU_DEP_1) | instskip(NEXT) | instid1(VALU_DEP_1)
	v_rndne_f32_e32 v12, v11
	v_fma_f32 v11, 0xbfc90fda, v12, |v13|
	s_delay_alu instid0(VALU_DEP_1) | instskip(NEXT) | instid1(VALU_DEP_1)
	v_fmac_f32_e32 v11, 0xb3a22168, v12
	v_fmac_f32_e32 v11, 0xa7c234c4, v12
	v_cvt_i32_f32_e32 v12, v12
.LBB138_283:                            ;   in Loop: Header=BB138_201 Depth=1
	s_or_b32 exec_lo, exec_lo, s0
	s_delay_alu instid0(VALU_DEP_2) | instskip(SKIP_1) | instid1(VALU_DEP_3)
	v_dual_mul_f32 v16, v8, v8 :: v_dual_mul_f32 v20, v11, v11
	v_dual_lshlrev_b32 v9, 30, v9 :: v_dual_bitop2_b32 v21, 1, v9 bitop3:0x40
	v_and_b32_e32 v26, 1, v12
	s_delay_alu instid0(VALU_DEP_3) | instskip(NEXT) | instid1(VALU_DEP_4)
	v_fmaak_f32 v22, s9, v16, 0x3c0881c4
	v_fmaak_f32 v24, s9, v20, 0x3c0881c4
	s_delay_alu instid0(VALU_DEP_4) | instskip(SKIP_1) | instid1(VALU_DEP_3)
	v_cmp_eq_u32_e32 vcc_lo, 0, v21
	v_lshlrev_b32_e32 v12, 30, v12
	v_fmaak_f32 v24, v20, v24, 0xbe2aaa9d
	s_delay_alu instid0(VALU_DEP_2) | instskip(NEXT) | instid1(VALU_DEP_2)
	v_and_or_b32 v10, 0x80000000, v12, v10
	v_mul_f32_e32 v24, v20, v24
	s_delay_alu instid0(VALU_DEP_1) | instskip(NEXT) | instid1(VALU_DEP_1)
	v_dual_fmaak_f32 v22, v16, v22, 0xbe2aaa9d :: v_dual_fmac_f32 v11, v11, v24
	v_dual_fmaak_f32 v23, s10, v16, 0xbab64f3b :: v_dual_mul_f32 v22, v16, v22
	v_fmaak_f32 v25, s10, v20, 0xbab64f3b
	s_delay_alu instid0(VALU_DEP_2) | instskip(NEXT) | instid1(VALU_DEP_3)
	v_fmaak_f32 v23, v16, v23, 0x3d2aabf7
	v_fmac_f32_e32 v8, v8, v22
	s_delay_alu instid0(VALU_DEP_3) | instskip(NEXT) | instid1(VALU_DEP_3)
	v_fmaak_f32 v25, v20, v25, 0x3d2aabf7
	v_fmaak_f32 v23, v16, v23, 0xbf000004
	s_delay_alu instid0(VALU_DEP_2) | instskip(NEXT) | instid1(VALU_DEP_2)
	v_fmaak_f32 v25, v20, v25, 0xbf000004
	v_fma_f32 v16, v16, v23, 1.0
	s_delay_alu instid0(VALU_DEP_2) | instskip(NEXT) | instid1(VALU_DEP_2)
	v_fma_f32 v20, v20, v25, 1.0
	v_cndmask_b32_e64 v8, -v8, v16, vcc_lo
	v_cmp_eq_u32_e32 vcc_lo, 0, v26
	s_delay_alu instid0(VALU_DEP_2) | instskip(NEXT) | instid1(VALU_DEP_4)
	v_bitop3_b32 v8, v9, v8, 0x80000000 bitop3:0x6c
	v_cndmask_b32_e32 v11, v20, v11, vcc_lo
	v_cmp_class_f32_e64 vcc_lo, v13, 0x1f8
	s_delay_alu instid0(VALU_DEP_2) | instskip(NEXT) | instid1(VALU_DEP_4)
	v_xor3_b32 v9, v10, v11, v13
	v_cndmask_b32_e32 v8, 0x7fc00000, v8, vcc_lo
	s_delay_alu instid0(VALU_DEP_2)
	v_cndmask_b32_e32 v9, 0x7fc00000, v9, vcc_lo
.LBB138_284:                            ;   in Loop: Header=BB138_201 Depth=1
	s_or_b32 exec_lo, exec_lo, s14
                                        ; implicit-def: $vgpr10_vgpr11_vgpr12_vgpr13
.LBB138_285:                            ;   in Loop: Header=BB138_201 Depth=1
	s_and_not1_saveexec_b32 s0, s13
	s_cbranch_execz .LBB138_287
; %bb.286:                              ;   in Loop: Header=BB138_201 Depth=1
	v_mul_f32_e32 v8, 0x3fb8aa3b, v12
	v_cmp_ngt_f32_e32 vcc_lo, 0xc2ce8ed0, v12
	s_delay_alu instid0(VALU_DEP_2) | instskip(SKIP_1) | instid1(VALU_DEP_2)
	v_rndne_f32_e32 v9, v8
	v_fma_f32 v10, 0x3fb8aa3b, v12, -v8
	v_sub_f32_e32 v8, v8, v9
	s_delay_alu instid0(VALU_DEP_2) | instskip(SKIP_1) | instid1(VALU_DEP_2)
	v_fmac_f32_e32 v10, 0x32a5705f, v12
	v_cvt_i32_f32_e32 v9, v9
	v_add_f32_e32 v8, v8, v10
	s_delay_alu instid0(VALU_DEP_1) | instskip(SKIP_1) | instid1(TRANS32_DEP_1)
	v_exp_f32_e32 v8, v8
	v_nop
	v_ldexp_f32 v8, v8, v9
	s_delay_alu instid0(VALU_DEP_1) | instskip(SKIP_1) | instid1(VALU_DEP_2)
	v_dual_mov_b32 v9, v13 :: v_dual_cndmask_b32 v8, 0, v8
	v_cmp_nlt_f32_e32 vcc_lo, 0x42b17218, v12
	v_cndmask_b32_e32 v8, 0x7f800000, v8, vcc_lo
.LBB138_287:                            ;   in Loop: Header=BB138_201 Depth=1
	s_or_b32 exec_lo, exec_lo, s0
	s_wait_loadcnt 0x0
	v_and_b32_e32 v12, 0x7fffffff, v3
                                        ; implicit-def: $vgpr11
	s_mov_b32 s0, exec_lo
	s_delay_alu instid0(VALU_DEP_1)
	v_cmpx_ne_u32_e32 0, v12
	s_xor_b32 s13, exec_lo, s0
	s_cbranch_execz .LBB138_327
; %bb.288:                              ;   in Loop: Header=BB138_201 Depth=1
	v_and_b32_e32 v13, 0x7fffffff, v2
                                        ; implicit-def: $vgpr11
	s_mov_b32 s0, exec_lo
	s_delay_alu instid0(VALU_DEP_1)
	v_cmpx_ne_u32_e32 0, v13
	s_xor_b32 s14, exec_lo, s0
	s_cbranch_execz .LBB138_316
; %bb.289:                              ;   in Loop: Header=BB138_201 Depth=1
                                        ; implicit-def: $vgpr11
	s_mov_b32 s0, exec_lo
	v_cmpx_gt_u32_e32 0x7f800000, v12
	s_xor_b32 s15, exec_lo, s0
	s_cbranch_execz .LBB138_311
; %bb.290:                              ;   in Loop: Header=BB138_201 Depth=1
	v_add_nc_u32_e32 v10, 0xbd4e8de8, v2
	s_delay_alu instid0(VALU_DEP_1) | instskip(SKIP_1) | instid1(SALU_CYCLE_1)
	v_cmp_lt_u32_e32 vcc_lo, 0x8e8e5c, v10
                                        ; implicit-def: $vgpr11
	s_and_saveexec_b32 s0, vcc_lo
	s_xor_b32 s16, exec_lo, s0
	s_cbranch_execz .LBB138_300
; %bb.291:                              ;   in Loop: Header=BB138_201 Depth=1
	v_cmp_ngt_f32_e64 s17, 0x48000000, |v3|
                                        ; implicit-def: $vgpr11
                                        ; implicit-def: $vgpr10
	s_and_saveexec_b32 s0, s17
	s_delay_alu instid0(SALU_CYCLE_1)
	s_xor_b32 s18, exec_lo, s0
	s_cbranch_execz .LBB138_293
; %bb.292:                              ;   in Loop: Header=BB138_201 Depth=1
	v_and_or_b32 v16, v12, s8, 0x800000
	v_mov_b32_e32 v29, v17
	s_delay_alu instid0(VALU_DEP_2) | instskip(NEXT) | instid1(VALU_DEP_1)
	v_mul_u64_e32 v[10:11], s[4:5], v[16:17]
	v_dual_mov_b32 v21, v17 :: v_dual_mov_b32 v20, v11
	v_lshrrev_b32_e32 v11, 23, v12
	s_delay_alu instid0(VALU_DEP_2) | instskip(SKIP_1) | instid1(VALU_DEP_3)
	v_mad_nc_u64_u32 v[20:21], 0x3c439041, v16, v[20:21]
	v_mov_b32_e32 v23, v17
	v_add_nc_u32_e32 v11, 0xffffff88, v11
	s_delay_alu instid0(VALU_DEP_1) | instskip(NEXT) | instid1(VALU_DEP_4)
	v_cmp_lt_u32_e32 vcc_lo, 63, v11
	v_mov_b32_e32 v22, v21
	v_cndmask_b32_e64 v13, 0, 0xffffffc0, vcc_lo
	s_delay_alu instid0(VALU_DEP_2) | instskip(NEXT) | instid1(VALU_DEP_1)
	v_mad_nc_u64_u32 v[22:23], 0xdb629599, v16, v[22:23]
	v_dual_mov_b32 v25, v17 :: v_dual_mov_b32 v24, v23
	s_delay_alu instid0(VALU_DEP_2) | instskip(NEXT) | instid1(VALU_DEP_2)
	v_cndmask_b32_e32 v10, v22, v10, vcc_lo
	v_mad_nc_u64_u32 v[24:25], 0xf534ddc0, v16, v[24:25]
	s_delay_alu instid0(VALU_DEP_1) | instskip(NEXT) | instid1(VALU_DEP_1)
	v_dual_mov_b32 v27, v17 :: v_dual_mov_b32 v26, v25
	v_mad_nc_u64_u32 v[26:27], 0xfc2757d1, v16, v[26:27]
	s_delay_alu instid0(VALU_DEP_1) | instskip(NEXT) | instid1(VALU_DEP_1)
	v_dual_mov_b32 v28, v27 :: v_dual_cndmask_b32 v25, v26, v22
	v_mad_nc_u64_u32 v[28:29], 0x4e441529, v16, v[28:29]
	v_add_nc_u32_e32 v11, v13, v11
	s_delay_alu instid0(VALU_DEP_2) | instskip(NEXT) | instid1(VALU_DEP_1)
	v_dual_mov_b32 v31, v17 :: v_dual_mov_b32 v30, v29
	v_mad_nc_u64_u32 v[30:31], 0xa2f9836e, v16, v[30:31]
	s_delay_alu instid0(VALU_DEP_4) | instskip(NEXT) | instid1(VALU_DEP_4)
	v_cndmask_b32_e32 v16, v28, v24, vcc_lo
	v_cmp_lt_u32_e64 s0, 31, v11
	s_delay_alu instid0(VALU_DEP_1) | instskip(NEXT) | instid1(VALU_DEP_1)
	v_cndmask_b32_e64 v13, 0, 0xffffffe0, s0
	v_dual_cndmask_b32 v21, v30, v26, vcc_lo :: v_dual_add_nc_u32 v11, v13, v11
	v_cndmask_b32_e32 v23, v31, v28, vcc_lo
	s_delay_alu instid0(VALU_DEP_2) | instskip(NEXT) | instid1(VALU_DEP_1)
	v_cmp_lt_u32_e64 s1, 31, v11
	v_cndmask_b32_e64 v13, 0, 0xffffffe0, s1
	s_delay_alu instid0(VALU_DEP_1) | instskip(NEXT) | instid1(VALU_DEP_4)
	v_dual_add_nc_u32 v11, v13, v11 :: v_dual_cndmask_b32 v13, v24, v20, vcc_lo
	v_dual_cndmask_b32 v20, v21, v16, s0 :: v_dual_cndmask_b32 v21, v23, v21, s0
	s_delay_alu instid0(VALU_DEP_2) | instskip(NEXT) | instid1(VALU_DEP_3)
	v_dual_cndmask_b32 v16, v16, v25, s0 :: v_dual_sub_nc_u32 v23, 32, v11
	v_cndmask_b32_e64 v24, v25, v13, s0
	v_cmp_eq_u32_e32 vcc_lo, 0, v11
	s_delay_alu instid0(VALU_DEP_4) | instskip(NEXT) | instid1(VALU_DEP_4)
	v_cndmask_b32_e64 v21, v21, v20, s1
	v_cndmask_b32_e64 v20, v20, v16, s1
	s_delay_alu instid0(VALU_DEP_1) | instskip(NEXT) | instid1(VALU_DEP_1)
	v_alignbit_b32 v25, v21, v20, v23
	v_dual_cndmask_b32 v16, v16, v24, s1 :: v_dual_cndmask_b32 v11, v25, v21, vcc_lo
	s_delay_alu instid0(VALU_DEP_1) | instskip(NEXT) | instid1(VALU_DEP_1)
	v_alignbit_b32 v22, v20, v16, v23
	v_dual_cndmask_b32 v10, v13, v10, s0 :: v_dual_cndmask_b32 v13, v22, v20, vcc_lo
	s_delay_alu instid0(VALU_DEP_3) | instskip(NEXT) | instid1(VALU_DEP_2)
	v_bfe_u32 v20, v11, 29, 1
	v_cndmask_b32_e64 v10, v24, v10, s1
	s_delay_alu instid0(VALU_DEP_3) | instskip(NEXT) | instid1(VALU_DEP_3)
	v_alignbit_b32 v21, v11, v13, 30
	v_sub_nc_u32_e32 v22, 0, v20
	s_delay_alu instid0(VALU_DEP_3) | instskip(NEXT) | instid1(VALU_DEP_1)
	v_alignbit_b32 v23, v16, v10, v23
	v_dual_cndmask_b32 v16, v23, v16, vcc_lo :: v_dual_bitop2_b32 v21, v21, v22 bitop3:0x14
	s_delay_alu instid0(VALU_DEP_1) | instskip(NEXT) | instid1(VALU_DEP_2)
	v_clz_i32_u32_e32 v23, v21
	v_alignbit_b32 v13, v13, v16, 30
	v_alignbit_b32 v10, v16, v10, 30
	s_delay_alu instid0(VALU_DEP_3) | instskip(NEXT) | instid1(VALU_DEP_3)
	v_min_u32_e32 v23, 32, v23
	v_xor_b32_e32 v13, v13, v22
	s_delay_alu instid0(VALU_DEP_3) | instskip(SKIP_1) | instid1(VALU_DEP_4)
	v_dual_lshrrev_b32 v22, 29, v11 :: v_dual_bitop2_b32 v10, v10, v22 bitop3:0x14
	v_lshrrev_b32_e32 v11, 30, v11
	v_dual_sub_nc_u32 v16, 31, v23 :: v_dual_lshlrev_b32 v24, 23, v23
	s_delay_alu instid0(VALU_DEP_2) | instskip(NEXT) | instid1(VALU_DEP_2)
	v_add_nc_u32_e32 v11, v20, v11
	v_alignbit_b32 v21, v21, v13, v16
	v_alignbit_b32 v10, v13, v10, v16
	v_lshlrev_b32_e32 v13, 31, v22
	s_delay_alu instid0(VALU_DEP_2) | instskip(NEXT) | instid1(VALU_DEP_2)
	v_alignbit_b32 v16, v21, v10, 9
	v_or_b32_e32 v22, 0.5, v13
	v_lshrrev_b32_e32 v21, 9, v21
	v_or_b32_e32 v13, 0x33000000, v13
	s_delay_alu instid0(VALU_DEP_4) | instskip(NEXT) | instid1(VALU_DEP_4)
	v_clz_i32_u32_e32 v25, v16
	v_sub_nc_u32_e32 v22, v22, v24
	s_delay_alu instid0(VALU_DEP_2) | instskip(NEXT) | instid1(VALU_DEP_2)
	v_min_u32_e32 v24, 32, v25
	v_or_b32_e32 v21, v21, v22
	s_delay_alu instid0(VALU_DEP_2) | instskip(SKIP_1) | instid1(VALU_DEP_2)
	v_not_b32_e32 v22, v24
	v_add_lshl_u32 v23, v24, v23, 23
	v_alignbit_b32 v10, v16, v10, v22
	s_delay_alu instid0(VALU_DEP_4) | instskip(NEXT) | instid1(VALU_DEP_2)
	v_mul_f32_e32 v25, 0x3fc90fda, v21
	v_dual_sub_nc_u32 v13, v13, v23 :: v_dual_lshrrev_b32 v10, 9, v10
	s_delay_alu instid0(VALU_DEP_2) | instskip(NEXT) | instid1(VALU_DEP_2)
	v_fma_f32 v16, 0x3fc90fda, v21, -v25
	v_or_b32_e32 v10, v13, v10
	s_delay_alu instid0(VALU_DEP_2) | instskip(NEXT) | instid1(VALU_DEP_1)
	v_fmac_f32_e32 v16, 0x33a22168, v21
	v_fmac_f32_e32 v16, 0x3fc90fda, v10
	s_delay_alu instid0(VALU_DEP_1)
	v_add_f32_e32 v10, v25, v16
	s_and_not1_saveexec_b32 s0, s18
	s_branch .LBB138_294
.LBB138_293:                            ;   in Loop: Header=BB138_201 Depth=1
	s_and_not1_saveexec_b32 s0, s18
.LBB138_294:                            ;   in Loop: Header=BB138_201 Depth=1
	v_mul_f32_e64 v10, 0x3f22f983, |v3|
	s_delay_alu instid0(VALU_DEP_1) | instskip(NEXT) | instid1(VALU_DEP_1)
	v_rndne_f32_e32 v11, v10
	v_fma_f32 v10, 0xbfc90fda, v11, |v3|
	s_delay_alu instid0(VALU_DEP_1) | instskip(NEXT) | instid1(VALU_DEP_1)
	v_fmac_f32_e32 v10, 0xb3a22168, v11
	v_fmac_f32_e32 v10, 0xa7c234c4, v11
	v_cvt_i32_f32_e32 v11, v11
; %bb.295:                              ;   in Loop: Header=BB138_201 Depth=1
	s_or_b32 exec_lo, exec_lo, s0
                                        ; implicit-def: $vgpr16
                                        ; implicit-def: $vgpr13
	s_and_saveexec_b32 s0, s17
	s_delay_alu instid0(SALU_CYCLE_1)
	s_xor_b32 s17, exec_lo, s0
	s_cbranch_execz .LBB138_297
; %bb.296:                              ;   in Loop: Header=BB138_201 Depth=1
	v_and_or_b32 v16, v12, s8, 0x800000
	v_dual_lshrrev_b32 v13, 23, v12 :: v_dual_mov_b32 v31, v17
	s_delay_alu instid0(VALU_DEP_2) | instskip(SKIP_1) | instid1(VALU_DEP_3)
	v_mul_u64_e32 v[20:21], s[4:5], v[16:17]
	v_mov_b32_e32 v23, v17
	v_add_nc_u32_e32 v13, 0xffffff88, v13
	s_delay_alu instid0(VALU_DEP_1) | instskip(NEXT) | instid1(VALU_DEP_4)
	v_cmp_lt_u32_e32 vcc_lo, 63, v13
	v_mov_b32_e32 v22, v21
	v_cndmask_b32_e64 v21, 0, 0xffffffc0, vcc_lo
	s_delay_alu instid0(VALU_DEP_2) | instskip(NEXT) | instid1(VALU_DEP_1)
	v_mad_nc_u64_u32 v[22:23], 0x3c439041, v16, v[22:23]
	v_dual_mov_b32 v25, v17 :: v_dual_mov_b32 v24, v23
	s_delay_alu instid0(VALU_DEP_1) | instskip(NEXT) | instid1(VALU_DEP_1)
	v_mad_nc_u64_u32 v[24:25], 0xdb629599, v16, v[24:25]
	v_dual_mov_b32 v27, v17 :: v_dual_mov_b32 v26, v25
	s_delay_alu instid0(VALU_DEP_2) | instskip(NEXT) | instid1(VALU_DEP_2)
	v_cndmask_b32_e32 v20, v24, v20, vcc_lo
	v_mad_nc_u64_u32 v[26:27], 0xf534ddc0, v16, v[26:27]
	s_delay_alu instid0(VALU_DEP_1) | instskip(NEXT) | instid1(VALU_DEP_1)
	v_dual_mov_b32 v29, v17 :: v_dual_mov_b32 v28, v27
	v_mad_nc_u64_u32 v[28:29], 0xfc2757d1, v16, v[28:29]
	s_delay_alu instid0(VALU_DEP_1) | instskip(NEXT) | instid1(VALU_DEP_1)
	v_dual_mov_b32 v30, v29 :: v_dual_cndmask_b32 v27, v28, v24
	v_mad_nc_u64_u32 v[30:31], 0x4e441529, v16, v[30:31]
	v_add_nc_u32_e32 v13, v21, v13
	s_delay_alu instid0(VALU_DEP_2) | instskip(NEXT) | instid1(VALU_DEP_2)
	v_dual_mov_b32 v33, v17 :: v_dual_mov_b32 v32, v31
	v_cmp_lt_u32_e64 s0, 31, v13
	s_delay_alu instid0(VALU_DEP_1) | instskip(NEXT) | instid1(VALU_DEP_1)
	v_cndmask_b32_e64 v21, 0, 0xffffffe0, s0
	v_dual_add_nc_u32 v13, v21, v13 :: v_dual_cndmask_b32 v21, v30, v26, vcc_lo
	s_delay_alu instid0(VALU_DEP_4) | instskip(NEXT) | instid1(VALU_DEP_1)
	v_mad_nc_u64_u32 v[32:33], 0xa2f9836e, v16, v[32:33]
	v_cndmask_b32_e32 v23, v32, v28, vcc_lo
	s_delay_alu instid0(VALU_DEP_3) | instskip(NEXT) | instid1(VALU_DEP_3)
	v_cmp_lt_u32_e64 s1, 31, v13
	v_cndmask_b32_e32 v25, v33, v30, vcc_lo
	s_delay_alu instid0(VALU_DEP_2) | instskip(NEXT) | instid1(VALU_DEP_1)
	v_cndmask_b32_e64 v16, 0, 0xffffffe0, s1
	v_dual_cndmask_b32 v16, v26, v22 :: v_dual_add_nc_u32 v13, v16, v13
	s_delay_alu instid0(VALU_DEP_3) | instskip(NEXT) | instid1(VALU_DEP_2)
	v_dual_cndmask_b32 v22, v23, v21, s0 :: v_dual_cndmask_b32 v23, v25, v23, s0
	v_dual_cndmask_b32 v21, v21, v27, s0 :: v_dual_sub_nc_u32 v25, 32, v13
	s_delay_alu instid0(VALU_DEP_3) | instskip(SKIP_1) | instid1(VALU_DEP_3)
	v_cndmask_b32_e64 v26, v27, v16, s0
	v_cmp_eq_u32_e32 vcc_lo, 0, v13
	v_dual_cndmask_b32 v23, v23, v22, s1 :: v_dual_cndmask_b32 v22, v22, v21, s1
	v_cndmask_b32_e64 v16, v16, v20, s0
	s_delay_alu instid0(VALU_DEP_2) | instskip(NEXT) | instid1(VALU_DEP_1)
	v_alignbit_b32 v27, v23, v22, v25
	v_dual_cndmask_b32 v21, v21, v26, s1 :: v_dual_cndmask_b32 v13, v27, v23, vcc_lo
	s_delay_alu instid0(VALU_DEP_1) | instskip(NEXT) | instid1(VALU_DEP_1)
	v_alignbit_b32 v24, v22, v21, v25
	v_cndmask_b32_e32 v20, v24, v22, vcc_lo
	s_delay_alu instid0(VALU_DEP_3) | instskip(NEXT) | instid1(VALU_DEP_1)
	v_bfe_u32 v22, v13, 29, 1
	v_dual_sub_nc_u32 v24, 0, v22 :: v_dual_cndmask_b32 v16, v26, v16, s1
	s_delay_alu instid0(VALU_DEP_3) | instskip(NEXT) | instid1(VALU_DEP_2)
	v_alignbit_b32 v23, v13, v20, 30
	v_alignbit_b32 v25, v21, v16, v25
	s_delay_alu instid0(VALU_DEP_1) | instskip(NEXT) | instid1(VALU_DEP_1)
	v_dual_cndmask_b32 v21, v25, v21, vcc_lo :: v_dual_bitop2_b32 v23, v23, v24 bitop3:0x14
	v_clz_i32_u32_e32 v25, v23
	s_delay_alu instid0(VALU_DEP_2) | instskip(NEXT) | instid1(VALU_DEP_2)
	v_alignbit_b32 v20, v20, v21, 30
	v_min_u32_e32 v25, 32, v25
	v_alignbit_b32 v16, v21, v16, 30
	s_delay_alu instid0(VALU_DEP_2) | instskip(NEXT) | instid1(VALU_DEP_2)
	v_dual_sub_nc_u32 v21, 31, v25 :: v_dual_bitop2_b32 v20, v20, v24 bitop3:0x14
	v_dual_lshrrev_b32 v24, 29, v13 :: v_dual_bitop2_b32 v16, v16, v24 bitop3:0x14
	v_lshlrev_b32_e32 v26, 23, v25
	s_delay_alu instid0(VALU_DEP_3) | instskip(NEXT) | instid1(VALU_DEP_3)
	v_alignbit_b32 v23, v23, v20, v21
	v_alignbit_b32 v16, v20, v16, v21
	s_delay_alu instid0(VALU_DEP_4) | instskip(NEXT) | instid1(VALU_DEP_2)
	v_lshlrev_b32_e32 v20, 31, v24
	v_alignbit_b32 v21, v23, v16, 9
	s_delay_alu instid0(VALU_DEP_2) | instskip(SKIP_1) | instid1(VALU_DEP_3)
	v_dual_lshrrev_b32 v23, 9, v23 :: v_dual_bitop2_b32 v24, 0.5, v20 bitop3:0x54
	v_or_b32_e32 v20, 0x33000000, v20
	v_clz_i32_u32_e32 v27, v21
	s_delay_alu instid0(VALU_DEP_3) | instskip(NEXT) | instid1(VALU_DEP_2)
	v_sub_nc_u32_e32 v24, v24, v26
	v_min_u32_e32 v26, 32, v27
	s_delay_alu instid0(VALU_DEP_1) | instskip(NEXT) | instid1(VALU_DEP_3)
	v_add_lshl_u32 v25, v26, v25, 23
	v_or_b32_e32 v23, v23, v24
	v_not_b32_e32 v24, v26
	s_delay_alu instid0(VALU_DEP_2) | instskip(NEXT) | instid1(VALU_DEP_2)
	v_dual_mul_f32 v27, 0x3fc90fda, v23 :: v_dual_sub_nc_u32 v20, v20, v25
	v_alignbit_b32 v16, v21, v16, v24
	s_delay_alu instid0(VALU_DEP_2) | instskip(NEXT) | instid1(VALU_DEP_1)
	v_fma_f32 v21, 0x3fc90fda, v23, -v27
	v_dual_fmac_f32 v21, 0x33a22168, v23 :: v_dual_lshrrev_b32 v16, 9, v16
	s_delay_alu instid0(VALU_DEP_1) | instskip(NEXT) | instid1(VALU_DEP_1)
	v_or_b32_e32 v16, v20, v16
	v_dual_fmac_f32 v21, 0x3fc90fda, v16 :: v_dual_lshrrev_b32 v16, 30, v13
	s_delay_alu instid0(VALU_DEP_1)
	v_dual_add_f32 v13, v27, v21 :: v_dual_add_nc_u32 v16, v22, v16
	s_and_not1_saveexec_b32 s0, s17
	s_cbranch_execnz .LBB138_298
	s_branch .LBB138_299
.LBB138_297:                            ;   in Loop: Header=BB138_201 Depth=1
	s_and_not1_saveexec_b32 s0, s17
.LBB138_298:                            ;   in Loop: Header=BB138_201 Depth=1
	v_mul_f32_e64 v13, 0x3f22f983, |v3|
	s_delay_alu instid0(VALU_DEP_1) | instskip(NEXT) | instid1(VALU_DEP_1)
	v_rndne_f32_e32 v16, v13
	v_fma_f32 v13, 0xbfc90fda, v16, |v3|
	s_delay_alu instid0(VALU_DEP_1) | instskip(NEXT) | instid1(VALU_DEP_1)
	v_fmac_f32_e32 v13, 0xb3a22168, v16
	v_fmac_f32_e32 v13, 0xa7c234c4, v16
	v_cvt_i32_f32_e32 v16, v16
.LBB138_299:                            ;   in Loop: Header=BB138_201 Depth=1
	s_or_b32 exec_lo, exec_lo, s0
	s_delay_alu instid0(VALU_DEP_1) | instskip(SKIP_2) | instid1(VALU_DEP_3)
	v_dual_mul_f32 v20, 0x3fb8aa3b, v2 :: v_dual_mul_f32 v23, v13, v13
	v_dual_mul_f32 v21, v10, v10 :: v_dual_bitop2_b32 v22, 1, v11 bitop3:0x40
	v_cmp_nlt_f32_e64 s0, 0x42b17218, v2
	v_rndne_f32_e32 v24, v20
	s_delay_alu instid0(VALU_DEP_4)
	v_fmaak_f32 v28, s9, v23, 0x3c0881c4
	v_fma_f32 v25, 0x3fb8aa3b, v2, -v20
	v_fmaak_f32 v27, s10, v21, 0xbab64f3b
	v_cmp_eq_u32_e32 vcc_lo, 0, v22
	v_sub_f32_e32 v20, v20, v24
	v_fmaak_f32 v28, v23, v28, 0xbe2aaa9d
	v_fmac_f32_e32 v25, 0x32a5705f, v2
	v_cvt_i32_f32_e32 v24, v24
	s_delay_alu instid0(VALU_DEP_3) | instskip(SKIP_1) | instid1(VALU_DEP_4)
	v_dual_mul_f32 v28, v23, v28 :: v_dual_lshlrev_b32 v11, 30, v11
	v_fmaak_f32 v26, s9, v21, 0x3c0881c4
	v_dual_fmaak_f32 v29, s10, v23, 0xbab64f3b :: v_dual_add_f32 v20, v20, v25
	s_delay_alu instid0(VALU_DEP_3) | instskip(NEXT) | instid1(VALU_DEP_3)
	v_fmac_f32_e32 v13, v13, v28
	v_fmaak_f32 v26, v21, v26, 0xbe2aaa9d
	v_fmaak_f32 v27, v21, v27, 0x3d2aabf7
	s_delay_alu instid0(VALU_DEP_4) | instskip(NEXT) | instid1(VALU_DEP_2)
	v_exp_f32_e32 v20, v20
	v_dual_mul_f32 v26, v21, v26 :: v_dual_fmaak_f32 v25, v23, v29, 0x3d2aabf7
	s_delay_alu instid0(VALU_DEP_2) | instskip(NEXT) | instid1(TRANS32_DEP_1)
	v_fmaak_f32 v27, v21, v27, 0xbf000004
	v_ldexp_f32 v20, v20, v24
	s_delay_alu instid0(VALU_DEP_3) | instskip(SKIP_1) | instid1(VALU_DEP_4)
	v_dual_fmac_f32 v10, v10, v26 :: v_dual_fmaak_f32 v25, v23, v25, 0xbf000004
	v_dual_lshlrev_b32 v16, 30, v16 :: v_dual_bitop2_b32 v24, 1, v16 bitop3:0x40
	v_fma_f32 v21, v21, v27, 1.0
	s_delay_alu instid0(VALU_DEP_3) | instskip(NEXT) | instid1(VALU_DEP_3)
	v_fma_f32 v23, v23, v25, 1.0
	v_and_or_b32 v12, 0x80000000, v16, v12
	s_delay_alu instid0(VALU_DEP_3) | instskip(SKIP_1) | instid1(VALU_DEP_2)
	v_cndmask_b32_e64 v10, -v10, v21, vcc_lo
	v_cmp_eq_u32_e32 vcc_lo, 0, v24
	v_bitop3_b32 v10, v11, v10, 0x80000000 bitop3:0x6c
	v_cndmask_b32_e32 v13, v23, v13, vcc_lo
	v_cmp_ngt_f32_e32 vcc_lo, 0xc2ce8ed0, v2
	s_delay_alu instid0(VALU_DEP_2) | instskip(SKIP_2) | instid1(VALU_DEP_2)
	v_xor3_b32 v11, v12, v13, v3
	v_cndmask_b32_e32 v16, 0, v20, vcc_lo
	v_cmp_class_f32_e64 vcc_lo, v3, 0x1f8
	v_cndmask_b32_e64 v12, 0x7f800000, v16, s0
	s_delay_alu instid0(VALU_DEP_4) | instskip(NEXT) | instid1(VALU_DEP_1)
	v_cndmask_b32_e32 v11, 0x7fc00000, v11, vcc_lo
	v_dual_cndmask_b32 v10, 0x7fc00000, v10 :: v_dual_mul_f32 v11, v12, v11
	s_delay_alu instid0(VALU_DEP_1)
	v_mul_f32_e32 v10, v12, v10
                                        ; implicit-def: $vgpr12
.LBB138_300:                            ;   in Loop: Header=BB138_201 Depth=1
	s_and_not1_saveexec_b32 s16, s16
	s_cbranch_execz .LBB138_310
; %bb.301:                              ;   in Loop: Header=BB138_201 Depth=1
	v_cmp_ngt_f32_e64 s17, 0x48000000, |v3|
                                        ; implicit-def: $vgpr11
                                        ; implicit-def: $vgpr10
	s_and_saveexec_b32 s0, s17
	s_delay_alu instid0(SALU_CYCLE_1)
	s_xor_b32 s18, exec_lo, s0
	s_cbranch_execz .LBB138_303
; %bb.302:                              ;   in Loop: Header=BB138_201 Depth=1
	v_and_or_b32 v16, v12, s8, 0x800000
	v_mov_b32_e32 v29, v17
	s_delay_alu instid0(VALU_DEP_2) | instskip(NEXT) | instid1(VALU_DEP_1)
	v_mul_u64_e32 v[10:11], s[4:5], v[16:17]
	v_dual_mov_b32 v21, v17 :: v_dual_mov_b32 v20, v11
	v_lshrrev_b32_e32 v11, 23, v12
	s_delay_alu instid0(VALU_DEP_2) | instskip(SKIP_1) | instid1(VALU_DEP_3)
	v_mad_nc_u64_u32 v[20:21], 0x3c439041, v16, v[20:21]
	v_mov_b32_e32 v23, v17
	v_add_nc_u32_e32 v11, 0xffffff88, v11
	s_delay_alu instid0(VALU_DEP_1) | instskip(NEXT) | instid1(VALU_DEP_4)
	v_cmp_lt_u32_e32 vcc_lo, 63, v11
	v_mov_b32_e32 v22, v21
	v_cndmask_b32_e64 v13, 0, 0xffffffc0, vcc_lo
	s_delay_alu instid0(VALU_DEP_2) | instskip(NEXT) | instid1(VALU_DEP_1)
	v_mad_nc_u64_u32 v[22:23], 0xdb629599, v16, v[22:23]
	v_dual_mov_b32 v25, v17 :: v_dual_mov_b32 v24, v23
	s_delay_alu instid0(VALU_DEP_2) | instskip(NEXT) | instid1(VALU_DEP_2)
	v_cndmask_b32_e32 v10, v22, v10, vcc_lo
	v_mad_nc_u64_u32 v[24:25], 0xf534ddc0, v16, v[24:25]
	s_delay_alu instid0(VALU_DEP_1) | instskip(NEXT) | instid1(VALU_DEP_1)
	v_dual_mov_b32 v27, v17 :: v_dual_mov_b32 v26, v25
	v_mad_nc_u64_u32 v[26:27], 0xfc2757d1, v16, v[26:27]
	s_delay_alu instid0(VALU_DEP_1) | instskip(NEXT) | instid1(VALU_DEP_1)
	v_dual_mov_b32 v28, v27 :: v_dual_cndmask_b32 v25, v26, v22
	v_mad_nc_u64_u32 v[28:29], 0x4e441529, v16, v[28:29]
	v_add_nc_u32_e32 v11, v13, v11
	s_delay_alu instid0(VALU_DEP_2) | instskip(NEXT) | instid1(VALU_DEP_1)
	v_dual_mov_b32 v31, v17 :: v_dual_mov_b32 v30, v29
	v_mad_nc_u64_u32 v[30:31], 0xa2f9836e, v16, v[30:31]
	s_delay_alu instid0(VALU_DEP_4) | instskip(NEXT) | instid1(VALU_DEP_4)
	v_cndmask_b32_e32 v16, v28, v24, vcc_lo
	v_cmp_lt_u32_e64 s0, 31, v11
	s_delay_alu instid0(VALU_DEP_1) | instskip(NEXT) | instid1(VALU_DEP_1)
	v_cndmask_b32_e64 v13, 0, 0xffffffe0, s0
	v_dual_cndmask_b32 v21, v30, v26, vcc_lo :: v_dual_add_nc_u32 v11, v13, v11
	v_cndmask_b32_e32 v23, v31, v28, vcc_lo
	s_delay_alu instid0(VALU_DEP_2) | instskip(NEXT) | instid1(VALU_DEP_1)
	v_cmp_lt_u32_e64 s1, 31, v11
	v_cndmask_b32_e64 v13, 0, 0xffffffe0, s1
	s_delay_alu instid0(VALU_DEP_1) | instskip(NEXT) | instid1(VALU_DEP_4)
	v_dual_add_nc_u32 v11, v13, v11 :: v_dual_cndmask_b32 v13, v24, v20, vcc_lo
	v_dual_cndmask_b32 v20, v21, v16, s0 :: v_dual_cndmask_b32 v21, v23, v21, s0
	s_delay_alu instid0(VALU_DEP_2) | instskip(NEXT) | instid1(VALU_DEP_3)
	v_dual_cndmask_b32 v16, v16, v25, s0 :: v_dual_sub_nc_u32 v23, 32, v11
	v_cndmask_b32_e64 v24, v25, v13, s0
	v_cmp_eq_u32_e32 vcc_lo, 0, v11
	s_delay_alu instid0(VALU_DEP_4) | instskip(NEXT) | instid1(VALU_DEP_4)
	v_cndmask_b32_e64 v21, v21, v20, s1
	v_cndmask_b32_e64 v20, v20, v16, s1
	s_delay_alu instid0(VALU_DEP_1) | instskip(NEXT) | instid1(VALU_DEP_1)
	v_alignbit_b32 v25, v21, v20, v23
	v_dual_cndmask_b32 v16, v16, v24, s1 :: v_dual_cndmask_b32 v11, v25, v21, vcc_lo
	s_delay_alu instid0(VALU_DEP_1) | instskip(NEXT) | instid1(VALU_DEP_1)
	v_alignbit_b32 v22, v20, v16, v23
	v_dual_cndmask_b32 v10, v13, v10, s0 :: v_dual_cndmask_b32 v13, v22, v20, vcc_lo
	s_delay_alu instid0(VALU_DEP_3) | instskip(NEXT) | instid1(VALU_DEP_2)
	v_bfe_u32 v20, v11, 29, 1
	v_cndmask_b32_e64 v10, v24, v10, s1
	s_delay_alu instid0(VALU_DEP_3) | instskip(NEXT) | instid1(VALU_DEP_3)
	v_alignbit_b32 v21, v11, v13, 30
	v_sub_nc_u32_e32 v22, 0, v20
	s_delay_alu instid0(VALU_DEP_3) | instskip(NEXT) | instid1(VALU_DEP_1)
	v_alignbit_b32 v23, v16, v10, v23
	v_dual_cndmask_b32 v16, v23, v16, vcc_lo :: v_dual_bitop2_b32 v21, v21, v22 bitop3:0x14
	s_delay_alu instid0(VALU_DEP_1) | instskip(NEXT) | instid1(VALU_DEP_2)
	v_clz_i32_u32_e32 v23, v21
	v_alignbit_b32 v13, v13, v16, 30
	v_alignbit_b32 v10, v16, v10, 30
	s_delay_alu instid0(VALU_DEP_3) | instskip(NEXT) | instid1(VALU_DEP_3)
	v_min_u32_e32 v23, 32, v23
	v_xor_b32_e32 v13, v13, v22
	s_delay_alu instid0(VALU_DEP_3) | instskip(SKIP_1) | instid1(VALU_DEP_4)
	v_dual_lshrrev_b32 v22, 29, v11 :: v_dual_bitop2_b32 v10, v10, v22 bitop3:0x14
	v_lshrrev_b32_e32 v11, 30, v11
	v_dual_sub_nc_u32 v16, 31, v23 :: v_dual_lshlrev_b32 v24, 23, v23
	s_delay_alu instid0(VALU_DEP_2) | instskip(NEXT) | instid1(VALU_DEP_2)
	v_add_nc_u32_e32 v11, v20, v11
	v_alignbit_b32 v21, v21, v13, v16
	v_alignbit_b32 v10, v13, v10, v16
	v_lshlrev_b32_e32 v13, 31, v22
	s_delay_alu instid0(VALU_DEP_2) | instskip(NEXT) | instid1(VALU_DEP_2)
	v_alignbit_b32 v16, v21, v10, 9
	v_or_b32_e32 v22, 0.5, v13
	v_lshrrev_b32_e32 v21, 9, v21
	v_or_b32_e32 v13, 0x33000000, v13
	s_delay_alu instid0(VALU_DEP_4) | instskip(NEXT) | instid1(VALU_DEP_4)
	v_clz_i32_u32_e32 v25, v16
	v_sub_nc_u32_e32 v22, v22, v24
	s_delay_alu instid0(VALU_DEP_2) | instskip(NEXT) | instid1(VALU_DEP_2)
	v_min_u32_e32 v24, 32, v25
	v_or_b32_e32 v21, v21, v22
	s_delay_alu instid0(VALU_DEP_2) | instskip(SKIP_1) | instid1(VALU_DEP_2)
	v_not_b32_e32 v22, v24
	v_add_lshl_u32 v23, v24, v23, 23
	v_alignbit_b32 v10, v16, v10, v22
	s_delay_alu instid0(VALU_DEP_4) | instskip(NEXT) | instid1(VALU_DEP_2)
	v_mul_f32_e32 v25, 0x3fc90fda, v21
	v_dual_sub_nc_u32 v13, v13, v23 :: v_dual_lshrrev_b32 v10, 9, v10
	s_delay_alu instid0(VALU_DEP_2) | instskip(NEXT) | instid1(VALU_DEP_2)
	v_fma_f32 v16, 0x3fc90fda, v21, -v25
	v_or_b32_e32 v10, v13, v10
	s_delay_alu instid0(VALU_DEP_2) | instskip(NEXT) | instid1(VALU_DEP_1)
	v_fmac_f32_e32 v16, 0x33a22168, v21
	v_fmac_f32_e32 v16, 0x3fc90fda, v10
	s_delay_alu instid0(VALU_DEP_1)
	v_add_f32_e32 v10, v25, v16
	s_and_not1_saveexec_b32 s0, s18
	s_branch .LBB138_304
.LBB138_303:                            ;   in Loop: Header=BB138_201 Depth=1
	s_and_not1_saveexec_b32 s0, s18
.LBB138_304:                            ;   in Loop: Header=BB138_201 Depth=1
	v_mul_f32_e64 v10, 0x3f22f983, |v3|
	s_delay_alu instid0(VALU_DEP_1) | instskip(NEXT) | instid1(VALU_DEP_1)
	v_rndne_f32_e32 v11, v10
	v_fma_f32 v10, 0xbfc90fda, v11, |v3|
	s_delay_alu instid0(VALU_DEP_1) | instskip(NEXT) | instid1(VALU_DEP_1)
	v_fmac_f32_e32 v10, 0xb3a22168, v11
	v_fmac_f32_e32 v10, 0xa7c234c4, v11
	v_cvt_i32_f32_e32 v11, v11
; %bb.305:                              ;   in Loop: Header=BB138_201 Depth=1
	s_or_b32 exec_lo, exec_lo, s0
                                        ; implicit-def: $vgpr16
                                        ; implicit-def: $vgpr13
	s_and_saveexec_b32 s0, s17
	s_delay_alu instid0(SALU_CYCLE_1)
	s_xor_b32 s17, exec_lo, s0
	s_cbranch_execz .LBB138_307
; %bb.306:                              ;   in Loop: Header=BB138_201 Depth=1
	v_and_or_b32 v16, v12, s8, 0x800000
	v_dual_lshrrev_b32 v13, 23, v12 :: v_dual_mov_b32 v31, v17
	s_delay_alu instid0(VALU_DEP_2) | instskip(SKIP_1) | instid1(VALU_DEP_3)
	v_mul_u64_e32 v[20:21], s[4:5], v[16:17]
	v_mov_b32_e32 v23, v17
	v_add_nc_u32_e32 v13, 0xffffff88, v13
	s_delay_alu instid0(VALU_DEP_1) | instskip(NEXT) | instid1(VALU_DEP_4)
	v_cmp_lt_u32_e32 vcc_lo, 63, v13
	v_mov_b32_e32 v22, v21
	v_cndmask_b32_e64 v21, 0, 0xffffffc0, vcc_lo
	s_delay_alu instid0(VALU_DEP_2) | instskip(NEXT) | instid1(VALU_DEP_1)
	v_mad_nc_u64_u32 v[22:23], 0x3c439041, v16, v[22:23]
	v_dual_mov_b32 v25, v17 :: v_dual_mov_b32 v24, v23
	s_delay_alu instid0(VALU_DEP_1) | instskip(NEXT) | instid1(VALU_DEP_1)
	v_mad_nc_u64_u32 v[24:25], 0xdb629599, v16, v[24:25]
	v_dual_mov_b32 v27, v17 :: v_dual_mov_b32 v26, v25
	s_delay_alu instid0(VALU_DEP_2) | instskip(NEXT) | instid1(VALU_DEP_2)
	v_cndmask_b32_e32 v20, v24, v20, vcc_lo
	v_mad_nc_u64_u32 v[26:27], 0xf534ddc0, v16, v[26:27]
	s_delay_alu instid0(VALU_DEP_1) | instskip(NEXT) | instid1(VALU_DEP_1)
	v_dual_mov_b32 v29, v17 :: v_dual_mov_b32 v28, v27
	v_mad_nc_u64_u32 v[28:29], 0xfc2757d1, v16, v[28:29]
	s_delay_alu instid0(VALU_DEP_1) | instskip(NEXT) | instid1(VALU_DEP_1)
	v_dual_mov_b32 v30, v29 :: v_dual_cndmask_b32 v27, v28, v24
	v_mad_nc_u64_u32 v[30:31], 0x4e441529, v16, v[30:31]
	v_add_nc_u32_e32 v13, v21, v13
	s_delay_alu instid0(VALU_DEP_2) | instskip(NEXT) | instid1(VALU_DEP_2)
	v_dual_mov_b32 v33, v17 :: v_dual_mov_b32 v32, v31
	v_cmp_lt_u32_e64 s0, 31, v13
	s_delay_alu instid0(VALU_DEP_1) | instskip(NEXT) | instid1(VALU_DEP_1)
	v_cndmask_b32_e64 v21, 0, 0xffffffe0, s0
	v_dual_add_nc_u32 v13, v21, v13 :: v_dual_cndmask_b32 v21, v30, v26, vcc_lo
	s_delay_alu instid0(VALU_DEP_4) | instskip(NEXT) | instid1(VALU_DEP_1)
	v_mad_nc_u64_u32 v[32:33], 0xa2f9836e, v16, v[32:33]
	v_cndmask_b32_e32 v23, v32, v28, vcc_lo
	s_delay_alu instid0(VALU_DEP_3) | instskip(NEXT) | instid1(VALU_DEP_3)
	v_cmp_lt_u32_e64 s1, 31, v13
	v_cndmask_b32_e32 v25, v33, v30, vcc_lo
	s_delay_alu instid0(VALU_DEP_2) | instskip(NEXT) | instid1(VALU_DEP_1)
	v_cndmask_b32_e64 v16, 0, 0xffffffe0, s1
	v_dual_cndmask_b32 v16, v26, v22 :: v_dual_add_nc_u32 v13, v16, v13
	s_delay_alu instid0(VALU_DEP_3) | instskip(NEXT) | instid1(VALU_DEP_2)
	v_dual_cndmask_b32 v22, v23, v21, s0 :: v_dual_cndmask_b32 v23, v25, v23, s0
	v_dual_cndmask_b32 v21, v21, v27, s0 :: v_dual_sub_nc_u32 v25, 32, v13
	s_delay_alu instid0(VALU_DEP_3) | instskip(SKIP_1) | instid1(VALU_DEP_3)
	v_cndmask_b32_e64 v26, v27, v16, s0
	v_cmp_eq_u32_e32 vcc_lo, 0, v13
	v_dual_cndmask_b32 v23, v23, v22, s1 :: v_dual_cndmask_b32 v22, v22, v21, s1
	v_cndmask_b32_e64 v16, v16, v20, s0
	s_delay_alu instid0(VALU_DEP_2) | instskip(NEXT) | instid1(VALU_DEP_1)
	v_alignbit_b32 v27, v23, v22, v25
	v_dual_cndmask_b32 v21, v21, v26, s1 :: v_dual_cndmask_b32 v13, v27, v23, vcc_lo
	s_delay_alu instid0(VALU_DEP_1) | instskip(NEXT) | instid1(VALU_DEP_1)
	v_alignbit_b32 v24, v22, v21, v25
	v_cndmask_b32_e32 v20, v24, v22, vcc_lo
	s_delay_alu instid0(VALU_DEP_3) | instskip(NEXT) | instid1(VALU_DEP_1)
	v_bfe_u32 v22, v13, 29, 1
	v_dual_sub_nc_u32 v24, 0, v22 :: v_dual_cndmask_b32 v16, v26, v16, s1
	s_delay_alu instid0(VALU_DEP_3) | instskip(NEXT) | instid1(VALU_DEP_2)
	v_alignbit_b32 v23, v13, v20, 30
	v_alignbit_b32 v25, v21, v16, v25
	s_delay_alu instid0(VALU_DEP_1) | instskip(NEXT) | instid1(VALU_DEP_1)
	v_dual_cndmask_b32 v21, v25, v21, vcc_lo :: v_dual_bitop2_b32 v23, v23, v24 bitop3:0x14
	v_clz_i32_u32_e32 v25, v23
	s_delay_alu instid0(VALU_DEP_2) | instskip(NEXT) | instid1(VALU_DEP_2)
	v_alignbit_b32 v20, v20, v21, 30
	v_min_u32_e32 v25, 32, v25
	v_alignbit_b32 v16, v21, v16, 30
	s_delay_alu instid0(VALU_DEP_2) | instskip(NEXT) | instid1(VALU_DEP_2)
	v_dual_sub_nc_u32 v21, 31, v25 :: v_dual_bitop2_b32 v20, v20, v24 bitop3:0x14
	v_dual_lshrrev_b32 v24, 29, v13 :: v_dual_bitop2_b32 v16, v16, v24 bitop3:0x14
	v_lshlrev_b32_e32 v26, 23, v25
	s_delay_alu instid0(VALU_DEP_3) | instskip(NEXT) | instid1(VALU_DEP_3)
	v_alignbit_b32 v23, v23, v20, v21
	v_alignbit_b32 v16, v20, v16, v21
	s_delay_alu instid0(VALU_DEP_4) | instskip(NEXT) | instid1(VALU_DEP_2)
	v_lshlrev_b32_e32 v20, 31, v24
	v_alignbit_b32 v21, v23, v16, 9
	s_delay_alu instid0(VALU_DEP_2) | instskip(SKIP_1) | instid1(VALU_DEP_3)
	v_dual_lshrrev_b32 v23, 9, v23 :: v_dual_bitop2_b32 v24, 0.5, v20 bitop3:0x54
	v_or_b32_e32 v20, 0x33000000, v20
	v_clz_i32_u32_e32 v27, v21
	s_delay_alu instid0(VALU_DEP_3) | instskip(NEXT) | instid1(VALU_DEP_2)
	v_sub_nc_u32_e32 v24, v24, v26
	v_min_u32_e32 v26, 32, v27
	s_delay_alu instid0(VALU_DEP_1) | instskip(NEXT) | instid1(VALU_DEP_3)
	v_add_lshl_u32 v25, v26, v25, 23
	v_or_b32_e32 v23, v23, v24
	v_not_b32_e32 v24, v26
	s_delay_alu instid0(VALU_DEP_2) | instskip(NEXT) | instid1(VALU_DEP_2)
	v_dual_mul_f32 v27, 0x3fc90fda, v23 :: v_dual_sub_nc_u32 v20, v20, v25
	v_alignbit_b32 v16, v21, v16, v24
	s_delay_alu instid0(VALU_DEP_2) | instskip(NEXT) | instid1(VALU_DEP_1)
	v_fma_f32 v21, 0x3fc90fda, v23, -v27
	v_dual_fmac_f32 v21, 0x33a22168, v23 :: v_dual_lshrrev_b32 v16, 9, v16
	s_delay_alu instid0(VALU_DEP_1) | instskip(NEXT) | instid1(VALU_DEP_1)
	v_or_b32_e32 v16, v20, v16
	v_dual_fmac_f32 v21, 0x3fc90fda, v16 :: v_dual_lshrrev_b32 v16, 30, v13
	s_delay_alu instid0(VALU_DEP_1)
	v_dual_add_f32 v13, v27, v21 :: v_dual_add_nc_u32 v16, v22, v16
	s_and_not1_saveexec_b32 s0, s17
	s_cbranch_execnz .LBB138_308
	s_branch .LBB138_309
.LBB138_307:                            ;   in Loop: Header=BB138_201 Depth=1
	s_and_not1_saveexec_b32 s0, s17
.LBB138_308:                            ;   in Loop: Header=BB138_201 Depth=1
	v_mul_f32_e64 v13, 0x3f22f983, |v3|
	s_delay_alu instid0(VALU_DEP_1) | instskip(NEXT) | instid1(VALU_DEP_1)
	v_rndne_f32_e32 v16, v13
	v_fma_f32 v13, 0xbfc90fda, v16, |v3|
	s_delay_alu instid0(VALU_DEP_1) | instskip(NEXT) | instid1(VALU_DEP_1)
	v_fmac_f32_e32 v13, 0xb3a22168, v16
	v_fmac_f32_e32 v13, 0xa7c234c4, v16
	v_cvt_i32_f32_e32 v16, v16
.LBB138_309:                            ;   in Loop: Header=BB138_201 Depth=1
	s_or_b32 exec_lo, exec_lo, s0
	v_add_f32_e32 v20, 0xc322e3bc, v2
	s_delay_alu instid0(VALU_DEP_2) | instskip(NEXT) | instid1(VALU_DEP_2)
	v_dual_mul_f32 v24, v10, v10 :: v_dual_bitop2_b32 v25, 1, v16 bitop3:0x40
	v_mul_f32_e32 v21, 0x3fb8aa3b, v20
	s_delay_alu instid0(VALU_DEP_1) | instskip(SKIP_1) | instid1(VALU_DEP_1)
	v_fma_f32 v22, 0x3fb8aa3b, v20, -v21
	v_rndne_f32_e32 v23, v21
	v_dual_sub_f32 v21, v21, v23 :: v_dual_fmac_f32 v22, 0x32a5705f, v20
	v_cmp_ngt_f32_e32 vcc_lo, 0xc2ce8ed0, v20
	s_delay_alu instid0(VALU_DEP_2) | instskip(SKIP_2) | instid1(VALU_DEP_3)
	v_add_f32_e32 v21, v21, v22
	v_cvt_i32_f32_e32 v22, v23
	v_dual_lshlrev_b32 v23, 30, v11 :: v_dual_bitop2_b32 v11, 1, v11 bitop3:0x40
	v_exp_f32_e32 v21, v21
	v_nop
	s_delay_alu instid0(TRANS32_DEP_1) | instskip(SKIP_3) | instid1(VALU_DEP_4)
	v_ldexp_f32 v21, v21, v22
	v_dual_mul_f32 v22, v13, v13 :: v_dual_fmaak_f32 v27, s9, v24, 0x3c0881c4
	v_lshlrev_b32_e32 v16, 30, v16
	v_fmaak_f32 v26, s10, v24, 0xbab64f3b
	v_cndmask_b32_e32 v21, 0, v21, vcc_lo
	s_delay_alu instid0(VALU_DEP_4) | instskip(SKIP_2) | instid1(VALU_DEP_3)
	v_fmaak_f32 v28, s9, v22, 0x3c0881c4
	v_cmp_nlt_f32_e32 vcc_lo, 0x42b17218, v20
	v_and_or_b32 v12, 0x80000000, v16, v12
	v_fmaak_f32 v28, v22, v28, 0xbe2aaa9d
	s_delay_alu instid0(VALU_DEP_1) | instskip(SKIP_3) | instid1(VALU_DEP_2)
	v_mul_f32_e32 v28, v22, v28
	v_cndmask_b32_e32 v20, 0x7f800000, v21, vcc_lo
	v_fmaak_f32 v21, s10, v22, 0xbab64f3b
	v_cmp_eq_u32_e32 vcc_lo, 0, v11
	v_fmaak_f32 v21, v22, v21, 0x3d2aabf7
	s_delay_alu instid0(VALU_DEP_1) | instskip(SKIP_1) | instid1(VALU_DEP_2)
	v_fmaak_f32 v21, v22, v21, 0xbf000004
	v_dual_fmac_f32 v13, v13, v28 :: v_dual_fmaak_f32 v16, v24, v26, 0x3d2aabf7
	v_fma_f32 v21, v22, v21, 1.0
	v_dual_fmaak_f32 v26, v24, v27, 0xbe2aaa9d :: v_dual_lshrrev_b32 v27, 23, v20
	s_delay_alu instid0(VALU_DEP_3) | instskip(NEXT) | instid1(VALU_DEP_2)
	v_fmaak_f32 v16, v24, v16, 0xbf000004
	v_mul_f32_e32 v26, v24, v26
	s_delay_alu instid0(VALU_DEP_3) | instskip(NEXT) | instid1(VALU_DEP_3)
	v_subrev_nc_u32_e32 v27, 19, v27
	v_fma_f32 v16, v24, v16, 1.0
	s_delay_alu instid0(VALU_DEP_3) | instskip(NEXT) | instid1(VALU_DEP_3)
	v_fmac_f32_e32 v10, v10, v26
	v_lshrrev_b16 v24, 15, v27
	s_delay_alu instid0(VALU_DEP_2) | instskip(SKIP_1) | instid1(VALU_DEP_3)
	v_cndmask_b32_e64 v10, -v10, v16, vcc_lo
	v_cmp_eq_u32_e32 vcc_lo, 0, v25
	v_add_nc_u16 v11, v27, v24
	v_cndmask_b32_e32 v13, v21, v13, vcc_lo
	s_delay_alu instid0(VALU_DEP_2) | instskip(SKIP_1) | instid1(VALU_DEP_3)
	v_ashrrev_i16 v11, 1, v11
	v_cmp_class_f32_e64 vcc_lo, v3, 0x1f8
	v_xor3_b32 v12, v12, v13, v3
	v_and_or_b32 v13, 0x7fffff, v20, s11
	s_delay_alu instid0(VALU_DEP_4) | instskip(NEXT) | instid1(VALU_DEP_3)
	v_bfe_i32 v11, v11, 0, 16
	v_cndmask_b32_e32 v12, 0x7fc00000, v12, vcc_lo
	s_delay_alu instid0(VALU_DEP_2) | instskip(NEXT) | instid1(VALU_DEP_2)
	v_lshl_add_u32 v16, v11, 23, 1.0
	v_dual_mul_f32 v12, v12, v13 :: v_dual_sub_nc_u32 v11, v27, v11
	s_delay_alu instid0(VALU_DEP_1) | instskip(NEXT) | instid1(VALU_DEP_2)
	v_lshl_add_u32 v11, v11, 23, 1.0
	v_mul_f32_e32 v12, v12, v16
	v_bitop3_b32 v10, v23, v10, 0x80000000 bitop3:0x6c
	s_delay_alu instid0(VALU_DEP_1) | instskip(NEXT) | instid1(VALU_DEP_1)
	v_cndmask_b32_e32 v10, 0x7fc00000, v10, vcc_lo
	v_mul_f32_e32 v10, v10, v13
	s_delay_alu instid0(VALU_DEP_1) | instskip(NEXT) | instid1(VALU_DEP_1)
	v_mul_f32_e32 v10, v10, v16
	v_dual_mul_f32 v10, v10, v11 :: v_dual_mul_f32 v11, v12, v11
.LBB138_310:                            ;   in Loop: Header=BB138_201 Depth=1
	s_or_b32 exec_lo, exec_lo, s16
                                        ; implicit-def: $vgpr13
.LBB138_311:                            ;   in Loop: Header=BB138_201 Depth=1
	s_and_not1_saveexec_b32 s0, s15
	s_cbranch_execz .LBB138_315
; %bb.312:                              ;   in Loop: Header=BB138_201 Depth=1
	v_sub_f32_e32 v11, v3, v3
	s_mov_b32 s1, exec_lo
	v_cmpx_ne_u32_e32 0x7f800000, v13
	s_xor_b32 s1, exec_lo, s1
	s_delay_alu instid0(SALU_CYCLE_1)
	s_or_saveexec_b32 s1, s1
	v_mov_b32_e32 v10, v11
	s_xor_b32 exec_lo, exec_lo, s1
; %bb.313:                              ;   in Loop: Header=BB138_201 Depth=1
	v_cmp_lt_i32_e32 vcc_lo, -1, v2
	v_dual_cndmask_b32 v10, 0, v2 :: v_dual_cndmask_b32 v11, 0, v11
; %bb.314:                              ;   in Loop: Header=BB138_201 Depth=1
	s_or_b32 exec_lo, exec_lo, s1
.LBB138_315:                            ;   in Loop: Header=BB138_201 Depth=1
	s_delay_alu instid0(SALU_CYCLE_1)
	s_or_b32 exec_lo, exec_lo, s0
                                        ; implicit-def: $vgpr12
.LBB138_316:                            ;   in Loop: Header=BB138_201 Depth=1
	s_and_not1_saveexec_b32 s14, s14
	s_cbranch_execz .LBB138_326
; %bb.317:                              ;   in Loop: Header=BB138_201 Depth=1
	v_cmp_ngt_f32_e64 s15, 0x48000000, |v3|
                                        ; implicit-def: $vgpr11
                                        ; implicit-def: $vgpr10
	s_and_saveexec_b32 s0, s15
	s_delay_alu instid0(SALU_CYCLE_1)
	s_xor_b32 s16, exec_lo, s0
	s_cbranch_execz .LBB138_319
; %bb.318:                              ;   in Loop: Header=BB138_201 Depth=1
	v_and_or_b32 v16, v12, s8, 0x800000
	v_mov_b32_e32 v29, v17
	s_delay_alu instid0(VALU_DEP_2) | instskip(NEXT) | instid1(VALU_DEP_1)
	v_mul_u64_e32 v[10:11], s[4:5], v[16:17]
	v_dual_mov_b32 v21, v17 :: v_dual_mov_b32 v20, v11
	v_lshrrev_b32_e32 v11, 23, v12
	s_delay_alu instid0(VALU_DEP_2) | instskip(SKIP_1) | instid1(VALU_DEP_3)
	v_mad_nc_u64_u32 v[20:21], 0x3c439041, v16, v[20:21]
	v_mov_b32_e32 v23, v17
	v_add_nc_u32_e32 v11, 0xffffff88, v11
	s_delay_alu instid0(VALU_DEP_1) | instskip(NEXT) | instid1(VALU_DEP_4)
	v_cmp_lt_u32_e32 vcc_lo, 63, v11
	v_mov_b32_e32 v22, v21
	v_cndmask_b32_e64 v13, 0, 0xffffffc0, vcc_lo
	s_delay_alu instid0(VALU_DEP_2) | instskip(NEXT) | instid1(VALU_DEP_1)
	v_mad_nc_u64_u32 v[22:23], 0xdb629599, v16, v[22:23]
	v_dual_mov_b32 v25, v17 :: v_dual_mov_b32 v24, v23
	s_delay_alu instid0(VALU_DEP_2) | instskip(NEXT) | instid1(VALU_DEP_2)
	v_cndmask_b32_e32 v10, v22, v10, vcc_lo
	v_mad_nc_u64_u32 v[24:25], 0xf534ddc0, v16, v[24:25]
	s_delay_alu instid0(VALU_DEP_1) | instskip(NEXT) | instid1(VALU_DEP_1)
	v_dual_mov_b32 v27, v17 :: v_dual_mov_b32 v26, v25
	v_mad_nc_u64_u32 v[26:27], 0xfc2757d1, v16, v[26:27]
	s_delay_alu instid0(VALU_DEP_1) | instskip(NEXT) | instid1(VALU_DEP_1)
	v_dual_mov_b32 v28, v27 :: v_dual_cndmask_b32 v25, v26, v22
	v_mad_nc_u64_u32 v[28:29], 0x4e441529, v16, v[28:29]
	v_add_nc_u32_e32 v11, v13, v11
	s_delay_alu instid0(VALU_DEP_2) | instskip(NEXT) | instid1(VALU_DEP_1)
	v_dual_mov_b32 v31, v17 :: v_dual_mov_b32 v30, v29
	v_mad_nc_u64_u32 v[30:31], 0xa2f9836e, v16, v[30:31]
	s_delay_alu instid0(VALU_DEP_4) | instskip(NEXT) | instid1(VALU_DEP_4)
	v_cndmask_b32_e32 v16, v28, v24, vcc_lo
	v_cmp_lt_u32_e64 s0, 31, v11
	s_delay_alu instid0(VALU_DEP_1) | instskip(NEXT) | instid1(VALU_DEP_1)
	v_cndmask_b32_e64 v13, 0, 0xffffffe0, s0
	v_dual_cndmask_b32 v21, v30, v26, vcc_lo :: v_dual_add_nc_u32 v11, v13, v11
	v_cndmask_b32_e32 v23, v31, v28, vcc_lo
	s_delay_alu instid0(VALU_DEP_2) | instskip(NEXT) | instid1(VALU_DEP_1)
	v_cmp_lt_u32_e64 s1, 31, v11
	v_cndmask_b32_e64 v13, 0, 0xffffffe0, s1
	s_delay_alu instid0(VALU_DEP_1) | instskip(NEXT) | instid1(VALU_DEP_4)
	v_dual_add_nc_u32 v11, v13, v11 :: v_dual_cndmask_b32 v13, v24, v20, vcc_lo
	v_dual_cndmask_b32 v20, v21, v16, s0 :: v_dual_cndmask_b32 v21, v23, v21, s0
	s_delay_alu instid0(VALU_DEP_2) | instskip(NEXT) | instid1(VALU_DEP_3)
	v_dual_cndmask_b32 v16, v16, v25, s0 :: v_dual_sub_nc_u32 v23, 32, v11
	v_cndmask_b32_e64 v24, v25, v13, s0
	v_cmp_eq_u32_e32 vcc_lo, 0, v11
	s_delay_alu instid0(VALU_DEP_4) | instskip(NEXT) | instid1(VALU_DEP_4)
	v_cndmask_b32_e64 v21, v21, v20, s1
	v_cndmask_b32_e64 v20, v20, v16, s1
	s_delay_alu instid0(VALU_DEP_1) | instskip(NEXT) | instid1(VALU_DEP_1)
	v_alignbit_b32 v25, v21, v20, v23
	v_dual_cndmask_b32 v16, v16, v24, s1 :: v_dual_cndmask_b32 v11, v25, v21, vcc_lo
	s_delay_alu instid0(VALU_DEP_1) | instskip(NEXT) | instid1(VALU_DEP_1)
	v_alignbit_b32 v22, v20, v16, v23
	v_dual_cndmask_b32 v10, v13, v10, s0 :: v_dual_cndmask_b32 v13, v22, v20, vcc_lo
	s_delay_alu instid0(VALU_DEP_3) | instskip(NEXT) | instid1(VALU_DEP_2)
	v_bfe_u32 v20, v11, 29, 1
	v_cndmask_b32_e64 v10, v24, v10, s1
	s_delay_alu instid0(VALU_DEP_3) | instskip(NEXT) | instid1(VALU_DEP_3)
	v_alignbit_b32 v21, v11, v13, 30
	v_sub_nc_u32_e32 v22, 0, v20
	s_delay_alu instid0(VALU_DEP_3) | instskip(NEXT) | instid1(VALU_DEP_1)
	v_alignbit_b32 v23, v16, v10, v23
	v_dual_cndmask_b32 v16, v23, v16, vcc_lo :: v_dual_bitop2_b32 v21, v21, v22 bitop3:0x14
	s_delay_alu instid0(VALU_DEP_1) | instskip(NEXT) | instid1(VALU_DEP_2)
	v_clz_i32_u32_e32 v23, v21
	v_alignbit_b32 v13, v13, v16, 30
	v_alignbit_b32 v10, v16, v10, 30
	s_delay_alu instid0(VALU_DEP_3) | instskip(NEXT) | instid1(VALU_DEP_3)
	v_min_u32_e32 v23, 32, v23
	v_xor_b32_e32 v13, v13, v22
	s_delay_alu instid0(VALU_DEP_3) | instskip(SKIP_1) | instid1(VALU_DEP_4)
	v_dual_lshrrev_b32 v22, 29, v11 :: v_dual_bitop2_b32 v10, v10, v22 bitop3:0x14
	v_lshrrev_b32_e32 v11, 30, v11
	v_dual_sub_nc_u32 v16, 31, v23 :: v_dual_lshlrev_b32 v24, 23, v23
	s_delay_alu instid0(VALU_DEP_2) | instskip(NEXT) | instid1(VALU_DEP_2)
	v_add_nc_u32_e32 v11, v20, v11
	v_alignbit_b32 v21, v21, v13, v16
	v_alignbit_b32 v10, v13, v10, v16
	v_lshlrev_b32_e32 v13, 31, v22
	s_delay_alu instid0(VALU_DEP_2) | instskip(NEXT) | instid1(VALU_DEP_2)
	v_alignbit_b32 v16, v21, v10, 9
	v_or_b32_e32 v22, 0.5, v13
	v_lshrrev_b32_e32 v21, 9, v21
	v_or_b32_e32 v13, 0x33000000, v13
	s_delay_alu instid0(VALU_DEP_4) | instskip(NEXT) | instid1(VALU_DEP_4)
	v_clz_i32_u32_e32 v25, v16
	v_sub_nc_u32_e32 v22, v22, v24
	s_delay_alu instid0(VALU_DEP_2) | instskip(NEXT) | instid1(VALU_DEP_2)
	v_min_u32_e32 v24, 32, v25
	v_or_b32_e32 v21, v21, v22
	s_delay_alu instid0(VALU_DEP_2) | instskip(SKIP_1) | instid1(VALU_DEP_2)
	v_not_b32_e32 v22, v24
	v_add_lshl_u32 v23, v24, v23, 23
	v_alignbit_b32 v10, v16, v10, v22
	s_delay_alu instid0(VALU_DEP_4) | instskip(NEXT) | instid1(VALU_DEP_2)
	v_mul_f32_e32 v25, 0x3fc90fda, v21
	v_dual_sub_nc_u32 v13, v13, v23 :: v_dual_lshrrev_b32 v10, 9, v10
	s_delay_alu instid0(VALU_DEP_2) | instskip(NEXT) | instid1(VALU_DEP_2)
	v_fma_f32 v16, 0x3fc90fda, v21, -v25
	v_or_b32_e32 v10, v13, v10
	s_delay_alu instid0(VALU_DEP_2) | instskip(NEXT) | instid1(VALU_DEP_1)
	v_fmac_f32_e32 v16, 0x33a22168, v21
	v_fmac_f32_e32 v16, 0x3fc90fda, v10
	s_delay_alu instid0(VALU_DEP_1)
	v_add_f32_e32 v10, v25, v16
	s_and_not1_saveexec_b32 s0, s16
	s_branch .LBB138_320
.LBB138_319:                            ;   in Loop: Header=BB138_201 Depth=1
	s_and_not1_saveexec_b32 s0, s16
.LBB138_320:                            ;   in Loop: Header=BB138_201 Depth=1
	v_mul_f32_e64 v10, 0x3f22f983, |v3|
	s_delay_alu instid0(VALU_DEP_1) | instskip(NEXT) | instid1(VALU_DEP_1)
	v_rndne_f32_e32 v11, v10
	v_fma_f32 v10, 0xbfc90fda, v11, |v3|
	s_delay_alu instid0(VALU_DEP_1) | instskip(NEXT) | instid1(VALU_DEP_1)
	v_fmac_f32_e32 v10, 0xb3a22168, v11
	v_fmac_f32_e32 v10, 0xa7c234c4, v11
	v_cvt_i32_f32_e32 v11, v11
; %bb.321:                              ;   in Loop: Header=BB138_201 Depth=1
	s_or_b32 exec_lo, exec_lo, s0
                                        ; implicit-def: $vgpr16
                                        ; implicit-def: $vgpr13
	s_and_saveexec_b32 s0, s15
	s_delay_alu instid0(SALU_CYCLE_1)
	s_xor_b32 s15, exec_lo, s0
	s_cbranch_execz .LBB138_323
; %bb.322:                              ;   in Loop: Header=BB138_201 Depth=1
	v_and_or_b32 v16, v12, s8, 0x800000
	v_dual_lshrrev_b32 v13, 23, v12 :: v_dual_mov_b32 v31, v17
	s_delay_alu instid0(VALU_DEP_2) | instskip(SKIP_1) | instid1(VALU_DEP_3)
	v_mul_u64_e32 v[20:21], s[4:5], v[16:17]
	v_mov_b32_e32 v23, v17
	v_add_nc_u32_e32 v13, 0xffffff88, v13
	s_delay_alu instid0(VALU_DEP_1) | instskip(NEXT) | instid1(VALU_DEP_4)
	v_cmp_lt_u32_e32 vcc_lo, 63, v13
	v_mov_b32_e32 v22, v21
	v_cndmask_b32_e64 v21, 0, 0xffffffc0, vcc_lo
	s_delay_alu instid0(VALU_DEP_2) | instskip(NEXT) | instid1(VALU_DEP_1)
	v_mad_nc_u64_u32 v[22:23], 0x3c439041, v16, v[22:23]
	v_dual_mov_b32 v25, v17 :: v_dual_mov_b32 v24, v23
	s_delay_alu instid0(VALU_DEP_1) | instskip(NEXT) | instid1(VALU_DEP_1)
	v_mad_nc_u64_u32 v[24:25], 0xdb629599, v16, v[24:25]
	v_dual_mov_b32 v27, v17 :: v_dual_mov_b32 v26, v25
	s_delay_alu instid0(VALU_DEP_2) | instskip(NEXT) | instid1(VALU_DEP_2)
	v_cndmask_b32_e32 v20, v24, v20, vcc_lo
	v_mad_nc_u64_u32 v[26:27], 0xf534ddc0, v16, v[26:27]
	s_delay_alu instid0(VALU_DEP_1) | instskip(NEXT) | instid1(VALU_DEP_1)
	v_dual_mov_b32 v29, v17 :: v_dual_mov_b32 v28, v27
	v_mad_nc_u64_u32 v[28:29], 0xfc2757d1, v16, v[28:29]
	s_delay_alu instid0(VALU_DEP_1) | instskip(NEXT) | instid1(VALU_DEP_1)
	v_dual_mov_b32 v30, v29 :: v_dual_cndmask_b32 v27, v28, v24
	v_mad_nc_u64_u32 v[30:31], 0x4e441529, v16, v[30:31]
	v_add_nc_u32_e32 v13, v21, v13
	s_delay_alu instid0(VALU_DEP_2) | instskip(NEXT) | instid1(VALU_DEP_2)
	v_dual_mov_b32 v33, v17 :: v_dual_mov_b32 v32, v31
	v_cmp_lt_u32_e64 s0, 31, v13
	s_delay_alu instid0(VALU_DEP_1) | instskip(NEXT) | instid1(VALU_DEP_1)
	v_cndmask_b32_e64 v21, 0, 0xffffffe0, s0
	v_dual_add_nc_u32 v13, v21, v13 :: v_dual_cndmask_b32 v21, v30, v26, vcc_lo
	s_delay_alu instid0(VALU_DEP_4) | instskip(NEXT) | instid1(VALU_DEP_1)
	v_mad_nc_u64_u32 v[32:33], 0xa2f9836e, v16, v[32:33]
	v_cndmask_b32_e32 v23, v32, v28, vcc_lo
	s_delay_alu instid0(VALU_DEP_3) | instskip(NEXT) | instid1(VALU_DEP_3)
	v_cmp_lt_u32_e64 s1, 31, v13
	v_cndmask_b32_e32 v25, v33, v30, vcc_lo
	s_delay_alu instid0(VALU_DEP_2) | instskip(NEXT) | instid1(VALU_DEP_1)
	v_cndmask_b32_e64 v16, 0, 0xffffffe0, s1
	v_dual_cndmask_b32 v16, v26, v22 :: v_dual_add_nc_u32 v13, v16, v13
	s_delay_alu instid0(VALU_DEP_3) | instskip(NEXT) | instid1(VALU_DEP_2)
	v_dual_cndmask_b32 v22, v23, v21, s0 :: v_dual_cndmask_b32 v23, v25, v23, s0
	v_dual_cndmask_b32 v21, v21, v27, s0 :: v_dual_sub_nc_u32 v25, 32, v13
	s_delay_alu instid0(VALU_DEP_3) | instskip(SKIP_1) | instid1(VALU_DEP_3)
	v_cndmask_b32_e64 v26, v27, v16, s0
	v_cmp_eq_u32_e32 vcc_lo, 0, v13
	v_dual_cndmask_b32 v23, v23, v22, s1 :: v_dual_cndmask_b32 v22, v22, v21, s1
	v_cndmask_b32_e64 v16, v16, v20, s0
	s_delay_alu instid0(VALU_DEP_2) | instskip(NEXT) | instid1(VALU_DEP_1)
	v_alignbit_b32 v27, v23, v22, v25
	v_dual_cndmask_b32 v21, v21, v26, s1 :: v_dual_cndmask_b32 v13, v27, v23, vcc_lo
	s_delay_alu instid0(VALU_DEP_1) | instskip(NEXT) | instid1(VALU_DEP_1)
	v_alignbit_b32 v24, v22, v21, v25
	v_cndmask_b32_e32 v20, v24, v22, vcc_lo
	s_delay_alu instid0(VALU_DEP_3) | instskip(NEXT) | instid1(VALU_DEP_1)
	v_bfe_u32 v22, v13, 29, 1
	v_dual_sub_nc_u32 v24, 0, v22 :: v_dual_cndmask_b32 v16, v26, v16, s1
	s_delay_alu instid0(VALU_DEP_3) | instskip(NEXT) | instid1(VALU_DEP_2)
	v_alignbit_b32 v23, v13, v20, 30
	v_alignbit_b32 v25, v21, v16, v25
	s_delay_alu instid0(VALU_DEP_1) | instskip(NEXT) | instid1(VALU_DEP_1)
	v_dual_cndmask_b32 v21, v25, v21, vcc_lo :: v_dual_bitop2_b32 v23, v23, v24 bitop3:0x14
	v_clz_i32_u32_e32 v25, v23
	s_delay_alu instid0(VALU_DEP_2) | instskip(NEXT) | instid1(VALU_DEP_2)
	v_alignbit_b32 v20, v20, v21, 30
	v_min_u32_e32 v25, 32, v25
	v_alignbit_b32 v16, v21, v16, 30
	s_delay_alu instid0(VALU_DEP_2) | instskip(NEXT) | instid1(VALU_DEP_2)
	v_dual_sub_nc_u32 v21, 31, v25 :: v_dual_bitop2_b32 v20, v20, v24 bitop3:0x14
	v_dual_lshrrev_b32 v24, 29, v13 :: v_dual_bitop2_b32 v16, v16, v24 bitop3:0x14
	v_lshlrev_b32_e32 v26, 23, v25
	s_delay_alu instid0(VALU_DEP_3) | instskip(NEXT) | instid1(VALU_DEP_3)
	v_alignbit_b32 v23, v23, v20, v21
	v_alignbit_b32 v16, v20, v16, v21
	s_delay_alu instid0(VALU_DEP_4) | instskip(NEXT) | instid1(VALU_DEP_2)
	v_lshlrev_b32_e32 v20, 31, v24
	v_alignbit_b32 v21, v23, v16, 9
	s_delay_alu instid0(VALU_DEP_2) | instskip(SKIP_1) | instid1(VALU_DEP_3)
	v_dual_lshrrev_b32 v23, 9, v23 :: v_dual_bitop2_b32 v24, 0.5, v20 bitop3:0x54
	v_or_b32_e32 v20, 0x33000000, v20
	v_clz_i32_u32_e32 v27, v21
	s_delay_alu instid0(VALU_DEP_3) | instskip(NEXT) | instid1(VALU_DEP_2)
	v_sub_nc_u32_e32 v24, v24, v26
	v_min_u32_e32 v26, 32, v27
	s_delay_alu instid0(VALU_DEP_1) | instskip(NEXT) | instid1(VALU_DEP_3)
	v_add_lshl_u32 v25, v26, v25, 23
	v_or_b32_e32 v23, v23, v24
	v_not_b32_e32 v24, v26
	s_delay_alu instid0(VALU_DEP_2) | instskip(NEXT) | instid1(VALU_DEP_2)
	v_dual_mul_f32 v27, 0x3fc90fda, v23 :: v_dual_sub_nc_u32 v20, v20, v25
	v_alignbit_b32 v16, v21, v16, v24
	s_delay_alu instid0(VALU_DEP_2) | instskip(NEXT) | instid1(VALU_DEP_1)
	v_fma_f32 v21, 0x3fc90fda, v23, -v27
	v_dual_fmac_f32 v21, 0x33a22168, v23 :: v_dual_lshrrev_b32 v16, 9, v16
	s_delay_alu instid0(VALU_DEP_1) | instskip(NEXT) | instid1(VALU_DEP_1)
	v_or_b32_e32 v16, v20, v16
	v_dual_fmac_f32 v21, 0x3fc90fda, v16 :: v_dual_lshrrev_b32 v16, 30, v13
	s_delay_alu instid0(VALU_DEP_1)
	v_dual_add_f32 v13, v27, v21 :: v_dual_add_nc_u32 v16, v22, v16
	s_and_not1_saveexec_b32 s0, s15
	s_cbranch_execnz .LBB138_324
	s_branch .LBB138_325
.LBB138_323:                            ;   in Loop: Header=BB138_201 Depth=1
	s_and_not1_saveexec_b32 s0, s15
.LBB138_324:                            ;   in Loop: Header=BB138_201 Depth=1
	v_mul_f32_e64 v13, 0x3f22f983, |v3|
	s_delay_alu instid0(VALU_DEP_1) | instskip(NEXT) | instid1(VALU_DEP_1)
	v_rndne_f32_e32 v16, v13
	v_fma_f32 v13, 0xbfc90fda, v16, |v3|
	s_delay_alu instid0(VALU_DEP_1) | instskip(NEXT) | instid1(VALU_DEP_1)
	v_fmac_f32_e32 v13, 0xb3a22168, v16
	v_fmac_f32_e32 v13, 0xa7c234c4, v16
	v_cvt_i32_f32_e32 v16, v16
.LBB138_325:                            ;   in Loop: Header=BB138_201 Depth=1
	s_or_b32 exec_lo, exec_lo, s0
	s_delay_alu instid0(VALU_DEP_1) | instskip(NEXT) | instid1(VALU_DEP_2)
	v_dual_mul_f32 v20, v10, v10 :: v_dual_mul_f32 v21, v13, v13
	v_and_b32_e32 v27, 1, v16
	v_dual_lshlrev_b32 v11, 30, v11 :: v_dual_bitop2_b32 v22, 1, v11 bitop3:0x40
	s_delay_alu instid0(VALU_DEP_3) | instskip(NEXT) | instid1(VALU_DEP_4)
	v_fmaak_f32 v23, s9, v20, 0x3c0881c4
	v_dual_fmaak_f32 v25, s9, v21, 0x3c0881c4 :: v_dual_lshlrev_b32 v16, 30, v16
	v_fmaak_f32 v26, s10, v21, 0xbab64f3b
	s_delay_alu instid0(VALU_DEP_4) | instskip(NEXT) | instid1(VALU_DEP_4)
	v_cmp_eq_u32_e32 vcc_lo, 0, v22
	v_fmaak_f32 v23, v20, v23, 0xbe2aaa9d
	v_fmaak_f32 v24, s10, v20, 0xbab64f3b
	v_and_or_b32 v12, 0x80000000, v16, v12
	s_delay_alu instid0(VALU_DEP_3) | instskip(NEXT) | instid1(VALU_DEP_1)
	v_mul_f32_e32 v23, v20, v23
	v_dual_fmaak_f32 v25, v21, v25, 0xbe2aaa9d :: v_dual_fmac_f32 v10, v10, v23
	s_delay_alu instid0(VALU_DEP_1) | instskip(NEXT) | instid1(VALU_DEP_1)
	v_dual_fmaak_f32 v24, v20, v24, 0x3d2aabf7 :: v_dual_mul_f32 v25, v21, v25
	v_dual_fmaak_f32 v24, v20, v24, 0xbf000004 :: v_dual_fmac_f32 v13, v13, v25
	s_delay_alu instid0(VALU_DEP_1) | instskip(NEXT) | instid1(VALU_DEP_1)
	v_fma_f32 v20, v20, v24, 1.0
	v_cndmask_b32_e64 v10, -v10, v20, vcc_lo
	v_cmp_eq_u32_e32 vcc_lo, 0, v27
	v_fmaak_f32 v26, v21, v26, 0x3d2aabf7
	s_delay_alu instid0(VALU_DEP_3) | instskip(NEXT) | instid1(VALU_DEP_2)
	v_bitop3_b32 v10, v11, v10, 0x80000000 bitop3:0x6c
	v_fmaak_f32 v26, v21, v26, 0xbf000004
	s_delay_alu instid0(VALU_DEP_1) | instskip(NEXT) | instid1(VALU_DEP_1)
	v_fma_f32 v21, v21, v26, 1.0
	v_cndmask_b32_e32 v13, v21, v13, vcc_lo
	v_cmp_class_f32_e64 vcc_lo, v3, 0x1f8
	s_delay_alu instid0(VALU_DEP_2) | instskip(SKIP_1) | instid1(VALU_DEP_2)
	v_xor3_b32 v11, v12, v13, v3
	v_cndmask_b32_e32 v10, 0x7fc00000, v10, vcc_lo
	v_cndmask_b32_e32 v11, 0x7fc00000, v11, vcc_lo
.LBB138_326:                            ;   in Loop: Header=BB138_201 Depth=1
	s_or_b32 exec_lo, exec_lo, s14
.LBB138_327:                            ;   in Loop: Header=BB138_201 Depth=1
	s_and_not1_saveexec_b32 s0, s13
	s_cbranch_execz .LBB138_329
; %bb.328:                              ;   in Loop: Header=BB138_201 Depth=1
	v_mul_f32_e32 v10, 0x3fb8aa3b, v2
	v_cmp_ngt_f32_e32 vcc_lo, 0xc2ce8ed0, v2
	s_delay_alu instid0(VALU_DEP_2) | instskip(SKIP_1) | instid1(VALU_DEP_2)
	v_rndne_f32_e32 v11, v10
	v_fma_f32 v12, 0x3fb8aa3b, v2, -v10
	v_sub_f32_e32 v10, v10, v11
	s_delay_alu instid0(VALU_DEP_2) | instskip(SKIP_1) | instid1(VALU_DEP_2)
	v_fmac_f32_e32 v12, 0x32a5705f, v2
	v_cvt_i32_f32_e32 v11, v11
	v_add_f32_e32 v10, v10, v12
	s_delay_alu instid0(VALU_DEP_1) | instskip(SKIP_1) | instid1(TRANS32_DEP_1)
	v_exp_f32_e32 v10, v10
	v_nop
	v_ldexp_f32 v10, v10, v11
	s_delay_alu instid0(VALU_DEP_1) | instskip(SKIP_1) | instid1(VALU_DEP_2)
	v_dual_mov_b32 v11, v3 :: v_dual_cndmask_b32 v10, 0, v10
	v_cmp_nlt_f32_e32 vcc_lo, 0x42b17218, v2
	v_cndmask_b32_e32 v10, 0x7f800000, v10, vcc_lo
.LBB138_329:                            ;   in Loop: Header=BB138_201 Depth=1
	s_or_b32 exec_lo, exec_lo, s0
	v_and_b32_e32 v2, 0x7fffffff, v5
	s_mov_b32 s0, exec_lo
	s_delay_alu instid0(VALU_DEP_1)
	v_cmpx_ne_u32_e32 0, v2
	s_xor_b32 s13, exec_lo, s0
	s_cbranch_execz .LBB138_371
; %bb.330:                              ;   in Loop: Header=BB138_201 Depth=1
	v_and_b32_e32 v3, 0x7fffffff, v4
	s_mov_b32 s0, exec_lo
	s_delay_alu instid0(VALU_DEP_1)
	v_cmpx_ne_u32_e32 0, v3
	s_xor_b32 s14, exec_lo, s0
	s_cbranch_execz .LBB138_360
; %bb.331:                              ;   in Loop: Header=BB138_201 Depth=1
	s_mov_b32 s0, exec_lo
	v_cmpx_gt_u32_e32 0x7f800000, v2
	s_xor_b32 s15, exec_lo, s0
	s_cbranch_execz .LBB138_353
; %bb.332:                              ;   in Loop: Header=BB138_201 Depth=1
	v_add_nc_u32_e32 v3, 0xbd4e8de8, v4
	s_mov_b32 s0, exec_lo
	s_delay_alu instid0(VALU_DEP_1)
	v_cmpx_lt_u32_e32 0x8e8e5c, v3
	s_xor_b32 s16, exec_lo, s0
	s_cbranch_execz .LBB138_342
; %bb.333:                              ;   in Loop: Header=BB138_201 Depth=1
	v_cmp_ngt_f32_e64 s17, 0x48000000, |v5|
                                        ; implicit-def: $vgpr12
                                        ; implicit-def: $vgpr3
	s_and_saveexec_b32 s0, s17
	s_delay_alu instid0(SALU_CYCLE_1)
	s_xor_b32 s18, exec_lo, s0
	s_cbranch_execz .LBB138_335
; %bb.334:                              ;   in Loop: Header=BB138_201 Depth=1
	v_and_or_b32 v16, v2, s8, 0x800000
	v_dual_lshrrev_b32 v3, 23, v2 :: v_dual_mov_b32 v29, v17
	s_delay_alu instid0(VALU_DEP_2) | instskip(SKIP_1) | instid1(VALU_DEP_3)
	v_mul_u64_e32 v[12:13], s[4:5], v[16:17]
	v_mov_b32_e32 v21, v17
	v_add_nc_u32_e32 v3, 0xffffff88, v3
	s_delay_alu instid0(VALU_DEP_1) | instskip(NEXT) | instid1(VALU_DEP_4)
	v_cmp_lt_u32_e32 vcc_lo, 63, v3
	v_mov_b32_e32 v20, v13
	v_cndmask_b32_e64 v13, 0, 0xffffffc0, vcc_lo
	s_delay_alu instid0(VALU_DEP_2) | instskip(NEXT) | instid1(VALU_DEP_1)
	v_mad_nc_u64_u32 v[20:21], 0x3c439041, v16, v[20:21]
	v_dual_mov_b32 v23, v17 :: v_dual_mov_b32 v22, v21
	s_delay_alu instid0(VALU_DEP_1) | instskip(NEXT) | instid1(VALU_DEP_1)
	v_mad_nc_u64_u32 v[22:23], 0xdb629599, v16, v[22:23]
	v_dual_mov_b32 v25, v17 :: v_dual_mov_b32 v24, v23
	s_delay_alu instid0(VALU_DEP_2) | instskip(NEXT) | instid1(VALU_DEP_2)
	v_cndmask_b32_e32 v12, v22, v12, vcc_lo
	v_mad_nc_u64_u32 v[24:25], 0xf534ddc0, v16, v[24:25]
	s_delay_alu instid0(VALU_DEP_1) | instskip(NEXT) | instid1(VALU_DEP_1)
	v_dual_mov_b32 v27, v17 :: v_dual_mov_b32 v26, v25
	v_mad_nc_u64_u32 v[26:27], 0xfc2757d1, v16, v[26:27]
	s_delay_alu instid0(VALU_DEP_1) | instskip(NEXT) | instid1(VALU_DEP_1)
	v_dual_mov_b32 v28, v27 :: v_dual_cndmask_b32 v25, v26, v22
	v_mad_nc_u64_u32 v[28:29], 0x4e441529, v16, v[28:29]
	v_add_nc_u32_e32 v3, v13, v3
	s_delay_alu instid0(VALU_DEP_2) | instskip(NEXT) | instid1(VALU_DEP_1)
	v_dual_mov_b32 v31, v17 :: v_dual_mov_b32 v30, v29
	v_mad_nc_u64_u32 v[30:31], 0xa2f9836e, v16, v[30:31]
	s_delay_alu instid0(VALU_DEP_4) | instskip(NEXT) | instid1(VALU_DEP_4)
	v_cndmask_b32_e32 v16, v28, v24, vcc_lo
	v_cmp_lt_u32_e64 s0, 31, v3
	s_delay_alu instid0(VALU_DEP_1) | instskip(NEXT) | instid1(VALU_DEP_1)
	v_cndmask_b32_e64 v13, 0, 0xffffffe0, s0
	v_dual_cndmask_b32 v21, v30, v26, vcc_lo :: v_dual_add_nc_u32 v3, v13, v3
	v_cndmask_b32_e32 v23, v31, v28, vcc_lo
	s_delay_alu instid0(VALU_DEP_2) | instskip(NEXT) | instid1(VALU_DEP_1)
	v_cmp_lt_u32_e64 s1, 31, v3
	v_cndmask_b32_e64 v13, 0, 0xffffffe0, s1
	s_delay_alu instid0(VALU_DEP_1) | instskip(NEXT) | instid1(VALU_DEP_4)
	v_dual_add_nc_u32 v3, v13, v3 :: v_dual_cndmask_b32 v13, v24, v20, vcc_lo
	v_dual_cndmask_b32 v20, v21, v16, s0 :: v_dual_cndmask_b32 v21, v23, v21, s0
	s_delay_alu instid0(VALU_DEP_2) | instskip(NEXT) | instid1(VALU_DEP_3)
	v_dual_cndmask_b32 v16, v16, v25, s0 :: v_dual_sub_nc_u32 v23, 32, v3
	v_cndmask_b32_e64 v24, v25, v13, s0
	v_cmp_eq_u32_e32 vcc_lo, 0, v3
	s_delay_alu instid0(VALU_DEP_4) | instskip(NEXT) | instid1(VALU_DEP_4)
	v_cndmask_b32_e64 v21, v21, v20, s1
	v_cndmask_b32_e64 v20, v20, v16, s1
	;; [unrolled: 1-line block ×4, first 2 shown]
	s_delay_alu instid0(VALU_DEP_2) | instskip(NEXT) | instid1(VALU_DEP_2)
	v_cndmask_b32_e64 v12, v24, v12, s1
	v_alignbit_b32 v22, v20, v16, v23
	s_delay_alu instid0(VALU_DEP_1) | instskip(SKIP_1) | instid1(VALU_DEP_1)
	v_cndmask_b32_e32 v13, v22, v20, vcc_lo
	v_alignbit_b32 v25, v21, v20, v23
	v_cndmask_b32_e32 v3, v25, v21, vcc_lo
	v_alignbit_b32 v23, v16, v12, v23
	s_delay_alu instid0(VALU_DEP_2) | instskip(SKIP_1) | instid1(VALU_DEP_2)
	v_bfe_u32 v20, v3, 29, 1
	v_alignbit_b32 v21, v3, v13, 30
	v_sub_nc_u32_e32 v22, 0, v20
	s_delay_alu instid0(VALU_DEP_1) | instskip(NEXT) | instid1(VALU_DEP_1)
	v_dual_cndmask_b32 v16, v23, v16, vcc_lo :: v_dual_bitop2_b32 v21, v21, v22 bitop3:0x14
	v_alignbit_b32 v12, v16, v12, 30
	s_delay_alu instid0(VALU_DEP_2) | instskip(NEXT) | instid1(VALU_DEP_1)
	v_clz_i32_u32_e32 v23, v21
	v_min_u32_e32 v23, 32, v23
	s_delay_alu instid0(VALU_DEP_1) | instskip(SKIP_1) | instid1(VALU_DEP_1)
	v_dual_lshlrev_b32 v24, 23, v23 :: v_dual_bitop2_b32 v12, v12, v22 bitop3:0x14
	v_alignbit_b32 v13, v13, v16, 30
	v_dual_sub_nc_u32 v16, 31, v23 :: v_dual_bitop2_b32 v13, v13, v22 bitop3:0x14
	s_delay_alu instid0(VALU_DEP_1) | instskip(SKIP_2) | instid1(VALU_DEP_1)
	v_alignbit_b32 v21, v21, v13, v16
	v_lshrrev_b32_e32 v22, 29, v3
	v_alignbit_b32 v12, v13, v12, v16
	v_alignbit_b32 v16, v21, v12, 9
	s_delay_alu instid0(VALU_DEP_3) | instskip(NEXT) | instid1(VALU_DEP_2)
	v_dual_lshrrev_b32 v21, 9, v21 :: v_dual_lshlrev_b32 v13, 31, v22
	v_clz_i32_u32_e32 v25, v16
	s_delay_alu instid0(VALU_DEP_2) | instskip(NEXT) | instid1(VALU_DEP_1)
	v_or_b32_e32 v22, 0.5, v13
	v_sub_nc_u32_e32 v22, v22, v24
	s_delay_alu instid0(VALU_DEP_3) | instskip(SKIP_1) | instid1(VALU_DEP_3)
	v_min_u32_e32 v24, 32, v25
	v_or_b32_e32 v13, 0x33000000, v13
	v_or_b32_e32 v21, v21, v22
	s_delay_alu instid0(VALU_DEP_3) | instskip(SKIP_1) | instid1(VALU_DEP_2)
	v_not_b32_e32 v22, v24
	v_add_lshl_u32 v23, v24, v23, 23
	v_alignbit_b32 v12, v16, v12, v22
	s_delay_alu instid0(VALU_DEP_1) | instskip(NEXT) | instid1(VALU_DEP_1)
	v_dual_sub_nc_u32 v13, v13, v23 :: v_dual_lshrrev_b32 v12, 9, v12
	v_or_b32_e32 v12, v13, v12
	v_mul_f32_e32 v25, 0x3fc90fda, v21
	s_delay_alu instid0(VALU_DEP_1) | instskip(NEXT) | instid1(VALU_DEP_1)
	v_fma_f32 v16, 0x3fc90fda, v21, -v25
	v_fmac_f32_e32 v16, 0x33a22168, v21
	s_delay_alu instid0(VALU_DEP_1) | instskip(NEXT) | instid1(VALU_DEP_1)
	v_fmac_f32_e32 v16, 0x3fc90fda, v12
	v_dual_add_f32 v3, v25, v16 :: v_dual_lshrrev_b32 v12, 30, v3
	s_delay_alu instid0(VALU_DEP_1)
	v_add_nc_u32_e32 v12, v20, v12
	s_and_not1_saveexec_b32 s0, s18
	s_branch .LBB138_336
.LBB138_335:                            ;   in Loop: Header=BB138_201 Depth=1
	s_and_not1_saveexec_b32 s0, s18
.LBB138_336:                            ;   in Loop: Header=BB138_201 Depth=1
	v_mul_f32_e64 v3, 0x3f22f983, |v5|
	s_delay_alu instid0(VALU_DEP_1) | instskip(NEXT) | instid1(VALU_DEP_1)
	v_rndne_f32_e32 v12, v3
	v_fma_f32 v3, 0xbfc90fda, v12, |v5|
	s_delay_alu instid0(VALU_DEP_1) | instskip(NEXT) | instid1(VALU_DEP_1)
	v_fmac_f32_e32 v3, 0xb3a22168, v12
	v_fmac_f32_e32 v3, 0xa7c234c4, v12
	v_cvt_i32_f32_e32 v12, v12
; %bb.337:                              ;   in Loop: Header=BB138_201 Depth=1
	s_or_b32 exec_lo, exec_lo, s0
                                        ; implicit-def: $vgpr16
                                        ; implicit-def: $vgpr13
	s_and_saveexec_b32 s0, s17
	s_delay_alu instid0(SALU_CYCLE_1)
	s_xor_b32 s17, exec_lo, s0
	s_cbranch_execz .LBB138_339
; %bb.338:                              ;   in Loop: Header=BB138_201 Depth=1
	v_and_or_b32 v16, v2, s8, 0x800000
	v_dual_lshrrev_b32 v13, 23, v2 :: v_dual_mov_b32 v31, v17
	s_delay_alu instid0(VALU_DEP_2) | instskip(SKIP_1) | instid1(VALU_DEP_3)
	v_mul_u64_e32 v[20:21], s[4:5], v[16:17]
	v_mov_b32_e32 v23, v17
	v_add_nc_u32_e32 v13, 0xffffff88, v13
	s_delay_alu instid0(VALU_DEP_1) | instskip(NEXT) | instid1(VALU_DEP_4)
	v_cmp_lt_u32_e32 vcc_lo, 63, v13
	v_mov_b32_e32 v22, v21
	v_cndmask_b32_e64 v21, 0, 0xffffffc0, vcc_lo
	s_delay_alu instid0(VALU_DEP_2) | instskip(NEXT) | instid1(VALU_DEP_1)
	v_mad_nc_u64_u32 v[22:23], 0x3c439041, v16, v[22:23]
	v_dual_mov_b32 v25, v17 :: v_dual_mov_b32 v24, v23
	s_delay_alu instid0(VALU_DEP_1) | instskip(NEXT) | instid1(VALU_DEP_1)
	v_mad_nc_u64_u32 v[24:25], 0xdb629599, v16, v[24:25]
	v_dual_mov_b32 v27, v17 :: v_dual_mov_b32 v26, v25
	s_delay_alu instid0(VALU_DEP_2) | instskip(NEXT) | instid1(VALU_DEP_2)
	v_cndmask_b32_e32 v20, v24, v20, vcc_lo
	v_mad_nc_u64_u32 v[26:27], 0xf534ddc0, v16, v[26:27]
	s_delay_alu instid0(VALU_DEP_1) | instskip(NEXT) | instid1(VALU_DEP_1)
	v_dual_mov_b32 v29, v17 :: v_dual_mov_b32 v28, v27
	v_mad_nc_u64_u32 v[28:29], 0xfc2757d1, v16, v[28:29]
	s_delay_alu instid0(VALU_DEP_1) | instskip(NEXT) | instid1(VALU_DEP_1)
	v_dual_mov_b32 v30, v29 :: v_dual_cndmask_b32 v27, v28, v24
	v_mad_nc_u64_u32 v[30:31], 0x4e441529, v16, v[30:31]
	v_add_nc_u32_e32 v13, v21, v13
	s_delay_alu instid0(VALU_DEP_2) | instskip(NEXT) | instid1(VALU_DEP_2)
	v_dual_mov_b32 v33, v17 :: v_dual_mov_b32 v32, v31
	v_cmp_lt_u32_e64 s0, 31, v13
	s_delay_alu instid0(VALU_DEP_1) | instskip(NEXT) | instid1(VALU_DEP_1)
	v_cndmask_b32_e64 v21, 0, 0xffffffe0, s0
	v_dual_add_nc_u32 v13, v21, v13 :: v_dual_cndmask_b32 v21, v30, v26, vcc_lo
	s_delay_alu instid0(VALU_DEP_4) | instskip(NEXT) | instid1(VALU_DEP_1)
	v_mad_nc_u64_u32 v[32:33], 0xa2f9836e, v16, v[32:33]
	v_cndmask_b32_e32 v23, v32, v28, vcc_lo
	s_delay_alu instid0(VALU_DEP_3) | instskip(NEXT) | instid1(VALU_DEP_3)
	v_cmp_lt_u32_e64 s1, 31, v13
	v_cndmask_b32_e32 v25, v33, v30, vcc_lo
	s_delay_alu instid0(VALU_DEP_2) | instskip(NEXT) | instid1(VALU_DEP_1)
	v_cndmask_b32_e64 v16, 0, 0xffffffe0, s1
	v_dual_cndmask_b32 v16, v26, v22 :: v_dual_add_nc_u32 v13, v16, v13
	s_delay_alu instid0(VALU_DEP_3) | instskip(NEXT) | instid1(VALU_DEP_2)
	v_dual_cndmask_b32 v22, v23, v21, s0 :: v_dual_cndmask_b32 v23, v25, v23, s0
	v_dual_cndmask_b32 v21, v21, v27, s0 :: v_dual_sub_nc_u32 v25, 32, v13
	s_delay_alu instid0(VALU_DEP_3) | instskip(SKIP_1) | instid1(VALU_DEP_3)
	v_cndmask_b32_e64 v26, v27, v16, s0
	v_cmp_eq_u32_e32 vcc_lo, 0, v13
	v_dual_cndmask_b32 v23, v23, v22, s1 :: v_dual_cndmask_b32 v22, v22, v21, s1
	v_cndmask_b32_e64 v16, v16, v20, s0
	s_delay_alu instid0(VALU_DEP_2) | instskip(NEXT) | instid1(VALU_DEP_1)
	v_alignbit_b32 v27, v23, v22, v25
	v_dual_cndmask_b32 v21, v21, v26, s1 :: v_dual_cndmask_b32 v13, v27, v23, vcc_lo
	s_delay_alu instid0(VALU_DEP_1) | instskip(NEXT) | instid1(VALU_DEP_1)
	v_alignbit_b32 v24, v22, v21, v25
	v_cndmask_b32_e32 v20, v24, v22, vcc_lo
	s_delay_alu instid0(VALU_DEP_3) | instskip(NEXT) | instid1(VALU_DEP_1)
	v_bfe_u32 v22, v13, 29, 1
	v_dual_sub_nc_u32 v24, 0, v22 :: v_dual_cndmask_b32 v16, v26, v16, s1
	s_delay_alu instid0(VALU_DEP_3) | instskip(NEXT) | instid1(VALU_DEP_2)
	v_alignbit_b32 v23, v13, v20, 30
	v_alignbit_b32 v25, v21, v16, v25
	s_delay_alu instid0(VALU_DEP_1) | instskip(NEXT) | instid1(VALU_DEP_1)
	v_dual_cndmask_b32 v21, v25, v21, vcc_lo :: v_dual_bitop2_b32 v23, v23, v24 bitop3:0x14
	v_clz_i32_u32_e32 v25, v23
	s_delay_alu instid0(VALU_DEP_2) | instskip(NEXT) | instid1(VALU_DEP_2)
	v_alignbit_b32 v20, v20, v21, 30
	v_min_u32_e32 v25, 32, v25
	v_alignbit_b32 v16, v21, v16, 30
	s_delay_alu instid0(VALU_DEP_2) | instskip(NEXT) | instid1(VALU_DEP_2)
	v_dual_sub_nc_u32 v21, 31, v25 :: v_dual_bitop2_b32 v20, v20, v24 bitop3:0x14
	v_dual_lshrrev_b32 v24, 29, v13 :: v_dual_bitop2_b32 v16, v16, v24 bitop3:0x14
	v_lshlrev_b32_e32 v26, 23, v25
	s_delay_alu instid0(VALU_DEP_3) | instskip(NEXT) | instid1(VALU_DEP_3)
	v_alignbit_b32 v23, v23, v20, v21
	v_alignbit_b32 v16, v20, v16, v21
	s_delay_alu instid0(VALU_DEP_4) | instskip(NEXT) | instid1(VALU_DEP_2)
	v_lshlrev_b32_e32 v20, 31, v24
	v_alignbit_b32 v21, v23, v16, 9
	s_delay_alu instid0(VALU_DEP_2) | instskip(SKIP_1) | instid1(VALU_DEP_3)
	v_dual_lshrrev_b32 v23, 9, v23 :: v_dual_bitop2_b32 v24, 0.5, v20 bitop3:0x54
	v_or_b32_e32 v20, 0x33000000, v20
	v_clz_i32_u32_e32 v27, v21
	s_delay_alu instid0(VALU_DEP_3) | instskip(NEXT) | instid1(VALU_DEP_2)
	v_sub_nc_u32_e32 v24, v24, v26
	v_min_u32_e32 v26, 32, v27
	s_delay_alu instid0(VALU_DEP_1) | instskip(NEXT) | instid1(VALU_DEP_3)
	v_add_lshl_u32 v25, v26, v25, 23
	v_or_b32_e32 v23, v23, v24
	v_not_b32_e32 v24, v26
	s_delay_alu instid0(VALU_DEP_2) | instskip(NEXT) | instid1(VALU_DEP_2)
	v_dual_mul_f32 v27, 0x3fc90fda, v23 :: v_dual_sub_nc_u32 v20, v20, v25
	v_alignbit_b32 v16, v21, v16, v24
	s_delay_alu instid0(VALU_DEP_2) | instskip(NEXT) | instid1(VALU_DEP_1)
	v_fma_f32 v21, 0x3fc90fda, v23, -v27
	v_dual_fmac_f32 v21, 0x33a22168, v23 :: v_dual_lshrrev_b32 v16, 9, v16
	s_delay_alu instid0(VALU_DEP_1) | instskip(NEXT) | instid1(VALU_DEP_1)
	v_or_b32_e32 v16, v20, v16
	v_dual_fmac_f32 v21, 0x3fc90fda, v16 :: v_dual_lshrrev_b32 v16, 30, v13
	s_delay_alu instid0(VALU_DEP_1)
	v_dual_add_f32 v13, v27, v21 :: v_dual_add_nc_u32 v16, v22, v16
	s_and_not1_saveexec_b32 s0, s17
	s_cbranch_execnz .LBB138_340
	s_branch .LBB138_341
.LBB138_339:                            ;   in Loop: Header=BB138_201 Depth=1
	s_and_not1_saveexec_b32 s0, s17
.LBB138_340:                            ;   in Loop: Header=BB138_201 Depth=1
	v_mul_f32_e64 v13, 0x3f22f983, |v5|
	s_delay_alu instid0(VALU_DEP_1) | instskip(NEXT) | instid1(VALU_DEP_1)
	v_rndne_f32_e32 v16, v13
	v_fma_f32 v13, 0xbfc90fda, v16, |v5|
	s_delay_alu instid0(VALU_DEP_1) | instskip(NEXT) | instid1(VALU_DEP_1)
	v_fmac_f32_e32 v13, 0xb3a22168, v16
	v_fmac_f32_e32 v13, 0xa7c234c4, v16
	v_cvt_i32_f32_e32 v16, v16
.LBB138_341:                            ;   in Loop: Header=BB138_201 Depth=1
	s_or_b32 exec_lo, exec_lo, s0
	s_delay_alu instid0(VALU_DEP_1) | instskip(SKIP_2) | instid1(VALU_DEP_3)
	v_dual_mul_f32 v23, v13, v13 :: v_dual_bitop2_b32 v22, 1, v12 bitop3:0x40
	v_dual_mul_f32 v20, 0x3fb8aa3b, v4 :: v_dual_mul_f32 v21, v3, v3
	v_cmp_nlt_f32_e64 s0, 0x42b17218, v4
	v_cmp_eq_u32_e32 vcc_lo, 0, v22
	s_delay_alu instid0(VALU_DEP_4) | instskip(NEXT) | instid1(VALU_DEP_4)
	v_fmaak_f32 v28, s9, v23, 0x3c0881c4
	v_rndne_f32_e32 v24, v20
	v_fmaak_f32 v27, s10, v21, 0xbab64f3b
	v_fma_f32 v25, 0x3fb8aa3b, v4, -v20
	v_lshlrev_b32_e32 v12, 30, v12
	v_fmaak_f32 v28, v23, v28, 0xbe2aaa9d
	s_delay_alu instid0(VALU_DEP_4) | instskip(SKIP_1) | instid1(VALU_DEP_3)
	v_dual_sub_f32 v20, v20, v24 :: v_dual_fmaak_f32 v27, v21, v27, 0x3d2aabf7
	v_cvt_i32_f32_e32 v24, v24
	v_mul_f32_e32 v28, v23, v28
	v_fmaak_f32 v26, s9, v21, 0x3c0881c4
	s_delay_alu instid0(VALU_DEP_4) | instskip(NEXT) | instid1(VALU_DEP_3)
	v_fmaak_f32 v27, v21, v27, 0xbf000004
	v_fmac_f32_e32 v13, v13, v28
	s_delay_alu instid0(VALU_DEP_3) | instskip(NEXT) | instid1(VALU_DEP_1)
	v_fmaak_f32 v26, v21, v26, 0xbe2aaa9d
	v_dual_fmac_f32 v25, 0x32a5705f, v4 :: v_dual_mul_f32 v26, v21, v26
	s_delay_alu instid0(VALU_DEP_1) | instskip(SKIP_1) | instid1(VALU_DEP_3)
	v_dual_fmaak_f32 v29, s10, v23, 0xbab64f3b :: v_dual_add_f32 v20, v20, v25
	v_fma_f32 v21, v21, v27, 1.0
	v_fmac_f32_e32 v3, v3, v26
	s_delay_alu instid0(VALU_DEP_3) | instskip(NEXT) | instid1(VALU_DEP_4)
	v_fmaak_f32 v25, v23, v29, 0x3d2aabf7
	v_exp_f32_e32 v20, v20
	s_delay_alu instid0(VALU_DEP_2) | instskip(NEXT) | instid1(TRANS32_DEP_1)
	v_cndmask_b32_e64 v3, -v3, v21, vcc_lo
	v_ldexp_f32 v20, v20, v24
	v_dual_lshlrev_b32 v16, 30, v16 :: v_dual_bitop2_b32 v24, 1, v16 bitop3:0x40
	v_fmaak_f32 v25, v23, v25, 0xbf000004
	s_delay_alu instid0(VALU_DEP_4) | instskip(NEXT) | instid1(VALU_DEP_3)
	v_bitop3_b32 v3, v12, v3, 0x80000000 bitop3:0x6c
	v_cmp_eq_u32_e32 vcc_lo, 0, v24
	s_delay_alu instid0(VALU_DEP_4) | instskip(NEXT) | instid1(VALU_DEP_4)
	v_and_or_b32 v2, 0x80000000, v16, v2
	v_fma_f32 v23, v23, v25, 1.0
	s_delay_alu instid0(VALU_DEP_1) | instskip(SKIP_1) | instid1(VALU_DEP_2)
	v_cndmask_b32_e32 v13, v23, v13, vcc_lo
	v_cmp_ngt_f32_e32 vcc_lo, 0xc2ce8ed0, v4
	v_xor3_b32 v2, v2, v13, v5
	v_cndmask_b32_e32 v16, 0, v20, vcc_lo
	v_cmp_class_f32_e64 vcc_lo, v5, 0x1f8
	s_delay_alu instid0(VALU_DEP_2) | instskip(SKIP_2) | instid1(VALU_DEP_1)
	v_cndmask_b32_e64 v4, 0x7f800000, v16, s0
	v_cndmask_b32_e32 v3, 0x7fc00000, v3, vcc_lo
	v_cndmask_b32_e32 v2, 0x7fc00000, v2, vcc_lo
	v_dual_mul_f32 v12, v4, v3 :: v_dual_mul_f32 v13, v4, v2
                                        ; implicit-def: $vgpr2_vgpr3_vgpr4_vgpr5
                                        ; implicit-def: $vgpr2
.LBB138_342:                            ;   in Loop: Header=BB138_201 Depth=1
	s_and_not1_saveexec_b32 s16, s16
	s_cbranch_execz .LBB138_352
; %bb.343:                              ;   in Loop: Header=BB138_201 Depth=1
	v_cmp_ngt_f32_e64 s17, 0x48000000, |v5|
                                        ; implicit-def: $vgpr12
                                        ; implicit-def: $vgpr3
	s_and_saveexec_b32 s0, s17
	s_delay_alu instid0(SALU_CYCLE_1)
	s_xor_b32 s18, exec_lo, s0
	s_cbranch_execz .LBB138_345
; %bb.344:                              ;   in Loop: Header=BB138_201 Depth=1
	v_and_or_b32 v16, v2, s8, 0x800000
	v_dual_lshrrev_b32 v3, 23, v2 :: v_dual_mov_b32 v29, v17
	s_delay_alu instid0(VALU_DEP_2) | instskip(SKIP_1) | instid1(VALU_DEP_3)
	v_mul_u64_e32 v[12:13], s[4:5], v[16:17]
	v_mov_b32_e32 v21, v17
	v_add_nc_u32_e32 v3, 0xffffff88, v3
	s_delay_alu instid0(VALU_DEP_1) | instskip(NEXT) | instid1(VALU_DEP_4)
	v_cmp_lt_u32_e32 vcc_lo, 63, v3
	v_mov_b32_e32 v20, v13
	v_cndmask_b32_e64 v13, 0, 0xffffffc0, vcc_lo
	s_delay_alu instid0(VALU_DEP_2) | instskip(NEXT) | instid1(VALU_DEP_1)
	v_mad_nc_u64_u32 v[20:21], 0x3c439041, v16, v[20:21]
	v_dual_mov_b32 v23, v17 :: v_dual_mov_b32 v22, v21
	s_delay_alu instid0(VALU_DEP_1) | instskip(NEXT) | instid1(VALU_DEP_1)
	v_mad_nc_u64_u32 v[22:23], 0xdb629599, v16, v[22:23]
	v_dual_mov_b32 v25, v17 :: v_dual_mov_b32 v24, v23
	s_delay_alu instid0(VALU_DEP_2) | instskip(NEXT) | instid1(VALU_DEP_2)
	v_cndmask_b32_e32 v12, v22, v12, vcc_lo
	v_mad_nc_u64_u32 v[24:25], 0xf534ddc0, v16, v[24:25]
	s_delay_alu instid0(VALU_DEP_1) | instskip(NEXT) | instid1(VALU_DEP_1)
	v_dual_mov_b32 v27, v17 :: v_dual_mov_b32 v26, v25
	v_mad_nc_u64_u32 v[26:27], 0xfc2757d1, v16, v[26:27]
	s_delay_alu instid0(VALU_DEP_1) | instskip(NEXT) | instid1(VALU_DEP_1)
	v_dual_mov_b32 v28, v27 :: v_dual_cndmask_b32 v25, v26, v22
	v_mad_nc_u64_u32 v[28:29], 0x4e441529, v16, v[28:29]
	v_add_nc_u32_e32 v3, v13, v3
	s_delay_alu instid0(VALU_DEP_2) | instskip(NEXT) | instid1(VALU_DEP_1)
	v_dual_mov_b32 v31, v17 :: v_dual_mov_b32 v30, v29
	v_mad_nc_u64_u32 v[30:31], 0xa2f9836e, v16, v[30:31]
	s_delay_alu instid0(VALU_DEP_4) | instskip(NEXT) | instid1(VALU_DEP_4)
	v_cndmask_b32_e32 v16, v28, v24, vcc_lo
	v_cmp_lt_u32_e64 s0, 31, v3
	s_delay_alu instid0(VALU_DEP_1) | instskip(NEXT) | instid1(VALU_DEP_1)
	v_cndmask_b32_e64 v13, 0, 0xffffffe0, s0
	v_dual_cndmask_b32 v21, v30, v26, vcc_lo :: v_dual_add_nc_u32 v3, v13, v3
	v_cndmask_b32_e32 v23, v31, v28, vcc_lo
	s_delay_alu instid0(VALU_DEP_2) | instskip(NEXT) | instid1(VALU_DEP_1)
	v_cmp_lt_u32_e64 s1, 31, v3
	v_cndmask_b32_e64 v13, 0, 0xffffffe0, s1
	s_delay_alu instid0(VALU_DEP_1) | instskip(NEXT) | instid1(VALU_DEP_4)
	v_dual_add_nc_u32 v3, v13, v3 :: v_dual_cndmask_b32 v13, v24, v20, vcc_lo
	v_dual_cndmask_b32 v20, v21, v16, s0 :: v_dual_cndmask_b32 v21, v23, v21, s0
	s_delay_alu instid0(VALU_DEP_2) | instskip(NEXT) | instid1(VALU_DEP_3)
	v_dual_cndmask_b32 v16, v16, v25, s0 :: v_dual_sub_nc_u32 v23, 32, v3
	v_cndmask_b32_e64 v24, v25, v13, s0
	v_cmp_eq_u32_e32 vcc_lo, 0, v3
	s_delay_alu instid0(VALU_DEP_4) | instskip(NEXT) | instid1(VALU_DEP_4)
	v_cndmask_b32_e64 v21, v21, v20, s1
	v_cndmask_b32_e64 v20, v20, v16, s1
	;; [unrolled: 1-line block ×4, first 2 shown]
	s_delay_alu instid0(VALU_DEP_2) | instskip(NEXT) | instid1(VALU_DEP_2)
	v_cndmask_b32_e64 v12, v24, v12, s1
	v_alignbit_b32 v22, v20, v16, v23
	s_delay_alu instid0(VALU_DEP_1) | instskip(SKIP_1) | instid1(VALU_DEP_1)
	v_cndmask_b32_e32 v13, v22, v20, vcc_lo
	v_alignbit_b32 v25, v21, v20, v23
	v_cndmask_b32_e32 v3, v25, v21, vcc_lo
	v_alignbit_b32 v23, v16, v12, v23
	s_delay_alu instid0(VALU_DEP_2) | instskip(SKIP_1) | instid1(VALU_DEP_2)
	v_bfe_u32 v20, v3, 29, 1
	v_alignbit_b32 v21, v3, v13, 30
	v_sub_nc_u32_e32 v22, 0, v20
	s_delay_alu instid0(VALU_DEP_1) | instskip(NEXT) | instid1(VALU_DEP_1)
	v_dual_cndmask_b32 v16, v23, v16, vcc_lo :: v_dual_bitop2_b32 v21, v21, v22 bitop3:0x14
	v_alignbit_b32 v12, v16, v12, 30
	s_delay_alu instid0(VALU_DEP_2) | instskip(NEXT) | instid1(VALU_DEP_1)
	v_clz_i32_u32_e32 v23, v21
	v_min_u32_e32 v23, 32, v23
	s_delay_alu instid0(VALU_DEP_1) | instskip(SKIP_1) | instid1(VALU_DEP_1)
	v_dual_lshlrev_b32 v24, 23, v23 :: v_dual_bitop2_b32 v12, v12, v22 bitop3:0x14
	v_alignbit_b32 v13, v13, v16, 30
	v_dual_sub_nc_u32 v16, 31, v23 :: v_dual_bitop2_b32 v13, v13, v22 bitop3:0x14
	s_delay_alu instid0(VALU_DEP_1) | instskip(SKIP_2) | instid1(VALU_DEP_1)
	v_alignbit_b32 v21, v21, v13, v16
	v_lshrrev_b32_e32 v22, 29, v3
	v_alignbit_b32 v12, v13, v12, v16
	v_alignbit_b32 v16, v21, v12, 9
	s_delay_alu instid0(VALU_DEP_3) | instskip(NEXT) | instid1(VALU_DEP_2)
	v_dual_lshrrev_b32 v21, 9, v21 :: v_dual_lshlrev_b32 v13, 31, v22
	v_clz_i32_u32_e32 v25, v16
	s_delay_alu instid0(VALU_DEP_2) | instskip(NEXT) | instid1(VALU_DEP_1)
	v_or_b32_e32 v22, 0.5, v13
	v_sub_nc_u32_e32 v22, v22, v24
	s_delay_alu instid0(VALU_DEP_3) | instskip(SKIP_1) | instid1(VALU_DEP_3)
	v_min_u32_e32 v24, 32, v25
	v_or_b32_e32 v13, 0x33000000, v13
	v_or_b32_e32 v21, v21, v22
	s_delay_alu instid0(VALU_DEP_3) | instskip(SKIP_1) | instid1(VALU_DEP_2)
	v_not_b32_e32 v22, v24
	v_add_lshl_u32 v23, v24, v23, 23
	v_alignbit_b32 v12, v16, v12, v22
	s_delay_alu instid0(VALU_DEP_1) | instskip(NEXT) | instid1(VALU_DEP_1)
	v_dual_sub_nc_u32 v13, v13, v23 :: v_dual_lshrrev_b32 v12, 9, v12
	v_or_b32_e32 v12, v13, v12
	v_mul_f32_e32 v25, 0x3fc90fda, v21
	s_delay_alu instid0(VALU_DEP_1) | instskip(NEXT) | instid1(VALU_DEP_1)
	v_fma_f32 v16, 0x3fc90fda, v21, -v25
	v_fmac_f32_e32 v16, 0x33a22168, v21
	s_delay_alu instid0(VALU_DEP_1) | instskip(NEXT) | instid1(VALU_DEP_1)
	v_fmac_f32_e32 v16, 0x3fc90fda, v12
	v_dual_add_f32 v3, v25, v16 :: v_dual_lshrrev_b32 v12, 30, v3
	s_delay_alu instid0(VALU_DEP_1)
	v_add_nc_u32_e32 v12, v20, v12
	s_and_not1_saveexec_b32 s0, s18
	s_branch .LBB138_346
.LBB138_345:                            ;   in Loop: Header=BB138_201 Depth=1
	s_and_not1_saveexec_b32 s0, s18
.LBB138_346:                            ;   in Loop: Header=BB138_201 Depth=1
	v_mul_f32_e64 v3, 0x3f22f983, |v5|
	s_delay_alu instid0(VALU_DEP_1) | instskip(NEXT) | instid1(VALU_DEP_1)
	v_rndne_f32_e32 v12, v3
	v_fma_f32 v3, 0xbfc90fda, v12, |v5|
	s_delay_alu instid0(VALU_DEP_1) | instskip(NEXT) | instid1(VALU_DEP_1)
	v_fmac_f32_e32 v3, 0xb3a22168, v12
	v_fmac_f32_e32 v3, 0xa7c234c4, v12
	v_cvt_i32_f32_e32 v12, v12
; %bb.347:                              ;   in Loop: Header=BB138_201 Depth=1
	s_or_b32 exec_lo, exec_lo, s0
                                        ; implicit-def: $vgpr16
                                        ; implicit-def: $vgpr13
	s_and_saveexec_b32 s0, s17
	s_delay_alu instid0(SALU_CYCLE_1)
	s_xor_b32 s17, exec_lo, s0
	s_cbranch_execz .LBB138_349
; %bb.348:                              ;   in Loop: Header=BB138_201 Depth=1
	v_and_or_b32 v16, v2, s8, 0x800000
	v_dual_lshrrev_b32 v13, 23, v2 :: v_dual_mov_b32 v31, v17
	s_delay_alu instid0(VALU_DEP_2) | instskip(SKIP_1) | instid1(VALU_DEP_3)
	v_mul_u64_e32 v[20:21], s[4:5], v[16:17]
	v_mov_b32_e32 v23, v17
	v_add_nc_u32_e32 v13, 0xffffff88, v13
	s_delay_alu instid0(VALU_DEP_1) | instskip(NEXT) | instid1(VALU_DEP_4)
	v_cmp_lt_u32_e32 vcc_lo, 63, v13
	v_mov_b32_e32 v22, v21
	v_cndmask_b32_e64 v21, 0, 0xffffffc0, vcc_lo
	s_delay_alu instid0(VALU_DEP_2) | instskip(NEXT) | instid1(VALU_DEP_1)
	v_mad_nc_u64_u32 v[22:23], 0x3c439041, v16, v[22:23]
	v_dual_mov_b32 v25, v17 :: v_dual_mov_b32 v24, v23
	s_delay_alu instid0(VALU_DEP_1) | instskip(NEXT) | instid1(VALU_DEP_1)
	v_mad_nc_u64_u32 v[24:25], 0xdb629599, v16, v[24:25]
	v_dual_mov_b32 v27, v17 :: v_dual_mov_b32 v26, v25
	s_delay_alu instid0(VALU_DEP_2) | instskip(NEXT) | instid1(VALU_DEP_2)
	v_cndmask_b32_e32 v20, v24, v20, vcc_lo
	v_mad_nc_u64_u32 v[26:27], 0xf534ddc0, v16, v[26:27]
	s_delay_alu instid0(VALU_DEP_1) | instskip(NEXT) | instid1(VALU_DEP_1)
	v_dual_mov_b32 v29, v17 :: v_dual_mov_b32 v28, v27
	v_mad_nc_u64_u32 v[28:29], 0xfc2757d1, v16, v[28:29]
	s_delay_alu instid0(VALU_DEP_1) | instskip(NEXT) | instid1(VALU_DEP_1)
	v_dual_mov_b32 v30, v29 :: v_dual_cndmask_b32 v27, v28, v24
	v_mad_nc_u64_u32 v[30:31], 0x4e441529, v16, v[30:31]
	v_add_nc_u32_e32 v13, v21, v13
	s_delay_alu instid0(VALU_DEP_2) | instskip(NEXT) | instid1(VALU_DEP_2)
	v_dual_mov_b32 v33, v17 :: v_dual_mov_b32 v32, v31
	v_cmp_lt_u32_e64 s0, 31, v13
	s_delay_alu instid0(VALU_DEP_1) | instskip(NEXT) | instid1(VALU_DEP_1)
	v_cndmask_b32_e64 v21, 0, 0xffffffe0, s0
	v_dual_add_nc_u32 v13, v21, v13 :: v_dual_cndmask_b32 v21, v30, v26, vcc_lo
	s_delay_alu instid0(VALU_DEP_4) | instskip(NEXT) | instid1(VALU_DEP_1)
	v_mad_nc_u64_u32 v[32:33], 0xa2f9836e, v16, v[32:33]
	v_cndmask_b32_e32 v23, v32, v28, vcc_lo
	s_delay_alu instid0(VALU_DEP_3) | instskip(NEXT) | instid1(VALU_DEP_3)
	v_cmp_lt_u32_e64 s1, 31, v13
	v_cndmask_b32_e32 v25, v33, v30, vcc_lo
	s_delay_alu instid0(VALU_DEP_2) | instskip(NEXT) | instid1(VALU_DEP_1)
	v_cndmask_b32_e64 v16, 0, 0xffffffe0, s1
	v_dual_cndmask_b32 v16, v26, v22 :: v_dual_add_nc_u32 v13, v16, v13
	s_delay_alu instid0(VALU_DEP_3) | instskip(NEXT) | instid1(VALU_DEP_2)
	v_dual_cndmask_b32 v22, v23, v21, s0 :: v_dual_cndmask_b32 v23, v25, v23, s0
	v_dual_cndmask_b32 v21, v21, v27, s0 :: v_dual_sub_nc_u32 v25, 32, v13
	s_delay_alu instid0(VALU_DEP_3) | instskip(SKIP_1) | instid1(VALU_DEP_3)
	v_cndmask_b32_e64 v26, v27, v16, s0
	v_cmp_eq_u32_e32 vcc_lo, 0, v13
	v_dual_cndmask_b32 v23, v23, v22, s1 :: v_dual_cndmask_b32 v22, v22, v21, s1
	v_cndmask_b32_e64 v16, v16, v20, s0
	s_delay_alu instid0(VALU_DEP_2) | instskip(NEXT) | instid1(VALU_DEP_1)
	v_alignbit_b32 v27, v23, v22, v25
	v_dual_cndmask_b32 v21, v21, v26, s1 :: v_dual_cndmask_b32 v13, v27, v23, vcc_lo
	s_delay_alu instid0(VALU_DEP_1) | instskip(NEXT) | instid1(VALU_DEP_1)
	v_alignbit_b32 v24, v22, v21, v25
	v_cndmask_b32_e32 v20, v24, v22, vcc_lo
	s_delay_alu instid0(VALU_DEP_3) | instskip(NEXT) | instid1(VALU_DEP_1)
	v_bfe_u32 v22, v13, 29, 1
	v_dual_sub_nc_u32 v24, 0, v22 :: v_dual_cndmask_b32 v16, v26, v16, s1
	s_delay_alu instid0(VALU_DEP_3) | instskip(NEXT) | instid1(VALU_DEP_2)
	v_alignbit_b32 v23, v13, v20, 30
	v_alignbit_b32 v25, v21, v16, v25
	s_delay_alu instid0(VALU_DEP_1) | instskip(NEXT) | instid1(VALU_DEP_1)
	v_dual_cndmask_b32 v21, v25, v21, vcc_lo :: v_dual_bitop2_b32 v23, v23, v24 bitop3:0x14
	v_clz_i32_u32_e32 v25, v23
	s_delay_alu instid0(VALU_DEP_2) | instskip(NEXT) | instid1(VALU_DEP_2)
	v_alignbit_b32 v20, v20, v21, 30
	v_min_u32_e32 v25, 32, v25
	v_alignbit_b32 v16, v21, v16, 30
	s_delay_alu instid0(VALU_DEP_2) | instskip(NEXT) | instid1(VALU_DEP_2)
	v_dual_sub_nc_u32 v21, 31, v25 :: v_dual_bitop2_b32 v20, v20, v24 bitop3:0x14
	v_dual_lshrrev_b32 v24, 29, v13 :: v_dual_bitop2_b32 v16, v16, v24 bitop3:0x14
	v_lshlrev_b32_e32 v26, 23, v25
	s_delay_alu instid0(VALU_DEP_3) | instskip(NEXT) | instid1(VALU_DEP_3)
	v_alignbit_b32 v23, v23, v20, v21
	v_alignbit_b32 v16, v20, v16, v21
	s_delay_alu instid0(VALU_DEP_4) | instskip(NEXT) | instid1(VALU_DEP_2)
	v_lshlrev_b32_e32 v20, 31, v24
	v_alignbit_b32 v21, v23, v16, 9
	s_delay_alu instid0(VALU_DEP_2) | instskip(SKIP_1) | instid1(VALU_DEP_3)
	v_dual_lshrrev_b32 v23, 9, v23 :: v_dual_bitop2_b32 v24, 0.5, v20 bitop3:0x54
	v_or_b32_e32 v20, 0x33000000, v20
	v_clz_i32_u32_e32 v27, v21
	s_delay_alu instid0(VALU_DEP_3) | instskip(NEXT) | instid1(VALU_DEP_2)
	v_sub_nc_u32_e32 v24, v24, v26
	v_min_u32_e32 v26, 32, v27
	s_delay_alu instid0(VALU_DEP_1) | instskip(NEXT) | instid1(VALU_DEP_3)
	v_add_lshl_u32 v25, v26, v25, 23
	v_or_b32_e32 v23, v23, v24
	v_not_b32_e32 v24, v26
	s_delay_alu instid0(VALU_DEP_2) | instskip(NEXT) | instid1(VALU_DEP_2)
	v_dual_mul_f32 v27, 0x3fc90fda, v23 :: v_dual_sub_nc_u32 v20, v20, v25
	v_alignbit_b32 v16, v21, v16, v24
	s_delay_alu instid0(VALU_DEP_2) | instskip(NEXT) | instid1(VALU_DEP_1)
	v_fma_f32 v21, 0x3fc90fda, v23, -v27
	v_dual_fmac_f32 v21, 0x33a22168, v23 :: v_dual_lshrrev_b32 v16, 9, v16
	s_delay_alu instid0(VALU_DEP_1) | instskip(NEXT) | instid1(VALU_DEP_1)
	v_or_b32_e32 v16, v20, v16
	v_dual_fmac_f32 v21, 0x3fc90fda, v16 :: v_dual_lshrrev_b32 v16, 30, v13
	s_delay_alu instid0(VALU_DEP_1)
	v_dual_add_f32 v13, v27, v21 :: v_dual_add_nc_u32 v16, v22, v16
	s_and_not1_saveexec_b32 s0, s17
	s_cbranch_execnz .LBB138_350
	s_branch .LBB138_351
.LBB138_349:                            ;   in Loop: Header=BB138_201 Depth=1
	s_and_not1_saveexec_b32 s0, s17
.LBB138_350:                            ;   in Loop: Header=BB138_201 Depth=1
	v_mul_f32_e64 v13, 0x3f22f983, |v5|
	s_delay_alu instid0(VALU_DEP_1) | instskip(NEXT) | instid1(VALU_DEP_1)
	v_rndne_f32_e32 v16, v13
	v_fma_f32 v13, 0xbfc90fda, v16, |v5|
	s_delay_alu instid0(VALU_DEP_1) | instskip(NEXT) | instid1(VALU_DEP_1)
	v_fmac_f32_e32 v13, 0xb3a22168, v16
	v_fmac_f32_e32 v13, 0xa7c234c4, v16
	v_cvt_i32_f32_e32 v16, v16
.LBB138_351:                            ;   in Loop: Header=BB138_201 Depth=1
	s_or_b32 exec_lo, exec_lo, s0
	v_dual_add_f32 v4, 0xc322e3bc, v4 :: v_dual_mul_f32 v23, v3, v3
	s_delay_alu instid0(VALU_DEP_2) | instskip(NEXT) | instid1(VALU_DEP_2)
	v_dual_lshlrev_b32 v16, 30, v16 :: v_dual_bitop2_b32 v24, 1, v16 bitop3:0x40
	v_mul_f32_e32 v20, 0x3fb8aa3b, v4
	v_cmp_ngt_f32_e32 vcc_lo, 0xc2ce8ed0, v4
	s_delay_alu instid0(VALU_DEP_3) | instskip(NEXT) | instid1(VALU_DEP_3)
	v_and_or_b32 v2, 0x80000000, v16, v2
	v_fma_f32 v21, 0x3fb8aa3b, v4, -v20
	v_rndne_f32_e32 v22, v20
	s_delay_alu instid0(VALU_DEP_1) | instskip(NEXT) | instid1(VALU_DEP_1)
	v_dual_fmac_f32 v21, 0x32a5705f, v4 :: v_dual_sub_f32 v20, v20, v22
	v_add_f32_e32 v20, v20, v21
	v_cvt_i32_f32_e32 v21, v22
	v_lshlrev_b32_e32 v22, 30, v12
	s_delay_alu instid0(VALU_DEP_3) | instskip(SKIP_1) | instid1(TRANS32_DEP_1)
	v_exp_f32_e32 v20, v20
	v_nop
	v_ldexp_f32 v20, v20, v21
	v_mul_f32_e32 v21, v13, v13
	v_fmaak_f32 v25, s10, v23, 0xbab64f3b
	s_delay_alu instid0(VALU_DEP_2) | instskip(NEXT) | instid1(VALU_DEP_4)
	v_dual_fmaak_f32 v26, s9, v23, 0x3c0881c4 :: v_dual_fmaak_f32 v27, s9, v21, 0x3c0881c4
	v_cndmask_b32_e32 v20, 0, v20, vcc_lo
	v_cmp_nlt_f32_e32 vcc_lo, 0x42b17218, v4
	s_delay_alu instid0(VALU_DEP_4) | instskip(NEXT) | instid1(VALU_DEP_4)
	v_fmaak_f32 v16, v23, v25, 0x3d2aabf7
	v_fmaak_f32 v25, v23, v26, 0xbe2aaa9d
	;; [unrolled: 1-line block ×3, first 2 shown]
	v_and_b32_e32 v12, 1, v12
	v_cndmask_b32_e32 v4, 0x7f800000, v20, vcc_lo
	v_fmaak_f32 v20, s10, v21, 0xbab64f3b
	s_delay_alu instid0(VALU_DEP_4) | instskip(NEXT) | instid1(VALU_DEP_4)
	v_dual_mul_f32 v25, v23, v25 :: v_dual_mul_f32 v27, v21, v27
	v_cmp_eq_u32_e32 vcc_lo, 0, v12
	s_delay_alu instid0(VALU_DEP_4) | instskip(SKIP_1) | instid1(VALU_DEP_4)
	v_lshrrev_b32_e32 v26, 23, v4
	v_and_or_b32 v4, 0x7fffff, v4, s11
	v_dual_fmac_f32 v3, v3, v25 :: v_dual_fmac_f32 v13, v13, v27
	s_delay_alu instid0(VALU_DEP_3) | instskip(SKIP_1) | instid1(VALU_DEP_1)
	v_subrev_nc_u32_e32 v26, 19, v26
	v_fmaak_f32 v20, v21, v20, 0x3d2aabf7
	v_fmaak_f32 v20, v21, v20, 0xbf000004
	s_delay_alu instid0(VALU_DEP_1) | instskip(SKIP_1) | instid1(VALU_DEP_1)
	v_fma_f32 v20, v21, v20, 1.0
	v_fmaak_f32 v16, v23, v16, 0xbf000004
	v_fma_f32 v16, v23, v16, 1.0
	v_lshrrev_b16 v23, 15, v26
	s_delay_alu instid0(VALU_DEP_2) | instskip(SKIP_1) | instid1(VALU_DEP_3)
	v_cndmask_b32_e64 v3, -v3, v16, vcc_lo
	v_cmp_eq_u32_e32 vcc_lo, 0, v24
	v_add_nc_u16 v12, v26, v23
	s_delay_alu instid0(VALU_DEP_3) | instskip(SKIP_1) | instid1(VALU_DEP_3)
	v_bitop3_b32 v3, v22, v3, 0x80000000 bitop3:0x6c
	v_cndmask_b32_e32 v13, v20, v13, vcc_lo
	v_ashrrev_i16 v12, 1, v12
	v_cmp_class_f32_e64 vcc_lo, v5, 0x1f8
	s_delay_alu instid0(VALU_DEP_3) | instskip(NEXT) | instid1(VALU_DEP_3)
	v_xor3_b32 v2, v2, v13, v5
	v_bfe_i32 v5, v12, 0, 16
	s_delay_alu instid0(VALU_DEP_2) | instskip(NEXT) | instid1(VALU_DEP_2)
	v_cndmask_b32_e32 v2, 0x7fc00000, v2, vcc_lo
	v_lshl_add_u32 v12, v5, 23, 1.0
	v_sub_nc_u32_e32 v5, v26, v5
	s_delay_alu instid0(VALU_DEP_3) | instskip(NEXT) | instid1(VALU_DEP_1)
	v_dual_mul_f32 v2, v2, v4 :: v_dual_cndmask_b32 v3, 0x7fc00000, v3
	v_mul_f32_e32 v2, v2, v12
	s_delay_alu instid0(VALU_DEP_2) | instskip(NEXT) | instid1(VALU_DEP_4)
	v_mul_f32_e32 v3, v3, v4
	v_lshl_add_u32 v4, v5, 23, 1.0
	s_delay_alu instid0(VALU_DEP_2) | instskip(NEXT) | instid1(VALU_DEP_1)
	v_mul_f32_e32 v3, v3, v12
	v_dual_mul_f32 v13, v2, v4 :: v_dual_mul_f32 v12, v3, v4
.LBB138_352:                            ;   in Loop: Header=BB138_201 Depth=1
	s_or_b32 exec_lo, exec_lo, s16
                                        ; implicit-def: $vgpr2_vgpr3_vgpr4_vgpr5
                                        ; implicit-def: $vgpr3
.LBB138_353:                            ;   in Loop: Header=BB138_201 Depth=1
	s_and_not1_saveexec_b32 s0, s15
	s_cbranch_execz .LBB138_359
; %bb.354:                              ;   in Loop: Header=BB138_201 Depth=1
	v_sub_f32_e32 v13, v5, v5
	s_mov_b32 s1, exec_lo
	v_cmpx_ne_u32_e32 0x7f800000, v3
	s_xor_b32 s1, exec_lo, s1
; %bb.355:                              ;   in Loop: Header=BB138_201 Depth=1
                                        ; implicit-def: $vgpr2_vgpr3_vgpr4_vgpr5
; %bb.356:                              ;   in Loop: Header=BB138_201 Depth=1
	s_delay_alu instid0(SALU_CYCLE_1)
	s_or_saveexec_b32 s1, s1
	v_mov_b32_e32 v12, v13
	s_xor_b32 exec_lo, exec_lo, s1
; %bb.357:                              ;   in Loop: Header=BB138_201 Depth=1
	v_cmp_lt_i32_e32 vcc_lo, -1, v4
	v_dual_cndmask_b32 v12, 0, v4 :: v_dual_cndmask_b32 v13, 0, v13
; %bb.358:                              ;   in Loop: Header=BB138_201 Depth=1
	s_or_b32 exec_lo, exec_lo, s1
.LBB138_359:                            ;   in Loop: Header=BB138_201 Depth=1
	s_delay_alu instid0(SALU_CYCLE_1)
	s_or_b32 exec_lo, exec_lo, s0
                                        ; implicit-def: $vgpr2_vgpr3_vgpr4_vgpr5
                                        ; implicit-def: $vgpr2
.LBB138_360:                            ;   in Loop: Header=BB138_201 Depth=1
	s_and_not1_saveexec_b32 s14, s14
	s_cbranch_execz .LBB138_370
; %bb.361:                              ;   in Loop: Header=BB138_201 Depth=1
	v_cmp_ngt_f32_e64 s15, 0x48000000, |v5|
                                        ; implicit-def: $vgpr4
                                        ; implicit-def: $vgpr3
	s_and_saveexec_b32 s0, s15
	s_delay_alu instid0(SALU_CYCLE_1)
	s_xor_b32 s16, exec_lo, s0
	s_cbranch_execz .LBB138_363
; %bb.362:                              ;   in Loop: Header=BB138_201 Depth=1
	v_and_or_b32 v16, v2, s8, 0x800000
	v_dual_lshrrev_b32 v3, 23, v2 :: v_dual_mov_b32 v29, v17
	v_mov_b32_e32 v31, v17
	s_delay_alu instid0(VALU_DEP_3) | instskip(SKIP_1) | instid1(VALU_DEP_4)
	v_mul_u64_e32 v[12:13], s[4:5], v[16:17]
	v_mov_b32_e32 v21, v17
	v_add_nc_u32_e32 v3, 0xffffff88, v3
	s_delay_alu instid0(VALU_DEP_1) | instskip(SKIP_1) | instid1(VALU_DEP_1)
	v_cmp_lt_u32_e32 vcc_lo, 63, v3
	v_cndmask_b32_e64 v4, 0, 0xffffffc0, vcc_lo
	v_add_nc_u32_e32 v3, v4, v3
	s_delay_alu instid0(VALU_DEP_1) | instskip(NEXT) | instid1(VALU_DEP_1)
	v_cmp_lt_u32_e64 s0, 31, v3
	v_cndmask_b32_e64 v4, 0, 0xffffffe0, s0
	s_delay_alu instid0(VALU_DEP_1) | instskip(NEXT) | instid1(VALU_DEP_1)
	v_dual_mov_b32 v20, v13 :: v_dual_add_nc_u32 v3, v4, v3
	v_mad_nc_u64_u32 v[20:21], 0x3c439041, v16, v[20:21]
	v_mov_b32_e32 v23, v17
	s_delay_alu instid0(VALU_DEP_3) | instskip(NEXT) | instid1(VALU_DEP_1)
	v_cmp_lt_u32_e64 s1, 31, v3
	v_cndmask_b32_e64 v4, 0, 0xffffffe0, s1
	s_delay_alu instid0(VALU_DEP_4) | instskip(NEXT) | instid1(VALU_DEP_1)
	v_mov_b32_e32 v22, v21
	v_mad_nc_u64_u32 v[22:23], 0xdb629599, v16, v[22:23]
	s_delay_alu instid0(VALU_DEP_1) | instskip(NEXT) | instid1(VALU_DEP_2)
	v_dual_mov_b32 v25, v17 :: v_dual_mov_b32 v24, v23
	v_cndmask_b32_e32 v12, v22, v12, vcc_lo
	s_delay_alu instid0(VALU_DEP_2) | instskip(NEXT) | instid1(VALU_DEP_1)
	v_mad_nc_u64_u32 v[24:25], 0xf534ddc0, v16, v[24:25]
	v_dual_mov_b32 v27, v17 :: v_dual_mov_b32 v26, v25
	s_delay_alu instid0(VALU_DEP_1) | instskip(NEXT) | instid1(VALU_DEP_1)
	v_mad_nc_u64_u32 v[26:27], 0xfc2757d1, v16, v[26:27]
	v_dual_mov_b32 v28, v27 :: v_dual_cndmask_b32 v23, v26, v22
	s_delay_alu instid0(VALU_DEP_1) | instskip(NEXT) | instid1(VALU_DEP_1)
	v_mad_nc_u64_u32 v[28:29], 0x4e441529, v16, v[28:29]
	v_mov_b32_e32 v30, v29
	s_delay_alu instid0(VALU_DEP_1) | instskip(NEXT) | instid1(VALU_DEP_1)
	v_mad_nc_u64_u32 v[30:31], 0xa2f9836e, v16, v[30:31]
	v_dual_cndmask_b32 v13, v28, v24 :: v_dual_cndmask_b32 v16, v30, v26
	s_delay_alu instid0(VALU_DEP_2) | instskip(SKIP_1) | instid1(VALU_DEP_2)
	v_dual_cndmask_b32 v21, v31, v28, vcc_lo :: v_dual_add_nc_u32 v3, v4, v3
	v_cndmask_b32_e32 v4, v24, v20, vcc_lo
	v_dual_cndmask_b32 v20, v16, v13, s0 :: v_dual_cndmask_b32 v16, v21, v16, s0
	v_cndmask_b32_e64 v13, v13, v23, s0
	s_delay_alu instid0(VALU_DEP_3) | instskip(SKIP_1) | instid1(VALU_DEP_4)
	v_dual_sub_nc_u32 v21, 32, v3 :: v_dual_cndmask_b32 v23, v23, v4, s0
	v_cmp_eq_u32_e32 vcc_lo, 0, v3
	v_cndmask_b32_e64 v16, v16, v20, s1
	s_delay_alu instid0(VALU_DEP_3) | instskip(SKIP_1) | instid1(VALU_DEP_2)
	v_dual_cndmask_b32 v20, v20, v13, s1 :: v_dual_cndmask_b32 v13, v13, v23, s1
	v_cndmask_b32_e64 v4, v4, v12, s0
	v_alignbit_b32 v24, v16, v20, v21
	s_delay_alu instid0(VALU_DEP_3) | instskip(NEXT) | instid1(VALU_DEP_2)
	v_alignbit_b32 v22, v20, v13, v21
	v_cndmask_b32_e32 v3, v24, v16, vcc_lo
	s_delay_alu instid0(VALU_DEP_2) | instskip(NEXT) | instid1(VALU_DEP_2)
	v_cndmask_b32_e32 v12, v22, v20, vcc_lo
	v_bfe_u32 v16, v3, 29, 1
	s_delay_alu instid0(VALU_DEP_1) | instskip(SKIP_1) | instid1(VALU_DEP_4)
	v_sub_nc_u32_e32 v22, 0, v16
	v_cndmask_b32_e64 v4, v23, v4, s1
	v_alignbit_b32 v20, v3, v12, 30
	s_delay_alu instid0(VALU_DEP_2) | instskip(NEXT) | instid1(VALU_DEP_1)
	v_alignbit_b32 v21, v13, v4, v21
	v_dual_cndmask_b32 v13, v21, v13, vcc_lo :: v_dual_bitop2_b32 v20, v20, v22 bitop3:0x14
	s_delay_alu instid0(VALU_DEP_1) | instskip(NEXT) | instid1(VALU_DEP_2)
	v_clz_i32_u32_e32 v21, v20
	v_alignbit_b32 v12, v12, v13, 30
	s_delay_alu instid0(VALU_DEP_2) | instskip(NEXT) | instid1(VALU_DEP_2)
	v_min_u32_e32 v21, 32, v21
	v_xor_b32_e32 v12, v12, v22
	v_alignbit_b32 v4, v13, v4, 30
	s_delay_alu instid0(VALU_DEP_3) | instskip(NEXT) | instid1(VALU_DEP_2)
	v_dual_sub_nc_u32 v13, 31, v21 :: v_dual_lshlrev_b32 v23, 23, v21
	v_dual_lshrrev_b32 v22, 29, v3 :: v_dual_bitop2_b32 v4, v4, v22 bitop3:0x14
	s_delay_alu instid0(VALU_DEP_2) | instskip(NEXT) | instid1(VALU_DEP_2)
	v_alignbit_b32 v20, v20, v12, v13
	v_alignbit_b32 v4, v12, v4, v13
	s_delay_alu instid0(VALU_DEP_3) | instskip(NEXT) | instid1(VALU_DEP_2)
	v_lshlrev_b32_e32 v12, 31, v22
	v_alignbit_b32 v13, v20, v4, 9
	s_delay_alu instid0(VALU_DEP_2) | instskip(SKIP_2) | instid1(VALU_DEP_4)
	v_or_b32_e32 v22, 0.5, v12
	v_or_b32_e32 v12, 0x33000000, v12
	v_lshrrev_b32_e32 v20, 9, v20
	v_clz_i32_u32_e32 v24, v13
	s_delay_alu instid0(VALU_DEP_4) | instskip(NEXT) | instid1(VALU_DEP_2)
	v_sub_nc_u32_e32 v22, v22, v23
	v_min_u32_e32 v23, 32, v24
	s_delay_alu instid0(VALU_DEP_2) | instskip(NEXT) | instid1(VALU_DEP_2)
	v_or_b32_e32 v20, v20, v22
	v_not_b32_e32 v22, v23
	v_add_lshl_u32 v21, v23, v21, 23
	s_delay_alu instid0(VALU_DEP_2) | instskip(NEXT) | instid1(VALU_DEP_1)
	v_alignbit_b32 v4, v13, v4, v22
	v_dual_sub_nc_u32 v12, v12, v21 :: v_dual_lshrrev_b32 v4, 9, v4
	v_mul_f32_e32 v24, 0x3fc90fda, v20
	s_delay_alu instid0(VALU_DEP_2) | instskip(NEXT) | instid1(VALU_DEP_2)
	v_or_b32_e32 v4, v12, v4
	v_fma_f32 v13, 0x3fc90fda, v20, -v24
	s_delay_alu instid0(VALU_DEP_1) | instskip(NEXT) | instid1(VALU_DEP_1)
	v_fmac_f32_e32 v13, 0x33a22168, v20
	v_dual_fmac_f32 v13, 0x3fc90fda, v4 :: v_dual_lshrrev_b32 v4, 30, v3
	s_delay_alu instid0(VALU_DEP_1) | instskip(NEXT) | instid1(VALU_DEP_2)
	v_add_nc_u32_e32 v4, v16, v4
	v_add_f32_e32 v3, v24, v13
	s_and_not1_saveexec_b32 s0, s16
	s_branch .LBB138_364
.LBB138_363:                            ;   in Loop: Header=BB138_201 Depth=1
	s_and_not1_saveexec_b32 s0, s16
.LBB138_364:                            ;   in Loop: Header=BB138_201 Depth=1
	v_mul_f32_e64 v3, 0x3f22f983, |v5|
	s_delay_alu instid0(VALU_DEP_1) | instskip(NEXT) | instid1(VALU_DEP_1)
	v_rndne_f32_e32 v4, v3
	v_fma_f32 v3, 0xbfc90fda, v4, |v5|
	s_delay_alu instid0(VALU_DEP_1) | instskip(NEXT) | instid1(VALU_DEP_1)
	v_fmac_f32_e32 v3, 0xb3a22168, v4
	v_fmac_f32_e32 v3, 0xa7c234c4, v4
	v_cvt_i32_f32_e32 v4, v4
; %bb.365:                              ;   in Loop: Header=BB138_201 Depth=1
	s_or_b32 exec_lo, exec_lo, s0
                                        ; implicit-def: $vgpr13
                                        ; implicit-def: $vgpr12
	s_and_saveexec_b32 s0, s15
	s_delay_alu instid0(SALU_CYCLE_1)
	s_xor_b32 s15, exec_lo, s0
	s_cbranch_execz .LBB138_367
; %bb.366:                              ;   in Loop: Header=BB138_201 Depth=1
	v_and_or_b32 v16, v2, s8, 0x800000
	v_mov_b32_e32 v29, v17
	s_delay_alu instid0(VALU_DEP_2) | instskip(NEXT) | instid1(VALU_DEP_1)
	v_mul_u64_e32 v[12:13], s[4:5], v[16:17]
	v_dual_mov_b32 v21, v17 :: v_dual_mov_b32 v20, v13
	v_lshrrev_b32_e32 v13, 23, v2
	s_delay_alu instid0(VALU_DEP_2) | instskip(SKIP_1) | instid1(VALU_DEP_3)
	v_mad_nc_u64_u32 v[20:21], 0x3c439041, v16, v[20:21]
	v_mov_b32_e32 v23, v17
	v_add_nc_u32_e32 v13, 0xffffff88, v13
	s_delay_alu instid0(VALU_DEP_1) | instskip(NEXT) | instid1(VALU_DEP_4)
	v_cmp_lt_u32_e32 vcc_lo, 63, v13
	v_mov_b32_e32 v22, v21
	v_cndmask_b32_e64 v21, 0, 0xffffffc0, vcc_lo
	s_delay_alu instid0(VALU_DEP_2) | instskip(NEXT) | instid1(VALU_DEP_1)
	v_mad_nc_u64_u32 v[22:23], 0xdb629599, v16, v[22:23]
	v_dual_mov_b32 v25, v17 :: v_dual_mov_b32 v24, v23
	s_delay_alu instid0(VALU_DEP_2) | instskip(NEXT) | instid1(VALU_DEP_2)
	v_cndmask_b32_e32 v12, v22, v12, vcc_lo
	v_mad_nc_u64_u32 v[24:25], 0xf534ddc0, v16, v[24:25]
	s_delay_alu instid0(VALU_DEP_1) | instskip(NEXT) | instid1(VALU_DEP_1)
	v_dual_mov_b32 v27, v17 :: v_dual_mov_b32 v26, v25
	v_mad_nc_u64_u32 v[26:27], 0xfc2757d1, v16, v[26:27]
	s_delay_alu instid0(VALU_DEP_1) | instskip(NEXT) | instid1(VALU_DEP_1)
	v_mov_b32_e32 v28, v27
	v_mad_nc_u64_u32 v[28:29], 0x4e441529, v16, v[28:29]
	v_mov_b32_e32 v31, v17
	v_add_nc_u32_e32 v13, v21, v13
	s_delay_alu instid0(VALU_DEP_1) | instskip(NEXT) | instid1(VALU_DEP_4)
	v_cmp_lt_u32_e64 s0, 31, v13
	v_mov_b32_e32 v30, v29
	s_delay_alu instid0(VALU_DEP_2) | instskip(NEXT) | instid1(VALU_DEP_2)
	v_cndmask_b32_e64 v21, 0, 0xffffffe0, s0
	v_mad_nc_u64_u32 v[30:31], 0xa2f9836e, v16, v[30:31]
	s_delay_alu instid0(VALU_DEP_2) | instskip(NEXT) | instid1(VALU_DEP_2)
	v_dual_add_nc_u32 v13, v21, v13 :: v_dual_cndmask_b32 v21, v28, v24, vcc_lo
	v_dual_cndmask_b32 v23, v30, v26, vcc_lo :: v_dual_cndmask_b32 v25, v31, v28, vcc_lo
	v_cndmask_b32_e32 v26, v26, v22, vcc_lo
	s_delay_alu instid0(VALU_DEP_3) | instskip(NEXT) | instid1(VALU_DEP_1)
	v_cmp_lt_u32_e64 s1, 31, v13
	v_cndmask_b32_e64 v16, 0, 0xffffffe0, s1
	s_delay_alu instid0(VALU_DEP_1) | instskip(SKIP_2) | instid1(VALU_DEP_3)
	v_add_nc_u32_e32 v13, v16, v13
	v_dual_cndmask_b32 v16, v24, v20, vcc_lo :: v_dual_cndmask_b32 v20, v23, v21, s0
	v_cndmask_b32_e64 v23, v25, v23, s0
	v_dual_cndmask_b32 v21, v21, v26, s0 :: v_dual_sub_nc_u32 v24, 32, v13
	s_delay_alu instid0(VALU_DEP_3) | instskip(SKIP_1) | instid1(VALU_DEP_3)
	v_cndmask_b32_e64 v25, v26, v16, s0
	v_cmp_eq_u32_e32 vcc_lo, 0, v13
	v_dual_cndmask_b32 v23, v23, v20, s1 :: v_dual_cndmask_b32 v20, v20, v21, s1
	s_delay_alu instid0(VALU_DEP_3) | instskip(NEXT) | instid1(VALU_DEP_2)
	v_dual_cndmask_b32 v12, v16, v12, s0 :: v_dual_cndmask_b32 v21, v21, v25, s1
	v_alignbit_b32 v26, v23, v20, v24
	s_delay_alu instid0(VALU_DEP_2) | instskip(NEXT) | instid1(VALU_DEP_3)
	v_cndmask_b32_e64 v12, v25, v12, s1
	v_alignbit_b32 v22, v20, v21, v24
	s_delay_alu instid0(VALU_DEP_3) | instskip(NEXT) | instid1(VALU_DEP_3)
	v_cndmask_b32_e32 v13, v26, v23, vcc_lo
	v_alignbit_b32 v24, v21, v12, v24
	s_delay_alu instid0(VALU_DEP_3) | instskip(NEXT) | instid1(VALU_DEP_3)
	v_cndmask_b32_e32 v16, v22, v20, vcc_lo
	v_bfe_u32 v20, v13, 29, 1
	s_delay_alu instid0(VALU_DEP_1) | instskip(NEXT) | instid1(VALU_DEP_3)
	v_dual_cndmask_b32 v21, v24, v21, vcc_lo :: v_dual_sub_nc_u32 v23, 0, v20
	v_alignbit_b32 v22, v13, v16, 30
	s_delay_alu instid0(VALU_DEP_2) | instskip(SKIP_1) | instid1(VALU_DEP_3)
	v_alignbit_b32 v16, v16, v21, 30
	v_alignbit_b32 v12, v21, v12, 30
	v_xor_b32_e32 v22, v22, v23
	s_delay_alu instid0(VALU_DEP_2) | instskip(NEXT) | instid1(VALU_DEP_2)
	v_xor_b32_e32 v12, v12, v23
	v_clz_i32_u32_e32 v24, v22
	s_delay_alu instid0(VALU_DEP_1) | instskip(SKIP_1) | instid1(VALU_DEP_2)
	v_min_u32_e32 v24, 32, v24
	v_dual_lshrrev_b32 v23, 29, v13 :: v_dual_bitop2_b32 v16, v16, v23 bitop3:0x14
	v_dual_lshrrev_b32 v13, 30, v13 :: v_dual_sub_nc_u32 v21, 31, v24
	s_delay_alu instid0(VALU_DEP_1) | instskip(NEXT) | instid1(VALU_DEP_2)
	v_dual_lshlrev_b32 v25, 23, v24 :: v_dual_add_nc_u32 v13, v20, v13
	v_alignbit_b32 v22, v22, v16, v21
	v_alignbit_b32 v12, v16, v12, v21
	v_lshlrev_b32_e32 v16, 31, v23
	s_delay_alu instid0(VALU_DEP_2) | instskip(NEXT) | instid1(VALU_DEP_2)
	v_alignbit_b32 v21, v22, v12, 9
	v_dual_lshrrev_b32 v22, 9, v22 :: v_dual_bitop2_b32 v23, 0.5, v16 bitop3:0x54
	v_or_b32_e32 v16, 0x33000000, v16
	s_delay_alu instid0(VALU_DEP_3) | instskip(NEXT) | instid1(VALU_DEP_3)
	v_clz_i32_u32_e32 v26, v21
	v_sub_nc_u32_e32 v23, v23, v25
	s_delay_alu instid0(VALU_DEP_2) | instskip(NEXT) | instid1(VALU_DEP_1)
	v_min_u32_e32 v25, 32, v26
	v_add_lshl_u32 v24, v25, v24, 23
	s_delay_alu instid0(VALU_DEP_3) | instskip(SKIP_1) | instid1(VALU_DEP_3)
	v_or_b32_e32 v22, v22, v23
	v_not_b32_e32 v23, v25
	v_sub_nc_u32_e32 v16, v16, v24
	s_delay_alu instid0(VALU_DEP_3) | instskip(NEXT) | instid1(VALU_DEP_3)
	v_mul_f32_e32 v26, 0x3fc90fda, v22
	v_alignbit_b32 v12, v21, v12, v23
	s_delay_alu instid0(VALU_DEP_2) | instskip(NEXT) | instid1(VALU_DEP_1)
	v_fma_f32 v21, 0x3fc90fda, v22, -v26
	v_dual_fmac_f32 v21, 0x33a22168, v22 :: v_dual_lshrrev_b32 v12, 9, v12
	s_delay_alu instid0(VALU_DEP_1) | instskip(NEXT) | instid1(VALU_DEP_1)
	v_or_b32_e32 v12, v16, v12
	v_fmac_f32_e32 v21, 0x3fc90fda, v12
	s_delay_alu instid0(VALU_DEP_1)
	v_add_f32_e32 v12, v26, v21
	s_and_not1_saveexec_b32 s0, s15
	s_cbranch_execnz .LBB138_368
	s_branch .LBB138_369
.LBB138_367:                            ;   in Loop: Header=BB138_201 Depth=1
	s_and_not1_saveexec_b32 s0, s15
.LBB138_368:                            ;   in Loop: Header=BB138_201 Depth=1
	v_mul_f32_e64 v12, 0x3f22f983, |v5|
	s_delay_alu instid0(VALU_DEP_1) | instskip(NEXT) | instid1(VALU_DEP_1)
	v_rndne_f32_e32 v13, v12
	v_fma_f32 v12, 0xbfc90fda, v13, |v5|
	s_delay_alu instid0(VALU_DEP_1) | instskip(NEXT) | instid1(VALU_DEP_1)
	v_fmac_f32_e32 v12, 0xb3a22168, v13
	v_fmac_f32_e32 v12, 0xa7c234c4, v13
	v_cvt_i32_f32_e32 v13, v13
.LBB138_369:                            ;   in Loop: Header=BB138_201 Depth=1
	s_or_b32 exec_lo, exec_lo, s0
	s_delay_alu instid0(VALU_DEP_1) | instskip(NEXT) | instid1(VALU_DEP_2)
	v_dual_mul_f32 v16, v3, v3 :: v_dual_mul_f32 v20, v12, v12
	v_and_b32_e32 v26, 1, v13
	v_dual_lshlrev_b32 v4, 30, v4 :: v_dual_bitop2_b32 v21, 1, v4 bitop3:0x40
	s_delay_alu instid0(VALU_DEP_3) | instskip(NEXT) | instid1(VALU_DEP_4)
	v_dual_fmaak_f32 v22, s9, v16, 0x3c0881c4 :: v_dual_lshlrev_b32 v13, 30, v13
	v_fmaak_f32 v25, s10, v20, 0xbab64f3b
	s_delay_alu instid0(VALU_DEP_3) | instskip(NEXT) | instid1(VALU_DEP_3)
	v_cmp_eq_u32_e32 vcc_lo, 0, v21
	v_fmaak_f32 v22, v16, v22, 0xbe2aaa9d
	v_fmaak_f32 v23, s10, v16, 0xbab64f3b
	v_and_or_b32 v2, 0x80000000, v13, v2
	s_delay_alu instid0(VALU_DEP_3) | instskip(SKIP_1) | instid1(VALU_DEP_4)
	v_mul_f32_e32 v22, v16, v22
	v_fmaak_f32 v24, s9, v20, 0x3c0881c4
	v_fmaak_f32 v23, v16, v23, 0x3d2aabf7
	s_delay_alu instid0(VALU_DEP_2) | instskip(NEXT) | instid1(VALU_DEP_2)
	v_dual_fmac_f32 v3, v3, v22 :: v_dual_fmaak_f32 v24, v20, v24, 0xbe2aaa9d
	v_fmaak_f32 v23, v16, v23, 0xbf000004
	s_delay_alu instid0(VALU_DEP_2) | instskip(NEXT) | instid1(VALU_DEP_2)
	v_dual_fmaak_f32 v25, v20, v25, 0x3d2aabf7 :: v_dual_mul_f32 v24, v20, v24
	v_fma_f32 v16, v16, v23, 1.0
	s_delay_alu instid0(VALU_DEP_2) | instskip(NEXT) | instid1(VALU_DEP_2)
	v_fmac_f32_e32 v12, v12, v24
	v_cndmask_b32_e64 v3, -v3, v16, vcc_lo
	v_cmp_eq_u32_e32 vcc_lo, 0, v26
	v_fmaak_f32 v25, v20, v25, 0xbf000004
	s_delay_alu instid0(VALU_DEP_3) | instskip(NEXT) | instid1(VALU_DEP_2)
	v_bitop3_b32 v3, v4, v3, 0x80000000 bitop3:0x6c
	v_fma_f32 v20, v20, v25, 1.0
	s_delay_alu instid0(VALU_DEP_1) | instskip(SKIP_1) | instid1(VALU_DEP_2)
	v_cndmask_b32_e32 v12, v20, v12, vcc_lo
	v_cmp_class_f32_e64 vcc_lo, v5, 0x1f8
	v_xor3_b32 v2, v2, v12, v5
	v_cndmask_b32_e32 v12, 0x7fc00000, v3, vcc_lo
	s_delay_alu instid0(VALU_DEP_2)
	v_cndmask_b32_e32 v13, 0x7fc00000, v2, vcc_lo
.LBB138_370:                            ;   in Loop: Header=BB138_201 Depth=1
	s_or_b32 exec_lo, exec_lo, s14
                                        ; implicit-def: $vgpr2_vgpr3_vgpr4_vgpr5
.LBB138_371:                            ;   in Loop: Header=BB138_201 Depth=1
	s_and_not1_saveexec_b32 s0, s13
	s_cbranch_execz .LBB138_200
; %bb.372:                              ;   in Loop: Header=BB138_201 Depth=1
	v_dual_mul_f32 v2, 0x3fb8aa3b, v4 :: v_dual_mov_b32 v13, v5
	v_cmp_ngt_f32_e32 vcc_lo, 0xc2ce8ed0, v4
	s_delay_alu instid0(VALU_DEP_2) | instskip(SKIP_1) | instid1(VALU_DEP_2)
	v_rndne_f32_e32 v3, v2
	v_fma_f32 v12, 0x3fb8aa3b, v4, -v2
	v_sub_f32_e32 v2, v2, v3
	s_delay_alu instid0(VALU_DEP_2) | instskip(SKIP_1) | instid1(VALU_DEP_2)
	v_fmac_f32_e32 v12, 0x32a5705f, v4
	v_cvt_i32_f32_e32 v3, v3
	v_add_f32_e32 v2, v2, v12
	s_delay_alu instid0(VALU_DEP_1) | instskip(SKIP_1) | instid1(TRANS32_DEP_1)
	v_exp_f32_e32 v2, v2
	v_nop
	v_ldexp_f32 v2, v2, v3
	s_delay_alu instid0(VALU_DEP_1) | instskip(SKIP_1) | instid1(VALU_DEP_2)
	v_cndmask_b32_e32 v2, 0, v2, vcc_lo
	v_cmp_nlt_f32_e32 vcc_lo, 0x42b17218, v4
	v_cndmask_b32_e32 v12, 0x7f800000, v2, vcc_lo
	s_branch .LBB138_200
.LBB138_373:
	s_endpgm
	.section	.rodata,"a",@progbits
	.p2align	6, 0x0
	.amdhsa_kernel _ZN2at6native12_GLOBAL__N_125multi_tensor_apply_kernelINS1_18TensorListMetadataILi1EEENS1_14UnaryOpFunctorIN3c107complexIfEELi1ELi1ELi0EEEJNS0_3ExpIS8_EEEEEvT_T0_DpT1_
		.amdhsa_group_segment_fixed_size 0
		.amdhsa_private_segment_fixed_size 0
		.amdhsa_kernarg_size 3632
		.amdhsa_user_sgpr_count 2
		.amdhsa_user_sgpr_dispatch_ptr 0
		.amdhsa_user_sgpr_queue_ptr 0
		.amdhsa_user_sgpr_kernarg_segment_ptr 1
		.amdhsa_user_sgpr_dispatch_id 0
		.amdhsa_user_sgpr_kernarg_preload_length 0
		.amdhsa_user_sgpr_kernarg_preload_offset 0
		.amdhsa_user_sgpr_private_segment_size 0
		.amdhsa_wavefront_size32 1
		.amdhsa_uses_dynamic_stack 0
		.amdhsa_enable_private_segment 0
		.amdhsa_system_sgpr_workgroup_id_x 1
		.amdhsa_system_sgpr_workgroup_id_y 0
		.amdhsa_system_sgpr_workgroup_id_z 0
		.amdhsa_system_sgpr_workgroup_info 0
		.amdhsa_system_vgpr_workitem_id 0
		.amdhsa_next_free_vgpr 56
		.amdhsa_next_free_sgpr 35
		.amdhsa_named_barrier_count 0
		.amdhsa_reserve_vcc 1
		.amdhsa_float_round_mode_32 0
		.amdhsa_float_round_mode_16_64 0
		.amdhsa_float_denorm_mode_32 3
		.amdhsa_float_denorm_mode_16_64 3
		.amdhsa_fp16_overflow 0
		.amdhsa_memory_ordered 1
		.amdhsa_forward_progress 1
		.amdhsa_inst_pref_size 255
		.amdhsa_round_robin_scheduling 0
		.amdhsa_exception_fp_ieee_invalid_op 0
		.amdhsa_exception_fp_denorm_src 0
		.amdhsa_exception_fp_ieee_div_zero 0
		.amdhsa_exception_fp_ieee_overflow 0
		.amdhsa_exception_fp_ieee_underflow 0
		.amdhsa_exception_fp_ieee_inexact 0
		.amdhsa_exception_int_div_zero 0
	.end_amdhsa_kernel
	.section	.text._ZN2at6native12_GLOBAL__N_125multi_tensor_apply_kernelINS1_18TensorListMetadataILi1EEENS1_14UnaryOpFunctorIN3c107complexIfEELi1ELi1ELi0EEEJNS0_3ExpIS8_EEEEEvT_T0_DpT1_,"axG",@progbits,_ZN2at6native12_GLOBAL__N_125multi_tensor_apply_kernelINS1_18TensorListMetadataILi1EEENS1_14UnaryOpFunctorIN3c107complexIfEELi1ELi1ELi0EEEJNS0_3ExpIS8_EEEEEvT_T0_DpT1_,comdat
.Lfunc_end138:
	.size	_ZN2at6native12_GLOBAL__N_125multi_tensor_apply_kernelINS1_18TensorListMetadataILi1EEENS1_14UnaryOpFunctorIN3c107complexIfEELi1ELi1ELi0EEEJNS0_3ExpIS8_EEEEEvT_T0_DpT1_, .Lfunc_end138-_ZN2at6native12_GLOBAL__N_125multi_tensor_apply_kernelINS1_18TensorListMetadataILi1EEENS1_14UnaryOpFunctorIN3c107complexIfEELi1ELi1ELi0EEEJNS0_3ExpIS8_EEEEEvT_T0_DpT1_
                                        ; -- End function
	.set _ZN2at6native12_GLOBAL__N_125multi_tensor_apply_kernelINS1_18TensorListMetadataILi1EEENS1_14UnaryOpFunctorIN3c107complexIfEELi1ELi1ELi0EEEJNS0_3ExpIS8_EEEEEvT_T0_DpT1_.num_vgpr, 56
	.set _ZN2at6native12_GLOBAL__N_125multi_tensor_apply_kernelINS1_18TensorListMetadataILi1EEENS1_14UnaryOpFunctorIN3c107complexIfEELi1ELi1ELi0EEEJNS0_3ExpIS8_EEEEEvT_T0_DpT1_.num_agpr, 0
	.set _ZN2at6native12_GLOBAL__N_125multi_tensor_apply_kernelINS1_18TensorListMetadataILi1EEENS1_14UnaryOpFunctorIN3c107complexIfEELi1ELi1ELi0EEEJNS0_3ExpIS8_EEEEEvT_T0_DpT1_.numbered_sgpr, 35
	.set _ZN2at6native12_GLOBAL__N_125multi_tensor_apply_kernelINS1_18TensorListMetadataILi1EEENS1_14UnaryOpFunctorIN3c107complexIfEELi1ELi1ELi0EEEJNS0_3ExpIS8_EEEEEvT_T0_DpT1_.num_named_barrier, 0
	.set _ZN2at6native12_GLOBAL__N_125multi_tensor_apply_kernelINS1_18TensorListMetadataILi1EEENS1_14UnaryOpFunctorIN3c107complexIfEELi1ELi1ELi0EEEJNS0_3ExpIS8_EEEEEvT_T0_DpT1_.private_seg_size, 0
	.set _ZN2at6native12_GLOBAL__N_125multi_tensor_apply_kernelINS1_18TensorListMetadataILi1EEENS1_14UnaryOpFunctorIN3c107complexIfEELi1ELi1ELi0EEEJNS0_3ExpIS8_EEEEEvT_T0_DpT1_.uses_vcc, 1
	.set _ZN2at6native12_GLOBAL__N_125multi_tensor_apply_kernelINS1_18TensorListMetadataILi1EEENS1_14UnaryOpFunctorIN3c107complexIfEELi1ELi1ELi0EEEJNS0_3ExpIS8_EEEEEvT_T0_DpT1_.uses_flat_scratch, 0
	.set _ZN2at6native12_GLOBAL__N_125multi_tensor_apply_kernelINS1_18TensorListMetadataILi1EEENS1_14UnaryOpFunctorIN3c107complexIfEELi1ELi1ELi0EEEJNS0_3ExpIS8_EEEEEvT_T0_DpT1_.has_dyn_sized_stack, 0
	.set _ZN2at6native12_GLOBAL__N_125multi_tensor_apply_kernelINS1_18TensorListMetadataILi1EEENS1_14UnaryOpFunctorIN3c107complexIfEELi1ELi1ELi0EEEJNS0_3ExpIS8_EEEEEvT_T0_DpT1_.has_recursion, 0
	.set _ZN2at6native12_GLOBAL__N_125multi_tensor_apply_kernelINS1_18TensorListMetadataILi1EEENS1_14UnaryOpFunctorIN3c107complexIfEELi1ELi1ELi0EEEJNS0_3ExpIS8_EEEEEvT_T0_DpT1_.has_indirect_call, 0
	.section	.AMDGPU.csdata,"",@progbits
; Kernel info:
; codeLenInByte = 52108
; TotalNumSgprs: 37
; NumVgprs: 56
; ScratchSize: 0
; MemoryBound: 1
; FloatMode: 240
; IeeeMode: 1
; LDSByteSize: 0 bytes/workgroup (compile time only)
; SGPRBlocks: 0
; VGPRBlocks: 3
; NumSGPRsForWavesPerEU: 37
; NumVGPRsForWavesPerEU: 56
; NamedBarCnt: 0
; Occupancy: 16
; WaveLimiterHint : 0
; COMPUTE_PGM_RSRC2:SCRATCH_EN: 0
; COMPUTE_PGM_RSRC2:USER_SGPR: 2
; COMPUTE_PGM_RSRC2:TRAP_HANDLER: 0
; COMPUTE_PGM_RSRC2:TGID_X_EN: 1
; COMPUTE_PGM_RSRC2:TGID_Y_EN: 0
; COMPUTE_PGM_RSRC2:TGID_Z_EN: 0
; COMPUTE_PGM_RSRC2:TIDIG_COMP_CNT: 0
	.section	.text._ZN2at6native12_GLOBAL__N_125multi_tensor_apply_kernelINS1_18TensorListMetadataILi1EEENS1_14UnaryOpFunctorIN3c104HalfELi1ELi1ELi0EEEJNS0_3ExpIfEEEEEvT_T0_DpT1_,"axG",@progbits,_ZN2at6native12_GLOBAL__N_125multi_tensor_apply_kernelINS1_18TensorListMetadataILi1EEENS1_14UnaryOpFunctorIN3c104HalfELi1ELi1ELi0EEEJNS0_3ExpIfEEEEEvT_T0_DpT1_,comdat
	.globl	_ZN2at6native12_GLOBAL__N_125multi_tensor_apply_kernelINS1_18TensorListMetadataILi1EEENS1_14UnaryOpFunctorIN3c104HalfELi1ELi1ELi0EEEJNS0_3ExpIfEEEEEvT_T0_DpT1_ ; -- Begin function _ZN2at6native12_GLOBAL__N_125multi_tensor_apply_kernelINS1_18TensorListMetadataILi1EEENS1_14UnaryOpFunctorIN3c104HalfELi1ELi1ELi0EEEJNS0_3ExpIfEEEEEvT_T0_DpT1_
	.p2align	8
	.type	_ZN2at6native12_GLOBAL__N_125multi_tensor_apply_kernelINS1_18TensorListMetadataILi1EEENS1_14UnaryOpFunctorIN3c104HalfELi1ELi1ELi0EEEJNS0_3ExpIfEEEEEvT_T0_DpT1_,@function
_ZN2at6native12_GLOBAL__N_125multi_tensor_apply_kernelINS1_18TensorListMetadataILi1EEENS1_14UnaryOpFunctorIN3c104HalfELi1ELi1ELi0EEEJNS0_3ExpIfEEEEEvT_T0_DpT1_: ; @_ZN2at6native12_GLOBAL__N_125multi_tensor_apply_kernelINS1_18TensorListMetadataILi1EEENS1_14UnaryOpFunctorIN3c104HalfELi1ELi1ELi0EEEJNS0_3ExpIfEEEEEvT_T0_DpT1_
; %bb.0:
	s_bfe_u32 s2, ttmp6, 0x4000c
	s_and_b32 s3, ttmp6, 15
	s_add_co_i32 s2, s2, 1
	s_getreg_b32 s4, hwreg(HW_REG_IB_STS2, 6, 4)
	s_mul_i32 s2, ttmp9, s2
	s_delay_alu instid0(SALU_CYCLE_1)
	s_add_co_i32 s3, s3, s2
	s_cmp_eq_u32 s4, 0
	s_cselect_b32 s2, ttmp9, s3
	s_mov_b32 s3, 0
	s_load_u8 s8, s[0:1], s2 offset:0x6e0
	s_add_nc_u64 s[4:5], s[0:1], s[2:3]
	s_mul_u64 s[6:7], s[2:3], 3
	s_delay_alu instid0(SALU_CYCLE_1)
	s_add_nc_u64 s[4:5], s[4:5], s[6:7]
	s_load_b32 s10, s[4:5], 0x820
	s_wait_kmcnt 0x0
	s_clause 0x1
	s_load_b64 s[6:7], s[0:1], s8 offset:0x0 scale_offset
	s_load_b64 s[12:13], s[0:1], s8 offset:0x370 scale_offset
	s_ashr_i32 s11, s10, 31
	s_wait_kmcnt 0x0
	s_and_b64 s[4:5], s[6:7], 7
	s_and_b32 s2, s12, 3
	s_lshl_b64 s[8:9], s[10:11], 17
	s_or_b64 s[2:3], s[4:5], s[2:3]
	s_lshl_b64 s[4:5], s[10:11], 16
	s_cmp_eq_u64 s[2:3], 0
	s_sub_nc_u64 s[10:11], s[12:13], s[4:5]
	s_cbranch_scc1 .LBB139_21
; %bb.1:
	v_cmp_lt_i64_e64 s2, s[10:11], 1
	s_and_b32 vcc_lo, exec_lo, s2
	s_cbranch_vccnz .LBB139_20
; %bb.2:
	s_load_b32 s2, s[0:1], 0xd3c
	v_min_i64 v[2:3], 0x10000, s[10:11]
	v_min_u64 v[4:5], 0x10000, s[10:11]
	v_dual_mov_b32 v1, 0 :: v_dual_lshlrev_b32 v8, 1, v0
	s_mov_b32 s3, 0
	s_add_nc_u64 s[4:5], s[6:7], s[8:9]
	s_mov_b32 s17, s3
	s_delay_alu instid0(VALU_DEP_1)
	v_mov_b32_e32 v15, v1
	s_mov_b32 s19, s3
	s_mov_b32 s13, s3
	;; [unrolled: 1-line block ×5, first 2 shown]
	s_wait_kmcnt 0x0
	s_and_b32 s2, s2, 0xffff
	s_delay_alu instid0(SALU_CYCLE_1)
	v_add_nc_u64_e32 v[6:7], s[2:3], v[0:1]
	v_mov_b32_e32 v9, v1
	s_lshl_b32 s16, s2, 1
	s_mul_i32 s18, s2, 3
	v_add_nc_u64_e32 v[12:13], s[16:17], v[0:1]
	v_add_nc_u64_e32 v[10:11], s[18:19], v[0:1]
	s_lshl_b32 s12, s2, 2
	v_lshlrev_b32_e32 v14, 1, v6
	v_add_nc_u64_e32 v[8:9], s[4:5], v[8:9]
	s_lshl_b32 s14, s2, 3
	s_mul_u64 s[16:17], s[2:3], 6
	s_mov_b64 s[18:19], 0
	v_add_nc_u64_e32 v[14:15], s[4:5], v[14:15]
	s_branch .LBB139_4
.LBB139_3:                              ;   in Loop: Header=BB139_4 Depth=1
	s_wait_xcnt 0x0
	s_or_b32 exec_lo, exec_lo, s2
	s_add_nc_u64 s[18:19], s[18:19], s[12:13]
	v_add_nc_u64_e32 v[8:9], s[14:15], v[8:9]
	v_cmp_lt_i64_e32 vcc_lo, s[18:19], v[2:3]
	v_add_nc_u64_e32 v[14:15], s[14:15], v[14:15]
	s_cbranch_vccz .LBB139_20
.LBB139_4:                              ; =>This Inner Loop Header: Depth=1
	v_add_nc_u64_e32 v[16:17], s[18:19], v[0:1]
	v_dual_mov_b32 v20, 0x3c00 :: v_dual_mov_b32 v21, 0x3c00
	s_delay_alu instid0(VALU_DEP_2)
	v_cmp_lt_u64_e32 vcc_lo, v[16:17], v[4:5]
	s_and_saveexec_b32 s3, vcc_lo
	s_cbranch_execz .LBB139_6
; %bb.5:                                ;   in Loop: Header=BB139_4 Depth=1
	global_load_u16 v16, v[8:9], off
	s_wait_loadcnt 0x0
	v_cvt_f32_f16_e32 v17, v16
	s_delay_alu instid0(VALU_DEP_1) | instskip(SKIP_1) | instid1(VALU_DEP_2)
	v_mul_f32_e32 v18, 0x3fb8aa3b, v17
	v_cmp_ngt_f32_e64 s2, 0xc2ce8ed0, v17
	v_rndne_f32_e32 v19, v18
	v_fma_mix_f32 v21, v16, s20, -v18 op_sel_hi:[1,0,0]
	s_delay_alu instid0(VALU_DEP_2) | instskip(NEXT) | instid1(VALU_DEP_2)
	v_sub_f32_e32 v18, v18, v19
	v_fma_mix_f32 v16, v16, s21, v21 op_sel_hi:[1,0,0]
	s_delay_alu instid0(VALU_DEP_1) | instskip(SKIP_1) | instid1(VALU_DEP_2)
	v_add_f32_e32 v16, v18, v16
	v_cvt_i32_f32_e32 v18, v19
	v_exp_f32_e32 v16, v16
	v_nop
	s_delay_alu instid0(TRANS32_DEP_1) | instskip(NEXT) | instid1(VALU_DEP_1)
	v_ldexp_f32 v16, v16, v18
	v_cndmask_b32_e64 v16, 0, v16, s2
	v_cmp_nlt_f32_e64 s2, 0x42b17218, v17
	s_delay_alu instid0(VALU_DEP_1) | instskip(NEXT) | instid1(VALU_DEP_1)
	v_cndmask_b32_e64 v16, 0x7f800000, v16, s2
	v_cvt_f16_f32_e32 v21, v16
.LBB139_6:                              ;   in Loop: Header=BB139_4 Depth=1
	s_wait_xcnt 0x0
	s_or_b32 exec_lo, exec_lo, s3
	v_add_nc_u64_e32 v[16:17], s[18:19], v[6:7]
	s_delay_alu instid0(VALU_DEP_1)
	v_cmp_lt_u64_e64 s2, v[16:17], v[4:5]
	s_and_saveexec_b32 s4, s2
	s_cbranch_execz .LBB139_8
; %bb.7:                                ;   in Loop: Header=BB139_4 Depth=1
	global_load_u16 v16, v[14:15], off
	s_wait_loadcnt 0x0
	v_cvt_f32_f16_e32 v17, v16
	s_delay_alu instid0(VALU_DEP_1) | instskip(SKIP_1) | instid1(VALU_DEP_2)
	v_mul_f32_e32 v18, 0x3fb8aa3b, v17
	v_cmp_ngt_f32_e64 s3, 0xc2ce8ed0, v17
	v_rndne_f32_e32 v19, v18
	v_fma_mix_f32 v20, v16, s20, -v18 op_sel_hi:[1,0,0]
	s_delay_alu instid0(VALU_DEP_2) | instskip(NEXT) | instid1(VALU_DEP_2)
	v_sub_f32_e32 v18, v18, v19
	v_fma_mix_f32 v16, v16, s21, v20 op_sel_hi:[1,0,0]
	s_delay_alu instid0(VALU_DEP_1) | instskip(SKIP_1) | instid1(VALU_DEP_2)
	v_add_f32_e32 v16, v18, v16
	v_cvt_i32_f32_e32 v18, v19
	v_exp_f32_e32 v16, v16
	v_nop
	s_delay_alu instid0(TRANS32_DEP_1) | instskip(NEXT) | instid1(VALU_DEP_1)
	v_ldexp_f32 v16, v16, v18
	v_cndmask_b32_e64 v16, 0, v16, s3
	v_cmp_nlt_f32_e64 s3, 0x42b17218, v17
	s_delay_alu instid0(VALU_DEP_1) | instskip(NEXT) | instid1(VALU_DEP_1)
	v_cndmask_b32_e64 v16, 0x7f800000, v16, s3
	v_cvt_f16_f32_e32 v20, v16
.LBB139_8:                              ;   in Loop: Header=BB139_4 Depth=1
	s_wait_xcnt 0x0
	s_or_b32 exec_lo, exec_lo, s4
	v_add_nc_u64_e32 v[16:17], s[18:19], v[12:13]
	v_dual_mov_b32 v22, 0x3c00 :: v_dual_mov_b32 v23, 0x3c00
	s_delay_alu instid0(VALU_DEP_2)
	v_cmp_lt_u64_e64 s3, v[16:17], v[4:5]
	v_add_nc_u64_e32 v[16:17], s[12:13], v[8:9]
	s_and_saveexec_b32 s5, s3
	s_cbranch_execz .LBB139_10
; %bb.9:                                ;   in Loop: Header=BB139_4 Depth=1
	global_load_u16 v18, v[16:17], off
	s_wait_loadcnt 0x0
	v_cvt_f32_f16_e32 v19, v18
	s_delay_alu instid0(VALU_DEP_1) | instskip(SKIP_1) | instid1(VALU_DEP_2)
	v_mul_f32_e32 v23, 0x3fb8aa3b, v19
	v_cmp_ngt_f32_e64 s4, 0xc2ce8ed0, v19
	v_fma_mix_f32 v24, v18, s20, -v23 op_sel_hi:[1,0,0]
	v_rndne_f32_e32 v25, v23
	s_delay_alu instid0(VALU_DEP_2) | instskip(NEXT) | instid1(VALU_DEP_2)
	v_fma_mix_f32 v18, v18, s21, v24 op_sel_hi:[1,0,0]
	v_sub_f32_e32 v23, v23, v25
	s_delay_alu instid0(VALU_DEP_1) | instskip(SKIP_1) | instid1(VALU_DEP_2)
	v_add_f32_e32 v18, v23, v18
	v_cvt_i32_f32_e32 v23, v25
	v_exp_f32_e32 v18, v18
	v_nop
	s_delay_alu instid0(TRANS32_DEP_1) | instskip(NEXT) | instid1(VALU_DEP_1)
	v_ldexp_f32 v18, v18, v23
	v_cndmask_b32_e64 v18, 0, v18, s4
	v_cmp_nlt_f32_e64 s4, 0x42b17218, v19
	s_delay_alu instid0(VALU_DEP_1) | instskip(NEXT) | instid1(VALU_DEP_1)
	v_cndmask_b32_e64 v18, 0x7f800000, v18, s4
	v_cvt_f16_f32_e32 v23, v18
.LBB139_10:                             ;   in Loop: Header=BB139_4 Depth=1
	s_wait_xcnt 0x0
	s_or_b32 exec_lo, exec_lo, s5
	v_add_nc_u64_e32 v[18:19], s[18:19], v[10:11]
	s_delay_alu instid0(VALU_DEP_1)
	v_cmp_lt_u64_e64 s4, v[18:19], v[4:5]
	v_add_nc_u64_e32 v[18:19], s[16:17], v[8:9]
	s_and_saveexec_b32 s22, s4
	s_cbranch_execnz .LBB139_15
; %bb.11:                               ;   in Loop: Header=BB139_4 Depth=1
	s_or_b32 exec_lo, exec_lo, s22
	s_and_saveexec_b32 s5, vcc_lo
	s_cbranch_execnz .LBB139_16
.LBB139_12:                             ;   in Loop: Header=BB139_4 Depth=1
	s_or_b32 exec_lo, exec_lo, s5
	s_and_saveexec_b32 s5, s2
	s_cbranch_execnz .LBB139_17
.LBB139_13:                             ;   in Loop: Header=BB139_4 Depth=1
	s_or_b32 exec_lo, exec_lo, s5
	s_and_saveexec_b32 s2, s3
	s_cbranch_execnz .LBB139_18
.LBB139_14:                             ;   in Loop: Header=BB139_4 Depth=1
	s_or_b32 exec_lo, exec_lo, s2
	s_and_saveexec_b32 s2, s4
	s_cbranch_execz .LBB139_3
	s_branch .LBB139_19
.LBB139_15:                             ;   in Loop: Header=BB139_4 Depth=1
	global_load_u16 v22, v[18:19], off
	s_wait_loadcnt 0x0
	v_cvt_f32_f16_e32 v24, v22
	s_delay_alu instid0(VALU_DEP_1) | instskip(SKIP_1) | instid1(VALU_DEP_2)
	v_mul_f32_e32 v25, 0x3fb8aa3b, v24
	v_cmp_ngt_f32_e64 s5, 0xc2ce8ed0, v24
	v_fma_mix_f32 v26, v22, s20, -v25 op_sel_hi:[1,0,0]
	v_rndne_f32_e32 v27, v25
	s_delay_alu instid0(VALU_DEP_2) | instskip(NEXT) | instid1(VALU_DEP_2)
	v_fma_mix_f32 v22, v22, s21, v26 op_sel_hi:[1,0,0]
	v_sub_f32_e32 v25, v25, v27
	s_delay_alu instid0(VALU_DEP_1) | instskip(SKIP_1) | instid1(VALU_DEP_2)
	v_add_f32_e32 v22, v25, v22
	v_cvt_i32_f32_e32 v25, v27
	v_exp_f32_e32 v22, v22
	v_nop
	s_delay_alu instid0(TRANS32_DEP_1) | instskip(NEXT) | instid1(VALU_DEP_1)
	v_ldexp_f32 v22, v22, v25
	v_cndmask_b32_e64 v22, 0, v22, s5
	v_cmp_nlt_f32_e64 s5, 0x42b17218, v24
	s_delay_alu instid0(VALU_DEP_1) | instskip(NEXT) | instid1(VALU_DEP_1)
	v_cndmask_b32_e64 v22, 0x7f800000, v22, s5
	v_cvt_f16_f32_e32 v22, v22
	s_wait_xcnt 0x0
	s_or_b32 exec_lo, exec_lo, s22
	s_and_saveexec_b32 s5, vcc_lo
	s_cbranch_execz .LBB139_12
.LBB139_16:                             ;   in Loop: Header=BB139_4 Depth=1
	global_store_b16 v[8:9], v21, off
	s_wait_xcnt 0x0
	s_or_b32 exec_lo, exec_lo, s5
	s_and_saveexec_b32 s5, s2
	s_cbranch_execz .LBB139_13
.LBB139_17:                             ;   in Loop: Header=BB139_4 Depth=1
	global_store_b16 v[14:15], v20, off
	s_wait_xcnt 0x0
	s_or_b32 exec_lo, exec_lo, s5
	s_and_saveexec_b32 s2, s3
	s_cbranch_execz .LBB139_14
.LBB139_18:                             ;   in Loop: Header=BB139_4 Depth=1
	global_store_b16 v[16:17], v23, off
	s_wait_xcnt 0x0
	s_or_b32 exec_lo, exec_lo, s2
	s_and_saveexec_b32 s2, s4
	s_cbranch_execz .LBB139_3
.LBB139_19:                             ;   in Loop: Header=BB139_4 Depth=1
	global_store_b16 v[18:19], v22, off
	s_branch .LBB139_3
.LBB139_20:
	s_cbranch_execz .LBB139_22
	s_branch .LBB139_25
.LBB139_21:
.LBB139_22:
	v_min_i64 v[2:3], 0x10000, s[10:11]
	v_dual_mov_b32 v5, 0 :: v_dual_lshlrev_b32 v4, 2, v0
	s_mov_b32 s2, exec_lo
	s_delay_alu instid0(VALU_DEP_1)
	v_cmpx_lt_i64_e64 v[4:5], v[2:3]
	s_cbranch_execz .LBB139_25
; %bb.23:
	s_load_b32 s2, s[0:1], 0xd3c
	v_dual_mov_b32 v1, v5 :: v_dual_lshlrev_b32 v4, 3, v0
	s_wait_xcnt 0x0
	s_add_nc_u64 s[0:1], s[6:7], s[8:9]
	s_mov_b32 s4, 0x3fb8aa3b
	s_mov_b32 s5, 0x32a5705f
	v_add_nc_u64_e32 v[6:7], s[0:1], v[4:5]
	s_mov_b32 s1, 0
	s_delay_alu instid0(SALU_CYCLE_1) | instskip(SKIP_1) | instid1(VALU_DEP_1)
	s_mov_b32 s3, s1
	s_mov_b32 s6, s1
	v_add_nc_u64_e32 v[4:5], 4, v[6:7]
	s_wait_kmcnt 0x0
	s_and_b32 s0, s2, 0xffff
	s_delay_alu instid0(SALU_CYCLE_1)
	s_lshl_b32 s2, s0, 3
.LBB139_24:                             ; =>This Inner Loop Header: Depth=1
	global_load_b64 v[6:7], v[4:5], off offset:-4
	v_add_nc_u64_e32 v[0:1], s[0:1], v[0:1]
	s_wait_loadcnt 0x0
	v_cvt_f32_f16_e32 v8, v6
	v_dual_lshrrev_b32 v9, 16, v6 :: v_dual_lshrrev_b32 v11, 16, v7
	v_cvt_f32_f16_e32 v10, v7
	s_delay_alu instid0(VALU_DEP_3) | instskip(NEXT) | instid1(VALU_DEP_3)
	v_mul_f32_e32 v12, 0x3fb8aa3b, v8
	v_cvt_f32_f16_e32 v9, v9
	s_delay_alu instid0(VALU_DEP_4) | instskip(NEXT) | instid1(VALU_DEP_4)
	v_cvt_f32_f16_e32 v11, v11
	v_mul_f32_e32 v13, 0x3fb8aa3b, v10
	v_cmp_ngt_f32_e32 vcc_lo, 0xc2ce8ed0, v8
	v_rndne_f32_e32 v14, v12
	v_fma_mix_f32 v15, v6, s4, -v12 op_sel_hi:[1,0,0]
	v_dual_mul_f32 v16, 0x3fb8aa3b, v9 :: v_dual_mul_f32 v19, 0x3fb8aa3b, v11
	v_rndne_f32_e32 v17, v13
	v_fma_mix_f32 v18, v7, s4, -v13 op_sel_hi:[1,0,0]
	v_sub_f32_e32 v12, v12, v14
	v_fma_mix_f32 v15, v6, s5, v15 op_sel_hi:[1,0,0]
	v_rndne_f32_e32 v20, v16
	v_sub_f32_e32 v13, v13, v17
	v_fma_mix_f32 v18, v7, s5, v18 op_sel_hi:[1,0,0]
	v_rndne_f32_e32 v22, v19
	v_add_f32_e32 v12, v12, v15
	v_fma_mix_f32 v21, v6, s4, -v16 op_sel:[1,0,0] op_sel_hi:[1,0,0]
	v_fma_mix_f32 v23, v7, s4, -v19 op_sel:[1,0,0] op_sel_hi:[1,0,0]
	v_dual_sub_f32 v15, v16, v20 :: v_dual_add_f32 v13, v13, v18
	v_sub_f32_e32 v16, v19, v22
	v_exp_f32_e32 v12, v12
	v_fma_mix_f32 v6, v6, s5, v21 op_sel:[1,0,0] op_sel_hi:[1,0,0]
	v_cvt_i32_f32_e32 v14, v14
	v_fma_mix_f32 v7, v7, s5, v23 op_sel:[1,0,0] op_sel_hi:[1,0,0]
	v_exp_f32_e32 v13, v13
	s_delay_alu instid0(VALU_DEP_3)
	v_add_f32_e32 v6, v15, v6
	v_cvt_i32_f32_e32 v15, v17
	v_ldexp_f32 v12, v12, v14
	v_add_f32_e32 v7, v16, v7
	v_cvt_i32_f32_e32 v16, v22
	v_exp_f32_e32 v6, v6
	v_ldexp_f32 v13, v13, v15
	v_cndmask_b32_e32 v12, 0, v12, vcc_lo
	v_cmp_ngt_f32_e32 vcc_lo, 0xc2ce8ed0, v10
	v_exp_f32_e32 v7, v7
	v_cvt_i32_f32_e32 v14, v20
	v_cndmask_b32_e32 v13, 0, v13, vcc_lo
	v_cmp_nlt_f32_e32 vcc_lo, 0x42b17218, v8
	s_delay_alu instid0(VALU_DEP_3) | instskip(NEXT) | instid1(TRANS32_DEP_1)
	v_ldexp_f32 v6, v6, v14
	v_ldexp_f32 v7, v7, v16
	v_cndmask_b32_e32 v8, 0x7f800000, v12, vcc_lo
	v_cmp_ngt_f32_e32 vcc_lo, 0xc2ce8ed0, v11
	s_delay_alu instid0(VALU_DEP_3)
	v_cndmask_b32_e32 v7, 0, v7, vcc_lo
	v_cmp_ngt_f32_e32 vcc_lo, 0xc2ce8ed0, v9
	v_cndmask_b32_e32 v6, 0, v6, vcc_lo
	v_cmp_nlt_f32_e32 vcc_lo, 0x42b17218, v10
	v_cndmask_b32_e32 v10, 0x7f800000, v13, vcc_lo
	v_cmp_nlt_f32_e32 vcc_lo, 0x42b17218, v11
	;; [unrolled: 2-line block ×3, first 2 shown]
	s_delay_alu instid0(VALU_DEP_2) | instskip(SKIP_2) | instid1(VALU_DEP_2)
	v_cvt_pk_f16_f32 v9, v10, v11
	v_cndmask_b32_e32 v12, 0x7f800000, v6, vcc_lo
	v_lshlrev_b64_e32 v[6:7], 2, v[0:1]
	v_cvt_pk_f16_f32 v8, v8, v12
	s_delay_alu instid0(VALU_DEP_2) | instskip(SKIP_4) | instid1(SALU_CYCLE_1)
	v_cmp_ge_i64_e32 vcc_lo, v[6:7], v[2:3]
	global_store_b64 v[4:5], v[8:9], off offset:-4
	s_wait_xcnt 0x0
	v_add_nc_u64_e32 v[4:5], s[2:3], v[4:5]
	s_or_b32 s6, vcc_lo, s6
	s_and_not1_b32 exec_lo, exec_lo, s6
	s_cbranch_execnz .LBB139_24
.LBB139_25:
	s_endpgm
	.section	.rodata,"a",@progbits
	.p2align	6, 0x0
	.amdhsa_kernel _ZN2at6native12_GLOBAL__N_125multi_tensor_apply_kernelINS1_18TensorListMetadataILi1EEENS1_14UnaryOpFunctorIN3c104HalfELi1ELi1ELi0EEEJNS0_3ExpIfEEEEEvT_T0_DpT1_
		.amdhsa_group_segment_fixed_size 0
		.amdhsa_private_segment_fixed_size 0
		.amdhsa_kernarg_size 3632
		.amdhsa_user_sgpr_count 2
		.amdhsa_user_sgpr_dispatch_ptr 0
		.amdhsa_user_sgpr_queue_ptr 0
		.amdhsa_user_sgpr_kernarg_segment_ptr 1
		.amdhsa_user_sgpr_dispatch_id 0
		.amdhsa_user_sgpr_kernarg_preload_length 0
		.amdhsa_user_sgpr_kernarg_preload_offset 0
		.amdhsa_user_sgpr_private_segment_size 0
		.amdhsa_wavefront_size32 1
		.amdhsa_uses_dynamic_stack 0
		.amdhsa_enable_private_segment 0
		.amdhsa_system_sgpr_workgroup_id_x 1
		.amdhsa_system_sgpr_workgroup_id_y 0
		.amdhsa_system_sgpr_workgroup_id_z 0
		.amdhsa_system_sgpr_workgroup_info 0
		.amdhsa_system_vgpr_workitem_id 0
		.amdhsa_next_free_vgpr 28
		.amdhsa_next_free_sgpr 23
		.amdhsa_named_barrier_count 0
		.amdhsa_reserve_vcc 1
		.amdhsa_float_round_mode_32 0
		.amdhsa_float_round_mode_16_64 0
		.amdhsa_float_denorm_mode_32 3
		.amdhsa_float_denorm_mode_16_64 3
		.amdhsa_fp16_overflow 0
		.amdhsa_memory_ordered 1
		.amdhsa_forward_progress 1
		.amdhsa_inst_pref_size 15
		.amdhsa_round_robin_scheduling 0
		.amdhsa_exception_fp_ieee_invalid_op 0
		.amdhsa_exception_fp_denorm_src 0
		.amdhsa_exception_fp_ieee_div_zero 0
		.amdhsa_exception_fp_ieee_overflow 0
		.amdhsa_exception_fp_ieee_underflow 0
		.amdhsa_exception_fp_ieee_inexact 0
		.amdhsa_exception_int_div_zero 0
	.end_amdhsa_kernel
	.section	.text._ZN2at6native12_GLOBAL__N_125multi_tensor_apply_kernelINS1_18TensorListMetadataILi1EEENS1_14UnaryOpFunctorIN3c104HalfELi1ELi1ELi0EEEJNS0_3ExpIfEEEEEvT_T0_DpT1_,"axG",@progbits,_ZN2at6native12_GLOBAL__N_125multi_tensor_apply_kernelINS1_18TensorListMetadataILi1EEENS1_14UnaryOpFunctorIN3c104HalfELi1ELi1ELi0EEEJNS0_3ExpIfEEEEEvT_T0_DpT1_,comdat
.Lfunc_end139:
	.size	_ZN2at6native12_GLOBAL__N_125multi_tensor_apply_kernelINS1_18TensorListMetadataILi1EEENS1_14UnaryOpFunctorIN3c104HalfELi1ELi1ELi0EEEJNS0_3ExpIfEEEEEvT_T0_DpT1_, .Lfunc_end139-_ZN2at6native12_GLOBAL__N_125multi_tensor_apply_kernelINS1_18TensorListMetadataILi1EEENS1_14UnaryOpFunctorIN3c104HalfELi1ELi1ELi0EEEJNS0_3ExpIfEEEEEvT_T0_DpT1_
                                        ; -- End function
	.set _ZN2at6native12_GLOBAL__N_125multi_tensor_apply_kernelINS1_18TensorListMetadataILi1EEENS1_14UnaryOpFunctorIN3c104HalfELi1ELi1ELi0EEEJNS0_3ExpIfEEEEEvT_T0_DpT1_.num_vgpr, 28
	.set _ZN2at6native12_GLOBAL__N_125multi_tensor_apply_kernelINS1_18TensorListMetadataILi1EEENS1_14UnaryOpFunctorIN3c104HalfELi1ELi1ELi0EEEJNS0_3ExpIfEEEEEvT_T0_DpT1_.num_agpr, 0
	.set _ZN2at6native12_GLOBAL__N_125multi_tensor_apply_kernelINS1_18TensorListMetadataILi1EEENS1_14UnaryOpFunctorIN3c104HalfELi1ELi1ELi0EEEJNS0_3ExpIfEEEEEvT_T0_DpT1_.numbered_sgpr, 23
	.set _ZN2at6native12_GLOBAL__N_125multi_tensor_apply_kernelINS1_18TensorListMetadataILi1EEENS1_14UnaryOpFunctorIN3c104HalfELi1ELi1ELi0EEEJNS0_3ExpIfEEEEEvT_T0_DpT1_.num_named_barrier, 0
	.set _ZN2at6native12_GLOBAL__N_125multi_tensor_apply_kernelINS1_18TensorListMetadataILi1EEENS1_14UnaryOpFunctorIN3c104HalfELi1ELi1ELi0EEEJNS0_3ExpIfEEEEEvT_T0_DpT1_.private_seg_size, 0
	.set _ZN2at6native12_GLOBAL__N_125multi_tensor_apply_kernelINS1_18TensorListMetadataILi1EEENS1_14UnaryOpFunctorIN3c104HalfELi1ELi1ELi0EEEJNS0_3ExpIfEEEEEvT_T0_DpT1_.uses_vcc, 1
	.set _ZN2at6native12_GLOBAL__N_125multi_tensor_apply_kernelINS1_18TensorListMetadataILi1EEENS1_14UnaryOpFunctorIN3c104HalfELi1ELi1ELi0EEEJNS0_3ExpIfEEEEEvT_T0_DpT1_.uses_flat_scratch, 0
	.set _ZN2at6native12_GLOBAL__N_125multi_tensor_apply_kernelINS1_18TensorListMetadataILi1EEENS1_14UnaryOpFunctorIN3c104HalfELi1ELi1ELi0EEEJNS0_3ExpIfEEEEEvT_T0_DpT1_.has_dyn_sized_stack, 0
	.set _ZN2at6native12_GLOBAL__N_125multi_tensor_apply_kernelINS1_18TensorListMetadataILi1EEENS1_14UnaryOpFunctorIN3c104HalfELi1ELi1ELi0EEEJNS0_3ExpIfEEEEEvT_T0_DpT1_.has_recursion, 0
	.set _ZN2at6native12_GLOBAL__N_125multi_tensor_apply_kernelINS1_18TensorListMetadataILi1EEENS1_14UnaryOpFunctorIN3c104HalfELi1ELi1ELi0EEEJNS0_3ExpIfEEEEEvT_T0_DpT1_.has_indirect_call, 0
	.section	.AMDGPU.csdata,"",@progbits
; Kernel info:
; codeLenInByte = 1824
; TotalNumSgprs: 25
; NumVgprs: 28
; ScratchSize: 0
; MemoryBound: 0
; FloatMode: 240
; IeeeMode: 1
; LDSByteSize: 0 bytes/workgroup (compile time only)
; SGPRBlocks: 0
; VGPRBlocks: 1
; NumSGPRsForWavesPerEU: 25
; NumVGPRsForWavesPerEU: 28
; NamedBarCnt: 0
; Occupancy: 16
; WaveLimiterHint : 0
; COMPUTE_PGM_RSRC2:SCRATCH_EN: 0
; COMPUTE_PGM_RSRC2:USER_SGPR: 2
; COMPUTE_PGM_RSRC2:TRAP_HANDLER: 0
; COMPUTE_PGM_RSRC2:TGID_X_EN: 1
; COMPUTE_PGM_RSRC2:TGID_Y_EN: 0
; COMPUTE_PGM_RSRC2:TGID_Z_EN: 0
; COMPUTE_PGM_RSRC2:TIDIG_COMP_CNT: 0
	.section	.text._ZN2at6native12_GLOBAL__N_125multi_tensor_apply_kernelINS1_18TensorListMetadataILi1EEENS1_14UnaryOpFunctorIN3c108BFloat16ELi1ELi1ELi0EEEJNS0_3ExpIfEEEEEvT_T0_DpT1_,"axG",@progbits,_ZN2at6native12_GLOBAL__N_125multi_tensor_apply_kernelINS1_18TensorListMetadataILi1EEENS1_14UnaryOpFunctorIN3c108BFloat16ELi1ELi1ELi0EEEJNS0_3ExpIfEEEEEvT_T0_DpT1_,comdat
	.globl	_ZN2at6native12_GLOBAL__N_125multi_tensor_apply_kernelINS1_18TensorListMetadataILi1EEENS1_14UnaryOpFunctorIN3c108BFloat16ELi1ELi1ELi0EEEJNS0_3ExpIfEEEEEvT_T0_DpT1_ ; -- Begin function _ZN2at6native12_GLOBAL__N_125multi_tensor_apply_kernelINS1_18TensorListMetadataILi1EEENS1_14UnaryOpFunctorIN3c108BFloat16ELi1ELi1ELi0EEEJNS0_3ExpIfEEEEEvT_T0_DpT1_
	.p2align	8
	.type	_ZN2at6native12_GLOBAL__N_125multi_tensor_apply_kernelINS1_18TensorListMetadataILi1EEENS1_14UnaryOpFunctorIN3c108BFloat16ELi1ELi1ELi0EEEJNS0_3ExpIfEEEEEvT_T0_DpT1_,@function
_ZN2at6native12_GLOBAL__N_125multi_tensor_apply_kernelINS1_18TensorListMetadataILi1EEENS1_14UnaryOpFunctorIN3c108BFloat16ELi1ELi1ELi0EEEJNS0_3ExpIfEEEEEvT_T0_DpT1_: ; @_ZN2at6native12_GLOBAL__N_125multi_tensor_apply_kernelINS1_18TensorListMetadataILi1EEENS1_14UnaryOpFunctorIN3c108BFloat16ELi1ELi1ELi0EEEJNS0_3ExpIfEEEEEvT_T0_DpT1_
; %bb.0:
	s_bfe_u32 s2, ttmp6, 0x4000c
	s_and_b32 s3, ttmp6, 15
	s_add_co_i32 s2, s2, 1
	s_getreg_b32 s4, hwreg(HW_REG_IB_STS2, 6, 4)
	s_mul_i32 s2, ttmp9, s2
	s_delay_alu instid0(SALU_CYCLE_1)
	s_add_co_i32 s3, s3, s2
	s_cmp_eq_u32 s4, 0
	s_cselect_b32 s2, ttmp9, s3
	s_mov_b32 s3, 0
	s_load_u8 s8, s[0:1], s2 offset:0x6e0
	s_add_nc_u64 s[4:5], s[0:1], s[2:3]
	s_mul_u64 s[6:7], s[2:3], 3
	s_delay_alu instid0(SALU_CYCLE_1)
	s_add_nc_u64 s[4:5], s[4:5], s[6:7]
	s_load_b32 s10, s[4:5], 0x820
	s_wait_kmcnt 0x0
	s_clause 0x1
	s_load_b64 s[6:7], s[0:1], s8 offset:0x0 scale_offset
	s_load_b64 s[12:13], s[0:1], s8 offset:0x370 scale_offset
	s_ashr_i32 s11, s10, 31
	s_wait_kmcnt 0x0
	s_and_b64 s[4:5], s[6:7], 7
	s_and_b32 s2, s12, 3
	s_lshl_b64 s[8:9], s[10:11], 17
	s_or_b64 s[2:3], s[4:5], s[2:3]
	s_lshl_b64 s[4:5], s[10:11], 16
	s_cmp_eq_u64 s[2:3], 0
	s_sub_nc_u64 s[10:11], s[12:13], s[4:5]
	s_cbranch_scc1 .LBB140_21
; %bb.1:
	v_cmp_lt_i64_e64 s2, s[10:11], 1
	s_and_b32 vcc_lo, exec_lo, s2
	s_cbranch_vccnz .LBB140_20
; %bb.2:
	s_load_b32 s2, s[0:1], 0xd3c
	v_min_i64 v[2:3], 0x10000, s[10:11]
	v_min_u64 v[4:5], 0x10000, s[10:11]
	v_dual_mov_b32 v1, 0 :: v_dual_lshlrev_b32 v8, 1, v0
	s_mov_b32 s3, 0
	s_add_nc_u64 s[4:5], s[6:7], s[8:9]
	s_mov_b32 s17, s3
	s_delay_alu instid0(VALU_DEP_1)
	v_mov_b32_e32 v15, v1
	s_mov_b32 s19, s3
	s_mov_b32 s13, s3
	;; [unrolled: 1-line block ×5, first 2 shown]
	s_wait_kmcnt 0x0
	s_and_b32 s2, s2, 0xffff
	s_delay_alu instid0(SALU_CYCLE_1)
	v_add_nc_u64_e32 v[6:7], s[2:3], v[0:1]
	v_mov_b32_e32 v9, v1
	s_lshl_b32 s16, s2, 1
	s_mul_i32 s18, s2, 3
	v_add_nc_u64_e32 v[12:13], s[16:17], v[0:1]
	v_add_nc_u64_e32 v[10:11], s[18:19], v[0:1]
	s_lshl_b32 s12, s2, 2
	v_lshlrev_b32_e32 v14, 1, v6
	v_add_nc_u64_e32 v[8:9], s[4:5], v[8:9]
	s_lshl_b32 s14, s2, 3
	s_mul_u64 s[16:17], s[2:3], 6
	s_mov_b64 s[18:19], 0
	v_add_nc_u64_e32 v[14:15], s[4:5], v[14:15]
	s_branch .LBB140_4
.LBB140_3:                              ;   in Loop: Header=BB140_4 Depth=1
	s_wait_xcnt 0x0
	s_or_b32 exec_lo, exec_lo, s2
	s_add_nc_u64 s[18:19], s[18:19], s[12:13]
	v_add_nc_u64_e32 v[8:9], s[14:15], v[8:9]
	v_cmp_lt_i64_e32 vcc_lo, s[18:19], v[2:3]
	v_add_nc_u64_e32 v[14:15], s[14:15], v[14:15]
	s_cbranch_vccz .LBB140_20
.LBB140_4:                              ; =>This Inner Loop Header: Depth=1
	v_add_nc_u64_e32 v[16:17], s[18:19], v[0:1]
	v_dual_mov_b32 v20, 1.0 :: v_dual_mov_b32 v21, 1.0
	s_delay_alu instid0(VALU_DEP_2)
	v_cmp_lt_u64_e32 vcc_lo, v[16:17], v[4:5]
	s_and_saveexec_b32 s3, vcc_lo
	s_cbranch_execz .LBB140_6
; %bb.5:                                ;   in Loop: Header=BB140_4 Depth=1
	global_load_u16 v16, v[8:9], off
	s_wait_loadcnt 0x0
	v_lshlrev_b32_e32 v17, 16, v16
	s_delay_alu instid0(VALU_DEP_1) | instskip(NEXT) | instid1(VALU_DEP_1)
	v_mul_f32_e32 v18, 0x3fb8aa3b, v17
	v_rndne_f32_e32 v19, v18
	v_fma_mix_f32_bf16 v21, v16, s20, -v18 op_sel_hi:[1,0,0]
	s_delay_alu instid0(VALU_DEP_2) | instskip(NEXT) | instid1(VALU_DEP_2)
	v_sub_f32_e32 v18, v18, v19
	v_fma_mix_f32_bf16 v16, v16, s21, v21 op_sel_hi:[1,0,0]
	v_cmp_ngt_f32_e64 s2, 0xc2ce8ed0, v17
	s_delay_alu instid0(VALU_DEP_2) | instskip(SKIP_1) | instid1(VALU_DEP_2)
	v_add_f32_e32 v16, v18, v16
	v_cvt_i32_f32_e32 v18, v19
	v_exp_f32_e32 v16, v16
	v_nop
	s_delay_alu instid0(TRANS32_DEP_1) | instskip(NEXT) | instid1(VALU_DEP_1)
	v_ldexp_f32 v16, v16, v18
	v_cndmask_b32_e64 v16, 0, v16, s2
	v_cmp_nlt_f32_e64 s2, 0x42b17218, v17
	s_delay_alu instid0(VALU_DEP_1)
	v_cndmask_b32_e64 v21, 0x7f800000, v16, s2
.LBB140_6:                              ;   in Loop: Header=BB140_4 Depth=1
	s_wait_xcnt 0x0
	s_or_b32 exec_lo, exec_lo, s3
	v_add_nc_u64_e32 v[16:17], s[18:19], v[6:7]
	s_delay_alu instid0(VALU_DEP_1)
	v_cmp_lt_u64_e64 s2, v[16:17], v[4:5]
	s_and_saveexec_b32 s4, s2
	s_cbranch_execz .LBB140_8
; %bb.7:                                ;   in Loop: Header=BB140_4 Depth=1
	global_load_u16 v16, v[14:15], off
	s_wait_loadcnt 0x0
	v_lshlrev_b32_e32 v17, 16, v16
	s_delay_alu instid0(VALU_DEP_1) | instskip(NEXT) | instid1(VALU_DEP_1)
	v_mul_f32_e32 v18, 0x3fb8aa3b, v17
	v_rndne_f32_e32 v19, v18
	v_fma_mix_f32_bf16 v20, v16, s20, -v18 op_sel_hi:[1,0,0]
	s_delay_alu instid0(VALU_DEP_2) | instskip(NEXT) | instid1(VALU_DEP_2)
	v_sub_f32_e32 v18, v18, v19
	v_fma_mix_f32_bf16 v16, v16, s21, v20 op_sel_hi:[1,0,0]
	v_cmp_ngt_f32_e64 s3, 0xc2ce8ed0, v17
	s_delay_alu instid0(VALU_DEP_2) | instskip(SKIP_1) | instid1(VALU_DEP_2)
	v_add_f32_e32 v16, v18, v16
	v_cvt_i32_f32_e32 v18, v19
	v_exp_f32_e32 v16, v16
	v_nop
	s_delay_alu instid0(TRANS32_DEP_1) | instskip(NEXT) | instid1(VALU_DEP_1)
	v_ldexp_f32 v16, v16, v18
	v_cndmask_b32_e64 v16, 0, v16, s3
	v_cmp_nlt_f32_e64 s3, 0x42b17218, v17
	s_delay_alu instid0(VALU_DEP_1)
	v_cndmask_b32_e64 v20, 0x7f800000, v16, s3
.LBB140_8:                              ;   in Loop: Header=BB140_4 Depth=1
	s_wait_xcnt 0x0
	s_or_b32 exec_lo, exec_lo, s4
	v_add_nc_u64_e32 v[16:17], s[18:19], v[12:13]
	v_dual_mov_b32 v22, 1.0 :: v_dual_mov_b32 v23, 1.0
	s_delay_alu instid0(VALU_DEP_2)
	v_cmp_lt_u64_e64 s3, v[16:17], v[4:5]
	v_add_nc_u64_e32 v[16:17], s[12:13], v[8:9]
	s_and_saveexec_b32 s5, s3
	s_cbranch_execz .LBB140_10
; %bb.9:                                ;   in Loop: Header=BB140_4 Depth=1
	global_load_u16 v18, v[16:17], off
	s_wait_loadcnt 0x0
	v_lshlrev_b32_e32 v19, 16, v18
	s_delay_alu instid0(VALU_DEP_1) | instskip(NEXT) | instid1(VALU_DEP_1)
	v_mul_f32_e32 v23, 0x3fb8aa3b, v19
	v_fma_mix_f32_bf16 v24, v18, s20, -v23 op_sel_hi:[1,0,0]
	v_rndne_f32_e32 v25, v23
	s_delay_alu instid0(VALU_DEP_2) | instskip(NEXT) | instid1(VALU_DEP_2)
	v_fma_mix_f32_bf16 v18, v18, s21, v24 op_sel_hi:[1,0,0]
	v_sub_f32_e32 v23, v23, v25
	v_cmp_ngt_f32_e64 s4, 0xc2ce8ed0, v19
	s_delay_alu instid0(VALU_DEP_2) | instskip(SKIP_1) | instid1(VALU_DEP_2)
	v_add_f32_e32 v18, v23, v18
	v_cvt_i32_f32_e32 v23, v25
	v_exp_f32_e32 v18, v18
	v_nop
	s_delay_alu instid0(TRANS32_DEP_1) | instskip(NEXT) | instid1(VALU_DEP_1)
	v_ldexp_f32 v18, v18, v23
	v_cndmask_b32_e64 v18, 0, v18, s4
	v_cmp_nlt_f32_e64 s4, 0x42b17218, v19
	s_delay_alu instid0(VALU_DEP_1)
	v_cndmask_b32_e64 v23, 0x7f800000, v18, s4
.LBB140_10:                             ;   in Loop: Header=BB140_4 Depth=1
	s_wait_xcnt 0x0
	s_or_b32 exec_lo, exec_lo, s5
	v_add_nc_u64_e32 v[18:19], s[18:19], v[10:11]
	s_delay_alu instid0(VALU_DEP_1)
	v_cmp_lt_u64_e64 s4, v[18:19], v[4:5]
	v_add_nc_u64_e32 v[18:19], s[16:17], v[8:9]
	s_and_saveexec_b32 s22, s4
	s_cbranch_execnz .LBB140_15
; %bb.11:                               ;   in Loop: Header=BB140_4 Depth=1
	s_or_b32 exec_lo, exec_lo, s22
	s_and_saveexec_b32 s5, vcc_lo
	s_cbranch_execnz .LBB140_16
.LBB140_12:                             ;   in Loop: Header=BB140_4 Depth=1
	s_or_b32 exec_lo, exec_lo, s5
	s_and_saveexec_b32 s5, s2
	s_cbranch_execnz .LBB140_17
.LBB140_13:                             ;   in Loop: Header=BB140_4 Depth=1
	s_or_b32 exec_lo, exec_lo, s5
	s_and_saveexec_b32 s2, s3
	s_cbranch_execnz .LBB140_18
.LBB140_14:                             ;   in Loop: Header=BB140_4 Depth=1
	s_or_b32 exec_lo, exec_lo, s2
	s_and_saveexec_b32 s2, s4
	s_cbranch_execz .LBB140_3
	s_branch .LBB140_19
.LBB140_15:                             ;   in Loop: Header=BB140_4 Depth=1
	global_load_u16 v22, v[18:19], off
	s_wait_loadcnt 0x0
	v_lshlrev_b32_e32 v24, 16, v22
	s_delay_alu instid0(VALU_DEP_1) | instskip(NEXT) | instid1(VALU_DEP_1)
	v_mul_f32_e32 v25, 0x3fb8aa3b, v24
	v_fma_mix_f32_bf16 v26, v22, s20, -v25 op_sel_hi:[1,0,0]
	v_rndne_f32_e32 v27, v25
	s_delay_alu instid0(VALU_DEP_2) | instskip(NEXT) | instid1(VALU_DEP_2)
	v_fma_mix_f32_bf16 v22, v22, s21, v26 op_sel_hi:[1,0,0]
	v_sub_f32_e32 v25, v25, v27
	v_cmp_ngt_f32_e64 s5, 0xc2ce8ed0, v24
	s_delay_alu instid0(VALU_DEP_2) | instskip(SKIP_1) | instid1(VALU_DEP_2)
	v_add_f32_e32 v22, v25, v22
	v_cvt_i32_f32_e32 v25, v27
	v_exp_f32_e32 v22, v22
	v_nop
	s_delay_alu instid0(TRANS32_DEP_1) | instskip(NEXT) | instid1(VALU_DEP_1)
	v_ldexp_f32 v22, v22, v25
	v_cndmask_b32_e64 v22, 0, v22, s5
	v_cmp_nlt_f32_e64 s5, 0x42b17218, v24
	s_delay_alu instid0(VALU_DEP_1)
	v_cndmask_b32_e64 v22, 0x7f800000, v22, s5
	s_wait_xcnt 0x0
	s_or_b32 exec_lo, exec_lo, s22
	s_and_saveexec_b32 s5, vcc_lo
	s_cbranch_execz .LBB140_12
.LBB140_16:                             ;   in Loop: Header=BB140_4 Depth=1
	v_bfe_u32 v24, v21, 16, 1
	v_cmp_o_f32_e32 vcc_lo, v21, v21
	s_delay_alu instid0(VALU_DEP_2) | instskip(NEXT) | instid1(VALU_DEP_1)
	v_add3_u32 v24, v21, v24, 0x7fff
	v_lshrrev_b32_e32 v24, 16, v24
	s_delay_alu instid0(VALU_DEP_1)
	v_cndmask_b32_e32 v21, 0x7fc0, v24, vcc_lo
	global_store_b16 v[8:9], v21, off
	s_wait_xcnt 0x0
	s_or_b32 exec_lo, exec_lo, s5
	s_and_saveexec_b32 s5, s2
	s_cbranch_execz .LBB140_13
.LBB140_17:                             ;   in Loop: Header=BB140_4 Depth=1
	v_bfe_u32 v21, v20, 16, 1
	v_cmp_o_f32_e32 vcc_lo, v20, v20
	s_delay_alu instid0(VALU_DEP_2) | instskip(NEXT) | instid1(VALU_DEP_1)
	v_add3_u32 v21, v20, v21, 0x7fff
	v_lshrrev_b32_e32 v21, 16, v21
	s_delay_alu instid0(VALU_DEP_1)
	v_cndmask_b32_e32 v20, 0x7fc0, v21, vcc_lo
	global_store_b16 v[14:15], v20, off
	s_wait_xcnt 0x0
	s_or_b32 exec_lo, exec_lo, s5
	s_and_saveexec_b32 s2, s3
	s_cbranch_execz .LBB140_14
.LBB140_18:                             ;   in Loop: Header=BB140_4 Depth=1
	v_bfe_u32 v20, v23, 16, 1
	v_cmp_o_f32_e32 vcc_lo, v23, v23
	s_delay_alu instid0(VALU_DEP_2) | instskip(NEXT) | instid1(VALU_DEP_1)
	v_add3_u32 v20, v23, v20, 0x7fff
	v_lshrrev_b32_e32 v20, 16, v20
	s_delay_alu instid0(VALU_DEP_1)
	v_cndmask_b32_e32 v20, 0x7fc0, v20, vcc_lo
	global_store_b16 v[16:17], v20, off
	s_wait_xcnt 0x0
	s_or_b32 exec_lo, exec_lo, s2
	s_and_saveexec_b32 s2, s4
	s_cbranch_execz .LBB140_3
.LBB140_19:                             ;   in Loop: Header=BB140_4 Depth=1
	v_bfe_u32 v16, v22, 16, 1
	v_cmp_o_f32_e32 vcc_lo, v22, v22
	s_delay_alu instid0(VALU_DEP_2) | instskip(NEXT) | instid1(VALU_DEP_1)
	v_add3_u32 v16, v22, v16, 0x7fff
	v_lshrrev_b32_e32 v16, 16, v16
	s_delay_alu instid0(VALU_DEP_1)
	v_cndmask_b32_e32 v16, 0x7fc0, v16, vcc_lo
	global_store_b16 v[18:19], v16, off
	s_branch .LBB140_3
.LBB140_20:
	s_cbranch_execz .LBB140_22
	s_branch .LBB140_25
.LBB140_21:
.LBB140_22:
	v_min_i64 v[2:3], 0x10000, s[10:11]
	v_dual_mov_b32 v5, 0 :: v_dual_lshlrev_b32 v4, 2, v0
	s_mov_b32 s2, exec_lo
	s_delay_alu instid0(VALU_DEP_1)
	v_cmpx_lt_i64_e64 v[4:5], v[2:3]
	s_cbranch_execz .LBB140_25
; %bb.23:
	s_load_b32 s0, s[0:1], 0xd3c
	v_dual_mov_b32 v1, v5 :: v_dual_lshlrev_b32 v4, 3, v0
	s_add_nc_u64 s[2:3], s[6:7], s[8:9]
	s_wait_xcnt 0x0
	s_mov_b32 s1, 0
	s_mov_b32 s4, 0x3fb8aa3b
	v_add_nc_u64_e32 v[4:5], s[2:3], v[4:5]
	s_mov_b32 s5, 0x32a5705f
	s_mov_b32 s3, s1
	;; [unrolled: 1-line block ×3, first 2 shown]
	s_wait_kmcnt 0x0
	s_and_b32 s0, s0, 0xffff
	s_delay_alu instid0(SALU_CYCLE_1)
	s_lshl_b32 s2, s0, 3
.LBB140_24:                             ; =>This Inner Loop Header: Depth=1
	global_load_b64 v[6:7], v[4:5], off
	v_add_nc_u64_e32 v[0:1], s[0:1], v[0:1]
	s_wait_loadcnt 0x0
	v_and_b32_e32 v9, 0xffff0000, v6
	v_lshlrev_b32_e32 v8, 16, v6
	v_and_b32_e32 v11, 0xffff0000, v7
	v_alignbit_b32 v10, v7, v6, 16
	s_delay_alu instid0(VALU_DEP_3) | instskip(NEXT) | instid1(VALU_DEP_3)
	v_dual_mul_f32 v13, 0x3fb8aa3b, v9 :: v_dual_mul_f32 v12, 0x3fb8aa3b, v8
	v_mul_f32_e32 v15, 0x3fb8aa3b, v11
	s_delay_alu instid0(VALU_DEP_3) | instskip(SKIP_1) | instid1(VALU_DEP_4)
	v_and_b32_e32 v14, 0xffff0000, v10
	v_cmp_ngt_f32_e32 vcc_lo, 0xc2ce8ed0, v8
	v_rndne_f32_e32 v18, v13
	v_rndne_f32_e32 v16, v12
	v_fma_mix_f32_bf16 v17, v6, s4, -v12 op_sel_hi:[1,0,0]
	v_fma_mix_f32_bf16 v19, v6, s4, -v13 op_sel:[1,0,0] op_sel_hi:[1,0,0]
	v_rndne_f32_e32 v21, v15
	v_mul_f32_e32 v20, 0x3fb8aa3b, v14
	v_dual_sub_f32 v12, v12, v16 :: v_dual_sub_f32 v13, v13, v18
	v_fma_mix_f32_bf16 v17, v6, s5, v17 op_sel_hi:[1,0,0]
	v_fma_mix_f32_bf16 v22, v7, s4, -v15 op_sel:[1,0,0] op_sel_hi:[1,0,0]
	v_fma_mix_f32_bf16 v6, v6, s5, v19 op_sel:[1,0,0] op_sel_hi:[1,0,0]
	v_sub_f32_e32 v15, v15, v21
	v_fma_mix_f32_bf16 v19, v10, s4, -v20 op_sel:[1,0,0] op_sel_hi:[1,0,0]
	v_add_f32_e32 v12, v12, v17
	v_fma_mix_f32_bf16 v7, v7, s5, v22 op_sel:[1,0,0] op_sel_hi:[1,0,0]
	v_add_f32_e32 v6, v13, v6
	v_rndne_f32_e32 v23, v20
	v_fma_mix_f32_bf16 v10, v10, s5, v19 op_sel:[1,0,0] op_sel_hi:[1,0,0]
	v_exp_f32_e32 v12, v12
	v_add_f32_e32 v7, v15, v7
	v_cvt_i32_f32_e32 v15, v16
	v_exp_f32_e32 v6, v6
	v_cvt_i32_f32_e32 v16, v21
	v_cvt_i32_f32_e32 v17, v23
	s_delay_alu instid0(TRANS32_DEP_2) | instid1(VALU_DEP_3)
	v_ldexp_f32 v12, v12, v15
	s_delay_alu instid0(VALU_DEP_1) | instskip(NEXT) | instid1(VALU_DEP_1)
	v_dual_sub_f32 v13, v20, v23 :: v_dual_cndmask_b32 v12, 0, v12
	v_add_f32_e32 v10, v13, v10
	v_cvt_i32_f32_e32 v13, v18
	v_exp_f32_e32 v7, v7
	v_cmp_ngt_f32_e32 vcc_lo, 0xc2ce8ed0, v9
	s_delay_alu instid0(VALU_DEP_3) | instskip(NEXT) | instid1(VALU_DEP_2)
	v_exp_f32_e32 v10, v10
	v_ldexp_f32 v6, v6, v13
	s_delay_alu instid0(TRANS32_DEP_2) | instskip(NEXT) | instid1(VALU_DEP_2)
	v_ldexp_f32 v7, v7, v16
	v_cndmask_b32_e32 v6, 0, v6, vcc_lo
	v_cmp_ngt_f32_e32 vcc_lo, 0xc2ce8ed0, v11
	s_delay_alu instid0(TRANS32_DEP_1) | instskip(NEXT) | instid1(VALU_DEP_4)
	v_ldexp_f32 v10, v10, v17
	v_cndmask_b32_e32 v7, 0, v7, vcc_lo
	v_cmp_nlt_f32_e32 vcc_lo, 0x42b17218, v8
	v_cndmask_b32_e32 v8, 0x7f800000, v12, vcc_lo
	v_cmp_ngt_f32_e32 vcc_lo, 0xc2ce8ed0, v14
	v_cndmask_b32_e32 v10, 0, v10, vcc_lo
	v_cmp_nlt_f32_e32 vcc_lo, 0x42b17218, v9
	v_cndmask_b32_e32 v6, 0x7f800000, v6, vcc_lo
	v_cmp_nlt_f32_e32 vcc_lo, 0x42b17218, v11
	v_bfe_u32 v11, v8, 16, 1
	v_cndmask_b32_e32 v7, 0x7f800000, v7, vcc_lo
	v_cmp_nlt_f32_e32 vcc_lo, 0x42b17218, v14
	s_delay_alu instid0(VALU_DEP_3) | instskip(NEXT) | instid1(VALU_DEP_3)
	v_add3_u32 v11, v8, v11, 0x7fff
	v_bfe_u32 v12, v7, 16, 1
	v_cndmask_b32_e32 v9, 0x7f800000, v10, vcc_lo
	v_bfe_u32 v10, v6, 16, 1
	v_cmp_o_f32_e32 vcc_lo, v6, v6
	v_lshrrev_b32_e32 v11, 16, v11
	v_add3_u32 v12, v7, v12, 0x7fff
	v_bfe_u32 v13, v9, 16, 1
	v_add3_u32 v10, v6, v10, 0x7fff
	s_delay_alu instid0(VALU_DEP_3) | instskip(NEXT) | instid1(VALU_DEP_3)
	v_and_b32_e32 v12, 0xffff0000, v12
	v_add3_u32 v13, v9, v13, 0x7fff
	s_delay_alu instid0(VALU_DEP_3) | instskip(NEXT) | instid1(VALU_DEP_1)
	v_and_b32_e32 v10, 0xffff0000, v10
	v_dual_cndmask_b32 v6, 0x7fc00000, v10 :: v_dual_lshrrev_b32 v13, 16, v13
	v_cmp_o_f32_e32 vcc_lo, v8, v8
	v_cndmask_b32_e32 v8, 0x7fc0, v11, vcc_lo
	v_cmp_o_f32_e32 vcc_lo, v7, v7
	s_delay_alu instid0(VALU_DEP_2) | instskip(SKIP_3) | instid1(VALU_DEP_4)
	v_or_b32_e32 v8, v8, v6
	v_cndmask_b32_e32 v10, 0x7fc00000, v12, vcc_lo
	v_cmp_o_f32_e32 vcc_lo, v9, v9
	v_lshlrev_b64_e32 v[6:7], 2, v[0:1]
	v_or3_b32 v8, v8, 0, 0
	v_cndmask_b32_e32 v9, 0x7fc0, v13, vcc_lo
	s_delay_alu instid0(VALU_DEP_3) | instskip(NEXT) | instid1(VALU_DEP_2)
	v_cmp_ge_i64_e32 vcc_lo, v[6:7], v[2:3]
	v_or3_b32 v9, 0, v9, v10
	global_store_b64 v[4:5], v[8:9], off
	s_wait_xcnt 0x0
	v_add_nc_u64_e32 v[4:5], s[2:3], v[4:5]
	s_or_b32 s6, vcc_lo, s6
	s_delay_alu instid0(SALU_CYCLE_1)
	s_and_not1_b32 exec_lo, exec_lo, s6
	s_cbranch_execnz .LBB140_24
.LBB140_25:
	s_endpgm
	.section	.rodata,"a",@progbits
	.p2align	6, 0x0
	.amdhsa_kernel _ZN2at6native12_GLOBAL__N_125multi_tensor_apply_kernelINS1_18TensorListMetadataILi1EEENS1_14UnaryOpFunctorIN3c108BFloat16ELi1ELi1ELi0EEEJNS0_3ExpIfEEEEEvT_T0_DpT1_
		.amdhsa_group_segment_fixed_size 0
		.amdhsa_private_segment_fixed_size 0
		.amdhsa_kernarg_size 3632
		.amdhsa_user_sgpr_count 2
		.amdhsa_user_sgpr_dispatch_ptr 0
		.amdhsa_user_sgpr_queue_ptr 0
		.amdhsa_user_sgpr_kernarg_segment_ptr 1
		.amdhsa_user_sgpr_dispatch_id 0
		.amdhsa_user_sgpr_kernarg_preload_length 0
		.amdhsa_user_sgpr_kernarg_preload_offset 0
		.amdhsa_user_sgpr_private_segment_size 0
		.amdhsa_wavefront_size32 1
		.amdhsa_uses_dynamic_stack 0
		.amdhsa_enable_private_segment 0
		.amdhsa_system_sgpr_workgroup_id_x 1
		.amdhsa_system_sgpr_workgroup_id_y 0
		.amdhsa_system_sgpr_workgroup_id_z 0
		.amdhsa_system_sgpr_workgroup_info 0
		.amdhsa_system_vgpr_workitem_id 0
		.amdhsa_next_free_vgpr 28
		.amdhsa_next_free_sgpr 23
		.amdhsa_named_barrier_count 0
		.amdhsa_reserve_vcc 1
		.amdhsa_float_round_mode_32 0
		.amdhsa_float_round_mode_16_64 0
		.amdhsa_float_denorm_mode_32 3
		.amdhsa_float_denorm_mode_16_64 3
		.amdhsa_fp16_overflow 0
		.amdhsa_memory_ordered 1
		.amdhsa_forward_progress 1
		.amdhsa_inst_pref_size 17
		.amdhsa_round_robin_scheduling 0
		.amdhsa_exception_fp_ieee_invalid_op 0
		.amdhsa_exception_fp_denorm_src 0
		.amdhsa_exception_fp_ieee_div_zero 0
		.amdhsa_exception_fp_ieee_overflow 0
		.amdhsa_exception_fp_ieee_underflow 0
		.amdhsa_exception_fp_ieee_inexact 0
		.amdhsa_exception_int_div_zero 0
	.end_amdhsa_kernel
	.section	.text._ZN2at6native12_GLOBAL__N_125multi_tensor_apply_kernelINS1_18TensorListMetadataILi1EEENS1_14UnaryOpFunctorIN3c108BFloat16ELi1ELi1ELi0EEEJNS0_3ExpIfEEEEEvT_T0_DpT1_,"axG",@progbits,_ZN2at6native12_GLOBAL__N_125multi_tensor_apply_kernelINS1_18TensorListMetadataILi1EEENS1_14UnaryOpFunctorIN3c108BFloat16ELi1ELi1ELi0EEEJNS0_3ExpIfEEEEEvT_T0_DpT1_,comdat
.Lfunc_end140:
	.size	_ZN2at6native12_GLOBAL__N_125multi_tensor_apply_kernelINS1_18TensorListMetadataILi1EEENS1_14UnaryOpFunctorIN3c108BFloat16ELi1ELi1ELi0EEEJNS0_3ExpIfEEEEEvT_T0_DpT1_, .Lfunc_end140-_ZN2at6native12_GLOBAL__N_125multi_tensor_apply_kernelINS1_18TensorListMetadataILi1EEENS1_14UnaryOpFunctorIN3c108BFloat16ELi1ELi1ELi0EEEJNS0_3ExpIfEEEEEvT_T0_DpT1_
                                        ; -- End function
	.set _ZN2at6native12_GLOBAL__N_125multi_tensor_apply_kernelINS1_18TensorListMetadataILi1EEENS1_14UnaryOpFunctorIN3c108BFloat16ELi1ELi1ELi0EEEJNS0_3ExpIfEEEEEvT_T0_DpT1_.num_vgpr, 28
	.set _ZN2at6native12_GLOBAL__N_125multi_tensor_apply_kernelINS1_18TensorListMetadataILi1EEENS1_14UnaryOpFunctorIN3c108BFloat16ELi1ELi1ELi0EEEJNS0_3ExpIfEEEEEvT_T0_DpT1_.num_agpr, 0
	.set _ZN2at6native12_GLOBAL__N_125multi_tensor_apply_kernelINS1_18TensorListMetadataILi1EEENS1_14UnaryOpFunctorIN3c108BFloat16ELi1ELi1ELi0EEEJNS0_3ExpIfEEEEEvT_T0_DpT1_.numbered_sgpr, 23
	.set _ZN2at6native12_GLOBAL__N_125multi_tensor_apply_kernelINS1_18TensorListMetadataILi1EEENS1_14UnaryOpFunctorIN3c108BFloat16ELi1ELi1ELi0EEEJNS0_3ExpIfEEEEEvT_T0_DpT1_.num_named_barrier, 0
	.set _ZN2at6native12_GLOBAL__N_125multi_tensor_apply_kernelINS1_18TensorListMetadataILi1EEENS1_14UnaryOpFunctorIN3c108BFloat16ELi1ELi1ELi0EEEJNS0_3ExpIfEEEEEvT_T0_DpT1_.private_seg_size, 0
	.set _ZN2at6native12_GLOBAL__N_125multi_tensor_apply_kernelINS1_18TensorListMetadataILi1EEENS1_14UnaryOpFunctorIN3c108BFloat16ELi1ELi1ELi0EEEJNS0_3ExpIfEEEEEvT_T0_DpT1_.uses_vcc, 1
	.set _ZN2at6native12_GLOBAL__N_125multi_tensor_apply_kernelINS1_18TensorListMetadataILi1EEENS1_14UnaryOpFunctorIN3c108BFloat16ELi1ELi1ELi0EEEJNS0_3ExpIfEEEEEvT_T0_DpT1_.uses_flat_scratch, 0
	.set _ZN2at6native12_GLOBAL__N_125multi_tensor_apply_kernelINS1_18TensorListMetadataILi1EEENS1_14UnaryOpFunctorIN3c108BFloat16ELi1ELi1ELi0EEEJNS0_3ExpIfEEEEEvT_T0_DpT1_.has_dyn_sized_stack, 0
	.set _ZN2at6native12_GLOBAL__N_125multi_tensor_apply_kernelINS1_18TensorListMetadataILi1EEENS1_14UnaryOpFunctorIN3c108BFloat16ELi1ELi1ELi0EEEJNS0_3ExpIfEEEEEvT_T0_DpT1_.has_recursion, 0
	.set _ZN2at6native12_GLOBAL__N_125multi_tensor_apply_kernelINS1_18TensorListMetadataILi1EEENS1_14UnaryOpFunctorIN3c108BFloat16ELi1ELi1ELi0EEEJNS0_3ExpIfEEEEEvT_T0_DpT1_.has_indirect_call, 0
	.section	.AMDGPU.csdata,"",@progbits
; Kernel info:
; codeLenInByte = 2152
; TotalNumSgprs: 25
; NumVgprs: 28
; ScratchSize: 0
; MemoryBound: 0
; FloatMode: 240
; IeeeMode: 1
; LDSByteSize: 0 bytes/workgroup (compile time only)
; SGPRBlocks: 0
; VGPRBlocks: 1
; NumSGPRsForWavesPerEU: 25
; NumVGPRsForWavesPerEU: 28
; NamedBarCnt: 0
; Occupancy: 16
; WaveLimiterHint : 0
; COMPUTE_PGM_RSRC2:SCRATCH_EN: 0
; COMPUTE_PGM_RSRC2:USER_SGPR: 2
; COMPUTE_PGM_RSRC2:TRAP_HANDLER: 0
; COMPUTE_PGM_RSRC2:TGID_X_EN: 1
; COMPUTE_PGM_RSRC2:TGID_Y_EN: 0
; COMPUTE_PGM_RSRC2:TGID_Z_EN: 0
; COMPUTE_PGM_RSRC2:TIDIG_COMP_CNT: 0
	.section	.text._ZN2at6native12_GLOBAL__N_125multi_tensor_apply_kernelINS1_18TensorListMetadataILi2EEENS1_14UnaryOpFunctorIdLi2ELi1ELi1EEEJNS0_5Expm1IdEEEEEvT_T0_DpT1_,"axG",@progbits,_ZN2at6native12_GLOBAL__N_125multi_tensor_apply_kernelINS1_18TensorListMetadataILi2EEENS1_14UnaryOpFunctorIdLi2ELi1ELi1EEEJNS0_5Expm1IdEEEEEvT_T0_DpT1_,comdat
	.globl	_ZN2at6native12_GLOBAL__N_125multi_tensor_apply_kernelINS1_18TensorListMetadataILi2EEENS1_14UnaryOpFunctorIdLi2ELi1ELi1EEEJNS0_5Expm1IdEEEEEvT_T0_DpT1_ ; -- Begin function _ZN2at6native12_GLOBAL__N_125multi_tensor_apply_kernelINS1_18TensorListMetadataILi2EEENS1_14UnaryOpFunctorIdLi2ELi1ELi1EEEJNS0_5Expm1IdEEEEEvT_T0_DpT1_
	.p2align	8
	.type	_ZN2at6native12_GLOBAL__N_125multi_tensor_apply_kernelINS1_18TensorListMetadataILi2EEENS1_14UnaryOpFunctorIdLi2ELi1ELi1EEEJNS0_5Expm1IdEEEEEvT_T0_DpT1_,@function
_ZN2at6native12_GLOBAL__N_125multi_tensor_apply_kernelINS1_18TensorListMetadataILi2EEENS1_14UnaryOpFunctorIdLi2ELi1ELi1EEEJNS0_5Expm1IdEEEEEvT_T0_DpT1_: ; @_ZN2at6native12_GLOBAL__N_125multi_tensor_apply_kernelINS1_18TensorListMetadataILi2EEENS1_14UnaryOpFunctorIdLi2ELi1ELi1EEEJNS0_5Expm1IdEEEEEvT_T0_DpT1_
; %bb.0:
	s_bfe_u32 s2, ttmp6, 0x4000c
	s_and_b32 s3, ttmp6, 15
	s_add_co_i32 s2, s2, 1
	s_getreg_b32 s4, hwreg(HW_REG_IB_STS2, 6, 4)
	s_mul_i32 s2, ttmp9, s2
	s_delay_alu instid0(SALU_CYCLE_1)
	s_add_co_i32 s3, s3, s2
	s_cmp_eq_u32 s4, 0
	s_cselect_b32 s2, ttmp9, s3
	s_mov_b32 s3, 0
	s_load_u8 s10, s[0:1], s2 offset:0x600
	s_add_nc_u64 s[4:5], s[0:1], s[2:3]
	s_mul_u64 s[6:7], s[2:3], 3
	s_delay_alu instid0(SALU_CYCLE_1)
	s_add_nc_u64 s[4:5], s[4:5], s[6:7]
	s_load_b32 s6, s[4:5], 0x740
	s_wait_kmcnt 0x0
	s_clause 0x2
	s_load_b64 s[16:17], s[0:1], s10 offset:0x0 scale_offset
	s_load_b64 s[18:19], s[0:1], s10 offset:0x200 scale_offset
	;; [unrolled: 1-line block ×3, first 2 shown]
	s_mov_b32 s5, s3
	s_ashr_i32 s7, s6, 31
	s_delay_alu instid0(SALU_CYCLE_1)
	s_lshl_b64 s[14:15], s[6:7], 19
	s_wait_kmcnt 0x0
	s_and_b64 s[12:13], s[18:19], 31
	s_add_nc_u64 s[10:11], s[16:17], s[14:15]
	s_and_b32 s4, s8, 3
	s_and_b32 s2, s10, 31
	s_or_b64 s[4:5], s[12:13], s[4:5]
	s_lshl_b64 s[6:7], s[6:7], 16
	s_or_b64 s[2:3], s[4:5], s[2:3]
	s_sub_nc_u64 s[20:21], s[8:9], s[6:7]
	s_cmp_eq_u64 s[2:3], 0
	s_mov_b32 s2, -1
	s_cbranch_scc0 .LBB141_5
; %bb.1:
	v_min_i64 v[2:3], 0x10000, s[20:21]
	v_dual_mov_b32 v7, 0 :: v_dual_lshlrev_b32 v6, 2, v0
	s_mov_b32 s28, exec_lo
	s_delay_alu instid0(VALU_DEP_1)
	v_cmpx_lt_i64_e64 v[6:7], v[2:3]
	s_cbranch_execz .LBB141_4
; %bb.2:
	s_load_b32 s2, s[0:1], 0xc5c
	v_dual_mov_b32 v1, v7 :: v_dual_lshlrev_b32 v6, 5, v0
	v_mov_b64_e32 v[4:5], 0x3e5af4eb2a1b768b
	s_mov_b32 s23, 0
	s_mov_b64 s[24:25], 0x40862e42fefa39ef
	s_delay_alu instid0(VALU_DEP_2)
	v_mov_b64_e32 v[8:9], v[0:1]
	v_add_nc_u64_e32 v[6:7], s[14:15], v[6:7]
	s_mov_b32 s27, s23
	s_mov_b32 s29, s23
                                        ; implicit-def: $vgpr10_vgpr11
                                        ; implicit-def: $vgpr10_vgpr11
	;; [unrolled: 1-line block ×8, first 2 shown]
	s_wait_kmcnt 0x0
	s_and_b32 s22, s2, 0xffff
	s_delay_alu instid0(SALU_CYCLE_1)
	s_lshl_b32 s26, s22, 5
.LBB141_3:                              ; =>This Inner Loop Header: Depth=1
	s_delay_alu instid0(VALU_DEP_1)
	v_add_nc_u64_e32 v[18:19], s[16:17], v[6:7]
	v_add_nc_u64_e32 v[8:9], s[22:23], v[8:9]
	s_clause 0x1
	global_load_b128 v[10:13], v[18:19], off
	global_load_b128 v[14:17], v[18:19], off offset:16
	s_wait_loadcnt 0x1
	s_wait_xcnt 0x0
	v_mul_f64_e32 v[18:19], 0x3ff71547652b82fe, v[10:11]
	v_mul_f64_e32 v[20:21], 0x3ff71547652b82fe, v[12:13]
	s_wait_loadcnt 0x0
	v_mul_f64_e32 v[22:23], 0x3ff71547652b82fe, v[14:15]
	v_mul_f64_e32 v[24:25], 0x3ff71547652b82fe, v[16:17]
	v_cmp_nlt_f64_e64 s7, s[24:25], v[16:17]
	v_cmp_ngt_f64_e64 s12, 0xc0428000, v[16:17]
	v_cmp_nlt_f64_e64 s8, s[24:25], v[10:11]
	v_cmp_ngt_f64_e64 s9, 0xc0428000, v[10:11]
	v_cmp_nlt_f64_e64 s6, s[24:25], v[14:15]
	v_cmp_nlt_f64_e64 s5, s[24:25], v[12:13]
	v_cmp_ngt_f64_e64 s10, 0xc0428000, v[12:13]
	v_cmp_ngt_f64_e64 s11, 0xc0428000, v[14:15]
	v_rndne_f64_e32 v[18:19], v[18:19]
	v_rndne_f64_e32 v[20:21], v[20:21]
	;; [unrolled: 1-line block ×4, first 2 shown]
	s_delay_alu instid0(VALU_DEP_4) | instskip(NEXT) | instid1(VALU_DEP_4)
	v_fmamk_f64 v[26:27], v[18:19], 0xbfe62e42fefa39ef, v[10:11]
	v_fmamk_f64 v[28:29], v[20:21], 0xbfe62e42fefa39ef, v[12:13]
	s_delay_alu instid0(VALU_DEP_4) | instskip(NEXT) | instid1(VALU_DEP_4)
	v_fmamk_f64 v[30:31], v[22:23], 0xbfe62e42fefa39ef, v[14:15]
	v_fmamk_f64 v[32:33], v[24:25], 0xbfe62e42fefa39ef, v[16:17]
	v_cvt_i32_f64_e32 v45, v[22:23]
	v_cvt_i32_f64_e32 v44, v[20:21]
	v_cmp_eq_f64_e64 s2, 0x40900000, v[20:21]
	v_fmac_f64_e32 v[26:27], 0xbc7abc9e3b39803f, v[18:19]
	v_fmac_f64_e32 v[28:29], 0xbc7abc9e3b39803f, v[20:21]
	;; [unrolled: 1-line block ×4, first 2 shown]
	v_cmp_eq_f64_e64 s3, 0x40900000, v[22:23]
	v_cvt_i32_f64_e32 v46, v[24:25]
	v_cmp_eq_f64_e32 vcc_lo, 0x40900000, v[18:19]
	v_cmp_eq_f64_e64 s4, 0x40900000, v[24:25]
	v_cvt_i32_f64_e32 v1, v[18:19]
	v_lshlrev_b64_e32 v[10:11], 2, v[8:9]
	s_delay_alu instid0(VALU_DEP_1)
	v_cmp_ge_i64_e64 s13, v[10:11], v[2:3]
	v_ldexp_f64 v[20:21], 1.0, v45
	v_ldexp_f64 v[18:19], 1.0, v44
	v_fmamk_f64 v[34:35], v[26:27], 0x3e21f32ea9d67f34, v[4:5]
	v_fmamk_f64 v[36:37], v[28:29], 0x3e21f32ea9d67f34, v[4:5]
	;; [unrolled: 1-line block ×4, first 2 shown]
	v_ldexp_f64 v[22:23], 1.0, v46
	v_fmaak_f64 v[34:35], v[26:27], v[34:35], 0x3e927e500e0ac05b
	v_fmaak_f64 v[36:37], v[28:29], v[36:37], 0x3e927e500e0ac05b
	v_fmaak_f64 v[38:39], v[30:31], v[38:39], 0x3e927e500e0ac05b
	v_fmaak_f64 v[40:41], v[32:33], v[40:41], 0x3e927e500e0ac05b
	v_ldexp_f64 v[42:43], 1.0, v1
	v_fmaak_f64 v[34:35], v[26:27], v[34:35], 0x3ec71de01b889c29
	v_fmaak_f64 v[36:37], v[28:29], v[36:37], 0x3ec71de01b889c29
	v_fmaak_f64 v[38:39], v[30:31], v[38:39], 0x3ec71de01b889c29
	v_fmaak_f64 v[40:41], v[32:33], v[40:41], 0x3ec71de01b889c29
	s_delay_alu instid0(VALU_DEP_4) | instskip(NEXT) | instid1(VALU_DEP_4)
	v_fmaak_f64 v[34:35], v[26:27], v[34:35], 0x3efa01a0197bcfd8
	v_fmaak_f64 v[36:37], v[28:29], v[36:37], 0x3efa01a0197bcfd8
	s_delay_alu instid0(VALU_DEP_4) | instskip(NEXT) | instid1(VALU_DEP_4)
	v_fmaak_f64 v[38:39], v[30:31], v[38:39], 0x3efa01a0197bcfd8
	v_fmaak_f64 v[40:41], v[32:33], v[40:41], 0x3efa01a0197bcfd8
	;; [unrolled: 3-line block ×4, first 2 shown]
	v_cndmask_b32_e64 v21, v21, 0x7fe00000, s3
	v_cndmask_b32_e64 v20, v20, 0, s3
	;; [unrolled: 1-line block ×3, first 2 shown]
	v_fmaak_f64 v[34:35], v[26:27], v[34:35], 0x3f56c16c16c18931
	v_fmaak_f64 v[36:37], v[28:29], v[36:37], 0x3f56c16c16c18931
	;; [unrolled: 1-line block ×4, first 2 shown]
	v_add_f64_e32 v[46:47], -1.0, v[20:21]
	v_cndmask_b32_e64 v23, v23, 0x7fe00000, s4
	v_cndmask_b32_e64 v22, v22, 0, s4
	v_fmaak_f64 v[34:35], v[26:27], v[34:35], 0x3f81111111110056
	v_fmaak_f64 v[36:37], v[28:29], v[36:37], 0x3f81111111110056
	;; [unrolled: 1-line block ×4, first 2 shown]
	v_add_f64_e32 v[48:49], -1.0, v[22:23]
	v_cndmask_b32_e64 v18, v18, 0, s2
	v_fmaak_f64 v[34:35], v[26:27], v[34:35], 0x3fa5555555555552
	v_fmaak_f64 v[36:37], v[28:29], v[36:37], 0x3fa5555555555552
	;; [unrolled: 1-line block ×4, first 2 shown]
	s_delay_alu instid0(VALU_DEP_4) | instskip(NEXT) | instid1(VALU_DEP_4)
	v_fmaak_f64 v[34:35], v[26:27], v[34:35], 0x3fc5555555555557
	v_fmaak_f64 v[36:37], v[28:29], v[36:37], 0x3fc5555555555557
	s_delay_alu instid0(VALU_DEP_4) | instskip(NEXT) | instid1(VALU_DEP_4)
	v_fmaak_f64 v[38:39], v[30:31], v[38:39], 0x3fc5555555555557
	v_fmaak_f64 v[40:41], v[32:33], v[40:41], 0x3fc5555555555557
	s_delay_alu instid0(VALU_DEP_4) | instskip(NEXT) | instid1(VALU_DEP_4)
	v_fma_f64 v[34:35], v[26:27], v[34:35], 0.5
	v_fma_f64 v[36:37], v[28:29], v[36:37], 0.5
	s_delay_alu instid0(VALU_DEP_4) | instskip(NEXT) | instid1(VALU_DEP_4)
	v_fma_f64 v[38:39], v[30:31], v[38:39], 0.5
	v_fma_f64 v[40:41], v[32:33], v[40:41], 0.5
	s_delay_alu instid0(VALU_DEP_4) | instskip(NEXT) | instid1(VALU_DEP_4)
	v_mul_f64_e32 v[24:25], v[26:27], v[34:35]
	v_mul_f64_e32 v[34:35], v[28:29], v[36:37]
	s_delay_alu instid0(VALU_DEP_4) | instskip(NEXT) | instid1(VALU_DEP_3)
	v_mul_f64_e32 v[36:37], v[30:31], v[38:39]
	v_fmac_f64_e32 v[26:27], v[26:27], v[24:25]
	s_delay_alu instid0(VALU_DEP_3) | instskip(NEXT) | instid1(VALU_DEP_3)
	v_fmac_f64_e32 v[28:29], v[28:29], v[34:35]
	v_fmac_f64_e32 v[30:31], v[30:31], v[36:37]
	s_delay_alu instid0(VALU_DEP_1) | instskip(SKIP_3) | instid1(VALU_DEP_3)
	v_fmac_f64_e32 v[46:47], v[20:21], v[30:31]
	v_mul_f64_e32 v[38:39], v[32:33], v[40:41]
	v_cndmask_b32_e64 v41, v43, 0x7fe00000, vcc_lo
	v_cndmask_b32_e64 v40, v42, 0, vcc_lo
	v_fmac_f64_e32 v[32:33], v[32:33], v[38:39]
	s_delay_alu instid0(VALU_DEP_1) | instskip(NEXT) | instid1(VALU_DEP_1)
	v_fmac_f64_e32 v[48:49], v[22:23], v[32:33]
	v_add_f64_e32 v[24:25], v[48:49], v[48:49]
	v_add_f64_e32 v[44:45], -1.0, v[18:19]
	s_delay_alu instid0(VALU_DEP_1) | instskip(NEXT) | instid1(VALU_DEP_1)
	v_fmac_f64_e32 v[44:45], v[18:19], v[28:29]
	v_add_f64_e32 v[20:21], v[44:45], v[44:45]
	s_delay_alu instid0(VALU_DEP_1) | instskip(SKIP_2) | instid1(VALU_DEP_1)
	v_cndmask_b32_e64 v16, v44, v20, s2
	v_dual_add_f64 v[22:23], v[46:47], v[46:47] :: v_dual_cndmask_b32 v20, v48, v24, s4
	v_add_f64_e32 v[42:43], -1.0, v[40:41]
	v_fmac_f64_e32 v[42:43], v[40:41], v[26:27]
	v_add_nc_u64_e32 v[26:27], s[18:19], v[6:7]
	v_add_nc_u64_e32 v[6:7], s[26:27], v[6:7]
	s_delay_alu instid0(VALU_DEP_3) | instskip(NEXT) | instid1(VALU_DEP_1)
	v_add_f64_e32 v[18:19], v[42:43], v[42:43]
	v_dual_cndmask_b32 v10, v42, v18 :: v_dual_cndmask_b32 v1, v43, v19
	s_and_b32 vcc_lo, s9, s8
	v_cndmask_b32_e64 v18, v46, v22, s3
	s_delay_alu instid0(VALU_DEP_2) | instskip(SKIP_3) | instid1(VALU_DEP_3)
	v_dual_cndmask_b32 v10, 0, v10, vcc_lo :: v_dual_cndmask_b32 v19, v45, v21, s2
	v_dual_cndmask_b32 v21, v47, v23, s3 :: v_dual_cndmask_b32 v23, v49, v25, s4
	v_cndmask_b32_e64 v1, 0x7ff00000, v1, s8
	s_and_b32 vcc_lo, s10, s5
	v_cndmask_b32_e64 v19, 0x7ff00000, v19, s5
	s_delay_alu instid0(VALU_DEP_3) | instskip(SKIP_2) | instid1(VALU_DEP_4)
	v_cndmask_b32_e64 v12, 0x7ff00000, v21, s6
	v_cndmask_b32_e64 v14, 0x7ff00000, v23, s7
	;; [unrolled: 1-line block ×4, first 2 shown]
	s_delay_alu instid0(VALU_DEP_4)
	v_cndmask_b32_e64 v15, 0xbff00000, v12, s11
	v_cndmask_b32_e32 v12, 0, v16, vcc_lo
	s_and_b32 vcc_lo, s11, s6
	v_cndmask_b32_e64 v17, 0xbff00000, v14, s12
	v_cndmask_b32_e32 v14, 0, v18, vcc_lo
	s_and_b32 vcc_lo, s12, s7
	s_or_b32 s29, s13, s29
	v_cndmask_b32_e32 v16, 0, v20, vcc_lo
	s_clause 0x1
	global_store_b128 v[26:27], v[10:13], off
	global_store_b128 v[26:27], v[14:17], off offset:16
	s_wait_xcnt 0x0
	s_and_not1_b32 exec_lo, exec_lo, s29
	s_cbranch_execnz .LBB141_3
.LBB141_4:
	s_or_b32 exec_lo, exec_lo, s28
	s_mov_b32 s2, 0
.LBB141_5:
	s_delay_alu instid0(SALU_CYCLE_1)
	s_and_not1_b32 vcc_lo, exec_lo, s2
	s_cbranch_vccnz .LBB141_25
; %bb.6:
	v_cmp_lt_i64_e64 s2, s[20:21], 1
	s_and_b32 vcc_lo, exec_lo, s2
	s_cbranch_vccnz .LBB141_25
; %bb.7:
	s_load_b32 s0, s[0:1], 0xc5c
	v_min_i64 v[2:3], 0x10000, s[20:21]
	v_min_u64 v[4:5], 0x10000, s[20:21]
	v_dual_mov_b32 v1, 0 :: v_dual_lshlrev_b32 v12, 3, v0
	s_mov_b32 s11, 0
	v_mov_b64_e32 v[6:7], 0x3e5af4eb2a1b768b
	s_mov_b32 s5, s11
	s_delay_alu instid0(VALU_DEP_2)
	v_dual_mov_b32 v13, v1 :: v_dual_mov_b32 v29, v1
	s_wait_xcnt 0x0
	s_mov_b32 s1, s11
	s_mov_b32 s3, s11
	s_mov_b64 s[6:7], 0x40862e42fefa39ef
	v_add_nc_u64_e32 v[8:9], s[16:17], v[12:13]
	s_mov_b32 s9, s11
	s_mov_b64 s[12:13], 0
                                        ; implicit-def: $vgpr30_vgpr31
                                        ; implicit-def: $vgpr30_vgpr31
	;; [unrolled: 1-line block ×8, first 2 shown]
	s_wait_kmcnt 0x0
	s_and_b32 s10, s0, 0xffff
	s_delay_alu instid0(SALU_CYCLE_1)
	v_add_nc_u64_e32 v[10:11], s[10:11], v[0:1]
	v_mad_nc_u64_u32 v[24:25], s10, 24, v[12:13]
	s_lshl_b32 s4, s10, 4
	s_mul_i32 s2, s10, 3
	v_add_nc_u64_e32 v[20:21], s[4:5], v[12:13]
	s_lshl_b32 s0, s10, 1
	v_add_nc_u64_e32 v[12:13], s[18:19], v[12:13]
	v_lshlrev_b32_e32 v28, 3, v10
	v_add_nc_u64_e32 v[14:15], s[2:3], v[0:1]
	v_add_nc_u64_e32 v[16:17], s[0:1], v[0:1]
	s_lshl_b32 s8, s10, 2
	v_add_nc_u64_e32 v[18:19], s[16:17], v[20:21]
	v_add_nc_u64_e32 v[20:21], s[18:19], v[20:21]
	;; [unrolled: 1-line block ×6, first 2 shown]
	s_lshl_b32 s10, s10, 5
	s_branch .LBB141_9
.LBB141_8:                              ;   in Loop: Header=BB141_9 Depth=1
	s_wait_xcnt 0x0
	s_or_b32 exec_lo, exec_lo, s2
	s_add_nc_u64 s[12:13], s[12:13], s[8:9]
	v_add_nc_u64_e32 v[8:9], s[10:11], v[8:9]
	v_cmp_ge_i64_e32 vcc_lo, s[12:13], v[2:3]
	v_add_nc_u64_e32 v[12:13], s[10:11], v[12:13]
	v_add_nc_u64_e32 v[22:23], s[10:11], v[22:23]
	;; [unrolled: 1-line block ×7, first 2 shown]
	s_cbranch_vccnz .LBB141_25
.LBB141_9:                              ; =>This Inner Loop Header: Depth=1
	s_wait_loadcnt 0x0
	v_add_nc_u64_e32 v[30:31], s[12:13], v[0:1]
	v_mov_b64_e32 v[34:35], 0
	v_mov_b64_e32 v[36:37], 0
	s_delay_alu instid0(VALU_DEP_3)
	v_cmp_lt_u64_e64 s2, v[30:31], v[4:5]
	s_and_saveexec_b32 s0, s2
	s_cbranch_execz .LBB141_11
; %bb.10:                               ;   in Loop: Header=BB141_9 Depth=1
	v_add_nc_u64_e32 v[30:31], s[14:15], v[8:9]
	global_load_b64 v[36:37], v[30:31], off
.LBB141_11:                             ;   in Loop: Header=BB141_9 Depth=1
	s_wait_xcnt 0x0
	s_or_b32 exec_lo, exec_lo, s0
	v_add_nc_u64_e32 v[30:31], s[12:13], v[10:11]
	s_delay_alu instid0(VALU_DEP_1)
	v_cmp_lt_u64_e64 s1, v[30:31], v[4:5]
	s_and_saveexec_b32 s0, s1
	s_cbranch_execz .LBB141_13
; %bb.12:                               ;   in Loop: Header=BB141_9 Depth=1
	v_add_nc_u64_e32 v[30:31], s[14:15], v[26:27]
	global_load_b64 v[34:35], v[30:31], off
.LBB141_13:                             ;   in Loop: Header=BB141_9 Depth=1
	s_wait_xcnt 0x0
	s_or_b32 exec_lo, exec_lo, s0
	v_add_nc_u64_e32 v[32:33], s[12:13], v[16:17]
	v_mov_b64_e32 v[30:31], 0
	s_delay_alu instid0(VALU_DEP_2)
	v_cmp_lt_u64_e64 s0, v[32:33], v[4:5]
	v_mov_b64_e32 v[32:33], 0
	s_and_saveexec_b32 s3, s0
	s_cbranch_execz .LBB141_15
; %bb.14:                               ;   in Loop: Header=BB141_9 Depth=1
	v_add_nc_u64_e32 v[32:33], s[14:15], v[18:19]
	global_load_b64 v[32:33], v[32:33], off
.LBB141_15:                             ;   in Loop: Header=BB141_9 Depth=1
	s_wait_xcnt 0x0
	s_or_b32 exec_lo, exec_lo, s3
	v_add_nc_u64_e32 v[38:39], s[12:13], v[14:15]
	s_delay_alu instid0(VALU_DEP_1)
	v_cmp_lt_u64_e32 vcc_lo, v[38:39], v[4:5]
	s_and_saveexec_b32 s3, vcc_lo
	s_cbranch_execnz .LBB141_20
; %bb.16:                               ;   in Loop: Header=BB141_9 Depth=1
	s_or_b32 exec_lo, exec_lo, s3
	s_and_saveexec_b32 s5, s2
	s_cbranch_execnz .LBB141_21
.LBB141_17:                             ;   in Loop: Header=BB141_9 Depth=1
	s_or_b32 exec_lo, exec_lo, s5
	s_and_saveexec_b32 s4, s1
	s_cbranch_execnz .LBB141_22
.LBB141_18:                             ;   in Loop: Header=BB141_9 Depth=1
	s_or_b32 exec_lo, exec_lo, s4
	s_and_saveexec_b32 s3, s0
	s_cbranch_execnz .LBB141_23
.LBB141_19:                             ;   in Loop: Header=BB141_9 Depth=1
	s_or_b32 exec_lo, exec_lo, s3
	s_and_saveexec_b32 s2, vcc_lo
	s_cbranch_execz .LBB141_8
	s_branch .LBB141_24
.LBB141_20:                             ;   in Loop: Header=BB141_9 Depth=1
	v_add_nc_u64_e32 v[30:31], s[14:15], v[22:23]
	global_load_b64 v[30:31], v[30:31], off
	s_wait_xcnt 0x0
	s_or_b32 exec_lo, exec_lo, s3
	s_and_saveexec_b32 s5, s2
	s_cbranch_execz .LBB141_17
.LBB141_21:                             ;   in Loop: Header=BB141_9 Depth=1
	s_wait_loadcnt 0x0
	v_mul_f64_e32 v[38:39], 0x3ff71547652b82fe, v[36:37]
	v_cmp_nlt_f64_e64 s3, s[6:7], v[36:37]
	v_cmp_ngt_f64_e64 s4, 0xc0428000, v[36:37]
	s_delay_alu instid0(VALU_DEP_3) | instskip(NEXT) | instid1(VALU_DEP_1)
	v_rndne_f64_e32 v[38:39], v[38:39]
	v_fmamk_f64 v[40:41], v[38:39], 0xbfe62e42fefa39ef, v[36:37]
	v_cvt_i32_f64_e32 v44, v[38:39]
	v_cmp_eq_f64_e64 s2, 0x40900000, v[38:39]
	v_add_nc_u64_e32 v[36:37], s[14:15], v[12:13]
	s_delay_alu instid0(VALU_DEP_4) | instskip(NEXT) | instid1(VALU_DEP_4)
	v_fmac_f64_e32 v[40:41], 0xbc7abc9e3b39803f, v[38:39]
	v_ldexp_f64 v[44:45], 1.0, v44
	s_delay_alu instid0(VALU_DEP_2) | instskip(NEXT) | instid1(VALU_DEP_1)
	v_fmamk_f64 v[42:43], v[40:41], 0x3e21f32ea9d67f34, v[6:7]
	v_fmaak_f64 v[42:43], v[40:41], v[42:43], 0x3e927e500e0ac05b
	s_delay_alu instid0(VALU_DEP_1) | instskip(NEXT) | instid1(VALU_DEP_1)
	v_fmaak_f64 v[42:43], v[40:41], v[42:43], 0x3ec71de01b889c29
	v_fmaak_f64 v[42:43], v[40:41], v[42:43], 0x3efa01a0197bcfd8
	s_delay_alu instid0(VALU_DEP_1) | instskip(NEXT) | instid1(VALU_DEP_1)
	v_fmaak_f64 v[42:43], v[40:41], v[42:43], 0x3f2a01a01ac1a723
	;; [unrolled: 3-line block ×4, first 2 shown]
	v_fma_f64 v[42:43], v[40:41], v[42:43], 0.5
	s_delay_alu instid0(VALU_DEP_1) | instskip(SKIP_2) | instid1(VALU_DEP_1)
	v_mul_f64_e32 v[38:39], v[40:41], v[42:43]
	v_cndmask_b32_e64 v43, v45, 0x7fe00000, s2
	v_cndmask_b32_e64 v42, v44, 0, s2
	v_add_f64_e32 v[44:45], -1.0, v[42:43]
	s_delay_alu instid0(VALU_DEP_4) | instskip(NEXT) | instid1(VALU_DEP_1)
	v_fmac_f64_e32 v[40:41], v[40:41], v[38:39]
	v_fmac_f64_e32 v[44:45], v[42:43], v[40:41]
	s_delay_alu instid0(VALU_DEP_1) | instskip(NEXT) | instid1(VALU_DEP_1)
	v_add_f64_e32 v[38:39], v[44:45], v[44:45]
	v_dual_cndmask_b32 v39, v45, v39, s2 :: v_dual_cndmask_b32 v38, v44, v38, s2
	s_and_b32 s2, s4, s3
	s_delay_alu instid0(VALU_DEP_1) | instskip(NEXT) | instid1(VALU_DEP_2)
	v_cndmask_b32_e64 v39, 0x7ff00000, v39, s3
	v_cndmask_b32_e64 v38, 0, v38, s2
	s_delay_alu instid0(VALU_DEP_2)
	v_cndmask_b32_e64 v39, 0xbff00000, v39, s4
	global_store_b64 v[36:37], v[38:39], off
	s_wait_xcnt 0x0
	s_or_b32 exec_lo, exec_lo, s5
	s_and_saveexec_b32 s4, s1
	s_cbranch_execz .LBB141_18
.LBB141_22:                             ;   in Loop: Header=BB141_9 Depth=1
	s_wait_loadcnt 0x0
	v_mul_f64_e32 v[36:37], 0x3ff71547652b82fe, v[34:35]
	v_cmp_nlt_f64_e64 s2, s[6:7], v[34:35]
	v_cmp_ngt_f64_e64 s3, 0xc0428000, v[34:35]
	s_delay_alu instid0(VALU_DEP_3) | instskip(NEXT) | instid1(VALU_DEP_1)
	v_rndne_f64_e32 v[36:37], v[36:37]
	v_fmamk_f64 v[38:39], v[36:37], 0xbfe62e42fefa39ef, v[34:35]
	v_cvt_i32_f64_e32 v42, v[36:37]
	v_cmp_eq_f64_e64 s1, 0x40900000, v[36:37]
	v_add_nc_u64_e32 v[34:35], s[14:15], v[28:29]
	s_delay_alu instid0(VALU_DEP_4) | instskip(NEXT) | instid1(VALU_DEP_4)
	v_fmac_f64_e32 v[38:39], 0xbc7abc9e3b39803f, v[36:37]
	v_ldexp_f64 v[42:43], 1.0, v42
	s_delay_alu instid0(VALU_DEP_2) | instskip(NEXT) | instid1(VALU_DEP_1)
	v_fmamk_f64 v[40:41], v[38:39], 0x3e21f32ea9d67f34, v[6:7]
	v_fmaak_f64 v[40:41], v[38:39], v[40:41], 0x3e927e500e0ac05b
	s_delay_alu instid0(VALU_DEP_1) | instskip(NEXT) | instid1(VALU_DEP_1)
	v_fmaak_f64 v[40:41], v[38:39], v[40:41], 0x3ec71de01b889c29
	v_fmaak_f64 v[40:41], v[38:39], v[40:41], 0x3efa01a0197bcfd8
	s_delay_alu instid0(VALU_DEP_1) | instskip(NEXT) | instid1(VALU_DEP_1)
	v_fmaak_f64 v[40:41], v[38:39], v[40:41], 0x3f2a01a01ac1a723
	;; [unrolled: 3-line block ×4, first 2 shown]
	v_fma_f64 v[40:41], v[38:39], v[40:41], 0.5
	s_delay_alu instid0(VALU_DEP_1) | instskip(SKIP_2) | instid1(VALU_DEP_1)
	v_mul_f64_e32 v[36:37], v[38:39], v[40:41]
	v_cndmask_b32_e64 v41, v43, 0x7fe00000, s1
	v_cndmask_b32_e64 v40, v42, 0, s1
	v_add_f64_e32 v[42:43], -1.0, v[40:41]
	s_delay_alu instid0(VALU_DEP_4) | instskip(NEXT) | instid1(VALU_DEP_1)
	v_fmac_f64_e32 v[38:39], v[38:39], v[36:37]
	v_fmac_f64_e32 v[42:43], v[40:41], v[38:39]
	s_delay_alu instid0(VALU_DEP_1) | instskip(NEXT) | instid1(VALU_DEP_1)
	v_add_f64_e32 v[36:37], v[42:43], v[42:43]
	v_dual_cndmask_b32 v37, v43, v37, s1 :: v_dual_cndmask_b32 v36, v42, v36, s1
	s_and_b32 s1, s3, s2
	s_delay_alu instid0(VALU_DEP_1) | instskip(NEXT) | instid1(VALU_DEP_2)
	v_cndmask_b32_e64 v37, 0x7ff00000, v37, s2
	v_cndmask_b32_e64 v36, 0, v36, s1
	s_delay_alu instid0(VALU_DEP_2)
	v_cndmask_b32_e64 v37, 0xbff00000, v37, s3
	global_store_b64 v[34:35], v[36:37], off
	s_wait_xcnt 0x0
	s_or_b32 exec_lo, exec_lo, s4
	s_and_saveexec_b32 s3, s0
	s_cbranch_execz .LBB141_19
.LBB141_23:                             ;   in Loop: Header=BB141_9 Depth=1
	s_wait_loadcnt 0x0
	v_mul_f64_e32 v[34:35], 0x3ff71547652b82fe, v[32:33]
	v_cmp_nlt_f64_e64 s1, s[6:7], v[32:33]
	v_cmp_ngt_f64_e64 s2, 0xc0428000, v[32:33]
	s_delay_alu instid0(VALU_DEP_3) | instskip(NEXT) | instid1(VALU_DEP_1)
	v_rndne_f64_e32 v[34:35], v[34:35]
	v_fmamk_f64 v[36:37], v[34:35], 0xbfe62e42fefa39ef, v[32:33]
	v_cvt_i32_f64_e32 v40, v[34:35]
	v_cmp_eq_f64_e64 s0, 0x40900000, v[34:35]
	v_add_nc_u64_e32 v[32:33], s[14:15], v[20:21]
	s_delay_alu instid0(VALU_DEP_4) | instskip(NEXT) | instid1(VALU_DEP_4)
	v_fmac_f64_e32 v[36:37], 0xbc7abc9e3b39803f, v[34:35]
	v_ldexp_f64 v[40:41], 1.0, v40
	s_delay_alu instid0(VALU_DEP_2) | instskip(NEXT) | instid1(VALU_DEP_1)
	v_fmamk_f64 v[38:39], v[36:37], 0x3e21f32ea9d67f34, v[6:7]
	v_fmaak_f64 v[38:39], v[36:37], v[38:39], 0x3e927e500e0ac05b
	s_delay_alu instid0(VALU_DEP_1) | instskip(NEXT) | instid1(VALU_DEP_1)
	v_fmaak_f64 v[38:39], v[36:37], v[38:39], 0x3ec71de01b889c29
	v_fmaak_f64 v[38:39], v[36:37], v[38:39], 0x3efa01a0197bcfd8
	s_delay_alu instid0(VALU_DEP_1) | instskip(NEXT) | instid1(VALU_DEP_1)
	v_fmaak_f64 v[38:39], v[36:37], v[38:39], 0x3f2a01a01ac1a723
	;; [unrolled: 3-line block ×4, first 2 shown]
	v_fma_f64 v[38:39], v[36:37], v[38:39], 0.5
	s_delay_alu instid0(VALU_DEP_1) | instskip(SKIP_2) | instid1(VALU_DEP_1)
	v_mul_f64_e32 v[34:35], v[36:37], v[38:39]
	v_cndmask_b32_e64 v39, v41, 0x7fe00000, s0
	v_cndmask_b32_e64 v38, v40, 0, s0
	v_add_f64_e32 v[40:41], -1.0, v[38:39]
	s_delay_alu instid0(VALU_DEP_4) | instskip(NEXT) | instid1(VALU_DEP_1)
	v_fmac_f64_e32 v[36:37], v[36:37], v[34:35]
	v_fmac_f64_e32 v[40:41], v[38:39], v[36:37]
	s_delay_alu instid0(VALU_DEP_1) | instskip(NEXT) | instid1(VALU_DEP_1)
	v_add_f64_e32 v[34:35], v[40:41], v[40:41]
	v_dual_cndmask_b32 v35, v41, v35, s0 :: v_dual_cndmask_b32 v34, v40, v34, s0
	s_and_b32 s0, s2, s1
	s_delay_alu instid0(VALU_DEP_1) | instskip(NEXT) | instid1(VALU_DEP_2)
	v_cndmask_b32_e64 v35, 0x7ff00000, v35, s1
	v_cndmask_b32_e64 v34, 0, v34, s0
	s_delay_alu instid0(VALU_DEP_2)
	v_cndmask_b32_e64 v35, 0xbff00000, v35, s2
	global_store_b64 v[32:33], v[34:35], off
	s_wait_xcnt 0x0
	s_or_b32 exec_lo, exec_lo, s3
	s_and_saveexec_b32 s2, vcc_lo
	s_cbranch_execz .LBB141_8
.LBB141_24:                             ;   in Loop: Header=BB141_9 Depth=1
	s_wait_loadcnt 0x0
	v_mul_f64_e32 v[32:33], 0x3ff71547652b82fe, v[30:31]
	v_cmp_nlt_f64_e64 s0, s[6:7], v[30:31]
	v_cmp_ngt_f64_e64 s1, 0xc0428000, v[30:31]
	s_delay_alu instid0(VALU_DEP_3) | instskip(NEXT) | instid1(VALU_DEP_1)
	v_rndne_f64_e32 v[32:33], v[32:33]
	v_fmamk_f64 v[34:35], v[32:33], 0xbfe62e42fefa39ef, v[30:31]
	v_cvt_i32_f64_e32 v38, v[32:33]
	v_cmp_eq_f64_e32 vcc_lo, 0x40900000, v[32:33]
	v_add_nc_u64_e32 v[30:31], s[14:15], v[24:25]
	s_delay_alu instid0(VALU_DEP_4) | instskip(NEXT) | instid1(VALU_DEP_4)
	v_fmac_f64_e32 v[34:35], 0xbc7abc9e3b39803f, v[32:33]
	v_ldexp_f64 v[38:39], 1.0, v38
	s_delay_alu instid0(VALU_DEP_2) | instskip(NEXT) | instid1(VALU_DEP_1)
	v_fmamk_f64 v[36:37], v[34:35], 0x3e21f32ea9d67f34, v[6:7]
	v_fmaak_f64 v[36:37], v[34:35], v[36:37], 0x3e927e500e0ac05b
	s_delay_alu instid0(VALU_DEP_1) | instskip(NEXT) | instid1(VALU_DEP_1)
	v_fmaak_f64 v[36:37], v[34:35], v[36:37], 0x3ec71de01b889c29
	v_fmaak_f64 v[36:37], v[34:35], v[36:37], 0x3efa01a0197bcfd8
	s_delay_alu instid0(VALU_DEP_1) | instskip(NEXT) | instid1(VALU_DEP_1)
	v_fmaak_f64 v[36:37], v[34:35], v[36:37], 0x3f2a01a01ac1a723
	;; [unrolled: 3-line block ×4, first 2 shown]
	v_fma_f64 v[36:37], v[34:35], v[36:37], 0.5
	s_delay_alu instid0(VALU_DEP_1) | instskip(SKIP_2) | instid1(VALU_DEP_1)
	v_mul_f64_e32 v[32:33], v[34:35], v[36:37]
	v_cndmask_b32_e64 v37, v39, 0x7fe00000, vcc_lo
	v_cndmask_b32_e64 v36, v38, 0, vcc_lo
	v_add_f64_e32 v[38:39], -1.0, v[36:37]
	s_delay_alu instid0(VALU_DEP_4) | instskip(NEXT) | instid1(VALU_DEP_1)
	v_fmac_f64_e32 v[34:35], v[34:35], v[32:33]
	v_fmac_f64_e32 v[38:39], v[36:37], v[34:35]
	s_delay_alu instid0(VALU_DEP_1) | instskip(NEXT) | instid1(VALU_DEP_1)
	v_add_f64_e32 v[32:33], v[38:39], v[38:39]
	v_dual_cndmask_b32 v33, v39, v33 :: v_dual_cndmask_b32 v32, v38, v32
	s_and_b32 vcc_lo, s1, s0
	s_delay_alu instid0(VALU_DEP_1) | instskip(NEXT) | instid1(VALU_DEP_2)
	v_cndmask_b32_e64 v33, 0x7ff00000, v33, s0
	v_cndmask_b32_e32 v32, 0, v32, vcc_lo
	s_delay_alu instid0(VALU_DEP_2)
	v_cndmask_b32_e64 v33, 0xbff00000, v33, s1
	global_store_b64 v[30:31], v[32:33], off
	s_branch .LBB141_8
.LBB141_25:
	s_endpgm
	.section	.rodata,"a",@progbits
	.p2align	6, 0x0
	.amdhsa_kernel _ZN2at6native12_GLOBAL__N_125multi_tensor_apply_kernelINS1_18TensorListMetadataILi2EEENS1_14UnaryOpFunctorIdLi2ELi1ELi1EEEJNS0_5Expm1IdEEEEEvT_T0_DpT1_
		.amdhsa_group_segment_fixed_size 0
		.amdhsa_private_segment_fixed_size 0
		.amdhsa_kernarg_size 3408
		.amdhsa_user_sgpr_count 2
		.amdhsa_user_sgpr_dispatch_ptr 0
		.amdhsa_user_sgpr_queue_ptr 0
		.amdhsa_user_sgpr_kernarg_segment_ptr 1
		.amdhsa_user_sgpr_dispatch_id 0
		.amdhsa_user_sgpr_kernarg_preload_length 0
		.amdhsa_user_sgpr_kernarg_preload_offset 0
		.amdhsa_user_sgpr_private_segment_size 0
		.amdhsa_wavefront_size32 1
		.amdhsa_uses_dynamic_stack 0
		.amdhsa_enable_private_segment 0
		.amdhsa_system_sgpr_workgroup_id_x 1
		.amdhsa_system_sgpr_workgroup_id_y 0
		.amdhsa_system_sgpr_workgroup_id_z 0
		.amdhsa_system_sgpr_workgroup_info 0
		.amdhsa_system_vgpr_workitem_id 0
		.amdhsa_next_free_vgpr 50
		.amdhsa_next_free_sgpr 30
		.amdhsa_named_barrier_count 0
		.amdhsa_reserve_vcc 1
		.amdhsa_float_round_mode_32 0
		.amdhsa_float_round_mode_16_64 0
		.amdhsa_float_denorm_mode_32 3
		.amdhsa_float_denorm_mode_16_64 3
		.amdhsa_fp16_overflow 0
		.amdhsa_memory_ordered 1
		.amdhsa_forward_progress 1
		.amdhsa_inst_pref_size 29
		.amdhsa_round_robin_scheduling 0
		.amdhsa_exception_fp_ieee_invalid_op 0
		.amdhsa_exception_fp_denorm_src 0
		.amdhsa_exception_fp_ieee_div_zero 0
		.amdhsa_exception_fp_ieee_overflow 0
		.amdhsa_exception_fp_ieee_underflow 0
		.amdhsa_exception_fp_ieee_inexact 0
		.amdhsa_exception_int_div_zero 0
	.end_amdhsa_kernel
	.section	.text._ZN2at6native12_GLOBAL__N_125multi_tensor_apply_kernelINS1_18TensorListMetadataILi2EEENS1_14UnaryOpFunctorIdLi2ELi1ELi1EEEJNS0_5Expm1IdEEEEEvT_T0_DpT1_,"axG",@progbits,_ZN2at6native12_GLOBAL__N_125multi_tensor_apply_kernelINS1_18TensorListMetadataILi2EEENS1_14UnaryOpFunctorIdLi2ELi1ELi1EEEJNS0_5Expm1IdEEEEEvT_T0_DpT1_,comdat
.Lfunc_end141:
	.size	_ZN2at6native12_GLOBAL__N_125multi_tensor_apply_kernelINS1_18TensorListMetadataILi2EEENS1_14UnaryOpFunctorIdLi2ELi1ELi1EEEJNS0_5Expm1IdEEEEEvT_T0_DpT1_, .Lfunc_end141-_ZN2at6native12_GLOBAL__N_125multi_tensor_apply_kernelINS1_18TensorListMetadataILi2EEENS1_14UnaryOpFunctorIdLi2ELi1ELi1EEEJNS0_5Expm1IdEEEEEvT_T0_DpT1_
                                        ; -- End function
	.set _ZN2at6native12_GLOBAL__N_125multi_tensor_apply_kernelINS1_18TensorListMetadataILi2EEENS1_14UnaryOpFunctorIdLi2ELi1ELi1EEEJNS0_5Expm1IdEEEEEvT_T0_DpT1_.num_vgpr, 50
	.set _ZN2at6native12_GLOBAL__N_125multi_tensor_apply_kernelINS1_18TensorListMetadataILi2EEENS1_14UnaryOpFunctorIdLi2ELi1ELi1EEEJNS0_5Expm1IdEEEEEvT_T0_DpT1_.num_agpr, 0
	.set _ZN2at6native12_GLOBAL__N_125multi_tensor_apply_kernelINS1_18TensorListMetadataILi2EEENS1_14UnaryOpFunctorIdLi2ELi1ELi1EEEJNS0_5Expm1IdEEEEEvT_T0_DpT1_.numbered_sgpr, 30
	.set _ZN2at6native12_GLOBAL__N_125multi_tensor_apply_kernelINS1_18TensorListMetadataILi2EEENS1_14UnaryOpFunctorIdLi2ELi1ELi1EEEJNS0_5Expm1IdEEEEEvT_T0_DpT1_.num_named_barrier, 0
	.set _ZN2at6native12_GLOBAL__N_125multi_tensor_apply_kernelINS1_18TensorListMetadataILi2EEENS1_14UnaryOpFunctorIdLi2ELi1ELi1EEEJNS0_5Expm1IdEEEEEvT_T0_DpT1_.private_seg_size, 0
	.set _ZN2at6native12_GLOBAL__N_125multi_tensor_apply_kernelINS1_18TensorListMetadataILi2EEENS1_14UnaryOpFunctorIdLi2ELi1ELi1EEEJNS0_5Expm1IdEEEEEvT_T0_DpT1_.uses_vcc, 1
	.set _ZN2at6native12_GLOBAL__N_125multi_tensor_apply_kernelINS1_18TensorListMetadataILi2EEENS1_14UnaryOpFunctorIdLi2ELi1ELi1EEEJNS0_5Expm1IdEEEEEvT_T0_DpT1_.uses_flat_scratch, 0
	.set _ZN2at6native12_GLOBAL__N_125multi_tensor_apply_kernelINS1_18TensorListMetadataILi2EEENS1_14UnaryOpFunctorIdLi2ELi1ELi1EEEJNS0_5Expm1IdEEEEEvT_T0_DpT1_.has_dyn_sized_stack, 0
	.set _ZN2at6native12_GLOBAL__N_125multi_tensor_apply_kernelINS1_18TensorListMetadataILi2EEENS1_14UnaryOpFunctorIdLi2ELi1ELi1EEEJNS0_5Expm1IdEEEEEvT_T0_DpT1_.has_recursion, 0
	.set _ZN2at6native12_GLOBAL__N_125multi_tensor_apply_kernelINS1_18TensorListMetadataILi2EEENS1_14UnaryOpFunctorIdLi2ELi1ELi1EEEJNS0_5Expm1IdEEEEEvT_T0_DpT1_.has_indirect_call, 0
	.section	.AMDGPU.csdata,"",@progbits
; Kernel info:
; codeLenInByte = 3668
; TotalNumSgprs: 32
; NumVgprs: 50
; ScratchSize: 0
; MemoryBound: 0
; FloatMode: 240
; IeeeMode: 1
; LDSByteSize: 0 bytes/workgroup (compile time only)
; SGPRBlocks: 0
; VGPRBlocks: 3
; NumSGPRsForWavesPerEU: 32
; NumVGPRsForWavesPerEU: 50
; NamedBarCnt: 0
; Occupancy: 16
; WaveLimiterHint : 0
; COMPUTE_PGM_RSRC2:SCRATCH_EN: 0
; COMPUTE_PGM_RSRC2:USER_SGPR: 2
; COMPUTE_PGM_RSRC2:TRAP_HANDLER: 0
; COMPUTE_PGM_RSRC2:TGID_X_EN: 1
; COMPUTE_PGM_RSRC2:TGID_Y_EN: 0
; COMPUTE_PGM_RSRC2:TGID_Z_EN: 0
; COMPUTE_PGM_RSRC2:TIDIG_COMP_CNT: 0
	.section	.text._ZN2at6native12_GLOBAL__N_125multi_tensor_apply_kernelINS1_18TensorListMetadataILi2EEENS1_14UnaryOpFunctorIfLi2ELi1ELi1EEEJNS0_5Expm1IfEEEEEvT_T0_DpT1_,"axG",@progbits,_ZN2at6native12_GLOBAL__N_125multi_tensor_apply_kernelINS1_18TensorListMetadataILi2EEENS1_14UnaryOpFunctorIfLi2ELi1ELi1EEEJNS0_5Expm1IfEEEEEvT_T0_DpT1_,comdat
	.globl	_ZN2at6native12_GLOBAL__N_125multi_tensor_apply_kernelINS1_18TensorListMetadataILi2EEENS1_14UnaryOpFunctorIfLi2ELi1ELi1EEEJNS0_5Expm1IfEEEEEvT_T0_DpT1_ ; -- Begin function _ZN2at6native12_GLOBAL__N_125multi_tensor_apply_kernelINS1_18TensorListMetadataILi2EEENS1_14UnaryOpFunctorIfLi2ELi1ELi1EEEJNS0_5Expm1IfEEEEEvT_T0_DpT1_
	.p2align	8
	.type	_ZN2at6native12_GLOBAL__N_125multi_tensor_apply_kernelINS1_18TensorListMetadataILi2EEENS1_14UnaryOpFunctorIfLi2ELi1ELi1EEEJNS0_5Expm1IfEEEEEvT_T0_DpT1_,@function
_ZN2at6native12_GLOBAL__N_125multi_tensor_apply_kernelINS1_18TensorListMetadataILi2EEENS1_14UnaryOpFunctorIfLi2ELi1ELi1EEEJNS0_5Expm1IfEEEEEvT_T0_DpT1_: ; @_ZN2at6native12_GLOBAL__N_125multi_tensor_apply_kernelINS1_18TensorListMetadataILi2EEENS1_14UnaryOpFunctorIfLi2ELi1ELi1EEEJNS0_5Expm1IfEEEEEvT_T0_DpT1_
; %bb.0:
	s_bfe_u32 s2, ttmp6, 0x4000c
	s_and_b32 s3, ttmp6, 15
	s_add_co_i32 s2, s2, 1
	s_getreg_b32 s4, hwreg(HW_REG_IB_STS2, 6, 4)
	s_mul_i32 s2, ttmp9, s2
	s_delay_alu instid0(SALU_CYCLE_1)
	s_add_co_i32 s3, s3, s2
	s_cmp_eq_u32 s4, 0
	s_cselect_b32 s2, ttmp9, s3
	s_mov_b32 s3, 0
	s_load_u8 s13, s[0:1], s2 offset:0x600
	s_add_nc_u64 s[4:5], s[0:1], s[2:3]
	s_mul_u64 s[6:7], s[2:3], 3
	s_delay_alu instid0(SALU_CYCLE_1)
	s_add_nc_u64 s[4:5], s[4:5], s[6:7]
	s_load_b32 s12, s[4:5], 0x740
	s_wait_kmcnt 0x0
	s_clause 0x2
	s_load_b64 s[8:9], s[0:1], s13 offset:0x0 scale_offset
	s_load_b64 s[10:11], s[0:1], s13 offset:0x200 scale_offset
	;; [unrolled: 1-line block ×3, first 2 shown]
	s_mov_b32 s5, s3
	s_wait_xcnt 0x0
	s_ashr_i32 s13, s12, 31
	s_delay_alu instid0(SALU_CYCLE_1)
	s_lshl_b64 s[6:7], s[12:13], 18
	s_wait_kmcnt 0x0
	s_and_b64 s[18:19], s[10:11], 15
	s_add_nc_u64 s[16:17], s[8:9], s[6:7]
	s_and_b32 s4, s14, 3
	s_and_b32 s2, s16, 15
	s_or_b64 s[4:5], s[18:19], s[4:5]
	s_lshl_b64 s[12:13], s[12:13], 16
	s_or_b64 s[2:3], s[4:5], s[2:3]
	s_sub_nc_u64 s[12:13], s[14:15], s[12:13]
	s_cmp_eq_u64 s[2:3], 0
	s_mov_b32 s2, -1
	s_cbranch_scc0 .LBB142_5
; %bb.1:
	v_min_i64 v[2:3], 0x10000, s[12:13]
	v_dual_mov_b32 v5, 0 :: v_dual_lshlrev_b32 v4, 2, v0
	s_mov_b32 s19, exec_lo
	s_delay_alu instid0(VALU_DEP_1)
	v_cmpx_lt_i64_e64 v[4:5], v[2:3]
	s_cbranch_execz .LBB142_4
; %bb.2:
	s_load_b32 s2, s[0:1], 0xc5c
	v_dual_mov_b32 v1, v5 :: v_dual_lshlrev_b32 v4, 4, v0
	s_mov_b32 s15, 0
	s_add_nc_u64 s[16:17], s[8:9], 8
	s_mov_b32 s18, 0x3f317218
	s_delay_alu instid0(VALU_DEP_1)
	v_mov_b64_e32 v[6:7], v[0:1]
	v_add_nc_u64_e32 v[4:5], s[6:7], v[4:5]
	s_mov_b32 s20, 0xb102e308
	s_mov_b32 s22, 0x3ab69700
	;; [unrolled: 1-line block ×8, first 2 shown]
	s_wait_kmcnt 0x0
	s_and_b32 s14, s2, 0xffff
	s_delay_alu instid0(SALU_CYCLE_1)
	s_lshl_b32 s34, s14, 4
.LBB142_3:                              ; =>This Inner Loop Header: Depth=1
	v_add_nc_u64_e32 v[8:9], s[16:17], v[4:5]
	v_add_nc_u64_e32 v[6:7], s[14:15], v[6:7]
	;; [unrolled: 1-line block ×4, first 2 shown]
	global_load_b128 v[8:11], v[8:9], off offset:-8
	v_lshlrev_b64_e32 v[14:15], 2, v[6:7]
	s_delay_alu instid0(VALU_DEP_1) | instskip(SKIP_4) | instid1(VALU_DEP_3)
	v_cmp_ge_i64_e32 vcc_lo, v[14:15], v[2:3]
	s_wait_loadcnt 0x0
	v_dual_mul_f32 v1, 0x3fb8aa3b, v8 :: v_dual_mul_f32 v16, 0x3fb8aa3b, v10
	v_mul_f32_e32 v15, 0x3fb8aa3b, v9
	v_mul_f32_e32 v17, 0x3fb8aa3b, v11
	v_rndne_f32_e32 v14, v1
	s_delay_alu instid0(VALU_DEP_4) | instskip(NEXT) | instid1(VALU_DEP_4)
	v_rndne_f32_e32 v16, v16
	v_rndne_f32_e32 v15, v15
	s_delay_alu instid0(VALU_DEP_4) | instskip(NEXT) | instid1(VALU_DEP_4)
	v_rndne_f32_e32 v17, v17
	v_cvt_i32_f32_e32 v1, v14
	s_delay_alu instid0(VALU_DEP_4) | instskip(NEXT) | instid1(VALU_DEP_4)
	v_cvt_i32_f32_e32 v23, v16
	v_pk_fma_f32 v[18:19], v[14:15], s[18:19], v[8:9] op_sel_hi:[1,0,1] neg_lo:[1,0,0] neg_hi:[1,0,0]
	v_cvt_i32_f32_e32 v22, v15
	v_pk_fma_f32 v[20:21], v[16:17], s[18:19], v[10:11] op_sel_hi:[1,0,1] neg_lo:[1,0,0] neg_hi:[1,0,0]
	v_cmp_eq_f32_e64 s2, 0x43000000, v14
	v_cmp_eq_f32_e64 s3, 0x43000000, v15
	v_pk_fma_f32 v[18:19], v[14:15], s[20:21], v[18:19] op_sel_hi:[1,0,1] neg_lo:[1,0,0] neg_hi:[1,0,0]
	v_ldexp_f32 v22, 1.0, v22
	v_pk_fma_f32 v[14:15], v[16:17], s[20:21], v[20:21] op_sel_hi:[1,0,1] neg_lo:[1,0,0] neg_hi:[1,0,0]
	v_cvt_i32_f32_e32 v24, v17
	v_ldexp_f32 v26, 1.0, v23
	v_cmp_eq_f32_e64 s4, 0x43000000, v16
	v_cmp_eq_f32_e64 s5, 0x43000000, v17
	v_pk_fma_f32 v[16:17], v[18:19], s[24:25], s[22:23] op_sel_hi:[1,0,0]
	v_cndmask_b32_e64 v21, v22, 0x7f000000, s3
	v_pk_fma_f32 v[22:23], v[14:15], s[24:25], s[22:23] op_sel_hi:[1,0,0]
	v_ldexp_f32 v1, 1.0, v1
	v_ldexp_f32 v24, 1.0, v24
	v_pk_fma_f32 v[16:17], v[18:19], v[16:17], s[26:27] op_sel_hi:[1,1,0]
	s_or_b32 s21, vcc_lo, s21
	v_pk_fma_f32 v[22:23], v[14:15], v[22:23], s[26:27] op_sel_hi:[1,1,0]
	v_cndmask_b32_e64 v20, v1, 0x7f000000, s2
	v_cndmask_b32_e64 v25, v24, 0x7f000000, s5
	v_pk_fma_f32 v[16:17], v[18:19], v[16:17], s[28:29] op_sel_hi:[1,1,0]
	v_cndmask_b32_e64 v24, v26, 0x7f000000, s4
	v_pk_fma_f32 v[22:23], v[14:15], v[22:23], s[28:29] op_sel_hi:[1,1,0]
	v_pk_add_f32 v[26:27], v[20:21], -1.0 op_sel_hi:[1,0]
	s_delay_alu instid0(VALU_DEP_4) | instskip(NEXT) | instid1(VALU_DEP_4)
	v_pk_fma_f32 v[16:17], v[18:19], v[16:17], s[30:31] op_sel_hi:[1,1,0]
	v_pk_add_f32 v[28:29], v[24:25], -1.0 op_sel_hi:[1,0]
	s_delay_alu instid0(VALU_DEP_4) | instskip(NEXT) | instid1(VALU_DEP_3)
	v_pk_fma_f32 v[22:23], v[14:15], v[22:23], s[30:31] op_sel_hi:[1,1,0]
	v_pk_fma_f32 v[16:17], v[18:19], v[16:17], 0.5 op_sel_hi:[1,1,0]
	s_delay_alu instid0(VALU_DEP_2) | instskip(NEXT) | instid1(VALU_DEP_2)
	v_pk_fma_f32 v[22:23], v[14:15], v[22:23], 0.5 op_sel_hi:[1,1,0]
	v_pk_mul_f32 v[16:17], v[18:19], v[16:17]
	s_delay_alu instid0(VALU_DEP_2) | instskip(NEXT) | instid1(VALU_DEP_2)
	v_pk_mul_f32 v[22:23], v[14:15], v[22:23]
	v_pk_fma_f32 v[16:17], v[18:19], v[16:17], v[18:19]
	s_delay_alu instid0(VALU_DEP_2) | instskip(NEXT) | instid1(VALU_DEP_2)
	v_pk_fma_f32 v[14:15], v[14:15], v[22:23], v[14:15]
	v_pk_fma_f32 v[16:17], v[20:21], v[16:17], v[26:27]
	s_delay_alu instid0(VALU_DEP_2) | instskip(NEXT) | instid1(VALU_DEP_2)
	v_pk_fma_f32 v[14:15], v[24:25], v[14:15], v[28:29]
	v_pk_add_f32 v[18:19], v[16:17], v[16:17]
	s_delay_alu instid0(VALU_DEP_2) | instskip(NEXT) | instid1(VALU_DEP_2)
	v_pk_add_f32 v[20:21], v[14:15], v[14:15]
	v_dual_cndmask_b32 v1, v17, v19, s3 :: v_dual_cndmask_b32 v16, v16, v18, s2
	v_cmp_nlt_f32_e64 s2, 0x42b17217, v9
	s_delay_alu instid0(VALU_DEP_3)
	v_dual_cndmask_b32 v15, v15, v21, s5 :: v_dual_cndmask_b32 v14, v14, v20, s4
	v_cmp_nlt_f32_e64 s3, 0x42b17217, v10
	v_cmp_nlt_f32_e64 s4, 0x42b17217, v11
	;; [unrolled: 1-line block ×3, first 2 shown]
	v_cndmask_b32_e64 v1, 0x7f800000, v1, s2
	v_cmp_ngt_f32_e64 s2, 0xc1880000, v8
	v_cndmask_b32_e64 v14, 0x7f800000, v14, s3
	v_cndmask_b32_e64 v15, 0x7f800000, v15, s4
	;; [unrolled: 1-line block ×3, first 2 shown]
	v_cmp_ngt_f32_e64 s3, 0xc1880000, v11
	v_cmp_ngt_f32_e64 s4, 0xc1880000, v10
	;; [unrolled: 1-line block ×3, first 2 shown]
	s_wait_xcnt 0x0
	s_delay_alu instid0(VALU_DEP_3) | instskip(NEXT) | instid1(VALU_DEP_2)
	v_dual_cndmask_b32 v8, -1.0, v16, s2 :: v_dual_cndmask_b32 v11, -1.0, v15, s3
	v_dual_cndmask_b32 v10, -1.0, v14, s4 :: v_dual_cndmask_b32 v9, -1.0, v1, s5
	global_store_b128 v[12:13], v[8:11], off
	s_wait_xcnt 0x0
	s_and_not1_b32 exec_lo, exec_lo, s21
	s_cbranch_execnz .LBB142_3
.LBB142_4:
	s_or_b32 exec_lo, exec_lo, s19
	s_mov_b32 s2, 0
.LBB142_5:
	s_delay_alu instid0(SALU_CYCLE_1)
	s_and_not1_b32 vcc_lo, exec_lo, s2
	s_cbranch_vccnz .LBB142_25
; %bb.6:
	v_cmp_lt_i64_e64 s2, s[12:13], 1
	s_and_b32 vcc_lo, exec_lo, s2
	s_cbranch_vccnz .LBB142_25
; %bb.7:
	s_load_b32 s0, s[0:1], 0xc5c
	v_min_i64 v[2:3], 0x10000, s[12:13]
	v_min_u64 v[4:5], 0x10000, s[12:13]
	v_dual_mov_b32 v1, 0 :: v_dual_lshlrev_b32 v12, 2, v0
	s_wait_xcnt 0x0
	s_mov_b32 s1, 0
	s_delay_alu instid0(SALU_CYCLE_1) | instskip(NEXT) | instid1(VALU_DEP_1)
	s_mov_b32 s5, s1
	v_dual_mov_b32 v13, v1 :: v_dual_mov_b32 v27, v1
	s_mov_b32 s3, s1
	s_mov_b32 s13, s1
	s_delay_alu instid0(VALU_DEP_1) | instskip(SKIP_3) | instid1(SALU_CYCLE_1)
	v_add_nc_u64_e32 v[6:7], s[8:9], v[12:13]
	v_add_nc_u64_e32 v[8:9], s[10:11], v[12:13]
	s_wait_kmcnt 0x0
	s_and_b32 s0, s0, 0xffff
	v_add_nc_u64_e32 v[10:11], s[0:1], v[0:1]
	v_mad_nc_u64_u32 v[22:23], s0, 12, v[12:13]
	s_lshl_b32 s4, s0, 3
	s_lshl_b32 s2, s0, 1
	v_add_nc_u64_e32 v[18:19], s[4:5], v[12:13]
	s_mul_i32 s12, s0, 3
	v_add_nc_u64_e32 v[14:15], s[2:3], v[0:1]
	v_lshlrev_b32_e32 v26, 2, v10
	v_add_nc_u64_e32 v[12:13], s[12:13], v[0:1]
	s_lshl_b32 s4, s0, 2
	s_mov_b32 s3, 0x395133b1
	v_add_nc_u64_e32 v[16:17], s[8:9], v[18:19]
	v_add_nc_u64_e32 v[18:19], s[10:11], v[18:19]
	;; [unrolled: 1-line block ×6, first 2 shown]
	s_lshl_b32 s8, s0, 4
	s_mov_b32 s9, s1
	s_mov_b64 s[10:11], 0
	s_branch .LBB142_9
.LBB142_8:                              ;   in Loop: Header=BB142_9 Depth=1
	s_wait_xcnt 0x0
	s_or_b32 exec_lo, exec_lo, s0
	s_add_nc_u64 s[10:11], s[10:11], s[4:5]
	v_add_nc_u64_e32 v[6:7], s[8:9], v[6:7]
	v_cmp_ge_i64_e32 vcc_lo, s[10:11], v[2:3]
	v_add_nc_u64_e32 v[8:9], s[8:9], v[8:9]
	v_add_nc_u64_e32 v[20:21], s[8:9], v[20:21]
	;; [unrolled: 1-line block ×7, first 2 shown]
	s_cbranch_vccnz .LBB142_25
.LBB142_9:                              ; =>This Inner Loop Header: Depth=1
	s_wait_loadcnt 0x0
	v_add_nc_u64_e32 v[28:29], s[10:11], v[0:1]
	v_mov_b32_e32 v31, 0
	s_delay_alu instid0(VALU_DEP_2)
	v_cmp_lt_u64_e64 s2, v[28:29], v[4:5]
	s_and_saveexec_b32 s0, s2
	s_cbranch_execz .LBB142_11
; %bb.10:                               ;   in Loop: Header=BB142_9 Depth=1
	v_add_nc_u64_e32 v[28:29], s[6:7], v[6:7]
	global_load_b32 v31, v[28:29], off
.LBB142_11:                             ;   in Loop: Header=BB142_9 Depth=1
	s_wait_xcnt 0x0
	s_or_b32 exec_lo, exec_lo, s0
	v_add_nc_u64_e32 v[28:29], s[10:11], v[10:11]
	v_mov_b32_e32 v30, 0
	s_delay_alu instid0(VALU_DEP_2)
	v_cmp_lt_u64_e64 s1, v[28:29], v[4:5]
	v_mov_b32_e32 v29, 0
	s_and_saveexec_b32 s0, s1
	s_cbranch_execz .LBB142_13
; %bb.12:                               ;   in Loop: Header=BB142_9 Depth=1
	v_add_nc_u64_e32 v[32:33], s[6:7], v[24:25]
	global_load_b32 v30, v[32:33], off
.LBB142_13:                             ;   in Loop: Header=BB142_9 Depth=1
	s_wait_xcnt 0x0
	s_or_b32 exec_lo, exec_lo, s0
	v_add_nc_u64_e32 v[32:33], s[10:11], v[14:15]
	s_delay_alu instid0(VALU_DEP_1)
	v_cmp_lt_u64_e64 s0, v[32:33], v[4:5]
	s_and_saveexec_b32 s12, s0
	s_cbranch_execz .LBB142_15
; %bb.14:                               ;   in Loop: Header=BB142_9 Depth=1
	v_add_nc_u64_e32 v[28:29], s[6:7], v[16:17]
	global_load_b32 v29, v[28:29], off
.LBB142_15:                             ;   in Loop: Header=BB142_9 Depth=1
	s_wait_xcnt 0x0
	s_or_b32 exec_lo, exec_lo, s12
	v_add_nc_u64_e32 v[32:33], s[10:11], v[12:13]
	v_mov_b32_e32 v28, 0
	s_delay_alu instid0(VALU_DEP_2)
	v_cmp_lt_u64_e32 vcc_lo, v[32:33], v[4:5]
	s_and_saveexec_b32 s12, vcc_lo
	s_cbranch_execnz .LBB142_20
; %bb.16:                               ;   in Loop: Header=BB142_9 Depth=1
	s_or_b32 exec_lo, exec_lo, s12
	s_and_saveexec_b32 s12, s2
	s_cbranch_execnz .LBB142_21
.LBB142_17:                             ;   in Loop: Header=BB142_9 Depth=1
	s_or_b32 exec_lo, exec_lo, s12
	s_and_saveexec_b32 s2, s1
	s_cbranch_execnz .LBB142_22
.LBB142_18:                             ;   in Loop: Header=BB142_9 Depth=1
	s_or_b32 exec_lo, exec_lo, s2
	s_and_saveexec_b32 s1, s0
	s_cbranch_execnz .LBB142_23
.LBB142_19:                             ;   in Loop: Header=BB142_9 Depth=1
	s_or_b32 exec_lo, exec_lo, s1
	s_and_saveexec_b32 s0, vcc_lo
	s_cbranch_execz .LBB142_8
	s_branch .LBB142_24
.LBB142_20:                             ;   in Loop: Header=BB142_9 Depth=1
	v_add_nc_u64_e32 v[32:33], s[6:7], v[20:21]
	global_load_b32 v28, v[32:33], off
	s_wait_xcnt 0x0
	s_or_b32 exec_lo, exec_lo, s12
	s_and_saveexec_b32 s12, s2
	s_cbranch_execz .LBB142_17
.LBB142_21:                             ;   in Loop: Header=BB142_9 Depth=1
	s_wait_loadcnt 0x0
	v_mul_f32_e32 v32, 0x3fb8aa3b, v31
	s_delay_alu instid0(VALU_DEP_1) | instskip(NEXT) | instid1(VALU_DEP_1)
	v_rndne_f32_e32 v32, v32
	v_fmamk_f32 v33, v32, 0xbf317218, v31
	v_cvt_i32_f32_e32 v35, v32
	v_cmp_eq_f32_e64 s2, 0x43000000, v32
	s_delay_alu instid0(VALU_DEP_3) | instskip(NEXT) | instid1(VALU_DEP_3)
	v_fmac_f32_e32 v33, 0x3102e308, v32
	v_ldexp_f32 v35, 1.0, v35
	s_delay_alu instid0(VALU_DEP_2) | instskip(NEXT) | instid1(VALU_DEP_2)
	v_fmaak_f32 v34, s3, v33, 0x3ab69700
	v_cndmask_b32_e64 v32, v35, 0x7f000000, s2
	s_delay_alu instid0(VALU_DEP_2) | instskip(NEXT) | instid1(VALU_DEP_1)
	v_fmaak_f32 v34, v33, v34, 0x3c0887f9
	v_fmaak_f32 v34, v33, v34, 0x3d2aaa81
	s_delay_alu instid0(VALU_DEP_1) | instskip(NEXT) | instid1(VALU_DEP_1)
	v_fmaak_f32 v34, v33, v34, 0x3e2aaaab
	v_fma_f32 v34, v33, v34, 0.5
	s_delay_alu instid0(VALU_DEP_1) | instskip(NEXT) | instid1(VALU_DEP_1)
	v_mul_f32_e32 v34, v33, v34
	v_dual_fmac_f32 v33, v33, v34 :: v_dual_add_f32 v34, -1.0, v32
	s_delay_alu instid0(VALU_DEP_1) | instskip(NEXT) | instid1(VALU_DEP_1)
	v_fmac_f32_e32 v34, v32, v33
	v_add_f32_e32 v32, v34, v34
	s_delay_alu instid0(VALU_DEP_1) | instskip(SKIP_1) | instid1(VALU_DEP_1)
	v_cndmask_b32_e64 v32, v34, v32, s2
	v_cmp_nlt_f32_e64 s2, 0x42b17217, v31
	v_cndmask_b32_e64 v34, 0x7f800000, v32, s2
	v_cmp_ngt_f32_e64 s2, 0xc1880000, v31
	v_add_nc_u64_e32 v[32:33], s[6:7], v[8:9]
	s_delay_alu instid0(VALU_DEP_2)
	v_cndmask_b32_e64 v31, -1.0, v34, s2
	global_store_b32 v[32:33], v31, off
	s_wait_xcnt 0x0
	s_or_b32 exec_lo, exec_lo, s12
	s_and_saveexec_b32 s2, s1
	s_cbranch_execz .LBB142_18
.LBB142_22:                             ;   in Loop: Header=BB142_9 Depth=1
	s_wait_loadcnt 0x0
	v_mul_f32_e32 v31, 0x3fb8aa3b, v30
	s_delay_alu instid0(VALU_DEP_1) | instskip(NEXT) | instid1(VALU_DEP_1)
	v_rndne_f32_e32 v31, v31
	v_fmamk_f32 v32, v31, 0xbf317218, v30
	v_cvt_i32_f32_e32 v34, v31
	v_cmp_eq_f32_e64 s1, 0x43000000, v31
	s_delay_alu instid0(VALU_DEP_3) | instskip(NEXT) | instid1(VALU_DEP_3)
	v_fmac_f32_e32 v32, 0x3102e308, v31
	v_ldexp_f32 v34, 1.0, v34
	s_delay_alu instid0(VALU_DEP_2) | instskip(NEXT) | instid1(VALU_DEP_2)
	v_fmaak_f32 v33, s3, v32, 0x3ab69700
	v_cndmask_b32_e64 v31, v34, 0x7f000000, s1
	s_delay_alu instid0(VALU_DEP_2) | instskip(NEXT) | instid1(VALU_DEP_1)
	v_fmaak_f32 v33, v32, v33, 0x3c0887f9
	v_fmaak_f32 v33, v32, v33, 0x3d2aaa81
	s_delay_alu instid0(VALU_DEP_1) | instskip(NEXT) | instid1(VALU_DEP_1)
	v_fmaak_f32 v33, v32, v33, 0x3e2aaaab
	v_fma_f32 v33, v32, v33, 0.5
	s_delay_alu instid0(VALU_DEP_1) | instskip(NEXT) | instid1(VALU_DEP_1)
	v_mul_f32_e32 v33, v32, v33
	v_dual_fmac_f32 v32, v32, v33 :: v_dual_add_f32 v33, -1.0, v31
	s_delay_alu instid0(VALU_DEP_1) | instskip(NEXT) | instid1(VALU_DEP_1)
	v_fmac_f32_e32 v33, v31, v32
	v_add_f32_e32 v31, v33, v33
	s_delay_alu instid0(VALU_DEP_1) | instskip(SKIP_2) | instid1(VALU_DEP_2)
	v_cndmask_b32_e64 v31, v33, v31, s1
	v_cmp_nlt_f32_e64 s1, 0x42b17217, v30
	v_add_nc_u64_e32 v[32:33], s[6:7], v[26:27]
	v_cndmask_b32_e64 v31, 0x7f800000, v31, s1
	v_cmp_ngt_f32_e64 s1, 0xc1880000, v30
	s_delay_alu instid0(VALU_DEP_1)
	v_cndmask_b32_e64 v30, -1.0, v31, s1
	global_store_b32 v[32:33], v30, off
	s_wait_xcnt 0x0
	s_or_b32 exec_lo, exec_lo, s2
	s_and_saveexec_b32 s1, s0
	s_cbranch_execz .LBB142_19
.LBB142_23:                             ;   in Loop: Header=BB142_9 Depth=1
	s_wait_loadcnt 0x0
	v_mul_f32_e32 v30, 0x3fb8aa3b, v29
	s_delay_alu instid0(VALU_DEP_1) | instskip(NEXT) | instid1(VALU_DEP_1)
	v_rndne_f32_e32 v30, v30
	v_fmamk_f32 v31, v30, 0xbf317218, v29
	v_cvt_i32_f32_e32 v33, v30
	v_cmp_eq_f32_e64 s0, 0x43000000, v30
	s_delay_alu instid0(VALU_DEP_3) | instskip(NEXT) | instid1(VALU_DEP_3)
	v_fmac_f32_e32 v31, 0x3102e308, v30
	v_ldexp_f32 v33, 1.0, v33
	s_delay_alu instid0(VALU_DEP_2) | instskip(NEXT) | instid1(VALU_DEP_2)
	v_fmaak_f32 v32, s3, v31, 0x3ab69700
	v_cndmask_b32_e64 v30, v33, 0x7f000000, s0
	s_delay_alu instid0(VALU_DEP_2) | instskip(NEXT) | instid1(VALU_DEP_1)
	v_fmaak_f32 v32, v31, v32, 0x3c0887f9
	v_fmaak_f32 v32, v31, v32, 0x3d2aaa81
	s_delay_alu instid0(VALU_DEP_1) | instskip(NEXT) | instid1(VALU_DEP_1)
	v_fmaak_f32 v32, v31, v32, 0x3e2aaaab
	v_fma_f32 v32, v31, v32, 0.5
	s_delay_alu instid0(VALU_DEP_1) | instskip(NEXT) | instid1(VALU_DEP_1)
	v_mul_f32_e32 v32, v31, v32
	v_dual_fmac_f32 v31, v31, v32 :: v_dual_add_f32 v32, -1.0, v30
	s_delay_alu instid0(VALU_DEP_1) | instskip(NEXT) | instid1(VALU_DEP_1)
	v_fmac_f32_e32 v32, v30, v31
	v_add_f32_e32 v30, v32, v32
	s_delay_alu instid0(VALU_DEP_1) | instskip(SKIP_1) | instid1(VALU_DEP_1)
	v_cndmask_b32_e64 v30, v32, v30, s0
	v_cmp_nlt_f32_e64 s0, 0x42b17217, v29
	v_cndmask_b32_e64 v32, 0x7f800000, v30, s0
	v_cmp_ngt_f32_e64 s0, 0xc1880000, v29
	v_add_nc_u64_e32 v[30:31], s[6:7], v[18:19]
	s_delay_alu instid0(VALU_DEP_2)
	v_cndmask_b32_e64 v29, -1.0, v32, s0
	global_store_b32 v[30:31], v29, off
	s_wait_xcnt 0x0
	s_or_b32 exec_lo, exec_lo, s1
	s_and_saveexec_b32 s0, vcc_lo
	s_cbranch_execz .LBB142_8
.LBB142_24:                             ;   in Loop: Header=BB142_9 Depth=1
	s_wait_loadcnt 0x0
	v_mul_f32_e32 v29, 0x3fb8aa3b, v28
	s_delay_alu instid0(VALU_DEP_1) | instskip(NEXT) | instid1(VALU_DEP_1)
	v_rndne_f32_e32 v29, v29
	v_fmamk_f32 v30, v29, 0xbf317218, v28
	v_cvt_i32_f32_e32 v32, v29
	v_cmp_eq_f32_e32 vcc_lo, 0x43000000, v29
	s_delay_alu instid0(VALU_DEP_3) | instskip(NEXT) | instid1(VALU_DEP_3)
	v_fmac_f32_e32 v30, 0x3102e308, v29
	v_ldexp_f32 v32, 1.0, v32
	s_delay_alu instid0(VALU_DEP_2) | instskip(NEXT) | instid1(VALU_DEP_2)
	v_fmaak_f32 v31, s3, v30, 0x3ab69700
	v_cndmask_b32_e64 v29, v32, 0x7f000000, vcc_lo
	s_delay_alu instid0(VALU_DEP_2) | instskip(NEXT) | instid1(VALU_DEP_1)
	v_fmaak_f32 v31, v30, v31, 0x3c0887f9
	v_fmaak_f32 v31, v30, v31, 0x3d2aaa81
	s_delay_alu instid0(VALU_DEP_1) | instskip(NEXT) | instid1(VALU_DEP_1)
	v_fmaak_f32 v31, v30, v31, 0x3e2aaaab
	v_fma_f32 v31, v30, v31, 0.5
	s_delay_alu instid0(VALU_DEP_1) | instskip(NEXT) | instid1(VALU_DEP_1)
	v_mul_f32_e32 v31, v30, v31
	v_dual_fmac_f32 v30, v30, v31 :: v_dual_add_f32 v31, -1.0, v29
	s_delay_alu instid0(VALU_DEP_1) | instskip(NEXT) | instid1(VALU_DEP_1)
	v_fmac_f32_e32 v31, v29, v30
	v_add_f32_e32 v29, v31, v31
	s_delay_alu instid0(VALU_DEP_1) | instskip(SKIP_2) | instid1(VALU_DEP_3)
	v_cndmask_b32_e32 v29, v31, v29, vcc_lo
	v_cmp_nlt_f32_e32 vcc_lo, 0x42b17217, v28
	v_add_nc_u64_e32 v[30:31], s[6:7], v[22:23]
	v_cndmask_b32_e32 v29, 0x7f800000, v29, vcc_lo
	v_cmp_ngt_f32_e32 vcc_lo, 0xc1880000, v28
	s_delay_alu instid0(VALU_DEP_2)
	v_cndmask_b32_e32 v28, -1.0, v29, vcc_lo
	global_store_b32 v[30:31], v28, off
	s_branch .LBB142_8
.LBB142_25:
	s_endpgm
	.section	.rodata,"a",@progbits
	.p2align	6, 0x0
	.amdhsa_kernel _ZN2at6native12_GLOBAL__N_125multi_tensor_apply_kernelINS1_18TensorListMetadataILi2EEENS1_14UnaryOpFunctorIfLi2ELi1ELi1EEEJNS0_5Expm1IfEEEEEvT_T0_DpT1_
		.amdhsa_group_segment_fixed_size 0
		.amdhsa_private_segment_fixed_size 0
		.amdhsa_kernarg_size 3408
		.amdhsa_user_sgpr_count 2
		.amdhsa_user_sgpr_dispatch_ptr 0
		.amdhsa_user_sgpr_queue_ptr 0
		.amdhsa_user_sgpr_kernarg_segment_ptr 1
		.amdhsa_user_sgpr_dispatch_id 0
		.amdhsa_user_sgpr_kernarg_preload_length 0
		.amdhsa_user_sgpr_kernarg_preload_offset 0
		.amdhsa_user_sgpr_private_segment_size 0
		.amdhsa_wavefront_size32 1
		.amdhsa_uses_dynamic_stack 0
		.amdhsa_enable_private_segment 0
		.amdhsa_system_sgpr_workgroup_id_x 1
		.amdhsa_system_sgpr_workgroup_id_y 0
		.amdhsa_system_sgpr_workgroup_id_z 0
		.amdhsa_system_sgpr_workgroup_info 0
		.amdhsa_system_vgpr_workitem_id 0
		.amdhsa_next_free_vgpr 36
		.amdhsa_next_free_sgpr 36
		.amdhsa_named_barrier_count 0
		.amdhsa_reserve_vcc 1
		.amdhsa_float_round_mode_32 0
		.amdhsa_float_round_mode_16_64 0
		.amdhsa_float_denorm_mode_32 3
		.amdhsa_float_denorm_mode_16_64 3
		.amdhsa_fp16_overflow 0
		.amdhsa_memory_ordered 1
		.amdhsa_forward_progress 1
		.amdhsa_inst_pref_size 20
		.amdhsa_round_robin_scheduling 0
		.amdhsa_exception_fp_ieee_invalid_op 0
		.amdhsa_exception_fp_denorm_src 0
		.amdhsa_exception_fp_ieee_div_zero 0
		.amdhsa_exception_fp_ieee_overflow 0
		.amdhsa_exception_fp_ieee_underflow 0
		.amdhsa_exception_fp_ieee_inexact 0
		.amdhsa_exception_int_div_zero 0
	.end_amdhsa_kernel
	.section	.text._ZN2at6native12_GLOBAL__N_125multi_tensor_apply_kernelINS1_18TensorListMetadataILi2EEENS1_14UnaryOpFunctorIfLi2ELi1ELi1EEEJNS0_5Expm1IfEEEEEvT_T0_DpT1_,"axG",@progbits,_ZN2at6native12_GLOBAL__N_125multi_tensor_apply_kernelINS1_18TensorListMetadataILi2EEENS1_14UnaryOpFunctorIfLi2ELi1ELi1EEEJNS0_5Expm1IfEEEEEvT_T0_DpT1_,comdat
.Lfunc_end142:
	.size	_ZN2at6native12_GLOBAL__N_125multi_tensor_apply_kernelINS1_18TensorListMetadataILi2EEENS1_14UnaryOpFunctorIfLi2ELi1ELi1EEEJNS0_5Expm1IfEEEEEvT_T0_DpT1_, .Lfunc_end142-_ZN2at6native12_GLOBAL__N_125multi_tensor_apply_kernelINS1_18TensorListMetadataILi2EEENS1_14UnaryOpFunctorIfLi2ELi1ELi1EEEJNS0_5Expm1IfEEEEEvT_T0_DpT1_
                                        ; -- End function
	.set _ZN2at6native12_GLOBAL__N_125multi_tensor_apply_kernelINS1_18TensorListMetadataILi2EEENS1_14UnaryOpFunctorIfLi2ELi1ELi1EEEJNS0_5Expm1IfEEEEEvT_T0_DpT1_.num_vgpr, 36
	.set _ZN2at6native12_GLOBAL__N_125multi_tensor_apply_kernelINS1_18TensorListMetadataILi2EEENS1_14UnaryOpFunctorIfLi2ELi1ELi1EEEJNS0_5Expm1IfEEEEEvT_T0_DpT1_.num_agpr, 0
	.set _ZN2at6native12_GLOBAL__N_125multi_tensor_apply_kernelINS1_18TensorListMetadataILi2EEENS1_14UnaryOpFunctorIfLi2ELi1ELi1EEEJNS0_5Expm1IfEEEEEvT_T0_DpT1_.numbered_sgpr, 36
	.set _ZN2at6native12_GLOBAL__N_125multi_tensor_apply_kernelINS1_18TensorListMetadataILi2EEENS1_14UnaryOpFunctorIfLi2ELi1ELi1EEEJNS0_5Expm1IfEEEEEvT_T0_DpT1_.num_named_barrier, 0
	.set _ZN2at6native12_GLOBAL__N_125multi_tensor_apply_kernelINS1_18TensorListMetadataILi2EEENS1_14UnaryOpFunctorIfLi2ELi1ELi1EEEJNS0_5Expm1IfEEEEEvT_T0_DpT1_.private_seg_size, 0
	.set _ZN2at6native12_GLOBAL__N_125multi_tensor_apply_kernelINS1_18TensorListMetadataILi2EEENS1_14UnaryOpFunctorIfLi2ELi1ELi1EEEJNS0_5Expm1IfEEEEEvT_T0_DpT1_.uses_vcc, 1
	.set _ZN2at6native12_GLOBAL__N_125multi_tensor_apply_kernelINS1_18TensorListMetadataILi2EEENS1_14UnaryOpFunctorIfLi2ELi1ELi1EEEJNS0_5Expm1IfEEEEEvT_T0_DpT1_.uses_flat_scratch, 0
	.set _ZN2at6native12_GLOBAL__N_125multi_tensor_apply_kernelINS1_18TensorListMetadataILi2EEENS1_14UnaryOpFunctorIfLi2ELi1ELi1EEEJNS0_5Expm1IfEEEEEvT_T0_DpT1_.has_dyn_sized_stack, 0
	.set _ZN2at6native12_GLOBAL__N_125multi_tensor_apply_kernelINS1_18TensorListMetadataILi2EEENS1_14UnaryOpFunctorIfLi2ELi1ELi1EEEJNS0_5Expm1IfEEEEEvT_T0_DpT1_.has_recursion, 0
	.set _ZN2at6native12_GLOBAL__N_125multi_tensor_apply_kernelINS1_18TensorListMetadataILi2EEENS1_14UnaryOpFunctorIfLi2ELi1ELi1EEEJNS0_5Expm1IfEEEEEvT_T0_DpT1_.has_indirect_call, 0
	.section	.AMDGPU.csdata,"",@progbits
; Kernel info:
; codeLenInByte = 2540
; TotalNumSgprs: 38
; NumVgprs: 36
; ScratchSize: 0
; MemoryBound: 0
; FloatMode: 240
; IeeeMode: 1
; LDSByteSize: 0 bytes/workgroup (compile time only)
; SGPRBlocks: 0
; VGPRBlocks: 2
; NumSGPRsForWavesPerEU: 38
; NumVGPRsForWavesPerEU: 36
; NamedBarCnt: 0
; Occupancy: 16
; WaveLimiterHint : 0
; COMPUTE_PGM_RSRC2:SCRATCH_EN: 0
; COMPUTE_PGM_RSRC2:USER_SGPR: 2
; COMPUTE_PGM_RSRC2:TRAP_HANDLER: 0
; COMPUTE_PGM_RSRC2:TGID_X_EN: 1
; COMPUTE_PGM_RSRC2:TGID_Y_EN: 0
; COMPUTE_PGM_RSRC2:TGID_Z_EN: 0
; COMPUTE_PGM_RSRC2:TIDIG_COMP_CNT: 0
	.section	.text._ZN2at6native12_GLOBAL__N_125multi_tensor_apply_kernelINS1_18TensorListMetadataILi2EEENS1_14UnaryOpFunctorIN3c107complexIdEELi2ELi1ELi1EEEJNS0_5Expm1IS8_EEEEEvT_T0_DpT1_,"axG",@progbits,_ZN2at6native12_GLOBAL__N_125multi_tensor_apply_kernelINS1_18TensorListMetadataILi2EEENS1_14UnaryOpFunctorIN3c107complexIdEELi2ELi1ELi1EEEJNS0_5Expm1IS8_EEEEEvT_T0_DpT1_,comdat
	.globl	_ZN2at6native12_GLOBAL__N_125multi_tensor_apply_kernelINS1_18TensorListMetadataILi2EEENS1_14UnaryOpFunctorIN3c107complexIdEELi2ELi1ELi1EEEJNS0_5Expm1IS8_EEEEEvT_T0_DpT1_ ; -- Begin function _ZN2at6native12_GLOBAL__N_125multi_tensor_apply_kernelINS1_18TensorListMetadataILi2EEENS1_14UnaryOpFunctorIN3c107complexIdEELi2ELi1ELi1EEEJNS0_5Expm1IS8_EEEEEvT_T0_DpT1_
	.p2align	8
	.type	_ZN2at6native12_GLOBAL__N_125multi_tensor_apply_kernelINS1_18TensorListMetadataILi2EEENS1_14UnaryOpFunctorIN3c107complexIdEELi2ELi1ELi1EEEJNS0_5Expm1IS8_EEEEEvT_T0_DpT1_,@function
_ZN2at6native12_GLOBAL__N_125multi_tensor_apply_kernelINS1_18TensorListMetadataILi2EEENS1_14UnaryOpFunctorIN3c107complexIdEELi2ELi1ELi1EEEJNS0_5Expm1IS8_EEEEEvT_T0_DpT1_: ; @_ZN2at6native12_GLOBAL__N_125multi_tensor_apply_kernelINS1_18TensorListMetadataILi2EEENS1_14UnaryOpFunctorIN3c107complexIdEELi2ELi1ELi1EEEJNS0_5Expm1IS8_EEEEEvT_T0_DpT1_
; %bb.0:
	s_bfe_u32 s2, ttmp6, 0x4000c
	s_and_b32 s3, ttmp6, 15
	s_add_co_i32 s2, s2, 1
	s_getreg_b32 s4, hwreg(HW_REG_IB_STS2, 6, 4)
	s_mul_i32 s2, ttmp9, s2
	s_delay_alu instid0(SALU_CYCLE_1)
	s_add_co_i32 s3, s3, s2
	s_cmp_eq_u32 s4, 0
	s_cselect_b32 s2, ttmp9, s3
	s_mov_b32 s3, 0
	s_load_u8 s14, s[0:1], s2 offset:0x600
	s_add_nc_u64 s[4:5], s[0:1], s[2:3]
	s_mul_u64 s[6:7], s[2:3], 3
	s_delay_alu instid0(SALU_CYCLE_1)
	s_add_nc_u64 s[4:5], s[4:5], s[6:7]
	s_load_b32 s6, s[4:5], 0x740
	s_wait_kmcnt 0x0
	s_clause 0x2
	s_load_b64 s[8:9], s[0:1], s14 offset:0x0 scale_offset
	s_load_b64 s[10:11], s[0:1], s14 offset:0x200 scale_offset
	;; [unrolled: 1-line block ×3, first 2 shown]
	s_ashr_i32 s7, s6, 31
	s_delay_alu instid0(SALU_CYCLE_1)
	s_lshl_b64 s[4:5], s[6:7], 20
	s_lshl_b64 s[6:7], s[6:7], 16
	s_wait_kmcnt 0x0
	s_add_nc_u64 s[16:17], s[10:11], s[4:5]
	s_add_nc_u64 s[14:15], s[8:9], s[4:5]
	s_and_b32 s4, s12, 3
	s_and_b64 s[8:9], s[16:17], 63
	s_mov_b32 s5, s3
	s_and_b32 s2, s14, 63
	s_or_b64 s[4:5], s[8:9], s[4:5]
	s_sub_nc_u64 s[18:19], s[12:13], s[6:7]
	s_or_b64 s[2:3], s[4:5], s[2:3]
	s_delay_alu instid0(SALU_CYCLE_1)
	s_cmp_eq_u64 s[2:3], 0
	s_mov_b32 s2, -1
	s_cbranch_scc0 .LBB143_53
; %bb.1:
	v_min_i64 v[18:19], 0x10000, s[18:19]
	v_dual_mov_b32 v20, 0 :: v_dual_lshlrev_b32 v2, 2, v0
	s_mov_b32 s33, exec_lo
	s_delay_alu instid0(VALU_DEP_1) | instskip(NEXT) | instid1(VALU_DEP_1)
	v_mov_b32_e32 v3, v20
	v_cmpx_lt_i64_e64 v[2:3], v[18:19]
	s_cbranch_execz .LBB143_52
; %bb.2:
	s_load_b32 s2, s[0:1], 0xc5c
	v_dual_mov_b32 v1, v20 :: v_dual_lshlrev_b32 v22, 6, v0
	v_mov_b64_e32 v[24:25], 0x3e928af3fca7ab0c
	v_mov_b64_e32 v[26:27], 0x3e5af4eb2a1b768b
	;; [unrolled: 1-line block ×5, first 2 shown]
	v_mov_b32_e32 v23, v20
	s_mov_b32 s21, 0
	s_mov_b64 s[22:23], 0x3ff921fb54442d18
	s_mov_b64 s[24:25], 0x3fe45f306dc9c883
	;; [unrolled: 1-line block ×5, first 2 shown]
	s_mov_b32 s35, s21
	s_mov_b32 s38, s21
	s_mov_b64 s[36:37], s[16:17]
                                        ; implicit-def: $vgpr2_vgpr3
                                        ; implicit-def: $vgpr2_vgpr3
	;; [unrolled: 1-line block ×23, first 2 shown]
	s_wait_kmcnt 0x0
	s_and_b32 s20, s2, 0xffff
	s_delay_alu instid0(SALU_CYCLE_1)
	s_lshl_b32 s34, s20, 6
	s_branch .LBB143_4
.LBB143_3:                              ;   in Loop: Header=BB143_4 Depth=1
	s_or_b32 exec_lo, exec_lo, s2
	v_mul_f64_e32 v[104:105], v[78:79], v[78:79]
	v_mul_f64_e32 v[124:125], v[72:73], v[72:73]
	v_mul_f64_e32 v[106:107], v[82:83], v[82:83]
	v_mul_f64_e32 v[112:113], 0.5, v[88:89]
	v_mul_f64_e32 v[118:119], v[52:53], v[52:53]
	v_mul_f64_e32 v[126:127], 0.5, v[84:85]
	v_cmp_class_f64_e64 s8, v[58:59], 0x1f8
	v_mul_f64_e32 v[134:135], 0.5, v[86:87]
	v_mul_f64_e32 v[120:121], v[54:55], v[54:55]
	v_mul_f64_e32 v[122:123], v[50:51], v[50:51]
	v_cmp_ngt_f64_e64 s7, 0xc090cc00, v[14:15]
	v_cmp_ngt_f64_e64 s10, 0xc090cc00, v[10:11]
	v_cmp_class_f64_e64 s11, v[48:49], 0x1f8
	v_cmp_nlt_f64_e64 s6, 0x40900000, v[14:15]
	v_cmp_ngt_f64_e64 s9, 0xc0428000, v[14:15]
	v_cmp_nlt_f64_e64 s12, s[28:29], v[10:11]
	v_cmp_ngt_f64_e64 s13, 0xc0428000, v[10:11]
	v_add_nc_u64_e32 v[32:33], s[20:21], v[32:33]
	s_add_nc_u64 s[30:31], s[30:31], s[34:35]
	v_mul_f64_e32 v[92:93], 0.5, v[104:105]
	v_mul_f64_e32 v[94:95], 0.5, v[124:125]
	;; [unrolled: 1-line block ×3, first 2 shown]
	v_mul_f64_e64 v[100:101], v[78:79], -v[104:105]
	v_fmamk_f64 v[114:115], v[104:105], 0x3de5e0b2f9a43bb8, v[30:31]
	v_fmamk_f64 v[128:129], v[124:125], 0x3de5e0b2f9a43bb8, v[30:31]
	v_mul_f64_e32 v[140:141], v[104:105], v[104:105]
	v_fmamk_f64 v[162:163], v[118:119], 0x3de5e0b2f9a43bb8, v[30:31]
	v_fmamk_f64 v[148:149], v[124:125], 0xbda907db46cc5e42, v[28:29]
	v_mul_f64_e32 v[144:145], 0.5, v[118:119]
	v_fmaak_f64 v[130:131], v[124:125], v[128:129], 0x3ec71de3796cde01
	s_delay_alu instid0(VALU_DEP_1) | instskip(NEXT) | instid1(VALU_DEP_1)
	v_fmaak_f64 v[130:131], v[124:125], v[130:131], 0xbf2a01a019e83e5c
	v_fmaak_f64 v[136:137], v[124:125], v[130:131], 0x3f81111111110bb3
	v_mul_f64_e32 v[130:131], 0.5, v[66:67]
	v_add_f64_e64 v[90:91], -v[92:93], 1.0
	v_add_f64_e64 v[98:99], -v[94:95], 1.0
	;; [unrolled: 1-line block ×3, first 2 shown]
	s_delay_alu instid0(VALU_DEP_3) | instskip(NEXT) | instid1(VALU_DEP_3)
	v_add_f64_e64 v[102:103], -v[90:91], 1.0
	v_add_f64_e64 v[108:109], -v[98:99], 1.0
	s_delay_alu instid0(VALU_DEP_3) | instskip(NEXT) | instid1(VALU_DEP_3)
	v_add_f64_e64 v[132:133], -v[96:97], 1.0
	v_add_f64_e64 v[116:117], v[102:103], -v[92:93]
	v_fmaak_f64 v[92:93], v[104:105], v[114:115], 0x3ec71de3796cde01
	s_delay_alu instid0(VALU_DEP_4) | instskip(SKIP_4) | instid1(VALU_DEP_1)
	v_add_f64_e64 v[138:139], v[108:109], -v[94:95]
	v_mul_f64_e64 v[108:109], v[82:83], -v[106:107]
	v_add_f64_e64 v[146:147], v[132:133], -v[110:111]
	v_mul_f64_e32 v[132:133], 0.5, v[122:123]
	v_fmaak_f64 v[92:93], v[104:105], v[92:93], 0xbf2a01a019e83e5c
	v_fmaak_f64 v[114:115], v[104:105], v[92:93], 0x3f81111111110bb3
	v_add_f64_e64 v[92:93], -v[144:145], 1.0
	s_delay_alu instid0(VALU_DEP_2) | instskip(SKIP_1) | instid1(VALU_DEP_1)
	v_fmac_f64_e32 v[112:113], v[100:101], v[114:115]
	v_fmamk_f64 v[114:115], v[104:105], 0xbda907db46cc5e42, v[28:29]
	v_fmaak_f64 v[114:115], v[104:105], v[114:115], 0xbe927e4fa17f65f6
	v_fma_f64 v[94:95], v[78:79], -v[88:89], v[116:117]
	v_fmamk_f64 v[116:117], v[106:107], 0x3de5e0b2f9a43bb8, v[30:31]
	v_fma_f64 v[110:111], v[72:73], -v[86:87], v[138:139]
	v_fmaak_f64 v[138:139], v[118:119], v[162:163], 0x3ec71de3796cde01
	v_fmamk_f64 v[162:163], v[118:119], 0xbda907db46cc5e42, v[28:29]
	v_fmaak_f64 v[114:115], v[104:105], v[114:115], 0x3efa01a019f4ec90
	v_fmaak_f64 v[116:117], v[106:107], v[116:117], 0x3ec71de3796cde01
	s_delay_alu instid0(VALU_DEP_2) | instskip(SKIP_1) | instid1(VALU_DEP_3)
	v_fmaak_f64 v[142:143], v[104:105], v[114:115], 0xbf56c16c16c16967
	v_mul_f64_e64 v[114:115], v[52:53], -v[118:119]
	v_fmaak_f64 v[116:117], v[106:107], v[116:117], 0xbf2a01a019e83e5c
	v_add_f64_e64 v[164:165], -v[92:93], 1.0
	s_delay_alu instid0(VALU_DEP_4) | instskip(NEXT) | instid1(VALU_DEP_3)
	v_fmaak_f64 v[142:143], v[104:105], v[142:143], 0x3fa5555555555555
	v_fmaak_f64 v[116:117], v[106:107], v[116:117], 0x3f81111111110bb3
	v_fma_f64 v[104:105], v[104:105], v[112:113], -v[88:89]
	v_fmaak_f64 v[112:113], v[124:125], v[148:149], 0xbe927e4fa17f65f6
	s_delay_alu instid0(VALU_DEP_3) | instskip(SKIP_1) | instid1(VALU_DEP_3)
	v_fmac_f64_e32 v[126:127], v[108:109], v[116:117]
	v_fmamk_f64 v[116:117], v[106:107], 0xbda907db46cc5e42, v[28:29]
	v_fmaak_f64 v[112:113], v[124:125], v[112:113], 0x3efa01a019f4ec90
	v_fmac_f64_e32 v[94:95], v[140:141], v[142:143]
	v_fmaak_f64 v[142:143], v[118:119], v[138:139], 0xbf2a01a019e83e5c
	v_mul_f64_e32 v[138:139], v[106:107], v[106:107]
	v_fmaak_f64 v[116:117], v[106:107], v[116:117], 0xbe927e4fa17f65f6
	v_fmaak_f64 v[148:149], v[124:125], v[112:113], 0xbf56c16c16c16967
	v_fma_f64 v[112:113], v[82:83], -v[84:85], v[146:147]
	v_fmaak_f64 v[142:143], v[118:119], v[142:143], 0x3f81111111110bb3
	s_delay_alu instid0(VALU_DEP_4) | instskip(NEXT) | instid1(VALU_DEP_2)
	v_fmaak_f64 v[140:141], v[106:107], v[116:117], 0x3efa01a019f4ec90
	v_fmac_f64_e32 v[130:131], v[114:115], v[142:143]
	v_add_f64_e64 v[146:147], v[164:165], -v[144:145]
	s_delay_alu instid0(VALU_DEP_3) | instskip(SKIP_2) | instid1(VALU_DEP_3)
	v_fmaak_f64 v[140:141], v[106:107], v[140:141], 0xbf56c16c16c16967
	v_fmac_f64_e32 v[104:105], 0xbfc5555555555555, v[100:101]
	v_fma_f64 v[142:143], v[106:107], v[126:127], -v[84:85]
	v_fmaak_f64 v[106:107], v[106:107], v[140:141], 0x3fa5555555555555
	v_fmamk_f64 v[126:127], v[120:121], 0x3de5e0b2f9a43bb8, v[30:31]
	s_delay_alu instid0(VALU_DEP_1) | instskip(NEXT) | instid1(VALU_DEP_3)
	v_fmaak_f64 v[126:127], v[120:121], v[126:127], 0x3ec71de3796cde01
	v_fmac_f64_e32 v[112:113], v[138:139], v[106:107]
	v_mul_f64_e32 v[106:107], v[118:119], v[118:119]
	s_delay_alu instid0(VALU_DEP_3) | instskip(SKIP_1) | instid1(VALU_DEP_2)
	v_fmaak_f64 v[126:127], v[120:121], v[126:127], 0xbf2a01a019e83e5c
	v_fma_f64 v[130:131], v[118:119], v[130:131], -v[66:67]
	v_fmaak_f64 v[140:141], v[120:121], v[126:127], 0x3f81111111110bb3
	v_fma_f64 v[126:127], v[52:53], -v[66:67], v[146:147]
	v_fmac_f64_e32 v[142:143], 0xbfc5555555555555, v[108:109]
	s_delay_alu instid0(VALU_DEP_4) | instskip(NEXT) | instid1(VALU_DEP_2)
	v_fmac_f64_e32 v[130:131], 0xbfc5555555555555, v[114:115]
	v_add_f64_e64 v[114:115], v[82:83], -v[142:143]
	v_add_f64_e32 v[142:143], v[96:97], v[112:113]
	v_mul_f64_e64 v[102:103], v[72:73], -v[124:125]
	s_delay_alu instid0(VALU_DEP_1) | instskip(SKIP_1) | instid1(VALU_DEP_2)
	v_fmac_f64_e32 v[134:135], v[102:103], v[136:137]
	v_mul_f64_e32 v[136:137], v[124:125], v[124:125]
	v_fma_f64 v[116:117], v[124:125], v[134:135], -v[86:87]
	v_fmaak_f64 v[124:125], v[124:125], v[148:149], 0x3fa5555555555555
	v_mul_f64_e32 v[148:149], 0x3ff71547652b82fe, v[14:15]
	v_mul_f64_e32 v[86:87], v[38:39], v[38:39]
	v_mul_f64_e32 v[134:135], 0.5, v[60:61]
	s_delay_alu instid0(VALU_DEP_4) | instskip(SKIP_3) | instid1(VALU_DEP_2)
	v_fmac_f64_e32 v[110:111], v[136:137], v[124:125]
	v_add_f64_e64 v[124:125], -v[132:133], 1.0
	v_fmaak_f64 v[136:137], v[118:119], v[162:163], 0xbe927e4fa17f65f6
	v_mul_f64_e64 v[162:163], v[50:51], -v[122:123]
	v_fmaak_f64 v[136:137], v[118:119], v[136:137], 0x3efa01a019f4ec90
	s_delay_alu instid0(VALU_DEP_1) | instskip(NEXT) | instid1(VALU_DEP_1)
	v_fmaak_f64 v[136:137], v[118:119], v[136:137], 0xbf56c16c16c16967
	v_fmaak_f64 v[66:67], v[118:119], v[136:137], 0x3fa5555555555555
	v_fmac_f64_e32 v[116:117], 0xbfc5555555555555, v[102:103]
	v_mul_f64_e32 v[102:103], 0.5, v[44:45]
	v_rndne_f64_e32 v[146:147], v[148:149]
	v_mul_f64_e32 v[148:149], 0.5, v[76:77]
	v_mul_f64_e32 v[138:139], 0.5, v[86:87]
	v_fmac_f64_e32 v[126:127], v[106:107], v[66:67]
	v_add_f64_e64 v[118:119], -v[124:125], 1.0
	v_cmp_eq_f64_e64 s2, 0x40900000, v[146:147]
	v_mul_f64_e32 v[128:129], 0.5, v[120:121]
	v_add_f64_e64 v[66:67], -v[138:139], 1.0
	v_fmamk_f64 v[106:107], v[146:147], 0xbfe62e42fefa39ef, v[14:15]
	v_cvt_i32_f64_e32 v161, v[146:147]
	v_add_f64_e32 v[126:127], v[92:93], v[126:127]
	v_add_f64_e64 v[118:119], v[118:119], -v[132:133]
	v_mul_f64_e32 v[132:133], v[120:121], v[120:121]
	v_fmac_f64_e32 v[106:107], 0xbc7abc9e3b39803f, v[146:147]
	v_add_f64_e64 v[88:89], -v[128:129], 1.0
	s_delay_alu instid0(VALU_DEP_1) | instskip(NEXT) | instid1(VALU_DEP_1)
	v_add_f64_e64 v[84:85], -v[88:89], 1.0
	v_add_f64_e64 v[84:85], v[84:85], -v[128:129]
	v_fmamk_f64 v[128:129], v[122:123], 0x3de5e0b2f9a43bb8, v[30:31]
	s_delay_alu instid0(VALU_DEP_1) | instskip(NEXT) | instid1(VALU_DEP_1)
	v_fmaak_f64 v[128:129], v[122:123], v[128:129], 0x3ec71de3796cde01
	v_fmaak_f64 v[128:129], v[122:123], v[128:129], 0xbf2a01a019e83e5c
	s_delay_alu instid0(VALU_DEP_1) | instskip(NEXT) | instid1(VALU_DEP_1)
	v_fmaak_f64 v[128:129], v[122:123], v[128:129], 0x3f81111111110bb3
	v_fmac_f64_e32 v[148:149], v[162:163], v[128:129]
	v_fmamk_f64 v[128:129], v[120:121], 0xbda907db46cc5e42, v[28:29]
	v_fma_f64 v[136:137], v[54:55], -v[60:61], v[84:85]
	s_delay_alu instid0(VALU_DEP_2) | instskip(SKIP_1) | instid1(VALU_DEP_2)
	v_fmaak_f64 v[84:85], v[120:121], v[128:129], 0xbe927e4fa17f65f6
	v_fma_f64 v[128:129], v[50:51], -v[76:77], v[118:119]
	v_fmaak_f64 v[84:85], v[120:121], v[84:85], 0x3efa01a019f4ec90
	s_delay_alu instid0(VALU_DEP_1) | instskip(NEXT) | instid1(VALU_DEP_1)
	v_fmaak_f64 v[84:85], v[120:121], v[84:85], 0xbf56c16c16c16967
	v_fmaak_f64 v[84:85], v[120:121], v[84:85], 0x3fa5555555555555
	v_fma_f64 v[76:77], v[122:123], v[148:149], -v[76:77]
	s_delay_alu instid0(VALU_DEP_2) | instskip(SKIP_2) | instid1(VALU_DEP_2)
	v_fmac_f64_e32 v[136:137], v[132:133], v[84:85]
	v_fmamk_f64 v[84:85], v[122:123], 0xbda907db46cc5e42, v[28:29]
	v_mul_f64_e32 v[132:133], v[122:123], v[122:123]
	v_fmaak_f64 v[84:85], v[122:123], v[84:85], 0xbe927e4fa17f65f6
	s_delay_alu instid0(VALU_DEP_1) | instskip(NEXT) | instid1(VALU_DEP_1)
	v_fmaak_f64 v[84:85], v[122:123], v[84:85], 0x3efa01a019f4ec90
	v_fmaak_f64 v[84:85], v[122:123], v[84:85], 0xbf56c16c16c16967
	v_fmac_f64_e32 v[76:77], 0xbfc5555555555555, v[162:163]
	s_delay_alu instid0(VALU_DEP_2) | instskip(SKIP_1) | instid1(VALU_DEP_2)
	v_fmaak_f64 v[84:85], v[122:123], v[84:85], 0x3fa5555555555555
	v_fmamk_f64 v[122:123], v[106:107], 0x3e5ade156a5dcb37, v[24:25]
	v_fmac_f64_e32 v[128:129], v[132:133], v[84:85]
	s_delay_alu instid0(VALU_DEP_2) | instskip(SKIP_2) | instid1(VALU_DEP_3)
	v_fmaak_f64 v[122:123], v[106:107], v[122:123], 0x3ec71dee623fde64
	v_fmamk_f64 v[84:85], v[86:87], 0xbda907db46cc5e42, v[28:29]
	v_ldexp_f64 v[132:133], 1.0, v161
	v_fmaak_f64 v[122:123], v[106:107], v[122:123], 0x3efa01997c89e6b0
	s_delay_alu instid0(VALU_DEP_3) | instskip(NEXT) | instid1(VALU_DEP_2)
	v_fmaak_f64 v[84:85], v[86:87], v[84:85], 0xbe927e4fa17f65f6
	v_fmaak_f64 v[122:123], v[106:107], v[122:123], 0x3f2a01a014761f6e
	s_delay_alu instid0(VALU_DEP_2) | instskip(NEXT) | instid1(VALU_DEP_2)
	v_fmaak_f64 v[84:85], v[86:87], v[84:85], 0x3efa01a019f4ec90
	v_fmaak_f64 v[122:123], v[106:107], v[122:123], 0x3f56c16c1852b7b0
	s_delay_alu instid0(VALU_DEP_2) | instskip(SKIP_1) | instid1(VALU_DEP_3)
	v_fmaak_f64 v[84:85], v[86:87], v[84:85], 0xbf56c16c16c16967
	v_add_f64_e64 v[50:51], v[50:51], -v[76:77]
	v_fmaak_f64 v[122:123], v[106:107], v[122:123], 0x3f81111111122322
	s_delay_alu instid0(VALU_DEP_3)
	v_fmaak_f64 v[84:85], v[86:87], v[84:85], 0x3fa5555555555555
	v_add_f64_e32 v[124:125], v[124:125], v[128:129]
	v_mul_f64_e64 v[144:145], v[54:55], -v[120:121]
	v_cndmask_b32_e64 v133, v133, 0x7fe00000, s2
	v_fmaak_f64 v[122:123], v[106:107], v[122:123], 0x3fa55555555502a1
	v_cndmask_b32_e64 v132, v132, 0, s2
	s_delay_alu instid0(VALU_DEP_2) | instskip(NEXT) | instid1(VALU_DEP_1)
	v_fmaak_f64 v[122:123], v[106:107], v[122:123], 0x3fc5555555555511
	v_fmaak_f64 v[122:123], v[106:107], v[122:123], 0x3fe000000000000b
	v_fmac_f64_e32 v[134:135], v[144:145], v[140:141]
	s_delay_alu instid0(VALU_DEP_1) | instskip(SKIP_3) | instid1(VALU_DEP_2)
	v_fma_f64 v[164:165], v[120:121], v[134:135], -v[60:61]
	v_add_f64_e64 v[60:61], -v[66:67], 1.0
	v_fmamk_f64 v[120:121], v[106:107], 0x3e21f32ea9d67f34, v[26:27]
	v_mul_f64_e32 v[134:135], v[86:87], v[86:87]
	v_fmaak_f64 v[120:121], v[106:107], v[120:121], 0x3e927e500e0ac05b
	s_delay_alu instid0(VALU_DEP_1) | instskip(NEXT) | instid1(VALU_DEP_1)
	v_fmaak_f64 v[120:121], v[106:107], v[120:121], 0x3ec71de01b889c29
	v_fmaak_f64 v[118:119], v[106:107], v[120:121], 0x3efa01a0197bcfd8
	v_mul_f64_e32 v[120:121], 0x3ff71547652b82fe, v[10:11]
	s_delay_alu instid0(VALU_DEP_2) | instskip(SKIP_3) | instid1(VALU_DEP_4)
	v_fmaak_f64 v[118:119], v[106:107], v[118:119], 0x3f2a01a01ac1a723
	v_fmac_f64_e32 v[164:165], 0xbfc5555555555555, v[144:145]
	v_add_f64_e64 v[60:61], v[60:61], -v[138:139]
	v_add_f64_e64 v[144:145], v[78:79], -v[104:105]
	v_fmaak_f64 v[118:119], v[106:107], v[118:119], 0x3f56c16c16c18931
	s_delay_alu instid0(VALU_DEP_1) | instskip(NEXT) | instid1(VALU_DEP_1)
	v_fmaak_f64 v[118:119], v[106:107], v[118:119], 0x3f81111111110056
	v_fmaak_f64 v[118:119], v[106:107], v[118:119], 0x3fa5555555555552
	v_rndne_f64_e32 v[120:121], v[120:121]
	s_delay_alu instid0(VALU_DEP_2) | instskip(SKIP_1) | instid1(VALU_DEP_2)
	v_fmaak_f64 v[118:119], v[106:107], v[118:119], 0x3fc5555555555557
	v_fma_f64 v[60:61], v[38:39], -v[44:45], v[60:61]
	v_fma_f64 v[118:119], v[106:107], v[118:119], 0.5
	s_delay_alu instid0(VALU_DEP_4) | instskip(SKIP_1) | instid1(VALU_DEP_4)
	v_cvt_i32_f64_e32 v166, v[120:121]
	v_cmp_eq_f64_e64 s3, 0x40900000, v[120:121]
	v_fmac_f64_e32 v[60:61], v[134:135], v[84:85]
	v_fmamk_f64 v[84:85], v[120:121], 0xbfe62e42fefa39ef, v[10:11]
	v_fma_f64 v[134:135], v[106:107], v[122:123], 1.0
	v_mul_f64_e32 v[118:119], v[106:107], v[118:119]
	v_add_f64_e32 v[122:123], -1.0, v[132:133]
	s_delay_alu instid0(VALU_DEP_4) | instskip(SKIP_3) | instid1(VALU_DEP_4)
	v_fmac_f64_e32 v[84:85], 0xbc7abc9e3b39803f, v[120:121]
	v_add_f64_e32 v[60:61], v[66:67], v[60:61]
	v_fma_f64 v[134:135], v[106:107], v[134:135], 1.0
	v_fmac_f64_e32 v[106:107], v[106:107], v[118:119]
	v_fmamk_f64 v[118:119], v[84:85], 0x3e21f32ea9d67f34, v[26:27]
	s_delay_alu instid0(VALU_DEP_1) | instskip(NEXT) | instid1(VALU_DEP_1)
	v_fmaak_f64 v[118:119], v[84:85], v[118:119], 0x3e927e500e0ac05b
	v_fmaak_f64 v[118:119], v[84:85], v[118:119], 0x3ec71de01b889c29
	s_delay_alu instid0(VALU_DEP_1) | instskip(SKIP_1) | instid1(VALU_DEP_2)
	v_fmaak_f64 v[118:119], v[84:85], v[118:119], 0x3efa01a0197bcfd8
	v_fmac_f64_e32 v[122:123], v[132:133], v[106:107]
	v_fmaak_f64 v[118:119], v[84:85], v[118:119], 0x3f2a01a01ac1a723
	v_fmamk_f64 v[106:107], v[84:85], 0x3e5ade156a5dcb37, v[24:25]
	v_ldexp_f64 v[132:133], 1.0, v166
	s_delay_alu instid0(VALU_DEP_3) | instskip(NEXT) | instid1(VALU_DEP_3)
	v_fmaak_f64 v[118:119], v[84:85], v[118:119], 0x3f56c16c16c18931
	v_fmaak_f64 v[106:107], v[84:85], v[106:107], 0x3ec71dee623fde64
	s_delay_alu instid0(VALU_DEP_2) | instskip(NEXT) | instid1(VALU_DEP_2)
	v_fmaak_f64 v[118:119], v[84:85], v[118:119], 0x3f81111111110056
	v_fmaak_f64 v[106:107], v[84:85], v[106:107], 0x3efa01997c89e6b0
	s_delay_alu instid0(VALU_DEP_2) | instskip(NEXT) | instid1(VALU_DEP_2)
	;; [unrolled: 3-line block ×3, first 2 shown]
	v_fmaak_f64 v[118:119], v[84:85], v[118:119], 0x3fc5555555555557
	v_fmaak_f64 v[106:107], v[84:85], v[106:107], 0x3f56c16c1852b7b0
	v_cndmask_b32_e64 v121, v133, 0x7fe00000, s3
	s_delay_alu instid0(VALU_DEP_3) | instskip(NEXT) | instid1(VALU_DEP_3)
	v_fma_f64 v[118:119], v[84:85], v[118:119], 0.5
	v_fmaak_f64 v[106:107], v[84:85], v[106:107], 0x3f81111111122322
	v_cndmask_b32_e64 v120, v132, 0, s3
	s_delay_alu instid0(VALU_DEP_1) | instskip(NEXT) | instid1(VALU_DEP_3)
	v_add_f64_e32 v[132:133], -1.0, v[120:121]
	v_fmaak_f64 v[106:107], v[84:85], v[106:107], 0x3fa55555555502a1
	s_delay_alu instid0(VALU_DEP_1) | instskip(NEXT) | instid1(VALU_DEP_1)
	v_fmaak_f64 v[106:107], v[84:85], v[106:107], 0x3fc5555555555511
	v_fmaak_f64 v[106:107], v[84:85], v[106:107], 0x3fe000000000000b
	s_delay_alu instid0(VALU_DEP_1) | instskip(SKIP_1) | instid1(VALU_DEP_2)
	v_fma_f64 v[106:107], v[84:85], v[106:107], 1.0
	v_mul_f64_e32 v[118:119], v[84:85], v[118:119]
	v_fma_f64 v[138:139], v[84:85], v[106:107], 1.0
	s_delay_alu instid0(VALU_DEP_2) | instskip(SKIP_1) | instid1(VALU_DEP_2)
	v_fmac_f64_e32 v[84:85], v[84:85], v[118:119]
	v_mul_f64_e32 v[118:119], v[36:37], v[36:37]
	v_fmac_f64_e32 v[132:133], v[120:121], v[84:85]
	v_mul_f64_e32 v[120:121], 0.5, v[40:41]
	s_delay_alu instid0(VALU_DEP_3) | instskip(SKIP_3) | instid1(VALU_DEP_3)
	v_mul_f64_e64 v[106:107], v[36:37], -v[118:119]
	v_fmamk_f64 v[84:85], v[118:119], 0x3de5e0b2f9a43bb8, v[30:31]
	v_mul_f64_e32 v[100:101], 0.5, v[118:119]
	v_fmamk_f64 v[76:77], v[118:119], 0xbda907db46cc5e42, v[28:29]
	v_fmaak_f64 v[84:85], v[118:119], v[84:85], 0x3ec71de3796cde01
	s_delay_alu instid0(VALU_DEP_2) | instskip(NEXT) | instid1(VALU_DEP_2)
	v_fmaak_f64 v[76:77], v[118:119], v[76:77], 0xbe927e4fa17f65f6
	v_fmaak_f64 v[84:85], v[118:119], v[84:85], 0xbf2a01a019e83e5c
	s_delay_alu instid0(VALU_DEP_2) | instskip(NEXT) | instid1(VALU_DEP_2)
	v_fmaak_f64 v[76:77], v[118:119], v[76:77], 0x3efa01a019f4ec90
	v_fmaak_f64 v[84:85], v[118:119], v[84:85], 0x3f81111111110bb3
	s_delay_alu instid0(VALU_DEP_2) | instskip(NEXT) | instid1(VALU_DEP_1)
	v_fmaak_f64 v[76:77], v[118:119], v[76:77], 0xbf56c16c16c16967
	v_fmaak_f64 v[76:77], v[118:119], v[76:77], 0x3fa5555555555555
	s_delay_alu instid0(VALU_DEP_3) | instskip(SKIP_1) | instid1(VALU_DEP_2)
	v_fmac_f64_e32 v[120:121], v[106:107], v[84:85]
	v_mul_f64_e32 v[84:85], 0x3ff71547652b82fe, v[6:7]
	v_fma_f64 v[120:121], v[118:119], v[120:121], -v[40:41]
	s_delay_alu instid0(VALU_DEP_2) | instskip(NEXT) | instid1(VALU_DEP_2)
	v_rndne_f64_e32 v[84:85], v[84:85]
	v_fmac_f64_e32 v[120:121], 0xbfc5555555555555, v[106:107]
	s_delay_alu instid0(VALU_DEP_2) | instskip(SKIP_2) | instid1(VALU_DEP_2)
	v_cvt_i32_f64_e32 v21, v[84:85]
	v_fmamk_f64 v[140:141], v[84:85], 0xbfe62e42fefa39ef, v[6:7]
	v_cmp_eq_f64_e32 vcc_lo, 0x40900000, v[84:85]
	v_fmac_f64_e32 v[140:141], 0xbc7abc9e3b39803f, v[84:85]
	v_fmamk_f64 v[84:85], v[86:87], 0x3de5e0b2f9a43bb8, v[30:31]
	s_delay_alu instid0(VALU_DEP_1) | instskip(NEXT) | instid1(VALU_DEP_1)
	v_fmaak_f64 v[84:85], v[86:87], v[84:85], 0x3ec71de3796cde01
	v_fmaak_f64 v[84:85], v[86:87], v[84:85], 0xbf2a01a019e83e5c
	s_delay_alu instid0(VALU_DEP_1) | instskip(SKIP_2) | instid1(VALU_DEP_2)
	v_fmaak_f64 v[148:149], v[86:87], v[84:85], 0x3f81111111110bb3
	v_mul_f64_e64 v[84:85], v[38:39], -v[86:87]
	v_ldexp_f64 v[146:147], 1.0, v21
	v_fmac_f64_e32 v[102:103], v[84:85], v[148:149]
	s_delay_alu instid0(VALU_DEP_2) | instskip(NEXT) | instid1(VALU_DEP_3)
	v_cndmask_b32_e64 v109, v147, 0x7fe00000, vcc_lo
	v_cndmask_b32_e64 v108, v146, 0, vcc_lo
	v_add_f64_e64 v[146:147], v[72:73], -v[116:117]
	v_fmamk_f64 v[72:73], v[140:141], 0x3e21f32ea9d67f34, v[26:27]
	v_add_f64_e32 v[148:149], v[98:99], v[110:111]
	v_mul_f64_e32 v[98:99], 0x3ff71547652b82fe, v[2:3]
	s_delay_alu instid0(VALU_DEP_3) | instskip(NEXT) | instid1(VALU_DEP_1)
	v_fmaak_f64 v[72:73], v[140:141], v[72:73], 0x3e927e500e0ac05b
	v_fmaak_f64 v[116:117], v[140:141], v[72:73], 0x3ec71de01b889c29
	v_add_f64_e64 v[72:73], -v[100:101], 1.0
	s_delay_alu instid0(VALU_DEP_2) | instskip(SKIP_2) | instid1(VALU_DEP_3)
	v_fmaak_f64 v[82:83], v[140:141], v[116:117], 0x3efa01a0197bcfd8
	v_add_f64_e64 v[116:117], v[54:55], -v[164:165]
	v_fmamk_f64 v[54:55], v[140:141], 0x3e5ade156a5dcb37, v[24:25]
	v_fmaak_f64 v[82:83], v[140:141], v[82:83], 0x3f2a01a01ac1a723
	v_fma_f64 v[86:87], v[86:87], v[102:103], -v[44:45]
	s_delay_alu instid0(VALU_DEP_3) | instskip(NEXT) | instid1(VALU_DEP_3)
	v_fmaak_f64 v[54:55], v[140:141], v[54:55], 0x3ec71dee623fde64
	v_fmaak_f64 v[82:83], v[140:141], v[82:83], 0x3f56c16c16c18931
	s_delay_alu instid0(VALU_DEP_2) | instskip(NEXT) | instid1(VALU_DEP_2)
	v_fmaak_f64 v[54:55], v[140:141], v[54:55], 0x3efa01997c89e6b0
	v_fmaak_f64 v[82:83], v[140:141], v[82:83], 0x3f81111111110056
	s_delay_alu instid0(VALU_DEP_2) | instskip(SKIP_1) | instid1(VALU_DEP_3)
	v_fmaak_f64 v[54:55], v[140:141], v[54:55], 0x3f2a01a014761f6e
	v_add_f64_e64 v[96:97], -v[72:73], 1.0
	v_fmaak_f64 v[82:83], v[140:141], v[82:83], 0x3fa5555555555552
	s_delay_alu instid0(VALU_DEP_3) | instskip(NEXT) | instid1(VALU_DEP_2)
	v_fmaak_f64 v[54:55], v[140:141], v[54:55], 0x3f56c16c1852b7b0
	v_fmaak_f64 v[82:83], v[140:141], v[82:83], 0x3fc5555555555557
	s_delay_alu instid0(VALU_DEP_2) | instskip(SKIP_2) | instid1(VALU_DEP_4)
	v_fmaak_f64 v[54:55], v[140:141], v[54:55], 0x3f81111111122322
	v_fmac_f64_e32 v[86:87], 0xbfc5555555555555, v[84:85]
	v_add_f64_e64 v[84:85], v[36:37], -v[120:121]
	v_fma_f64 v[110:111], v[140:141], v[82:83], 0.5
	v_rndne_f64_e32 v[82:83], v[98:99]
	v_fmaak_f64 v[54:55], v[140:141], v[54:55], 0x3fa55555555502a1
	v_mul_f64_e32 v[98:99], v[62:63], v[62:63]
	s_delay_alu instid0(VALU_DEP_2) | instskip(SKIP_1) | instid1(VALU_DEP_2)
	v_fmaak_f64 v[112:113], v[140:141], v[54:55], 0x3fc5555555555511
	v_mul_f64_e32 v[54:55], v[42:43], v[42:43]
	v_fmaak_f64 v[78:79], v[140:141], v[112:113], 0x3fe000000000000b
	v_add_f64_e64 v[96:97], v[96:97], -v[100:101]
	s_delay_alu instid0(VALU_DEP_2)
	v_fma_f64 v[104:105], v[140:141], v[78:79], 1.0
	v_add_f64_e64 v[66:67], v[38:39], -v[86:87]
	v_mul_f64_e32 v[162:163], v[140:141], v[110:111]
	v_add_f64_e64 v[110:111], v[52:53], -v[130:131]
	v_add_f64_e32 v[130:131], v[88:89], v[136:137]
	v_add_f64_e32 v[136:137], v[90:91], v[94:95]
	v_fmamk_f64 v[78:79], v[82:83], 0xbfe62e42fefa39ef, v[2:3]
	v_dual_mul_f64 v[112:113], 0.5, v[98:99] :: v_dual_bitop2_b32 v52, 1, v157 bitop3:0x40
	v_and_b32_e32 v88, 1, v153
	v_dual_lshlrev_b32 v89, 30, v157 :: v_dual_bitop2_b32 v157, 1, v155 bitop3:0x40
	s_delay_alu instid0(VALU_DEP_3)
	v_cmp_eq_u32_e64 s4, 0, v52
	v_and_b32_e32 v52, 1, v160
	v_fmac_f64_e32 v[78:79], 0xbc7abc9e3b39803f, v[82:83]
	v_ldexp_f64 v[94:95], v[134:135], v161
	v_add_f64_e32 v[134:135], v[122:123], v[122:123]
	v_cndmask_b32_e64 v148, v148, v146, s4
	v_cmp_eq_u32_e64 s5, 0, v52
	v_cndmask_b32_e64 v149, v149, v147, s4
	v_cmp_eq_u32_e64 s4, 0, v88
	v_add_f64_e32 v[52:53], -1.0, v[108:109]
	v_mul_f64_e32 v[100:101], 0.5, v[54:55]
	v_add_f64_e32 v[146:147], v[132:133], v[132:133]
	v_lshlrev_b32_e32 v160, 30, v160
	v_fma_f64 v[90:91], v[140:141], v[104:105], 1.0
	v_ldexp_f64 v[104:105], v[138:139], v166
	v_dual_cndmask_b32 v138, v142, v114, s5 :: v_dual_cndmask_b32 v139, v143, v115, s5
	v_cmp_eq_u32_e64 s5, 0, v157
	v_xor_b32_e32 v160, v160, v17
	v_dual_lshlrev_b32 v153, 30, v153 :: v_dual_bitop2_b32 v161, 1, v152 bitop3:0x40
	v_fma_f64 v[96:97], v[36:37], -v[40:41], v[96:97]
	v_fmac_f64_e32 v[140:141], v[140:141], v[162:163]
	v_dual_cndmask_b32 v142, v130, v116, s4 :: v_dual_bitop2_b32 v162, v89, v59 bitop3:0x14
	v_cndmask_b32_e64 v116, v131, v117, s4
	v_xor_b32_e32 v117, 0x80000000, v145
	v_cndmask_b32_e64 v136, v144, v136, s5
	v_add_f64_e64 v[92:93], -v[112:113], 1.0
	v_cmp_class_f64_e64 s4, v[16:17], 0x1f8
	v_bitop3_b32 v16, v149, v162, 0x80000000 bitop3:0x78
	v_cndmask_b32_e64 v137, v117, v137, s5
	v_cmp_nlt_f64_e64 s5, s[28:29], v[14:15]
	v_xor_b32_e32 v111, 0x80000000, v111
	v_fmamk_f64 v[128:129], v[78:79], 0x3e21f32ea9d67f34, v[26:27]
	v_cndmask_b32_e64 v15, 0x7ff80000, v16, s8
	v_dual_cndmask_b32 v17, v123, v135, s2 :: v_dual_cndmask_b32 v14, 0, v148, s8
	v_cmp_nlt_f64_e64 s8, 0x40900000, v[10:11]
	v_mul_f64_e32 v[88:89], v[64:65], v[64:65]
	v_fmamk_f64 v[130:131], v[54:55], 0x3de5e0b2f9a43bb8, v[30:31]
	v_fmaak_f64 v[114:115], v[78:79], v[128:129], 0x3e927e500e0ac05b
	v_add_f64_e64 v[58:59], -v[100:101], 1.0
	v_dual_cndmask_b32 v128, v133, v147, s3 :: v_dual_bitop2_b32 v133, 1, v154 bitop3:0x40
	v_cndmask_b32_e64 v95, 0x7ff00000, v95, s6
	s_and_b32 s6, s7, s6
	s_delay_alu instid0(VALU_DEP_2)
	v_cndmask_b32_e64 v147, 0x7ff00000, v128, s12
	v_fmac_f64_e32 v[52:53], v[108:109], v[140:141]
	v_cndmask_b32_e64 v140, v122, v134, s2
	v_cmp_eq_u32_e64 s2, 0, v161
	v_cndmask_b32_e64 v141, v132, v146, s3
	v_cmp_class_f64_e64 s3, v[12:13], 0x1f8
	v_fmamk_f64 v[134:135], v[54:55], 0xbda907db46cc5e42, v[28:29]
	v_add_f64_e64 v[122:123], -v[92:93], 1.0
	v_dual_cndmask_b32 v144, v110, v126, s2 :: v_dual_bitop2_b32 v110, v153, v49 bitop3:0x14
	v_cndmask_b32_e64 v145, v111, v127, s2
	v_cndmask_b32_e64 v143, 0x7ff00000, v17, s5
	v_fmaak_f64 v[16:17], v[78:79], v[114:115], 0x3ec71de01b889c29
	v_lshlrev_b32_e32 v114, 30, v154
	v_bitop3_b32 v132, v116, v110, 0x80000000 bitop3:0x78
	v_mul_f64_e32 v[116:117], 0.5, v[68:69]
	v_fmamk_f64 v[126:127], v[98:99], 0x3de5e0b2f9a43bb8, v[30:31]
	v_fmamk_f64 v[110:111], v[78:79], 0x3e5ade156a5dcb37, v[24:25]
	v_xor_b32_e32 v146, v114, v13
	v_fmaak_f64 v[16:17], v[78:79], v[16:17], 0x3efa01a0197bcfd8
	v_mul_f64_e64 v[114:115], v[62:63], -v[98:99]
	v_mul_f64_e32 v[12:13], v[118:119], v[118:119]
	v_add_f64_e64 v[10:11], -v[58:59], 1.0
	v_fmaak_f64 v[126:127], v[98:99], v[126:127], 0x3ec71de3796cde01
	v_fmaak_f64 v[110:111], v[78:79], v[110:111], 0x3ec71dee623fde64
	;; [unrolled: 1-line block ×4, first 2 shown]
	v_cmp_eq_u32_e64 s2, 0, v133
	v_mul_f64_e32 v[108:109], v[70:71], v[70:71]
	s_and_b32 s5, s9, s5
	v_fmaak_f64 v[126:127], v[98:99], v[126:127], 0xbf2a01a019e83e5c
	v_fmaak_f64 v[110:111], v[78:79], v[110:111], 0x3efa01997c89e6b0
	;; [unrolled: 1-line block ×4, first 2 shown]
	v_dual_cndmask_b32 v148, v124, v50, s2 :: v_dual_lshlrev_b32 v124, 30, v155
	v_cndmask_b32_e64 v149, v125, v51, s2
	v_fmaak_f64 v[102:103], v[98:99], v[126:127], 0x3f81111111110bb3
	v_fmaak_f64 v[44:45], v[78:79], v[110:111], 0x3f2a01a014761f6e
	v_mul_f64_e64 v[110:111], v[42:43], -v[54:55]
	v_fmaak_f64 v[16:17], v[78:79], v[16:17], 0x3f81111111110056
	v_mul_f64_e32 v[126:127], 0.5, v[46:47]
	v_bitop3_b32 v137, v137, v124, 0x80000000 bitop3:0x78
	v_mul_f64_e32 v[124:125], 0.5, v[74:75]
	v_cmp_eq_f64_e64 s2, 0x40900000, v[82:83]
	v_fmaak_f64 v[44:45], v[78:79], v[44:45], 0x3f56c16c1852b7b0
	v_cndmask_b32_e64 v105, 0x7ff00000, v105, s8
	v_fmaak_f64 v[16:17], v[78:79], v[16:17], 0x3fa5555555555552
	v_fmac_f64_e32 v[116:117], v[114:115], v[102:103]
	v_add_f64_e64 v[102:103], v[122:123], -v[112:113]
	s_delay_alu instid0(VALU_DEP_3)
	v_fmaak_f64 v[16:17], v[78:79], v[16:17], 0x3fc5555555555557
	v_cndmask_b32_e64 v112, 0, v142, s11
	v_cvt_i32_f64_e32 v142, v[82:83]
	v_cndmask_b32_e64 v113, 0x7ff80000, v132, s11
	v_fmac_f64_e32 v[96:97], v[12:13], v[76:77]
	v_add_f64_e64 v[50:51], v[10:11], -v[100:101]
	v_fmaak_f64 v[10:11], v[54:55], v[118:119], 0x3f81111111110bb3
	v_fma_f64 v[122:123], v[78:79], v[16:17], 0.5
	v_fmaak_f64 v[16:17], v[78:79], v[44:45], 0x3f81111111122322
	v_add_f64_e32 v[44:45], v[14:15], v[14:15]
	v_mul_f64_e64 v[118:119], v[64:65], -v[88:89]
	v_fmamk_f64 v[100:101], v[88:89], 0x3de5e0b2f9a43bb8, v[30:31]
	v_mul_f64_e32 v[128:129], 0.5, v[108:109]
	v_add_f64_e32 v[130:131], v[112:113], v[112:113]
	v_fmaak_f64 v[132:133], v[78:79], v[16:17], 0x3fa55555555502a1
	s_delay_alu instid0(VALU_DEP_4) | instskip(SKIP_2) | instid1(VALU_DEP_4)
	v_fmaak_f64 v[100:101], v[88:89], v[100:101], 0x3ec71de3796cde01
	v_fmac_f64_e32 v[126:127], v[110:111], v[10:11]
	v_fmamk_f64 v[10:11], v[98:99], 0xbda907db46cc5e42, v[28:29]
	v_fmaak_f64 v[12:13], v[78:79], v[132:133], 0x3fc5555555555511
	s_delay_alu instid0(VALU_DEP_4) | instskip(NEXT) | instid1(VALU_DEP_3)
	v_fmaak_f64 v[100:101], v[88:89], v[100:101], 0xbf2a01a019e83e5c
	v_fmaak_f64 v[132:133], v[98:99], v[10:11], 0xbe927e4fa17f65f6
	v_cndmask_b32_e64 v11, 0, v95, s7
	s_delay_alu instid0(VALU_DEP_4)
	v_fmaak_f64 v[12:13], v[78:79], v[12:13], 0x3fe000000000000b
	v_fma_f64 v[106:107], v[98:99], v[116:117], -v[68:69]
	v_fma_f64 v[68:69], v[62:63], -v[68:69], v[102:103]
	v_mul_f64_e32 v[102:103], v[98:99], v[98:99]
	v_cndmask_b32_e64 v10, 0, v94, s6
	v_ldexp_f64 v[116:117], 1.0, v142
	v_fmaak_f64 v[132:133], v[98:99], v[132:133], 0x3efa01a019f4ec90
	v_fma_f64 v[82:83], v[78:79], v[12:13], 1.0
	v_add_f64_e32 v[72:73], v[72:73], v[96:97]
	v_fma_f64 v[50:51], v[42:43], -v[46:47], v[50:51]
	v_mul_f64_e32 v[122:123], v[78:79], v[122:123]
	s_and_b32 s7, s13, s12
	v_mul_f64_e32 v[12:13], v[44:45], v[14:15]
	v_fmaak_f64 v[14:15], v[88:89], v[100:101], 0x3f81111111110bb3
	v_fmaak_f64 v[44:45], v[54:55], v[134:135], 0xbe927e4fa17f65f6
	;; [unrolled: 1-line block ×3, first 2 shown]
	v_add_f64_e64 v[16:17], -v[128:129], 1.0
	v_mul_f64_e32 v[94:95], v[130:131], v[112:113]
	v_mul_f64_e64 v[130:131], v[70:71], -v[108:109]
	v_mul_f64_e32 v[132:133], 0.5, v[80:81]
	v_fmac_f64_e32 v[124:125], v[118:119], v[14:15]
	v_fmaak_f64 v[44:45], v[54:55], v[44:45], 0x3efa01a019f4ec90
	v_fmaak_f64 v[14:15], v[98:99], v[100:101], 0x3fa5555555555555
	v_mul_f64_e32 v[134:135], v[54:55], v[54:55]
	s_and_b32 s6, s10, s8
	v_cmp_class_f64_e64 s8, v[56:57], 0x1f8
	v_cndmask_b32_e64 v56, 0, v148, s3
	v_fmac_f64_e32 v[106:107], 0xbfc5555555555555, v[114:115]
	v_bitop3_b32 v114, v139, v160, 0x80000000 bitop3:0x78
	v_fmac_f64_e32 v[68:69], v[102:103], v[14:15]
	v_fmaak_f64 v[14:15], v[54:55], v[44:45], 0xbf56c16c16c16967
	v_cndmask_b32_e64 v97, v117, 0x7fe00000, s2
	v_cndmask_b32_e64 v96, v116, 0, s2
	v_fma_f64 v[82:83], v[78:79], v[82:83], 1.0
	v_dual_lshlrev_b32 v1, 30, v1 :: v_dual_bitop2_b32 v102, 1, v1 bitop3:0x40
	v_fmac_f64_e32 v[78:79], v[78:79], v[122:123]
	s_delay_alu instid0(VALU_DEP_4) | instskip(SKIP_1) | instid1(VALU_DEP_4)
	v_add_f64_e32 v[44:45], -1.0, v[96:97]
	v_cndmask_b32_e64 v103, 0xbff00000, v147, s13
	v_xor_b32_e32 v1, v1, v35
	v_add_f64_e64 v[112:113], -v[16:17], 1.0
	v_add_f64_e64 v[62:63], v[62:63], -v[106:107]
	v_dual_add_f64 v[68:69], v[92:93], v[68:69] :: v_dual_cndmask_b32 v92, 0, v138, s4
	v_cndmask_b32_e64 v93, 0x7ff80000, v114, s4
	v_fmac_f64_e32 v[44:45], v[96:97], v[78:79]
	v_mul_f64_e32 v[48:49], 0.5, v[88:89]
	v_fmamk_f64 v[96:97], v[108:109], 0xbda907db46cc5e42, v[28:29]
	v_add_f64_e64 v[100:101], v[112:113], -v[128:129]
	s_delay_alu instid0(VALU_DEP_2) | instskip(NEXT) | instid1(VALU_DEP_4)
	v_fmaak_f64 v[96:97], v[108:109], v[96:97], 0xbe927e4fa17f65f6
	v_add_f64_e64 v[40:41], -v[48:49], 1.0
	s_delay_alu instid0(VALU_DEP_3) | instskip(NEXT) | instid1(VALU_DEP_2)
	v_fma_f64 v[100:101], v[70:71], -v[80:81], v[100:101]
	v_add_f64_e64 v[76:77], -v[40:41], 1.0
	s_delay_alu instid0(VALU_DEP_1) | instskip(SKIP_1) | instid1(VALU_DEP_1)
	v_add_f64_e64 v[48:49], v[76:77], -v[48:49]
	v_fmamk_f64 v[76:77], v[108:109], 0x3de5e0b2f9a43bb8, v[30:31]
	v_fmaak_f64 v[36:37], v[108:109], v[76:77], 0x3ec71de3796cde01
	v_fma_f64 v[76:77], v[54:55], v[126:127], -v[46:47]
	v_fmaak_f64 v[54:55], v[54:55], v[14:15], 0x3fa5555555555555
	v_cndmask_b32_e64 v46, 0, v104, s6
	v_cmp_class_f64_e64 s6, v[34:35], 0x1f8
	v_fmaak_f64 v[34:35], v[108:109], v[96:97], 0x3efa01a019f4ec90
	v_cndmask_b32_e64 v47, 0, v105, s10
	v_fmaak_f64 v[36:37], v[108:109], v[36:37], 0xbf2a01a019e83e5c
	v_cndmask_b32_e64 v14, 0, v136, s4
	v_fmac_f64_e32 v[50:51], v[134:135], v[54:55]
	v_ldexp_f64 v[54:55], v[90:91], v21
	v_mul_f64_e32 v[90:91], v[88:89], v[88:89]
	v_lshlrev_b32_e32 v21, 30, v152
	v_fmaak_f64 v[34:35], v[108:109], v[34:35], 0xbf56c16c16c16967
	v_fmaak_f64 v[98:99], v[108:109], v[36:37], 0x3f81111111110bb3
	v_cndmask_b32_e64 v36, 0, v140, s5
	v_cmp_eq_u32_e64 s5, 0, v102
	v_cndmask_b32_e64 v102, 0, v141, s7
	v_cmp_nlt_f64_e64 s7, 0x40900000, v[6:7]
	v_bitop3_b32 v21, v145, v21, 0x80000000 bitop3:0x78
	v_fmaak_f64 v[34:35], v[108:109], v[34:35], 0x3fa5555555555555
	v_fmac_f64_e32 v[132:133], v[130:131], v[98:99]
	v_fmamk_f64 v[98:99], v[88:89], 0xbda907db46cc5e42, v[28:29]
	v_cndmask_b32_e64 v73, v73, v85, s5
	v_fma_f64 v[48:49], v[64:65], -v[74:75], v[48:49]
	v_fma_f64 v[74:75], v[88:89], v[124:125], -v[74:75]
	v_cndmask_b32_e64 v72, v72, v84, s5
	v_cndmask_b32_e64 v105, 0x7ff80000, v21, s3
	v_bitop3_b32 v1, v73, v1, 0x80000000 bitop3:0x78
	v_fmaak_f64 v[98:99], v[88:89], v[98:99], 0xbe927e4fa17f65f6
	v_cndmask_b32_e64 v15, 0x7ff80000, v137, s4
	v_cmp_nlt_f64_e64 s4, s[28:29], v[6:7]
	v_cndmask_b32_e64 v104, 0, v144, s3
	v_fmac_f64_e32 v[76:77], 0xbfc5555555555555, v[110:111]
	v_cndmask_b32_e64 v37, 0xbff00000, v143, s9
	v_cmp_ngt_f64_e64 s9, 0xc0428000, v[2:3]
	v_fmaak_f64 v[98:99], v[88:89], v[98:99], 0x3efa01a019f4ec90
	v_cndmask_b32_e64 v72, 0, v72, s6
	v_cndmask_b32_e64 v73, 0x7ff80000, v1, s6
	v_cmp_ngt_f64_e64 s6, 0xc090cc00, v[6:7]
	v_bitop3_b32 v1, v149, v146, 0x80000000 bitop3:0x78
	v_add_f64_e32 v[50:51], v[58:59], v[50:51]
	v_ldexp_f64 v[58:59], v[82:83], v142
	v_fmaak_f64 v[78:79], v[88:89], v[98:99], 0xbf56c16c16c16967
	v_mul_f64_e32 v[98:99], v[108:109], v[108:109]
	v_cmp_class_f64_e64 s10, v[4:5], 0x1f8
	v_fma_f64 v[38:39], v[102:103], v[104:105], -v[94:95]
	s_delay_alu instid0(VALU_DEP_4)
	v_fmaak_f64 v[78:79], v[88:89], v[78:79], 0x3fa5555555555555
	v_cndmask_b32_e64 v21, 0x7ff00000, v55, s7
	v_and_b32_e32 v55, 1, v156
	v_fma_f64 v[80:81], v[108:109], v[132:133], -v[80:81]
	v_add_f64_e32 v[88:89], v[52:53], v[52:53]
	v_fmac_f64_e32 v[48:49], v[90:91], v[78:79]
	s_delay_alu instid0(VALU_DEP_4) | instskip(SKIP_2) | instid1(VALU_DEP_3)
	v_cmp_eq_u32_e64 s5, 0, v55
	v_fmac_f64_e32 v[74:75], 0xbfc5555555555555, v[118:119]
	v_add_f64_e32 v[78:79], v[72:73], v[72:73]
	v_dual_cndmask_b32 v55, v68, v62, s5 :: v_dual_lshlrev_b32 v62, 30, v156
	v_dual_add_f64 v[42:43], v[42:43], -v[76:77] :: v_dual_cndmask_b32 v63, v69, v63, s5
	v_cmp_ngt_f64_e64 s5, 0xc0428000, v[6:7]
	s_delay_alu instid0(VALU_DEP_3) | instskip(SKIP_3) | instid1(VALU_DEP_4)
	v_dual_cndmask_b32 v6, 0, v55, s8 :: v_dual_bitop2_b32 v62, v62, v57 bitop3:0x14
	v_cndmask_b32_e64 v57, 0x7ff80000, v1, s3
	v_dual_cndmask_b32 v55, 0, v21, s6 :: v_dual_bitop2_b32 v68, 1, v150 bitop3:0x40
	v_xor_b32_e32 v21, 0x80000000, v67
	v_bitop3_b32 v1, v63, v62, 0x80000000 bitop3:0x78
	s_and_b32 s6, s6, s7
	v_fmac_f64_e32 v[100:101], v[98:99], v[34:35]
	v_add_f64_e32 v[34:35], v[44:45], v[44:45]
	v_cmp_eq_u32_e64 s3, 0, v68
	v_cndmask_b32_e64 v7, 0x7ff80000, v1, s8
	v_cmp_class_f64_e64 s8, v[8:9], 0x1f8
	v_and_b32_e32 v8, 1, v151
	v_cmp_nlt_f64_e64 s7, s[28:29], v[2:3]
	v_dual_cndmask_b32 v1, v66, v60, s3 :: v_dual_cndmask_b32 v21, v21, v61, s3
	v_fmac_f64_e32 v[80:81], 0xbfc5555555555555, v[130:131]
	v_dual_cndmask_b32 v53, v53, v89 :: v_dual_cndmask_b32 v52, v52, v88
	v_cmp_nlt_f64_e32 vcc_lo, 0x40900000, v[2:3]
	v_add_f64_e32 v[48:49], v[40:41], v[48:49]
	v_add_f64_e32 v[40:41], v[6:7], v[6:7]
	v_add_f64_e64 v[62:63], v[64:65], -v[74:75]
	v_mul_f64_e32 v[64:65], v[78:79], v[72:73]
	v_cmp_eq_u32_e64 s3, 0, v8
	v_cndmask_b32_e64 v54, 0, v54, s6
	v_cmp_ngt_f64_e64 s6, 0xc090cc00, v[2:3]
	v_lshlrev_b32_e32 v66, 30, v150
	v_cndmask_b32_e64 v53, 0x7ff00000, v53, s4
	v_cndmask_b32_e64 v8, v50, v42, s3
	v_dual_cndmask_b32 v2, v51, v43, s3 :: v_dual_bitop2_b32 v42, 1, v158 bitop3:0x40
	s_delay_alu instid0(VALU_DEP_4) | instskip(SKIP_2) | instid1(VALU_DEP_3)
	v_bitop3_b32 v4, v21, v66, 0x80000000 bitop3:0x78
	s_and_b32 s4, s5, s4
	v_cndmask_b32_e64 v53, 0xbff00000, v53, s5
	v_cmp_eq_u32_e64 s3, 0, v42
	v_cndmask_b32_e64 v52, 0, v52, s4
	v_add_f64_e32 v[16:17], v[16:17], v[100:101]
	v_cndmask_b32_e64 v35, v45, v35, s2
	v_dual_lshlrev_b32 v45, 30, v151 :: v_dual_cndmask_b32 v8, 0, v8, s8
	s_delay_alu instid0(VALU_DEP_2) | instskip(NEXT) | instid1(VALU_DEP_2)
	v_cndmask_b32_e64 v35, 0x7ff00000, v35, s7
	v_xor_b32_e32 v3, v45, v9
	v_add_f64_e64 v[60:61], v[70:71], -v[80:81]
	s_delay_alu instid0(VALU_DEP_2)
	v_bitop3_b32 v9, v2, v3, 0x80000000 bitop3:0x78
	v_dual_mul_f64 v[42:43], v[40:41], v[6:7] :: v_dual_cndmask_b32 v2, 0, v1, s8
	v_cndmask_b32_e64 v3, 0x7ff80000, v4, s8
	v_and_b32_e32 v1, 1, v159
	v_cndmask_b32_e32 v59, 0x7ff00000, v59, vcc_lo
	v_cndmask_b32_e64 v45, v62, v48, s3
	s_and_b32 vcc_lo, s6, vcc_lo
	v_fma_f64 v[6:7], v[52:53], v[2:3], -v[64:65]
	v_xor_b32_e32 v2, 0x80000000, v63
	v_cmp_eq_u32_e64 s4, 0, v1
	v_dual_lshlrev_b32 v1, 30, v159 :: v_dual_lshlrev_b32 v3, 30, v158
	v_mul_f64_e32 v[40:41], v[46:47], v[56:57]
	s_delay_alu instid0(VALU_DEP_4) | instskip(NEXT) | instid1(VALU_DEP_3)
	v_dual_cndmask_b32 v2, v2, v49, s3 :: v_dual_cndmask_b32 v46, 0, v58, vcc_lo
	v_dual_cndmask_b32 v5, v44, v34, s2 :: v_dual_bitop2_b32 v1, v1, v5 bitop3:0x14
	s_and_b32 vcc_lo, s9, s7
	s_delay_alu instid0(VALU_DEP_2) | instskip(SKIP_2) | instid1(VALU_DEP_2)
	v_bitop3_b32 v2, v2, v3, 0x80000000 bitop3:0x78
	v_cndmask_b32_e64 v9, 0x7ff80000, v9, s8
	v_dual_cndmask_b32 v47, 0, v59, s6 :: v_dual_cndmask_b32 v34, 0, v45, s10
	v_mul_f64_e32 v[8:9], v[54:55], v[8:9]
	v_dual_cndmask_b32 v4, v16, v60, s4 :: v_dual_cndmask_b32 v16, v17, v61, s4
	v_cndmask_b32_e64 v17, 0xbff00000, v35, s9
	v_cndmask_b32_e64 v35, 0x7ff80000, v2, s10
	s_delay_alu instid0(VALU_DEP_3) | instskip(NEXT) | instid1(VALU_DEP_4)
	v_dual_fma_f64 v[2:3], v[36:37], v[14:15], -v[12:13] :: v_dual_cndmask_b32 v44, 0, v4, s10
	v_bitop3_b32 v1, v16, v1, 0x80000000 bitop3:0x78
	v_cndmask_b32_e32 v16, 0, v5, vcc_lo
	v_mul_f64_e32 v[4:5], v[10:11], v[92:93]
	v_lshlrev_b64_e32 v[14:15], 2, v[32:33]
	s_delay_alu instid0(VALU_DEP_4) | instskip(NEXT) | instid1(VALU_DEP_4)
	v_cndmask_b32_e64 v45, 0x7ff80000, v1, s10
	v_fma_f64 v[10:11], v[16:17], v[34:35], -v[42:43]
	v_add_nc_u64_e32 v[16:17], s[36:37], v[22:23]
	s_add_nc_u64 s[36:37], s[36:37], s[34:35]
	s_clause 0x1
	global_store_b128 v[16:17], v[6:9], off
	global_store_b128 v[16:17], v[38:41], off offset:16
	v_mul_f64_e32 v[12:13], v[46:47], v[44:45]
	v_cmp_ge_i64_e32 vcc_lo, v[14:15], v[18:19]
	s_clause 0x1
	global_store_b128 v[16:17], v[2:5], off offset:32
	global_store_b128 v[16:17], v[10:13], off offset:48
	s_or_b32 s38, vcc_lo, s38
	s_wait_xcnt 0x0
	s_and_not1_b32 exec_lo, exec_lo, s38
	s_cbranch_execz .LBB143_52
.LBB143_4:                              ; =>This Inner Loop Header: Depth=1
	v_add_nc_u64_e32 v[34:35], s[30:31], v[22:23]
                                        ; implicit-def: $vgpr1
                                        ; implicit-def: $vgpr36_vgpr37
                                        ; implicit-def: $vgpr40_vgpr41
	s_clause 0x3
	global_load_b128 v[6:9], v[34:35], off
	global_load_b128 v[10:13], v[34:35], off offset:16
	global_load_b128 v[2:5], v[34:35], off offset:48
	;; [unrolled: 1-line block ×3, first 2 shown]
	s_wait_loadcnt 0x3
	s_wait_xcnt 0x0
	v_mul_f64_e32 v[34:35], 0.5, v[8:9]
	s_delay_alu instid0(VALU_DEP_1) | instskip(SKIP_1) | instid1(SALU_CYCLE_1)
	v_cmp_ngt_f64_e64 s2, 0x41d00000, |v[34:35]|
	s_and_saveexec_b32 s3, s2
	s_xor_b32 s2, exec_lo, s3
	s_cbranch_execz .LBB143_6
; %bb.5:                                ;   in Loop: Header=BB143_4 Depth=1
	v_ldexp_f64 v[36:37], |v[34:35]|, 0xffffff80
	v_cmp_le_f64_e64 vcc_lo, 0x7b000000, |v[34:35]|
	v_trig_preop_f64 v[38:39], |v[34:35]|, 0
	v_and_b32_e32 v1, 0x7fffffff, v35
	v_trig_preop_f64 v[40:41], |v[34:35]|, 1
	v_trig_preop_f64 v[50:51], |v[34:35]|, 2
	s_delay_alu instid0(VALU_DEP_3) | instskip(NEXT) | instid1(VALU_DEP_1)
	v_dual_cndmask_b32 v37, v1, v37 :: v_dual_cndmask_b32 v36, v34, v36
	v_mul_f64_e32 v[42:43], v[38:39], v[36:37]
	s_delay_alu instid0(VALU_DEP_4) | instskip(NEXT) | instid1(VALU_DEP_4)
	v_mul_f64_e32 v[44:45], v[40:41], v[36:37]
	v_mul_f64_e32 v[56:57], v[50:51], v[36:37]
	s_delay_alu instid0(VALU_DEP_3) | instskip(NEXT) | instid1(VALU_DEP_3)
	v_fma_f64 v[38:39], v[38:39], v[36:37], -v[42:43]
	v_fma_f64 v[40:41], v[40:41], v[36:37], -v[44:45]
	s_delay_alu instid0(VALU_DEP_3) | instskip(NEXT) | instid1(VALU_DEP_3)
	v_fma_f64 v[36:37], v[50:51], v[36:37], -v[56:57]
	v_add_f64_e32 v[46:47], v[44:45], v[38:39]
	s_delay_alu instid0(VALU_DEP_1) | instskip(SKIP_1) | instid1(VALU_DEP_2)
	v_add_f64_e64 v[48:49], v[46:47], -v[44:45]
	v_add_f64_e32 v[54:55], v[42:43], v[46:47]
	v_add_f64_e64 v[52:53], v[46:47], -v[48:49]
	v_add_f64_e64 v[38:39], v[38:39], -v[48:49]
	s_delay_alu instid0(VALU_DEP_3) | instskip(NEXT) | instid1(VALU_DEP_3)
	v_ldexp_f64 v[48:49], v[54:55], -2
	v_add_f64_e64 v[44:45], v[44:45], -v[52:53]
	v_add_f64_e32 v[52:53], v[56:57], v[40:41]
	s_delay_alu instid0(VALU_DEP_3) | instskip(NEXT) | instid1(VALU_DEP_3)
	v_cmp_neq_f64_e64 vcc_lo, 0x7ff00000, |v[48:49]|
	v_add_f64_e32 v[38:39], v[38:39], v[44:45]
	v_fract_f64_e32 v[44:45], v[48:49]
	s_delay_alu instid0(VALU_DEP_1) | instskip(NEXT) | instid1(VALU_DEP_1)
	v_ldexp_f64 v[44:45], v[44:45], 2
	v_dual_add_f64 v[42:43], v[54:55], -v[42:43] :: v_dual_cndmask_b32 v44, 0, v44, vcc_lo
	s_delay_alu instid0(VALU_DEP_1) | instskip(SKIP_1) | instid1(VALU_DEP_1)
	v_dual_add_f64 v[42:43], v[46:47], -v[42:43] :: v_dual_cndmask_b32 v45, 0, v45, vcc_lo
	v_add_f64_e32 v[46:47], v[52:53], v[38:39]
	v_add_f64_e32 v[48:49], v[42:43], v[46:47]
	v_add_f64_e64 v[58:59], v[46:47], -v[52:53]
	s_delay_alu instid0(VALU_DEP_2) | instskip(NEXT) | instid1(VALU_DEP_2)
	v_add_f64_e32 v[54:55], v[48:49], v[44:45]
	v_add_f64_e64 v[64:65], v[46:47], -v[58:59]
	v_add_f64_e64 v[38:39], v[38:39], -v[58:59]
	;; [unrolled: 1-line block ×3, first 2 shown]
	s_delay_alu instid0(VALU_DEP_4) | instskip(SKIP_1) | instid1(VALU_DEP_3)
	v_cmp_gt_f64_e32 vcc_lo, 0, v[54:55]
	v_add_f64_e64 v[54:55], v[52:53], -v[56:57]
	v_add_f64_e64 v[42:43], v[46:47], -v[42:43]
	v_cndmask_b32_e64 v21, 0, 0x40100000, vcc_lo
	s_delay_alu instid0(VALU_DEP_3) | instskip(SKIP_2) | instid1(VALU_DEP_4)
	v_add_f64_e64 v[62:63], v[52:53], -v[54:55]
	v_add_f64_e64 v[40:41], v[40:41], -v[54:55]
	;; [unrolled: 1-line block ×3, first 2 shown]
	v_add_f64_e32 v[44:45], v[44:45], v[20:21]
	s_delay_alu instid0(VALU_DEP_4) | instskip(NEXT) | instid1(VALU_DEP_3)
	v_add_f64_e64 v[54:55], v[56:57], -v[62:63]
	v_add_f64_e32 v[38:39], v[38:39], v[52:53]
	s_delay_alu instid0(VALU_DEP_3) | instskip(NEXT) | instid1(VALU_DEP_3)
	v_add_f64_e32 v[60:61], v[48:49], v[44:45]
	v_add_f64_e32 v[40:41], v[40:41], v[54:55]
	s_delay_alu instid0(VALU_DEP_2) | instskip(NEXT) | instid1(VALU_DEP_2)
	v_cvt_i32_f64_e32 v1, v[60:61]
	v_add_f64_e32 v[38:39], v[40:41], v[38:39]
	s_delay_alu instid0(VALU_DEP_2) | instskip(NEXT) | instid1(VALU_DEP_2)
	v_cvt_f64_i32_e32 v[58:59], v1
	v_add_f64_e32 v[36:37], v[36:37], v[38:39]
	s_delay_alu instid0(VALU_DEP_2) | instskip(NEXT) | instid1(VALU_DEP_2)
	v_add_f64_e64 v[44:45], v[44:45], -v[58:59]
	v_add_f64_e32 v[36:37], v[42:43], v[36:37]
	s_delay_alu instid0(VALU_DEP_2) | instskip(NEXT) | instid1(VALU_DEP_1)
	v_add_f64_e32 v[40:41], v[48:49], v[44:45]
	v_add_f64_e64 v[38:39], v[40:41], -v[44:45]
	v_cmp_le_f64_e32 vcc_lo, 0.5, v[40:41]
	s_delay_alu instid0(VALU_DEP_2) | instskip(SKIP_2) | instid1(VALU_DEP_3)
	v_add_f64_e64 v[38:39], v[48:49], -v[38:39]
	v_cndmask_b32_e64 v21, 0, 0x3ff00000, vcc_lo
	v_add_co_ci_u32_e64 v1, null, 0, v1, vcc_lo
	v_add_f64_e32 v[36:37], v[36:37], v[38:39]
	s_delay_alu instid0(VALU_DEP_3) | instskip(NEXT) | instid1(VALU_DEP_1)
	v_add_f64_e64 v[38:39], v[40:41], -v[20:21]
	v_add_f64_e32 v[40:41], v[38:39], v[36:37]
	s_delay_alu instid0(VALU_DEP_1) | instskip(SKIP_1) | instid1(VALU_DEP_2)
	v_mul_f64_e32 v[42:43], 0x3ff921fb54442d18, v[40:41]
	v_add_f64_e64 v[38:39], v[40:41], -v[38:39]
	v_fma_f64 v[44:45], v[40:41], s[22:23], -v[42:43]
	s_delay_alu instid0(VALU_DEP_2) | instskip(NEXT) | instid1(VALU_DEP_2)
	v_add_f64_e64 v[36:37], v[36:37], -v[38:39]
	v_fmac_f64_e32 v[44:45], 0x3c91a62633145c07, v[40:41]
	s_delay_alu instid0(VALU_DEP_1) | instskip(NEXT) | instid1(VALU_DEP_1)
	v_fmac_f64_e32 v[44:45], 0x3ff921fb54442d18, v[36:37]
	v_add_f64_e32 v[36:37], v[42:43], v[44:45]
	s_delay_alu instid0(VALU_DEP_1) | instskip(NEXT) | instid1(VALU_DEP_1)
	v_add_f64_e64 v[38:39], v[36:37], -v[42:43]
	v_add_f64_e64 v[40:41], v[44:45], -v[38:39]
.LBB143_6:                              ;   in Loop: Header=BB143_4 Depth=1
	s_and_not1_saveexec_b32 s2, s2
	s_cbranch_execz .LBB143_8
; %bb.7:                                ;   in Loop: Header=BB143_4 Depth=1
	v_mul_f64_e64 v[36:37], |v[34:35]|, s[24:25]
	s_delay_alu instid0(VALU_DEP_1) | instskip(NEXT) | instid1(VALU_DEP_1)
	v_rndne_f64_e32 v[38:39], v[36:37]
	v_fma_f64 v[36:37], v[38:39], s[26:27], |v[34:35]|
	v_mul_f64_e32 v[40:41], 0xbc91a62633145c00, v[38:39]
	v_cvt_i32_f64_e32 v1, v[38:39]
	s_delay_alu instid0(VALU_DEP_3) | instskip(NEXT) | instid1(VALU_DEP_3)
	v_fmamk_f64 v[46:47], v[38:39], 0xbc91a62633145c00, v[36:37]
	v_add_f64_e32 v[42:43], v[36:37], v[40:41]
	s_delay_alu instid0(VALU_DEP_1) | instskip(NEXT) | instid1(VALU_DEP_3)
	v_add_f64_e64 v[44:45], v[36:37], -v[42:43]
	v_add_f64_e64 v[36:37], v[42:43], -v[46:47]
	s_delay_alu instid0(VALU_DEP_2) | instskip(SKIP_1) | instid1(VALU_DEP_2)
	v_add_f64_e32 v[42:43], v[44:45], v[40:41]
	v_fmamk_f64 v[40:41], v[38:39], 0x3c91a62633145c00, v[40:41]
	v_add_f64_e32 v[36:37], v[36:37], v[42:43]
	s_delay_alu instid0(VALU_DEP_1) | instskip(NEXT) | instid1(VALU_DEP_1)
	v_add_f64_e64 v[40:41], v[36:37], -v[40:41]
	v_fmac_f64_e32 v[40:41], 0xb97b839a252049c0, v[38:39]
	s_delay_alu instid0(VALU_DEP_1) | instskip(NEXT) | instid1(VALU_DEP_1)
	v_add_f64_e32 v[36:37], v[46:47], v[40:41]
	v_add_f64_e64 v[42:43], v[36:37], -v[46:47]
	s_delay_alu instid0(VALU_DEP_1)
	v_add_f64_e64 v[40:41], v[40:41], -v[42:43]
.LBB143_8:                              ;   in Loop: Header=BB143_4 Depth=1
	s_or_b32 exec_lo, exec_lo, s2
	v_cmp_ngt_f64_e64 s2, 0x41d00000, |v[8:9]|
                                        ; implicit-def: $vgpr150
                                        ; implicit-def: $vgpr38_vgpr39
                                        ; implicit-def: $vgpr44_vgpr45
	s_and_saveexec_b32 s3, s2
	s_delay_alu instid0(SALU_CYCLE_1)
	s_xor_b32 s3, exec_lo, s3
	s_cbranch_execz .LBB143_10
; %bb.9:                                ;   in Loop: Header=BB143_4 Depth=1
	v_ldexp_f64 v[38:39], |v[8:9]|, 0xffffff80
	v_cmp_le_f64_e64 vcc_lo, 0x7b000000, |v[8:9]|
	v_trig_preop_f64 v[42:43], |v[8:9]|, 0
	v_and_b32_e32 v21, 0x7fffffff, v9
	v_trig_preop_f64 v[44:45], |v[8:9]|, 1
	v_trig_preop_f64 v[54:55], |v[8:9]|, 2
	s_delay_alu instid0(VALU_DEP_3) | instskip(NEXT) | instid1(VALU_DEP_1)
	v_dual_cndmask_b32 v39, v21, v39 :: v_dual_cndmask_b32 v38, v8, v38
	v_mul_f64_e32 v[46:47], v[42:43], v[38:39]
	s_delay_alu instid0(VALU_DEP_4) | instskip(NEXT) | instid1(VALU_DEP_4)
	v_mul_f64_e32 v[48:49], v[44:45], v[38:39]
	v_mul_f64_e32 v[60:61], v[54:55], v[38:39]
	s_delay_alu instid0(VALU_DEP_3) | instskip(NEXT) | instid1(VALU_DEP_3)
	v_fma_f64 v[42:43], v[42:43], v[38:39], -v[46:47]
	v_fma_f64 v[44:45], v[44:45], v[38:39], -v[48:49]
	s_delay_alu instid0(VALU_DEP_3) | instskip(NEXT) | instid1(VALU_DEP_3)
	v_fma_f64 v[38:39], v[54:55], v[38:39], -v[60:61]
	v_add_f64_e32 v[50:51], v[48:49], v[42:43]
	s_delay_alu instid0(VALU_DEP_1) | instskip(SKIP_1) | instid1(VALU_DEP_2)
	v_add_f64_e64 v[52:53], v[50:51], -v[48:49]
	v_add_f64_e32 v[58:59], v[46:47], v[50:51]
	v_add_f64_e64 v[56:57], v[50:51], -v[52:53]
	v_add_f64_e64 v[42:43], v[42:43], -v[52:53]
	s_delay_alu instid0(VALU_DEP_3) | instskip(NEXT) | instid1(VALU_DEP_3)
	v_ldexp_f64 v[52:53], v[58:59], -2
	v_add_f64_e64 v[48:49], v[48:49], -v[56:57]
	v_add_f64_e32 v[56:57], v[60:61], v[44:45]
	s_delay_alu instid0(VALU_DEP_3) | instskip(NEXT) | instid1(VALU_DEP_3)
	v_cmp_neq_f64_e64 vcc_lo, 0x7ff00000, |v[52:53]|
	v_add_f64_e32 v[42:43], v[42:43], v[48:49]
	v_fract_f64_e32 v[48:49], v[52:53]
	s_delay_alu instid0(VALU_DEP_1) | instskip(NEXT) | instid1(VALU_DEP_1)
	v_ldexp_f64 v[48:49], v[48:49], 2
	v_dual_add_f64 v[46:47], v[58:59], -v[46:47] :: v_dual_cndmask_b32 v49, 0, v49, vcc_lo
	s_delay_alu instid0(VALU_DEP_1) | instskip(SKIP_1) | instid1(VALU_DEP_1)
	v_dual_add_f64 v[46:47], v[50:51], -v[46:47] :: v_dual_cndmask_b32 v48, 0, v48, vcc_lo
	v_add_f64_e32 v[50:51], v[56:57], v[42:43]
	v_add_f64_e32 v[52:53], v[46:47], v[50:51]
	v_add_f64_e64 v[62:63], v[50:51], -v[56:57]
	s_delay_alu instid0(VALU_DEP_2) | instskip(NEXT) | instid1(VALU_DEP_2)
	v_add_f64_e32 v[58:59], v[52:53], v[48:49]
	v_add_f64_e64 v[68:69], v[50:51], -v[62:63]
	v_add_f64_e64 v[42:43], v[42:43], -v[62:63]
	;; [unrolled: 1-line block ×3, first 2 shown]
	s_delay_alu instid0(VALU_DEP_4) | instskip(SKIP_1) | instid1(VALU_DEP_3)
	v_cmp_gt_f64_e32 vcc_lo, 0, v[58:59]
	v_add_f64_e64 v[58:59], v[56:57], -v[60:61]
	v_add_f64_e64 v[46:47], v[50:51], -v[46:47]
	v_cndmask_b32_e64 v21, 0, 0x40100000, vcc_lo
	s_delay_alu instid0(VALU_DEP_3) | instskip(SKIP_2) | instid1(VALU_DEP_4)
	v_add_f64_e64 v[66:67], v[56:57], -v[58:59]
	v_add_f64_e64 v[44:45], v[44:45], -v[58:59]
	;; [unrolled: 1-line block ×3, first 2 shown]
	v_add_f64_e32 v[48:49], v[48:49], v[20:21]
	s_delay_alu instid0(VALU_DEP_4) | instskip(NEXT) | instid1(VALU_DEP_3)
	v_add_f64_e64 v[58:59], v[60:61], -v[66:67]
	v_add_f64_e32 v[42:43], v[42:43], v[56:57]
	s_delay_alu instid0(VALU_DEP_3) | instskip(NEXT) | instid1(VALU_DEP_3)
	v_add_f64_e32 v[64:65], v[52:53], v[48:49]
	v_add_f64_e32 v[44:45], v[44:45], v[58:59]
	s_delay_alu instid0(VALU_DEP_2) | instskip(NEXT) | instid1(VALU_DEP_2)
	v_cvt_i32_f64_e32 v21, v[64:65]
	v_add_f64_e32 v[42:43], v[44:45], v[42:43]
	s_delay_alu instid0(VALU_DEP_2) | instskip(NEXT) | instid1(VALU_DEP_2)
	v_cvt_f64_i32_e32 v[62:63], v21
	v_add_f64_e32 v[38:39], v[38:39], v[42:43]
	s_delay_alu instid0(VALU_DEP_2) | instskip(NEXT) | instid1(VALU_DEP_2)
	v_add_f64_e64 v[48:49], v[48:49], -v[62:63]
	v_add_f64_e32 v[38:39], v[46:47], v[38:39]
	s_delay_alu instid0(VALU_DEP_2) | instskip(NEXT) | instid1(VALU_DEP_1)
	v_add_f64_e32 v[44:45], v[52:53], v[48:49]
	v_add_f64_e64 v[42:43], v[44:45], -v[48:49]
	v_cmp_le_f64_e32 vcc_lo, 0.5, v[44:45]
	s_delay_alu instid0(VALU_DEP_2) | instskip(SKIP_2) | instid1(VALU_DEP_3)
	v_add_f64_e64 v[42:43], v[52:53], -v[42:43]
	v_add_co_ci_u32_e64 v150, null, 0, v21, vcc_lo
	v_cndmask_b32_e64 v21, 0, 0x3ff00000, vcc_lo
	v_add_f64_e32 v[38:39], v[38:39], v[42:43]
	s_delay_alu instid0(VALU_DEP_2) | instskip(NEXT) | instid1(VALU_DEP_1)
	v_add_f64_e64 v[42:43], v[44:45], -v[20:21]
	v_add_f64_e32 v[44:45], v[42:43], v[38:39]
	s_delay_alu instid0(VALU_DEP_1) | instskip(SKIP_1) | instid1(VALU_DEP_2)
	v_mul_f64_e32 v[46:47], 0x3ff921fb54442d18, v[44:45]
	v_add_f64_e64 v[42:43], v[44:45], -v[42:43]
	v_fma_f64 v[48:49], v[44:45], s[22:23], -v[46:47]
	s_delay_alu instid0(VALU_DEP_2) | instskip(NEXT) | instid1(VALU_DEP_2)
	v_add_f64_e64 v[38:39], v[38:39], -v[42:43]
	v_fmac_f64_e32 v[48:49], 0x3c91a62633145c07, v[44:45]
	s_delay_alu instid0(VALU_DEP_1) | instskip(NEXT) | instid1(VALU_DEP_1)
	v_fmac_f64_e32 v[48:49], 0x3ff921fb54442d18, v[38:39]
	v_add_f64_e32 v[38:39], v[46:47], v[48:49]
	s_delay_alu instid0(VALU_DEP_1) | instskip(NEXT) | instid1(VALU_DEP_1)
	v_add_f64_e64 v[42:43], v[38:39], -v[46:47]
	v_add_f64_e64 v[44:45], v[48:49], -v[42:43]
	s_and_not1_saveexec_b32 s3, s3
	s_cbranch_execz .LBB143_12
	s_branch .LBB143_11
.LBB143_10:                             ;   in Loop: Header=BB143_4 Depth=1
	s_and_not1_saveexec_b32 s3, s3
	s_cbranch_execz .LBB143_12
.LBB143_11:                             ;   in Loop: Header=BB143_4 Depth=1
	v_mul_f64_e64 v[38:39], |v[8:9]|, s[24:25]
	s_delay_alu instid0(VALU_DEP_1) | instskip(NEXT) | instid1(VALU_DEP_1)
	v_rndne_f64_e32 v[42:43], v[38:39]
	v_fma_f64 v[38:39], v[42:43], s[26:27], |v[8:9]|
	v_mul_f64_e32 v[44:45], 0xbc91a62633145c00, v[42:43]
	v_cvt_i32_f64_e32 v150, v[42:43]
	s_delay_alu instid0(VALU_DEP_3) | instskip(NEXT) | instid1(VALU_DEP_3)
	v_fmamk_f64 v[50:51], v[42:43], 0xbc91a62633145c00, v[38:39]
	v_add_f64_e32 v[46:47], v[38:39], v[44:45]
	s_delay_alu instid0(VALU_DEP_1) | instskip(NEXT) | instid1(VALU_DEP_3)
	v_add_f64_e64 v[48:49], v[38:39], -v[46:47]
	v_add_f64_e64 v[38:39], v[46:47], -v[50:51]
	s_delay_alu instid0(VALU_DEP_2) | instskip(SKIP_1) | instid1(VALU_DEP_2)
	v_add_f64_e32 v[46:47], v[48:49], v[44:45]
	v_fmamk_f64 v[44:45], v[42:43], 0x3c91a62633145c00, v[44:45]
	v_add_f64_e32 v[38:39], v[38:39], v[46:47]
	s_delay_alu instid0(VALU_DEP_1) | instskip(NEXT) | instid1(VALU_DEP_1)
	v_add_f64_e64 v[44:45], v[38:39], -v[44:45]
	v_fmac_f64_e32 v[44:45], 0xb97b839a252049c0, v[42:43]
	s_delay_alu instid0(VALU_DEP_1) | instskip(NEXT) | instid1(VALU_DEP_1)
	v_add_f64_e32 v[38:39], v[50:51], v[44:45]
	v_add_f64_e64 v[46:47], v[38:39], -v[50:51]
	s_delay_alu instid0(VALU_DEP_1)
	v_add_f64_e64 v[44:45], v[44:45], -v[46:47]
.LBB143_12:                             ;   in Loop: Header=BB143_4 Depth=1
	s_or_b32 exec_lo, exec_lo, s3
                                        ; implicit-def: $vgpr151
                                        ; implicit-def: $vgpr42_vgpr43
                                        ; implicit-def: $vgpr46_vgpr47
	s_and_saveexec_b32 s3, s2
	s_delay_alu instid0(SALU_CYCLE_1)
	s_xor_b32 s2, exec_lo, s3
	s_cbranch_execz .LBB143_14
; %bb.13:                               ;   in Loop: Header=BB143_4 Depth=1
	v_ldexp_f64 v[42:43], |v[8:9]|, 0xffffff80
	v_cmp_le_f64_e64 vcc_lo, 0x7b000000, |v[8:9]|
	v_trig_preop_f64 v[46:47], |v[8:9]|, 0
	v_and_b32_e32 v21, 0x7fffffff, v9
	v_trig_preop_f64 v[48:49], |v[8:9]|, 1
	v_trig_preop_f64 v[58:59], |v[8:9]|, 2
	s_delay_alu instid0(VALU_DEP_3) | instskip(NEXT) | instid1(VALU_DEP_1)
	v_dual_cndmask_b32 v43, v21, v43 :: v_dual_cndmask_b32 v42, v8, v42
	v_mul_f64_e32 v[50:51], v[46:47], v[42:43]
	s_delay_alu instid0(VALU_DEP_4) | instskip(NEXT) | instid1(VALU_DEP_4)
	v_mul_f64_e32 v[52:53], v[48:49], v[42:43]
	v_mul_f64_e32 v[64:65], v[58:59], v[42:43]
	s_delay_alu instid0(VALU_DEP_3) | instskip(NEXT) | instid1(VALU_DEP_3)
	v_fma_f64 v[46:47], v[46:47], v[42:43], -v[50:51]
	v_fma_f64 v[48:49], v[48:49], v[42:43], -v[52:53]
	s_delay_alu instid0(VALU_DEP_3) | instskip(NEXT) | instid1(VALU_DEP_3)
	v_fma_f64 v[42:43], v[58:59], v[42:43], -v[64:65]
	v_add_f64_e32 v[54:55], v[52:53], v[46:47]
	s_delay_alu instid0(VALU_DEP_1) | instskip(SKIP_1) | instid1(VALU_DEP_2)
	v_add_f64_e64 v[56:57], v[54:55], -v[52:53]
	v_add_f64_e32 v[62:63], v[50:51], v[54:55]
	v_add_f64_e64 v[60:61], v[54:55], -v[56:57]
	v_add_f64_e64 v[46:47], v[46:47], -v[56:57]
	s_delay_alu instid0(VALU_DEP_3) | instskip(NEXT) | instid1(VALU_DEP_3)
	v_ldexp_f64 v[56:57], v[62:63], -2
	v_add_f64_e64 v[52:53], v[52:53], -v[60:61]
	v_add_f64_e32 v[60:61], v[64:65], v[48:49]
	s_delay_alu instid0(VALU_DEP_3) | instskip(NEXT) | instid1(VALU_DEP_3)
	v_cmp_neq_f64_e64 vcc_lo, 0x7ff00000, |v[56:57]|
	v_add_f64_e32 v[46:47], v[46:47], v[52:53]
	v_fract_f64_e32 v[52:53], v[56:57]
	s_delay_alu instid0(VALU_DEP_1) | instskip(NEXT) | instid1(VALU_DEP_1)
	v_ldexp_f64 v[52:53], v[52:53], 2
	v_dual_add_f64 v[50:51], v[62:63], -v[50:51] :: v_dual_cndmask_b32 v53, 0, v53, vcc_lo
	s_delay_alu instid0(VALU_DEP_1) | instskip(SKIP_1) | instid1(VALU_DEP_1)
	v_dual_add_f64 v[50:51], v[54:55], -v[50:51] :: v_dual_cndmask_b32 v52, 0, v52, vcc_lo
	v_add_f64_e32 v[54:55], v[60:61], v[46:47]
	v_add_f64_e32 v[56:57], v[50:51], v[54:55]
	v_add_f64_e64 v[66:67], v[54:55], -v[60:61]
	s_delay_alu instid0(VALU_DEP_2) | instskip(NEXT) | instid1(VALU_DEP_2)
	v_add_f64_e32 v[62:63], v[56:57], v[52:53]
	v_add_f64_e64 v[72:73], v[54:55], -v[66:67]
	v_add_f64_e64 v[46:47], v[46:47], -v[66:67]
	;; [unrolled: 1-line block ×3, first 2 shown]
	s_delay_alu instid0(VALU_DEP_4) | instskip(SKIP_1) | instid1(VALU_DEP_3)
	v_cmp_gt_f64_e32 vcc_lo, 0, v[62:63]
	v_add_f64_e64 v[62:63], v[60:61], -v[64:65]
	v_add_f64_e64 v[50:51], v[54:55], -v[50:51]
	v_cndmask_b32_e64 v21, 0, 0x40100000, vcc_lo
	s_delay_alu instid0(VALU_DEP_3) | instskip(SKIP_2) | instid1(VALU_DEP_4)
	v_add_f64_e64 v[70:71], v[60:61], -v[62:63]
	v_add_f64_e64 v[48:49], v[48:49], -v[62:63]
	;; [unrolled: 1-line block ×3, first 2 shown]
	v_add_f64_e32 v[52:53], v[52:53], v[20:21]
	s_delay_alu instid0(VALU_DEP_4) | instskip(NEXT) | instid1(VALU_DEP_3)
	v_add_f64_e64 v[62:63], v[64:65], -v[70:71]
	v_add_f64_e32 v[46:47], v[46:47], v[60:61]
	s_delay_alu instid0(VALU_DEP_3) | instskip(NEXT) | instid1(VALU_DEP_3)
	v_add_f64_e32 v[68:69], v[56:57], v[52:53]
	v_add_f64_e32 v[48:49], v[48:49], v[62:63]
	s_delay_alu instid0(VALU_DEP_2) | instskip(NEXT) | instid1(VALU_DEP_2)
	v_cvt_i32_f64_e32 v21, v[68:69]
	v_add_f64_e32 v[46:47], v[48:49], v[46:47]
	s_delay_alu instid0(VALU_DEP_2) | instskip(NEXT) | instid1(VALU_DEP_2)
	v_cvt_f64_i32_e32 v[66:67], v21
	v_add_f64_e32 v[42:43], v[42:43], v[46:47]
	s_delay_alu instid0(VALU_DEP_2) | instskip(NEXT) | instid1(VALU_DEP_2)
	v_add_f64_e64 v[52:53], v[52:53], -v[66:67]
	v_add_f64_e32 v[42:43], v[50:51], v[42:43]
	s_delay_alu instid0(VALU_DEP_2) | instskip(NEXT) | instid1(VALU_DEP_1)
	v_add_f64_e32 v[48:49], v[56:57], v[52:53]
	v_add_f64_e64 v[46:47], v[48:49], -v[52:53]
	v_cmp_le_f64_e32 vcc_lo, 0.5, v[48:49]
	s_delay_alu instid0(VALU_DEP_2) | instskip(SKIP_2) | instid1(VALU_DEP_3)
	v_add_f64_e64 v[46:47], v[56:57], -v[46:47]
	v_add_co_ci_u32_e64 v151, null, 0, v21, vcc_lo
	v_cndmask_b32_e64 v21, 0, 0x3ff00000, vcc_lo
	v_add_f64_e32 v[42:43], v[42:43], v[46:47]
	s_delay_alu instid0(VALU_DEP_2) | instskip(NEXT) | instid1(VALU_DEP_1)
	v_add_f64_e64 v[46:47], v[48:49], -v[20:21]
	v_add_f64_e32 v[48:49], v[46:47], v[42:43]
	s_delay_alu instid0(VALU_DEP_1) | instskip(SKIP_1) | instid1(VALU_DEP_2)
	v_mul_f64_e32 v[50:51], 0x3ff921fb54442d18, v[48:49]
	v_add_f64_e64 v[46:47], v[48:49], -v[46:47]
	v_fma_f64 v[52:53], v[48:49], s[22:23], -v[50:51]
	s_delay_alu instid0(VALU_DEP_2) | instskip(NEXT) | instid1(VALU_DEP_2)
	v_add_f64_e64 v[42:43], v[42:43], -v[46:47]
	v_fmac_f64_e32 v[52:53], 0x3c91a62633145c07, v[48:49]
	s_delay_alu instid0(VALU_DEP_1) | instskip(NEXT) | instid1(VALU_DEP_1)
	v_fmac_f64_e32 v[52:53], 0x3ff921fb54442d18, v[42:43]
	v_add_f64_e32 v[42:43], v[50:51], v[52:53]
	s_delay_alu instid0(VALU_DEP_1) | instskip(NEXT) | instid1(VALU_DEP_1)
	v_add_f64_e64 v[46:47], v[42:43], -v[50:51]
	v_add_f64_e64 v[46:47], v[52:53], -v[46:47]
	s_and_not1_saveexec_b32 s2, s2
	s_cbranch_execnz .LBB143_15
	s_branch .LBB143_16
.LBB143_14:                             ;   in Loop: Header=BB143_4 Depth=1
	s_and_not1_saveexec_b32 s2, s2
	s_cbranch_execz .LBB143_16
.LBB143_15:                             ;   in Loop: Header=BB143_4 Depth=1
	v_mul_f64_e64 v[42:43], |v[8:9]|, s[24:25]
	s_delay_alu instid0(VALU_DEP_1) | instskip(NEXT) | instid1(VALU_DEP_1)
	v_rndne_f64_e32 v[48:49], v[42:43]
	v_fma_f64 v[42:43], v[48:49], s[26:27], |v[8:9]|
	v_mul_f64_e32 v[46:47], 0xbc91a62633145c00, v[48:49]
	v_cvt_i32_f64_e32 v151, v[48:49]
	s_delay_alu instid0(VALU_DEP_3) | instskip(NEXT) | instid1(VALU_DEP_3)
	v_fmamk_f64 v[54:55], v[48:49], 0xbc91a62633145c00, v[42:43]
	v_add_f64_e32 v[50:51], v[42:43], v[46:47]
	s_delay_alu instid0(VALU_DEP_1) | instskip(NEXT) | instid1(VALU_DEP_3)
	v_add_f64_e64 v[52:53], v[42:43], -v[50:51]
	v_add_f64_e64 v[42:43], v[50:51], -v[54:55]
	s_delay_alu instid0(VALU_DEP_2) | instskip(SKIP_1) | instid1(VALU_DEP_2)
	v_add_f64_e32 v[50:51], v[52:53], v[46:47]
	v_fmamk_f64 v[46:47], v[48:49], 0x3c91a62633145c00, v[46:47]
	v_add_f64_e32 v[42:43], v[42:43], v[50:51]
	s_delay_alu instid0(VALU_DEP_1) | instskip(NEXT) | instid1(VALU_DEP_1)
	v_add_f64_e64 v[46:47], v[42:43], -v[46:47]
	v_fmac_f64_e32 v[46:47], 0xb97b839a252049c0, v[48:49]
	s_delay_alu instid0(VALU_DEP_1) | instskip(NEXT) | instid1(VALU_DEP_1)
	v_add_f64_e32 v[42:43], v[54:55], v[46:47]
	v_add_f64_e64 v[50:51], v[42:43], -v[54:55]
	s_delay_alu instid0(VALU_DEP_1)
	v_add_f64_e64 v[46:47], v[46:47], -v[50:51]
.LBB143_16:                             ;   in Loop: Header=BB143_4 Depth=1
	s_or_b32 exec_lo, exec_lo, s2
	s_wait_loadcnt 0x2
	v_mul_f64_e32 v[48:49], 0.5, v[12:13]
                                        ; implicit-def: $vgpr153
                                        ; implicit-def: $vgpr54_vgpr55
                                        ; implicit-def: $vgpr60_vgpr61
	s_delay_alu instid0(VALU_DEP_1) | instskip(SKIP_1) | instid1(SALU_CYCLE_1)
	v_cmp_ngt_f64_e64 s2, 0x41d00000, |v[48:49]|
	s_and_saveexec_b32 s3, s2
	s_xor_b32 s2, exec_lo, s3
	s_cbranch_execz .LBB143_18
; %bb.17:                               ;   in Loop: Header=BB143_4 Depth=1
	v_ldexp_f64 v[50:51], |v[48:49]|, 0xffffff80
	v_cmp_le_f64_e64 vcc_lo, 0x7b000000, |v[48:49]|
	v_trig_preop_f64 v[52:53], |v[48:49]|, 0
	v_and_b32_e32 v21, 0x7fffffff, v49
	v_trig_preop_f64 v[54:55], |v[48:49]|, 1
	v_trig_preop_f64 v[64:65], |v[48:49]|, 2
	s_delay_alu instid0(VALU_DEP_3) | instskip(NEXT) | instid1(VALU_DEP_1)
	v_dual_cndmask_b32 v51, v21, v51 :: v_dual_cndmask_b32 v50, v48, v50
	v_mul_f64_e32 v[56:57], v[52:53], v[50:51]
	s_delay_alu instid0(VALU_DEP_4) | instskip(NEXT) | instid1(VALU_DEP_4)
	v_mul_f64_e32 v[58:59], v[54:55], v[50:51]
	v_mul_f64_e32 v[70:71], v[64:65], v[50:51]
	s_delay_alu instid0(VALU_DEP_3) | instskip(NEXT) | instid1(VALU_DEP_3)
	v_fma_f64 v[52:53], v[52:53], v[50:51], -v[56:57]
	v_fma_f64 v[54:55], v[54:55], v[50:51], -v[58:59]
	s_delay_alu instid0(VALU_DEP_3) | instskip(NEXT) | instid1(VALU_DEP_3)
	v_fma_f64 v[50:51], v[64:65], v[50:51], -v[70:71]
	v_add_f64_e32 v[60:61], v[58:59], v[52:53]
	s_delay_alu instid0(VALU_DEP_1) | instskip(SKIP_1) | instid1(VALU_DEP_2)
	v_add_f64_e64 v[62:63], v[60:61], -v[58:59]
	v_add_f64_e32 v[68:69], v[56:57], v[60:61]
	v_add_f64_e64 v[66:67], v[60:61], -v[62:63]
	v_add_f64_e64 v[52:53], v[52:53], -v[62:63]
	s_delay_alu instid0(VALU_DEP_3) | instskip(NEXT) | instid1(VALU_DEP_3)
	v_ldexp_f64 v[62:63], v[68:69], -2
	v_add_f64_e64 v[58:59], v[58:59], -v[66:67]
	v_add_f64_e32 v[66:67], v[70:71], v[54:55]
	s_delay_alu instid0(VALU_DEP_3) | instskip(NEXT) | instid1(VALU_DEP_3)
	v_cmp_neq_f64_e64 vcc_lo, 0x7ff00000, |v[62:63]|
	v_add_f64_e32 v[52:53], v[52:53], v[58:59]
	v_fract_f64_e32 v[58:59], v[62:63]
	s_delay_alu instid0(VALU_DEP_1) | instskip(NEXT) | instid1(VALU_DEP_1)
	v_ldexp_f64 v[58:59], v[58:59], 2
	v_dual_add_f64 v[56:57], v[68:69], -v[56:57] :: v_dual_cndmask_b32 v58, 0, v58, vcc_lo
	s_delay_alu instid0(VALU_DEP_1) | instskip(SKIP_1) | instid1(VALU_DEP_1)
	v_dual_add_f64 v[56:57], v[60:61], -v[56:57] :: v_dual_cndmask_b32 v59, 0, v59, vcc_lo
	v_add_f64_e32 v[60:61], v[66:67], v[52:53]
	v_add_f64_e32 v[62:63], v[56:57], v[60:61]
	v_add_f64_e64 v[72:73], v[60:61], -v[66:67]
	s_delay_alu instid0(VALU_DEP_2) | instskip(NEXT) | instid1(VALU_DEP_2)
	v_add_f64_e32 v[68:69], v[62:63], v[58:59]
	v_add_f64_e64 v[78:79], v[60:61], -v[72:73]
	v_add_f64_e64 v[52:53], v[52:53], -v[72:73]
	;; [unrolled: 1-line block ×3, first 2 shown]
	s_delay_alu instid0(VALU_DEP_4) | instskip(SKIP_1) | instid1(VALU_DEP_3)
	v_cmp_gt_f64_e32 vcc_lo, 0, v[68:69]
	v_add_f64_e64 v[68:69], v[66:67], -v[70:71]
	v_add_f64_e64 v[56:57], v[60:61], -v[56:57]
	v_cndmask_b32_e64 v21, 0, 0x40100000, vcc_lo
	s_delay_alu instid0(VALU_DEP_3) | instskip(SKIP_2) | instid1(VALU_DEP_4)
	v_add_f64_e64 v[76:77], v[66:67], -v[68:69]
	v_add_f64_e64 v[54:55], v[54:55], -v[68:69]
	;; [unrolled: 1-line block ×3, first 2 shown]
	v_add_f64_e32 v[58:59], v[58:59], v[20:21]
	s_delay_alu instid0(VALU_DEP_4) | instskip(NEXT) | instid1(VALU_DEP_3)
	v_add_f64_e64 v[68:69], v[70:71], -v[76:77]
	v_add_f64_e32 v[52:53], v[52:53], v[66:67]
	s_delay_alu instid0(VALU_DEP_3) | instskip(NEXT) | instid1(VALU_DEP_3)
	v_add_f64_e32 v[74:75], v[62:63], v[58:59]
	v_add_f64_e32 v[54:55], v[54:55], v[68:69]
	s_delay_alu instid0(VALU_DEP_2) | instskip(NEXT) | instid1(VALU_DEP_2)
	v_cvt_i32_f64_e32 v21, v[74:75]
	v_add_f64_e32 v[52:53], v[54:55], v[52:53]
	s_delay_alu instid0(VALU_DEP_2) | instskip(NEXT) | instid1(VALU_DEP_2)
	v_cvt_f64_i32_e32 v[72:73], v21
	v_add_f64_e32 v[50:51], v[50:51], v[52:53]
	s_delay_alu instid0(VALU_DEP_2) | instskip(NEXT) | instid1(VALU_DEP_2)
	v_add_f64_e64 v[58:59], v[58:59], -v[72:73]
	v_add_f64_e32 v[50:51], v[56:57], v[50:51]
	s_delay_alu instid0(VALU_DEP_2) | instskip(NEXT) | instid1(VALU_DEP_1)
	v_add_f64_e32 v[54:55], v[62:63], v[58:59]
	v_add_f64_e64 v[52:53], v[54:55], -v[58:59]
	v_cmp_le_f64_e32 vcc_lo, 0.5, v[54:55]
	s_delay_alu instid0(VALU_DEP_2) | instskip(SKIP_2) | instid1(VALU_DEP_3)
	v_add_f64_e64 v[52:53], v[62:63], -v[52:53]
	v_add_co_ci_u32_e64 v153, null, 0, v21, vcc_lo
	v_cndmask_b32_e64 v21, 0, 0x3ff00000, vcc_lo
	v_add_f64_e32 v[50:51], v[50:51], v[52:53]
	s_delay_alu instid0(VALU_DEP_2) | instskip(NEXT) | instid1(VALU_DEP_1)
	v_add_f64_e64 v[52:53], v[54:55], -v[20:21]
	v_add_f64_e32 v[54:55], v[52:53], v[50:51]
	s_delay_alu instid0(VALU_DEP_1) | instskip(SKIP_1) | instid1(VALU_DEP_2)
	v_mul_f64_e32 v[56:57], 0x3ff921fb54442d18, v[54:55]
	v_add_f64_e64 v[52:53], v[54:55], -v[52:53]
	v_fma_f64 v[58:59], v[54:55], s[22:23], -v[56:57]
	s_delay_alu instid0(VALU_DEP_2) | instskip(NEXT) | instid1(VALU_DEP_2)
	v_add_f64_e64 v[50:51], v[50:51], -v[52:53]
	v_fmac_f64_e32 v[58:59], 0x3c91a62633145c07, v[54:55]
	s_delay_alu instid0(VALU_DEP_1) | instskip(NEXT) | instid1(VALU_DEP_1)
	v_fmac_f64_e32 v[58:59], 0x3ff921fb54442d18, v[50:51]
	v_add_f64_e32 v[54:55], v[56:57], v[58:59]
	s_delay_alu instid0(VALU_DEP_1) | instskip(NEXT) | instid1(VALU_DEP_1)
	v_add_f64_e64 v[50:51], v[54:55], -v[56:57]
	v_add_f64_e64 v[60:61], v[58:59], -v[50:51]
.LBB143_18:                             ;   in Loop: Header=BB143_4 Depth=1
	s_and_not1_saveexec_b32 s2, s2
	s_cbranch_execz .LBB143_20
; %bb.19:                               ;   in Loop: Header=BB143_4 Depth=1
	v_mul_f64_e64 v[50:51], |v[48:49]|, s[24:25]
	s_delay_alu instid0(VALU_DEP_1) | instskip(NEXT) | instid1(VALU_DEP_1)
	v_rndne_f64_e32 v[50:51], v[50:51]
	v_fma_f64 v[52:53], v[50:51], s[26:27], |v[48:49]|
	v_mul_f64_e32 v[54:55], 0xbc91a62633145c00, v[50:51]
	v_cvt_i32_f64_e32 v153, v[50:51]
	s_delay_alu instid0(VALU_DEP_2) | instskip(NEXT) | instid1(VALU_DEP_1)
	v_add_f64_e32 v[56:57], v[52:53], v[54:55]
	v_add_f64_e64 v[58:59], v[52:53], -v[56:57]
	v_fmamk_f64 v[52:53], v[50:51], 0xbc91a62633145c00, v[52:53]
	s_delay_alu instid0(VALU_DEP_1) | instskip(NEXT) | instid1(VALU_DEP_3)
	v_add_f64_e64 v[56:57], v[56:57], -v[52:53]
	v_add_f64_e32 v[58:59], v[58:59], v[54:55]
	v_fmamk_f64 v[54:55], v[50:51], 0x3c91a62633145c00, v[54:55]
	s_delay_alu instid0(VALU_DEP_2) | instskip(NEXT) | instid1(VALU_DEP_1)
	v_add_f64_e32 v[56:57], v[56:57], v[58:59]
	v_add_f64_e64 v[56:57], v[56:57], -v[54:55]
	s_delay_alu instid0(VALU_DEP_1) | instskip(NEXT) | instid1(VALU_DEP_1)
	v_fmac_f64_e32 v[56:57], 0xb97b839a252049c0, v[50:51]
	v_add_f64_e32 v[54:55], v[52:53], v[56:57]
	s_delay_alu instid0(VALU_DEP_1) | instskip(NEXT) | instid1(VALU_DEP_1)
	v_add_f64_e64 v[52:53], v[54:55], -v[52:53]
	v_add_f64_e64 v[60:61], v[56:57], -v[52:53]
.LBB143_20:                             ;   in Loop: Header=BB143_4 Depth=1
	s_or_b32 exec_lo, exec_lo, s2
	v_cmp_ngt_f64_e64 s2, 0x41d00000, |v[12:13]|
                                        ; implicit-def: $vgpr152
                                        ; implicit-def: $vgpr52_vgpr53
                                        ; implicit-def: $vgpr66_vgpr67
	s_and_saveexec_b32 s3, s2
	s_delay_alu instid0(SALU_CYCLE_1)
	s_xor_b32 s3, exec_lo, s3
	s_cbranch_execz .LBB143_22
; %bb.21:                               ;   in Loop: Header=BB143_4 Depth=1
	v_ldexp_f64 v[50:51], |v[12:13]|, 0xffffff80
	v_cmp_le_f64_e64 vcc_lo, 0x7b000000, |v[12:13]|
	v_trig_preop_f64 v[52:53], |v[12:13]|, 0
	v_and_b32_e32 v21, 0x7fffffff, v13
	v_trig_preop_f64 v[56:57], |v[12:13]|, 1
	v_trig_preop_f64 v[68:69], |v[12:13]|, 2
	s_delay_alu instid0(VALU_DEP_3) | instskip(NEXT) | instid1(VALU_DEP_1)
	v_dual_cndmask_b32 v51, v21, v51 :: v_dual_cndmask_b32 v50, v12, v50
	v_mul_f64_e32 v[58:59], v[52:53], v[50:51]
	s_delay_alu instid0(VALU_DEP_4) | instskip(NEXT) | instid1(VALU_DEP_4)
	v_mul_f64_e32 v[62:63], v[56:57], v[50:51]
	v_mul_f64_e32 v[74:75], v[68:69], v[50:51]
	s_delay_alu instid0(VALU_DEP_3) | instskip(NEXT) | instid1(VALU_DEP_3)
	v_fma_f64 v[52:53], v[52:53], v[50:51], -v[58:59]
	v_fma_f64 v[56:57], v[56:57], v[50:51], -v[62:63]
	s_delay_alu instid0(VALU_DEP_3) | instskip(NEXT) | instid1(VALU_DEP_3)
	v_fma_f64 v[50:51], v[68:69], v[50:51], -v[74:75]
	v_add_f64_e32 v[64:65], v[62:63], v[52:53]
	s_delay_alu instid0(VALU_DEP_1) | instskip(SKIP_1) | instid1(VALU_DEP_2)
	v_add_f64_e64 v[66:67], v[64:65], -v[62:63]
	v_add_f64_e32 v[72:73], v[58:59], v[64:65]
	v_add_f64_e64 v[70:71], v[64:65], -v[66:67]
	v_add_f64_e64 v[52:53], v[52:53], -v[66:67]
	s_delay_alu instid0(VALU_DEP_3) | instskip(NEXT) | instid1(VALU_DEP_3)
	v_ldexp_f64 v[66:67], v[72:73], -2
	v_add_f64_e64 v[62:63], v[62:63], -v[70:71]
	v_add_f64_e32 v[70:71], v[74:75], v[56:57]
	s_delay_alu instid0(VALU_DEP_3) | instskip(NEXT) | instid1(VALU_DEP_3)
	v_cmp_neq_f64_e64 vcc_lo, 0x7ff00000, |v[66:67]|
	v_add_f64_e32 v[52:53], v[52:53], v[62:63]
	v_fract_f64_e32 v[62:63], v[66:67]
	s_delay_alu instid0(VALU_DEP_1) | instskip(NEXT) | instid1(VALU_DEP_1)
	v_ldexp_f64 v[62:63], v[62:63], 2
	v_cndmask_b32_e32 v62, 0, v62, vcc_lo
	v_add_f64_e64 v[58:59], v[72:73], -v[58:59]
	s_delay_alu instid0(VALU_DEP_3) | instskip(NEXT) | instid1(VALU_DEP_2)
	v_cndmask_b32_e32 v63, 0, v63, vcc_lo
	v_add_f64_e64 v[58:59], v[64:65], -v[58:59]
	v_add_f64_e32 v[64:65], v[70:71], v[52:53]
	s_delay_alu instid0(VALU_DEP_1) | instskip(SKIP_1) | instid1(VALU_DEP_2)
	v_add_f64_e32 v[66:67], v[58:59], v[64:65]
	v_add_f64_e64 v[76:77], v[64:65], -v[70:71]
	v_add_f64_e32 v[72:73], v[66:67], v[62:63]
	s_delay_alu instid0(VALU_DEP_2) | instskip(SKIP_2) | instid1(VALU_DEP_4)
	v_add_f64_e64 v[82:83], v[64:65], -v[76:77]
	v_add_f64_e64 v[52:53], v[52:53], -v[76:77]
	;; [unrolled: 1-line block ×3, first 2 shown]
	v_cmp_gt_f64_e32 vcc_lo, 0, v[72:73]
	v_add_f64_e64 v[72:73], v[70:71], -v[74:75]
	s_delay_alu instid0(VALU_DEP_3) | instskip(SKIP_1) | instid1(VALU_DEP_3)
	v_add_f64_e64 v[58:59], v[64:65], -v[58:59]
	v_cndmask_b32_e64 v21, 0, 0x40100000, vcc_lo
	v_add_f64_e64 v[80:81], v[70:71], -v[72:73]
	v_add_f64_e64 v[56:57], v[56:57], -v[72:73]
	;; [unrolled: 1-line block ×3, first 2 shown]
	s_delay_alu instid0(VALU_DEP_4) | instskip(NEXT) | instid1(VALU_DEP_4)
	v_add_f64_e32 v[62:63], v[62:63], v[20:21]
	v_add_f64_e64 v[72:73], v[74:75], -v[80:81]
	s_delay_alu instid0(VALU_DEP_3) | instskip(NEXT) | instid1(VALU_DEP_3)
	v_add_f64_e32 v[52:53], v[52:53], v[70:71]
	v_add_f64_e32 v[78:79], v[66:67], v[62:63]
	s_delay_alu instid0(VALU_DEP_3) | instskip(NEXT) | instid1(VALU_DEP_2)
	v_add_f64_e32 v[56:57], v[56:57], v[72:73]
	v_cvt_i32_f64_e32 v21, v[78:79]
	s_delay_alu instid0(VALU_DEP_2) | instskip(NEXT) | instid1(VALU_DEP_2)
	v_add_f64_e32 v[52:53], v[56:57], v[52:53]
	v_cvt_f64_i32_e32 v[76:77], v21
	s_delay_alu instid0(VALU_DEP_2) | instskip(NEXT) | instid1(VALU_DEP_2)
	v_add_f64_e32 v[50:51], v[50:51], v[52:53]
	v_add_f64_e64 v[62:63], v[62:63], -v[76:77]
	s_delay_alu instid0(VALU_DEP_2) | instskip(NEXT) | instid1(VALU_DEP_2)
	v_add_f64_e32 v[50:51], v[58:59], v[50:51]
	v_add_f64_e32 v[56:57], v[66:67], v[62:63]
	s_delay_alu instid0(VALU_DEP_1) | instskip(SKIP_1) | instid1(VALU_DEP_2)
	v_add_f64_e64 v[52:53], v[56:57], -v[62:63]
	v_cmp_le_f64_e32 vcc_lo, 0.5, v[56:57]
	v_add_f64_e64 v[52:53], v[66:67], -v[52:53]
	v_add_co_ci_u32_e64 v152, null, 0, v21, vcc_lo
	v_cndmask_b32_e64 v21, 0, 0x3ff00000, vcc_lo
	s_delay_alu instid0(VALU_DEP_3) | instskip(NEXT) | instid1(VALU_DEP_2)
	v_add_f64_e32 v[50:51], v[50:51], v[52:53]
	v_add_f64_e64 v[52:53], v[56:57], -v[20:21]
	s_delay_alu instid0(VALU_DEP_1) | instskip(NEXT) | instid1(VALU_DEP_1)
	v_add_f64_e32 v[56:57], v[52:53], v[50:51]
	v_mul_f64_e32 v[58:59], 0x3ff921fb54442d18, v[56:57]
	v_add_f64_e64 v[52:53], v[56:57], -v[52:53]
	s_delay_alu instid0(VALU_DEP_2) | instskip(NEXT) | instid1(VALU_DEP_2)
	v_fma_f64 v[62:63], v[56:57], s[22:23], -v[58:59]
	v_add_f64_e64 v[50:51], v[50:51], -v[52:53]
	s_delay_alu instid0(VALU_DEP_2) | instskip(NEXT) | instid1(VALU_DEP_1)
	v_fmac_f64_e32 v[62:63], 0x3c91a62633145c07, v[56:57]
	v_fmac_f64_e32 v[62:63], 0x3ff921fb54442d18, v[50:51]
	s_delay_alu instid0(VALU_DEP_1) | instskip(NEXT) | instid1(VALU_DEP_1)
	v_add_f64_e32 v[52:53], v[58:59], v[62:63]
	v_add_f64_e64 v[50:51], v[52:53], -v[58:59]
	s_delay_alu instid0(VALU_DEP_1)
	v_add_f64_e64 v[66:67], v[62:63], -v[50:51]
	s_and_not1_saveexec_b32 s3, s3
	s_cbranch_execz .LBB143_24
	s_branch .LBB143_23
.LBB143_22:                             ;   in Loop: Header=BB143_4 Depth=1
	s_and_not1_saveexec_b32 s3, s3
	s_cbranch_execz .LBB143_24
.LBB143_23:                             ;   in Loop: Header=BB143_4 Depth=1
	v_mul_f64_e64 v[50:51], |v[12:13]|, s[24:25]
	s_delay_alu instid0(VALU_DEP_1) | instskip(NEXT) | instid1(VALU_DEP_1)
	v_rndne_f64_e32 v[50:51], v[50:51]
	v_fma_f64 v[52:53], v[50:51], s[26:27], |v[12:13]|
	v_mul_f64_e32 v[56:57], 0xbc91a62633145c00, v[50:51]
	v_cvt_i32_f64_e32 v152, v[50:51]
	s_delay_alu instid0(VALU_DEP_3) | instskip(NEXT) | instid1(VALU_DEP_3)
	v_fmamk_f64 v[64:65], v[50:51], 0xbc91a62633145c00, v[52:53]
	v_add_f64_e32 v[58:59], v[52:53], v[56:57]
	s_delay_alu instid0(VALU_DEP_1) | instskip(NEXT) | instid1(VALU_DEP_3)
	v_add_f64_e64 v[62:63], v[52:53], -v[58:59]
	v_add_f64_e64 v[52:53], v[58:59], -v[64:65]
	s_delay_alu instid0(VALU_DEP_2) | instskip(SKIP_1) | instid1(VALU_DEP_2)
	v_add_f64_e32 v[58:59], v[62:63], v[56:57]
	v_fmamk_f64 v[56:57], v[50:51], 0x3c91a62633145c00, v[56:57]
	v_add_f64_e32 v[52:53], v[52:53], v[58:59]
	s_delay_alu instid0(VALU_DEP_1) | instskip(NEXT) | instid1(VALU_DEP_1)
	v_add_f64_e64 v[56:57], v[52:53], -v[56:57]
	v_fmac_f64_e32 v[56:57], 0xb97b839a252049c0, v[50:51]
	s_delay_alu instid0(VALU_DEP_1) | instskip(NEXT) | instid1(VALU_DEP_1)
	v_add_f64_e32 v[52:53], v[64:65], v[56:57]
	v_add_f64_e64 v[58:59], v[52:53], -v[64:65]
	s_delay_alu instid0(VALU_DEP_1)
	v_add_f64_e64 v[66:67], v[56:57], -v[58:59]
.LBB143_24:                             ;   in Loop: Header=BB143_4 Depth=1
	s_or_b32 exec_lo, exec_lo, s3
                                        ; implicit-def: $vgpr154
                                        ; implicit-def: $vgpr50_vgpr51
                                        ; implicit-def: $vgpr76_vgpr77
	s_and_saveexec_b32 s3, s2
	s_delay_alu instid0(SALU_CYCLE_1)
	s_xor_b32 s2, exec_lo, s3
	s_cbranch_execz .LBB143_26
; %bb.25:                               ;   in Loop: Header=BB143_4 Depth=1
	v_ldexp_f64 v[50:51], |v[12:13]|, 0xffffff80
	v_cmp_le_f64_e64 vcc_lo, 0x7b000000, |v[12:13]|
	v_trig_preop_f64 v[56:57], |v[12:13]|, 0
	v_and_b32_e32 v21, 0x7fffffff, v13
	v_trig_preop_f64 v[58:59], |v[12:13]|, 1
	v_trig_preop_f64 v[72:73], |v[12:13]|, 2
	s_delay_alu instid0(VALU_DEP_3) | instskip(NEXT) | instid1(VALU_DEP_1)
	v_dual_cndmask_b32 v51, v21, v51 :: v_dual_cndmask_b32 v50, v12, v50
	v_mul_f64_e32 v[62:63], v[56:57], v[50:51]
	s_delay_alu instid0(VALU_DEP_4) | instskip(NEXT) | instid1(VALU_DEP_4)
	v_mul_f64_e32 v[64:65], v[58:59], v[50:51]
	v_mul_f64_e32 v[78:79], v[72:73], v[50:51]
	s_delay_alu instid0(VALU_DEP_3) | instskip(NEXT) | instid1(VALU_DEP_3)
	v_fma_f64 v[56:57], v[56:57], v[50:51], -v[62:63]
	v_fma_f64 v[58:59], v[58:59], v[50:51], -v[64:65]
	s_delay_alu instid0(VALU_DEP_3) | instskip(NEXT) | instid1(VALU_DEP_3)
	v_fma_f64 v[50:51], v[72:73], v[50:51], -v[78:79]
	v_add_f64_e32 v[68:69], v[64:65], v[56:57]
	s_delay_alu instid0(VALU_DEP_1) | instskip(SKIP_1) | instid1(VALU_DEP_2)
	v_add_f64_e64 v[70:71], v[68:69], -v[64:65]
	v_add_f64_e32 v[76:77], v[62:63], v[68:69]
	v_add_f64_e64 v[74:75], v[68:69], -v[70:71]
	v_add_f64_e64 v[56:57], v[56:57], -v[70:71]
	s_delay_alu instid0(VALU_DEP_3) | instskip(NEXT) | instid1(VALU_DEP_3)
	v_ldexp_f64 v[70:71], v[76:77], -2
	v_add_f64_e64 v[64:65], v[64:65], -v[74:75]
	v_add_f64_e32 v[74:75], v[78:79], v[58:59]
	s_delay_alu instid0(VALU_DEP_3) | instskip(NEXT) | instid1(VALU_DEP_3)
	v_cmp_neq_f64_e64 vcc_lo, 0x7ff00000, |v[70:71]|
	v_add_f64_e32 v[56:57], v[56:57], v[64:65]
	v_fract_f64_e32 v[64:65], v[70:71]
	s_delay_alu instid0(VALU_DEP_1) | instskip(NEXT) | instid1(VALU_DEP_1)
	v_ldexp_f64 v[64:65], v[64:65], 2
	v_dual_add_f64 v[62:63], v[76:77], -v[62:63] :: v_dual_cndmask_b32 v65, 0, v65, vcc_lo
	s_delay_alu instid0(VALU_DEP_1) | instskip(SKIP_1) | instid1(VALU_DEP_1)
	v_dual_add_f64 v[62:63], v[68:69], -v[62:63] :: v_dual_cndmask_b32 v64, 0, v64, vcc_lo
	v_add_f64_e32 v[68:69], v[74:75], v[56:57]
	v_add_f64_e32 v[70:71], v[62:63], v[68:69]
	v_add_f64_e64 v[80:81], v[68:69], -v[74:75]
	s_delay_alu instid0(VALU_DEP_2) | instskip(NEXT) | instid1(VALU_DEP_2)
	v_add_f64_e32 v[76:77], v[70:71], v[64:65]
	v_add_f64_e64 v[86:87], v[68:69], -v[80:81]
	v_add_f64_e64 v[56:57], v[56:57], -v[80:81]
	;; [unrolled: 1-line block ×3, first 2 shown]
	s_delay_alu instid0(VALU_DEP_4) | instskip(SKIP_1) | instid1(VALU_DEP_3)
	v_cmp_gt_f64_e32 vcc_lo, 0, v[76:77]
	v_add_f64_e64 v[76:77], v[74:75], -v[78:79]
	v_add_f64_e64 v[62:63], v[68:69], -v[62:63]
	v_cndmask_b32_e64 v21, 0, 0x40100000, vcc_lo
	s_delay_alu instid0(VALU_DEP_3) | instskip(SKIP_2) | instid1(VALU_DEP_4)
	v_add_f64_e64 v[84:85], v[74:75], -v[76:77]
	v_add_f64_e64 v[58:59], v[58:59], -v[76:77]
	;; [unrolled: 1-line block ×3, first 2 shown]
	v_add_f64_e32 v[64:65], v[64:65], v[20:21]
	s_delay_alu instid0(VALU_DEP_4) | instskip(NEXT) | instid1(VALU_DEP_3)
	v_add_f64_e64 v[76:77], v[78:79], -v[84:85]
	v_add_f64_e32 v[56:57], v[56:57], v[74:75]
	s_delay_alu instid0(VALU_DEP_3) | instskip(NEXT) | instid1(VALU_DEP_3)
	v_add_f64_e32 v[82:83], v[70:71], v[64:65]
	v_add_f64_e32 v[58:59], v[58:59], v[76:77]
	s_delay_alu instid0(VALU_DEP_2) | instskip(NEXT) | instid1(VALU_DEP_2)
	v_cvt_i32_f64_e32 v21, v[82:83]
	v_add_f64_e32 v[56:57], v[58:59], v[56:57]
	s_delay_alu instid0(VALU_DEP_2) | instskip(NEXT) | instid1(VALU_DEP_2)
	v_cvt_f64_i32_e32 v[80:81], v21
	v_add_f64_e32 v[50:51], v[50:51], v[56:57]
	s_delay_alu instid0(VALU_DEP_2) | instskip(NEXT) | instid1(VALU_DEP_2)
	v_add_f64_e64 v[64:65], v[64:65], -v[80:81]
	v_add_f64_e32 v[50:51], v[62:63], v[50:51]
	s_delay_alu instid0(VALU_DEP_2) | instskip(NEXT) | instid1(VALU_DEP_1)
	v_add_f64_e32 v[58:59], v[70:71], v[64:65]
	v_add_f64_e64 v[56:57], v[58:59], -v[64:65]
	v_cmp_le_f64_e32 vcc_lo, 0.5, v[58:59]
	s_delay_alu instid0(VALU_DEP_2) | instskip(SKIP_2) | instid1(VALU_DEP_3)
	v_add_f64_e64 v[56:57], v[70:71], -v[56:57]
	v_add_co_ci_u32_e64 v154, null, 0, v21, vcc_lo
	v_cndmask_b32_e64 v21, 0, 0x3ff00000, vcc_lo
	v_add_f64_e32 v[50:51], v[50:51], v[56:57]
	s_delay_alu instid0(VALU_DEP_2) | instskip(NEXT) | instid1(VALU_DEP_1)
	v_add_f64_e64 v[56:57], v[58:59], -v[20:21]
	v_add_f64_e32 v[58:59], v[56:57], v[50:51]
	s_delay_alu instid0(VALU_DEP_1) | instskip(SKIP_1) | instid1(VALU_DEP_2)
	v_mul_f64_e32 v[62:63], 0x3ff921fb54442d18, v[58:59]
	v_add_f64_e64 v[56:57], v[58:59], -v[56:57]
	v_fma_f64 v[64:65], v[58:59], s[22:23], -v[62:63]
	s_delay_alu instid0(VALU_DEP_2) | instskip(NEXT) | instid1(VALU_DEP_2)
	v_add_f64_e64 v[50:51], v[50:51], -v[56:57]
	v_fmac_f64_e32 v[64:65], 0x3c91a62633145c07, v[58:59]
	s_delay_alu instid0(VALU_DEP_1) | instskip(NEXT) | instid1(VALU_DEP_1)
	v_fmac_f64_e32 v[64:65], 0x3ff921fb54442d18, v[50:51]
	v_add_f64_e32 v[50:51], v[62:63], v[64:65]
	s_delay_alu instid0(VALU_DEP_1) | instskip(NEXT) | instid1(VALU_DEP_1)
	v_add_f64_e64 v[56:57], v[50:51], -v[62:63]
	v_add_f64_e64 v[76:77], v[64:65], -v[56:57]
	s_and_not1_saveexec_b32 s2, s2
	s_cbranch_execnz .LBB143_27
	s_branch .LBB143_28
.LBB143_26:                             ;   in Loop: Header=BB143_4 Depth=1
	s_and_not1_saveexec_b32 s2, s2
	s_cbranch_execz .LBB143_28
.LBB143_27:                             ;   in Loop: Header=BB143_4 Depth=1
	v_mul_f64_e64 v[50:51], |v[12:13]|, s[24:25]
	s_delay_alu instid0(VALU_DEP_1) | instskip(NEXT) | instid1(VALU_DEP_1)
	v_rndne_f64_e32 v[56:57], v[50:51]
	v_fma_f64 v[50:51], v[56:57], s[26:27], |v[12:13]|
	v_mul_f64_e32 v[58:59], 0xbc91a62633145c00, v[56:57]
	v_cvt_i32_f64_e32 v154, v[56:57]
	s_delay_alu instid0(VALU_DEP_3) | instskip(NEXT) | instid1(VALU_DEP_3)
	v_fmamk_f64 v[68:69], v[56:57], 0xbc91a62633145c00, v[50:51]
	v_add_f64_e32 v[62:63], v[50:51], v[58:59]
	s_delay_alu instid0(VALU_DEP_1) | instskip(NEXT) | instid1(VALU_DEP_3)
	v_add_f64_e64 v[64:65], v[50:51], -v[62:63]
	v_add_f64_e64 v[50:51], v[62:63], -v[68:69]
	s_delay_alu instid0(VALU_DEP_2) | instskip(SKIP_1) | instid1(VALU_DEP_2)
	v_add_f64_e32 v[62:63], v[64:65], v[58:59]
	v_fmamk_f64 v[58:59], v[56:57], 0x3c91a62633145c00, v[58:59]
	v_add_f64_e32 v[50:51], v[50:51], v[62:63]
	s_delay_alu instid0(VALU_DEP_1) | instskip(NEXT) | instid1(VALU_DEP_1)
	v_add_f64_e64 v[58:59], v[50:51], -v[58:59]
	v_fmac_f64_e32 v[58:59], 0xb97b839a252049c0, v[56:57]
	s_delay_alu instid0(VALU_DEP_1) | instskip(NEXT) | instid1(VALU_DEP_1)
	v_add_f64_e32 v[50:51], v[68:69], v[58:59]
	v_add_f64_e64 v[62:63], v[50:51], -v[68:69]
	s_delay_alu instid0(VALU_DEP_1)
	v_add_f64_e64 v[76:77], v[58:59], -v[62:63]
.LBB143_28:                             ;   in Loop: Header=BB143_4 Depth=1
	s_or_b32 exec_lo, exec_lo, s2
	s_wait_loadcnt 0x0
	v_mul_f64_e32 v[58:59], 0.5, v[16:17]
                                        ; implicit-def: $vgpr157
                                        ; implicit-def: $vgpr72_vgpr73
                                        ; implicit-def: $vgpr86_vgpr87
	s_delay_alu instid0(VALU_DEP_1) | instskip(SKIP_1) | instid1(SALU_CYCLE_1)
	v_cmp_ngt_f64_e64 s2, 0x41d00000, |v[58:59]|
	s_and_saveexec_b32 s3, s2
	s_xor_b32 s2, exec_lo, s3
	s_cbranch_execz .LBB143_30
; %bb.29:                               ;   in Loop: Header=BB143_4 Depth=1
	v_ldexp_f64 v[56:57], |v[58:59]|, 0xffffff80
	v_cmp_le_f64_e64 vcc_lo, 0x7b000000, |v[58:59]|
	v_trig_preop_f64 v[62:63], |v[58:59]|, 0
	v_and_b32_e32 v21, 0x7fffffff, v59
	v_trig_preop_f64 v[64:65], |v[58:59]|, 1
	v_trig_preop_f64 v[78:79], |v[58:59]|, 2
	s_delay_alu instid0(VALU_DEP_3) | instskip(NEXT) | instid1(VALU_DEP_1)
	v_dual_cndmask_b32 v57, v21, v57 :: v_dual_cndmask_b32 v56, v58, v56
	v_mul_f64_e32 v[68:69], v[62:63], v[56:57]
	s_delay_alu instid0(VALU_DEP_4) | instskip(NEXT) | instid1(VALU_DEP_4)
	v_mul_f64_e32 v[70:71], v[64:65], v[56:57]
	v_mul_f64_e32 v[84:85], v[78:79], v[56:57]
	s_delay_alu instid0(VALU_DEP_3) | instskip(NEXT) | instid1(VALU_DEP_3)
	v_fma_f64 v[62:63], v[62:63], v[56:57], -v[68:69]
	v_fma_f64 v[64:65], v[64:65], v[56:57], -v[70:71]
	s_delay_alu instid0(VALU_DEP_3) | instskip(NEXT) | instid1(VALU_DEP_3)
	v_fma_f64 v[56:57], v[78:79], v[56:57], -v[84:85]
	v_add_f64_e32 v[72:73], v[70:71], v[62:63]
	s_delay_alu instid0(VALU_DEP_1) | instskip(SKIP_1) | instid1(VALU_DEP_2)
	v_add_f64_e64 v[74:75], v[72:73], -v[70:71]
	v_add_f64_e32 v[82:83], v[68:69], v[72:73]
	v_add_f64_e64 v[80:81], v[72:73], -v[74:75]
	v_add_f64_e64 v[62:63], v[62:63], -v[74:75]
	s_delay_alu instid0(VALU_DEP_3) | instskip(NEXT) | instid1(VALU_DEP_3)
	v_ldexp_f64 v[74:75], v[82:83], -2
	v_add_f64_e64 v[70:71], v[70:71], -v[80:81]
	v_add_f64_e32 v[80:81], v[84:85], v[64:65]
	s_delay_alu instid0(VALU_DEP_3) | instskip(NEXT) | instid1(VALU_DEP_3)
	v_cmp_neq_f64_e64 vcc_lo, 0x7ff00000, |v[74:75]|
	v_add_f64_e32 v[62:63], v[62:63], v[70:71]
	v_fract_f64_e32 v[70:71], v[74:75]
	s_delay_alu instid0(VALU_DEP_1) | instskip(NEXT) | instid1(VALU_DEP_1)
	v_ldexp_f64 v[70:71], v[70:71], 2
	v_dual_add_f64 v[68:69], v[82:83], -v[68:69] :: v_dual_cndmask_b32 v71, 0, v71, vcc_lo
	s_delay_alu instid0(VALU_DEP_1) | instskip(SKIP_1) | instid1(VALU_DEP_1)
	v_dual_add_f64 v[68:69], v[72:73], -v[68:69] :: v_dual_cndmask_b32 v70, 0, v70, vcc_lo
	v_add_f64_e32 v[72:73], v[80:81], v[62:63]
	v_add_f64_e32 v[74:75], v[68:69], v[72:73]
	v_add_f64_e64 v[86:87], v[72:73], -v[80:81]
	s_delay_alu instid0(VALU_DEP_2) | instskip(NEXT) | instid1(VALU_DEP_2)
	v_add_f64_e32 v[82:83], v[74:75], v[70:71]
	v_add_f64_e64 v[92:93], v[72:73], -v[86:87]
	v_add_f64_e64 v[62:63], v[62:63], -v[86:87]
	v_add_f64_e64 v[68:69], v[74:75], -v[68:69]
	s_delay_alu instid0(VALU_DEP_4) | instskip(SKIP_1) | instid1(VALU_DEP_3)
	v_cmp_gt_f64_e32 vcc_lo, 0, v[82:83]
	v_add_f64_e64 v[82:83], v[80:81], -v[84:85]
	v_add_f64_e64 v[68:69], v[72:73], -v[68:69]
	v_cndmask_b32_e64 v21, 0, 0x40100000, vcc_lo
	s_delay_alu instid0(VALU_DEP_3) | instskip(SKIP_2) | instid1(VALU_DEP_4)
	v_add_f64_e64 v[90:91], v[80:81], -v[82:83]
	v_add_f64_e64 v[64:65], v[64:65], -v[82:83]
	;; [unrolled: 1-line block ×3, first 2 shown]
	v_add_f64_e32 v[70:71], v[70:71], v[20:21]
	s_delay_alu instid0(VALU_DEP_4) | instskip(NEXT) | instid1(VALU_DEP_3)
	v_add_f64_e64 v[82:83], v[84:85], -v[90:91]
	v_add_f64_e32 v[62:63], v[62:63], v[80:81]
	s_delay_alu instid0(VALU_DEP_3) | instskip(NEXT) | instid1(VALU_DEP_3)
	v_add_f64_e32 v[88:89], v[74:75], v[70:71]
	v_add_f64_e32 v[64:65], v[64:65], v[82:83]
	s_delay_alu instid0(VALU_DEP_2) | instskip(NEXT) | instid1(VALU_DEP_2)
	v_cvt_i32_f64_e32 v21, v[88:89]
	v_add_f64_e32 v[62:63], v[64:65], v[62:63]
	s_delay_alu instid0(VALU_DEP_2) | instskip(NEXT) | instid1(VALU_DEP_2)
	v_cvt_f64_i32_e32 v[86:87], v21
	v_add_f64_e32 v[56:57], v[56:57], v[62:63]
	s_delay_alu instid0(VALU_DEP_2) | instskip(NEXT) | instid1(VALU_DEP_2)
	v_add_f64_e64 v[70:71], v[70:71], -v[86:87]
	v_add_f64_e32 v[56:57], v[68:69], v[56:57]
	s_delay_alu instid0(VALU_DEP_2) | instskip(NEXT) | instid1(VALU_DEP_1)
	v_add_f64_e32 v[64:65], v[74:75], v[70:71]
	v_add_f64_e64 v[62:63], v[64:65], -v[70:71]
	v_cmp_le_f64_e32 vcc_lo, 0.5, v[64:65]
	s_delay_alu instid0(VALU_DEP_2) | instskip(SKIP_2) | instid1(VALU_DEP_3)
	v_add_f64_e64 v[62:63], v[74:75], -v[62:63]
	v_add_co_ci_u32_e64 v157, null, 0, v21, vcc_lo
	v_cndmask_b32_e64 v21, 0, 0x3ff00000, vcc_lo
	v_add_f64_e32 v[56:57], v[56:57], v[62:63]
	s_delay_alu instid0(VALU_DEP_2) | instskip(NEXT) | instid1(VALU_DEP_1)
	v_add_f64_e64 v[62:63], v[64:65], -v[20:21]
	v_add_f64_e32 v[64:65], v[62:63], v[56:57]
	s_delay_alu instid0(VALU_DEP_1) | instskip(SKIP_1) | instid1(VALU_DEP_2)
	v_mul_f64_e32 v[68:69], 0x3ff921fb54442d18, v[64:65]
	v_add_f64_e64 v[62:63], v[64:65], -v[62:63]
	v_fma_f64 v[70:71], v[64:65], s[22:23], -v[68:69]
	s_delay_alu instid0(VALU_DEP_2) | instskip(NEXT) | instid1(VALU_DEP_2)
	v_add_f64_e64 v[56:57], v[56:57], -v[62:63]
	v_fmac_f64_e32 v[70:71], 0x3c91a62633145c07, v[64:65]
	s_delay_alu instid0(VALU_DEP_1) | instskip(NEXT) | instid1(VALU_DEP_1)
	v_fmac_f64_e32 v[70:71], 0x3ff921fb54442d18, v[56:57]
	v_add_f64_e32 v[72:73], v[68:69], v[70:71]
	s_delay_alu instid0(VALU_DEP_1) | instskip(NEXT) | instid1(VALU_DEP_1)
	v_add_f64_e64 v[56:57], v[72:73], -v[68:69]
	v_add_f64_e64 v[86:87], v[70:71], -v[56:57]
.LBB143_30:                             ;   in Loop: Header=BB143_4 Depth=1
	s_and_not1_saveexec_b32 s2, s2
	s_cbranch_execz .LBB143_32
; %bb.31:                               ;   in Loop: Header=BB143_4 Depth=1
	v_mul_f64_e64 v[56:57], |v[58:59]|, s[24:25]
	s_delay_alu instid0(VALU_DEP_1) | instskip(NEXT) | instid1(VALU_DEP_1)
	v_rndne_f64_e32 v[56:57], v[56:57]
	v_fma_f64 v[62:63], v[56:57], s[26:27], |v[58:59]|
	v_mul_f64_e32 v[64:65], 0xbc91a62633145c00, v[56:57]
	v_cvt_i32_f64_e32 v157, v[56:57]
	s_delay_alu instid0(VALU_DEP_2) | instskip(NEXT) | instid1(VALU_DEP_1)
	v_add_f64_e32 v[68:69], v[62:63], v[64:65]
	v_add_f64_e64 v[70:71], v[62:63], -v[68:69]
	v_fmamk_f64 v[62:63], v[56:57], 0xbc91a62633145c00, v[62:63]
	s_delay_alu instid0(VALU_DEP_1) | instskip(NEXT) | instid1(VALU_DEP_3)
	v_add_f64_e64 v[68:69], v[68:69], -v[62:63]
	v_add_f64_e32 v[70:71], v[70:71], v[64:65]
	v_fmamk_f64 v[64:65], v[56:57], 0x3c91a62633145c00, v[64:65]
	s_delay_alu instid0(VALU_DEP_2) | instskip(NEXT) | instid1(VALU_DEP_1)
	v_add_f64_e32 v[68:69], v[68:69], v[70:71]
	v_add_f64_e64 v[64:65], v[68:69], -v[64:65]
	s_delay_alu instid0(VALU_DEP_1) | instskip(NEXT) | instid1(VALU_DEP_1)
	v_fmac_f64_e32 v[64:65], 0xb97b839a252049c0, v[56:57]
	v_add_f64_e32 v[72:73], v[62:63], v[64:65]
	s_delay_alu instid0(VALU_DEP_1) | instskip(NEXT) | instid1(VALU_DEP_1)
	v_add_f64_e64 v[62:63], v[72:73], -v[62:63]
	v_add_f64_e64 v[86:87], v[64:65], -v[62:63]
.LBB143_32:                             ;   in Loop: Header=BB143_4 Depth=1
	s_or_b32 exec_lo, exec_lo, s2
	v_cmp_ngt_f64_e64 s2, 0x41d00000, |v[16:17]|
                                        ; implicit-def: $vgpr155
                                        ; implicit-def: $vgpr78_vgpr79
                                        ; implicit-def: $vgpr88_vgpr89
	s_and_saveexec_b32 s3, s2
	s_delay_alu instid0(SALU_CYCLE_1)
	s_xor_b32 s3, exec_lo, s3
	s_cbranch_execz .LBB143_34
; %bb.33:                               ;   in Loop: Header=BB143_4 Depth=1
	v_ldexp_f64 v[56:57], |v[16:17]|, 0xffffff80
	v_cmp_le_f64_e64 vcc_lo, 0x7b000000, |v[16:17]|
	v_trig_preop_f64 v[62:63], |v[16:17]|, 0
	v_and_b32_e32 v21, 0x7fffffff, v17
	v_trig_preop_f64 v[64:65], |v[16:17]|, 1
	v_trig_preop_f64 v[80:81], |v[16:17]|, 2
	s_delay_alu instid0(VALU_DEP_3) | instskip(NEXT) | instid1(VALU_DEP_1)
	v_dual_cndmask_b32 v57, v21, v57 :: v_dual_cndmask_b32 v56, v16, v56
	v_mul_f64_e32 v[68:69], v[62:63], v[56:57]
	s_delay_alu instid0(VALU_DEP_4) | instskip(NEXT) | instid1(VALU_DEP_4)
	v_mul_f64_e32 v[70:71], v[64:65], v[56:57]
	v_mul_f64_e32 v[88:89], v[80:81], v[56:57]
	s_delay_alu instid0(VALU_DEP_3) | instskip(NEXT) | instid1(VALU_DEP_3)
	v_fma_f64 v[62:63], v[62:63], v[56:57], -v[68:69]
	v_fma_f64 v[64:65], v[64:65], v[56:57], -v[70:71]
	s_delay_alu instid0(VALU_DEP_3) | instskip(NEXT) | instid1(VALU_DEP_3)
	v_fma_f64 v[56:57], v[80:81], v[56:57], -v[88:89]
	v_add_f64_e32 v[74:75], v[70:71], v[62:63]
	s_delay_alu instid0(VALU_DEP_1) | instskip(SKIP_1) | instid1(VALU_DEP_2)
	v_add_f64_e64 v[78:79], v[74:75], -v[70:71]
	v_add_f64_e32 v[84:85], v[68:69], v[74:75]
	v_add_f64_e64 v[82:83], v[74:75], -v[78:79]
	v_add_f64_e64 v[62:63], v[62:63], -v[78:79]
	s_delay_alu instid0(VALU_DEP_3) | instskip(NEXT) | instid1(VALU_DEP_3)
	v_ldexp_f64 v[78:79], v[84:85], -2
	v_add_f64_e64 v[70:71], v[70:71], -v[82:83]
	v_add_f64_e32 v[82:83], v[88:89], v[64:65]
	s_delay_alu instid0(VALU_DEP_3) | instskip(NEXT) | instid1(VALU_DEP_3)
	v_cmp_neq_f64_e64 vcc_lo, 0x7ff00000, |v[78:79]|
	v_add_f64_e32 v[62:63], v[62:63], v[70:71]
	v_fract_f64_e32 v[70:71], v[78:79]
	s_delay_alu instid0(VALU_DEP_1) | instskip(NEXT) | instid1(VALU_DEP_1)
	v_ldexp_f64 v[70:71], v[70:71], 2
	v_dual_add_f64 v[68:69], v[84:85], -v[68:69] :: v_dual_cndmask_b32 v71, 0, v71, vcc_lo
	s_delay_alu instid0(VALU_DEP_1) | instskip(SKIP_1) | instid1(VALU_DEP_1)
	v_dual_add_f64 v[68:69], v[74:75], -v[68:69] :: v_dual_cndmask_b32 v70, 0, v70, vcc_lo
	v_add_f64_e32 v[74:75], v[82:83], v[62:63]
	v_add_f64_e32 v[78:79], v[68:69], v[74:75]
	v_add_f64_e64 v[90:91], v[74:75], -v[82:83]
	s_delay_alu instid0(VALU_DEP_2) | instskip(NEXT) | instid1(VALU_DEP_2)
	v_add_f64_e32 v[84:85], v[78:79], v[70:71]
	v_add_f64_e64 v[96:97], v[74:75], -v[90:91]
	v_add_f64_e64 v[62:63], v[62:63], -v[90:91]
	;; [unrolled: 1-line block ×3, first 2 shown]
	s_delay_alu instid0(VALU_DEP_4) | instskip(SKIP_1) | instid1(VALU_DEP_3)
	v_cmp_gt_f64_e32 vcc_lo, 0, v[84:85]
	v_add_f64_e64 v[84:85], v[82:83], -v[88:89]
	v_add_f64_e64 v[68:69], v[74:75], -v[68:69]
	v_cndmask_b32_e64 v21, 0, 0x40100000, vcc_lo
	s_delay_alu instid0(VALU_DEP_3) | instskip(SKIP_2) | instid1(VALU_DEP_4)
	v_add_f64_e64 v[94:95], v[82:83], -v[84:85]
	v_add_f64_e64 v[64:65], v[64:65], -v[84:85]
	;; [unrolled: 1-line block ×3, first 2 shown]
	v_add_f64_e32 v[70:71], v[70:71], v[20:21]
	s_delay_alu instid0(VALU_DEP_4) | instskip(NEXT) | instid1(VALU_DEP_3)
	v_add_f64_e64 v[84:85], v[88:89], -v[94:95]
	v_add_f64_e32 v[62:63], v[62:63], v[82:83]
	s_delay_alu instid0(VALU_DEP_3) | instskip(NEXT) | instid1(VALU_DEP_3)
	v_add_f64_e32 v[92:93], v[78:79], v[70:71]
	v_add_f64_e32 v[64:65], v[64:65], v[84:85]
	s_delay_alu instid0(VALU_DEP_2) | instskip(NEXT) | instid1(VALU_DEP_2)
	v_cvt_i32_f64_e32 v21, v[92:93]
	v_add_f64_e32 v[62:63], v[64:65], v[62:63]
	s_delay_alu instid0(VALU_DEP_2) | instskip(NEXT) | instid1(VALU_DEP_2)
	v_cvt_f64_i32_e32 v[90:91], v21
	v_add_f64_e32 v[56:57], v[56:57], v[62:63]
	s_delay_alu instid0(VALU_DEP_2) | instskip(NEXT) | instid1(VALU_DEP_2)
	v_add_f64_e64 v[70:71], v[70:71], -v[90:91]
	v_add_f64_e32 v[56:57], v[68:69], v[56:57]
	s_delay_alu instid0(VALU_DEP_2) | instskip(NEXT) | instid1(VALU_DEP_1)
	v_add_f64_e32 v[64:65], v[78:79], v[70:71]
	v_add_f64_e64 v[62:63], v[64:65], -v[70:71]
	v_cmp_le_f64_e32 vcc_lo, 0.5, v[64:65]
	s_delay_alu instid0(VALU_DEP_2) | instskip(SKIP_2) | instid1(VALU_DEP_3)
	v_add_f64_e64 v[62:63], v[78:79], -v[62:63]
	v_add_co_ci_u32_e64 v155, null, 0, v21, vcc_lo
	v_cndmask_b32_e64 v21, 0, 0x3ff00000, vcc_lo
	v_add_f64_e32 v[56:57], v[56:57], v[62:63]
	s_delay_alu instid0(VALU_DEP_2) | instskip(NEXT) | instid1(VALU_DEP_1)
	v_add_f64_e64 v[62:63], v[64:65], -v[20:21]
	v_add_f64_e32 v[64:65], v[62:63], v[56:57]
	s_delay_alu instid0(VALU_DEP_1) | instskip(SKIP_1) | instid1(VALU_DEP_2)
	v_mul_f64_e32 v[68:69], 0x3ff921fb54442d18, v[64:65]
	v_add_f64_e64 v[62:63], v[64:65], -v[62:63]
	v_fma_f64 v[70:71], v[64:65], s[22:23], -v[68:69]
	s_delay_alu instid0(VALU_DEP_2) | instskip(NEXT) | instid1(VALU_DEP_2)
	v_add_f64_e64 v[56:57], v[56:57], -v[62:63]
	v_fmac_f64_e32 v[70:71], 0x3c91a62633145c07, v[64:65]
	s_delay_alu instid0(VALU_DEP_1) | instskip(NEXT) | instid1(VALU_DEP_1)
	v_fmac_f64_e32 v[70:71], 0x3ff921fb54442d18, v[56:57]
	v_add_f64_e32 v[78:79], v[68:69], v[70:71]
	s_delay_alu instid0(VALU_DEP_1) | instskip(NEXT) | instid1(VALU_DEP_1)
	v_add_f64_e64 v[56:57], v[78:79], -v[68:69]
	v_add_f64_e64 v[88:89], v[70:71], -v[56:57]
	s_and_not1_saveexec_b32 s3, s3
	s_cbranch_execz .LBB143_36
	s_branch .LBB143_35
.LBB143_34:                             ;   in Loop: Header=BB143_4 Depth=1
	s_and_not1_saveexec_b32 s3, s3
	s_cbranch_execz .LBB143_36
.LBB143_35:                             ;   in Loop: Header=BB143_4 Depth=1
	v_mul_f64_e64 v[56:57], |v[16:17]|, s[24:25]
	s_delay_alu instid0(VALU_DEP_1) | instskip(NEXT) | instid1(VALU_DEP_1)
	v_rndne_f64_e32 v[56:57], v[56:57]
	v_fma_f64 v[62:63], v[56:57], s[26:27], |v[16:17]|
	v_mul_f64_e32 v[64:65], 0xbc91a62633145c00, v[56:57]
	v_cvt_i32_f64_e32 v155, v[56:57]
	s_delay_alu instid0(VALU_DEP_2) | instskip(NEXT) | instid1(VALU_DEP_1)
	v_add_f64_e32 v[68:69], v[62:63], v[64:65]
	v_add_f64_e64 v[70:71], v[62:63], -v[68:69]
	v_fmamk_f64 v[62:63], v[56:57], 0xbc91a62633145c00, v[62:63]
	s_delay_alu instid0(VALU_DEP_1) | instskip(NEXT) | instid1(VALU_DEP_3)
	v_add_f64_e64 v[68:69], v[68:69], -v[62:63]
	v_add_f64_e32 v[70:71], v[70:71], v[64:65]
	v_fmamk_f64 v[64:65], v[56:57], 0x3c91a62633145c00, v[64:65]
	s_delay_alu instid0(VALU_DEP_2) | instskip(NEXT) | instid1(VALU_DEP_1)
	v_add_f64_e32 v[68:69], v[68:69], v[70:71]
	v_add_f64_e64 v[64:65], v[68:69], -v[64:65]
	s_delay_alu instid0(VALU_DEP_1) | instskip(NEXT) | instid1(VALU_DEP_1)
	v_fmac_f64_e32 v[64:65], 0xb97b839a252049c0, v[56:57]
	v_add_f64_e32 v[78:79], v[62:63], v[64:65]
	s_delay_alu instid0(VALU_DEP_1) | instskip(NEXT) | instid1(VALU_DEP_1)
	v_add_f64_e64 v[62:63], v[78:79], -v[62:63]
	v_add_f64_e64 v[88:89], v[64:65], -v[62:63]
.LBB143_36:                             ;   in Loop: Header=BB143_4 Depth=1
	s_or_b32 exec_lo, exec_lo, s3
                                        ; implicit-def: $vgpr160
                                        ; implicit-def: $vgpr82_vgpr83
                                        ; implicit-def: $vgpr84_vgpr85
	s_and_saveexec_b32 s3, s2
	s_delay_alu instid0(SALU_CYCLE_1)
	s_xor_b32 s2, exec_lo, s3
	s_cbranch_execz .LBB143_38
; %bb.37:                               ;   in Loop: Header=BB143_4 Depth=1
	v_ldexp_f64 v[56:57], |v[16:17]|, 0xffffff80
	v_cmp_le_f64_e64 vcc_lo, 0x7b000000, |v[16:17]|
	v_trig_preop_f64 v[62:63], |v[16:17]|, 0
	v_and_b32_e32 v21, 0x7fffffff, v17
	v_trig_preop_f64 v[64:65], |v[16:17]|, 1
	v_trig_preop_f64 v[82:83], |v[16:17]|, 2
	s_delay_alu instid0(VALU_DEP_3) | instskip(NEXT) | instid1(VALU_DEP_1)
	v_dual_cndmask_b32 v57, v21, v57 :: v_dual_cndmask_b32 v56, v16, v56
	v_mul_f64_e32 v[68:69], v[62:63], v[56:57]
	s_delay_alu instid0(VALU_DEP_4) | instskip(NEXT) | instid1(VALU_DEP_4)
	v_mul_f64_e32 v[70:71], v[64:65], v[56:57]
	v_mul_f64_e32 v[92:93], v[82:83], v[56:57]
	s_delay_alu instid0(VALU_DEP_3) | instskip(NEXT) | instid1(VALU_DEP_3)
	v_fma_f64 v[62:63], v[62:63], v[56:57], -v[68:69]
	v_fma_f64 v[64:65], v[64:65], v[56:57], -v[70:71]
	s_delay_alu instid0(VALU_DEP_3) | instskip(NEXT) | instid1(VALU_DEP_3)
	v_fma_f64 v[56:57], v[82:83], v[56:57], -v[92:93]
	v_add_f64_e32 v[74:75], v[70:71], v[62:63]
	s_delay_alu instid0(VALU_DEP_1) | instskip(SKIP_1) | instid1(VALU_DEP_2)
	v_add_f64_e64 v[80:81], v[74:75], -v[70:71]
	v_add_f64_e32 v[90:91], v[68:69], v[74:75]
	v_add_f64_e64 v[84:85], v[74:75], -v[80:81]
	v_add_f64_e64 v[62:63], v[62:63], -v[80:81]
	s_delay_alu instid0(VALU_DEP_3) | instskip(NEXT) | instid1(VALU_DEP_3)
	v_ldexp_f64 v[80:81], v[90:91], -2
	v_add_f64_e64 v[70:71], v[70:71], -v[84:85]
	v_add_f64_e32 v[84:85], v[92:93], v[64:65]
	s_delay_alu instid0(VALU_DEP_3) | instskip(NEXT) | instid1(VALU_DEP_3)
	v_cmp_neq_f64_e64 vcc_lo, 0x7ff00000, |v[80:81]|
	v_add_f64_e32 v[62:63], v[62:63], v[70:71]
	v_fract_f64_e32 v[70:71], v[80:81]
	s_delay_alu instid0(VALU_DEP_1) | instskip(NEXT) | instid1(VALU_DEP_1)
	v_ldexp_f64 v[70:71], v[70:71], 2
	v_dual_add_f64 v[68:69], v[90:91], -v[68:69] :: v_dual_cndmask_b32 v71, 0, v71, vcc_lo
	s_delay_alu instid0(VALU_DEP_1) | instskip(SKIP_1) | instid1(VALU_DEP_1)
	v_dual_add_f64 v[68:69], v[74:75], -v[68:69] :: v_dual_cndmask_b32 v70, 0, v70, vcc_lo
	v_add_f64_e32 v[74:75], v[84:85], v[62:63]
	v_add_f64_e32 v[80:81], v[68:69], v[74:75]
	v_add_f64_e64 v[94:95], v[74:75], -v[84:85]
	s_delay_alu instid0(VALU_DEP_2) | instskip(NEXT) | instid1(VALU_DEP_2)
	v_add_f64_e32 v[90:91], v[80:81], v[70:71]
	v_add_f64_e64 v[100:101], v[74:75], -v[94:95]
	v_add_f64_e64 v[62:63], v[62:63], -v[94:95]
	;; [unrolled: 1-line block ×3, first 2 shown]
	s_delay_alu instid0(VALU_DEP_4) | instskip(SKIP_1) | instid1(VALU_DEP_3)
	v_cmp_gt_f64_e32 vcc_lo, 0, v[90:91]
	v_add_f64_e64 v[90:91], v[84:85], -v[92:93]
	v_add_f64_e64 v[68:69], v[74:75], -v[68:69]
	v_cndmask_b32_e64 v21, 0, 0x40100000, vcc_lo
	s_delay_alu instid0(VALU_DEP_3) | instskip(SKIP_2) | instid1(VALU_DEP_4)
	v_add_f64_e64 v[98:99], v[84:85], -v[90:91]
	v_add_f64_e64 v[64:65], v[64:65], -v[90:91]
	v_add_f64_e64 v[84:85], v[84:85], -v[100:101]
	v_add_f64_e32 v[70:71], v[70:71], v[20:21]
	s_delay_alu instid0(VALU_DEP_4) | instskip(NEXT) | instid1(VALU_DEP_3)
	v_add_f64_e64 v[90:91], v[92:93], -v[98:99]
	v_add_f64_e32 v[62:63], v[62:63], v[84:85]
	s_delay_alu instid0(VALU_DEP_3) | instskip(NEXT) | instid1(VALU_DEP_3)
	v_add_f64_e32 v[96:97], v[80:81], v[70:71]
	v_add_f64_e32 v[64:65], v[64:65], v[90:91]
	s_delay_alu instid0(VALU_DEP_2) | instskip(NEXT) | instid1(VALU_DEP_2)
	v_cvt_i32_f64_e32 v21, v[96:97]
	v_add_f64_e32 v[62:63], v[64:65], v[62:63]
	s_delay_alu instid0(VALU_DEP_2) | instskip(NEXT) | instid1(VALU_DEP_2)
	v_cvt_f64_i32_e32 v[94:95], v21
	v_add_f64_e32 v[56:57], v[56:57], v[62:63]
	s_delay_alu instid0(VALU_DEP_2) | instskip(NEXT) | instid1(VALU_DEP_2)
	v_add_f64_e64 v[70:71], v[70:71], -v[94:95]
	v_add_f64_e32 v[56:57], v[68:69], v[56:57]
	s_delay_alu instid0(VALU_DEP_2) | instskip(NEXT) | instid1(VALU_DEP_1)
	v_add_f64_e32 v[64:65], v[80:81], v[70:71]
	v_add_f64_e64 v[62:63], v[64:65], -v[70:71]
	v_cmp_le_f64_e32 vcc_lo, 0.5, v[64:65]
	s_delay_alu instid0(VALU_DEP_2) | instskip(SKIP_2) | instid1(VALU_DEP_3)
	v_add_f64_e64 v[62:63], v[80:81], -v[62:63]
	v_add_co_ci_u32_e64 v160, null, 0, v21, vcc_lo
	v_cndmask_b32_e64 v21, 0, 0x3ff00000, vcc_lo
	v_add_f64_e32 v[56:57], v[56:57], v[62:63]
	s_delay_alu instid0(VALU_DEP_2) | instskip(NEXT) | instid1(VALU_DEP_1)
	v_add_f64_e64 v[62:63], v[64:65], -v[20:21]
	v_add_f64_e32 v[64:65], v[62:63], v[56:57]
	s_delay_alu instid0(VALU_DEP_1) | instskip(SKIP_1) | instid1(VALU_DEP_2)
	v_mul_f64_e32 v[68:69], 0x3ff921fb54442d18, v[64:65]
	v_add_f64_e64 v[62:63], v[64:65], -v[62:63]
	v_fma_f64 v[70:71], v[64:65], s[22:23], -v[68:69]
	s_delay_alu instid0(VALU_DEP_2) | instskip(NEXT) | instid1(VALU_DEP_2)
	v_add_f64_e64 v[56:57], v[56:57], -v[62:63]
	v_fmac_f64_e32 v[70:71], 0x3c91a62633145c07, v[64:65]
	s_delay_alu instid0(VALU_DEP_1) | instskip(NEXT) | instid1(VALU_DEP_1)
	v_fmac_f64_e32 v[70:71], 0x3ff921fb54442d18, v[56:57]
	v_add_f64_e32 v[82:83], v[68:69], v[70:71]
	s_delay_alu instid0(VALU_DEP_1) | instskip(NEXT) | instid1(VALU_DEP_1)
	v_add_f64_e64 v[56:57], v[82:83], -v[68:69]
	v_add_f64_e64 v[84:85], v[70:71], -v[56:57]
	s_and_not1_saveexec_b32 s2, s2
	s_cbranch_execnz .LBB143_39
	s_branch .LBB143_40
.LBB143_38:                             ;   in Loop: Header=BB143_4 Depth=1
	s_and_not1_saveexec_b32 s2, s2
	s_cbranch_execz .LBB143_40
.LBB143_39:                             ;   in Loop: Header=BB143_4 Depth=1
	v_mul_f64_e64 v[56:57], |v[16:17]|, s[24:25]
	s_delay_alu instid0(VALU_DEP_1) | instskip(NEXT) | instid1(VALU_DEP_1)
	v_rndne_f64_e32 v[56:57], v[56:57]
	v_fma_f64 v[62:63], v[56:57], s[26:27], |v[16:17]|
	v_mul_f64_e32 v[64:65], 0xbc91a62633145c00, v[56:57]
	v_cvt_i32_f64_e32 v160, v[56:57]
	s_delay_alu instid0(VALU_DEP_2) | instskip(NEXT) | instid1(VALU_DEP_1)
	v_add_f64_e32 v[68:69], v[62:63], v[64:65]
	v_add_f64_e64 v[70:71], v[62:63], -v[68:69]
	v_fmamk_f64 v[62:63], v[56:57], 0xbc91a62633145c00, v[62:63]
	s_delay_alu instid0(VALU_DEP_1) | instskip(NEXT) | instid1(VALU_DEP_3)
	v_add_f64_e64 v[68:69], v[68:69], -v[62:63]
	v_add_f64_e32 v[70:71], v[70:71], v[64:65]
	v_fmamk_f64 v[64:65], v[56:57], 0x3c91a62633145c00, v[64:65]
	s_delay_alu instid0(VALU_DEP_2) | instskip(NEXT) | instid1(VALU_DEP_1)
	v_add_f64_e32 v[68:69], v[68:69], v[70:71]
	v_add_f64_e64 v[64:65], v[68:69], -v[64:65]
	s_delay_alu instid0(VALU_DEP_1) | instskip(NEXT) | instid1(VALU_DEP_1)
	v_fmac_f64_e32 v[64:65], 0xb97b839a252049c0, v[56:57]
	v_add_f64_e32 v[82:83], v[62:63], v[64:65]
	s_delay_alu instid0(VALU_DEP_1) | instskip(NEXT) | instid1(VALU_DEP_1)
	v_add_f64_e64 v[62:63], v[82:83], -v[62:63]
	v_add_f64_e64 v[84:85], v[64:65], -v[62:63]
.LBB143_40:                             ;   in Loop: Header=BB143_4 Depth=1
	s_or_b32 exec_lo, exec_lo, s2
	v_mul_f64_e32 v[56:57], 0.5, v[4:5]
                                        ; implicit-def: $vgpr156
                                        ; implicit-def: $vgpr62_vgpr63
                                        ; implicit-def: $vgpr68_vgpr69
	s_delay_alu instid0(VALU_DEP_1) | instskip(SKIP_1) | instid1(SALU_CYCLE_1)
	v_cmp_ngt_f64_e64 s2, 0x41d00000, |v[56:57]|
	s_and_saveexec_b32 s3, s2
	s_xor_b32 s2, exec_lo, s3
	s_cbranch_execz .LBB143_42
; %bb.41:                               ;   in Loop: Header=BB143_4 Depth=1
	v_ldexp_f64 v[62:63], |v[56:57]|, 0xffffff80
	v_cmp_le_f64_e64 vcc_lo, 0x7b000000, |v[56:57]|
	v_trig_preop_f64 v[64:65], |v[56:57]|, 0
	v_and_b32_e32 v21, 0x7fffffff, v57
	v_trig_preop_f64 v[68:69], |v[56:57]|, 1
	v_trig_preop_f64 v[92:93], |v[56:57]|, 2
	s_delay_alu instid0(VALU_DEP_3) | instskip(NEXT) | instid1(VALU_DEP_1)
	v_dual_cndmask_b32 v63, v21, v63 :: v_dual_cndmask_b32 v62, v56, v62
	v_mul_f64_e32 v[70:71], v[64:65], v[62:63]
	s_delay_alu instid0(VALU_DEP_4) | instskip(NEXT) | instid1(VALU_DEP_4)
	v_mul_f64_e32 v[74:75], v[68:69], v[62:63]
	v_mul_f64_e32 v[98:99], v[92:93], v[62:63]
	s_delay_alu instid0(VALU_DEP_3) | instskip(NEXT) | instid1(VALU_DEP_3)
	v_fma_f64 v[64:65], v[64:65], v[62:63], -v[70:71]
	v_fma_f64 v[68:69], v[68:69], v[62:63], -v[74:75]
	s_delay_alu instid0(VALU_DEP_3) | instskip(NEXT) | instid1(VALU_DEP_3)
	v_fma_f64 v[62:63], v[92:93], v[62:63], -v[98:99]
	v_add_f64_e32 v[80:81], v[74:75], v[64:65]
	s_delay_alu instid0(VALU_DEP_1) | instskip(SKIP_1) | instid1(VALU_DEP_2)
	v_add_f64_e64 v[90:91], v[80:81], -v[74:75]
	v_add_f64_e32 v[96:97], v[70:71], v[80:81]
	v_add_f64_e64 v[94:95], v[80:81], -v[90:91]
	v_add_f64_e64 v[64:65], v[64:65], -v[90:91]
	s_delay_alu instid0(VALU_DEP_3) | instskip(NEXT) | instid1(VALU_DEP_3)
	v_ldexp_f64 v[90:91], v[96:97], -2
	v_add_f64_e64 v[74:75], v[74:75], -v[94:95]
	v_add_f64_e32 v[94:95], v[98:99], v[68:69]
	s_delay_alu instid0(VALU_DEP_3) | instskip(NEXT) | instid1(VALU_DEP_3)
	v_cmp_neq_f64_e64 vcc_lo, 0x7ff00000, |v[90:91]|
	v_add_f64_e32 v[64:65], v[64:65], v[74:75]
	v_fract_f64_e32 v[74:75], v[90:91]
	s_delay_alu instid0(VALU_DEP_1) | instskip(NEXT) | instid1(VALU_DEP_1)
	v_ldexp_f64 v[74:75], v[74:75], 2
	v_cndmask_b32_e32 v74, 0, v74, vcc_lo
	v_add_f64_e64 v[70:71], v[96:97], -v[70:71]
	s_delay_alu instid0(VALU_DEP_3) | instskip(NEXT) | instid1(VALU_DEP_2)
	v_cndmask_b32_e32 v75, 0, v75, vcc_lo
	v_add_f64_e64 v[70:71], v[80:81], -v[70:71]
	v_add_f64_e32 v[80:81], v[94:95], v[64:65]
	s_delay_alu instid0(VALU_DEP_1) | instskip(SKIP_1) | instid1(VALU_DEP_2)
	v_add_f64_e32 v[90:91], v[70:71], v[80:81]
	v_add_f64_e64 v[100:101], v[80:81], -v[94:95]
	v_add_f64_e32 v[96:97], v[90:91], v[74:75]
	s_delay_alu instid0(VALU_DEP_2) | instskip(SKIP_2) | instid1(VALU_DEP_4)
	v_add_f64_e64 v[106:107], v[80:81], -v[100:101]
	v_add_f64_e64 v[64:65], v[64:65], -v[100:101]
	;; [unrolled: 1-line block ×3, first 2 shown]
	v_cmp_gt_f64_e32 vcc_lo, 0, v[96:97]
	v_add_f64_e64 v[96:97], v[94:95], -v[98:99]
	s_delay_alu instid0(VALU_DEP_3) | instskip(SKIP_1) | instid1(VALU_DEP_3)
	v_add_f64_e64 v[70:71], v[80:81], -v[70:71]
	v_cndmask_b32_e64 v21, 0, 0x40100000, vcc_lo
	v_add_f64_e64 v[104:105], v[94:95], -v[96:97]
	v_add_f64_e64 v[68:69], v[68:69], -v[96:97]
	;; [unrolled: 1-line block ×3, first 2 shown]
	s_delay_alu instid0(VALU_DEP_4) | instskip(NEXT) | instid1(VALU_DEP_4)
	v_add_f64_e32 v[74:75], v[74:75], v[20:21]
	v_add_f64_e64 v[96:97], v[98:99], -v[104:105]
	s_delay_alu instid0(VALU_DEP_3) | instskip(NEXT) | instid1(VALU_DEP_3)
	v_add_f64_e32 v[64:65], v[64:65], v[94:95]
	v_add_f64_e32 v[102:103], v[90:91], v[74:75]
	s_delay_alu instid0(VALU_DEP_3) | instskip(NEXT) | instid1(VALU_DEP_2)
	v_add_f64_e32 v[68:69], v[68:69], v[96:97]
	v_cvt_i32_f64_e32 v21, v[102:103]
	s_delay_alu instid0(VALU_DEP_2) | instskip(NEXT) | instid1(VALU_DEP_2)
	v_add_f64_e32 v[64:65], v[68:69], v[64:65]
	v_cvt_f64_i32_e32 v[100:101], v21
	s_delay_alu instid0(VALU_DEP_2) | instskip(NEXT) | instid1(VALU_DEP_2)
	v_add_f64_e32 v[62:63], v[62:63], v[64:65]
	v_add_f64_e64 v[74:75], v[74:75], -v[100:101]
	s_delay_alu instid0(VALU_DEP_2) | instskip(NEXT) | instid1(VALU_DEP_2)
	v_add_f64_e32 v[62:63], v[70:71], v[62:63]
	v_add_f64_e32 v[68:69], v[90:91], v[74:75]
	s_delay_alu instid0(VALU_DEP_1) | instskip(SKIP_1) | instid1(VALU_DEP_2)
	v_add_f64_e64 v[64:65], v[68:69], -v[74:75]
	v_cmp_le_f64_e32 vcc_lo, 0.5, v[68:69]
	v_add_f64_e64 v[64:65], v[90:91], -v[64:65]
	v_add_co_ci_u32_e64 v156, null, 0, v21, vcc_lo
	v_cndmask_b32_e64 v21, 0, 0x3ff00000, vcc_lo
	s_delay_alu instid0(VALU_DEP_3) | instskip(NEXT) | instid1(VALU_DEP_2)
	v_add_f64_e32 v[62:63], v[62:63], v[64:65]
	v_add_f64_e64 v[64:65], v[68:69], -v[20:21]
	s_delay_alu instid0(VALU_DEP_1) | instskip(NEXT) | instid1(VALU_DEP_1)
	v_add_f64_e32 v[68:69], v[64:65], v[62:63]
	v_mul_f64_e32 v[70:71], 0x3ff921fb54442d18, v[68:69]
	v_add_f64_e64 v[64:65], v[68:69], -v[64:65]
	s_delay_alu instid0(VALU_DEP_2) | instskip(NEXT) | instid1(VALU_DEP_2)
	v_fma_f64 v[74:75], v[68:69], s[22:23], -v[70:71]
	v_add_f64_e64 v[62:63], v[62:63], -v[64:65]
	s_delay_alu instid0(VALU_DEP_2) | instskip(NEXT) | instid1(VALU_DEP_1)
	v_fmac_f64_e32 v[74:75], 0x3c91a62633145c07, v[68:69]
	v_fmac_f64_e32 v[74:75], 0x3ff921fb54442d18, v[62:63]
	s_delay_alu instid0(VALU_DEP_1) | instskip(NEXT) | instid1(VALU_DEP_1)
	v_add_f64_e32 v[62:63], v[70:71], v[74:75]
	v_add_f64_e64 v[64:65], v[62:63], -v[70:71]
	s_delay_alu instid0(VALU_DEP_1)
	v_add_f64_e64 v[68:69], v[74:75], -v[64:65]
.LBB143_42:                             ;   in Loop: Header=BB143_4 Depth=1
	s_and_not1_saveexec_b32 s2, s2
	s_cbranch_execz .LBB143_44
; %bb.43:                               ;   in Loop: Header=BB143_4 Depth=1
	v_mul_f64_e64 v[62:63], |v[56:57]|, s[24:25]
	s_delay_alu instid0(VALU_DEP_1) | instskip(NEXT) | instid1(VALU_DEP_1)
	v_rndne_f64_e32 v[64:65], v[62:63]
	v_fma_f64 v[62:63], v[64:65], s[26:27], |v[56:57]|
	v_mul_f64_e32 v[68:69], 0xbc91a62633145c00, v[64:65]
	v_cvt_i32_f64_e32 v156, v[64:65]
	s_delay_alu instid0(VALU_DEP_3) | instskip(NEXT) | instid1(VALU_DEP_3)
	v_fmamk_f64 v[80:81], v[64:65], 0xbc91a62633145c00, v[62:63]
	v_add_f64_e32 v[70:71], v[62:63], v[68:69]
	s_delay_alu instid0(VALU_DEP_1) | instskip(NEXT) | instid1(VALU_DEP_3)
	v_add_f64_e64 v[74:75], v[62:63], -v[70:71]
	v_add_f64_e64 v[62:63], v[70:71], -v[80:81]
	s_delay_alu instid0(VALU_DEP_2) | instskip(SKIP_1) | instid1(VALU_DEP_2)
	v_add_f64_e32 v[70:71], v[74:75], v[68:69]
	v_fmamk_f64 v[68:69], v[64:65], 0x3c91a62633145c00, v[68:69]
	v_add_f64_e32 v[62:63], v[62:63], v[70:71]
	s_delay_alu instid0(VALU_DEP_1) | instskip(NEXT) | instid1(VALU_DEP_1)
	v_add_f64_e64 v[68:69], v[62:63], -v[68:69]
	v_fmac_f64_e32 v[68:69], 0xb97b839a252049c0, v[64:65]
	s_delay_alu instid0(VALU_DEP_1) | instskip(NEXT) | instid1(VALU_DEP_1)
	v_add_f64_e32 v[62:63], v[80:81], v[68:69]
	v_add_f64_e64 v[70:71], v[62:63], -v[80:81]
	s_delay_alu instid0(VALU_DEP_1)
	v_add_f64_e64 v[68:69], v[68:69], -v[70:71]
.LBB143_44:                             ;   in Loop: Header=BB143_4 Depth=1
	s_or_b32 exec_lo, exec_lo, s2
	v_cmp_ngt_f64_e64 s2, 0x41d00000, |v[4:5]|
                                        ; implicit-def: $vgpr158
                                        ; implicit-def: $vgpr64_vgpr65
                                        ; implicit-def: $vgpr74_vgpr75
	s_and_saveexec_b32 s3, s2
	s_delay_alu instid0(SALU_CYCLE_1)
	s_xor_b32 s3, exec_lo, s3
	s_cbranch_execz .LBB143_46
; %bb.45:                               ;   in Loop: Header=BB143_4 Depth=1
	v_ldexp_f64 v[64:65], |v[4:5]|, 0xffffff80
	v_cmp_le_f64_e64 vcc_lo, 0x7b000000, |v[4:5]|
	v_trig_preop_f64 v[70:71], |v[4:5]|, 0
	v_and_b32_e32 v21, 0x7fffffff, v5
	v_trig_preop_f64 v[74:75], |v[4:5]|, 1
	v_trig_preop_f64 v[96:97], |v[4:5]|, 2
	s_delay_alu instid0(VALU_DEP_3) | instskip(NEXT) | instid1(VALU_DEP_1)
	v_dual_cndmask_b32 v65, v21, v65 :: v_dual_cndmask_b32 v64, v4, v64
	v_mul_f64_e32 v[80:81], v[70:71], v[64:65]
	s_delay_alu instid0(VALU_DEP_4) | instskip(NEXT) | instid1(VALU_DEP_4)
	v_mul_f64_e32 v[90:91], v[74:75], v[64:65]
	v_mul_f64_e32 v[102:103], v[96:97], v[64:65]
	s_delay_alu instid0(VALU_DEP_3) | instskip(NEXT) | instid1(VALU_DEP_3)
	v_fma_f64 v[70:71], v[70:71], v[64:65], -v[80:81]
	v_fma_f64 v[74:75], v[74:75], v[64:65], -v[90:91]
	s_delay_alu instid0(VALU_DEP_3) | instskip(NEXT) | instid1(VALU_DEP_3)
	v_fma_f64 v[64:65], v[96:97], v[64:65], -v[102:103]
	v_add_f64_e32 v[92:93], v[90:91], v[70:71]
	s_delay_alu instid0(VALU_DEP_1) | instskip(SKIP_1) | instid1(VALU_DEP_2)
	v_add_f64_e64 v[94:95], v[92:93], -v[90:91]
	v_add_f64_e32 v[100:101], v[80:81], v[92:93]
	v_add_f64_e64 v[98:99], v[92:93], -v[94:95]
	v_add_f64_e64 v[70:71], v[70:71], -v[94:95]
	s_delay_alu instid0(VALU_DEP_3) | instskip(NEXT) | instid1(VALU_DEP_3)
	v_ldexp_f64 v[94:95], v[100:101], -2
	v_add_f64_e64 v[90:91], v[90:91], -v[98:99]
	v_add_f64_e32 v[98:99], v[102:103], v[74:75]
	s_delay_alu instid0(VALU_DEP_3) | instskip(NEXT) | instid1(VALU_DEP_3)
	v_cmp_neq_f64_e64 vcc_lo, 0x7ff00000, |v[94:95]|
	v_add_f64_e32 v[70:71], v[70:71], v[90:91]
	v_fract_f64_e32 v[90:91], v[94:95]
	s_delay_alu instid0(VALU_DEP_1) | instskip(NEXT) | instid1(VALU_DEP_1)
	v_ldexp_f64 v[90:91], v[90:91], 2
	v_dual_add_f64 v[80:81], v[100:101], -v[80:81] :: v_dual_cndmask_b32 v91, 0, v91, vcc_lo
	s_delay_alu instid0(VALU_DEP_1) | instskip(SKIP_1) | instid1(VALU_DEP_1)
	v_dual_add_f64 v[80:81], v[92:93], -v[80:81] :: v_dual_cndmask_b32 v90, 0, v90, vcc_lo
	v_add_f64_e32 v[92:93], v[98:99], v[70:71]
	v_add_f64_e32 v[94:95], v[80:81], v[92:93]
	v_add_f64_e64 v[104:105], v[92:93], -v[98:99]
	s_delay_alu instid0(VALU_DEP_2) | instskip(NEXT) | instid1(VALU_DEP_2)
	v_add_f64_e32 v[100:101], v[94:95], v[90:91]
	v_add_f64_e64 v[110:111], v[92:93], -v[104:105]
	v_add_f64_e64 v[70:71], v[70:71], -v[104:105]
	;; [unrolled: 1-line block ×3, first 2 shown]
	s_delay_alu instid0(VALU_DEP_4) | instskip(SKIP_1) | instid1(VALU_DEP_3)
	v_cmp_gt_f64_e32 vcc_lo, 0, v[100:101]
	v_add_f64_e64 v[100:101], v[98:99], -v[102:103]
	v_add_f64_e64 v[80:81], v[92:93], -v[80:81]
	v_cndmask_b32_e64 v21, 0, 0x40100000, vcc_lo
	s_delay_alu instid0(VALU_DEP_3) | instskip(SKIP_2) | instid1(VALU_DEP_4)
	v_add_f64_e64 v[108:109], v[98:99], -v[100:101]
	v_add_f64_e64 v[74:75], v[74:75], -v[100:101]
	;; [unrolled: 1-line block ×3, first 2 shown]
	v_add_f64_e32 v[90:91], v[90:91], v[20:21]
	s_delay_alu instid0(VALU_DEP_4) | instskip(NEXT) | instid1(VALU_DEP_3)
	v_add_f64_e64 v[100:101], v[102:103], -v[108:109]
	v_add_f64_e32 v[70:71], v[70:71], v[98:99]
	s_delay_alu instid0(VALU_DEP_3) | instskip(NEXT) | instid1(VALU_DEP_3)
	v_add_f64_e32 v[106:107], v[94:95], v[90:91]
	v_add_f64_e32 v[74:75], v[74:75], v[100:101]
	s_delay_alu instid0(VALU_DEP_2) | instskip(NEXT) | instid1(VALU_DEP_2)
	v_cvt_i32_f64_e32 v21, v[106:107]
	v_add_f64_e32 v[70:71], v[74:75], v[70:71]
	s_delay_alu instid0(VALU_DEP_2) | instskip(NEXT) | instid1(VALU_DEP_2)
	v_cvt_f64_i32_e32 v[104:105], v21
	v_add_f64_e32 v[64:65], v[64:65], v[70:71]
	s_delay_alu instid0(VALU_DEP_2) | instskip(NEXT) | instid1(VALU_DEP_2)
	v_add_f64_e64 v[90:91], v[90:91], -v[104:105]
	v_add_f64_e32 v[64:65], v[80:81], v[64:65]
	s_delay_alu instid0(VALU_DEP_2) | instskip(NEXT) | instid1(VALU_DEP_1)
	v_add_f64_e32 v[74:75], v[94:95], v[90:91]
	v_add_f64_e64 v[70:71], v[74:75], -v[90:91]
	v_cmp_le_f64_e32 vcc_lo, 0.5, v[74:75]
	s_delay_alu instid0(VALU_DEP_2) | instskip(SKIP_2) | instid1(VALU_DEP_3)
	v_add_f64_e64 v[70:71], v[94:95], -v[70:71]
	v_add_co_ci_u32_e64 v158, null, 0, v21, vcc_lo
	v_cndmask_b32_e64 v21, 0, 0x3ff00000, vcc_lo
	v_add_f64_e32 v[64:65], v[64:65], v[70:71]
	s_delay_alu instid0(VALU_DEP_2) | instskip(NEXT) | instid1(VALU_DEP_1)
	v_add_f64_e64 v[70:71], v[74:75], -v[20:21]
	v_add_f64_e32 v[74:75], v[70:71], v[64:65]
	s_delay_alu instid0(VALU_DEP_1) | instskip(SKIP_1) | instid1(VALU_DEP_2)
	v_mul_f64_e32 v[80:81], 0x3ff921fb54442d18, v[74:75]
	v_add_f64_e64 v[70:71], v[74:75], -v[70:71]
	v_fma_f64 v[90:91], v[74:75], s[22:23], -v[80:81]
	s_delay_alu instid0(VALU_DEP_2) | instskip(NEXT) | instid1(VALU_DEP_2)
	v_add_f64_e64 v[64:65], v[64:65], -v[70:71]
	v_fmac_f64_e32 v[90:91], 0x3c91a62633145c07, v[74:75]
	s_delay_alu instid0(VALU_DEP_1) | instskip(NEXT) | instid1(VALU_DEP_1)
	v_fmac_f64_e32 v[90:91], 0x3ff921fb54442d18, v[64:65]
	v_add_f64_e32 v[64:65], v[80:81], v[90:91]
	s_delay_alu instid0(VALU_DEP_1) | instskip(NEXT) | instid1(VALU_DEP_1)
	v_add_f64_e64 v[70:71], v[64:65], -v[80:81]
	v_add_f64_e64 v[74:75], v[90:91], -v[70:71]
	s_and_not1_saveexec_b32 s3, s3
	s_cbranch_execz .LBB143_48
	s_branch .LBB143_47
.LBB143_46:                             ;   in Loop: Header=BB143_4 Depth=1
	s_and_not1_saveexec_b32 s3, s3
	s_cbranch_execz .LBB143_48
.LBB143_47:                             ;   in Loop: Header=BB143_4 Depth=1
	v_mul_f64_e64 v[64:65], |v[4:5]|, s[24:25]
	s_delay_alu instid0(VALU_DEP_1) | instskip(NEXT) | instid1(VALU_DEP_1)
	v_rndne_f64_e32 v[70:71], v[64:65]
	v_fma_f64 v[64:65], v[70:71], s[26:27], |v[4:5]|
	v_mul_f64_e32 v[74:75], 0xbc91a62633145c00, v[70:71]
	v_cvt_i32_f64_e32 v158, v[70:71]
	s_delay_alu instid0(VALU_DEP_3) | instskip(NEXT) | instid1(VALU_DEP_3)
	v_fmamk_f64 v[92:93], v[70:71], 0xbc91a62633145c00, v[64:65]
	v_add_f64_e32 v[80:81], v[64:65], v[74:75]
	s_delay_alu instid0(VALU_DEP_1) | instskip(NEXT) | instid1(VALU_DEP_3)
	v_add_f64_e64 v[90:91], v[64:65], -v[80:81]
	v_add_f64_e64 v[64:65], v[80:81], -v[92:93]
	s_delay_alu instid0(VALU_DEP_2) | instskip(SKIP_1) | instid1(VALU_DEP_2)
	v_add_f64_e32 v[80:81], v[90:91], v[74:75]
	v_fmamk_f64 v[74:75], v[70:71], 0x3c91a62633145c00, v[74:75]
	v_add_f64_e32 v[64:65], v[64:65], v[80:81]
	s_delay_alu instid0(VALU_DEP_1) | instskip(NEXT) | instid1(VALU_DEP_1)
	v_add_f64_e64 v[74:75], v[64:65], -v[74:75]
	v_fmac_f64_e32 v[74:75], 0xb97b839a252049c0, v[70:71]
	s_delay_alu instid0(VALU_DEP_1) | instskip(NEXT) | instid1(VALU_DEP_1)
	v_add_f64_e32 v[64:65], v[92:93], v[74:75]
	v_add_f64_e64 v[80:81], v[64:65], -v[92:93]
	s_delay_alu instid0(VALU_DEP_1)
	v_add_f64_e64 v[74:75], v[74:75], -v[80:81]
.LBB143_48:                             ;   in Loop: Header=BB143_4 Depth=1
	s_or_b32 exec_lo, exec_lo, s3
                                        ; implicit-def: $vgpr159
                                        ; implicit-def: $vgpr70_vgpr71
                                        ; implicit-def: $vgpr80_vgpr81
	s_and_saveexec_b32 s3, s2
	s_delay_alu instid0(SALU_CYCLE_1)
	s_xor_b32 s2, exec_lo, s3
	s_cbranch_execz .LBB143_50
; %bb.49:                               ;   in Loop: Header=BB143_4 Depth=1
	v_ldexp_f64 v[70:71], |v[4:5]|, 0xffffff80
	v_cmp_le_f64_e64 vcc_lo, 0x7b000000, |v[4:5]|
	v_trig_preop_f64 v[80:81], |v[4:5]|, 0
	v_and_b32_e32 v21, 0x7fffffff, v5
	v_trig_preop_f64 v[90:91], |v[4:5]|, 1
	v_trig_preop_f64 v[100:101], |v[4:5]|, 2
	s_delay_alu instid0(VALU_DEP_3) | instskip(NEXT) | instid1(VALU_DEP_1)
	v_dual_cndmask_b32 v71, v21, v71 :: v_dual_cndmask_b32 v70, v4, v70
	v_mul_f64_e32 v[92:93], v[80:81], v[70:71]
	s_delay_alu instid0(VALU_DEP_4) | instskip(NEXT) | instid1(VALU_DEP_4)
	v_mul_f64_e32 v[94:95], v[90:91], v[70:71]
	v_mul_f64_e32 v[106:107], v[100:101], v[70:71]
	s_delay_alu instid0(VALU_DEP_3) | instskip(NEXT) | instid1(VALU_DEP_3)
	v_fma_f64 v[80:81], v[80:81], v[70:71], -v[92:93]
	v_fma_f64 v[90:91], v[90:91], v[70:71], -v[94:95]
	s_delay_alu instid0(VALU_DEP_3) | instskip(NEXT) | instid1(VALU_DEP_3)
	v_fma_f64 v[70:71], v[100:101], v[70:71], -v[106:107]
	v_add_f64_e32 v[96:97], v[94:95], v[80:81]
	s_delay_alu instid0(VALU_DEP_1) | instskip(SKIP_1) | instid1(VALU_DEP_2)
	v_add_f64_e64 v[98:99], v[96:97], -v[94:95]
	v_add_f64_e32 v[104:105], v[92:93], v[96:97]
	v_add_f64_e64 v[102:103], v[96:97], -v[98:99]
	v_add_f64_e64 v[80:81], v[80:81], -v[98:99]
	s_delay_alu instid0(VALU_DEP_3) | instskip(NEXT) | instid1(VALU_DEP_3)
	v_ldexp_f64 v[98:99], v[104:105], -2
	v_add_f64_e64 v[94:95], v[94:95], -v[102:103]
	v_add_f64_e32 v[102:103], v[106:107], v[90:91]
	s_delay_alu instid0(VALU_DEP_3) | instskip(NEXT) | instid1(VALU_DEP_3)
	v_cmp_neq_f64_e64 vcc_lo, 0x7ff00000, |v[98:99]|
	v_add_f64_e32 v[80:81], v[80:81], v[94:95]
	v_fract_f64_e32 v[94:95], v[98:99]
	s_delay_alu instid0(VALU_DEP_1) | instskip(NEXT) | instid1(VALU_DEP_1)
	v_ldexp_f64 v[94:95], v[94:95], 2
	v_dual_add_f64 v[92:93], v[104:105], -v[92:93] :: v_dual_cndmask_b32 v94, 0, v94, vcc_lo
	s_delay_alu instid0(VALU_DEP_1) | instskip(SKIP_1) | instid1(VALU_DEP_1)
	v_dual_add_f64 v[92:93], v[96:97], -v[92:93] :: v_dual_cndmask_b32 v95, 0, v95, vcc_lo
	v_add_f64_e32 v[96:97], v[102:103], v[80:81]
	v_add_f64_e32 v[98:99], v[92:93], v[96:97]
	v_add_f64_e64 v[108:109], v[96:97], -v[102:103]
	s_delay_alu instid0(VALU_DEP_2) | instskip(NEXT) | instid1(VALU_DEP_2)
	v_add_f64_e32 v[104:105], v[98:99], v[94:95]
	v_add_f64_e64 v[114:115], v[96:97], -v[108:109]
	v_add_f64_e64 v[80:81], v[80:81], -v[108:109]
	;; [unrolled: 1-line block ×3, first 2 shown]
	s_delay_alu instid0(VALU_DEP_4) | instskip(SKIP_1) | instid1(VALU_DEP_3)
	v_cmp_gt_f64_e32 vcc_lo, 0, v[104:105]
	v_add_f64_e64 v[104:105], v[102:103], -v[106:107]
	v_add_f64_e64 v[92:93], v[96:97], -v[92:93]
	v_cndmask_b32_e64 v21, 0, 0x40100000, vcc_lo
	s_delay_alu instid0(VALU_DEP_3) | instskip(SKIP_2) | instid1(VALU_DEP_4)
	v_add_f64_e64 v[112:113], v[102:103], -v[104:105]
	v_add_f64_e64 v[90:91], v[90:91], -v[104:105]
	;; [unrolled: 1-line block ×3, first 2 shown]
	v_add_f64_e32 v[94:95], v[94:95], v[20:21]
	s_delay_alu instid0(VALU_DEP_4) | instskip(NEXT) | instid1(VALU_DEP_3)
	v_add_f64_e64 v[104:105], v[106:107], -v[112:113]
	v_add_f64_e32 v[80:81], v[80:81], v[102:103]
	s_delay_alu instid0(VALU_DEP_3) | instskip(NEXT) | instid1(VALU_DEP_3)
	v_add_f64_e32 v[110:111], v[98:99], v[94:95]
	v_add_f64_e32 v[90:91], v[90:91], v[104:105]
	s_delay_alu instid0(VALU_DEP_2) | instskip(NEXT) | instid1(VALU_DEP_2)
	v_cvt_i32_f64_e32 v21, v[110:111]
	v_add_f64_e32 v[80:81], v[90:91], v[80:81]
	s_delay_alu instid0(VALU_DEP_2) | instskip(NEXT) | instid1(VALU_DEP_2)
	v_cvt_f64_i32_e32 v[108:109], v21
	v_add_f64_e32 v[70:71], v[70:71], v[80:81]
	s_delay_alu instid0(VALU_DEP_2) | instskip(NEXT) | instid1(VALU_DEP_2)
	v_add_f64_e64 v[94:95], v[94:95], -v[108:109]
	v_add_f64_e32 v[70:71], v[92:93], v[70:71]
	s_delay_alu instid0(VALU_DEP_2) | instskip(NEXT) | instid1(VALU_DEP_1)
	v_add_f64_e32 v[90:91], v[98:99], v[94:95]
	v_add_f64_e64 v[80:81], v[90:91], -v[94:95]
	v_cmp_le_f64_e32 vcc_lo, 0.5, v[90:91]
	s_delay_alu instid0(VALU_DEP_2) | instskip(SKIP_2) | instid1(VALU_DEP_3)
	v_add_f64_e64 v[80:81], v[98:99], -v[80:81]
	v_add_co_ci_u32_e64 v159, null, 0, v21, vcc_lo
	v_cndmask_b32_e64 v21, 0, 0x3ff00000, vcc_lo
	v_add_f64_e32 v[70:71], v[70:71], v[80:81]
	s_delay_alu instid0(VALU_DEP_2) | instskip(NEXT) | instid1(VALU_DEP_1)
	v_add_f64_e64 v[80:81], v[90:91], -v[20:21]
	v_add_f64_e32 v[90:91], v[80:81], v[70:71]
	s_delay_alu instid0(VALU_DEP_1) | instskip(SKIP_1) | instid1(VALU_DEP_2)
	v_mul_f64_e32 v[92:93], 0x3ff921fb54442d18, v[90:91]
	v_add_f64_e64 v[80:81], v[90:91], -v[80:81]
	v_fma_f64 v[94:95], v[90:91], s[22:23], -v[92:93]
	s_delay_alu instid0(VALU_DEP_2) | instskip(NEXT) | instid1(VALU_DEP_2)
	v_add_f64_e64 v[70:71], v[70:71], -v[80:81]
	v_fmac_f64_e32 v[94:95], 0x3c91a62633145c07, v[90:91]
	s_delay_alu instid0(VALU_DEP_1) | instskip(NEXT) | instid1(VALU_DEP_1)
	v_fmac_f64_e32 v[94:95], 0x3ff921fb54442d18, v[70:71]
	v_add_f64_e32 v[70:71], v[92:93], v[94:95]
	s_delay_alu instid0(VALU_DEP_1) | instskip(NEXT) | instid1(VALU_DEP_1)
	v_add_f64_e64 v[80:81], v[70:71], -v[92:93]
	v_add_f64_e64 v[80:81], v[94:95], -v[80:81]
	s_and_not1_saveexec_b32 s2, s2
	s_cbranch_execz .LBB143_3
	s_branch .LBB143_51
.LBB143_50:                             ;   in Loop: Header=BB143_4 Depth=1
	s_and_not1_saveexec_b32 s2, s2
	s_cbranch_execz .LBB143_3
.LBB143_51:                             ;   in Loop: Header=BB143_4 Depth=1
	v_mul_f64_e64 v[70:71], |v[4:5]|, s[24:25]
	s_delay_alu instid0(VALU_DEP_1) | instskip(NEXT) | instid1(VALU_DEP_1)
	v_rndne_f64_e32 v[90:91], v[70:71]
	v_fma_f64 v[70:71], v[90:91], s[26:27], |v[4:5]|
	v_mul_f64_e32 v[80:81], 0xbc91a62633145c00, v[90:91]
	v_cvt_i32_f64_e32 v159, v[90:91]
	s_delay_alu instid0(VALU_DEP_3) | instskip(NEXT) | instid1(VALU_DEP_3)
	v_fmamk_f64 v[96:97], v[90:91], 0xbc91a62633145c00, v[70:71]
	v_add_f64_e32 v[92:93], v[70:71], v[80:81]
	s_delay_alu instid0(VALU_DEP_1) | instskip(NEXT) | instid1(VALU_DEP_3)
	v_add_f64_e64 v[94:95], v[70:71], -v[92:93]
	v_add_f64_e64 v[70:71], v[92:93], -v[96:97]
	s_delay_alu instid0(VALU_DEP_2) | instskip(SKIP_1) | instid1(VALU_DEP_2)
	v_add_f64_e32 v[92:93], v[94:95], v[80:81]
	v_fmamk_f64 v[80:81], v[90:91], 0x3c91a62633145c00, v[80:81]
	v_add_f64_e32 v[70:71], v[70:71], v[92:93]
	s_delay_alu instid0(VALU_DEP_1) | instskip(NEXT) | instid1(VALU_DEP_1)
	v_add_f64_e64 v[80:81], v[70:71], -v[80:81]
	v_fmac_f64_e32 v[80:81], 0xb97b839a252049c0, v[90:91]
	s_delay_alu instid0(VALU_DEP_1) | instskip(NEXT) | instid1(VALU_DEP_1)
	v_add_f64_e32 v[70:71], v[96:97], v[80:81]
	v_add_f64_e64 v[92:93], v[70:71], -v[96:97]
	s_delay_alu instid0(VALU_DEP_1)
	v_add_f64_e64 v[80:81], v[80:81], -v[92:93]
	s_branch .LBB143_3
.LBB143_52:
	s_or_b32 exec_lo, exec_lo, s33
	s_mov_b32 s2, 0
.LBB143_53:
	s_delay_alu instid0(SALU_CYCLE_1)
	s_and_not1_b32 vcc_lo, exec_lo, s2
	s_cbranch_vccnz .LBB143_121
; %bb.54:
	v_cmp_lt_i64_e64 s2, s[18:19], 1
	s_and_b32 vcc_lo, exec_lo, s2
	s_cbranch_vccnz .LBB143_121
; %bb.55:
	v_min_i64 v[18:19], 0x10000, s[18:19]
	v_min_u64 v[20:21], 0x10000, s[18:19]
	s_load_b32 s0, s[0:1], 0xc5c
	v_mov_b32_e32 v22, 0
	v_mov_b64_e32 v[24:25], 0x3e928af3fca7ab0c
	v_mov_b64_e32 v[26:27], 0x3e5af4eb2a1b768b
	v_mov_b64_e32 v[28:29], 0x3e21eeb69037ab78
	v_mov_b64_e32 v[30:31], 0xbe5ae600b42fdfa7
	v_mov_b32_e32 v1, v22
	s_mov_b32 s11, 0
	s_mov_b64 s[12:13], 0x3ff921fb54442d18
	s_mov_b64 s[18:19], 0x3fe45f306dc9c883
	;; [unrolled: 1-line block ×3, first 2 shown]
	s_mov_b32 s23, s11
	s_mov_b64 s[24:25], 0x40862e42fefa39ef
	s_mov_b32 s27, s11
	s_mov_b32 s29, s11
	s_mov_b64 s[30:31], 0
                                        ; implicit-def: $vgpr2_vgpr3
                                        ; implicit-def: $vgpr2_vgpr3
	;; [unrolled: 1-line block ×23, first 2 shown]
	s_wait_kmcnt 0x0
	s_and_b32 s10, s0, 0xffff
	s_delay_alu instid0(SALU_CYCLE_1)
	s_lshl_b32 s22, s10, 1
	s_mul_i32 s26, s10, 3
	s_lshl_b32 s28, s10, 2
	s_branch .LBB143_57
.LBB143_56:                             ;   in Loop: Header=BB143_57 Depth=1
	s_wait_xcnt 0x0
	s_or_b32 exec_lo, exec_lo, s7
	s_add_nc_u64 s[30:31], s[30:31], s[28:29]
	s_delay_alu instid0(SALU_CYCLE_1)
	v_cmp_ge_i64_e32 vcc_lo, s[30:31], v[18:19]
	s_cbranch_vccnz .LBB143_121
.LBB143_57:                             ; =>This Inner Loop Header: Depth=1
	v_add_nc_u64_e32 v[38:39], s[30:31], v[0:1]
	v_mov_b64_e32 v[12:13], 0
	v_mov_b64_e32 v[16:17], 0
	;; [unrolled: 1-line block ×3, first 2 shown]
	s_delay_alu instid0(VALU_DEP_4)
	v_cmp_lt_u64_e64 s2, v[38:39], v[20:21]
	s_and_saveexec_b32 s0, s2
	s_cbranch_execz .LBB143_59
; %bb.58:                               ;   in Loop: Header=BB143_57 Depth=1
	v_lshl_add_u64 v[2:3], v[38:39], 4, s[14:15]
	global_load_b128 v[14:17], v[2:3], off
.LBB143_59:                             ;   in Loop: Header=BB143_57 Depth=1
	s_wait_xcnt 0x0
	s_or_b32 exec_lo, exec_lo, s0
	v_add_nc_u64_e32 v[36:37], s[10:11], v[38:39]
	v_mov_b64_e32 v[10:11], 0
	s_delay_alu instid0(VALU_DEP_2)
	v_cmp_lt_u64_e64 s1, v[36:37], v[20:21]
	s_and_saveexec_b32 s0, s1
	s_cbranch_execz .LBB143_61
; %bb.60:                               ;   in Loop: Header=BB143_57 Depth=1
	v_lshl_add_u64 v[2:3], v[36:37], 4, s[14:15]
	global_load_b128 v[10:13], v[2:3], off
.LBB143_61:                             ;   in Loop: Header=BB143_57 Depth=1
	s_wait_xcnt 0x0
	s_or_b32 exec_lo, exec_lo, s0
	v_add_nc_u64_e32 v[34:35], s[22:23], v[38:39]
	v_mov_b64_e32 v[4:5], 0
	v_mov_b64_e32 v[8:9], 0
	;; [unrolled: 1-line block ×3, first 2 shown]
	s_delay_alu instid0(VALU_DEP_4)
	v_cmp_lt_u64_e64 s0, v[34:35], v[20:21]
	s_and_saveexec_b32 s3, s0
	s_cbranch_execz .LBB143_63
; %bb.62:                               ;   in Loop: Header=BB143_57 Depth=1
	v_lshl_add_u64 v[2:3], v[34:35], 4, s[14:15]
	global_load_b128 v[6:9], v[2:3], off
.LBB143_63:                             ;   in Loop: Header=BB143_57 Depth=1
	s_wait_xcnt 0x0
	s_or_b32 exec_lo, exec_lo, s3
	v_add_nc_u64_e32 v[32:33], s[26:27], v[38:39]
	v_mov_b64_e32 v[2:3], 0
	s_delay_alu instid0(VALU_DEP_2)
	v_cmp_lt_u64_e32 vcc_lo, v[32:33], v[20:21]
	s_and_saveexec_b32 s3, vcc_lo
	s_cbranch_execz .LBB143_65
; %bb.64:                               ;   in Loop: Header=BB143_57 Depth=1
	v_lshl_add_u64 v[2:3], v[32:33], 4, s[14:15]
	global_load_b128 v[2:5], v[2:3], off
.LBB143_65:                             ;   in Loop: Header=BB143_57 Depth=1
	s_wait_xcnt 0x0
	s_or_b32 exec_lo, exec_lo, s3
	s_wait_loadcnt 0x0
	v_mul_f64_e32 v[40:41], 0.5, v[16:17]
	s_mov_b32 s4, exec_lo
                                        ; implicit-def: $vgpr96
                                        ; implicit-def: $vgpr42_vgpr43
                                        ; implicit-def: $vgpr46_vgpr47
	s_delay_alu instid0(VALU_DEP_1)
	v_cmpx_ngt_f64_e64 0x41d00000, |v[40:41]|
	s_xor_b32 s4, exec_lo, s4
	s_cbranch_execz .LBB143_67
; %bb.66:                               ;   in Loop: Header=BB143_57 Depth=1
	v_ldexp_f64 v[42:43], |v[40:41]|, 0xffffff80
	v_cmp_le_f64_e64 s3, 0x7b000000, |v[40:41]|
	v_trig_preop_f64 v[44:45], |v[40:41]|, 0
	v_and_b32_e32 v23, 0x7fffffff, v41
	v_trig_preop_f64 v[46:47], |v[40:41]|, 1
	v_trig_preop_f64 v[56:57], |v[40:41]|, 2
	s_delay_alu instid0(VALU_DEP_3) | instskip(NEXT) | instid1(VALU_DEP_1)
	v_dual_cndmask_b32 v43, v23, v43, s3 :: v_dual_cndmask_b32 v42, v40, v42, s3
	v_mul_f64_e32 v[48:49], v[44:45], v[42:43]
	s_delay_alu instid0(VALU_DEP_4) | instskip(NEXT) | instid1(VALU_DEP_4)
	v_mul_f64_e32 v[50:51], v[46:47], v[42:43]
	v_mul_f64_e32 v[62:63], v[56:57], v[42:43]
	s_delay_alu instid0(VALU_DEP_3) | instskip(NEXT) | instid1(VALU_DEP_3)
	v_fma_f64 v[44:45], v[44:45], v[42:43], -v[48:49]
	v_fma_f64 v[46:47], v[46:47], v[42:43], -v[50:51]
	s_delay_alu instid0(VALU_DEP_3) | instskip(NEXT) | instid1(VALU_DEP_3)
	v_fma_f64 v[42:43], v[56:57], v[42:43], -v[62:63]
	v_add_f64_e32 v[52:53], v[50:51], v[44:45]
	s_delay_alu instid0(VALU_DEP_1) | instskip(SKIP_1) | instid1(VALU_DEP_2)
	v_add_f64_e64 v[54:55], v[52:53], -v[50:51]
	v_add_f64_e32 v[60:61], v[48:49], v[52:53]
	v_add_f64_e64 v[58:59], v[52:53], -v[54:55]
	v_add_f64_e64 v[44:45], v[44:45], -v[54:55]
	s_delay_alu instid0(VALU_DEP_3) | instskip(NEXT) | instid1(VALU_DEP_3)
	v_ldexp_f64 v[54:55], v[60:61], -2
	v_add_f64_e64 v[50:51], v[50:51], -v[58:59]
	v_add_f64_e32 v[58:59], v[62:63], v[46:47]
	s_delay_alu instid0(VALU_DEP_3) | instskip(NEXT) | instid1(VALU_DEP_3)
	v_cmp_neq_f64_e64 s3, 0x7ff00000, |v[54:55]|
	v_add_f64_e32 v[44:45], v[44:45], v[50:51]
	v_fract_f64_e32 v[50:51], v[54:55]
	s_delay_alu instid0(VALU_DEP_1) | instskip(NEXT) | instid1(VALU_DEP_1)
	v_ldexp_f64 v[50:51], v[50:51], 2
	v_dual_add_f64 v[48:49], v[60:61], -v[48:49] :: v_dual_cndmask_b32 v50, 0, v50, s3
	s_delay_alu instid0(VALU_DEP_1) | instskip(SKIP_1) | instid1(VALU_DEP_1)
	v_dual_add_f64 v[48:49], v[52:53], -v[48:49] :: v_dual_cndmask_b32 v51, 0, v51, s3
	v_add_f64_e32 v[52:53], v[58:59], v[44:45]
	v_add_f64_e32 v[54:55], v[48:49], v[52:53]
	v_add_f64_e64 v[64:65], v[52:53], -v[58:59]
	s_delay_alu instid0(VALU_DEP_2) | instskip(NEXT) | instid1(VALU_DEP_2)
	v_add_f64_e32 v[60:61], v[54:55], v[50:51]
	v_add_f64_e64 v[70:71], v[52:53], -v[64:65]
	v_add_f64_e64 v[44:45], v[44:45], -v[64:65]
	;; [unrolled: 1-line block ×3, first 2 shown]
	s_delay_alu instid0(VALU_DEP_4) | instskip(SKIP_1) | instid1(VALU_DEP_3)
	v_cmp_gt_f64_e64 s3, 0, v[60:61]
	v_add_f64_e64 v[60:61], v[58:59], -v[62:63]
	v_add_f64_e64 v[48:49], v[52:53], -v[48:49]
	s_delay_alu instid0(VALU_DEP_3) | instskip(NEXT) | instid1(VALU_DEP_3)
	v_cndmask_b32_e64 v23, 0, 0x40100000, s3
	v_add_f64_e64 v[68:69], v[58:59], -v[60:61]
	v_add_f64_e64 v[46:47], v[46:47], -v[60:61]
	;; [unrolled: 1-line block ×3, first 2 shown]
	s_delay_alu instid0(VALU_DEP_4) | instskip(NEXT) | instid1(VALU_DEP_4)
	v_add_f64_e32 v[50:51], v[50:51], v[22:23]
	v_add_f64_e64 v[60:61], v[62:63], -v[68:69]
	s_delay_alu instid0(VALU_DEP_3) | instskip(NEXT) | instid1(VALU_DEP_3)
	v_add_f64_e32 v[44:45], v[44:45], v[58:59]
	v_add_f64_e32 v[66:67], v[54:55], v[50:51]
	s_delay_alu instid0(VALU_DEP_3) | instskip(NEXT) | instid1(VALU_DEP_2)
	v_add_f64_e32 v[46:47], v[46:47], v[60:61]
	v_cvt_i32_f64_e32 v23, v[66:67]
	s_delay_alu instid0(VALU_DEP_2) | instskip(NEXT) | instid1(VALU_DEP_2)
	v_add_f64_e32 v[44:45], v[46:47], v[44:45]
	v_cvt_f64_i32_e32 v[64:65], v23
	s_delay_alu instid0(VALU_DEP_2) | instskip(NEXT) | instid1(VALU_DEP_2)
	v_add_f64_e32 v[42:43], v[42:43], v[44:45]
	v_add_f64_e64 v[50:51], v[50:51], -v[64:65]
	s_delay_alu instid0(VALU_DEP_2) | instskip(NEXT) | instid1(VALU_DEP_2)
	v_add_f64_e32 v[42:43], v[48:49], v[42:43]
	v_add_f64_e32 v[46:47], v[54:55], v[50:51]
	s_delay_alu instid0(VALU_DEP_1) | instskip(SKIP_1) | instid1(VALU_DEP_2)
	v_add_f64_e64 v[44:45], v[46:47], -v[50:51]
	v_cmp_le_f64_e64 s3, 0.5, v[46:47]
	v_add_f64_e64 v[44:45], v[54:55], -v[44:45]
	s_delay_alu instid0(VALU_DEP_2) | instskip(SKIP_1) | instid1(VALU_DEP_3)
	v_add_co_ci_u32_e64 v96, null, 0, v23, s3
	v_cndmask_b32_e64 v23, 0, 0x3ff00000, s3
	v_add_f64_e32 v[42:43], v[42:43], v[44:45]
	s_delay_alu instid0(VALU_DEP_2) | instskip(NEXT) | instid1(VALU_DEP_1)
	v_add_f64_e64 v[44:45], v[46:47], -v[22:23]
	v_add_f64_e32 v[46:47], v[44:45], v[42:43]
	s_delay_alu instid0(VALU_DEP_1) | instskip(SKIP_1) | instid1(VALU_DEP_2)
	v_mul_f64_e32 v[48:49], 0x3ff921fb54442d18, v[46:47]
	v_add_f64_e64 v[44:45], v[46:47], -v[44:45]
	v_fma_f64 v[50:51], v[46:47], s[12:13], -v[48:49]
	s_delay_alu instid0(VALU_DEP_2) | instskip(NEXT) | instid1(VALU_DEP_2)
	v_add_f64_e64 v[42:43], v[42:43], -v[44:45]
	v_fmac_f64_e32 v[50:51], 0x3c91a62633145c07, v[46:47]
	s_delay_alu instid0(VALU_DEP_1) | instskip(NEXT) | instid1(VALU_DEP_1)
	v_fmac_f64_e32 v[50:51], 0x3ff921fb54442d18, v[42:43]
	v_add_f64_e32 v[42:43], v[48:49], v[50:51]
	s_delay_alu instid0(VALU_DEP_1) | instskip(NEXT) | instid1(VALU_DEP_1)
	v_add_f64_e64 v[44:45], v[42:43], -v[48:49]
	v_add_f64_e64 v[46:47], v[50:51], -v[44:45]
.LBB143_67:                             ;   in Loop: Header=BB143_57 Depth=1
	s_and_not1_saveexec_b32 s3, s4
	s_cbranch_execz .LBB143_69
; %bb.68:                               ;   in Loop: Header=BB143_57 Depth=1
	v_mul_f64_e64 v[42:43], |v[40:41]|, s[18:19]
	s_delay_alu instid0(VALU_DEP_1) | instskip(NEXT) | instid1(VALU_DEP_1)
	v_rndne_f64_e32 v[44:45], v[42:43]
	v_fma_f64 v[42:43], v[44:45], s[20:21], |v[40:41]|
	v_mul_f64_e32 v[46:47], 0xbc91a62633145c00, v[44:45]
	v_cvt_i32_f64_e32 v96, v[44:45]
	s_delay_alu instid0(VALU_DEP_3) | instskip(NEXT) | instid1(VALU_DEP_3)
	v_fmamk_f64 v[52:53], v[44:45], 0xbc91a62633145c00, v[42:43]
	v_add_f64_e32 v[48:49], v[42:43], v[46:47]
	s_delay_alu instid0(VALU_DEP_1) | instskip(NEXT) | instid1(VALU_DEP_3)
	v_add_f64_e64 v[50:51], v[42:43], -v[48:49]
	v_add_f64_e64 v[42:43], v[48:49], -v[52:53]
	s_delay_alu instid0(VALU_DEP_2) | instskip(SKIP_1) | instid1(VALU_DEP_2)
	v_add_f64_e32 v[48:49], v[50:51], v[46:47]
	v_fmamk_f64 v[46:47], v[44:45], 0x3c91a62633145c00, v[46:47]
	v_add_f64_e32 v[42:43], v[42:43], v[48:49]
	s_delay_alu instid0(VALU_DEP_1) | instskip(NEXT) | instid1(VALU_DEP_1)
	v_add_f64_e64 v[46:47], v[42:43], -v[46:47]
	v_fmac_f64_e32 v[46:47], 0xb97b839a252049c0, v[44:45]
	s_delay_alu instid0(VALU_DEP_1) | instskip(NEXT) | instid1(VALU_DEP_1)
	v_add_f64_e32 v[42:43], v[52:53], v[46:47]
	v_add_f64_e64 v[48:49], v[42:43], -v[52:53]
	s_delay_alu instid0(VALU_DEP_1)
	v_add_f64_e64 v[46:47], v[46:47], -v[48:49]
.LBB143_69:                             ;   in Loop: Header=BB143_57 Depth=1
	s_or_b32 exec_lo, exec_lo, s3
	v_cmp_ngt_f64_e64 s4, 0x41d00000, |v[16:17]|
                                        ; implicit-def: $vgpr97
                                        ; implicit-def: $vgpr48_vgpr49
                                        ; implicit-def: $vgpr50_vgpr51
	s_and_saveexec_b32 s3, s4
	s_delay_alu instid0(SALU_CYCLE_1)
	s_xor_b32 s5, exec_lo, s3
	s_cbranch_execz .LBB143_71
; %bb.70:                               ;   in Loop: Header=BB143_57 Depth=1
	v_ldexp_f64 v[44:45], |v[16:17]|, 0xffffff80
	v_cmp_le_f64_e64 s3, 0x7b000000, |v[16:17]|
	v_trig_preop_f64 v[48:49], |v[16:17]|, 0
	v_and_b32_e32 v23, 0x7fffffff, v17
	v_trig_preop_f64 v[50:51], |v[16:17]|, 1
	v_trig_preop_f64 v[60:61], |v[16:17]|, 2
	s_delay_alu instid0(VALU_DEP_3) | instskip(NEXT) | instid1(VALU_DEP_1)
	v_dual_cndmask_b32 v45, v23, v45, s3 :: v_dual_cndmask_b32 v44, v16, v44, s3
	v_mul_f64_e32 v[52:53], v[48:49], v[44:45]
	s_delay_alu instid0(VALU_DEP_4) | instskip(NEXT) | instid1(VALU_DEP_4)
	v_mul_f64_e32 v[54:55], v[50:51], v[44:45]
	v_mul_f64_e32 v[66:67], v[60:61], v[44:45]
	s_delay_alu instid0(VALU_DEP_3) | instskip(NEXT) | instid1(VALU_DEP_3)
	v_fma_f64 v[48:49], v[48:49], v[44:45], -v[52:53]
	v_fma_f64 v[50:51], v[50:51], v[44:45], -v[54:55]
	s_delay_alu instid0(VALU_DEP_3) | instskip(NEXT) | instid1(VALU_DEP_3)
	v_fma_f64 v[44:45], v[60:61], v[44:45], -v[66:67]
	v_add_f64_e32 v[56:57], v[54:55], v[48:49]
	s_delay_alu instid0(VALU_DEP_1) | instskip(SKIP_1) | instid1(VALU_DEP_2)
	v_add_f64_e64 v[58:59], v[56:57], -v[54:55]
	v_add_f64_e32 v[64:65], v[52:53], v[56:57]
	v_add_f64_e64 v[62:63], v[56:57], -v[58:59]
	v_add_f64_e64 v[48:49], v[48:49], -v[58:59]
	s_delay_alu instid0(VALU_DEP_3) | instskip(NEXT) | instid1(VALU_DEP_3)
	v_ldexp_f64 v[58:59], v[64:65], -2
	v_add_f64_e64 v[54:55], v[54:55], -v[62:63]
	v_add_f64_e32 v[62:63], v[66:67], v[50:51]
	s_delay_alu instid0(VALU_DEP_3) | instskip(NEXT) | instid1(VALU_DEP_3)
	v_cmp_neq_f64_e64 s3, 0x7ff00000, |v[58:59]|
	v_add_f64_e32 v[48:49], v[48:49], v[54:55]
	v_fract_f64_e32 v[54:55], v[58:59]
	s_delay_alu instid0(VALU_DEP_1) | instskip(NEXT) | instid1(VALU_DEP_1)
	v_ldexp_f64 v[54:55], v[54:55], 2
	v_dual_add_f64 v[52:53], v[64:65], -v[52:53] :: v_dual_cndmask_b32 v55, 0, v55, s3
	s_delay_alu instid0(VALU_DEP_1) | instskip(SKIP_1) | instid1(VALU_DEP_1)
	v_dual_add_f64 v[52:53], v[56:57], -v[52:53] :: v_dual_cndmask_b32 v54, 0, v54, s3
	v_add_f64_e32 v[56:57], v[62:63], v[48:49]
	v_add_f64_e32 v[58:59], v[52:53], v[56:57]
	v_add_f64_e64 v[68:69], v[56:57], -v[62:63]
	s_delay_alu instid0(VALU_DEP_2) | instskip(NEXT) | instid1(VALU_DEP_2)
	v_add_f64_e32 v[64:65], v[58:59], v[54:55]
	v_add_f64_e64 v[74:75], v[56:57], -v[68:69]
	v_add_f64_e64 v[48:49], v[48:49], -v[68:69]
	;; [unrolled: 1-line block ×3, first 2 shown]
	s_delay_alu instid0(VALU_DEP_4) | instskip(SKIP_1) | instid1(VALU_DEP_3)
	v_cmp_gt_f64_e64 s3, 0, v[64:65]
	v_add_f64_e64 v[64:65], v[62:63], -v[66:67]
	v_add_f64_e64 v[52:53], v[56:57], -v[52:53]
	s_delay_alu instid0(VALU_DEP_3) | instskip(NEXT) | instid1(VALU_DEP_3)
	v_cndmask_b32_e64 v23, 0, 0x40100000, s3
	v_add_f64_e64 v[72:73], v[62:63], -v[64:65]
	v_add_f64_e64 v[50:51], v[50:51], -v[64:65]
	v_add_f64_e64 v[62:63], v[62:63], -v[74:75]
	s_delay_alu instid0(VALU_DEP_4) | instskip(NEXT) | instid1(VALU_DEP_4)
	v_add_f64_e32 v[54:55], v[54:55], v[22:23]
	v_add_f64_e64 v[64:65], v[66:67], -v[72:73]
	s_delay_alu instid0(VALU_DEP_3) | instskip(NEXT) | instid1(VALU_DEP_3)
	v_add_f64_e32 v[48:49], v[48:49], v[62:63]
	v_add_f64_e32 v[70:71], v[58:59], v[54:55]
	s_delay_alu instid0(VALU_DEP_3) | instskip(NEXT) | instid1(VALU_DEP_2)
	v_add_f64_e32 v[50:51], v[50:51], v[64:65]
	v_cvt_i32_f64_e32 v23, v[70:71]
	s_delay_alu instid0(VALU_DEP_2) | instskip(NEXT) | instid1(VALU_DEP_2)
	v_add_f64_e32 v[48:49], v[50:51], v[48:49]
	v_cvt_f64_i32_e32 v[68:69], v23
	s_delay_alu instid0(VALU_DEP_2) | instskip(NEXT) | instid1(VALU_DEP_2)
	v_add_f64_e32 v[44:45], v[44:45], v[48:49]
	v_add_f64_e64 v[54:55], v[54:55], -v[68:69]
	s_delay_alu instid0(VALU_DEP_2) | instskip(NEXT) | instid1(VALU_DEP_2)
	v_add_f64_e32 v[44:45], v[52:53], v[44:45]
	v_add_f64_e32 v[50:51], v[58:59], v[54:55]
	s_delay_alu instid0(VALU_DEP_1) | instskip(SKIP_1) | instid1(VALU_DEP_2)
	v_add_f64_e64 v[48:49], v[50:51], -v[54:55]
	v_cmp_le_f64_e64 s3, 0.5, v[50:51]
	v_add_f64_e64 v[48:49], v[58:59], -v[48:49]
	s_delay_alu instid0(VALU_DEP_2) | instskip(SKIP_1) | instid1(VALU_DEP_3)
	v_add_co_ci_u32_e64 v97, null, 0, v23, s3
	v_cndmask_b32_e64 v23, 0, 0x3ff00000, s3
	v_add_f64_e32 v[44:45], v[44:45], v[48:49]
	s_delay_alu instid0(VALU_DEP_2) | instskip(NEXT) | instid1(VALU_DEP_1)
	v_add_f64_e64 v[48:49], v[50:51], -v[22:23]
	v_add_f64_e32 v[50:51], v[48:49], v[44:45]
	s_delay_alu instid0(VALU_DEP_1) | instskip(SKIP_1) | instid1(VALU_DEP_2)
	v_mul_f64_e32 v[52:53], 0x3ff921fb54442d18, v[50:51]
	v_add_f64_e64 v[48:49], v[50:51], -v[48:49]
	v_fma_f64 v[54:55], v[50:51], s[12:13], -v[52:53]
	s_delay_alu instid0(VALU_DEP_2) | instskip(NEXT) | instid1(VALU_DEP_2)
	v_add_f64_e64 v[44:45], v[44:45], -v[48:49]
	v_fmac_f64_e32 v[54:55], 0x3c91a62633145c07, v[50:51]
	s_delay_alu instid0(VALU_DEP_1) | instskip(NEXT) | instid1(VALU_DEP_1)
	v_fmac_f64_e32 v[54:55], 0x3ff921fb54442d18, v[44:45]
	v_add_f64_e32 v[48:49], v[52:53], v[54:55]
	s_delay_alu instid0(VALU_DEP_1) | instskip(NEXT) | instid1(VALU_DEP_1)
	v_add_f64_e64 v[44:45], v[48:49], -v[52:53]
	v_add_f64_e64 v[50:51], v[54:55], -v[44:45]
	s_and_not1_saveexec_b32 s3, s5
	s_cbranch_execz .LBB143_73
	s_branch .LBB143_72
.LBB143_71:                             ;   in Loop: Header=BB143_57 Depth=1
	s_and_not1_saveexec_b32 s3, s5
	s_cbranch_execz .LBB143_73
.LBB143_72:                             ;   in Loop: Header=BB143_57 Depth=1
	v_mul_f64_e64 v[44:45], |v[16:17]|, s[18:19]
	s_delay_alu instid0(VALU_DEP_1) | instskip(NEXT) | instid1(VALU_DEP_1)
	v_rndne_f64_e32 v[44:45], v[44:45]
	v_fma_f64 v[48:49], v[44:45], s[20:21], |v[16:17]|
	v_mul_f64_e32 v[50:51], 0xbc91a62633145c00, v[44:45]
	v_cvt_i32_f64_e32 v97, v[44:45]
	s_delay_alu instid0(VALU_DEP_3) | instskip(NEXT) | instid1(VALU_DEP_3)
	v_fmamk_f64 v[56:57], v[44:45], 0xbc91a62633145c00, v[48:49]
	v_add_f64_e32 v[52:53], v[48:49], v[50:51]
	s_delay_alu instid0(VALU_DEP_1) | instskip(NEXT) | instid1(VALU_DEP_3)
	v_add_f64_e64 v[54:55], v[48:49], -v[52:53]
	v_add_f64_e64 v[48:49], v[52:53], -v[56:57]
	s_delay_alu instid0(VALU_DEP_2) | instskip(SKIP_1) | instid1(VALU_DEP_2)
	v_add_f64_e32 v[52:53], v[54:55], v[50:51]
	v_fmamk_f64 v[50:51], v[44:45], 0x3c91a62633145c00, v[50:51]
	v_add_f64_e32 v[48:49], v[48:49], v[52:53]
	s_delay_alu instid0(VALU_DEP_1) | instskip(NEXT) | instid1(VALU_DEP_1)
	v_add_f64_e64 v[50:51], v[48:49], -v[50:51]
	v_fmac_f64_e32 v[50:51], 0xb97b839a252049c0, v[44:45]
	s_delay_alu instid0(VALU_DEP_1) | instskip(NEXT) | instid1(VALU_DEP_1)
	v_add_f64_e32 v[48:49], v[56:57], v[50:51]
	v_add_f64_e64 v[52:53], v[48:49], -v[56:57]
	s_delay_alu instid0(VALU_DEP_1)
	v_add_f64_e64 v[50:51], v[50:51], -v[52:53]
.LBB143_73:                             ;   in Loop: Header=BB143_57 Depth=1
	s_or_b32 exec_lo, exec_lo, s3
                                        ; implicit-def: $vgpr99
                                        ; implicit-def: $vgpr58_vgpr59
                                        ; implicit-def: $vgpr62_vgpr63
	s_and_saveexec_b32 s3, s4
	s_delay_alu instid0(SALU_CYCLE_1)
	s_xor_b32 s4, exec_lo, s3
	s_cbranch_execz .LBB143_75
; %bb.74:                               ;   in Loop: Header=BB143_57 Depth=1
	v_ldexp_f64 v[44:45], |v[16:17]|, 0xffffff80
	v_cmp_le_f64_e64 s3, 0x7b000000, |v[16:17]|
	v_trig_preop_f64 v[52:53], |v[16:17]|, 0
	v_and_b32_e32 v23, 0x7fffffff, v17
	v_trig_preop_f64 v[54:55], |v[16:17]|, 1
	v_trig_preop_f64 v[64:65], |v[16:17]|, 2
	s_delay_alu instid0(VALU_DEP_3) | instskip(NEXT) | instid1(VALU_DEP_1)
	v_dual_cndmask_b32 v45, v23, v45, s3 :: v_dual_cndmask_b32 v44, v16, v44, s3
	v_mul_f64_e32 v[56:57], v[52:53], v[44:45]
	s_delay_alu instid0(VALU_DEP_4) | instskip(NEXT) | instid1(VALU_DEP_4)
	v_mul_f64_e32 v[58:59], v[54:55], v[44:45]
	v_mul_f64_e32 v[70:71], v[64:65], v[44:45]
	s_delay_alu instid0(VALU_DEP_3) | instskip(NEXT) | instid1(VALU_DEP_3)
	v_fma_f64 v[52:53], v[52:53], v[44:45], -v[56:57]
	v_fma_f64 v[54:55], v[54:55], v[44:45], -v[58:59]
	s_delay_alu instid0(VALU_DEP_3) | instskip(NEXT) | instid1(VALU_DEP_3)
	v_fma_f64 v[44:45], v[64:65], v[44:45], -v[70:71]
	v_add_f64_e32 v[60:61], v[58:59], v[52:53]
	s_delay_alu instid0(VALU_DEP_1) | instskip(SKIP_1) | instid1(VALU_DEP_2)
	v_add_f64_e64 v[62:63], v[60:61], -v[58:59]
	v_add_f64_e32 v[68:69], v[56:57], v[60:61]
	v_add_f64_e64 v[66:67], v[60:61], -v[62:63]
	v_add_f64_e64 v[52:53], v[52:53], -v[62:63]
	s_delay_alu instid0(VALU_DEP_3) | instskip(NEXT) | instid1(VALU_DEP_3)
	v_ldexp_f64 v[62:63], v[68:69], -2
	v_add_f64_e64 v[58:59], v[58:59], -v[66:67]
	v_add_f64_e32 v[66:67], v[70:71], v[54:55]
	s_delay_alu instid0(VALU_DEP_3) | instskip(NEXT) | instid1(VALU_DEP_3)
	v_cmp_neq_f64_e64 s3, 0x7ff00000, |v[62:63]|
	v_add_f64_e32 v[52:53], v[52:53], v[58:59]
	v_fract_f64_e32 v[58:59], v[62:63]
	s_delay_alu instid0(VALU_DEP_1) | instskip(NEXT) | instid1(VALU_DEP_1)
	v_ldexp_f64 v[58:59], v[58:59], 2
	v_dual_add_f64 v[56:57], v[68:69], -v[56:57] :: v_dual_cndmask_b32 v59, 0, v59, s3
	s_delay_alu instid0(VALU_DEP_1) | instskip(SKIP_1) | instid1(VALU_DEP_1)
	v_dual_add_f64 v[56:57], v[60:61], -v[56:57] :: v_dual_cndmask_b32 v58, 0, v58, s3
	v_add_f64_e32 v[60:61], v[66:67], v[52:53]
	v_add_f64_e32 v[62:63], v[56:57], v[60:61]
	v_add_f64_e64 v[72:73], v[60:61], -v[66:67]
	s_delay_alu instid0(VALU_DEP_2) | instskip(NEXT) | instid1(VALU_DEP_2)
	v_add_f64_e32 v[68:69], v[62:63], v[58:59]
	v_add_f64_e64 v[78:79], v[60:61], -v[72:73]
	v_add_f64_e64 v[52:53], v[52:53], -v[72:73]
	;; [unrolled: 1-line block ×3, first 2 shown]
	s_delay_alu instid0(VALU_DEP_4) | instskip(SKIP_1) | instid1(VALU_DEP_3)
	v_cmp_gt_f64_e64 s3, 0, v[68:69]
	v_add_f64_e64 v[68:69], v[66:67], -v[70:71]
	v_add_f64_e64 v[56:57], v[60:61], -v[56:57]
	s_delay_alu instid0(VALU_DEP_3) | instskip(NEXT) | instid1(VALU_DEP_3)
	v_cndmask_b32_e64 v23, 0, 0x40100000, s3
	v_add_f64_e64 v[76:77], v[66:67], -v[68:69]
	v_add_f64_e64 v[54:55], v[54:55], -v[68:69]
	v_add_f64_e64 v[66:67], v[66:67], -v[78:79]
	s_delay_alu instid0(VALU_DEP_4) | instskip(NEXT) | instid1(VALU_DEP_4)
	v_add_f64_e32 v[58:59], v[58:59], v[22:23]
	v_add_f64_e64 v[68:69], v[70:71], -v[76:77]
	s_delay_alu instid0(VALU_DEP_3) | instskip(NEXT) | instid1(VALU_DEP_3)
	v_add_f64_e32 v[52:53], v[52:53], v[66:67]
	v_add_f64_e32 v[74:75], v[62:63], v[58:59]
	s_delay_alu instid0(VALU_DEP_3) | instskip(NEXT) | instid1(VALU_DEP_2)
	v_add_f64_e32 v[54:55], v[54:55], v[68:69]
	v_cvt_i32_f64_e32 v23, v[74:75]
	s_delay_alu instid0(VALU_DEP_2) | instskip(NEXT) | instid1(VALU_DEP_2)
	v_add_f64_e32 v[52:53], v[54:55], v[52:53]
	v_cvt_f64_i32_e32 v[72:73], v23
	s_delay_alu instid0(VALU_DEP_2) | instskip(NEXT) | instid1(VALU_DEP_2)
	v_add_f64_e32 v[44:45], v[44:45], v[52:53]
	v_add_f64_e64 v[58:59], v[58:59], -v[72:73]
	s_delay_alu instid0(VALU_DEP_2) | instskip(NEXT) | instid1(VALU_DEP_2)
	v_add_f64_e32 v[44:45], v[56:57], v[44:45]
	v_add_f64_e32 v[54:55], v[62:63], v[58:59]
	s_delay_alu instid0(VALU_DEP_1) | instskip(SKIP_1) | instid1(VALU_DEP_2)
	v_add_f64_e64 v[52:53], v[54:55], -v[58:59]
	v_cmp_le_f64_e64 s3, 0.5, v[54:55]
	v_add_f64_e64 v[52:53], v[62:63], -v[52:53]
	s_delay_alu instid0(VALU_DEP_2) | instskip(SKIP_1) | instid1(VALU_DEP_3)
	v_add_co_ci_u32_e64 v99, null, 0, v23, s3
	v_cndmask_b32_e64 v23, 0, 0x3ff00000, s3
	v_add_f64_e32 v[44:45], v[44:45], v[52:53]
	s_delay_alu instid0(VALU_DEP_2) | instskip(NEXT) | instid1(VALU_DEP_1)
	v_add_f64_e64 v[52:53], v[54:55], -v[22:23]
	v_add_f64_e32 v[54:55], v[52:53], v[44:45]
	s_delay_alu instid0(VALU_DEP_1) | instskip(SKIP_1) | instid1(VALU_DEP_2)
	v_mul_f64_e32 v[56:57], 0x3ff921fb54442d18, v[54:55]
	v_add_f64_e64 v[52:53], v[54:55], -v[52:53]
	v_fma_f64 v[60:61], v[54:55], s[12:13], -v[56:57]
	s_delay_alu instid0(VALU_DEP_2) | instskip(NEXT) | instid1(VALU_DEP_2)
	v_add_f64_e64 v[44:45], v[44:45], -v[52:53]
	v_fmac_f64_e32 v[60:61], 0x3c91a62633145c07, v[54:55]
	s_delay_alu instid0(VALU_DEP_1) | instskip(NEXT) | instid1(VALU_DEP_1)
	v_fmac_f64_e32 v[60:61], 0x3ff921fb54442d18, v[44:45]
	v_add_f64_e32 v[58:59], v[56:57], v[60:61]
	s_delay_alu instid0(VALU_DEP_1) | instskip(NEXT) | instid1(VALU_DEP_1)
	v_add_f64_e64 v[44:45], v[58:59], -v[56:57]
	v_add_f64_e64 v[62:63], v[60:61], -v[44:45]
	s_and_not1_saveexec_b32 s3, s4
	s_cbranch_execnz .LBB143_76
	s_branch .LBB143_77
.LBB143_75:                             ;   in Loop: Header=BB143_57 Depth=1
	s_and_not1_saveexec_b32 s3, s4
	s_cbranch_execz .LBB143_77
.LBB143_76:                             ;   in Loop: Header=BB143_57 Depth=1
	v_mul_f64_e64 v[44:45], |v[16:17]|, s[18:19]
	s_delay_alu instid0(VALU_DEP_1) | instskip(NEXT) | instid1(VALU_DEP_1)
	v_rndne_f64_e32 v[44:45], v[44:45]
	v_fma_f64 v[52:53], v[44:45], s[20:21], |v[16:17]|
	v_mul_f64_e32 v[54:55], 0xbc91a62633145c00, v[44:45]
	v_cvt_i32_f64_e32 v99, v[44:45]
	s_delay_alu instid0(VALU_DEP_2) | instskip(NEXT) | instid1(VALU_DEP_1)
	v_add_f64_e32 v[56:57], v[52:53], v[54:55]
	v_add_f64_e64 v[58:59], v[52:53], -v[56:57]
	v_fmamk_f64 v[52:53], v[44:45], 0xbc91a62633145c00, v[52:53]
	s_delay_alu instid0(VALU_DEP_1) | instskip(NEXT) | instid1(VALU_DEP_3)
	v_add_f64_e64 v[56:57], v[56:57], -v[52:53]
	v_add_f64_e32 v[58:59], v[58:59], v[54:55]
	v_fmamk_f64 v[54:55], v[44:45], 0x3c91a62633145c00, v[54:55]
	s_delay_alu instid0(VALU_DEP_2) | instskip(NEXT) | instid1(VALU_DEP_1)
	v_add_f64_e32 v[56:57], v[56:57], v[58:59]
	v_add_f64_e64 v[54:55], v[56:57], -v[54:55]
	s_delay_alu instid0(VALU_DEP_1) | instskip(NEXT) | instid1(VALU_DEP_1)
	v_fmac_f64_e32 v[54:55], 0xb97b839a252049c0, v[44:45]
	v_add_f64_e32 v[58:59], v[52:53], v[54:55]
	s_delay_alu instid0(VALU_DEP_1) | instskip(NEXT) | instid1(VALU_DEP_1)
	v_add_f64_e64 v[52:53], v[58:59], -v[52:53]
	v_add_f64_e64 v[62:63], v[54:55], -v[52:53]
.LBB143_77:                             ;   in Loop: Header=BB143_57 Depth=1
	s_or_b32 exec_lo, exec_lo, s3
	v_mul_f64_e32 v[44:45], 0.5, v[12:13]
	s_mov_b32 s4, exec_lo
                                        ; implicit-def: $vgpr98
                                        ; implicit-def: $vgpr52_vgpr53
                                        ; implicit-def: $vgpr56_vgpr57
	s_delay_alu instid0(VALU_DEP_1)
	v_cmpx_ngt_f64_e64 0x41d00000, |v[44:45]|
	s_xor_b32 s4, exec_lo, s4
	s_cbranch_execz .LBB143_79
; %bb.78:                               ;   in Loop: Header=BB143_57 Depth=1
	v_ldexp_f64 v[52:53], |v[44:45]|, 0xffffff80
	v_cmp_le_f64_e64 s3, 0x7b000000, |v[44:45]|
	v_trig_preop_f64 v[54:55], |v[44:45]|, 0
	v_and_b32_e32 v23, 0x7fffffff, v45
	v_trig_preop_f64 v[56:57], |v[44:45]|, 1
	v_trig_preop_f64 v[70:71], |v[44:45]|, 2
	s_delay_alu instid0(VALU_DEP_3) | instskip(NEXT) | instid1(VALU_DEP_1)
	v_dual_cndmask_b32 v53, v23, v53, s3 :: v_dual_cndmask_b32 v52, v44, v52, s3
	v_mul_f64_e32 v[60:61], v[54:55], v[52:53]
	s_delay_alu instid0(VALU_DEP_4) | instskip(NEXT) | instid1(VALU_DEP_4)
	v_mul_f64_e32 v[64:65], v[56:57], v[52:53]
	v_mul_f64_e32 v[76:77], v[70:71], v[52:53]
	s_delay_alu instid0(VALU_DEP_3) | instskip(NEXT) | instid1(VALU_DEP_3)
	v_fma_f64 v[54:55], v[54:55], v[52:53], -v[60:61]
	v_fma_f64 v[56:57], v[56:57], v[52:53], -v[64:65]
	s_delay_alu instid0(VALU_DEP_3) | instskip(NEXT) | instid1(VALU_DEP_3)
	v_fma_f64 v[52:53], v[70:71], v[52:53], -v[76:77]
	v_add_f64_e32 v[66:67], v[64:65], v[54:55]
	s_delay_alu instid0(VALU_DEP_1) | instskip(SKIP_1) | instid1(VALU_DEP_2)
	v_add_f64_e64 v[68:69], v[66:67], -v[64:65]
	v_add_f64_e32 v[74:75], v[60:61], v[66:67]
	v_add_f64_e64 v[72:73], v[66:67], -v[68:69]
	v_add_f64_e64 v[54:55], v[54:55], -v[68:69]
	s_delay_alu instid0(VALU_DEP_3) | instskip(NEXT) | instid1(VALU_DEP_3)
	v_ldexp_f64 v[68:69], v[74:75], -2
	v_add_f64_e64 v[64:65], v[64:65], -v[72:73]
	v_add_f64_e32 v[72:73], v[76:77], v[56:57]
	s_delay_alu instid0(VALU_DEP_3) | instskip(NEXT) | instid1(VALU_DEP_3)
	v_cmp_neq_f64_e64 s3, 0x7ff00000, |v[68:69]|
	v_add_f64_e32 v[54:55], v[54:55], v[64:65]
	v_fract_f64_e32 v[64:65], v[68:69]
	s_delay_alu instid0(VALU_DEP_1) | instskip(NEXT) | instid1(VALU_DEP_1)
	v_ldexp_f64 v[64:65], v[64:65], 2
	v_cndmask_b32_e64 v64, 0, v64, s3
	v_add_f64_e64 v[60:61], v[74:75], -v[60:61]
	s_delay_alu instid0(VALU_DEP_3) | instskip(NEXT) | instid1(VALU_DEP_2)
	v_cndmask_b32_e64 v65, 0, v65, s3
	v_add_f64_e64 v[60:61], v[66:67], -v[60:61]
	v_add_f64_e32 v[66:67], v[72:73], v[54:55]
	s_delay_alu instid0(VALU_DEP_1) | instskip(SKIP_1) | instid1(VALU_DEP_2)
	v_add_f64_e32 v[68:69], v[60:61], v[66:67]
	v_add_f64_e64 v[78:79], v[66:67], -v[72:73]
	v_add_f64_e32 v[74:75], v[68:69], v[64:65]
	s_delay_alu instid0(VALU_DEP_2) | instskip(SKIP_2) | instid1(VALU_DEP_4)
	v_add_f64_e64 v[84:85], v[66:67], -v[78:79]
	v_add_f64_e64 v[54:55], v[54:55], -v[78:79]
	;; [unrolled: 1-line block ×3, first 2 shown]
	v_cmp_gt_f64_e64 s3, 0, v[74:75]
	v_add_f64_e64 v[74:75], v[72:73], -v[76:77]
	s_delay_alu instid0(VALU_DEP_3) | instskip(NEXT) | instid1(VALU_DEP_3)
	v_add_f64_e64 v[60:61], v[66:67], -v[60:61]
	v_cndmask_b32_e64 v23, 0, 0x40100000, s3
	s_delay_alu instid0(VALU_DEP_3) | instskip(SKIP_2) | instid1(VALU_DEP_4)
	v_add_f64_e64 v[82:83], v[72:73], -v[74:75]
	v_add_f64_e64 v[56:57], v[56:57], -v[74:75]
	;; [unrolled: 1-line block ×3, first 2 shown]
	v_add_f64_e32 v[64:65], v[64:65], v[22:23]
	s_delay_alu instid0(VALU_DEP_4) | instskip(NEXT) | instid1(VALU_DEP_3)
	v_add_f64_e64 v[74:75], v[76:77], -v[82:83]
	v_add_f64_e32 v[54:55], v[54:55], v[72:73]
	s_delay_alu instid0(VALU_DEP_3) | instskip(NEXT) | instid1(VALU_DEP_3)
	v_add_f64_e32 v[80:81], v[68:69], v[64:65]
	v_add_f64_e32 v[56:57], v[56:57], v[74:75]
	s_delay_alu instid0(VALU_DEP_2) | instskip(NEXT) | instid1(VALU_DEP_2)
	v_cvt_i32_f64_e32 v23, v[80:81]
	v_add_f64_e32 v[54:55], v[56:57], v[54:55]
	s_delay_alu instid0(VALU_DEP_2) | instskip(NEXT) | instid1(VALU_DEP_2)
	v_cvt_f64_i32_e32 v[78:79], v23
	v_add_f64_e32 v[52:53], v[52:53], v[54:55]
	s_delay_alu instid0(VALU_DEP_2) | instskip(NEXT) | instid1(VALU_DEP_2)
	v_add_f64_e64 v[64:65], v[64:65], -v[78:79]
	v_add_f64_e32 v[52:53], v[60:61], v[52:53]
	s_delay_alu instid0(VALU_DEP_2) | instskip(NEXT) | instid1(VALU_DEP_1)
	v_add_f64_e32 v[56:57], v[68:69], v[64:65]
	v_add_f64_e64 v[54:55], v[56:57], -v[64:65]
	v_cmp_le_f64_e64 s3, 0.5, v[56:57]
	s_delay_alu instid0(VALU_DEP_2) | instskip(NEXT) | instid1(VALU_DEP_2)
	v_add_f64_e64 v[54:55], v[68:69], -v[54:55]
	v_add_co_ci_u32_e64 v98, null, 0, v23, s3
	v_cndmask_b32_e64 v23, 0, 0x3ff00000, s3
	s_delay_alu instid0(VALU_DEP_3) | instskip(NEXT) | instid1(VALU_DEP_2)
	v_add_f64_e32 v[52:53], v[52:53], v[54:55]
	v_add_f64_e64 v[54:55], v[56:57], -v[22:23]
	s_delay_alu instid0(VALU_DEP_1) | instskip(NEXT) | instid1(VALU_DEP_1)
	v_add_f64_e32 v[56:57], v[54:55], v[52:53]
	v_mul_f64_e32 v[60:61], 0x3ff921fb54442d18, v[56:57]
	v_add_f64_e64 v[54:55], v[56:57], -v[54:55]
	s_delay_alu instid0(VALU_DEP_2) | instskip(NEXT) | instid1(VALU_DEP_2)
	v_fma_f64 v[64:65], v[56:57], s[12:13], -v[60:61]
	v_add_f64_e64 v[52:53], v[52:53], -v[54:55]
	s_delay_alu instid0(VALU_DEP_2) | instskip(NEXT) | instid1(VALU_DEP_1)
	v_fmac_f64_e32 v[64:65], 0x3c91a62633145c07, v[56:57]
	v_fmac_f64_e32 v[64:65], 0x3ff921fb54442d18, v[52:53]
	s_delay_alu instid0(VALU_DEP_1) | instskip(NEXT) | instid1(VALU_DEP_1)
	v_add_f64_e32 v[52:53], v[60:61], v[64:65]
	v_add_f64_e64 v[54:55], v[52:53], -v[60:61]
	s_delay_alu instid0(VALU_DEP_1)
	v_add_f64_e64 v[56:57], v[64:65], -v[54:55]
.LBB143_79:                             ;   in Loop: Header=BB143_57 Depth=1
	s_and_not1_saveexec_b32 s3, s4
	s_cbranch_execz .LBB143_81
; %bb.80:                               ;   in Loop: Header=BB143_57 Depth=1
	v_mul_f64_e64 v[52:53], |v[44:45]|, s[18:19]
	s_delay_alu instid0(VALU_DEP_1) | instskip(NEXT) | instid1(VALU_DEP_1)
	v_rndne_f64_e32 v[54:55], v[52:53]
	v_fma_f64 v[52:53], v[54:55], s[20:21], |v[44:45]|
	v_mul_f64_e32 v[56:57], 0xbc91a62633145c00, v[54:55]
	v_cvt_i32_f64_e32 v98, v[54:55]
	s_delay_alu instid0(VALU_DEP_3) | instskip(NEXT) | instid1(VALU_DEP_3)
	v_fmamk_f64 v[66:67], v[54:55], 0xbc91a62633145c00, v[52:53]
	v_add_f64_e32 v[60:61], v[52:53], v[56:57]
	s_delay_alu instid0(VALU_DEP_1) | instskip(NEXT) | instid1(VALU_DEP_3)
	v_add_f64_e64 v[64:65], v[52:53], -v[60:61]
	v_add_f64_e64 v[52:53], v[60:61], -v[66:67]
	s_delay_alu instid0(VALU_DEP_2) | instskip(SKIP_1) | instid1(VALU_DEP_2)
	v_add_f64_e32 v[60:61], v[64:65], v[56:57]
	v_fmamk_f64 v[56:57], v[54:55], 0x3c91a62633145c00, v[56:57]
	v_add_f64_e32 v[52:53], v[52:53], v[60:61]
	s_delay_alu instid0(VALU_DEP_1) | instskip(NEXT) | instid1(VALU_DEP_1)
	v_add_f64_e64 v[56:57], v[52:53], -v[56:57]
	v_fmac_f64_e32 v[56:57], 0xb97b839a252049c0, v[54:55]
	s_delay_alu instid0(VALU_DEP_1) | instskip(NEXT) | instid1(VALU_DEP_1)
	v_add_f64_e32 v[52:53], v[66:67], v[56:57]
	v_add_f64_e64 v[60:61], v[52:53], -v[66:67]
	s_delay_alu instid0(VALU_DEP_1)
	v_add_f64_e64 v[56:57], v[56:57], -v[60:61]
.LBB143_81:                             ;   in Loop: Header=BB143_57 Depth=1
	s_or_b32 exec_lo, exec_lo, s3
	v_cmp_ngt_f64_e64 s4, 0x41d00000, |v[12:13]|
                                        ; implicit-def: $vgpr100
                                        ; implicit-def: $vgpr60_vgpr61
                                        ; implicit-def: $vgpr64_vgpr65
	s_and_saveexec_b32 s3, s4
	s_delay_alu instid0(SALU_CYCLE_1)
	s_xor_b32 s5, exec_lo, s3
	s_cbranch_execz .LBB143_83
; %bb.82:                               ;   in Loop: Header=BB143_57 Depth=1
	v_ldexp_f64 v[54:55], |v[12:13]|, 0xffffff80
	v_cmp_le_f64_e64 s3, 0x7b000000, |v[12:13]|
	v_trig_preop_f64 v[60:61], |v[12:13]|, 0
	v_and_b32_e32 v23, 0x7fffffff, v13
	v_trig_preop_f64 v[64:65], |v[12:13]|, 1
	v_trig_preop_f64 v[74:75], |v[12:13]|, 2
	s_delay_alu instid0(VALU_DEP_3) | instskip(NEXT) | instid1(VALU_DEP_1)
	v_dual_cndmask_b32 v55, v23, v55, s3 :: v_dual_cndmask_b32 v54, v12, v54, s3
	v_mul_f64_e32 v[66:67], v[60:61], v[54:55]
	s_delay_alu instid0(VALU_DEP_4) | instskip(NEXT) | instid1(VALU_DEP_4)
	v_mul_f64_e32 v[68:69], v[64:65], v[54:55]
	v_mul_f64_e32 v[80:81], v[74:75], v[54:55]
	s_delay_alu instid0(VALU_DEP_3) | instskip(NEXT) | instid1(VALU_DEP_3)
	v_fma_f64 v[60:61], v[60:61], v[54:55], -v[66:67]
	v_fma_f64 v[64:65], v[64:65], v[54:55], -v[68:69]
	s_delay_alu instid0(VALU_DEP_3) | instskip(NEXT) | instid1(VALU_DEP_3)
	v_fma_f64 v[54:55], v[74:75], v[54:55], -v[80:81]
	v_add_f64_e32 v[70:71], v[68:69], v[60:61]
	s_delay_alu instid0(VALU_DEP_1) | instskip(SKIP_1) | instid1(VALU_DEP_2)
	v_add_f64_e64 v[72:73], v[70:71], -v[68:69]
	v_add_f64_e32 v[78:79], v[66:67], v[70:71]
	v_add_f64_e64 v[76:77], v[70:71], -v[72:73]
	v_add_f64_e64 v[60:61], v[60:61], -v[72:73]
	s_delay_alu instid0(VALU_DEP_3) | instskip(NEXT) | instid1(VALU_DEP_3)
	v_ldexp_f64 v[72:73], v[78:79], -2
	v_add_f64_e64 v[68:69], v[68:69], -v[76:77]
	v_add_f64_e32 v[76:77], v[80:81], v[64:65]
	s_delay_alu instid0(VALU_DEP_3) | instskip(NEXT) | instid1(VALU_DEP_3)
	v_cmp_neq_f64_e64 s3, 0x7ff00000, |v[72:73]|
	v_add_f64_e32 v[60:61], v[60:61], v[68:69]
	v_fract_f64_e32 v[68:69], v[72:73]
	s_delay_alu instid0(VALU_DEP_1) | instskip(NEXT) | instid1(VALU_DEP_1)
	v_ldexp_f64 v[68:69], v[68:69], 2
	v_dual_add_f64 v[66:67], v[78:79], -v[66:67] :: v_dual_cndmask_b32 v69, 0, v69, s3
	s_delay_alu instid0(VALU_DEP_1) | instskip(SKIP_1) | instid1(VALU_DEP_1)
	v_dual_add_f64 v[66:67], v[70:71], -v[66:67] :: v_dual_cndmask_b32 v68, 0, v68, s3
	v_add_f64_e32 v[70:71], v[76:77], v[60:61]
	v_add_f64_e32 v[72:73], v[66:67], v[70:71]
	v_add_f64_e64 v[82:83], v[70:71], -v[76:77]
	s_delay_alu instid0(VALU_DEP_2) | instskip(NEXT) | instid1(VALU_DEP_2)
	v_add_f64_e32 v[78:79], v[72:73], v[68:69]
	v_add_f64_e64 v[88:89], v[70:71], -v[82:83]
	v_add_f64_e64 v[60:61], v[60:61], -v[82:83]
	;; [unrolled: 1-line block ×3, first 2 shown]
	s_delay_alu instid0(VALU_DEP_4) | instskip(SKIP_1) | instid1(VALU_DEP_3)
	v_cmp_gt_f64_e64 s3, 0, v[78:79]
	v_add_f64_e64 v[78:79], v[76:77], -v[80:81]
	v_add_f64_e64 v[66:67], v[70:71], -v[66:67]
	s_delay_alu instid0(VALU_DEP_3) | instskip(NEXT) | instid1(VALU_DEP_3)
	v_cndmask_b32_e64 v23, 0, 0x40100000, s3
	v_add_f64_e64 v[86:87], v[76:77], -v[78:79]
	v_add_f64_e64 v[64:65], v[64:65], -v[78:79]
	;; [unrolled: 1-line block ×3, first 2 shown]
	s_delay_alu instid0(VALU_DEP_4) | instskip(NEXT) | instid1(VALU_DEP_4)
	v_add_f64_e32 v[68:69], v[68:69], v[22:23]
	v_add_f64_e64 v[78:79], v[80:81], -v[86:87]
	s_delay_alu instid0(VALU_DEP_3) | instskip(NEXT) | instid1(VALU_DEP_3)
	v_add_f64_e32 v[60:61], v[60:61], v[76:77]
	v_add_f64_e32 v[84:85], v[72:73], v[68:69]
	s_delay_alu instid0(VALU_DEP_3) | instskip(NEXT) | instid1(VALU_DEP_2)
	v_add_f64_e32 v[64:65], v[64:65], v[78:79]
	v_cvt_i32_f64_e32 v23, v[84:85]
	s_delay_alu instid0(VALU_DEP_2) | instskip(NEXT) | instid1(VALU_DEP_2)
	v_add_f64_e32 v[60:61], v[64:65], v[60:61]
	v_cvt_f64_i32_e32 v[82:83], v23
	s_delay_alu instid0(VALU_DEP_2) | instskip(NEXT) | instid1(VALU_DEP_2)
	v_add_f64_e32 v[54:55], v[54:55], v[60:61]
	v_add_f64_e64 v[68:69], v[68:69], -v[82:83]
	s_delay_alu instid0(VALU_DEP_2) | instskip(NEXT) | instid1(VALU_DEP_2)
	v_add_f64_e32 v[54:55], v[66:67], v[54:55]
	v_add_f64_e32 v[64:65], v[72:73], v[68:69]
	s_delay_alu instid0(VALU_DEP_1) | instskip(SKIP_1) | instid1(VALU_DEP_2)
	v_add_f64_e64 v[60:61], v[64:65], -v[68:69]
	v_cmp_le_f64_e64 s3, 0.5, v[64:65]
	v_add_f64_e64 v[60:61], v[72:73], -v[60:61]
	s_delay_alu instid0(VALU_DEP_2) | instskip(SKIP_1) | instid1(VALU_DEP_3)
	v_add_co_ci_u32_e64 v100, null, 0, v23, s3
	v_cndmask_b32_e64 v23, 0, 0x3ff00000, s3
	v_add_f64_e32 v[54:55], v[54:55], v[60:61]
	s_delay_alu instid0(VALU_DEP_2) | instskip(NEXT) | instid1(VALU_DEP_1)
	v_add_f64_e64 v[60:61], v[64:65], -v[22:23]
	v_add_f64_e32 v[64:65], v[60:61], v[54:55]
	s_delay_alu instid0(VALU_DEP_1) | instskip(SKIP_1) | instid1(VALU_DEP_2)
	v_mul_f64_e32 v[66:67], 0x3ff921fb54442d18, v[64:65]
	v_add_f64_e64 v[60:61], v[64:65], -v[60:61]
	v_fma_f64 v[68:69], v[64:65], s[12:13], -v[66:67]
	s_delay_alu instid0(VALU_DEP_2) | instskip(NEXT) | instid1(VALU_DEP_2)
	v_add_f64_e64 v[54:55], v[54:55], -v[60:61]
	v_fmac_f64_e32 v[68:69], 0x3c91a62633145c07, v[64:65]
	s_delay_alu instid0(VALU_DEP_1) | instskip(NEXT) | instid1(VALU_DEP_1)
	v_fmac_f64_e32 v[68:69], 0x3ff921fb54442d18, v[54:55]
	v_add_f64_e32 v[60:61], v[66:67], v[68:69]
	s_delay_alu instid0(VALU_DEP_1) | instskip(NEXT) | instid1(VALU_DEP_1)
	v_add_f64_e64 v[54:55], v[60:61], -v[66:67]
	v_add_f64_e64 v[64:65], v[68:69], -v[54:55]
	s_and_not1_saveexec_b32 s3, s5
	s_cbranch_execz .LBB143_85
	s_branch .LBB143_84
.LBB143_83:                             ;   in Loop: Header=BB143_57 Depth=1
	s_and_not1_saveexec_b32 s3, s5
	s_cbranch_execz .LBB143_85
.LBB143_84:                             ;   in Loop: Header=BB143_57 Depth=1
	v_mul_f64_e64 v[54:55], |v[12:13]|, s[18:19]
	s_delay_alu instid0(VALU_DEP_1) | instskip(NEXT) | instid1(VALU_DEP_1)
	v_rndne_f64_e32 v[54:55], v[54:55]
	v_fma_f64 v[60:61], v[54:55], s[20:21], |v[12:13]|
	v_mul_f64_e32 v[64:65], 0xbc91a62633145c00, v[54:55]
	v_cvt_i32_f64_e32 v100, v[54:55]
	s_delay_alu instid0(VALU_DEP_3) | instskip(NEXT) | instid1(VALU_DEP_3)
	v_fmamk_f64 v[70:71], v[54:55], 0xbc91a62633145c00, v[60:61]
	v_add_f64_e32 v[66:67], v[60:61], v[64:65]
	s_delay_alu instid0(VALU_DEP_1) | instskip(NEXT) | instid1(VALU_DEP_3)
	v_add_f64_e64 v[68:69], v[60:61], -v[66:67]
	v_add_f64_e64 v[60:61], v[66:67], -v[70:71]
	s_delay_alu instid0(VALU_DEP_2) | instskip(SKIP_1) | instid1(VALU_DEP_2)
	v_add_f64_e32 v[66:67], v[68:69], v[64:65]
	v_fmamk_f64 v[64:65], v[54:55], 0x3c91a62633145c00, v[64:65]
	v_add_f64_e32 v[60:61], v[60:61], v[66:67]
	s_delay_alu instid0(VALU_DEP_1) | instskip(NEXT) | instid1(VALU_DEP_1)
	v_add_f64_e64 v[64:65], v[60:61], -v[64:65]
	v_fmac_f64_e32 v[64:65], 0xb97b839a252049c0, v[54:55]
	s_delay_alu instid0(VALU_DEP_1) | instskip(NEXT) | instid1(VALU_DEP_1)
	v_add_f64_e32 v[60:61], v[70:71], v[64:65]
	v_add_f64_e64 v[66:67], v[60:61], -v[70:71]
	s_delay_alu instid0(VALU_DEP_1)
	v_add_f64_e64 v[64:65], v[64:65], -v[66:67]
.LBB143_85:                             ;   in Loop: Header=BB143_57 Depth=1
	s_or_b32 exec_lo, exec_lo, s3
                                        ; implicit-def: $vgpr102
                                        ; implicit-def: $vgpr72_vgpr73
                                        ; implicit-def: $vgpr76_vgpr77
	s_and_saveexec_b32 s3, s4
	s_delay_alu instid0(SALU_CYCLE_1)
	s_xor_b32 s4, exec_lo, s3
	s_cbranch_execz .LBB143_87
; %bb.86:                               ;   in Loop: Header=BB143_57 Depth=1
	v_ldexp_f64 v[54:55], |v[12:13]|, 0xffffff80
	v_cmp_le_f64_e64 s3, 0x7b000000, |v[12:13]|
	v_trig_preop_f64 v[66:67], |v[12:13]|, 0
	v_and_b32_e32 v23, 0x7fffffff, v13
	v_trig_preop_f64 v[68:69], |v[12:13]|, 1
	v_trig_preop_f64 v[78:79], |v[12:13]|, 2
	s_delay_alu instid0(VALU_DEP_3) | instskip(NEXT) | instid1(VALU_DEP_1)
	v_dual_cndmask_b32 v55, v23, v55, s3 :: v_dual_cndmask_b32 v54, v12, v54, s3
	v_mul_f64_e32 v[70:71], v[66:67], v[54:55]
	s_delay_alu instid0(VALU_DEP_4) | instskip(NEXT) | instid1(VALU_DEP_4)
	v_mul_f64_e32 v[72:73], v[68:69], v[54:55]
	v_mul_f64_e32 v[84:85], v[78:79], v[54:55]
	s_delay_alu instid0(VALU_DEP_3) | instskip(NEXT) | instid1(VALU_DEP_3)
	v_fma_f64 v[66:67], v[66:67], v[54:55], -v[70:71]
	v_fma_f64 v[68:69], v[68:69], v[54:55], -v[72:73]
	s_delay_alu instid0(VALU_DEP_3) | instskip(NEXT) | instid1(VALU_DEP_3)
	v_fma_f64 v[54:55], v[78:79], v[54:55], -v[84:85]
	v_add_f64_e32 v[74:75], v[72:73], v[66:67]
	s_delay_alu instid0(VALU_DEP_1) | instskip(SKIP_1) | instid1(VALU_DEP_2)
	v_add_f64_e64 v[76:77], v[74:75], -v[72:73]
	v_add_f64_e32 v[82:83], v[70:71], v[74:75]
	v_add_f64_e64 v[80:81], v[74:75], -v[76:77]
	v_add_f64_e64 v[66:67], v[66:67], -v[76:77]
	s_delay_alu instid0(VALU_DEP_3) | instskip(NEXT) | instid1(VALU_DEP_3)
	v_ldexp_f64 v[76:77], v[82:83], -2
	v_add_f64_e64 v[72:73], v[72:73], -v[80:81]
	v_add_f64_e32 v[80:81], v[84:85], v[68:69]
	s_delay_alu instid0(VALU_DEP_3) | instskip(NEXT) | instid1(VALU_DEP_3)
	v_cmp_neq_f64_e64 s3, 0x7ff00000, |v[76:77]|
	v_add_f64_e32 v[66:67], v[66:67], v[72:73]
	v_fract_f64_e32 v[72:73], v[76:77]
	s_delay_alu instid0(VALU_DEP_1) | instskip(NEXT) | instid1(VALU_DEP_1)
	v_ldexp_f64 v[72:73], v[72:73], 2
	v_dual_add_f64 v[70:71], v[82:83], -v[70:71] :: v_dual_cndmask_b32 v73, 0, v73, s3
	s_delay_alu instid0(VALU_DEP_1) | instskip(SKIP_1) | instid1(VALU_DEP_1)
	v_dual_add_f64 v[70:71], v[74:75], -v[70:71] :: v_dual_cndmask_b32 v72, 0, v72, s3
	v_add_f64_e32 v[74:75], v[80:81], v[66:67]
	v_add_f64_e32 v[76:77], v[70:71], v[74:75]
	v_add_f64_e64 v[86:87], v[74:75], -v[80:81]
	s_delay_alu instid0(VALU_DEP_2) | instskip(NEXT) | instid1(VALU_DEP_2)
	v_add_f64_e32 v[82:83], v[76:77], v[72:73]
	v_add_f64_e64 v[92:93], v[74:75], -v[86:87]
	v_add_f64_e64 v[66:67], v[66:67], -v[86:87]
	;; [unrolled: 1-line block ×3, first 2 shown]
	s_delay_alu instid0(VALU_DEP_4) | instskip(SKIP_1) | instid1(VALU_DEP_3)
	v_cmp_gt_f64_e64 s3, 0, v[82:83]
	v_add_f64_e64 v[82:83], v[80:81], -v[84:85]
	v_add_f64_e64 v[70:71], v[74:75], -v[70:71]
	s_delay_alu instid0(VALU_DEP_3) | instskip(NEXT) | instid1(VALU_DEP_3)
	v_cndmask_b32_e64 v23, 0, 0x40100000, s3
	v_add_f64_e64 v[90:91], v[80:81], -v[82:83]
	v_add_f64_e64 v[68:69], v[68:69], -v[82:83]
	;; [unrolled: 1-line block ×3, first 2 shown]
	s_delay_alu instid0(VALU_DEP_4) | instskip(NEXT) | instid1(VALU_DEP_4)
	v_add_f64_e32 v[72:73], v[72:73], v[22:23]
	v_add_f64_e64 v[82:83], v[84:85], -v[90:91]
	s_delay_alu instid0(VALU_DEP_3) | instskip(NEXT) | instid1(VALU_DEP_3)
	v_add_f64_e32 v[66:67], v[66:67], v[80:81]
	v_add_f64_e32 v[88:89], v[76:77], v[72:73]
	s_delay_alu instid0(VALU_DEP_3) | instskip(NEXT) | instid1(VALU_DEP_2)
	v_add_f64_e32 v[68:69], v[68:69], v[82:83]
	v_cvt_i32_f64_e32 v23, v[88:89]
	s_delay_alu instid0(VALU_DEP_2) | instskip(NEXT) | instid1(VALU_DEP_2)
	v_add_f64_e32 v[66:67], v[68:69], v[66:67]
	v_cvt_f64_i32_e32 v[86:87], v23
	s_delay_alu instid0(VALU_DEP_2) | instskip(NEXT) | instid1(VALU_DEP_2)
	v_add_f64_e32 v[54:55], v[54:55], v[66:67]
	v_add_f64_e64 v[72:73], v[72:73], -v[86:87]
	s_delay_alu instid0(VALU_DEP_2) | instskip(NEXT) | instid1(VALU_DEP_2)
	v_add_f64_e32 v[54:55], v[70:71], v[54:55]
	v_add_f64_e32 v[68:69], v[76:77], v[72:73]
	s_delay_alu instid0(VALU_DEP_1) | instskip(SKIP_1) | instid1(VALU_DEP_2)
	v_add_f64_e64 v[66:67], v[68:69], -v[72:73]
	v_cmp_le_f64_e64 s3, 0.5, v[68:69]
	v_add_f64_e64 v[66:67], v[76:77], -v[66:67]
	s_delay_alu instid0(VALU_DEP_2) | instskip(SKIP_1) | instid1(VALU_DEP_3)
	v_add_co_ci_u32_e64 v102, null, 0, v23, s3
	v_cndmask_b32_e64 v23, 0, 0x3ff00000, s3
	v_add_f64_e32 v[54:55], v[54:55], v[66:67]
	s_delay_alu instid0(VALU_DEP_2) | instskip(NEXT) | instid1(VALU_DEP_1)
	v_add_f64_e64 v[66:67], v[68:69], -v[22:23]
	v_add_f64_e32 v[68:69], v[66:67], v[54:55]
	s_delay_alu instid0(VALU_DEP_1) | instskip(SKIP_1) | instid1(VALU_DEP_2)
	v_mul_f64_e32 v[70:71], 0x3ff921fb54442d18, v[68:69]
	v_add_f64_e64 v[66:67], v[68:69], -v[66:67]
	v_fma_f64 v[74:75], v[68:69], s[12:13], -v[70:71]
	s_delay_alu instid0(VALU_DEP_2) | instskip(NEXT) | instid1(VALU_DEP_2)
	v_add_f64_e64 v[54:55], v[54:55], -v[66:67]
	v_fmac_f64_e32 v[74:75], 0x3c91a62633145c07, v[68:69]
	s_delay_alu instid0(VALU_DEP_1) | instskip(NEXT) | instid1(VALU_DEP_1)
	v_fmac_f64_e32 v[74:75], 0x3ff921fb54442d18, v[54:55]
	v_add_f64_e32 v[72:73], v[70:71], v[74:75]
	s_delay_alu instid0(VALU_DEP_1) | instskip(NEXT) | instid1(VALU_DEP_1)
	v_add_f64_e64 v[54:55], v[72:73], -v[70:71]
	v_add_f64_e64 v[76:77], v[74:75], -v[54:55]
	s_and_not1_saveexec_b32 s3, s4
	s_cbranch_execnz .LBB143_88
	s_branch .LBB143_89
.LBB143_87:                             ;   in Loop: Header=BB143_57 Depth=1
	s_and_not1_saveexec_b32 s3, s4
	s_cbranch_execz .LBB143_89
.LBB143_88:                             ;   in Loop: Header=BB143_57 Depth=1
	v_mul_f64_e64 v[54:55], |v[12:13]|, s[18:19]
	s_delay_alu instid0(VALU_DEP_1) | instskip(NEXT) | instid1(VALU_DEP_1)
	v_rndne_f64_e32 v[54:55], v[54:55]
	v_fma_f64 v[66:67], v[54:55], s[20:21], |v[12:13]|
	v_mul_f64_e32 v[68:69], 0xbc91a62633145c00, v[54:55]
	v_cvt_i32_f64_e32 v102, v[54:55]
	s_delay_alu instid0(VALU_DEP_2) | instskip(NEXT) | instid1(VALU_DEP_1)
	v_add_f64_e32 v[70:71], v[66:67], v[68:69]
	v_add_f64_e64 v[72:73], v[66:67], -v[70:71]
	v_fmamk_f64 v[66:67], v[54:55], 0xbc91a62633145c00, v[66:67]
	s_delay_alu instid0(VALU_DEP_1) | instskip(NEXT) | instid1(VALU_DEP_3)
	v_add_f64_e64 v[70:71], v[70:71], -v[66:67]
	v_add_f64_e32 v[72:73], v[72:73], v[68:69]
	v_fmamk_f64 v[68:69], v[54:55], 0x3c91a62633145c00, v[68:69]
	s_delay_alu instid0(VALU_DEP_2) | instskip(NEXT) | instid1(VALU_DEP_1)
	v_add_f64_e32 v[70:71], v[70:71], v[72:73]
	v_add_f64_e64 v[68:69], v[70:71], -v[68:69]
	s_delay_alu instid0(VALU_DEP_1) | instskip(NEXT) | instid1(VALU_DEP_1)
	v_fmac_f64_e32 v[68:69], 0xb97b839a252049c0, v[54:55]
	v_add_f64_e32 v[72:73], v[66:67], v[68:69]
	s_delay_alu instid0(VALU_DEP_1) | instskip(NEXT) | instid1(VALU_DEP_1)
	v_add_f64_e64 v[66:67], v[72:73], -v[66:67]
	v_add_f64_e64 v[76:77], v[68:69], -v[66:67]
.LBB143_89:                             ;   in Loop: Header=BB143_57 Depth=1
	s_or_b32 exec_lo, exec_lo, s3
	v_mul_f64_e32 v[54:55], 0.5, v[8:9]
	s_mov_b32 s4, exec_lo
                                        ; implicit-def: $vgpr101
                                        ; implicit-def: $vgpr66_vgpr67
                                        ; implicit-def: $vgpr70_vgpr71
	s_delay_alu instid0(VALU_DEP_1)
	v_cmpx_ngt_f64_e64 0x41d00000, |v[54:55]|
	s_xor_b32 s4, exec_lo, s4
	s_cbranch_execz .LBB143_91
; %bb.90:                               ;   in Loop: Header=BB143_57 Depth=1
	v_ldexp_f64 v[66:67], |v[54:55]|, 0xffffff80
	v_cmp_le_f64_e64 s3, 0x7b000000, |v[54:55]|
	v_trig_preop_f64 v[68:69], |v[54:55]|, 0
	v_and_b32_e32 v23, 0x7fffffff, v55
	v_trig_preop_f64 v[70:71], |v[54:55]|, 1
	v_trig_preop_f64 v[84:85], |v[54:55]|, 2
	s_delay_alu instid0(VALU_DEP_3) | instskip(NEXT) | instid1(VALU_DEP_1)
	v_dual_cndmask_b32 v67, v23, v67, s3 :: v_dual_cndmask_b32 v66, v54, v66, s3
	v_mul_f64_e32 v[74:75], v[68:69], v[66:67]
	s_delay_alu instid0(VALU_DEP_4) | instskip(NEXT) | instid1(VALU_DEP_4)
	v_mul_f64_e32 v[78:79], v[70:71], v[66:67]
	v_mul_f64_e32 v[90:91], v[84:85], v[66:67]
	s_delay_alu instid0(VALU_DEP_3) | instskip(NEXT) | instid1(VALU_DEP_3)
	v_fma_f64 v[68:69], v[68:69], v[66:67], -v[74:75]
	v_fma_f64 v[70:71], v[70:71], v[66:67], -v[78:79]
	s_delay_alu instid0(VALU_DEP_3) | instskip(NEXT) | instid1(VALU_DEP_3)
	v_fma_f64 v[66:67], v[84:85], v[66:67], -v[90:91]
	v_add_f64_e32 v[80:81], v[78:79], v[68:69]
	s_delay_alu instid0(VALU_DEP_1) | instskip(SKIP_1) | instid1(VALU_DEP_2)
	v_add_f64_e64 v[82:83], v[80:81], -v[78:79]
	v_add_f64_e32 v[88:89], v[74:75], v[80:81]
	v_add_f64_e64 v[86:87], v[80:81], -v[82:83]
	v_add_f64_e64 v[68:69], v[68:69], -v[82:83]
	s_delay_alu instid0(VALU_DEP_3) | instskip(NEXT) | instid1(VALU_DEP_3)
	v_ldexp_f64 v[82:83], v[88:89], -2
	v_add_f64_e64 v[78:79], v[78:79], -v[86:87]
	v_add_f64_e32 v[86:87], v[90:91], v[70:71]
	s_delay_alu instid0(VALU_DEP_3) | instskip(NEXT) | instid1(VALU_DEP_3)
	v_cmp_neq_f64_e64 s3, 0x7ff00000, |v[82:83]|
	v_add_f64_e32 v[68:69], v[68:69], v[78:79]
	v_fract_f64_e32 v[78:79], v[82:83]
	s_delay_alu instid0(VALU_DEP_1) | instskip(NEXT) | instid1(VALU_DEP_1)
	v_ldexp_f64 v[78:79], v[78:79], 2
	v_cndmask_b32_e64 v78, 0, v78, s3
	v_add_f64_e64 v[74:75], v[88:89], -v[74:75]
	s_delay_alu instid0(VALU_DEP_3) | instskip(NEXT) | instid1(VALU_DEP_2)
	v_cndmask_b32_e64 v79, 0, v79, s3
	v_add_f64_e64 v[74:75], v[80:81], -v[74:75]
	v_add_f64_e32 v[80:81], v[86:87], v[68:69]
	s_delay_alu instid0(VALU_DEP_1) | instskip(SKIP_1) | instid1(VALU_DEP_2)
	v_add_f64_e32 v[82:83], v[74:75], v[80:81]
	v_add_f64_e64 v[92:93], v[80:81], -v[86:87]
	v_add_f64_e32 v[88:89], v[82:83], v[78:79]
	s_delay_alu instid0(VALU_DEP_2) | instskip(SKIP_2) | instid1(VALU_DEP_4)
	v_add_f64_e64 v[106:107], v[80:81], -v[92:93]
	v_add_f64_e64 v[68:69], v[68:69], -v[92:93]
	;; [unrolled: 1-line block ×3, first 2 shown]
	v_cmp_gt_f64_e64 s3, 0, v[88:89]
	v_add_f64_e64 v[88:89], v[86:87], -v[90:91]
	s_delay_alu instid0(VALU_DEP_3) | instskip(NEXT) | instid1(VALU_DEP_3)
	v_add_f64_e64 v[74:75], v[80:81], -v[74:75]
	v_cndmask_b32_e64 v23, 0, 0x40100000, s3
	s_delay_alu instid0(VALU_DEP_3) | instskip(SKIP_2) | instid1(VALU_DEP_4)
	v_add_f64_e64 v[104:105], v[86:87], -v[88:89]
	v_add_f64_e64 v[70:71], v[70:71], -v[88:89]
	;; [unrolled: 1-line block ×3, first 2 shown]
	v_add_f64_e32 v[78:79], v[78:79], v[22:23]
	s_delay_alu instid0(VALU_DEP_4) | instskip(NEXT) | instid1(VALU_DEP_3)
	v_add_f64_e64 v[88:89], v[90:91], -v[104:105]
	v_add_f64_e32 v[68:69], v[68:69], v[86:87]
	s_delay_alu instid0(VALU_DEP_3) | instskip(NEXT) | instid1(VALU_DEP_3)
	v_add_f64_e32 v[94:95], v[82:83], v[78:79]
	v_add_f64_e32 v[70:71], v[70:71], v[88:89]
	s_delay_alu instid0(VALU_DEP_2) | instskip(NEXT) | instid1(VALU_DEP_2)
	v_cvt_i32_f64_e32 v23, v[94:95]
	v_add_f64_e32 v[68:69], v[70:71], v[68:69]
	s_delay_alu instid0(VALU_DEP_2) | instskip(NEXT) | instid1(VALU_DEP_2)
	v_cvt_f64_i32_e32 v[92:93], v23
	v_add_f64_e32 v[66:67], v[66:67], v[68:69]
	s_delay_alu instid0(VALU_DEP_2) | instskip(NEXT) | instid1(VALU_DEP_2)
	v_add_f64_e64 v[78:79], v[78:79], -v[92:93]
	v_add_f64_e32 v[66:67], v[74:75], v[66:67]
	s_delay_alu instid0(VALU_DEP_2) | instskip(NEXT) | instid1(VALU_DEP_1)
	v_add_f64_e32 v[70:71], v[82:83], v[78:79]
	v_add_f64_e64 v[68:69], v[70:71], -v[78:79]
	v_cmp_le_f64_e64 s3, 0.5, v[70:71]
	s_delay_alu instid0(VALU_DEP_2) | instskip(NEXT) | instid1(VALU_DEP_2)
	v_add_f64_e64 v[68:69], v[82:83], -v[68:69]
	v_add_co_ci_u32_e64 v101, null, 0, v23, s3
	v_cndmask_b32_e64 v23, 0, 0x3ff00000, s3
	s_delay_alu instid0(VALU_DEP_3) | instskip(NEXT) | instid1(VALU_DEP_2)
	v_add_f64_e32 v[66:67], v[66:67], v[68:69]
	v_add_f64_e64 v[68:69], v[70:71], -v[22:23]
	s_delay_alu instid0(VALU_DEP_1) | instskip(NEXT) | instid1(VALU_DEP_1)
	v_add_f64_e32 v[70:71], v[68:69], v[66:67]
	v_mul_f64_e32 v[74:75], 0x3ff921fb54442d18, v[70:71]
	v_add_f64_e64 v[68:69], v[70:71], -v[68:69]
	s_delay_alu instid0(VALU_DEP_2) | instskip(NEXT) | instid1(VALU_DEP_2)
	v_fma_f64 v[78:79], v[70:71], s[12:13], -v[74:75]
	v_add_f64_e64 v[66:67], v[66:67], -v[68:69]
	s_delay_alu instid0(VALU_DEP_2) | instskip(NEXT) | instid1(VALU_DEP_1)
	v_fmac_f64_e32 v[78:79], 0x3c91a62633145c07, v[70:71]
	v_fmac_f64_e32 v[78:79], 0x3ff921fb54442d18, v[66:67]
	s_delay_alu instid0(VALU_DEP_1) | instskip(NEXT) | instid1(VALU_DEP_1)
	v_add_f64_e32 v[66:67], v[74:75], v[78:79]
	v_add_f64_e64 v[68:69], v[66:67], -v[74:75]
	s_delay_alu instid0(VALU_DEP_1)
	v_add_f64_e64 v[70:71], v[78:79], -v[68:69]
.LBB143_91:                             ;   in Loop: Header=BB143_57 Depth=1
	s_and_not1_saveexec_b32 s3, s4
	s_cbranch_execz .LBB143_93
; %bb.92:                               ;   in Loop: Header=BB143_57 Depth=1
	v_mul_f64_e64 v[66:67], |v[54:55]|, s[18:19]
	s_delay_alu instid0(VALU_DEP_1) | instskip(NEXT) | instid1(VALU_DEP_1)
	v_rndne_f64_e32 v[68:69], v[66:67]
	v_fma_f64 v[66:67], v[68:69], s[20:21], |v[54:55]|
	v_mul_f64_e32 v[70:71], 0xbc91a62633145c00, v[68:69]
	v_cvt_i32_f64_e32 v101, v[68:69]
	s_delay_alu instid0(VALU_DEP_3) | instskip(NEXT) | instid1(VALU_DEP_3)
	v_fmamk_f64 v[80:81], v[68:69], 0xbc91a62633145c00, v[66:67]
	v_add_f64_e32 v[74:75], v[66:67], v[70:71]
	s_delay_alu instid0(VALU_DEP_1) | instskip(NEXT) | instid1(VALU_DEP_3)
	v_add_f64_e64 v[78:79], v[66:67], -v[74:75]
	v_add_f64_e64 v[66:67], v[74:75], -v[80:81]
	s_delay_alu instid0(VALU_DEP_2) | instskip(SKIP_1) | instid1(VALU_DEP_2)
	v_add_f64_e32 v[74:75], v[78:79], v[70:71]
	v_fmamk_f64 v[70:71], v[68:69], 0x3c91a62633145c00, v[70:71]
	v_add_f64_e32 v[66:67], v[66:67], v[74:75]
	s_delay_alu instid0(VALU_DEP_1) | instskip(NEXT) | instid1(VALU_DEP_1)
	v_add_f64_e64 v[70:71], v[66:67], -v[70:71]
	v_fmac_f64_e32 v[70:71], 0xb97b839a252049c0, v[68:69]
	s_delay_alu instid0(VALU_DEP_1) | instskip(NEXT) | instid1(VALU_DEP_1)
	v_add_f64_e32 v[66:67], v[80:81], v[70:71]
	v_add_f64_e64 v[74:75], v[66:67], -v[80:81]
	s_delay_alu instid0(VALU_DEP_1)
	v_add_f64_e64 v[70:71], v[70:71], -v[74:75]
.LBB143_93:                             ;   in Loop: Header=BB143_57 Depth=1
	s_or_b32 exec_lo, exec_lo, s3
	v_cmp_ngt_f64_e64 s4, 0x41d00000, |v[8:9]|
                                        ; implicit-def: $vgpr103
                                        ; implicit-def: $vgpr74_vgpr75
                                        ; implicit-def: $vgpr78_vgpr79
	s_and_saveexec_b32 s3, s4
	s_delay_alu instid0(SALU_CYCLE_1)
	s_xor_b32 s5, exec_lo, s3
	s_cbranch_execz .LBB143_95
; %bb.94:                               ;   in Loop: Header=BB143_57 Depth=1
	v_ldexp_f64 v[68:69], |v[8:9]|, 0xffffff80
	v_cmp_le_f64_e64 s3, 0x7b000000, |v[8:9]|
	v_trig_preop_f64 v[74:75], |v[8:9]|, 0
	v_and_b32_e32 v23, 0x7fffffff, v9
	v_trig_preop_f64 v[78:79], |v[8:9]|, 1
	v_trig_preop_f64 v[88:89], |v[8:9]|, 2
	s_delay_alu instid0(VALU_DEP_3) | instskip(NEXT) | instid1(VALU_DEP_1)
	v_dual_cndmask_b32 v69, v23, v69, s3 :: v_dual_cndmask_b32 v68, v8, v68, s3
	v_mul_f64_e32 v[80:81], v[74:75], v[68:69]
	s_delay_alu instid0(VALU_DEP_4) | instskip(NEXT) | instid1(VALU_DEP_4)
	v_mul_f64_e32 v[82:83], v[78:79], v[68:69]
	v_mul_f64_e32 v[94:95], v[88:89], v[68:69]
	s_delay_alu instid0(VALU_DEP_3) | instskip(NEXT) | instid1(VALU_DEP_3)
	v_fma_f64 v[74:75], v[74:75], v[68:69], -v[80:81]
	v_fma_f64 v[78:79], v[78:79], v[68:69], -v[82:83]
	s_delay_alu instid0(VALU_DEP_3) | instskip(NEXT) | instid1(VALU_DEP_3)
	v_fma_f64 v[68:69], v[88:89], v[68:69], -v[94:95]
	v_add_f64_e32 v[84:85], v[82:83], v[74:75]
	s_delay_alu instid0(VALU_DEP_1) | instskip(SKIP_1) | instid1(VALU_DEP_2)
	v_add_f64_e64 v[86:87], v[84:85], -v[82:83]
	v_add_f64_e32 v[92:93], v[80:81], v[84:85]
	v_add_f64_e64 v[90:91], v[84:85], -v[86:87]
	v_add_f64_e64 v[74:75], v[74:75], -v[86:87]
	s_delay_alu instid0(VALU_DEP_3) | instskip(NEXT) | instid1(VALU_DEP_3)
	v_ldexp_f64 v[86:87], v[92:93], -2
	v_add_f64_e64 v[82:83], v[82:83], -v[90:91]
	v_add_f64_e32 v[90:91], v[94:95], v[78:79]
	s_delay_alu instid0(VALU_DEP_3) | instskip(NEXT) | instid1(VALU_DEP_3)
	v_cmp_neq_f64_e64 s3, 0x7ff00000, |v[86:87]|
	v_add_f64_e32 v[74:75], v[74:75], v[82:83]
	v_fract_f64_e32 v[82:83], v[86:87]
	s_delay_alu instid0(VALU_DEP_1) | instskip(NEXT) | instid1(VALU_DEP_1)
	v_ldexp_f64 v[82:83], v[82:83], 2
	v_dual_add_f64 v[80:81], v[92:93], -v[80:81] :: v_dual_cndmask_b32 v83, 0, v83, s3
	s_delay_alu instid0(VALU_DEP_1) | instskip(SKIP_1) | instid1(VALU_DEP_1)
	v_dual_add_f64 v[80:81], v[84:85], -v[80:81] :: v_dual_cndmask_b32 v82, 0, v82, s3
	v_add_f64_e32 v[84:85], v[90:91], v[74:75]
	v_add_f64_e32 v[86:87], v[80:81], v[84:85]
	v_add_f64_e64 v[104:105], v[84:85], -v[90:91]
	s_delay_alu instid0(VALU_DEP_2) | instskip(NEXT) | instid1(VALU_DEP_2)
	v_add_f64_e32 v[92:93], v[86:87], v[82:83]
	v_add_f64_e64 v[110:111], v[84:85], -v[104:105]
	v_add_f64_e64 v[74:75], v[74:75], -v[104:105]
	;; [unrolled: 1-line block ×3, first 2 shown]
	s_delay_alu instid0(VALU_DEP_4) | instskip(SKIP_1) | instid1(VALU_DEP_3)
	v_cmp_gt_f64_e64 s3, 0, v[92:93]
	v_add_f64_e64 v[92:93], v[90:91], -v[94:95]
	v_add_f64_e64 v[80:81], v[84:85], -v[80:81]
	s_delay_alu instid0(VALU_DEP_3) | instskip(NEXT) | instid1(VALU_DEP_3)
	v_cndmask_b32_e64 v23, 0, 0x40100000, s3
	v_add_f64_e64 v[108:109], v[90:91], -v[92:93]
	v_add_f64_e64 v[78:79], v[78:79], -v[92:93]
	;; [unrolled: 1-line block ×3, first 2 shown]
	s_delay_alu instid0(VALU_DEP_4) | instskip(NEXT) | instid1(VALU_DEP_4)
	v_add_f64_e32 v[82:83], v[82:83], v[22:23]
	v_add_f64_e64 v[92:93], v[94:95], -v[108:109]
	s_delay_alu instid0(VALU_DEP_3) | instskip(NEXT) | instid1(VALU_DEP_3)
	v_add_f64_e32 v[74:75], v[74:75], v[90:91]
	v_add_f64_e32 v[106:107], v[86:87], v[82:83]
	s_delay_alu instid0(VALU_DEP_3) | instskip(NEXT) | instid1(VALU_DEP_2)
	v_add_f64_e32 v[78:79], v[78:79], v[92:93]
	v_cvt_i32_f64_e32 v23, v[106:107]
	s_delay_alu instid0(VALU_DEP_2) | instskip(NEXT) | instid1(VALU_DEP_2)
	v_add_f64_e32 v[74:75], v[78:79], v[74:75]
	v_cvt_f64_i32_e32 v[104:105], v23
	s_delay_alu instid0(VALU_DEP_2) | instskip(NEXT) | instid1(VALU_DEP_2)
	v_add_f64_e32 v[68:69], v[68:69], v[74:75]
	v_add_f64_e64 v[82:83], v[82:83], -v[104:105]
	s_delay_alu instid0(VALU_DEP_2) | instskip(NEXT) | instid1(VALU_DEP_2)
	v_add_f64_e32 v[68:69], v[80:81], v[68:69]
	v_add_f64_e32 v[78:79], v[86:87], v[82:83]
	s_delay_alu instid0(VALU_DEP_1) | instskip(SKIP_1) | instid1(VALU_DEP_2)
	v_add_f64_e64 v[74:75], v[78:79], -v[82:83]
	v_cmp_le_f64_e64 s3, 0.5, v[78:79]
	v_add_f64_e64 v[74:75], v[86:87], -v[74:75]
	s_delay_alu instid0(VALU_DEP_2) | instskip(SKIP_1) | instid1(VALU_DEP_3)
	v_add_co_ci_u32_e64 v103, null, 0, v23, s3
	v_cndmask_b32_e64 v23, 0, 0x3ff00000, s3
	v_add_f64_e32 v[68:69], v[68:69], v[74:75]
	s_delay_alu instid0(VALU_DEP_2) | instskip(NEXT) | instid1(VALU_DEP_1)
	v_add_f64_e64 v[74:75], v[78:79], -v[22:23]
	v_add_f64_e32 v[78:79], v[74:75], v[68:69]
	s_delay_alu instid0(VALU_DEP_1) | instskip(SKIP_1) | instid1(VALU_DEP_2)
	v_mul_f64_e32 v[80:81], 0x3ff921fb54442d18, v[78:79]
	v_add_f64_e64 v[74:75], v[78:79], -v[74:75]
	v_fma_f64 v[82:83], v[78:79], s[12:13], -v[80:81]
	s_delay_alu instid0(VALU_DEP_2) | instskip(NEXT) | instid1(VALU_DEP_2)
	v_add_f64_e64 v[68:69], v[68:69], -v[74:75]
	v_fmac_f64_e32 v[82:83], 0x3c91a62633145c07, v[78:79]
	s_delay_alu instid0(VALU_DEP_1) | instskip(NEXT) | instid1(VALU_DEP_1)
	v_fmac_f64_e32 v[82:83], 0x3ff921fb54442d18, v[68:69]
	v_add_f64_e32 v[74:75], v[80:81], v[82:83]
	s_delay_alu instid0(VALU_DEP_1) | instskip(NEXT) | instid1(VALU_DEP_1)
	v_add_f64_e64 v[68:69], v[74:75], -v[80:81]
	v_add_f64_e64 v[78:79], v[82:83], -v[68:69]
	s_and_not1_saveexec_b32 s3, s5
	s_cbranch_execz .LBB143_97
	s_branch .LBB143_96
.LBB143_95:                             ;   in Loop: Header=BB143_57 Depth=1
	s_and_not1_saveexec_b32 s3, s5
	s_cbranch_execz .LBB143_97
.LBB143_96:                             ;   in Loop: Header=BB143_57 Depth=1
	v_mul_f64_e64 v[68:69], |v[8:9]|, s[18:19]
	s_delay_alu instid0(VALU_DEP_1) | instskip(NEXT) | instid1(VALU_DEP_1)
	v_rndne_f64_e32 v[68:69], v[68:69]
	v_fma_f64 v[74:75], v[68:69], s[20:21], |v[8:9]|
	v_mul_f64_e32 v[78:79], 0xbc91a62633145c00, v[68:69]
	v_cvt_i32_f64_e32 v103, v[68:69]
	s_delay_alu instid0(VALU_DEP_3) | instskip(NEXT) | instid1(VALU_DEP_3)
	v_fmamk_f64 v[84:85], v[68:69], 0xbc91a62633145c00, v[74:75]
	v_add_f64_e32 v[80:81], v[74:75], v[78:79]
	s_delay_alu instid0(VALU_DEP_1) | instskip(NEXT) | instid1(VALU_DEP_3)
	v_add_f64_e64 v[82:83], v[74:75], -v[80:81]
	v_add_f64_e64 v[74:75], v[80:81], -v[84:85]
	s_delay_alu instid0(VALU_DEP_2) | instskip(SKIP_1) | instid1(VALU_DEP_2)
	v_add_f64_e32 v[80:81], v[82:83], v[78:79]
	v_fmamk_f64 v[78:79], v[68:69], 0x3c91a62633145c00, v[78:79]
	v_add_f64_e32 v[74:75], v[74:75], v[80:81]
	s_delay_alu instid0(VALU_DEP_1) | instskip(NEXT) | instid1(VALU_DEP_1)
	v_add_f64_e64 v[78:79], v[74:75], -v[78:79]
	v_fmac_f64_e32 v[78:79], 0xb97b839a252049c0, v[68:69]
	s_delay_alu instid0(VALU_DEP_1) | instskip(NEXT) | instid1(VALU_DEP_1)
	v_add_f64_e32 v[74:75], v[84:85], v[78:79]
	v_add_f64_e64 v[80:81], v[74:75], -v[84:85]
	s_delay_alu instid0(VALU_DEP_1)
	v_add_f64_e64 v[78:79], v[78:79], -v[80:81]
.LBB143_97:                             ;   in Loop: Header=BB143_57 Depth=1
	s_or_b32 exec_lo, exec_lo, s3
                                        ; implicit-def: $vgpr105
                                        ; implicit-def: $vgpr84_vgpr85
                                        ; implicit-def: $vgpr88_vgpr89
	s_and_saveexec_b32 s3, s4
	s_delay_alu instid0(SALU_CYCLE_1)
	s_xor_b32 s4, exec_lo, s3
	s_cbranch_execz .LBB143_99
; %bb.98:                               ;   in Loop: Header=BB143_57 Depth=1
	v_ldexp_f64 v[68:69], |v[8:9]|, 0xffffff80
	v_cmp_le_f64_e64 s3, 0x7b000000, |v[8:9]|
	v_trig_preop_f64 v[80:81], |v[8:9]|, 0
	v_and_b32_e32 v23, 0x7fffffff, v9
	v_trig_preop_f64 v[82:83], |v[8:9]|, 1
	v_trig_preop_f64 v[92:93], |v[8:9]|, 2
	s_delay_alu instid0(VALU_DEP_3) | instskip(NEXT) | instid1(VALU_DEP_1)
	v_dual_cndmask_b32 v69, v23, v69, s3 :: v_dual_cndmask_b32 v68, v8, v68, s3
	v_mul_f64_e32 v[84:85], v[80:81], v[68:69]
	s_delay_alu instid0(VALU_DEP_4) | instskip(NEXT) | instid1(VALU_DEP_4)
	v_mul_f64_e32 v[86:87], v[82:83], v[68:69]
	v_mul_f64_e32 v[106:107], v[92:93], v[68:69]
	s_delay_alu instid0(VALU_DEP_3) | instskip(NEXT) | instid1(VALU_DEP_3)
	v_fma_f64 v[80:81], v[80:81], v[68:69], -v[84:85]
	v_fma_f64 v[82:83], v[82:83], v[68:69], -v[86:87]
	s_delay_alu instid0(VALU_DEP_3) | instskip(NEXT) | instid1(VALU_DEP_3)
	v_fma_f64 v[68:69], v[92:93], v[68:69], -v[106:107]
	v_add_f64_e32 v[88:89], v[86:87], v[80:81]
	s_delay_alu instid0(VALU_DEP_1) | instskip(SKIP_1) | instid1(VALU_DEP_2)
	v_add_f64_e64 v[90:91], v[88:89], -v[86:87]
	v_add_f64_e32 v[104:105], v[84:85], v[88:89]
	v_add_f64_e64 v[94:95], v[88:89], -v[90:91]
	v_add_f64_e64 v[80:81], v[80:81], -v[90:91]
	s_delay_alu instid0(VALU_DEP_3) | instskip(NEXT) | instid1(VALU_DEP_3)
	v_ldexp_f64 v[90:91], v[104:105], -2
	v_add_f64_e64 v[86:87], v[86:87], -v[94:95]
	v_add_f64_e32 v[94:95], v[106:107], v[82:83]
	s_delay_alu instid0(VALU_DEP_3) | instskip(NEXT) | instid1(VALU_DEP_3)
	v_cmp_neq_f64_e64 s3, 0x7ff00000, |v[90:91]|
	v_add_f64_e32 v[80:81], v[80:81], v[86:87]
	v_fract_f64_e32 v[86:87], v[90:91]
	s_delay_alu instid0(VALU_DEP_1) | instskip(NEXT) | instid1(VALU_DEP_1)
	v_ldexp_f64 v[86:87], v[86:87], 2
	v_dual_add_f64 v[84:85], v[104:105], -v[84:85] :: v_dual_cndmask_b32 v87, 0, v87, s3
	s_delay_alu instid0(VALU_DEP_1) | instskip(SKIP_1) | instid1(VALU_DEP_1)
	v_dual_add_f64 v[84:85], v[88:89], -v[84:85] :: v_dual_cndmask_b32 v86, 0, v86, s3
	v_add_f64_e32 v[88:89], v[94:95], v[80:81]
	v_add_f64_e32 v[90:91], v[84:85], v[88:89]
	v_add_f64_e64 v[108:109], v[88:89], -v[94:95]
	s_delay_alu instid0(VALU_DEP_2) | instskip(NEXT) | instid1(VALU_DEP_2)
	v_add_f64_e32 v[104:105], v[90:91], v[86:87]
	v_add_f64_e64 v[114:115], v[88:89], -v[108:109]
	v_add_f64_e64 v[80:81], v[80:81], -v[108:109]
	;; [unrolled: 1-line block ×3, first 2 shown]
	s_delay_alu instid0(VALU_DEP_4) | instskip(SKIP_1) | instid1(VALU_DEP_3)
	v_cmp_gt_f64_e64 s3, 0, v[104:105]
	v_add_f64_e64 v[104:105], v[94:95], -v[106:107]
	v_add_f64_e64 v[84:85], v[88:89], -v[84:85]
	s_delay_alu instid0(VALU_DEP_3) | instskip(NEXT) | instid1(VALU_DEP_3)
	v_cndmask_b32_e64 v23, 0, 0x40100000, s3
	v_add_f64_e64 v[112:113], v[94:95], -v[104:105]
	v_add_f64_e64 v[82:83], v[82:83], -v[104:105]
	;; [unrolled: 1-line block ×3, first 2 shown]
	s_delay_alu instid0(VALU_DEP_4) | instskip(NEXT) | instid1(VALU_DEP_4)
	v_add_f64_e32 v[86:87], v[86:87], v[22:23]
	v_add_f64_e64 v[104:105], v[106:107], -v[112:113]
	s_delay_alu instid0(VALU_DEP_3) | instskip(NEXT) | instid1(VALU_DEP_3)
	v_add_f64_e32 v[80:81], v[80:81], v[94:95]
	v_add_f64_e32 v[110:111], v[90:91], v[86:87]
	s_delay_alu instid0(VALU_DEP_3) | instskip(NEXT) | instid1(VALU_DEP_2)
	v_add_f64_e32 v[82:83], v[82:83], v[104:105]
	v_cvt_i32_f64_e32 v23, v[110:111]
	s_delay_alu instid0(VALU_DEP_2) | instskip(NEXT) | instid1(VALU_DEP_2)
	v_add_f64_e32 v[80:81], v[82:83], v[80:81]
	v_cvt_f64_i32_e32 v[108:109], v23
	s_delay_alu instid0(VALU_DEP_2) | instskip(NEXT) | instid1(VALU_DEP_2)
	v_add_f64_e32 v[68:69], v[68:69], v[80:81]
	v_add_f64_e64 v[86:87], v[86:87], -v[108:109]
	s_delay_alu instid0(VALU_DEP_2) | instskip(NEXT) | instid1(VALU_DEP_2)
	v_add_f64_e32 v[68:69], v[84:85], v[68:69]
	v_add_f64_e32 v[82:83], v[90:91], v[86:87]
	s_delay_alu instid0(VALU_DEP_1) | instskip(SKIP_1) | instid1(VALU_DEP_2)
	v_add_f64_e64 v[80:81], v[82:83], -v[86:87]
	v_cmp_le_f64_e64 s3, 0.5, v[82:83]
	v_add_f64_e64 v[80:81], v[90:91], -v[80:81]
	s_delay_alu instid0(VALU_DEP_2) | instskip(SKIP_1) | instid1(VALU_DEP_3)
	v_add_co_ci_u32_e64 v105, null, 0, v23, s3
	v_cndmask_b32_e64 v23, 0, 0x3ff00000, s3
	v_add_f64_e32 v[68:69], v[68:69], v[80:81]
	s_delay_alu instid0(VALU_DEP_2) | instskip(NEXT) | instid1(VALU_DEP_1)
	v_add_f64_e64 v[80:81], v[82:83], -v[22:23]
	v_add_f64_e32 v[82:83], v[80:81], v[68:69]
	s_delay_alu instid0(VALU_DEP_1) | instskip(SKIP_1) | instid1(VALU_DEP_2)
	v_mul_f64_e32 v[86:87], 0x3ff921fb54442d18, v[82:83]
	v_add_f64_e64 v[80:81], v[82:83], -v[80:81]
	v_fma_f64 v[88:89], v[82:83], s[12:13], -v[86:87]
	s_delay_alu instid0(VALU_DEP_2) | instskip(NEXT) | instid1(VALU_DEP_2)
	v_add_f64_e64 v[68:69], v[68:69], -v[80:81]
	v_fmac_f64_e32 v[88:89], 0x3c91a62633145c07, v[82:83]
	s_delay_alu instid0(VALU_DEP_1) | instskip(NEXT) | instid1(VALU_DEP_1)
	v_fmac_f64_e32 v[88:89], 0x3ff921fb54442d18, v[68:69]
	v_add_f64_e32 v[84:85], v[86:87], v[88:89]
	s_delay_alu instid0(VALU_DEP_1) | instskip(NEXT) | instid1(VALU_DEP_1)
	v_add_f64_e64 v[68:69], v[84:85], -v[86:87]
	v_add_f64_e64 v[88:89], v[88:89], -v[68:69]
	s_and_not1_saveexec_b32 s3, s4
	s_cbranch_execnz .LBB143_100
	s_branch .LBB143_101
.LBB143_99:                             ;   in Loop: Header=BB143_57 Depth=1
	s_and_not1_saveexec_b32 s3, s4
	s_cbranch_execz .LBB143_101
.LBB143_100:                            ;   in Loop: Header=BB143_57 Depth=1
	v_mul_f64_e64 v[68:69], |v[8:9]|, s[18:19]
	s_delay_alu instid0(VALU_DEP_1) | instskip(NEXT) | instid1(VALU_DEP_1)
	v_rndne_f64_e32 v[68:69], v[68:69]
	v_fma_f64 v[80:81], v[68:69], s[20:21], |v[8:9]|
	v_mul_f64_e32 v[82:83], 0xbc91a62633145c00, v[68:69]
	v_cvt_i32_f64_e32 v105, v[68:69]
	s_delay_alu instid0(VALU_DEP_2) | instskip(NEXT) | instid1(VALU_DEP_1)
	v_add_f64_e32 v[84:85], v[80:81], v[82:83]
	v_add_f64_e64 v[86:87], v[80:81], -v[84:85]
	v_fmamk_f64 v[80:81], v[68:69], 0xbc91a62633145c00, v[80:81]
	s_delay_alu instid0(VALU_DEP_1) | instskip(NEXT) | instid1(VALU_DEP_3)
	v_add_f64_e64 v[84:85], v[84:85], -v[80:81]
	v_add_f64_e32 v[86:87], v[86:87], v[82:83]
	v_fmamk_f64 v[82:83], v[68:69], 0x3c91a62633145c00, v[82:83]
	s_delay_alu instid0(VALU_DEP_2) | instskip(NEXT) | instid1(VALU_DEP_1)
	v_add_f64_e32 v[84:85], v[84:85], v[86:87]
	v_add_f64_e64 v[82:83], v[84:85], -v[82:83]
	s_delay_alu instid0(VALU_DEP_1) | instskip(NEXT) | instid1(VALU_DEP_1)
	v_fmac_f64_e32 v[82:83], 0xb97b839a252049c0, v[68:69]
	v_add_f64_e32 v[84:85], v[80:81], v[82:83]
	s_delay_alu instid0(VALU_DEP_1) | instskip(NEXT) | instid1(VALU_DEP_1)
	v_add_f64_e64 v[80:81], v[84:85], -v[80:81]
	v_add_f64_e64 v[88:89], v[82:83], -v[80:81]
.LBB143_101:                            ;   in Loop: Header=BB143_57 Depth=1
	s_or_b32 exec_lo, exec_lo, s3
	v_mul_f64_e32 v[68:69], 0.5, v[4:5]
	s_mov_b32 s4, exec_lo
                                        ; implicit-def: $vgpr104
                                        ; implicit-def: $vgpr80_vgpr81
                                        ; implicit-def: $vgpr82_vgpr83
	s_delay_alu instid0(VALU_DEP_1)
	v_cmpx_ngt_f64_e64 0x41d00000, |v[68:69]|
	s_xor_b32 s4, exec_lo, s4
	s_cbranch_execz .LBB143_103
; %bb.102:                              ;   in Loop: Header=BB143_57 Depth=1
	v_ldexp_f64 v[80:81], |v[68:69]|, 0xffffff80
	v_cmp_le_f64_e64 s3, 0x7b000000, |v[68:69]|
	v_trig_preop_f64 v[82:83], |v[68:69]|, 0
	v_and_b32_e32 v23, 0x7fffffff, v69
	v_trig_preop_f64 v[86:87], |v[68:69]|, 1
	v_trig_preop_f64 v[108:109], |v[68:69]|, 2
	s_delay_alu instid0(VALU_DEP_3) | instskip(NEXT) | instid1(VALU_DEP_1)
	v_dual_cndmask_b32 v81, v23, v81, s3 :: v_dual_cndmask_b32 v80, v68, v80, s3
	v_mul_f64_e32 v[90:91], v[82:83], v[80:81]
	s_delay_alu instid0(VALU_DEP_4) | instskip(NEXT) | instid1(VALU_DEP_4)
	v_mul_f64_e32 v[92:93], v[86:87], v[80:81]
	v_mul_f64_e32 v[114:115], v[108:109], v[80:81]
	s_delay_alu instid0(VALU_DEP_3) | instskip(NEXT) | instid1(VALU_DEP_3)
	v_fma_f64 v[82:83], v[82:83], v[80:81], -v[90:91]
	v_fma_f64 v[86:87], v[86:87], v[80:81], -v[92:93]
	s_delay_alu instid0(VALU_DEP_3) | instskip(NEXT) | instid1(VALU_DEP_3)
	v_fma_f64 v[80:81], v[108:109], v[80:81], -v[114:115]
	v_add_f64_e32 v[94:95], v[92:93], v[82:83]
	s_delay_alu instid0(VALU_DEP_1) | instskip(SKIP_1) | instid1(VALU_DEP_2)
	v_add_f64_e64 v[106:107], v[94:95], -v[92:93]
	v_add_f64_e32 v[112:113], v[90:91], v[94:95]
	v_add_f64_e64 v[110:111], v[94:95], -v[106:107]
	v_add_f64_e64 v[82:83], v[82:83], -v[106:107]
	s_delay_alu instid0(VALU_DEP_3) | instskip(SKIP_1) | instid1(VALU_DEP_4)
	v_ldexp_f64 v[106:107], v[112:113], -2
	v_add_f64_e64 v[90:91], v[112:113], -v[90:91]
	v_add_f64_e64 v[92:93], v[92:93], -v[110:111]
	v_add_f64_e32 v[110:111], v[114:115], v[86:87]
	s_delay_alu instid0(VALU_DEP_4) | instskip(NEXT) | instid1(VALU_DEP_3)
	v_cmp_neq_f64_e64 s3, 0x7ff00000, |v[106:107]|
	v_add_f64_e32 v[82:83], v[82:83], v[92:93]
	v_fract_f64_e32 v[92:93], v[106:107]
	s_delay_alu instid0(VALU_DEP_1) | instskip(NEXT) | instid1(VALU_DEP_1)
	v_ldexp_f64 v[92:93], v[92:93], 2
	v_dual_add_f64 v[90:91], v[94:95], -v[90:91] :: v_dual_cndmask_b32 v93, 0, v93, s3
	s_delay_alu instid0(VALU_DEP_2) | instskip(NEXT) | instid1(VALU_DEP_1)
	v_dual_add_f64 v[94:95], v[110:111], v[82:83] :: v_dual_cndmask_b32 v92, 0, v92, s3
	v_add_f64_e32 v[106:107], v[90:91], v[94:95]
	v_add_f64_e64 v[116:117], v[94:95], -v[110:111]
	s_delay_alu instid0(VALU_DEP_2) | instskip(NEXT) | instid1(VALU_DEP_2)
	v_add_f64_e32 v[112:113], v[106:107], v[92:93]
	v_add_f64_e64 v[122:123], v[94:95], -v[116:117]
	v_add_f64_e64 v[82:83], v[82:83], -v[116:117]
	;; [unrolled: 1-line block ×3, first 2 shown]
	s_delay_alu instid0(VALU_DEP_4) | instskip(SKIP_1) | instid1(VALU_DEP_3)
	v_cmp_gt_f64_e64 s3, 0, v[112:113]
	v_add_f64_e64 v[112:113], v[110:111], -v[114:115]
	v_add_f64_e64 v[90:91], v[94:95], -v[90:91]
	s_delay_alu instid0(VALU_DEP_3) | instskip(NEXT) | instid1(VALU_DEP_3)
	v_cndmask_b32_e64 v23, 0, 0x40100000, s3
	v_add_f64_e64 v[120:121], v[110:111], -v[112:113]
	v_add_f64_e64 v[86:87], v[86:87], -v[112:113]
	;; [unrolled: 1-line block ×3, first 2 shown]
	s_delay_alu instid0(VALU_DEP_4) | instskip(NEXT) | instid1(VALU_DEP_4)
	v_add_f64_e32 v[92:93], v[92:93], v[22:23]
	v_add_f64_e64 v[112:113], v[114:115], -v[120:121]
	s_delay_alu instid0(VALU_DEP_3) | instskip(NEXT) | instid1(VALU_DEP_3)
	v_add_f64_e32 v[82:83], v[82:83], v[110:111]
	v_add_f64_e32 v[118:119], v[106:107], v[92:93]
	s_delay_alu instid0(VALU_DEP_3) | instskip(NEXT) | instid1(VALU_DEP_2)
	v_add_f64_e32 v[86:87], v[86:87], v[112:113]
	v_cvt_i32_f64_e32 v23, v[118:119]
	s_delay_alu instid0(VALU_DEP_2) | instskip(NEXT) | instid1(VALU_DEP_2)
	v_add_f64_e32 v[82:83], v[86:87], v[82:83]
	v_cvt_f64_i32_e32 v[116:117], v23
	s_delay_alu instid0(VALU_DEP_2) | instskip(NEXT) | instid1(VALU_DEP_2)
	v_add_f64_e32 v[80:81], v[80:81], v[82:83]
	v_add_f64_e64 v[92:93], v[92:93], -v[116:117]
	s_delay_alu instid0(VALU_DEP_2) | instskip(NEXT) | instid1(VALU_DEP_2)
	v_add_f64_e32 v[80:81], v[90:91], v[80:81]
	v_add_f64_e32 v[86:87], v[106:107], v[92:93]
	s_delay_alu instid0(VALU_DEP_1) | instskip(SKIP_1) | instid1(VALU_DEP_2)
	v_add_f64_e64 v[82:83], v[86:87], -v[92:93]
	v_cmp_le_f64_e64 s3, 0.5, v[86:87]
	v_add_f64_e64 v[82:83], v[106:107], -v[82:83]
	s_delay_alu instid0(VALU_DEP_2) | instskip(SKIP_1) | instid1(VALU_DEP_3)
	v_add_co_ci_u32_e64 v104, null, 0, v23, s3
	v_cndmask_b32_e64 v23, 0, 0x3ff00000, s3
	v_add_f64_e32 v[80:81], v[80:81], v[82:83]
	s_delay_alu instid0(VALU_DEP_2) | instskip(NEXT) | instid1(VALU_DEP_1)
	v_add_f64_e64 v[82:83], v[86:87], -v[22:23]
	v_add_f64_e32 v[86:87], v[82:83], v[80:81]
	s_delay_alu instid0(VALU_DEP_1) | instskip(SKIP_1) | instid1(VALU_DEP_2)
	v_mul_f64_e32 v[90:91], 0x3ff921fb54442d18, v[86:87]
	v_add_f64_e64 v[82:83], v[86:87], -v[82:83]
	v_fma_f64 v[92:93], v[86:87], s[12:13], -v[90:91]
	s_delay_alu instid0(VALU_DEP_2) | instskip(NEXT) | instid1(VALU_DEP_2)
	v_add_f64_e64 v[80:81], v[80:81], -v[82:83]
	v_fmac_f64_e32 v[92:93], 0x3c91a62633145c07, v[86:87]
	s_delay_alu instid0(VALU_DEP_1) | instskip(NEXT) | instid1(VALU_DEP_1)
	v_fmac_f64_e32 v[92:93], 0x3ff921fb54442d18, v[80:81]
	v_add_f64_e32 v[80:81], v[90:91], v[92:93]
	s_delay_alu instid0(VALU_DEP_1) | instskip(NEXT) | instid1(VALU_DEP_1)
	v_add_f64_e64 v[82:83], v[80:81], -v[90:91]
	v_add_f64_e64 v[82:83], v[92:93], -v[82:83]
.LBB143_103:                            ;   in Loop: Header=BB143_57 Depth=1
	s_and_not1_saveexec_b32 s3, s4
	s_cbranch_execz .LBB143_105
; %bb.104:                              ;   in Loop: Header=BB143_57 Depth=1
	v_mul_f64_e64 v[80:81], |v[68:69]|, s[18:19]
	s_delay_alu instid0(VALU_DEP_1) | instskip(NEXT) | instid1(VALU_DEP_1)
	v_rndne_f64_e32 v[86:87], v[80:81]
	v_fma_f64 v[80:81], v[86:87], s[20:21], |v[68:69]|
	v_mul_f64_e32 v[82:83], 0xbc91a62633145c00, v[86:87]
	v_cvt_i32_f64_e32 v104, v[86:87]
	s_delay_alu instid0(VALU_DEP_3) | instskip(NEXT) | instid1(VALU_DEP_3)
	v_fmamk_f64 v[94:95], v[86:87], 0xbc91a62633145c00, v[80:81]
	v_add_f64_e32 v[90:91], v[80:81], v[82:83]
	s_delay_alu instid0(VALU_DEP_1) | instskip(NEXT) | instid1(VALU_DEP_3)
	v_add_f64_e64 v[92:93], v[80:81], -v[90:91]
	v_add_f64_e64 v[80:81], v[90:91], -v[94:95]
	s_delay_alu instid0(VALU_DEP_2) | instskip(SKIP_1) | instid1(VALU_DEP_2)
	v_add_f64_e32 v[90:91], v[92:93], v[82:83]
	v_fmamk_f64 v[82:83], v[86:87], 0x3c91a62633145c00, v[82:83]
	v_add_f64_e32 v[80:81], v[80:81], v[90:91]
	s_delay_alu instid0(VALU_DEP_1) | instskip(NEXT) | instid1(VALU_DEP_1)
	v_add_f64_e64 v[82:83], v[80:81], -v[82:83]
	v_fmac_f64_e32 v[82:83], 0xb97b839a252049c0, v[86:87]
	s_delay_alu instid0(VALU_DEP_1) | instskip(NEXT) | instid1(VALU_DEP_1)
	v_add_f64_e32 v[80:81], v[94:95], v[82:83]
	v_add_f64_e64 v[90:91], v[80:81], -v[94:95]
	s_delay_alu instid0(VALU_DEP_1)
	v_add_f64_e64 v[82:83], v[82:83], -v[90:91]
.LBB143_105:                            ;   in Loop: Header=BB143_57 Depth=1
	s_or_b32 exec_lo, exec_lo, s3
	v_cmp_ngt_f64_e64 s4, 0x41d00000, |v[4:5]|
                                        ; implicit-def: $vgpr106
                                        ; implicit-def: $vgpr86_vgpr87
                                        ; implicit-def: $vgpr90_vgpr91
	s_and_saveexec_b32 s3, s4
	s_delay_alu instid0(SALU_CYCLE_1)
	s_xor_b32 s5, exec_lo, s3
	s_cbranch_execz .LBB143_107
; %bb.106:                              ;   in Loop: Header=BB143_57 Depth=1
	v_ldexp_f64 v[86:87], |v[4:5]|, 0xffffff80
	v_cmp_le_f64_e64 s3, 0x7b000000, |v[4:5]|
	v_trig_preop_f64 v[90:91], |v[4:5]|, 0
	v_and_b32_e32 v23, 0x7fffffff, v5
	v_trig_preop_f64 v[92:93], |v[4:5]|, 1
	v_trig_preop_f64 v[112:113], |v[4:5]|, 2
	s_delay_alu instid0(VALU_DEP_3) | instskip(NEXT) | instid1(VALU_DEP_1)
	v_dual_cndmask_b32 v87, v23, v87, s3 :: v_dual_cndmask_b32 v86, v4, v86, s3
	v_mul_f64_e32 v[94:95], v[90:91], v[86:87]
	s_delay_alu instid0(VALU_DEP_4) | instskip(NEXT) | instid1(VALU_DEP_4)
	v_mul_f64_e32 v[106:107], v[92:93], v[86:87]
	v_mul_f64_e32 v[118:119], v[112:113], v[86:87]
	s_delay_alu instid0(VALU_DEP_3) | instskip(NEXT) | instid1(VALU_DEP_3)
	v_fma_f64 v[90:91], v[90:91], v[86:87], -v[94:95]
	v_fma_f64 v[92:93], v[92:93], v[86:87], -v[106:107]
	s_delay_alu instid0(VALU_DEP_3) | instskip(NEXT) | instid1(VALU_DEP_3)
	v_fma_f64 v[86:87], v[112:113], v[86:87], -v[118:119]
	v_add_f64_e32 v[108:109], v[106:107], v[90:91]
	s_delay_alu instid0(VALU_DEP_1) | instskip(SKIP_1) | instid1(VALU_DEP_2)
	v_add_f64_e64 v[110:111], v[108:109], -v[106:107]
	v_add_f64_e32 v[116:117], v[94:95], v[108:109]
	v_add_f64_e64 v[114:115], v[108:109], -v[110:111]
	v_add_f64_e64 v[90:91], v[90:91], -v[110:111]
	s_delay_alu instid0(VALU_DEP_3) | instskip(NEXT) | instid1(VALU_DEP_3)
	v_ldexp_f64 v[110:111], v[116:117], -2
	v_add_f64_e64 v[106:107], v[106:107], -v[114:115]
	s_delay_alu instid0(VALU_DEP_2) | instskip(NEXT) | instid1(VALU_DEP_2)
	v_cmp_neq_f64_e64 s3, 0x7ff00000, |v[110:111]|
	v_add_f64_e32 v[90:91], v[90:91], v[106:107]
	v_fract_f64_e32 v[106:107], v[110:111]
	s_delay_alu instid0(VALU_DEP_1) | instskip(NEXT) | instid1(VALU_DEP_1)
	v_ldexp_f64 v[106:107], v[106:107], 2
	v_dual_add_f64 v[114:115], v[118:119], v[92:93] :: v_dual_cndmask_b32 v106, 0, v106, s3
	s_delay_alu instid0(VALU_DEP_2) | instskip(SKIP_1) | instid1(VALU_DEP_1)
	v_cndmask_b32_e64 v107, 0, v107, s3
	v_add_f64_e64 v[94:95], v[116:117], -v[94:95]
	v_add_f64_e64 v[94:95], v[108:109], -v[94:95]
	s_delay_alu instid0(VALU_DEP_4) | instskip(NEXT) | instid1(VALU_DEP_1)
	v_add_f64_e32 v[108:109], v[114:115], v[90:91]
	v_add_f64_e32 v[110:111], v[94:95], v[108:109]
	v_add_f64_e64 v[120:121], v[108:109], -v[114:115]
	s_delay_alu instid0(VALU_DEP_2) | instskip(NEXT) | instid1(VALU_DEP_2)
	v_add_f64_e32 v[116:117], v[110:111], v[106:107]
	v_add_f64_e64 v[126:127], v[108:109], -v[120:121]
	v_add_f64_e64 v[90:91], v[90:91], -v[120:121]
	;; [unrolled: 1-line block ×3, first 2 shown]
	s_delay_alu instid0(VALU_DEP_4) | instskip(SKIP_1) | instid1(VALU_DEP_3)
	v_cmp_gt_f64_e64 s3, 0, v[116:117]
	v_add_f64_e64 v[116:117], v[114:115], -v[118:119]
	v_add_f64_e64 v[94:95], v[108:109], -v[94:95]
	s_delay_alu instid0(VALU_DEP_3) | instskip(NEXT) | instid1(VALU_DEP_3)
	v_cndmask_b32_e64 v23, 0, 0x40100000, s3
	v_add_f64_e64 v[124:125], v[114:115], -v[116:117]
	v_add_f64_e64 v[92:93], v[92:93], -v[116:117]
	;; [unrolled: 1-line block ×3, first 2 shown]
	s_delay_alu instid0(VALU_DEP_4) | instskip(NEXT) | instid1(VALU_DEP_4)
	v_add_f64_e32 v[106:107], v[106:107], v[22:23]
	v_add_f64_e64 v[116:117], v[118:119], -v[124:125]
	s_delay_alu instid0(VALU_DEP_3) | instskip(NEXT) | instid1(VALU_DEP_3)
	v_add_f64_e32 v[90:91], v[90:91], v[114:115]
	v_add_f64_e32 v[122:123], v[110:111], v[106:107]
	s_delay_alu instid0(VALU_DEP_3) | instskip(NEXT) | instid1(VALU_DEP_2)
	v_add_f64_e32 v[92:93], v[92:93], v[116:117]
	v_cvt_i32_f64_e32 v23, v[122:123]
	s_delay_alu instid0(VALU_DEP_2) | instskip(NEXT) | instid1(VALU_DEP_2)
	v_add_f64_e32 v[90:91], v[92:93], v[90:91]
	v_cvt_f64_i32_e32 v[120:121], v23
	s_delay_alu instid0(VALU_DEP_2) | instskip(NEXT) | instid1(VALU_DEP_2)
	v_add_f64_e32 v[86:87], v[86:87], v[90:91]
	v_add_f64_e64 v[106:107], v[106:107], -v[120:121]
	s_delay_alu instid0(VALU_DEP_2) | instskip(NEXT) | instid1(VALU_DEP_2)
	v_add_f64_e32 v[86:87], v[94:95], v[86:87]
	v_add_f64_e32 v[92:93], v[110:111], v[106:107]
	s_delay_alu instid0(VALU_DEP_1) | instskip(SKIP_1) | instid1(VALU_DEP_2)
	v_add_f64_e64 v[90:91], v[92:93], -v[106:107]
	v_cmp_le_f64_e64 s3, 0.5, v[92:93]
	v_add_f64_e64 v[90:91], v[110:111], -v[90:91]
	s_delay_alu instid0(VALU_DEP_2) | instskip(SKIP_1) | instid1(VALU_DEP_3)
	v_add_co_ci_u32_e64 v106, null, 0, v23, s3
	v_cndmask_b32_e64 v23, 0, 0x3ff00000, s3
	v_add_f64_e32 v[86:87], v[86:87], v[90:91]
	s_delay_alu instid0(VALU_DEP_2) | instskip(NEXT) | instid1(VALU_DEP_1)
	v_add_f64_e64 v[90:91], v[92:93], -v[22:23]
	v_add_f64_e32 v[92:93], v[90:91], v[86:87]
	s_delay_alu instid0(VALU_DEP_1) | instskip(SKIP_1) | instid1(VALU_DEP_2)
	v_mul_f64_e32 v[94:95], 0x3ff921fb54442d18, v[92:93]
	v_add_f64_e64 v[90:91], v[92:93], -v[90:91]
	v_fma_f64 v[108:109], v[92:93], s[12:13], -v[94:95]
	s_delay_alu instid0(VALU_DEP_2) | instskip(NEXT) | instid1(VALU_DEP_2)
	v_add_f64_e64 v[86:87], v[86:87], -v[90:91]
	v_fmac_f64_e32 v[108:109], 0x3c91a62633145c07, v[92:93]
	s_delay_alu instid0(VALU_DEP_1) | instskip(NEXT) | instid1(VALU_DEP_1)
	v_fmac_f64_e32 v[108:109], 0x3ff921fb54442d18, v[86:87]
	v_add_f64_e32 v[86:87], v[94:95], v[108:109]
	s_delay_alu instid0(VALU_DEP_1) | instskip(NEXT) | instid1(VALU_DEP_1)
	v_add_f64_e64 v[90:91], v[86:87], -v[94:95]
	v_add_f64_e64 v[90:91], v[108:109], -v[90:91]
	s_and_not1_saveexec_b32 s3, s5
	s_cbranch_execz .LBB143_109
	s_branch .LBB143_108
.LBB143_107:                            ;   in Loop: Header=BB143_57 Depth=1
	s_and_not1_saveexec_b32 s3, s5
	s_cbranch_execz .LBB143_109
.LBB143_108:                            ;   in Loop: Header=BB143_57 Depth=1
	v_mul_f64_e64 v[86:87], |v[4:5]|, s[18:19]
	s_delay_alu instid0(VALU_DEP_1) | instskip(NEXT) | instid1(VALU_DEP_1)
	v_rndne_f64_e32 v[92:93], v[86:87]
	v_fma_f64 v[86:87], v[92:93], s[20:21], |v[4:5]|
	v_mul_f64_e32 v[90:91], 0xbc91a62633145c00, v[92:93]
	s_delay_alu instid0(VALU_DEP_2) | instskip(NEXT) | instid1(VALU_DEP_2)
	v_fmamk_f64 v[108:109], v[92:93], 0xbc91a62633145c00, v[86:87]
	v_add_f64_e32 v[94:95], v[86:87], v[90:91]
	s_delay_alu instid0(VALU_DEP_1) | instskip(NEXT) | instid1(VALU_DEP_3)
	v_add_f64_e64 v[106:107], v[86:87], -v[94:95]
	v_add_f64_e64 v[86:87], v[94:95], -v[108:109]
	s_delay_alu instid0(VALU_DEP_2) | instskip(SKIP_2) | instid1(VALU_DEP_3)
	v_add_f64_e32 v[94:95], v[106:107], v[90:91]
	v_fmamk_f64 v[90:91], v[92:93], 0x3c91a62633145c00, v[90:91]
	v_cvt_i32_f64_e32 v106, v[92:93]
	v_add_f64_e32 v[86:87], v[86:87], v[94:95]
	s_delay_alu instid0(VALU_DEP_1) | instskip(NEXT) | instid1(VALU_DEP_1)
	v_add_f64_e64 v[90:91], v[86:87], -v[90:91]
	v_fmac_f64_e32 v[90:91], 0xb97b839a252049c0, v[92:93]
	s_delay_alu instid0(VALU_DEP_1) | instskip(NEXT) | instid1(VALU_DEP_1)
	v_add_f64_e32 v[86:87], v[108:109], v[90:91]
	v_add_f64_e64 v[94:95], v[86:87], -v[108:109]
	s_delay_alu instid0(VALU_DEP_1)
	v_add_f64_e64 v[90:91], v[90:91], -v[94:95]
.LBB143_109:                            ;   in Loop: Header=BB143_57 Depth=1
	s_or_b32 exec_lo, exec_lo, s3
                                        ; implicit-def: $vgpr107
                                        ; implicit-def: $vgpr92_vgpr93
                                        ; implicit-def: $vgpr94_vgpr95
	s_and_saveexec_b32 s3, s4
	s_delay_alu instid0(SALU_CYCLE_1)
	s_xor_b32 s4, exec_lo, s3
	s_cbranch_execz .LBB143_115
; %bb.110:                              ;   in Loop: Header=BB143_57 Depth=1
	v_ldexp_f64 v[92:93], |v[4:5]|, 0xffffff80
	v_cmp_le_f64_e64 s3, 0x7b000000, |v[4:5]|
	v_trig_preop_f64 v[94:95], |v[4:5]|, 0
	v_and_b32_e32 v23, 0x7fffffff, v5
	v_trig_preop_f64 v[108:109], |v[4:5]|, 1
	v_trig_preop_f64 v[118:119], |v[4:5]|, 2
	s_delay_alu instid0(VALU_DEP_3) | instskip(NEXT) | instid1(VALU_DEP_1)
	v_dual_cndmask_b32 v93, v23, v93, s3 :: v_dual_cndmask_b32 v92, v4, v92, s3
	v_mul_f64_e32 v[110:111], v[94:95], v[92:93]
	s_delay_alu instid0(VALU_DEP_4) | instskip(NEXT) | instid1(VALU_DEP_4)
	v_mul_f64_e32 v[112:113], v[108:109], v[92:93]
	v_mul_f64_e32 v[124:125], v[118:119], v[92:93]
	s_delay_alu instid0(VALU_DEP_3) | instskip(NEXT) | instid1(VALU_DEP_3)
	v_fma_f64 v[94:95], v[94:95], v[92:93], -v[110:111]
	v_fma_f64 v[108:109], v[108:109], v[92:93], -v[112:113]
	s_delay_alu instid0(VALU_DEP_3) | instskip(NEXT) | instid1(VALU_DEP_3)
	v_fma_f64 v[92:93], v[118:119], v[92:93], -v[124:125]
	v_add_f64_e32 v[114:115], v[112:113], v[94:95]
	s_delay_alu instid0(VALU_DEP_1) | instskip(SKIP_1) | instid1(VALU_DEP_2)
	v_add_f64_e64 v[116:117], v[114:115], -v[112:113]
	v_add_f64_e32 v[122:123], v[110:111], v[114:115]
	v_add_f64_e64 v[120:121], v[114:115], -v[116:117]
	v_add_f64_e64 v[94:95], v[94:95], -v[116:117]
	s_delay_alu instid0(VALU_DEP_3) | instskip(NEXT) | instid1(VALU_DEP_3)
	v_ldexp_f64 v[116:117], v[122:123], -2
	v_add_f64_e64 v[112:113], v[112:113], -v[120:121]
	v_add_f64_e32 v[120:121], v[124:125], v[108:109]
	s_delay_alu instid0(VALU_DEP_3) | instskip(NEXT) | instid1(VALU_DEP_3)
	v_cmp_neq_f64_e64 s3, 0x7ff00000, |v[116:117]|
	v_add_f64_e32 v[94:95], v[94:95], v[112:113]
	v_fract_f64_e32 v[112:113], v[116:117]
	s_delay_alu instid0(VALU_DEP_1) | instskip(NEXT) | instid1(VALU_DEP_1)
	v_ldexp_f64 v[112:113], v[112:113], 2
	v_dual_add_f64 v[110:111], v[122:123], -v[110:111] :: v_dual_cndmask_b32 v112, 0, v112, s3
	s_delay_alu instid0(VALU_DEP_1) | instskip(SKIP_1) | instid1(VALU_DEP_1)
	v_dual_add_f64 v[110:111], v[114:115], -v[110:111] :: v_dual_cndmask_b32 v113, 0, v113, s3
	v_add_f64_e32 v[114:115], v[120:121], v[94:95]
	v_add_f64_e32 v[116:117], v[110:111], v[114:115]
	v_add_f64_e64 v[126:127], v[114:115], -v[120:121]
	s_delay_alu instid0(VALU_DEP_2) | instskip(NEXT) | instid1(VALU_DEP_2)
	v_add_f64_e32 v[122:123], v[116:117], v[112:113]
	v_add_f64_e64 v[132:133], v[114:115], -v[126:127]
	v_add_f64_e64 v[94:95], v[94:95], -v[126:127]
	;; [unrolled: 1-line block ×3, first 2 shown]
	s_delay_alu instid0(VALU_DEP_4) | instskip(SKIP_1) | instid1(VALU_DEP_3)
	v_cmp_gt_f64_e64 s3, 0, v[122:123]
	v_add_f64_e64 v[122:123], v[120:121], -v[124:125]
	v_add_f64_e64 v[110:111], v[114:115], -v[110:111]
	s_delay_alu instid0(VALU_DEP_3) | instskip(NEXT) | instid1(VALU_DEP_3)
	v_cndmask_b32_e64 v23, 0, 0x40100000, s3
	v_add_f64_e64 v[130:131], v[120:121], -v[122:123]
	v_add_f64_e64 v[108:109], v[108:109], -v[122:123]
	;; [unrolled: 1-line block ×3, first 2 shown]
	s_delay_alu instid0(VALU_DEP_4) | instskip(NEXT) | instid1(VALU_DEP_4)
	v_add_f64_e32 v[112:113], v[112:113], v[22:23]
	v_add_f64_e64 v[122:123], v[124:125], -v[130:131]
	s_delay_alu instid0(VALU_DEP_3) | instskip(NEXT) | instid1(VALU_DEP_3)
	v_add_f64_e32 v[94:95], v[94:95], v[120:121]
	v_add_f64_e32 v[128:129], v[116:117], v[112:113]
	s_delay_alu instid0(VALU_DEP_3) | instskip(NEXT) | instid1(VALU_DEP_2)
	v_add_f64_e32 v[108:109], v[108:109], v[122:123]
	v_cvt_i32_f64_e32 v23, v[128:129]
	s_delay_alu instid0(VALU_DEP_2) | instskip(NEXT) | instid1(VALU_DEP_2)
	v_add_f64_e32 v[94:95], v[108:109], v[94:95]
	v_cvt_f64_i32_e32 v[126:127], v23
	s_delay_alu instid0(VALU_DEP_2) | instskip(NEXT) | instid1(VALU_DEP_2)
	v_add_f64_e32 v[92:93], v[92:93], v[94:95]
	v_add_f64_e64 v[112:113], v[112:113], -v[126:127]
	s_delay_alu instid0(VALU_DEP_2) | instskip(NEXT) | instid1(VALU_DEP_2)
	v_add_f64_e32 v[92:93], v[110:111], v[92:93]
	v_add_f64_e32 v[108:109], v[116:117], v[112:113]
	s_delay_alu instid0(VALU_DEP_1) | instskip(SKIP_1) | instid1(VALU_DEP_2)
	v_add_f64_e64 v[94:95], v[108:109], -v[112:113]
	v_cmp_le_f64_e64 s3, 0.5, v[108:109]
	v_add_f64_e64 v[94:95], v[116:117], -v[94:95]
	s_delay_alu instid0(VALU_DEP_2) | instskip(SKIP_1) | instid1(VALU_DEP_3)
	v_add_co_ci_u32_e64 v107, null, 0, v23, s3
	v_cndmask_b32_e64 v23, 0, 0x3ff00000, s3
	v_add_f64_e32 v[92:93], v[92:93], v[94:95]
	s_delay_alu instid0(VALU_DEP_2) | instskip(NEXT) | instid1(VALU_DEP_1)
	v_add_f64_e64 v[94:95], v[108:109], -v[22:23]
	v_add_f64_e32 v[108:109], v[94:95], v[92:93]
	s_delay_alu instid0(VALU_DEP_1) | instskip(SKIP_1) | instid1(VALU_DEP_2)
	v_mul_f64_e32 v[110:111], 0x3ff921fb54442d18, v[108:109]
	v_add_f64_e64 v[94:95], v[108:109], -v[94:95]
	v_fma_f64 v[112:113], v[108:109], s[12:13], -v[110:111]
	s_delay_alu instid0(VALU_DEP_2) | instskip(NEXT) | instid1(VALU_DEP_2)
	v_add_f64_e64 v[92:93], v[92:93], -v[94:95]
	v_fmac_f64_e32 v[112:113], 0x3c91a62633145c07, v[108:109]
	s_delay_alu instid0(VALU_DEP_1) | instskip(NEXT) | instid1(VALU_DEP_1)
	v_fmac_f64_e32 v[112:113], 0x3ff921fb54442d18, v[92:93]
	v_add_f64_e32 v[92:93], v[110:111], v[112:113]
	s_delay_alu instid0(VALU_DEP_1) | instskip(NEXT) | instid1(VALU_DEP_1)
	v_add_f64_e64 v[94:95], v[92:93], -v[110:111]
	v_add_f64_e64 v[94:95], v[112:113], -v[94:95]
	s_and_not1_saveexec_b32 s3, s4
	s_cbranch_execnz .LBB143_116
.LBB143_111:                            ;   in Loop: Header=BB143_57 Depth=1
	s_or_b32 exec_lo, exec_lo, s3
	s_and_saveexec_b32 s3, s2
	s_delay_alu instid0(SALU_CYCLE_1)
	s_xor_b32 s33, exec_lo, s3
	s_cbranch_execz .LBB143_117
.LBB143_112:                            ;   in Loop: Header=BB143_57 Depth=1
	v_mul_f64_e32 v[110:111], v[42:43], v[42:43]
	v_cmp_class_f64_e64 s4, v[40:41], 0x1f8
	v_mul_f64_e32 v[126:127], 0.5, v[46:47]
	v_mul_f64_e32 v[108:109], 0x3ff71547652b82fe, v[14:15]
	v_cmp_ngt_f64_e64 s8, 0xc090cc00, v[14:15]
	v_cmp_nlt_f64_e64 s5, s[24:25], v[14:15]
	v_cmp_nlt_f64_e64 s7, 0x40900000, v[14:15]
	v_cmp_ngt_f64_e64 s6, 0xc0428000, v[14:15]
	v_lshl_add_u64 v[38:39], v[38:39], 4, s[16:17]
	v_dual_mul_f64 v[120:121], v[58:59], v[58:59] :: v_dual_lshlrev_b32 v40, 30, v96
	v_mul_f64_e32 v[112:113], 0.5, v[110:111]
	v_mul_f64_e64 v[128:129], v[42:43], -v[110:111]
	v_fmamk_f64 v[132:133], v[110:111], 0x3de5e0b2f9a43bb8, v[30:31]
	v_fmamk_f64 v[140:141], v[110:111], 0xbda907db46cc5e42, v[28:29]
	v_mul_f64_e32 v[148:149], v[110:111], v[110:111]
	v_rndne_f64_e32 v[108:109], v[108:109]
	s_delay_alu instid0(VALU_DEP_4) | instskip(NEXT) | instid1(VALU_DEP_4)
	v_fmaak_f64 v[132:133], v[110:111], v[132:133], 0x3ec71de3796cde01
	v_fmaak_f64 v[140:141], v[110:111], v[140:141], 0xbe927e4fa17f65f6
	v_mul_f64_e32 v[134:135], 0.5, v[120:121]
	v_mul_f64_e64 v[150:151], v[58:59], -v[120:121]
	v_fmamk_f64 v[154:155], v[120:121], 0x3de5e0b2f9a43bb8, v[30:31]
	v_fmaak_f64 v[132:133], v[110:111], v[132:133], 0xbf2a01a019e83e5c
	v_fmaak_f64 v[140:141], v[110:111], v[140:141], 0x3efa01a019f4ec90
	s_delay_alu instid0(VALU_DEP_2) | instskip(NEXT) | instid1(VALU_DEP_2)
	v_fmaak_f64 v[132:133], v[110:111], v[132:133], 0x3f81111111110bb3
	v_fmaak_f64 v[140:141], v[110:111], v[140:141], 0xbf56c16c16c16967
	v_add_f64_e64 v[118:119], -v[112:113], 1.0
	s_delay_alu instid0(VALU_DEP_3) | instskip(SKIP_4) | instid1(VALU_DEP_4)
	v_fmac_f64_e32 v[126:127], v[128:129], v[132:133]
	v_fmamk_f64 v[114:115], v[108:109], 0xbfe62e42fefa39ef, v[14:15]
	v_cvt_i32_f64_e32 v23, v[108:109]
	v_cmp_eq_f64_e64 s2, 0x40900000, v[108:109]
	v_add_f64_e64 v[132:133], -v[134:135], 1.0
	v_fmac_f64_e32 v[114:115], 0xbc7abc9e3b39803f, v[108:109]
	v_add_f64_e64 v[130:131], -v[118:119], 1.0
	v_fma_f64 v[126:127], v[110:111], v[126:127], -v[46:47]
	v_fmaak_f64 v[110:111], v[110:111], v[140:141], 0x3fa5555555555555
	v_ldexp_f64 v[152:153], 1.0, v23
	v_fmamk_f64 v[122:123], v[114:115], 0x3e21f32ea9d67f34, v[26:27]
	v_fmamk_f64 v[136:137], v[114:115], 0x3e5ade156a5dcb37, v[24:25]
	s_delay_alu instid0(VALU_DEP_2) | instskip(NEXT) | instid1(VALU_DEP_2)
	v_fmaak_f64 v[122:123], v[114:115], v[122:123], 0x3e927e500e0ac05b
	v_fmaak_f64 v[136:137], v[114:115], v[136:137], 0x3ec71dee623fde64
	s_delay_alu instid0(VALU_DEP_2) | instskip(SKIP_2) | instid1(VALU_DEP_3)
	v_fmaak_f64 v[122:123], v[114:115], v[122:123], 0x3ec71de01b889c29
	v_add_f64_e64 v[112:113], v[130:131], -v[112:113]
	v_fmac_f64_e32 v[126:127], 0xbfc5555555555555, v[128:129]
	v_fmaak_f64 v[122:123], v[114:115], v[122:123], 0x3efa01a0197bcfd8
	v_fmaak_f64 v[130:131], v[114:115], v[136:137], 0x3efa01997c89e6b0
	v_mul_f64_e32 v[136:137], 0.5, v[50:51]
	s_delay_alu instid0(VALU_DEP_3) | instskip(NEXT) | instid1(VALU_DEP_3)
	v_fmaak_f64 v[122:123], v[114:115], v[122:123], 0x3f2a01a01ac1a723
	v_fmaak_f64 v[130:131], v[114:115], v[130:131], 0x3f2a01a014761f6e
	s_delay_alu instid0(VALU_DEP_2) | instskip(NEXT) | instid1(VALU_DEP_2)
	v_fmaak_f64 v[122:123], v[114:115], v[122:123], 0x3f56c16c16c18931
	v_fmaak_f64 v[130:131], v[114:115], v[130:131], 0x3f56c16c1852b7b0
	s_delay_alu instid0(VALU_DEP_2) | instskip(NEXT) | instid1(VALU_DEP_2)
	v_fmaak_f64 v[122:123], v[114:115], v[122:123], 0x3f81111111110056
	v_fmaak_f64 v[130:131], v[114:115], v[130:131], 0x3f81111111122322
	s_delay_alu instid0(VALU_DEP_2) | instskip(SKIP_2) | instid1(VALU_DEP_4)
	v_fmaak_f64 v[122:123], v[114:115], v[122:123], 0x3fa5555555555552
	v_fma_f64 v[46:47], v[42:43], -v[46:47], v[112:113]
	v_add_f64_e64 v[42:43], v[42:43], -v[126:127]
	v_fmaak_f64 v[112:113], v[114:115], v[130:131], 0x3fa55555555502a1
	s_delay_alu instid0(VALU_DEP_4) | instskip(NEXT) | instid1(VALU_DEP_2)
	v_fmaak_f64 v[122:123], v[114:115], v[122:123], 0x3fc5555555555557
	v_fmaak_f64 v[112:113], v[114:115], v[112:113], 0x3fc5555555555511
	s_delay_alu instid0(VALU_DEP_2) | instskip(NEXT) | instid1(VALU_DEP_2)
	v_fma_f64 v[122:123], v[114:115], v[122:123], 0.5
	v_fmaak_f64 v[112:113], v[114:115], v[112:113], 0x3fe000000000000b
	s_delay_alu instid0(VALU_DEP_1) | instskip(SKIP_1) | instid1(VALU_DEP_4)
	v_fma_f64 v[112:113], v[114:115], v[112:113], 1.0
	v_fmac_f64_e32 v[46:47], v[148:149], v[110:111]
	v_mul_f64_e32 v[122:123], v[114:115], v[122:123]
	s_delay_alu instid0(VALU_DEP_3) | instskip(NEXT) | instid1(VALU_DEP_3)
	v_fma_f64 v[112:113], v[114:115], v[112:113], 1.0
	v_add_f64_e32 v[46:47], v[118:119], v[46:47]
	v_mul_f64_e32 v[116:117], v[48:49], v[48:49]
	s_delay_alu instid0(VALU_DEP_4) | instskip(NEXT) | instid1(VALU_DEP_2)
	v_fmac_f64_e32 v[114:115], v[114:115], v[122:123]
	v_mul_f64_e32 v[124:125], 0.5, v[116:117]
	v_mul_f64_e64 v[142:143], v[48:49], -v[116:117]
	v_fmamk_f64 v[146:147], v[116:117], 0x3de5e0b2f9a43bb8, v[30:31]
	v_mul_f64_e32 v[128:129], v[116:117], v[116:117]
	s_delay_alu instid0(VALU_DEP_2) | instskip(SKIP_1) | instid1(VALU_DEP_2)
	v_fmaak_f64 v[130:131], v[116:117], v[146:147], 0x3ec71de3796cde01
	v_mul_f64_e32 v[146:147], 0.5, v[62:63]
	v_fmaak_f64 v[130:131], v[116:117], v[130:131], 0xbf2a01a019e83e5c
	s_delay_alu instid0(VALU_DEP_1) | instskip(SKIP_2) | instid1(VALU_DEP_3)
	v_fmaak_f64 v[108:109], v[116:117], v[130:131], 0x3f81111111110bb3
	v_add_f64_e64 v[130:131], -v[132:133], 1.0
	v_add_f64_e64 v[138:139], -v[124:125], 1.0
	v_fmac_f64_e32 v[136:137], v[142:143], v[108:109]
	s_delay_alu instid0(VALU_DEP_2) | instskip(NEXT) | instid1(VALU_DEP_2)
	v_add_f64_e64 v[144:145], -v[138:139], 1.0
	v_fma_f64 v[122:123], v[116:117], v[136:137], -v[50:51]
	s_delay_alu instid0(VALU_DEP_2) | instskip(SKIP_1) | instid1(VALU_DEP_3)
	v_add_f64_e64 v[108:109], v[144:145], -v[124:125]
	v_fmaak_f64 v[124:125], v[120:121], v[154:155], 0x3ec71de3796cde01
	v_fmac_f64_e32 v[122:123], 0xbfc5555555555555, v[142:143]
	s_delay_alu instid0(VALU_DEP_2) | instskip(SKIP_2) | instid1(VALU_DEP_3)
	v_fmaak_f64 v[110:111], v[120:121], v[124:125], 0xbf2a01a019e83e5c
	v_cndmask_b32_e64 v125, v153, 0x7fe00000, s2
	v_cndmask_b32_e64 v124, v152, 0, s2
	v_fmaak_f64 v[110:111], v[120:121], v[110:111], 0x3f81111111110bb3
	s_delay_alu instid0(VALU_DEP_1) | instskip(SKIP_1) | instid1(VALU_DEP_4)
	v_fmac_f64_e32 v[146:147], v[150:151], v[110:111]
	v_add_f64_e64 v[110:111], v[130:131], -v[134:135]
	v_add_f64_e32 v[134:135], -1.0, v[124:125]
	v_fmamk_f64 v[130:131], v[116:117], 0xbda907db46cc5e42, v[28:29]
	s_delay_alu instid0(VALU_DEP_2) | instskip(SKIP_4) | instid1(VALU_DEP_4)
	v_fmac_f64_e32 v[134:135], v[124:125], v[114:115]
	v_and_b32_e32 v114, 1, v96
	v_xor_b32_e32 v96, v40, v41
	v_fmamk_f64 v[126:127], v[120:121], 0xbda907db46cc5e42, v[28:29]
	v_mul_f64_e32 v[118:119], v[120:121], v[120:121]
	v_cmp_eq_u32_e64 s3, 0, v114
	v_add_f64_e32 v[40:41], v[134:135], v[134:135]
	v_fma_f64 v[50:51], v[48:49], -v[50:51], v[108:109]
	v_fmaak_f64 v[108:109], v[116:117], v[130:131], 0xbe927e4fa17f65f6
	s_delay_alu instid0(VALU_DEP_1) | instskip(NEXT) | instid1(VALU_DEP_1)
	v_fmaak_f64 v[108:109], v[116:117], v[108:109], 0x3efa01a019f4ec90
	v_fmaak_f64 v[108:109], v[116:117], v[108:109], 0xbf56c16c16c16967
	s_delay_alu instid0(VALU_DEP_1)
	v_fmaak_f64 v[108:109], v[116:117], v[108:109], 0x3fa5555555555555
	v_fma_f64 v[116:117], v[120:121], v[146:147], -v[62:63]
	v_fma_f64 v[62:63], v[58:59], -v[62:63], v[110:111]
	v_fmaak_f64 v[110:111], v[120:121], v[126:127], 0xbe927e4fa17f65f6
	v_cndmask_b32_e64 v40, v134, v40, s2
	v_fmac_f64_e32 v[50:51], v[128:129], v[108:109]
	s_delay_alu instid0(VALU_DEP_3) | instskip(SKIP_2) | instid1(VALU_DEP_2)
	v_fmaak_f64 v[108:109], v[120:121], v[110:111], 0x3efa01a019f4ec90
	v_dual_cndmask_b32 v110, v46, v42, s3 :: v_dual_cndmask_b32 v41, v135, v41, s2
	s_and_b32 s2, s6, s5
	v_fmaak_f64 v[108:109], v[120:121], v[108:109], 0xbf56c16c16c16967
	s_delay_alu instid0(VALU_DEP_1) | instskip(NEXT) | instid1(VALU_DEP_1)
	v_fmaak_f64 v[108:109], v[120:121], v[108:109], 0x3fa5555555555555
	v_fmac_f64_e32 v[62:63], v[118:119], v[108:109]
	v_cndmask_b32_e64 v108, v47, v43, s3
	v_add_f64_e64 v[42:43], v[48:49], -v[122:123]
	v_ldexp_f64 v[48:49], v[112:113], v23
	v_dual_add_f64 v[46:47], v[138:139], v[50:51] :: v_dual_bitop2_b32 v23, 1, v97 bitop3:0x40
	s_delay_alu instid0(VALU_DEP_1) | instskip(SKIP_2) | instid1(VALU_DEP_2)
	v_cmp_eq_u32_e64 s3, 0, v23
	v_bitop3_b32 v51, v108, v96, 0x80000000 bitop3:0x78
	v_cndmask_b32_e64 v50, 0, v110, s4
	v_cndmask_b32_e64 v51, 0x7ff80000, v51, s4
	v_cmp_class_f64_e64 s4, v[16:17], 0x1f8
	v_and_b32_e32 v16, 1, v99
	s_delay_alu instid0(VALU_DEP_3) | instskip(NEXT) | instid1(VALU_DEP_2)
	v_add_f64_e32 v[108:109], v[50:51], v[50:51]
	v_cmp_eq_u32_e64 s9, 0, v16
	v_dual_add_f64 v[62:63], v[132:133], v[62:63] :: v_dual_lshlrev_b32 v16, 30, v97
	v_cndmask_b32_e64 v23, v42, v46, s3
	v_xor_b32_e32 v42, 0x80000000, v43
	v_lshlrev_b32_e32 v43, 30, v99
	v_fmac_f64_e32 v[116:117], 0xbfc5555555555555, v[150:151]
	v_cndmask_b32_e64 v46, 0x7ff00000, v41, s5
	v_cndmask_b32_e64 v41, 0x7ff00000, v49, s7
	s_delay_alu instid0(VALU_DEP_4) | instskip(NEXT) | instid1(VALU_DEP_2)
	v_dual_cndmask_b32 v42, v42, v47, s3 :: v_dual_bitop2_b32 v17, v43, v17 bitop3:0x14
	v_cndmask_b32_e64 v41, 0, v41, s8
	s_delay_alu instid0(VALU_DEP_2) | instskip(SKIP_2) | instid1(VALU_DEP_1)
	v_bitop3_b32 v42, v42, v16, 0x80000000 bitop3:0x78
	v_mul_f64_e32 v[14:15], v[108:109], v[50:51]
	v_dual_add_f64 v[58:59], v[58:59], -v[116:117] :: v_dual_cndmask_b32 v16, 0, v23, s4
	v_dual_cndmask_b32 v47, v63, v59, s9 :: v_dual_cndmask_b32 v43, v62, v58, s9
	s_delay_alu instid0(VALU_DEP_1)
	v_bitop3_b32 v23, v47, v17, 0x80000000 bitop3:0x78
	v_cndmask_b32_e64 v47, 0xbff00000, v46, s6
	v_cndmask_b32_e64 v46, 0, v40, s2
	s_and_b32 s2, s8, s7
	v_cndmask_b32_e64 v17, 0x7ff80000, v42, s4
	v_cndmask_b32_e64 v42, 0, v43, s4
	;; [unrolled: 1-line block ×4, first 2 shown]
	s_delay_alu instid0(VALU_DEP_4) | instskip(NEXT) | instid1(VALU_DEP_2)
	v_fma_f64 v[14:15], v[46:47], v[16:17], -v[14:15]
	v_mul_f64_e32 v[16:17], v[40:41], v[42:43]
	global_store_b128 v[38:39], v[14:17], off
	s_wait_xcnt 0x0
	s_or_b32 exec_lo, exec_lo, s33
	s_and_saveexec_b32 s9, s1
	s_cbranch_execnz .LBB143_118
.LBB143_113:                            ;   in Loop: Header=BB143_57 Depth=1
	s_or_b32 exec_lo, exec_lo, s9
	s_and_saveexec_b32 s8, s0
	s_cbranch_execz .LBB143_119
.LBB143_114:                            ;   in Loop: Header=BB143_57 Depth=1
	v_mul_f64_e32 v[12:13], v[66:67], v[66:67]
	v_mul_f64_e32 v[10:11], 0x3ff71547652b82fe, v[6:7]
	v_cmp_class_f64_e64 s2, v[54:55], 0x1f8
	v_mul_f64_e32 v[46:47], 0.5, v[70:71]
	v_cmp_ngt_f64_e64 s6, 0xc090cc00, v[6:7]
	v_mul_f64_e32 v[36:37], v[74:75], v[74:75]
	v_cmp_nlt_f64_e64 s3, s[24:25], v[6:7]
	v_cmp_ngt_f64_e64 s4, 0xc0428000, v[6:7]
	v_cmp_nlt_f64_e64 s5, 0x40900000, v[6:7]
	v_mul_f64_e32 v[14:15], 0.5, v[12:13]
	v_mul_f64_e64 v[48:49], v[66:67], -v[12:13]
	v_fmamk_f64 v[52:53], v[12:13], 0x3de5e0b2f9a43bb8, v[30:31]
	v_rndne_f64_e32 v[10:11], v[10:11]
	v_fmamk_f64 v[62:63], v[12:13], 0xbda907db46cc5e42, v[28:29]
	v_mul_f64_e32 v[44:45], 0.5, v[36:37]
	v_mul_f64_e64 v[64:65], v[74:75], -v[36:37]
	v_fmamk_f64 v[76:77], v[36:37], 0x3de5e0b2f9a43bb8, v[30:31]
	v_fmaak_f64 v[52:53], v[12:13], v[52:53], 0x3ec71de3796cde01
	v_fmaak_f64 v[62:63], v[12:13], v[62:63], 0xbe927e4fa17f65f6
	s_delay_alu instid0(VALU_DEP_2) | instskip(NEXT) | instid1(VALU_DEP_2)
	v_fmaak_f64 v[52:53], v[12:13], v[52:53], 0xbf2a01a019e83e5c
	v_fmaak_f64 v[62:63], v[12:13], v[62:63], 0x3efa01a019f4ec90
	s_delay_alu instid0(VALU_DEP_2) | instskip(NEXT) | instid1(VALU_DEP_2)
	v_fmaak_f64 v[52:53], v[12:13], v[52:53], 0x3f81111111110bb3
	v_fmaak_f64 v[62:63], v[12:13], v[62:63], 0xbf56c16c16c16967
	v_add_f64_e64 v[38:39], -v[14:15], 1.0
	s_delay_alu instid0(VALU_DEP_3)
	v_fmac_f64_e32 v[46:47], v[48:49], v[52:53]
	v_cmp_eq_f64_e64 s0, 0x40900000, v[10:11]
	v_mul_f64_e32 v[96:97], v[12:13], v[12:13]
	v_fmamk_f64 v[16:17], v[10:11], 0xbfe62e42fefa39ef, v[6:7]
	v_add_f64_e64 v[60:61], -v[44:45], 1.0
	v_cvt_i32_f64_e32 v23, v[10:11]
	s_delay_alu instid0(VALU_DEP_3)
	v_fmac_f64_e32 v[16:17], 0xbc7abc9e3b39803f, v[10:11]
	v_add_f64_e64 v[50:51], -v[38:39], 1.0
	v_fma_f64 v[46:47], v[12:13], v[46:47], -v[70:71]
	v_fmaak_f64 v[12:13], v[12:13], v[62:63], 0x3fa5555555555555
	v_add_f64_e64 v[72:73], -v[60:61], 1.0
	v_ldexp_f64 v[108:109], 1.0, v23
	v_fmamk_f64 v[42:43], v[16:17], 0x3e21f32ea9d67f34, v[26:27]
	v_fmamk_f64 v[58:59], v[16:17], 0x3e5ade156a5dcb37, v[24:25]
	s_delay_alu instid0(VALU_DEP_2) | instskip(NEXT) | instid1(VALU_DEP_2)
	v_fmaak_f64 v[42:43], v[16:17], v[42:43], 0x3e927e500e0ac05b
	v_fmaak_f64 v[58:59], v[16:17], v[58:59], 0x3ec71dee623fde64
	s_delay_alu instid0(VALU_DEP_2) | instskip(SKIP_2) | instid1(VALU_DEP_3)
	v_fmaak_f64 v[42:43], v[16:17], v[42:43], 0x3ec71de01b889c29
	v_add_f64_e64 v[14:15], v[50:51], -v[14:15]
	v_fmac_f64_e32 v[46:47], 0xbfc5555555555555, v[48:49]
	v_fmaak_f64 v[42:43], v[16:17], v[42:43], 0x3efa01a0197bcfd8
	v_fmaak_f64 v[50:51], v[16:17], v[58:59], 0x3efa01997c89e6b0
	v_mul_f64_e32 v[58:59], 0.5, v[78:79]
	v_mul_f64_e32 v[48:49], v[36:37], v[36:37]
	s_delay_alu instid0(VALU_DEP_4) | instskip(NEXT) | instid1(VALU_DEP_4)
	v_fmaak_f64 v[42:43], v[16:17], v[42:43], 0x3f2a01a01ac1a723
	v_fmaak_f64 v[50:51], v[16:17], v[50:51], 0x3f2a01a014761f6e
	s_delay_alu instid0(VALU_DEP_2) | instskip(NEXT) | instid1(VALU_DEP_2)
	v_fmaak_f64 v[42:43], v[16:17], v[42:43], 0x3f56c16c16c18931
	v_fmaak_f64 v[50:51], v[16:17], v[50:51], 0x3f56c16c1852b7b0
	s_delay_alu instid0(VALU_DEP_2) | instskip(NEXT) | instid1(VALU_DEP_2)
	;; [unrolled: 3-line block ×3, first 2 shown]
	v_fmaak_f64 v[42:43], v[16:17], v[42:43], 0x3fa5555555555552
	v_fmaak_f64 v[50:51], v[16:17], v[50:51], 0x3fa55555555502a1
	v_fma_f64 v[14:15], v[66:67], -v[70:71], v[14:15]
	v_add_f64_e64 v[46:47], v[66:67], -v[46:47]
	v_fmaak_f64 v[70:71], v[36:37], v[76:77], 0x3ec71de3796cde01
	v_mul_f64_e32 v[76:77], 0.5, v[88:89]
	v_fmaak_f64 v[42:43], v[16:17], v[42:43], 0x3fc5555555555557
	v_fmaak_f64 v[50:51], v[16:17], v[50:51], 0x3fc5555555555511
	s_delay_alu instid0(VALU_DEP_4) | instskip(NEXT) | instid1(VALU_DEP_3)
	v_fmaak_f64 v[70:71], v[36:37], v[70:71], 0xbf2a01a019e83e5c
	v_fma_f64 v[42:43], v[16:17], v[42:43], 0.5
	s_delay_alu instid0(VALU_DEP_3) | instskip(NEXT) | instid1(VALU_DEP_3)
	v_fmaak_f64 v[50:51], v[16:17], v[50:51], 0x3fe000000000000b
	v_fmaak_f64 v[10:11], v[36:37], v[70:71], 0x3f81111111110bb3
	s_delay_alu instid0(VALU_DEP_2) | instskip(NEXT) | instid1(VALU_DEP_2)
	v_fma_f64 v[50:51], v[16:17], v[50:51], 1.0
	v_fmac_f64_e32 v[58:59], v[64:65], v[10:11]
	v_add_f64_e64 v[10:11], v[72:73], -v[44:45]
	v_fmac_f64_e32 v[14:15], v[96:97], v[12:13]
	v_mul_f64_e32 v[42:43], v[16:17], v[42:43]
	v_fma_f64 v[50:51], v[16:17], v[50:51], 1.0
	s_delay_alu instid0(VALU_DEP_4) | instskip(NEXT) | instid1(VALU_DEP_4)
	v_fma_f64 v[10:11], v[74:75], -v[78:79], v[10:11]
	v_add_f64_e32 v[14:15], v[38:39], v[14:15]
	v_mul_f64_e32 v[40:41], v[84:85], v[84:85]
	v_fmac_f64_e32 v[16:17], v[16:17], v[42:43]
	v_fma_f64 v[42:43], v[36:37], v[58:59], -v[78:79]
	s_delay_alu instid0(VALU_DEP_3) | instskip(SKIP_2) | instid1(VALU_DEP_2)
	v_mul_f64_e32 v[56:57], 0.5, v[40:41]
	v_fmamk_f64 v[110:111], v[40:41], 0x3de5e0b2f9a43bb8, v[30:31]
	v_mul_f64_e64 v[98:99], v[84:85], -v[40:41]
	v_fmaak_f64 v[44:45], v[40:41], v[110:111], 0x3ec71de3796cde01
	s_delay_alu instid0(VALU_DEP_1) | instskip(SKIP_2) | instid1(VALU_DEP_1)
	v_fmaak_f64 v[12:13], v[40:41], v[44:45], 0xbf2a01a019e83e5c
	v_cndmask_b32_e64 v45, v109, 0x7fe00000, s0
	v_cndmask_b32_e64 v44, v108, 0, s0
	v_add_f64_e32 v[62:63], -1.0, v[44:45]
	s_delay_alu instid0(VALU_DEP_4) | instskip(SKIP_1) | instid1(VALU_DEP_2)
	v_fmaak_f64 v[12:13], v[40:41], v[12:13], 0x3f81111111110bb3
	v_add_f64_e64 v[52:53], -v[56:57], 1.0
	v_fmac_f64_e32 v[76:77], v[98:99], v[12:13]
	s_delay_alu instid0(VALU_DEP_4) | instskip(NEXT) | instid1(VALU_DEP_3)
	v_fmac_f64_e32 v[62:63], v[44:45], v[16:17]
	v_add_f64_e64 v[70:71], -v[52:53], 1.0
	s_delay_alu instid0(VALU_DEP_1) | instskip(SKIP_1) | instid1(VALU_DEP_1)
	v_add_f64_e64 v[12:13], v[70:71], -v[56:57]
	v_fmamk_f64 v[56:57], v[36:37], 0xbda907db46cc5e42, v[28:29]
	v_fmaak_f64 v[56:57], v[36:37], v[56:57], 0xbe927e4fa17f65f6
	s_delay_alu instid0(VALU_DEP_1) | instskip(NEXT) | instid1(VALU_DEP_1)
	v_fmaak_f64 v[38:39], v[36:37], v[56:57], 0x3efa01a019f4ec90
	v_fmaak_f64 v[38:39], v[36:37], v[38:39], 0xbf56c16c16c16967
	s_delay_alu instid0(VALU_DEP_1) | instskip(NEXT) | instid1(VALU_DEP_1)
	v_fmaak_f64 v[36:37], v[36:37], v[38:39], 0x3fa5555555555555
	v_fmac_f64_e32 v[10:11], v[48:49], v[36:37]
	v_and_b32_e32 v36, 1, v101
	s_delay_alu instid0(VALU_DEP_1) | instskip(NEXT) | instid1(VALU_DEP_1)
	v_cmp_eq_u32_e64 s1, 0, v36
	v_dual_cndmask_b32 v44, v14, v46, s1 :: v_dual_lshlrev_b32 v14, 30, v101
	v_fmamk_f64 v[58:59], v[40:41], 0xbda907db46cc5e42, v[28:29]
	v_dual_mul_f64 v[56:57], v[40:41], v[40:41] :: v_dual_cndmask_b32 v37, v15, v47, s1
	s_delay_alu instid0(VALU_DEP_3) | instskip(SKIP_1) | instid1(VALU_DEP_4)
	v_dual_fma_f64 v[38:39], v[40:41], v[76:77], -v[88:89] :: v_dual_bitop2_b32 v36, v14, v55 bitop3:0x14
	v_add_f64_e32 v[14:15], v[62:63], v[62:63]
	v_fmaak_f64 v[58:59], v[40:41], v[58:59], 0xbe927e4fa17f65f6
	s_delay_alu instid0(VALU_DEP_1) | instskip(SKIP_1) | instid1(VALU_DEP_2)
	v_fmaak_f64 v[16:17], v[40:41], v[58:59], 0x3efa01a019f4ec90
	v_add_f64_e32 v[10:11], v[60:61], v[10:11]
	v_fmaak_f64 v[16:17], v[40:41], v[16:17], 0xbf56c16c16c16967
	s_delay_alu instid0(VALU_DEP_1) | instskip(SKIP_4) | instid1(VALU_DEP_4)
	v_fmaak_f64 v[16:17], v[40:41], v[16:17], 0x3fa5555555555555
	v_bitop3_b32 v41, v37, v36, 0x80000000 bitop3:0x78
	v_cndmask_b32_e64 v40, 0, v44, s2
	v_ldexp_f64 v[36:37], v[50:51], v23
	v_and_b32_e32 v23, 1, v103
	v_cndmask_b32_e64 v41, 0x7ff80000, v41, s2
	v_cmp_class_f64_e64 s2, v[8:9], 0x1f8
	v_dual_cndmask_b32 v14, v62, v14, s0 :: v_dual_bitop2_b32 v8, 1, v105 bitop3:0x40
	v_cndmask_b32_e64 v15, v63, v15, s0
	s_and_b32 s0, s4, s3
	v_cmp_eq_u32_e64 s1, 0, v23
	s_delay_alu instid0(VALU_DEP_3)
	v_cmp_eq_u32_e64 s7, 0, v8
	v_lshlrev_b32_e32 v8, 30, v103
	v_fmac_f64_e32 v[42:43], 0xbfc5555555555555, v[64:65]
	v_dual_fma_f64 v[12:13], v[84:85], -v[88:89], v[12:13] :: v_dual_cndmask_b32 v14, 0, v14, s0
	v_lshlrev_b32_e32 v23, 30, v105
	v_cndmask_b32_e64 v15, 0x7ff00000, v15, s3
	s_and_b32 s0, s6, s5
	s_delay_alu instid0(VALU_DEP_2) | instskip(NEXT) | instid1(VALU_DEP_2)
	v_xor_b32_e32 v9, v23, v9
	v_cndmask_b32_e64 v15, 0xbff00000, v15, s4
	v_fmac_f64_e32 v[12:13], v[56:57], v[16:17]
	v_add_f64_e64 v[16:17], v[74:75], -v[42:43]
	v_add_f64_e32 v[42:43], v[40:41], v[40:41]
	s_delay_alu instid0(VALU_DEP_3) | instskip(NEXT) | instid1(VALU_DEP_3)
	v_add_f64_e32 v[12:13], v[52:53], v[12:13]
	v_xor_b32_e32 v17, 0x80000000, v17
	s_delay_alu instid0(VALU_DEP_4) | instskip(SKIP_1) | instid1(VALU_DEP_3)
	v_cndmask_b32_e64 v10, v16, v10, s1
	v_cndmask_b32_e64 v16, 0x7ff00000, v37, s5
	;; [unrolled: 1-line block ×3, first 2 shown]
	s_delay_alu instid0(VALU_DEP_1) | instskip(NEXT) | instid1(VALU_DEP_4)
	v_bitop3_b32 v17, v11, v8, 0x80000000 bitop3:0x78
	v_cndmask_b32_e64 v8, 0, v10, s2
	v_fmac_f64_e32 v[38:39], 0xbfc5555555555555, v[98:99]
	s_delay_alu instid0(VALU_DEP_1) | instskip(NEXT) | instid1(VALU_DEP_1)
	v_dual_add_f64 v[38:39], v[84:85], -v[38:39] :: v_dual_cndmask_b32 v11, 0, v16, s6
	v_dual_mul_f64 v[6:7], v[42:43], v[40:41] :: v_dual_cndmask_b32 v13, v13, v39, s7
	s_delay_alu instid0(VALU_DEP_2) | instskip(NEXT) | instid1(VALU_DEP_2)
	v_cndmask_b32_e64 v12, v12, v38, s7
	v_bitop3_b32 v10, v13, v9, 0x80000000 bitop3:0x78
	v_cndmask_b32_e64 v9, 0x7ff80000, v17, s2
	s_delay_alu instid0(VALU_DEP_3) | instskip(NEXT) | instid1(VALU_DEP_3)
	v_cndmask_b32_e64 v12, 0, v12, s2
	v_cndmask_b32_e64 v13, 0x7ff80000, v10, s2
	;; [unrolled: 1-line block ×3, first 2 shown]
	s_delay_alu instid0(VALU_DEP_4) | instskip(NEXT) | instid1(VALU_DEP_2)
	v_fma_f64 v[6:7], v[14:15], v[8:9], -v[6:7]
	v_mul_f64_e32 v[8:9], v[10:11], v[12:13]
	v_lshl_add_u64 v[10:11], v[34:35], 4, s[16:17]
	global_store_b128 v[10:11], v[6:9], off
	s_wait_xcnt 0x0
	s_or_b32 exec_lo, exec_lo, s8
	s_and_saveexec_b32 s7, vcc_lo
	s_cbranch_execz .LBB143_56
	s_branch .LBB143_120
.LBB143_115:                            ;   in Loop: Header=BB143_57 Depth=1
	s_and_not1_saveexec_b32 s3, s4
	s_cbranch_execz .LBB143_111
.LBB143_116:                            ;   in Loop: Header=BB143_57 Depth=1
	v_mul_f64_e64 v[92:93], |v[4:5]|, s[18:19]
	s_delay_alu instid0(VALU_DEP_1) | instskip(NEXT) | instid1(VALU_DEP_1)
	v_rndne_f64_e32 v[108:109], v[92:93]
	v_fma_f64 v[92:93], v[108:109], s[20:21], |v[4:5]|
	v_mul_f64_e32 v[94:95], 0xbc91a62633145c00, v[108:109]
	v_cvt_i32_f64_e32 v107, v[108:109]
	s_delay_alu instid0(VALU_DEP_3) | instskip(NEXT) | instid1(VALU_DEP_3)
	v_fmamk_f64 v[114:115], v[108:109], 0xbc91a62633145c00, v[92:93]
	v_add_f64_e32 v[110:111], v[92:93], v[94:95]
	s_delay_alu instid0(VALU_DEP_1) | instskip(NEXT) | instid1(VALU_DEP_3)
	v_add_f64_e64 v[112:113], v[92:93], -v[110:111]
	v_add_f64_e64 v[92:93], v[110:111], -v[114:115]
	s_delay_alu instid0(VALU_DEP_2) | instskip(SKIP_1) | instid1(VALU_DEP_2)
	v_add_f64_e32 v[110:111], v[112:113], v[94:95]
	v_fmamk_f64 v[94:95], v[108:109], 0x3c91a62633145c00, v[94:95]
	v_add_f64_e32 v[92:93], v[92:93], v[110:111]
	s_delay_alu instid0(VALU_DEP_1) | instskip(NEXT) | instid1(VALU_DEP_1)
	v_add_f64_e64 v[94:95], v[92:93], -v[94:95]
	v_fmac_f64_e32 v[94:95], 0xb97b839a252049c0, v[108:109]
	s_delay_alu instid0(VALU_DEP_1) | instskip(NEXT) | instid1(VALU_DEP_1)
	v_add_f64_e32 v[92:93], v[114:115], v[94:95]
	v_add_f64_e64 v[110:111], v[92:93], -v[114:115]
	s_delay_alu instid0(VALU_DEP_1) | instskip(SKIP_2) | instid1(SALU_CYCLE_1)
	v_add_f64_e64 v[94:95], v[94:95], -v[110:111]
	s_or_b32 exec_lo, exec_lo, s3
	s_and_saveexec_b32 s3, s2
	s_xor_b32 s33, exec_lo, s3
	s_cbranch_execnz .LBB143_112
.LBB143_117:                            ;   in Loop: Header=BB143_57 Depth=1
	s_or_b32 exec_lo, exec_lo, s33
	s_and_saveexec_b32 s9, s1
	s_cbranch_execz .LBB143_113
.LBB143_118:                            ;   in Loop: Header=BB143_57 Depth=1
	v_mul_f64_e32 v[16:17], v[52:53], v[52:53]
	v_mul_f64_e32 v[14:15], 0x3ff71547652b82fe, v[10:11]
	v_cmp_class_f64_e64 s3, v[44:45], 0x1f8
	v_mul_f64_e32 v[42:43], v[60:61], v[60:61]
	v_mul_f64_e32 v[48:49], v[72:73], v[72:73]
	v_cmp_ngt_f64_e64 s7, 0xc090cc00, v[10:11]
	v_cmp_nlt_f64_e64 s4, s[24:25], v[10:11]
	v_cmp_ngt_f64_e64 s5, 0xc0428000, v[10:11]
	v_cmp_nlt_f64_e64 s6, 0x40900000, v[10:11]
	v_mul_f64_e32 v[38:39], 0.5, v[16:17]
	v_rndne_f64_e32 v[14:15], v[14:15]
	v_mul_f64_e64 v[96:97], v[52:53], -v[16:17]
	v_fmamk_f64 v[110:111], v[16:17], 0x3de5e0b2f9a43bb8, v[30:31]
	v_fmamk_f64 v[118:119], v[16:17], 0xbda907db46cc5e42, v[28:29]
	v_mul_f64_e32 v[126:127], v[16:17], v[16:17]
	v_mul_f64_e32 v[112:113], 0.5, v[48:49]
	v_mul_f64_e64 v[120:121], v[60:61], -v[42:43]
	v_fmamk_f64 v[124:125], v[42:43], 0x3de5e0b2f9a43bb8, v[30:31]
	v_mul_f64_e64 v[128:129], v[72:73], -v[48:49]
	v_fmaak_f64 v[110:111], v[16:17], v[110:111], 0x3ec71de3796cde01
	v_fmaak_f64 v[118:119], v[16:17], v[118:119], 0xbe927e4fa17f65f6
	v_fmamk_f64 v[132:133], v[48:49], 0x3de5e0b2f9a43bb8, v[30:31]
	s_delay_alu instid0(VALU_DEP_3) | instskip(NEXT) | instid1(VALU_DEP_3)
	v_fmaak_f64 v[110:111], v[16:17], v[110:111], 0xbf2a01a019e83e5c
	v_fmaak_f64 v[118:119], v[16:17], v[118:119], 0x3efa01a019f4ec90
	s_delay_alu instid0(VALU_DEP_2) | instskip(NEXT) | instid1(VALU_DEP_2)
	v_fmaak_f64 v[110:111], v[16:17], v[110:111], 0x3f81111111110bb3
	v_fmaak_f64 v[118:119], v[16:17], v[118:119], 0xbf56c16c16c16967
	v_add_f64_e64 v[46:47], -v[38:39], 1.0
	v_cmp_eq_f64_e64 s1, 0x40900000, v[14:15]
	v_mul_f64_e32 v[62:63], 0.5, v[56:57]
	v_fmamk_f64 v[40:41], v[14:15], 0xbfe62e42fefa39ef, v[10:11]
	v_cvt_i32_f64_e32 v23, v[14:15]
	s_delay_alu instid0(VALU_DEP_2)
	v_fmac_f64_e32 v[40:41], 0xbc7abc9e3b39803f, v[14:15]
	v_add_f64_e64 v[108:109], -v[46:47], 1.0
	v_fmac_f64_e32 v[62:63], v[96:97], v[110:111]
	v_add_f64_e64 v[110:111], -v[112:113], 1.0
	v_ldexp_f64 v[130:131], 1.0, v23
	v_fmamk_f64 v[50:51], v[40:41], 0x3e21f32ea9d67f34, v[26:27]
	v_fmamk_f64 v[114:115], v[40:41], 0x3e5ade156a5dcb37, v[24:25]
	s_delay_alu instid0(VALU_DEP_2) | instskip(NEXT) | instid1(VALU_DEP_2)
	v_fmaak_f64 v[50:51], v[40:41], v[50:51], 0x3e927e500e0ac05b
	v_fmaak_f64 v[114:115], v[40:41], v[114:115], 0x3ec71dee623fde64
	s_delay_alu instid0(VALU_DEP_2) | instskip(NEXT) | instid1(VALU_DEP_1)
	v_fmaak_f64 v[50:51], v[40:41], v[50:51], 0x3ec71de01b889c29
	v_fmaak_f64 v[50:51], v[40:41], v[50:51], 0x3efa01a0197bcfd8
	v_add_f64_e64 v[38:39], v[108:109], -v[38:39]
	s_delay_alu instid0(VALU_DEP_4)
	v_fmaak_f64 v[108:109], v[40:41], v[114:115], 0x3efa01997c89e6b0
	v_fma_f64 v[62:63], v[16:17], v[62:63], -v[56:57]
	v_fmaak_f64 v[16:17], v[16:17], v[118:119], 0x3fa5555555555555
	v_mul_f64_e32 v[114:115], 0.5, v[64:65]
	v_fmaak_f64 v[50:51], v[40:41], v[50:51], 0x3f2a01a01ac1a723
	v_fmaak_f64 v[108:109], v[40:41], v[108:109], 0x3f2a01a014761f6e
	s_delay_alu instid0(VALU_DEP_2) | instskip(NEXT) | instid1(VALU_DEP_2)
	v_fmaak_f64 v[50:51], v[40:41], v[50:51], 0x3f56c16c16c18931
	v_fmaak_f64 v[108:109], v[40:41], v[108:109], 0x3f56c16c1852b7b0
	s_delay_alu instid0(VALU_DEP_2) | instskip(NEXT) | instid1(VALU_DEP_2)
	v_fmaak_f64 v[50:51], v[40:41], v[50:51], 0x3f81111111110056
	v_fmaak_f64 v[108:109], v[40:41], v[108:109], 0x3f81111111122322
	s_delay_alu instid0(VALU_DEP_2) | instskip(SKIP_1) | instid1(VALU_DEP_3)
	v_fmaak_f64 v[50:51], v[40:41], v[50:51], 0x3fa5555555555552
	v_fma_f64 v[38:39], v[52:53], -v[56:57], v[38:39]
	v_fmaak_f64 v[56:57], v[40:41], v[108:109], 0x3fa55555555502a1
	v_fmac_f64_e32 v[62:63], 0xbfc5555555555555, v[96:97]
	s_delay_alu instid0(VALU_DEP_4)
	v_fmaak_f64 v[50:51], v[40:41], v[50:51], 0x3fc5555555555557
	v_fmaak_f64 v[108:109], v[42:43], v[124:125], 0x3ec71de3796cde01
	v_mul_f64_e32 v[124:125], 0.5, v[76:77]
	v_mul_f64_e32 v[96:97], v[42:43], v[42:43]
	v_fmaak_f64 v[56:57], v[40:41], v[56:57], 0x3fc5555555555511
	v_fma_f64 v[50:51], v[40:41], v[50:51], 0.5
	v_fmaak_f64 v[108:109], v[42:43], v[108:109], 0xbf2a01a019e83e5c
	s_delay_alu instid0(VALU_DEP_3) | instskip(NEXT) | instid1(VALU_DEP_2)
	v_fmaak_f64 v[56:57], v[40:41], v[56:57], 0x3fe000000000000b
	v_fmaak_f64 v[14:15], v[42:43], v[108:109], 0x3f81111111110bb3
	v_add_f64_e64 v[108:109], -v[110:111], 1.0
	s_delay_alu instid0(VALU_DEP_3) | instskip(NEXT) | instid1(VALU_DEP_3)
	v_fma_f64 v[56:57], v[40:41], v[56:57], 1.0
	v_fmac_f64_e32 v[114:115], v[120:121], v[14:15]
	v_fmac_f64_e32 v[38:39], v[126:127], v[16:17]
	v_add_f64_e64 v[52:53], v[52:53], -v[62:63]
	v_mul_f64_e32 v[50:51], v[40:41], v[50:51]
	v_fma_f64 v[56:57], v[40:41], v[56:57], 1.0
	s_delay_alu instid0(VALU_DEP_4) | instskip(SKIP_1) | instid1(VALU_DEP_4)
	v_add_f64_e32 v[38:39], v[46:47], v[38:39]
	v_mul_f64_e32 v[58:59], 0.5, v[42:43]
	v_fmac_f64_e32 v[40:41], v[40:41], v[50:51]
	v_fma_f64 v[50:51], v[42:43], v[114:115], -v[64:65]
	s_delay_alu instid0(VALU_DEP_3) | instskip(NEXT) | instid1(VALU_DEP_1)
	v_add_f64_e64 v[116:117], -v[58:59], 1.0
	v_add_f64_e64 v[122:123], -v[116:117], 1.0
	s_delay_alu instid0(VALU_DEP_1) | instskip(SKIP_1) | instid1(VALU_DEP_1)
	v_add_f64_e64 v[14:15], v[122:123], -v[58:59]
	v_fmaak_f64 v[58:59], v[48:49], v[132:133], 0x3ec71de3796cde01
	v_fmaak_f64 v[16:17], v[48:49], v[58:59], 0xbf2a01a019e83e5c
	v_cndmask_b32_e64 v59, v131, 0x7fe00000, s1
	v_cndmask_b32_e64 v58, v130, 0, s1
	s_delay_alu instid0(VALU_DEP_3) | instskip(NEXT) | instid1(VALU_DEP_1)
	v_fmaak_f64 v[16:17], v[48:49], v[16:17], 0x3f81111111110bb3
	v_fmac_f64_e32 v[124:125], v[128:129], v[16:17]
	v_add_f64_e64 v[16:17], v[108:109], -v[112:113]
	v_fmamk_f64 v[108:109], v[42:43], 0xbda907db46cc5e42, v[28:29]
	v_fma_f64 v[14:15], v[60:61], -v[64:65], v[14:15]
	s_delay_alu instid0(VALU_DEP_2) | instskip(NEXT) | instid1(VALU_DEP_1)
	v_fmaak_f64 v[64:65], v[42:43], v[108:109], 0xbe927e4fa17f65f6
	v_fmaak_f64 v[46:47], v[42:43], v[64:65], 0x3efa01a019f4ec90
	s_delay_alu instid0(VALU_DEP_1) | instskip(NEXT) | instid1(VALU_DEP_1)
	v_fmaak_f64 v[46:47], v[42:43], v[46:47], 0xbf56c16c16c16967
	v_fmaak_f64 v[42:43], v[42:43], v[46:47], 0x3fa5555555555555
	s_delay_alu instid0(VALU_DEP_1) | instskip(SKIP_1) | instid1(VALU_DEP_1)
	v_fmac_f64_e32 v[14:15], v[96:97], v[42:43]
	v_and_b32_e32 v42, 1, v98
	v_cmp_eq_u32_e64 s2, 0, v42
	s_delay_alu instid0(VALU_DEP_1) | instskip(NEXT) | instid1(VALU_DEP_1)
	v_dual_cndmask_b32 v52, v38, v52, s2 :: v_dual_lshlrev_b32 v38, 30, v98
	v_dual_cndmask_b32 v43, v39, v53, s2 :: v_dual_cndmask_b32 v44, 0, v52, s3
	s_delay_alu instid0(VALU_DEP_2) | instskip(SKIP_1) | instid1(VALU_DEP_2)
	v_xor_b32_e32 v42, v38, v45
	v_fmac_f64_e32 v[50:51], 0xbfc5555555555555, v[120:121]
	v_bitop3_b32 v45, v43, v42, 0x80000000 bitop3:0x78
	v_ldexp_f64 v[42:43], v[56:57], v23
	v_and_b32_e32 v23, 1, v100
	s_delay_alu instid0(VALU_DEP_3)
	v_cndmask_b32_e64 v45, 0x7ff80000, v45, s3
	v_cmp_class_f64_e64 s3, v[12:13], 0x1f8
	v_add_f64_e32 v[112:113], -1.0, v[58:59]
	v_and_b32_e32 v12, 1, v102
	v_fmamk_f64 v[64:65], v[48:49], 0xbda907db46cc5e42, v[28:29]
	v_mul_f64_e32 v[62:63], v[48:49], v[48:49]
	v_add_f64_e32 v[14:15], v[116:117], v[14:15]
	v_fma_f64 v[46:47], v[48:49], v[124:125], -v[76:77]
	v_cmp_eq_u32_e64 s2, 0, v23
	v_cmp_eq_u32_e64 s8, 0, v12
	v_lshlrev_b32_e32 v12, 30, v100
	v_fmaak_f64 v[64:65], v[48:49], v[64:65], 0xbe927e4fa17f65f6
	v_fmac_f64_e32 v[112:113], v[58:59], v[40:41]
	s_delay_alu instid0(VALU_DEP_2) | instskip(NEXT) | instid1(VALU_DEP_1)
	v_fmaak_f64 v[40:41], v[48:49], v[64:65], 0x3efa01a019f4ec90
	v_fmaak_f64 v[40:41], v[48:49], v[40:41], 0xbf56c16c16c16967
	s_delay_alu instid0(VALU_DEP_1) | instskip(SKIP_2) | instid1(VALU_DEP_2)
	v_fmaak_f64 v[40:41], v[48:49], v[40:41], 0x3fa5555555555555
	v_add_f64_e32 v[48:49], v[44:45], v[44:45]
	v_add_f64_e32 v[38:39], v[112:113], v[112:113]
	v_mul_f64_e32 v[10:11], v[48:49], v[44:45]
	s_delay_alu instid0(VALU_DEP_2)
	v_dual_cndmask_b32 v38, v112, v38, s1 :: v_dual_cndmask_b32 v39, v113, v39, s1
	s_and_b32 s1, s5, s4
	s_delay_alu instid0(VALU_DEP_1) | instid1(SALU_CYCLE_1)
	v_dual_fma_f64 v[16:17], v[72:73], -v[76:77], v[16:17] :: v_dual_cndmask_b32 v38, 0, v38, s1
	s_delay_alu instid0(VALU_DEP_2) | instskip(SKIP_2) | instid1(VALU_DEP_3)
	v_cndmask_b32_e64 v23, 0x7ff00000, v39, s4
	v_cndmask_b32_e64 v39, 0x7ff00000, v43, s6
	s_and_b32 s1, s7, s6
	v_fmac_f64_e32 v[16:17], v[62:63], v[40:41]
	v_add_f64_e64 v[40:41], v[60:61], -v[50:51]
	s_delay_alu instid0(VALU_DEP_1) | instskip(NEXT) | instid1(VALU_DEP_2)
	v_dual_add_f64 v[16:17], v[110:111], v[16:17] :: v_dual_cndmask_b32 v14, v40, v14, s2
	v_xor_b32_e32 v40, 0x80000000, v41
	s_delay_alu instid0(VALU_DEP_1) | instskip(NEXT) | instid1(VALU_DEP_1)
	v_dual_lshlrev_b32 v41, 30, v102 :: v_dual_cndmask_b32 v15, v40, v15, s2
	v_xor_b32_e32 v13, v41, v13
	s_delay_alu instid0(VALU_DEP_2) | instskip(SKIP_4) | instid1(VALU_DEP_3)
	v_bitop3_b32 v40, v15, v12, 0x80000000 bitop3:0x78
	v_cndmask_b32_e64 v15, 0, v39, s7
	v_fmac_f64_e32 v[46:47], 0xbfc5555555555555, v[128:129]
	v_cndmask_b32_e64 v12, 0, v14, s3
	v_cndmask_b32_e64 v39, 0xbff00000, v23, s5
	v_add_f64_e64 v[46:47], v[72:73], -v[46:47]
	s_delay_alu instid0(VALU_DEP_1) | instskip(NEXT) | instid1(VALU_DEP_1)
	v_dual_cndmask_b32 v17, v17, v47, s8 :: v_dual_cndmask_b32 v16, v16, v46, s8
	v_bitop3_b32 v14, v17, v13, 0x80000000 bitop3:0x78
	v_cndmask_b32_e64 v13, 0x7ff80000, v40, s3
	s_delay_alu instid0(VALU_DEP_3) | instskip(NEXT) | instid1(VALU_DEP_3)
	v_cndmask_b32_e64 v16, 0, v16, s3
	v_cndmask_b32_e64 v17, 0x7ff80000, v14, s3
	s_delay_alu instid0(VALU_DEP_3) | instskip(NEXT) | instid1(VALU_DEP_1)
	v_dual_fma_f64 v[10:11], v[38:39], v[12:13], -v[10:11] :: v_dual_cndmask_b32 v14, 0, v42, s1
	v_mul_f64_e32 v[12:13], v[14:15], v[16:17]
	v_lshl_add_u64 v[14:15], v[36:37], 4, s[16:17]
	global_store_b128 v[14:15], v[10:13], off
	s_wait_xcnt 0x0
	s_or_b32 exec_lo, exec_lo, s9
	s_and_saveexec_b32 s8, s0
	s_cbranch_execnz .LBB143_114
.LBB143_119:                            ;   in Loop: Header=BB143_57 Depth=1
	s_or_b32 exec_lo, exec_lo, s8
	s_and_saveexec_b32 s7, vcc_lo
	s_cbranch_execz .LBB143_56
.LBB143_120:                            ;   in Loop: Header=BB143_57 Depth=1
	v_cmp_class_f64_e64 s1, v[68:69], 0x1f8
	v_mul_f64_e32 v[8:9], v[80:81], v[80:81]
	v_mul_f64_e32 v[6:7], 0x3ff71547652b82fe, v[2:3]
	v_mul_f64_e32 v[40:41], 0.5, v[82:83]
	v_mul_f64_e32 v[14:15], v[86:87], v[86:87]
	v_cmp_ngt_f64_e64 s5, 0xc090cc00, v[2:3]
	v_mul_f64_e32 v[64:65], 0.5, v[94:95]
	v_cmp_nlt_f64_e64 s2, s[24:25], v[2:3]
	v_cmp_ngt_f64_e64 s3, 0xc0428000, v[2:3]
	v_cmp_nlt_f64_e64 s4, 0x40900000, v[2:3]
	v_mul_f64_e32 v[10:11], 0.5, v[8:9]
	v_rndne_f64_e32 v[6:7], v[6:7]
	v_mul_f64_e64 v[42:43], v[80:81], -v[8:9]
	v_fmamk_f64 v[46:47], v[8:9], 0x3de5e0b2f9a43bb8, v[30:31]
	v_fmamk_f64 v[54:55], v[8:9], 0xbda907db46cc5e42, v[28:29]
	v_mul_f64_e32 v[62:63], v[8:9], v[8:9]
	v_mul_f64_e32 v[38:39], 0.5, v[14:15]
	v_mul_f64_e64 v[56:57], v[86:87], -v[14:15]
	v_fmamk_f64 v[60:61], v[14:15], 0x3de5e0b2f9a43bb8, v[30:31]
	v_fmaak_f64 v[46:47], v[8:9], v[46:47], 0x3ec71de3796cde01
	v_fmaak_f64 v[54:55], v[8:9], v[54:55], 0xbe927e4fa17f65f6
	s_delay_alu instid0(VALU_DEP_3) | instskip(NEXT) | instid1(VALU_DEP_3)
	v_fmaak_f64 v[60:61], v[14:15], v[60:61], 0x3ec71de3796cde01
	v_fmaak_f64 v[46:47], v[8:9], v[46:47], 0xbf2a01a019e83e5c
	s_delay_alu instid0(VALU_DEP_3) | instskip(NEXT) | instid1(VALU_DEP_3)
	;; [unrolled: 3-line block ×3, first 2 shown]
	v_fmaak_f64 v[46:47], v[8:9], v[46:47], 0x3f81111111110bb3
	v_fmaak_f64 v[54:55], v[8:9], v[54:55], 0xbf56c16c16c16967
	v_add_f64_e64 v[16:17], -v[10:11], 1.0
	v_fmamk_f64 v[12:13], v[6:7], 0xbfe62e42fefa39ef, v[2:3]
	s_delay_alu instid0(VALU_DEP_4)
	v_fmac_f64_e32 v[40:41], v[42:43], v[46:47]
	v_cmp_eq_f64_e32 vcc_lo, 0x40900000, v[6:7]
	v_mul_f64_e32 v[34:35], v[92:93], v[92:93]
	v_cvt_i32_f64_e32 v23, v[6:7]
	v_add_f64_e64 v[52:53], -v[38:39], 1.0
	v_fmac_f64_e32 v[12:13], 0xbc7abc9e3b39803f, v[6:7]
	v_fmaak_f64 v[6:7], v[14:15], v[60:61], 0x3f81111111110bb3
	v_add_f64_e64 v[44:45], -v[16:17], 1.0
	v_fma_f64 v[40:41], v[8:9], v[40:41], -v[82:83]
	v_fmaak_f64 v[8:9], v[8:9], v[54:55], 0x3fa5555555555555
	v_fmamk_f64 v[72:73], v[34:35], 0x3de5e0b2f9a43bb8, v[30:31]
	v_ldexp_f64 v[70:71], 1.0, v23
	v_add_f64_e64 v[58:59], -v[52:53], 1.0
	v_mul_f64_e64 v[66:67], v[92:93], -v[34:35]
	v_fmamk_f64 v[36:37], v[12:13], 0x3e21f32ea9d67f34, v[26:27]
	v_fmamk_f64 v[50:51], v[12:13], 0x3e5ade156a5dcb37, v[24:25]
	s_delay_alu instid0(VALU_DEP_2) | instskip(NEXT) | instid1(VALU_DEP_2)
	v_fmaak_f64 v[36:37], v[12:13], v[36:37], 0x3e927e500e0ac05b
	v_fmaak_f64 v[50:51], v[12:13], v[50:51], 0x3ec71dee623fde64
	s_delay_alu instid0(VALU_DEP_2) | instskip(NEXT) | instid1(VALU_DEP_1)
	v_fmaak_f64 v[36:37], v[12:13], v[36:37], 0x3ec71de01b889c29
	v_fmaak_f64 v[36:37], v[12:13], v[36:37], 0x3efa01a0197bcfd8
	v_add_f64_e64 v[10:11], v[44:45], -v[10:11]
	s_delay_alu instid0(VALU_DEP_4) | instskip(SKIP_3) | instid1(VALU_DEP_4)
	v_fmaak_f64 v[44:45], v[12:13], v[50:51], 0x3efa01997c89e6b0
	v_fmac_f64_e32 v[40:41], 0xbfc5555555555555, v[42:43]
	v_mul_f64_e32 v[42:43], v[14:15], v[14:15]
	v_fmaak_f64 v[36:37], v[12:13], v[36:37], 0x3f2a01a01ac1a723
	v_fmaak_f64 v[44:45], v[12:13], v[44:45], 0x3f2a01a014761f6e
	s_delay_alu instid0(VALU_DEP_2) | instskip(NEXT) | instid1(VALU_DEP_2)
	v_fmaak_f64 v[36:37], v[12:13], v[36:37], 0x3f56c16c16c18931
	v_fmaak_f64 v[44:45], v[12:13], v[44:45], 0x3f56c16c1852b7b0
	s_delay_alu instid0(VALU_DEP_2) | instskip(NEXT) | instid1(VALU_DEP_2)
	;; [unrolled: 3-line block ×3, first 2 shown]
	v_fmaak_f64 v[36:37], v[12:13], v[36:37], 0x3fa5555555555552
	v_fmaak_f64 v[44:45], v[12:13], v[44:45], 0x3fa55555555502a1
	s_delay_alu instid0(VALU_DEP_2) | instskip(SKIP_2) | instid1(VALU_DEP_4)
	v_fmaak_f64 v[36:37], v[12:13], v[36:37], 0x3fc5555555555557
	v_fma_f64 v[10:11], v[80:81], -v[82:83], v[10:11]
	v_add_f64_e64 v[40:41], v[80:81], -v[40:41]
	v_fmaak_f64 v[44:45], v[12:13], v[44:45], 0x3fc5555555555511
	s_delay_alu instid0(VALU_DEP_4) | instskip(NEXT) | instid1(VALU_DEP_2)
	v_fma_f64 v[36:37], v[12:13], v[36:37], 0.5
	v_fmaak_f64 v[44:45], v[12:13], v[44:45], 0x3fe000000000000b
	s_delay_alu instid0(VALU_DEP_1) | instskip(SKIP_1) | instid1(VALU_DEP_4)
	v_fma_f64 v[44:45], v[12:13], v[44:45], 1.0
	v_fmac_f64_e32 v[10:11], v[62:63], v[8:9]
	v_mul_f64_e32 v[36:37], v[12:13], v[36:37]
	s_delay_alu instid0(VALU_DEP_3) | instskip(NEXT) | instid1(VALU_DEP_3)
	v_fma_f64 v[44:45], v[12:13], v[44:45], 1.0
	v_add_f64_e32 v[10:11], v[16:17], v[10:11]
	v_mul_f64_e32 v[48:49], 0.5, v[34:35]
	v_mul_f64_e32 v[50:51], 0.5, v[90:91]
	v_fmac_f64_e32 v[12:13], v[12:13], v[36:37]
	s_delay_alu instid0(VALU_DEP_3) | instskip(NEXT) | instid1(VALU_DEP_3)
	v_add_f64_e64 v[46:47], -v[48:49], 1.0
	v_fmac_f64_e32 v[50:51], v[56:57], v[6:7]
	v_add_f64_e64 v[6:7], v[58:59], -v[38:39]
	v_fmaak_f64 v[38:39], v[34:35], v[72:73], 0x3ec71de3796cde01
	s_delay_alu instid0(VALU_DEP_1) | instskip(SKIP_2) | instid1(VALU_DEP_1)
	v_fmaak_f64 v[8:9], v[34:35], v[38:39], 0xbf2a01a019e83e5c
	v_cndmask_b32_e64 v39, v71, 0x7fe00000, vcc_lo
	v_cndmask_b32_e64 v38, v70, 0, vcc_lo
	v_add_f64_e32 v[54:55], -1.0, v[38:39]
	s_delay_alu instid0(VALU_DEP_4) | instskip(NEXT) | instid1(VALU_DEP_1)
	v_fmaak_f64 v[8:9], v[34:35], v[8:9], 0x3f81111111110bb3
	v_fmac_f64_e32 v[64:65], v[66:67], v[8:9]
	v_add_f64_e64 v[60:61], -v[46:47], 1.0
	v_fma_f64 v[36:37], v[14:15], v[50:51], -v[90:91]
	v_fma_f64 v[6:7], v[86:87], -v[90:91], v[6:7]
	v_fmac_f64_e32 v[54:55], v[38:39], v[12:13]
	s_delay_alu instid0(VALU_DEP_4) | instskip(SKIP_1) | instid1(VALU_DEP_1)
	v_add_f64_e64 v[8:9], v[60:61], -v[48:49]
	v_fmamk_f64 v[48:49], v[14:15], 0xbda907db46cc5e42, v[28:29]
	v_fmaak_f64 v[48:49], v[14:15], v[48:49], 0xbe927e4fa17f65f6
	s_delay_alu instid0(VALU_DEP_1) | instskip(NEXT) | instid1(VALU_DEP_1)
	v_fmaak_f64 v[16:17], v[14:15], v[48:49], 0x3efa01a019f4ec90
	v_fmaak_f64 v[16:17], v[14:15], v[16:17], 0xbf56c16c16c16967
	s_delay_alu instid0(VALU_DEP_1) | instskip(NEXT) | instid1(VALU_DEP_1)
	v_fmaak_f64 v[14:15], v[14:15], v[16:17], 0x3fa5555555555555
	v_fmac_f64_e32 v[6:7], v[42:43], v[14:15]
	v_and_b32_e32 v14, 1, v104
	s_delay_alu instid0(VALU_DEP_1) | instskip(NEXT) | instid1(VALU_DEP_1)
	v_cmp_eq_u32_e64 s0, 0, v14
	v_cndmask_b32_e64 v38, v10, v40, s0
	v_dual_lshlrev_b32 v10, 30, v104 :: v_dual_cndmask_b32 v15, v11, v41, s0
	s_delay_alu instid0(VALU_DEP_1) | instskip(SKIP_2) | instid1(VALU_DEP_2)
	v_xor_b32_e32 v14, v10, v69
	v_add_f64_e32 v[10:11], v[54:55], v[54:55]
	v_add_f64_e32 v[6:7], v[52:53], v[6:7]
	v_cndmask_b32_e32 v11, v55, v11, vcc_lo
	v_fmamk_f64 v[50:51], v[34:35], 0xbda907db46cc5e42, v[28:29]
	v_mul_f64_e32 v[48:49], v[34:35], v[34:35]
	v_fma_f64 v[16:17], v[34:35], v[64:65], -v[94:95]
	v_cndmask_b32_e32 v10, v54, v10, vcc_lo
	v_fma_f64 v[8:9], v[92:93], -v[94:95], v[8:9]
	s_and_b32 vcc_lo, s3, s2
	v_cndmask_b32_e64 v11, 0x7ff00000, v11, s2
	v_fmaak_f64 v[50:51], v[34:35], v[50:51], 0xbe927e4fa17f65f6
	v_cndmask_b32_e32 v10, 0, v10, vcc_lo
	s_and_b32 vcc_lo, s5, s4
	s_delay_alu instid0(VALU_DEP_3) | instskip(NEXT) | instid1(VALU_DEP_3)
	v_cndmask_b32_e64 v11, 0xbff00000, v11, s3
	v_fmaak_f64 v[12:13], v[34:35], v[50:51], 0x3efa01a019f4ec90
	s_delay_alu instid0(VALU_DEP_1) | instskip(NEXT) | instid1(VALU_DEP_1)
	v_fmaak_f64 v[12:13], v[34:35], v[12:13], 0xbf56c16c16c16967
	v_fmaak_f64 v[12:13], v[34:35], v[12:13], 0x3fa5555555555555
	v_bitop3_b32 v35, v15, v14, 0x80000000 bitop3:0x78
	v_ldexp_f64 v[14:15], v[44:45], v23
	v_and_b32_e32 v23, 1, v106
	v_cndmask_b32_e64 v34, 0, v38, s1
	v_fmac_f64_e32 v[16:17], 0xbfc5555555555555, v[66:67]
	v_cndmask_b32_e64 v35, 0x7ff80000, v35, s1
	v_fmac_f64_e32 v[8:9], v[48:49], v[12:13]
	v_cmp_eq_u32_e64 s0, 0, v23
	v_cmp_class_f64_e64 s1, v[4:5], 0x1f8
	v_and_b32_e32 v4, 1, v107
	s_delay_alu instid0(VALU_DEP_1) | instskip(SKIP_2) | instid1(VALU_DEP_1)
	v_cmp_eq_u32_e64 s6, 0, v4
	v_dual_add_f64 v[16:17], v[92:93], -v[16:17] :: v_dual_lshlrev_b32 v4, 30, v106
	v_add_f64_e32 v[8:9], v[46:47], v[8:9]
	v_cndmask_b32_e64 v8, v8, v16, s6
	v_fmac_f64_e32 v[36:37], 0xbfc5555555555555, v[56:57]
	s_delay_alu instid0(VALU_DEP_2) | instskip(NEXT) | instid1(VALU_DEP_2)
	v_cndmask_b32_e64 v8, 0, v8, s1
	v_add_f64_e64 v[12:13], v[86:87], -v[36:37]
	v_add_f64_e32 v[36:37], v[34:35], v[34:35]
	s_delay_alu instid0(VALU_DEP_2) | instskip(NEXT) | instid1(VALU_DEP_2)
	v_cndmask_b32_e64 v6, v12, v6, s0
	v_mul_f64_e32 v[2:3], v[36:37], v[34:35]
	v_cndmask_b32_e64 v12, 0x7ff00000, v15, s4
	v_xor_b32_e32 v13, 0x80000000, v13
	v_lshlrev_b32_e32 v15, 30, v107
	s_delay_alu instid0(VALU_DEP_1) | instskip(SKIP_1) | instid1(VALU_DEP_2)
	v_dual_cndmask_b32 v7, v13, v7, s0 :: v_dual_bitop2_b32 v5, v15, v5 bitop3:0x14
	v_cndmask_b32_e64 v9, v9, v17, s6
	v_bitop3_b32 v13, v7, v4, 0x80000000 bitop3:0x78
	v_cndmask_b32_e64 v4, 0, v6, s1
	s_delay_alu instid0(VALU_DEP_3) | instskip(SKIP_1) | instid1(VALU_DEP_4)
	v_bitop3_b32 v6, v9, v5, 0x80000000 bitop3:0x78
	v_cndmask_b32_e64 v7, 0, v12, s5
	v_cndmask_b32_e64 v5, 0x7ff80000, v13, s1
	s_delay_alu instid0(VALU_DEP_3) | instskip(NEXT) | instid1(VALU_DEP_2)
	v_cndmask_b32_e64 v9, 0x7ff80000, v6, s1
	v_dual_fma_f64 v[2:3], v[10:11], v[4:5], -v[2:3] :: v_dual_cndmask_b32 v6, 0, v14, vcc_lo
	s_delay_alu instid0(VALU_DEP_1)
	v_mul_f64_e32 v[4:5], v[6:7], v[8:9]
	v_lshl_add_u64 v[6:7], v[32:33], 4, s[16:17]
	global_store_b128 v[6:7], v[2:5], off
	s_branch .LBB143_56
.LBB143_121:
	s_sendmsg sendmsg(MSG_DEALLOC_VGPRS)
	s_endpgm
	.section	.rodata,"a",@progbits
	.p2align	6, 0x0
	.amdhsa_kernel _ZN2at6native12_GLOBAL__N_125multi_tensor_apply_kernelINS1_18TensorListMetadataILi2EEENS1_14UnaryOpFunctorIN3c107complexIdEELi2ELi1ELi1EEEJNS0_5Expm1IS8_EEEEEvT_T0_DpT1_
		.amdhsa_group_segment_fixed_size 0
		.amdhsa_private_segment_fixed_size 0
		.amdhsa_kernarg_size 3408
		.amdhsa_user_sgpr_count 2
		.amdhsa_user_sgpr_dispatch_ptr 0
		.amdhsa_user_sgpr_queue_ptr 0
		.amdhsa_user_sgpr_kernarg_segment_ptr 1
		.amdhsa_user_sgpr_dispatch_id 0
		.amdhsa_user_sgpr_kernarg_preload_length 0
		.amdhsa_user_sgpr_kernarg_preload_offset 0
		.amdhsa_user_sgpr_private_segment_size 0
		.amdhsa_wavefront_size32 1
		.amdhsa_uses_dynamic_stack 0
		.amdhsa_enable_private_segment 0
		.amdhsa_system_sgpr_workgroup_id_x 1
		.amdhsa_system_sgpr_workgroup_id_y 0
		.amdhsa_system_sgpr_workgroup_id_z 0
		.amdhsa_system_sgpr_workgroup_info 0
		.amdhsa_system_vgpr_workitem_id 0
		.amdhsa_next_free_vgpr 167
		.amdhsa_next_free_sgpr 39
		.amdhsa_named_barrier_count 0
		.amdhsa_reserve_vcc 1
		.amdhsa_float_round_mode_32 0
		.amdhsa_float_round_mode_16_64 0
		.amdhsa_float_denorm_mode_32 3
		.amdhsa_float_denorm_mode_16_64 3
		.amdhsa_fp16_overflow 0
		.amdhsa_memory_ordered 1
		.amdhsa_forward_progress 1
		.amdhsa_inst_pref_size 251
		.amdhsa_round_robin_scheduling 0
		.amdhsa_exception_fp_ieee_invalid_op 0
		.amdhsa_exception_fp_denorm_src 0
		.amdhsa_exception_fp_ieee_div_zero 0
		.amdhsa_exception_fp_ieee_overflow 0
		.amdhsa_exception_fp_ieee_underflow 0
		.amdhsa_exception_fp_ieee_inexact 0
		.amdhsa_exception_int_div_zero 0
	.end_amdhsa_kernel
	.section	.text._ZN2at6native12_GLOBAL__N_125multi_tensor_apply_kernelINS1_18TensorListMetadataILi2EEENS1_14UnaryOpFunctorIN3c107complexIdEELi2ELi1ELi1EEEJNS0_5Expm1IS8_EEEEEvT_T0_DpT1_,"axG",@progbits,_ZN2at6native12_GLOBAL__N_125multi_tensor_apply_kernelINS1_18TensorListMetadataILi2EEENS1_14UnaryOpFunctorIN3c107complexIdEELi2ELi1ELi1EEEJNS0_5Expm1IS8_EEEEEvT_T0_DpT1_,comdat
.Lfunc_end143:
	.size	_ZN2at6native12_GLOBAL__N_125multi_tensor_apply_kernelINS1_18TensorListMetadataILi2EEENS1_14UnaryOpFunctorIN3c107complexIdEELi2ELi1ELi1EEEJNS0_5Expm1IS8_EEEEEvT_T0_DpT1_, .Lfunc_end143-_ZN2at6native12_GLOBAL__N_125multi_tensor_apply_kernelINS1_18TensorListMetadataILi2EEENS1_14UnaryOpFunctorIN3c107complexIdEELi2ELi1ELi1EEEJNS0_5Expm1IS8_EEEEEvT_T0_DpT1_
                                        ; -- End function
	.set _ZN2at6native12_GLOBAL__N_125multi_tensor_apply_kernelINS1_18TensorListMetadataILi2EEENS1_14UnaryOpFunctorIN3c107complexIdEELi2ELi1ELi1EEEJNS0_5Expm1IS8_EEEEEvT_T0_DpT1_.num_vgpr, 167
	.set _ZN2at6native12_GLOBAL__N_125multi_tensor_apply_kernelINS1_18TensorListMetadataILi2EEENS1_14UnaryOpFunctorIN3c107complexIdEELi2ELi1ELi1EEEJNS0_5Expm1IS8_EEEEEvT_T0_DpT1_.num_agpr, 0
	.set _ZN2at6native12_GLOBAL__N_125multi_tensor_apply_kernelINS1_18TensorListMetadataILi2EEENS1_14UnaryOpFunctorIN3c107complexIdEELi2ELi1ELi1EEEJNS0_5Expm1IS8_EEEEEvT_T0_DpT1_.numbered_sgpr, 39
	.set _ZN2at6native12_GLOBAL__N_125multi_tensor_apply_kernelINS1_18TensorListMetadataILi2EEENS1_14UnaryOpFunctorIN3c107complexIdEELi2ELi1ELi1EEEJNS0_5Expm1IS8_EEEEEvT_T0_DpT1_.num_named_barrier, 0
	.set _ZN2at6native12_GLOBAL__N_125multi_tensor_apply_kernelINS1_18TensorListMetadataILi2EEENS1_14UnaryOpFunctorIN3c107complexIdEELi2ELi1ELi1EEEJNS0_5Expm1IS8_EEEEEvT_T0_DpT1_.private_seg_size, 0
	.set _ZN2at6native12_GLOBAL__N_125multi_tensor_apply_kernelINS1_18TensorListMetadataILi2EEENS1_14UnaryOpFunctorIN3c107complexIdEELi2ELi1ELi1EEEJNS0_5Expm1IS8_EEEEEvT_T0_DpT1_.uses_vcc, 1
	.set _ZN2at6native12_GLOBAL__N_125multi_tensor_apply_kernelINS1_18TensorListMetadataILi2EEENS1_14UnaryOpFunctorIN3c107complexIdEELi2ELi1ELi1EEEJNS0_5Expm1IS8_EEEEEvT_T0_DpT1_.uses_flat_scratch, 0
	.set _ZN2at6native12_GLOBAL__N_125multi_tensor_apply_kernelINS1_18TensorListMetadataILi2EEENS1_14UnaryOpFunctorIN3c107complexIdEELi2ELi1ELi1EEEJNS0_5Expm1IS8_EEEEEvT_T0_DpT1_.has_dyn_sized_stack, 0
	.set _ZN2at6native12_GLOBAL__N_125multi_tensor_apply_kernelINS1_18TensorListMetadataILi2EEENS1_14UnaryOpFunctorIN3c107complexIdEELi2ELi1ELi1EEEJNS0_5Expm1IS8_EEEEEvT_T0_DpT1_.has_recursion, 0
	.set _ZN2at6native12_GLOBAL__N_125multi_tensor_apply_kernelINS1_18TensorListMetadataILi2EEENS1_14UnaryOpFunctorIN3c107complexIdEELi2ELi1ELi1EEEJNS0_5Expm1IS8_EEEEEvT_T0_DpT1_.has_indirect_call, 0
	.section	.AMDGPU.csdata,"",@progbits
; Kernel info:
; codeLenInByte = 32044
; TotalNumSgprs: 41
; NumVgprs: 167
; ScratchSize: 0
; MemoryBound: 1
; FloatMode: 240
; IeeeMode: 1
; LDSByteSize: 0 bytes/workgroup (compile time only)
; SGPRBlocks: 0
; VGPRBlocks: 10
; NumSGPRsForWavesPerEU: 41
; NumVGPRsForWavesPerEU: 167
; NamedBarCnt: 0
; Occupancy: 5
; WaveLimiterHint : 0
; COMPUTE_PGM_RSRC2:SCRATCH_EN: 0
; COMPUTE_PGM_RSRC2:USER_SGPR: 2
; COMPUTE_PGM_RSRC2:TRAP_HANDLER: 0
; COMPUTE_PGM_RSRC2:TGID_X_EN: 1
; COMPUTE_PGM_RSRC2:TGID_Y_EN: 0
; COMPUTE_PGM_RSRC2:TGID_Z_EN: 0
; COMPUTE_PGM_RSRC2:TIDIG_COMP_CNT: 0
	.section	.text._ZN2at6native12_GLOBAL__N_125multi_tensor_apply_kernelINS1_18TensorListMetadataILi2EEENS1_14UnaryOpFunctorIN3c107complexIfEELi2ELi1ELi1EEEJNS0_5Expm1IS8_EEEEEvT_T0_DpT1_,"axG",@progbits,_ZN2at6native12_GLOBAL__N_125multi_tensor_apply_kernelINS1_18TensorListMetadataILi2EEENS1_14UnaryOpFunctorIN3c107complexIfEELi2ELi1ELi1EEEJNS0_5Expm1IS8_EEEEEvT_T0_DpT1_,comdat
	.globl	_ZN2at6native12_GLOBAL__N_125multi_tensor_apply_kernelINS1_18TensorListMetadataILi2EEENS1_14UnaryOpFunctorIN3c107complexIfEELi2ELi1ELi1EEEJNS0_5Expm1IS8_EEEEEvT_T0_DpT1_ ; -- Begin function _ZN2at6native12_GLOBAL__N_125multi_tensor_apply_kernelINS1_18TensorListMetadataILi2EEENS1_14UnaryOpFunctorIN3c107complexIfEELi2ELi1ELi1EEEJNS0_5Expm1IS8_EEEEEvT_T0_DpT1_
	.p2align	8
	.type	_ZN2at6native12_GLOBAL__N_125multi_tensor_apply_kernelINS1_18TensorListMetadataILi2EEENS1_14UnaryOpFunctorIN3c107complexIfEELi2ELi1ELi1EEEJNS0_5Expm1IS8_EEEEEvT_T0_DpT1_,@function
_ZN2at6native12_GLOBAL__N_125multi_tensor_apply_kernelINS1_18TensorListMetadataILi2EEENS1_14UnaryOpFunctorIN3c107complexIfEELi2ELi1ELi1EEEJNS0_5Expm1IS8_EEEEEvT_T0_DpT1_: ; @_ZN2at6native12_GLOBAL__N_125multi_tensor_apply_kernelINS1_18TensorListMetadataILi2EEENS1_14UnaryOpFunctorIN3c107complexIfEELi2ELi1ELi1EEEJNS0_5Expm1IS8_EEEEEvT_T0_DpT1_
; %bb.0:
	s_bfe_u32 s2, ttmp6, 0x4000c
	s_and_b32 s3, ttmp6, 15
	s_add_co_i32 s2, s2, 1
	s_getreg_b32 s4, hwreg(HW_REG_IB_STS2, 6, 4)
	s_mul_i32 s2, ttmp9, s2
	s_delay_alu instid0(SALU_CYCLE_1)
	s_add_co_i32 s3, s3, s2
	s_cmp_eq_u32 s4, 0
	s_cselect_b32 s2, ttmp9, s3
	s_mov_b32 s3, 0
	s_load_u8 s11, s[0:1], s2 offset:0x600
	s_add_nc_u64 s[4:5], s[0:1], s[2:3]
	s_mul_u64 s[6:7], s[2:3], 3
	s_delay_alu instid0(SALU_CYCLE_1)
	s_add_nc_u64 s[4:5], s[4:5], s[6:7]
	s_load_b32 s10, s[4:5], 0x740
	s_wait_kmcnt 0x0
	s_clause 0x2
	s_load_b64 s[6:7], s[0:1], s11 offset:0x0 scale_offset
	s_load_b64 s[8:9], s[0:1], s11 offset:0x200 scale_offset
	;; [unrolled: 1-line block ×3, first 2 shown]
	s_wait_xcnt 0x0
	s_ashr_i32 s11, s10, 31
	s_delay_alu instid0(SALU_CYCLE_1)
	s_lshl_b64 s[4:5], s[10:11], 19
	s_lshl_b64 s[10:11], s[10:11], 16
	s_wait_kmcnt 0x0
	s_add_nc_u64 s[8:9], s[8:9], s[4:5]
	s_add_nc_u64 s[6:7], s[6:7], s[4:5]
	s_and_b32 s4, s12, 3
	s_and_b64 s[14:15], s[8:9], 31
	s_mov_b32 s5, s3
	s_and_b32 s2, s6, 31
	s_or_b64 s[4:5], s[14:15], s[4:5]
	s_delay_alu instid0(SALU_CYCLE_1)
	s_or_b64 s[2:3], s[4:5], s[2:3]
	s_sub_nc_u64 s[4:5], s[12:13], s[10:11]
	s_cmp_eq_u64 s[2:3], 0
	s_mov_b32 s2, -1
	s_cbranch_scc0 .LBB144_53
; %bb.1:
	v_min_i64 v[10:11], 0x10000, s[4:5]
	v_dual_mov_b32 v13, 0 :: v_dual_lshlrev_b32 v12, 2, v0
	s_mov_b32 s20, exec_lo
	s_delay_alu instid0(VALU_DEP_1)
	v_cmpx_lt_i64_e64 v[12:13], v[10:11]
	s_cbranch_execz .LBB144_52
; %bb.2:
	s_load_b32 s2, s[0:1], 0xc5c
	v_dual_mov_b32 v1, v13 :: v_dual_lshlrev_b32 v14, 5, v0
	v_mov_b32_e32 v15, v13
	s_mov_b32 s11, 0
	s_mov_b32 s21, 0x7fffff
	s_delay_alu instid0(VALU_DEP_2)
	v_mov_b64_e32 v[16:17], v[0:1]
	s_mov_b64 s[12:13], 0xfe5163ab
	s_mov_b32 s22, 0x395133b1
	s_mov_b32 s23, 0x37d75334
	;; [unrolled: 1-line block ×3, first 2 shown]
	s_mov_b64 s[14:15], s[6:7]
	s_mov_b32 s17, s11
	s_mov_b32 s25, s11
	s_mov_b64 s[18:19], s[8:9]
	s_wait_kmcnt 0x0
	s_and_b32 s10, s2, 0xffff
	s_delay_alu instid0(SALU_CYCLE_1)
	s_lshl_b32 s16, s10, 5
	s_branch .LBB144_4
.LBB144_3:                              ;   in Loop: Header=BB144_4 Depth=1
	s_or_b32 exec_lo, exec_lo, s2
	v_dual_mul_f32 v52, 0x3fb8aa3b, v2 :: v_dual_mul_f32 v53, v45, v45
	v_dual_mul_f32 v55, v39, v39 :: v_dual_bitop2_b32 v58, 1, v41 bitop3:0x40
	v_mul_f32_e32 v60, v48, v48
	s_delay_alu instid0(VALU_DEP_3) | instskip(NEXT) | instid1(VALU_DEP_3)
	v_rndne_f32_e32 v56, v52
	v_dual_fmaak_f32 v63, s24, v53, 0x3c0881c4 :: v_dual_fmaak_f32 v64, s24, v55, 0x3c0881c4
	v_fma_f32 v61, 0x3fb8aa3b, v2, -v52
	v_dual_fmaak_f32 v62, s23, v53, 0xbab64f3b :: v_dual_fmaak_f32 v65, s23, v55, 0xbab64f3b
	s_delay_alu instid0(VALU_DEP_4) | instskip(NEXT) | instid1(VALU_DEP_4)
	v_cvt_i32_f32_e32 v70, v56
	v_dual_fmaak_f32 v63, v53, v63, 0xbe2aaa9d :: v_dual_fmaak_f32 v64, v55, v64, 0xbe2aaa9d
	v_fmamk_f32 v59, v56, 0xbf317218, v2
	v_cmp_eq_f32_e32 vcc_lo, 0x43000000, v56
	s_delay_alu instid0(VALU_DEP_4)
	v_ldexp_f32 v72, 1.0, v70
	v_sub_f32_e32 v52, v52, v56
	v_mul_f32_e32 v64, v55, v64
	v_fmac_f32_e32 v59, 0x3102e308, v56
	v_fmac_f32_e32 v61, 0x32a5705f, v2
	v_cndmask_b32_e64 v56, v72, 0x7f000000, vcc_lo
	v_mul_f32_e32 v57, 0x3fb8aa3b, v8
	v_dual_fmaak_f32 v68, s24, v60, 0x3c0881c4 :: v_dual_mul_f32 v63, v53, v63
	s_delay_alu instid0(VALU_DEP_4) | instskip(SKIP_2) | instid1(VALU_DEP_3)
	v_dual_fmaak_f32 v67, s22, v59, 0x3ab69700 :: v_dual_add_f32 v52, v52, v61
	v_dual_fmaak_f32 v62, v53, v62, 0x3d2aabf7 :: v_dual_fmaak_f32 v65, v55, v65, 0x3d2aabf7
	v_dual_lshlrev_b32 v54, 30, v47 :: v_dual_bitop2_b32 v47, 1, v47 bitop3:0x40
	v_fmaak_f32 v67, v59, v67, 0x3c0887f9
	s_delay_alu instid0(VALU_DEP_3) | instskip(SKIP_1) | instid1(VALU_DEP_3)
	v_dual_fmaak_f32 v62, v53, v62, 0xbf000004 :: v_dual_fmaak_f32 v65, v55, v65, 0xbf000004
	v_exp_f32_e32 v52, v52
	v_cmp_eq_u32_e64 s2, 0, v47
	s_delay_alu instid0(VALU_DEP_3) | instskip(NEXT) | instid1(VALU_DEP_3)
	v_fmaak_f32 v67, v59, v67, 0x3d2aaa81
	v_fma_f32 v53, v53, v62, 1.0
	v_dual_lshlrev_b32 v41, 30, v41 :: v_dual_bitop2_b32 v36, v36, v35 bitop3:0x14
	v_fmac_f32_e32 v39, v39, v64
	s_delay_alu instid0(VALU_DEP_4)
	v_fmaak_f32 v67, v59, v67, 0x3e2aaaab
	v_fma_f32 v55, v55, v65, 1.0
	v_ldexp_f32 v52, v52, v70
	v_and_b32_e32 v41, 0x80000000, v41
	v_rndne_f32_e32 v66, v57
	v_fma_f32 v61, v59, v67, 0.5
	v_cmp_nlt_f32_e64 s3, 0x42b17218, v2
	v_xor_b32_e32 v18, v18, v1
	v_add_nc_u64_e32 v[16:17], s[10:11], v[16:17]
	s_delay_alu instid0(VALU_DEP_4) | instskip(SKIP_3) | instid1(VALU_DEP_3)
	v_dual_fmac_f32 v45, v45, v63 :: v_dual_mul_f32 v61, v59, v61
	v_fmaak_f32 v68, v60, v68, 0xbe2aaa9d
	v_fmamk_f32 v71, v66, 0xbf317218, v8
	s_add_nc_u64 s[14:15], s[14:15], s[16:17]
	v_dual_fmac_f32 v59, v59, v61 :: v_dual_bitop2_b32 v40, v40, v3 bitop3:0x14
	s_delay_alu instid0(VALU_DEP_3) | instskip(SKIP_1) | instid1(VALU_DEP_2)
	v_mul_f32_e32 v67, v60, v68
	v_add_f32_e32 v68, -1.0, v56
	v_dual_fmaak_f32 v69, s23, v60, 0xbab64f3b :: v_dual_fmac_f32 v48, v48, v67
	s_delay_alu instid0(VALU_DEP_2) | instskip(SKIP_1) | instid1(VALU_DEP_3)
	v_dual_fmac_f32 v68, v56, v59 :: v_dual_cndmask_b32 v45, -v45, v53, s2
	v_cmp_eq_u32_e64 s2, 0, v58
	v_fmaak_f32 v69, v60, v69, 0x3d2aabf7
	s_delay_alu instid0(VALU_DEP_3) | instskip(NEXT) | instid1(VALU_DEP_4)
	v_add_f32_e32 v47, v68, v68
	v_bitop3_b32 v45, v54, v45, 0x80000000 bitop3:0x6c
	s_delay_alu instid0(VALU_DEP_4) | instskip(NEXT) | instid1(VALU_DEP_3)
	v_dual_cndmask_b32 v39, v55, v39, s2 :: v_dual_bitop2_b32 v55, 1, v49 bitop3:0x40
	v_dual_lshlrev_b32 v49, 30, v49 :: v_dual_cndmask_b32 v47, v68, v47, vcc_lo
	v_cmp_nlt_f32_e32 vcc_lo, 0x42b17217, v2
	s_delay_alu instid0(VALU_DEP_3) | instskip(NEXT) | instid1(VALU_DEP_4)
	v_xor3_b32 v36, v36, v41, v39
	v_cmp_eq_u32_e64 s2, 0, v55
	s_delay_alu instid0(VALU_DEP_4) | instskip(SKIP_4) | instid1(VALU_DEP_3)
	v_cndmask_b32_e32 v41, 0x7f800000, v47, vcc_lo
	v_cmp_ngt_f32_e32 vcc_lo, 0xc2ce8ed0, v2
	v_cndmask_b32_e32 v47, 0, v52, vcc_lo
	v_cmp_class_f32_e64 vcc_lo, v35, 0x1f8
	v_cvt_i32_f32_e32 v52, v66
	v_cndmask_b32_e64 v47, 0x7f800000, v47, s3
	v_cndmask_b32_e32 v35, 0x7fc00000, v36, vcc_lo
	v_cmp_ngt_f32_e32 vcc_lo, 0xc1880000, v2
	s_delay_alu instid0(VALU_DEP_4) | instskip(SKIP_4) | instid1(VALU_DEP_2)
	v_ldexp_f32 v54, 1.0, v52
	v_cmp_nlt_f32_e64 s3, 0x42b17218, v8
	v_cndmask_b32_e32 v36, -1.0, v41, vcc_lo
	v_fmaak_f32 v41, v60, v69, 0xbf000004
	v_cmp_eq_f32_e32 vcc_lo, 0x43000000, v66
	v_fma_f32 v41, v60, v41, 1.0
	v_cndmask_b32_e64 v54, v54, 0x7f000000, vcc_lo
	s_delay_alu instid0(VALU_DEP_2) | instskip(SKIP_2) | instid1(VALU_DEP_2)
	v_cndmask_b32_e64 v41, v41, v48, s2
	v_and_b32_e32 v48, 0x80000000, v49
	v_cmp_class_f32_e64 s2, v3, 0x1f8
	v_xor3_b32 v40, v40, v48, v41
	v_dual_mul_f32 v48, v31, v31 :: v_dual_fmac_f32 v71, 0x3102e308, v66
	s_delay_alu instid0(VALU_DEP_3) | instskip(NEXT) | instid1(VALU_DEP_2)
	v_cndmask_b32_e64 v3, 0x7fc00000, v45, s2
	v_fmaak_f32 v56, s22, v71, 0x3ab69700
	s_delay_alu instid0(VALU_DEP_1) | instskip(SKIP_2) | instid1(VALU_DEP_3)
	v_fmaak_f32 v53, v71, v56, 0x3c0887f9
	v_fma_f32 v56, 0x3fb8aa3b, v8, -v57
	v_sub_f32_e32 v57, v57, v66
	v_fmaak_f32 v39, v71, v53, 0x3d2aaa81
	s_delay_alu instid0(VALU_DEP_3) | instskip(NEXT) | instid1(VALU_DEP_2)
	v_dual_add_f32 v53, v35, v35 :: v_dual_fmac_f32 v56, 0x32a5705f, v8
	v_fmaak_f32 v39, v71, v39, 0x3e2aaaab
	s_delay_alu instid0(VALU_DEP_2) | instskip(SKIP_1) | instid1(VALU_DEP_3)
	v_dual_mul_f32 v35, v35, v53 :: v_dual_add_f32 v49, v57, v56
	v_mul_f32_e32 v53, v33, v33
	v_fma_f32 v39, v71, v39, 0.5
	s_delay_alu instid0(VALU_DEP_3) | instskip(SKIP_2) | instid1(VALU_DEP_3)
	v_exp_f32_e32 v41, v49
	v_nop
	v_mul_f32_e32 v49, 0x3fb8aa3b, v6
	v_mul_f32_e32 v39, v71, v39
	s_delay_alu instid0(VALU_DEP_1) | instskip(NEXT) | instid1(VALU_DEP_1)
	v_dual_fmac_f32 v71, v71, v39 :: v_dual_add_f32 v39, -1.0, v54
	v_fmac_f32_e32 v39, v54, v71
	s_delay_alu instid0(VALU_DEP_1)
	v_add_f32_e32 v45, v39, v39
	v_fma_f32 v2, v36, v3, -v35
	v_fmaak_f32 v36, s23, v48, 0xbab64f3b
	v_cndmask_b32_e64 v3, 0x7fc00000, v40, s2
	v_ldexp_f32 v40, v41, v52
	v_cndmask_b32_e32 v35, v39, v45, vcc_lo
	v_cmp_nlt_f32_e32 vcc_lo, 0x42b17217, v8
	v_fmaak_f32 v39, s24, v48, 0x3c0881c4
	v_dual_lshlrev_b32 v45, 30, v32 :: v_dual_bitop2_b32 v32, 1, v32 bitop3:0x40
	v_cmp_class_f32_e64 s2, v9, 0x1f8
	v_cndmask_b32_e32 v35, 0x7f800000, v35, vcc_lo
	v_cmp_ngt_f32_e32 vcc_lo, 0xc2ce8ed0, v8
	v_fmaak_f32 v39, v48, v39, 0xbe2aaa9d
	v_dual_mul_f32 v3, v47, v3 :: v_dual_cndmask_b32 v40, 0, v40
	v_cmp_ngt_f32_e32 vcc_lo, 0xc1880000, v8
	s_delay_alu instid0(VALU_DEP_3) | instskip(SKIP_1) | instid1(VALU_DEP_2)
	v_dual_fmaak_f32 v36, v48, v36, 0x3d2aabf7 :: v_dual_mul_f32 v39, v48, v39
	v_dual_mul_f32 v41, v28, v28 :: v_dual_cndmask_b32 v35, -1.0, v35, vcc_lo
	v_dual_fmaak_f32 v36, v48, v36, 0xbf000004 :: v_dual_fmac_f32 v31, v31, v39
	s_delay_alu instid0(VALU_DEP_2) | instskip(SKIP_2) | instid1(VALU_DEP_4)
	v_fmaak_f32 v39, s24, v41, 0x3c0881c4
	v_cmp_eq_u32_e32 vcc_lo, 0, v32
	v_lshlrev_b32_e32 v32, 30, v30
	v_fma_f32 v36, v48, v36, 1.0
	v_fmaak_f32 v48, s23, v41, 0xbab64f3b
	v_xor_b32_e32 v29, v29, v9
	s_delay_alu instid0(VALU_DEP_4) | instskip(NEXT) | instid1(VALU_DEP_4)
	v_and_b32_e32 v32, 0x80000000, v32
	v_cndmask_b32_e64 v31, -v31, v36, vcc_lo
	v_fmaak_f32 v36, v41, v39, 0xbe2aaa9d
	v_fmaak_f32 v39, v41, v48, 0x3d2aabf7
	v_rndne_f32_e32 v48, v49
	v_xor_b32_e32 v27, v27, v26
	v_bitop3_b32 v31, v45, v31, 0x80000000 bitop3:0x6c
	s_delay_alu instid0(VALU_DEP_4) | instskip(NEXT) | instid1(VALU_DEP_4)
	v_dual_mul_f32 v36, v41, v36 :: v_dual_fmaak_f32 v39, v41, v39, 0xbf000004
	v_fmamk_f32 v52, v48, 0xbf317218, v6
	s_delay_alu instid0(VALU_DEP_3) | instskip(NEXT) | instid1(VALU_DEP_3)
	v_cndmask_b32_e64 v9, 0x7fc00000, v31, s2
	v_fmac_f32_e32 v28, v28, v36
	s_delay_alu instid0(VALU_DEP_4) | instskip(NEXT) | instid1(VALU_DEP_4)
	v_fma_f32 v36, v41, v39, 1.0
	v_fmac_f32_e32 v52, 0x3102e308, v48
	v_and_b32_e32 v30, 1, v30
	v_fmaak_f32 v39, s24, v53, 0x3c0881c4
	v_fmaak_f32 v41, s23, v53, 0xbab64f3b
	s_delay_alu instid0(VALU_DEP_3)
	v_cmp_eq_u32_e32 vcc_lo, 0, v30
	v_fmaak_f32 v30, s22, v52, 0x3ab69700
	v_cndmask_b32_e32 v28, v36, v28, vcc_lo
	v_fmaak_f32 v36, v53, v39, 0xbe2aaa9d
	v_fmaak_f32 v39, v53, v41, 0x3d2aabf7
	v_cmp_class_f32_e64 vcc_lo, v26, 0x1f8
	s_delay_alu instid0(VALU_DEP_4)
	v_xor3_b32 v27, v27, v32, v28
	v_fmaak_f32 v28, v52, v30, 0x3c0887f9
	v_mul_f32_e32 v30, v53, v36
	v_fmaak_f32 v32, v53, v39, 0xbf000004
	v_cvt_i32_f32_e32 v36, v48
	v_cndmask_b32_e32 v26, 0x7fc00000, v27, vcc_lo
	v_fmaak_f32 v27, v52, v28, 0x3d2aaa81
	v_and_b32_e32 v28, 1, v34
	v_fmac_f32_e32 v33, v33, v30
	v_fma_f32 v30, v53, v32, 1.0
	s_delay_alu instid0(VALU_DEP_4) | instskip(NEXT) | instid1(VALU_DEP_4)
	v_fmaak_f32 v27, v52, v27, 0x3e2aaaab
	v_cmp_eq_u32_e32 vcc_lo, 0, v28
	s_delay_alu instid0(VALU_DEP_2) | instskip(NEXT) | instid1(VALU_DEP_4)
	v_fma_f32 v27, v52, v27, 0.5
	v_dual_cndmask_b32 v28, v30, v33 :: v_dual_lshlrev_b32 v33, 30, v34
	v_ldexp_f32 v34, 1.0, v36
	v_cmp_eq_f32_e32 vcc_lo, 0x43000000, v48
	s_delay_alu instid0(VALU_DEP_4) | instskip(NEXT) | instid1(VALU_DEP_4)
	v_mul_f32_e32 v27, v52, v27
	v_and_b32_e32 v33, 0x80000000, v33
	s_delay_alu instid0(VALU_DEP_4) | instskip(NEXT) | instid1(VALU_DEP_1)
	v_cndmask_b32_e64 v34, v34, 0x7f000000, vcc_lo
	v_dual_fmac_f32 v52, v52, v27 :: v_dual_add_f32 v27, -1.0, v34
	s_delay_alu instid0(VALU_DEP_1) | instskip(SKIP_2) | instid1(VALU_DEP_2)
	v_dual_fmac_f32 v27, v34, v52 :: v_dual_lshlrev_b32 v34, 30, v23
	v_fma_f32 v30, 0x3fb8aa3b, v6, -v49
	v_dual_sub_f32 v39, v49, v48 :: v_dual_bitop2_b32 v23, 1, v23 bitop3:0x40
	v_dual_add_f32 v31, v27, v27 :: v_dual_fmac_f32 v30, 0x32a5705f, v6
	s_delay_alu instid0(VALU_DEP_1) | instskip(SKIP_1) | instid1(VALU_DEP_3)
	v_dual_cndmask_b32 v27, v27, v31, vcc_lo :: v_dual_mul_f32 v31, v20, v20
	v_add_f32_e32 v32, v26, v26
	v_add_f32_e32 v30, v39, v30
	v_cmp_ngt_f32_e32 vcc_lo, 0xc2ce8ed0, v6
	s_delay_alu instid0(VALU_DEP_3) | instskip(SKIP_1) | instid1(VALU_DEP_2)
	v_mul_f32_e32 v26, v26, v32
	v_fmaak_f32 v32, s24, v31, 0x3c0881c4
	v_fma_f32 v8, v35, v9, -v26
	v_xor3_b32 v28, v29, v33, v28
	v_exp_f32_e32 v29, v30
	v_nop
	v_cndmask_b32_e64 v30, 0x7f800000, v40, s3
	v_fmaak_f32 v33, s23, v31, 0xbab64f3b
	v_fmaak_f32 v32, v31, v32, 0xbe2aaa9d
	v_cndmask_b32_e64 v28, 0x7fc00000, v28, s2
	v_cmp_nlt_f32_e64 s3, 0x42b17218, v6
	v_ldexp_f32 v26, v29, v36
	v_fmaak_f32 v33, v31, v33, 0x3d2aabf7
	s_delay_alu instid0(VALU_DEP_4) | instskip(SKIP_1) | instid1(VALU_DEP_4)
	v_mul_f32_e32 v9, v30, v28
	v_mul_f32_e32 v28, v22, v22
	v_cndmask_b32_e32 v26, 0, v26, vcc_lo
	v_cmp_nlt_f32_e32 vcc_lo, 0x42b17217, v6
	s_delay_alu instid0(VALU_DEP_3) | instskip(SKIP_1) | instid1(VALU_DEP_2)
	v_fmaak_f32 v29, s23, v28, 0xbab64f3b
	v_fmaak_f32 v30, s24, v28, 0x3c0881c4
	;; [unrolled: 1-line block ×3, first 2 shown]
	s_delay_alu instid0(VALU_DEP_2) | instskip(NEXT) | instid1(VALU_DEP_1)
	v_fmaak_f32 v30, v28, v30, 0xbe2aaa9d
	v_dual_fmaak_f32 v29, v28, v29, 0xbf000004 :: v_dual_mul_f32 v30, v28, v30
	s_delay_alu instid0(VALU_DEP_1)
	v_fma_f32 v28, v28, v29, 1.0
	v_mul_f32_e32 v29, v31, v32
	v_cndmask_b32_e32 v27, 0x7f800000, v27, vcc_lo
	v_cmp_ngt_f32_e32 vcc_lo, 0xc1880000, v6
	v_fmac_f32_e32 v22, v22, v30
	v_fmaak_f32 v30, v31, v33, 0xbf000004
	v_dual_lshlrev_b32 v33, 30, v21 :: v_dual_bitop2_b32 v21, 1, v21 bitop3:0x40
	v_dual_fmac_f32 v20, v20, v29 :: v_dual_cndmask_b32 v27, -1.0, v27
	s_delay_alu instid0(VALU_DEP_3) | instskip(SKIP_1) | instid1(VALU_DEP_4)
	v_fma_f32 v29, v31, v30, 1.0
	v_mul_f32_e32 v32, 0x3fb8aa3b, v4
	v_cmp_eq_u32_e32 vcc_lo, 0, v21
	v_and_b32_e32 v31, 0x80000000, v33
	s_delay_alu instid0(VALU_DEP_3) | instskip(SKIP_3) | instid1(VALU_DEP_4)
	v_rndne_f32_e32 v30, v32
	v_cndmask_b32_e32 v20, v29, v20, vcc_lo
	v_mul_f32_e32 v29, v24, v24
	v_cmp_eq_u32_e32 vcc_lo, 0, v23
	v_fmamk_f32 v21, v30, 0xbf317218, v4
	s_delay_alu instid0(VALU_DEP_4) | instskip(NEXT) | instid1(VALU_DEP_4)
	v_xor3_b32 v18, v18, v31, v20
	v_fmaak_f32 v20, s24, v29, 0x3c0881c4
	v_fmaak_f32 v23, s23, v29, 0xbab64f3b
	v_cndmask_b32_e64 v22, -v22, v28, vcc_lo
	v_cmp_class_f32_e64 vcc_lo, v1, 0x1f8
	v_fmac_f32_e32 v21, 0x3102e308, v30
	v_fmaak_f32 v20, v29, v20, 0xbe2aaa9d
	v_fmaak_f32 v23, v29, v23, 0x3d2aabf7
	v_bitop3_b32 v22, v34, v22, 0x80000000 bitop3:0x6c
	v_cndmask_b32_e32 v1, 0x7fc00000, v18, vcc_lo
	v_cmp_class_f32_e64 vcc_lo, v7, 0x1f8
	s_delay_alu instid0(VALU_DEP_4) | instskip(SKIP_1) | instid1(VALU_DEP_4)
	v_dual_mul_f32 v20, v29, v20 :: v_dual_fmaak_f32 v23, v29, v23, 0xbf000004
	v_cvt_i32_f32_e32 v31, v30
	v_add_f32_e32 v28, v1, v1
	v_cndmask_b32_e32 v22, 0x7fc00000, v22, vcc_lo
	s_delay_alu instid0(VALU_DEP_4) | instskip(SKIP_4) | instid1(VALU_DEP_3)
	v_fmac_f32_e32 v24, v24, v20
	v_fma_f32 v20, v29, v23, 1.0
	v_fma_f32 v23, 0x3fb8aa3b, v4, -v32
	v_dual_sub_f32 v29, v32, v30 :: v_dual_mul_f32 v1, v1, v28
	v_dual_lshlrev_b32 v25, 30, v25 :: v_dual_bitop2_b32 v28, 1, v25 bitop3:0x40
	v_fmac_f32_e32 v23, 0x32a5705f, v4
	s_delay_alu instid0(VALU_DEP_2) | instskip(NEXT) | instid1(VALU_DEP_2)
	v_cmp_eq_u32_e64 s2, 0, v28
	v_dual_add_f32 v23, v29, v23 :: v_dual_lshlrev_b32 v28, 30, v44
	v_xor_b32_e32 v7, v19, v7
	v_fmaak_f32 v18, s22, v21, 0x3ab69700
	s_delay_alu instid0(VALU_DEP_4)
	v_cndmask_b32_e64 v20, v20, v24, s2
	v_cmp_eq_f32_e64 s2, 0x43000000, v30
	v_exp_f32_e32 v19, v23
	v_fma_f32 v6, v27, v22, -v1
	v_ldexp_f32 v24, 1.0, v31
	v_and_b32_e32 v25, 0x80000000, v25
	v_cndmask_b32_e64 v23, 0x7f800000, v26, s3
	v_and_b32_e32 v28, 0x80000000, v28
	s_delay_alu instid0(TRANS32_DEP_1) | instskip(SKIP_4) | instid1(VALU_DEP_4)
	v_ldexp_f32 v1, v19, v31
	v_mul_f32_e32 v19, v46, v46
	v_fmaak_f32 v18, v21, v18, 0x3c0887f9
	v_cndmask_b32_e64 v24, v24, 0x7f000000, s2
	v_and_b32_e32 v31, 1, v44
	v_fmaak_f32 v22, s24, v19, 0x3c0881c4
	s_delay_alu instid0(VALU_DEP_4) | instskip(NEXT) | instid1(VALU_DEP_1)
	v_fmaak_f32 v18, v21, v18, 0x3d2aaa81
	v_fmaak_f32 v18, v21, v18, 0x3e2aaaab
	s_delay_alu instid0(VALU_DEP_1) | instskip(NEXT) | instid1(VALU_DEP_1)
	v_fma_f32 v18, v21, v18, 0.5
	v_mul_f32_e32 v18, v21, v18
	s_delay_alu instid0(VALU_DEP_1) | instskip(SKIP_1) | instid1(VALU_DEP_2)
	v_dual_fmac_f32 v21, v21, v18 :: v_dual_add_f32 v18, -1.0, v24
	v_xor3_b32 v7, v7, v25, v20
	v_dual_fmac_f32 v18, v24, v21 :: v_dual_fmaak_f32 v21, s23, v19, 0xbab64f3b
	s_delay_alu instid0(VALU_DEP_1) | instskip(NEXT) | instid1(VALU_DEP_1)
	v_add_f32_e32 v20, v18, v18
	v_cndmask_b32_e64 v18, v18, v20, s2
	s_delay_alu instid0(VALU_DEP_3) | instskip(SKIP_3) | instid1(VALU_DEP_3)
	v_fmaak_f32 v20, v19, v21, 0x3d2aabf7
	v_fmaak_f32 v21, v19, v22, 0xbe2aaa9d
	v_mul_f32_e32 v22, v42, v42
	v_cmp_ngt_f32_e64 s2, 0xc1880000, v4
	v_dual_fmaak_f32 v20, v19, v20, 0xbf000004 :: v_dual_mul_f32 v21, v19, v21
	s_delay_alu instid0(VALU_DEP_3) | instskip(SKIP_1) | instid1(VALU_DEP_3)
	v_fmaak_f32 v25, s24, v22, 0x3c0881c4
	v_fmaak_f32 v26, s23, v22, 0xbab64f3b
	v_fma_f32 v19, v19, v20, 1.0
	s_delay_alu instid0(VALU_DEP_4) | instskip(NEXT) | instid1(VALU_DEP_4)
	v_fmac_f32_e32 v46, v46, v21
	v_fmaak_f32 v20, v22, v25, 0xbe2aaa9d
	v_cndmask_b32_e32 v7, 0x7fc00000, v7, vcc_lo
	v_cmp_ngt_f32_e32 vcc_lo, 0xc2ce8ed0, v4
	v_fmaak_f32 v21, v22, v26, 0x3d2aabf7
	v_mul_f32_e32 v25, v12, v12
	v_dual_mul_f32 v20, v22, v20 :: v_dual_bitop2_b32 v27, 1, v50 bitop3:0x40
	v_cndmask_b32_e32 v1, 0, v1, vcc_lo
	v_cmp_nlt_f32_e32 vcc_lo, 0x42b17218, v4
	v_fmaak_f32 v21, v22, v21, 0xbf000004
	v_fmaak_f32 v29, s24, v25, 0x3c0881c4
	;; [unrolled: 1-line block ×3, first 2 shown]
	v_dual_fmac_f32 v42, v42, v20 :: v_dual_cndmask_b32 v1, 0x7f800000, v1
	v_cmp_nlt_f32_e32 vcc_lo, 0x42b17217, v4
	v_fma_f32 v20, v22, v21, 1.0
	v_fmaak_f32 v21, v25, v29, 0xbe2aaa9d
	v_dual_fmaak_f32 v22, v25, v30, 0x3d2aabf7 :: v_dual_mul_f32 v7, v23, v7
	v_cndmask_b32_e32 v24, 0x7f800000, v18, vcc_lo
	v_cmp_eq_u32_e32 vcc_lo, 0, v31
	v_xor_b32_e32 v26, v38, v37
	s_delay_alu instid0(VALU_DEP_4) | instskip(SKIP_3) | instid1(VALU_DEP_4)
	v_dual_mul_f32 v21, v25, v21 :: v_dual_fmaak_f32 v22, v25, v22, 0xbf000004
	v_lshlrev_b32_e32 v18, 30, v50
	v_cndmask_b32_e32 v20, v20, v42, vcc_lo
	v_cmp_eq_u32_e32 vcc_lo, 0, v27
	v_fmac_f32_e32 v12, v12, v21
	v_fma_f32 v21, v25, v22, 1.0
	v_and_b32_e32 v22, 1, v51
	v_xor3_b32 v20, v26, v28, v20
	v_cndmask_b32_e64 v19, -v46, v19, vcc_lo
	v_cmp_class_f32_e64 vcc_lo, v37, 0x1f8
	v_dual_lshlrev_b32 v25, 30, v51 :: v_dual_cndmask_b32 v4, -1.0, v24, s2
	s_delay_alu instid0(VALU_DEP_4) | instskip(SKIP_1) | instid1(VALU_DEP_4)
	v_cndmask_b32_e32 v20, 0x7fc00000, v20, vcc_lo
	v_cmp_eq_u32_e32 vcc_lo, 0, v22
	v_dual_cndmask_b32 v12, v21, v12, vcc_lo :: v_dual_bitop2_b32 v22, v43, v5 bitop3:0x14
	s_delay_alu instid0(VALU_DEP_4)
	v_and_b32_e32 v21, 0x80000000, v25
	v_bitop3_b32 v25, v18, v19, 0x80000000 bitop3:0x6c
	v_lshlrev_b64_e32 v[18:19], 2, v[16:17]
	v_cmp_class_f32_e64 vcc_lo, v5, 0x1f8
	v_add_f32_e32 v5, v20, v20
	v_xor3_b32 v12, v22, v21, v12
	v_cndmask_b32_e32 v21, 0x7fc00000, v25, vcc_lo
	s_delay_alu instid0(VALU_DEP_2) | instskip(SKIP_3) | instid1(VALU_DEP_3)
	v_dual_mul_f32 v5, v20, v5 :: v_dual_cndmask_b32 v12, 0x7fc00000, v12
	v_cmp_ge_i64_e32 vcc_lo, v[18:19], v[10:11]
	v_add_nc_u64_e32 v[18:19], s[18:19], v[14:15]
	s_add_nc_u64 s[18:19], s[18:19], s[16:17]
	v_dual_fma_f32 v4, v4, v21, -v5 :: v_dual_mul_f32 v5, v1, v12
	s_clause 0x1
	global_store_b128 v[18:19], v[6:9], off
	global_store_b128 v[18:19], v[2:5], off offset:16
	s_or_b32 s25, vcc_lo, s25
	s_wait_xcnt 0x0
	s_and_not1_b32 exec_lo, exec_lo, s25
	s_cbranch_execz .LBB144_52
.LBB144_4:                              ; =>This Inner Loop Header: Depth=1
	v_add_nc_u64_e32 v[18:19], s[14:15], v[14:15]
                                        ; implicit-def: $vgpr21
                                        ; implicit-def: $vgpr20
	s_mov_b32 s3, exec_lo
	s_clause 0x1
	global_load_b128 v[6:9], v[18:19], off
	global_load_b128 v[2:5], v[18:19], off offset:16
	s_wait_loadcnt 0x1
	v_mul_f32_e32 v1, 0.5, v7
	s_wait_xcnt 0x0
	s_delay_alu instid0(VALU_DEP_1)
	v_and_b32_e32 v18, 0x7fffffff, v1
	v_cmpx_ngt_f32_e64 0x48000000, |v1|
	s_xor_b32 s26, exec_lo, s3
	s_cbranch_execz .LBB144_6
; %bb.5:                                ;   in Loop: Header=BB144_4 Depth=1
	s_delay_alu instid0(VALU_DEP_2) | instskip(SKIP_1) | instid1(VALU_DEP_2)
	v_and_or_b32 v12, v18, s21, 0x800000
	v_dual_lshrrev_b32 v19, 23, v18 :: v_dual_mov_b32 v31, v13
	v_mul_u64_e32 v[20:21], s[12:13], v[12:13]
	v_mov_b32_e32 v23, v13
	s_delay_alu instid0(VALU_DEP_3) | instskip(NEXT) | instid1(VALU_DEP_1)
	v_add_nc_u32_e32 v19, 0xffffff88, v19
	v_cmp_lt_u32_e32 vcc_lo, 63, v19
	s_delay_alu instid0(VALU_DEP_4) | instskip(SKIP_1) | instid1(VALU_DEP_2)
	v_mov_b32_e32 v22, v21
	v_cndmask_b32_e64 v21, 0, 0xffffffc0, vcc_lo
	v_mad_nc_u64_u32 v[22:23], 0x3c439041, v12, v[22:23]
	s_delay_alu instid0(VALU_DEP_1) | instskip(NEXT) | instid1(VALU_DEP_1)
	v_dual_mov_b32 v25, v13 :: v_dual_mov_b32 v24, v23
	v_mad_nc_u64_u32 v[24:25], 0xdb629599, v12, v[24:25]
	s_delay_alu instid0(VALU_DEP_1) | instskip(NEXT) | instid1(VALU_DEP_2)
	v_dual_mov_b32 v27, v13 :: v_dual_mov_b32 v26, v25
	v_cndmask_b32_e32 v20, v24, v20, vcc_lo
	s_delay_alu instid0(VALU_DEP_2) | instskip(NEXT) | instid1(VALU_DEP_1)
	v_mad_nc_u64_u32 v[26:27], 0xf534ddc0, v12, v[26:27]
	v_dual_mov_b32 v29, v13 :: v_dual_mov_b32 v28, v27
	s_delay_alu instid0(VALU_DEP_1) | instskip(NEXT) | instid1(VALU_DEP_1)
	v_mad_nc_u64_u32 v[28:29], 0xfc2757d1, v12, v[28:29]
	v_dual_mov_b32 v30, v29 :: v_dual_cndmask_b32 v27, v28, v24
	s_delay_alu instid0(VALU_DEP_1) | instskip(SKIP_1) | instid1(VALU_DEP_2)
	v_mad_nc_u64_u32 v[30:31], 0x4e441529, v12, v[30:31]
	v_add_nc_u32_e32 v19, v21, v19
	v_dual_mov_b32 v33, v13 :: v_dual_mov_b32 v32, v31
	s_delay_alu instid0(VALU_DEP_2) | instskip(NEXT) | instid1(VALU_DEP_2)
	v_cmp_lt_u32_e64 s2, 31, v19
	v_mad_nc_u64_u32 v[32:33], 0xa2f9836e, v12, v[32:33]
	s_delay_alu instid0(VALU_DEP_2) | instskip(NEXT) | instid1(VALU_DEP_1)
	v_cndmask_b32_e64 v21, 0, 0xffffffe0, s2
	v_dual_cndmask_b32 v21, v30, v26 :: v_dual_add_nc_u32 v12, v21, v19
	s_delay_alu instid0(VALU_DEP_3) | instskip(NEXT) | instid1(VALU_DEP_2)
	v_cndmask_b32_e32 v23, v32, v28, vcc_lo
	v_cmp_lt_u32_e64 s3, 31, v12
	v_cndmask_b32_e32 v25, v33, v30, vcc_lo
	s_delay_alu instid0(VALU_DEP_2) | instskip(NEXT) | instid1(VALU_DEP_1)
	v_cndmask_b32_e64 v19, 0, 0xffffffe0, s3
	v_dual_cndmask_b32 v19, v26, v22 :: v_dual_add_nc_u32 v12, v19, v12
	s_delay_alu instid0(VALU_DEP_3) | instskip(NEXT) | instid1(VALU_DEP_2)
	v_dual_cndmask_b32 v22, v23, v21, s2 :: v_dual_cndmask_b32 v23, v25, v23, s2
	v_dual_cndmask_b32 v21, v21, v27, s2 :: v_dual_sub_nc_u32 v25, 32, v12
	s_delay_alu instid0(VALU_DEP_3) | instskip(SKIP_1) | instid1(VALU_DEP_3)
	v_cndmask_b32_e64 v26, v27, v19, s2
	v_cmp_eq_u32_e32 vcc_lo, 0, v12
	v_dual_cndmask_b32 v23, v23, v22, s3 :: v_dual_cndmask_b32 v22, v22, v21, s3
	s_delay_alu instid0(VALU_DEP_1) | instskip(NEXT) | instid1(VALU_DEP_1)
	v_alignbit_b32 v27, v23, v22, v25
	v_dual_cndmask_b32 v21, v21, v26, s3 :: v_dual_cndmask_b32 v12, v27, v23, vcc_lo
	s_delay_alu instid0(VALU_DEP_1) | instskip(NEXT) | instid1(VALU_DEP_1)
	v_alignbit_b32 v24, v22, v21, v25
	v_dual_cndmask_b32 v19, v19, v20, s2 :: v_dual_cndmask_b32 v20, v24, v22, vcc_lo
	s_delay_alu instid0(VALU_DEP_3) | instskip(NEXT) | instid1(VALU_DEP_2)
	v_bfe_u32 v22, v12, 29, 1
	v_cndmask_b32_e64 v19, v26, v19, s3
	s_delay_alu instid0(VALU_DEP_3) | instskip(NEXT) | instid1(VALU_DEP_3)
	v_alignbit_b32 v23, v12, v20, 30
	v_sub_nc_u32_e32 v24, 0, v22
	s_delay_alu instid0(VALU_DEP_3) | instskip(NEXT) | instid1(VALU_DEP_1)
	v_alignbit_b32 v25, v21, v19, v25
	v_dual_cndmask_b32 v21, v25, v21, vcc_lo :: v_dual_bitop2_b32 v23, v23, v24 bitop3:0x14
	s_delay_alu instid0(VALU_DEP_1) | instskip(NEXT) | instid1(VALU_DEP_2)
	v_clz_i32_u32_e32 v25, v23
	v_alignbit_b32 v20, v20, v21, 30
	v_alignbit_b32 v19, v21, v19, 30
	s_delay_alu instid0(VALU_DEP_3) | instskip(NEXT) | instid1(VALU_DEP_3)
	v_min_u32_e32 v25, 32, v25
	v_xor_b32_e32 v20, v20, v24
	s_delay_alu instid0(VALU_DEP_3) | instskip(SKIP_1) | instid1(VALU_DEP_4)
	v_xor_b32_e32 v19, v19, v24
	v_dual_lshrrev_b32 v24, 29, v12 :: v_dual_lshrrev_b32 v12, 30, v12
	v_dual_sub_nc_u32 v21, 31, v25 :: v_dual_lshlrev_b32 v26, 23, v25
	s_delay_alu instid0(VALU_DEP_1) | instskip(NEXT) | instid1(VALU_DEP_4)
	v_alignbit_b32 v23, v23, v20, v21
	v_alignbit_b32 v19, v20, v19, v21
	s_delay_alu instid0(VALU_DEP_4) | instskip(NEXT) | instid1(VALU_DEP_2)
	v_lshlrev_b32_e32 v20, 31, v24
	v_alignbit_b32 v21, v23, v19, 9
	s_delay_alu instid0(VALU_DEP_2) | instskip(SKIP_1) | instid1(VALU_DEP_3)
	v_dual_lshrrev_b32 v23, 9, v23 :: v_dual_bitop2_b32 v24, 0.5, v20 bitop3:0x54
	v_or_b32_e32 v20, 0x33000000, v20
	v_clz_i32_u32_e32 v27, v21
	s_delay_alu instid0(VALU_DEP_3) | instskip(NEXT) | instid1(VALU_DEP_2)
	v_sub_nc_u32_e32 v24, v24, v26
	v_min_u32_e32 v26, 32, v27
	s_delay_alu instid0(VALU_DEP_1) | instskip(NEXT) | instid1(VALU_DEP_3)
	v_add_lshl_u32 v25, v26, v25, 23
	v_or_b32_e32 v23, v23, v24
	v_not_b32_e32 v24, v26
	s_delay_alu instid0(VALU_DEP_2) | instskip(NEXT) | instid1(VALU_DEP_2)
	v_dual_mul_f32 v27, 0x3fc90fda, v23 :: v_dual_sub_nc_u32 v20, v20, v25
	v_alignbit_b32 v19, v21, v19, v24
	s_delay_alu instid0(VALU_DEP_2) | instskip(NEXT) | instid1(VALU_DEP_2)
	v_fma_f32 v21, 0x3fc90fda, v23, -v27
	v_lshrrev_b32_e32 v19, 9, v19
	s_delay_alu instid0(VALU_DEP_2) | instskip(NEXT) | instid1(VALU_DEP_2)
	v_fmac_f32_e32 v21, 0x33a22168, v23
	v_or_b32_e32 v19, v20, v19
	s_delay_alu instid0(VALU_DEP_1) | instskip(NEXT) | instid1(VALU_DEP_1)
	v_fmac_f32_e32 v21, 0x3fc90fda, v19
	v_dual_add_f32 v20, v27, v21 :: v_dual_add_nc_u32 v21, v22, v12
.LBB144_6:                              ;   in Loop: Header=BB144_4 Depth=1
	s_and_not1_saveexec_b32 s2, s26
; %bb.7:                                ;   in Loop: Header=BB144_4 Depth=1
	v_mul_f32_e64 v12, 0x3f22f983, |v1|
	s_delay_alu instid0(VALU_DEP_1) | instskip(NEXT) | instid1(VALU_DEP_1)
	v_rndne_f32_e32 v12, v12
	v_fma_f32 v20, 0xbfc90fda, v12, |v1|
	v_cvt_i32_f32_e32 v21, v12
	s_delay_alu instid0(VALU_DEP_2) | instskip(NEXT) | instid1(VALU_DEP_1)
	v_fmac_f32_e32 v20, 0xb3a22168, v12
	v_fmac_f32_e32 v20, 0xa7c234c4, v12
; %bb.8:                                ;   in Loop: Header=BB144_4 Depth=1
	s_or_b32 exec_lo, exec_lo, s2
	v_and_b32_e32 v19, 0x7fffffff, v7
	v_cmp_ngt_f32_e64 s26, 0x48000000, |v7|
                                        ; implicit-def: $vgpr23
                                        ; implicit-def: $vgpr22
	s_and_saveexec_b32 s2, s26
	s_delay_alu instid0(SALU_CYCLE_1)
	s_xor_b32 s27, exec_lo, s2
	s_cbranch_execz .LBB144_10
; %bb.9:                                ;   in Loop: Header=BB144_4 Depth=1
	v_and_or_b32 v12, v19, s21, 0x800000
	v_mov_b32_e32 v33, v13
	s_delay_alu instid0(VALU_DEP_2) | instskip(NEXT) | instid1(VALU_DEP_1)
	v_mul_u64_e32 v[22:23], s[12:13], v[12:13]
	v_dual_mov_b32 v25, v13 :: v_dual_mov_b32 v24, v23
	v_lshrrev_b32_e32 v23, 23, v19
	s_delay_alu instid0(VALU_DEP_2) | instskip(SKIP_1) | instid1(VALU_DEP_3)
	v_mad_nc_u64_u32 v[24:25], 0x3c439041, v12, v[24:25]
	v_mov_b32_e32 v27, v13
	v_add_nc_u32_e32 v23, 0xffffff88, v23
	s_delay_alu instid0(VALU_DEP_1) | instskip(NEXT) | instid1(VALU_DEP_4)
	v_cmp_lt_u32_e32 vcc_lo, 63, v23
	v_mov_b32_e32 v26, v25
	v_cndmask_b32_e64 v25, 0, 0xffffffc0, vcc_lo
	s_delay_alu instid0(VALU_DEP_2) | instskip(NEXT) | instid1(VALU_DEP_1)
	v_mad_nc_u64_u32 v[26:27], 0xdb629599, v12, v[26:27]
	v_dual_mov_b32 v29, v13 :: v_dual_mov_b32 v28, v27
	s_delay_alu instid0(VALU_DEP_2) | instskip(NEXT) | instid1(VALU_DEP_2)
	v_cndmask_b32_e32 v22, v26, v22, vcc_lo
	v_mad_nc_u64_u32 v[28:29], 0xf534ddc0, v12, v[28:29]
	s_delay_alu instid0(VALU_DEP_1) | instskip(NEXT) | instid1(VALU_DEP_1)
	v_dual_mov_b32 v31, v13 :: v_dual_mov_b32 v30, v29
	v_mad_nc_u64_u32 v[30:31], 0xfc2757d1, v12, v[30:31]
	s_delay_alu instid0(VALU_DEP_1) | instskip(NEXT) | instid1(VALU_DEP_1)
	v_mov_b32_e32 v32, v31
	v_mad_nc_u64_u32 v[32:33], 0x4e441529, v12, v[32:33]
	v_add_nc_u32_e32 v23, v25, v23
	v_mov_b32_e32 v35, v13
	s_delay_alu instid0(VALU_DEP_2) | instskip(NEXT) | instid1(VALU_DEP_4)
	v_cmp_lt_u32_e64 s2, 31, v23
	v_mov_b32_e32 v34, v33
	s_delay_alu instid0(VALU_DEP_2) | instskip(NEXT) | instid1(VALU_DEP_2)
	v_cndmask_b32_e64 v25, 0, 0xffffffe0, s2
	v_mad_nc_u64_u32 v[34:35], 0xa2f9836e, v12, v[34:35]
	s_delay_alu instid0(VALU_DEP_2) | instskip(NEXT) | instid1(VALU_DEP_2)
	v_dual_cndmask_b32 v25, v32, v28 :: v_dual_add_nc_u32 v12, v25, v23
	v_cndmask_b32_e32 v27, v34, v30, vcc_lo
	s_delay_alu instid0(VALU_DEP_2) | instskip(NEXT) | instid1(VALU_DEP_4)
	v_cmp_lt_u32_e64 s3, 31, v12
	v_dual_cndmask_b32 v29, v35, v32 :: v_dual_cndmask_b32 v30, v30, v26
	s_delay_alu instid0(VALU_DEP_2) | instskip(NEXT) | instid1(VALU_DEP_1)
	v_cndmask_b32_e64 v23, 0, 0xffffffe0, s3
	v_add_nc_u32_e32 v12, v23, v12
	v_dual_cndmask_b32 v23, v28, v24, vcc_lo :: v_dual_cndmask_b32 v24, v27, v25, s2
	s_delay_alu instid0(VALU_DEP_4) | instskip(NEXT) | instid1(VALU_DEP_3)
	v_cndmask_b32_e64 v27, v29, v27, s2
	v_dual_cndmask_b32 v25, v25, v30, s2 :: v_dual_sub_nc_u32 v28, 32, v12
	s_delay_alu instid0(VALU_DEP_3) | instskip(SKIP_1) | instid1(VALU_DEP_3)
	v_cndmask_b32_e64 v29, v30, v23, s2
	v_cmp_eq_u32_e32 vcc_lo, 0, v12
	v_dual_cndmask_b32 v27, v27, v24, s3 :: v_dual_cndmask_b32 v24, v24, v25, s3
	s_delay_alu instid0(VALU_DEP_1) | instskip(NEXT) | instid1(VALU_DEP_1)
	v_alignbit_b32 v30, v27, v24, v28
	v_dual_cndmask_b32 v25, v25, v29, s3 :: v_dual_cndmask_b32 v12, v30, v27, vcc_lo
	s_delay_alu instid0(VALU_DEP_1) | instskip(NEXT) | instid1(VALU_DEP_1)
	v_alignbit_b32 v26, v24, v25, v28
	v_dual_cndmask_b32 v22, v23, v22, s2 :: v_dual_cndmask_b32 v23, v26, v24, vcc_lo
	s_delay_alu instid0(VALU_DEP_3) | instskip(NEXT) | instid1(VALU_DEP_2)
	v_bfe_u32 v24, v12, 29, 1
	v_cndmask_b32_e64 v22, v29, v22, s3
	s_delay_alu instid0(VALU_DEP_3) | instskip(NEXT) | instid1(VALU_DEP_3)
	v_alignbit_b32 v26, v12, v23, 30
	v_sub_nc_u32_e32 v27, 0, v24
	s_delay_alu instid0(VALU_DEP_3) | instskip(NEXT) | instid1(VALU_DEP_1)
	v_alignbit_b32 v28, v25, v22, v28
	v_dual_cndmask_b32 v25, v28, v25, vcc_lo :: v_dual_bitop2_b32 v26, v26, v27 bitop3:0x14
	s_delay_alu instid0(VALU_DEP_1) | instskip(NEXT) | instid1(VALU_DEP_2)
	v_clz_i32_u32_e32 v28, v26
	v_alignbit_b32 v23, v23, v25, 30
	v_alignbit_b32 v22, v25, v22, 30
	s_delay_alu instid0(VALU_DEP_3) | instskip(NEXT) | instid1(VALU_DEP_3)
	v_min_u32_e32 v28, 32, v28
	v_xor_b32_e32 v23, v23, v27
	s_delay_alu instid0(VALU_DEP_3) | instskip(SKIP_1) | instid1(VALU_DEP_4)
	v_dual_lshrrev_b32 v27, 29, v12 :: v_dual_bitop2_b32 v22, v22, v27 bitop3:0x14
	v_lshrrev_b32_e32 v12, 30, v12
	v_dual_sub_nc_u32 v25, 31, v28 :: v_dual_lshlrev_b32 v29, 23, v28
	s_delay_alu instid0(VALU_DEP_1) | instskip(NEXT) | instid1(VALU_DEP_4)
	v_alignbit_b32 v26, v26, v23, v25
	v_alignbit_b32 v22, v23, v22, v25
	v_lshlrev_b32_e32 v23, 31, v27
	s_delay_alu instid0(VALU_DEP_2) | instskip(NEXT) | instid1(VALU_DEP_2)
	v_alignbit_b32 v25, v26, v22, 9
	v_dual_lshrrev_b32 v26, 9, v26 :: v_dual_bitop2_b32 v27, 0.5, v23 bitop3:0x54
	v_or_b32_e32 v23, 0x33000000, v23
	s_delay_alu instid0(VALU_DEP_3) | instskip(NEXT) | instid1(VALU_DEP_3)
	v_clz_i32_u32_e32 v30, v25
	v_sub_nc_u32_e32 v27, v27, v29
	s_delay_alu instid0(VALU_DEP_2) | instskip(NEXT) | instid1(VALU_DEP_1)
	v_min_u32_e32 v29, 32, v30
	v_add_lshl_u32 v28, v29, v28, 23
	s_delay_alu instid0(VALU_DEP_3) | instskip(SKIP_1) | instid1(VALU_DEP_2)
	v_or_b32_e32 v26, v26, v27
	v_not_b32_e32 v27, v29
	v_dual_mul_f32 v30, 0x3fc90fda, v26 :: v_dual_sub_nc_u32 v23, v23, v28
	s_delay_alu instid0(VALU_DEP_2) | instskip(NEXT) | instid1(VALU_DEP_2)
	v_alignbit_b32 v22, v25, v22, v27
	v_fma_f32 v25, 0x3fc90fda, v26, -v30
	s_delay_alu instid0(VALU_DEP_2) | instskip(NEXT) | instid1(VALU_DEP_2)
	v_lshrrev_b32_e32 v22, 9, v22
	v_fmac_f32_e32 v25, 0x33a22168, v26
	s_delay_alu instid0(VALU_DEP_2) | instskip(NEXT) | instid1(VALU_DEP_1)
	v_dual_add_nc_u32 v23, v24, v12 :: v_dual_bitop2_b32 v22, v23, v22 bitop3:0x54
	v_fmac_f32_e32 v25, 0x3fc90fda, v22
	s_delay_alu instid0(VALU_DEP_1)
	v_add_f32_e32 v22, v30, v25
	s_and_not1_saveexec_b32 s2, s27
	s_branch .LBB144_11
.LBB144_10:                             ;   in Loop: Header=BB144_4 Depth=1
	s_and_not1_saveexec_b32 s2, s27
.LBB144_11:                             ;   in Loop: Header=BB144_4 Depth=1
	v_mul_f32_e64 v12, 0x3f22f983, |v7|
	s_delay_alu instid0(VALU_DEP_1) | instskip(NEXT) | instid1(VALU_DEP_1)
	v_rndne_f32_e32 v12, v12
	v_fma_f32 v22, 0xbfc90fda, v12, |v7|
	v_cvt_i32_f32_e32 v23, v12
	s_delay_alu instid0(VALU_DEP_2) | instskip(NEXT) | instid1(VALU_DEP_1)
	v_fmac_f32_e32 v22, 0xb3a22168, v12
	v_fmac_f32_e32 v22, 0xa7c234c4, v12
; %bb.12:                               ;   in Loop: Header=BB144_4 Depth=1
	s_or_b32 exec_lo, exec_lo, s2
                                        ; implicit-def: $vgpr25
                                        ; implicit-def: $vgpr24
	s_and_saveexec_b32 s2, s26
	s_delay_alu instid0(SALU_CYCLE_1)
	s_xor_b32 s26, exec_lo, s2
	s_cbranch_execz .LBB144_14
; %bb.13:                               ;   in Loop: Header=BB144_4 Depth=1
	v_and_or_b32 v12, v19, s21, 0x800000
	v_dual_mov_b32 v35, v13 :: v_dual_mov_b32 v37, v13
	s_delay_alu instid0(VALU_DEP_2) | instskip(NEXT) | instid1(VALU_DEP_1)
	v_mul_u64_e32 v[24:25], s[12:13], v[12:13]
	v_dual_mov_b32 v27, v13 :: v_dual_mov_b32 v26, v25
	v_lshrrev_b32_e32 v25, 23, v19
	s_delay_alu instid0(VALU_DEP_2) | instskip(SKIP_1) | instid1(VALU_DEP_3)
	v_mad_nc_u64_u32 v[26:27], 0x3c439041, v12, v[26:27]
	v_mov_b32_e32 v29, v13
	v_add_nc_u32_e32 v25, 0xffffff88, v25
	s_delay_alu instid0(VALU_DEP_1) | instskip(NEXT) | instid1(VALU_DEP_4)
	v_cmp_lt_u32_e32 vcc_lo, 63, v25
	v_mov_b32_e32 v28, v27
	v_cndmask_b32_e64 v27, 0, 0xffffffc0, vcc_lo
	s_delay_alu instid0(VALU_DEP_2) | instskip(NEXT) | instid1(VALU_DEP_2)
	v_mad_nc_u64_u32 v[28:29], 0xdb629599, v12, v[28:29]
	v_dual_mov_b32 v31, v13 :: v_dual_add_nc_u32 v25, v27, v25
	s_delay_alu instid0(VALU_DEP_1) | instskip(NEXT) | instid1(VALU_DEP_3)
	v_cmp_lt_u32_e64 s2, 31, v25
	v_mov_b32_e32 v30, v29
	s_delay_alu instid0(VALU_DEP_2) | instskip(SKIP_1) | instid1(VALU_DEP_3)
	v_cndmask_b32_e64 v27, 0, 0xffffffe0, s2
	v_cndmask_b32_e32 v24, v28, v24, vcc_lo
	v_mad_nc_u64_u32 v[30:31], 0xf534ddc0, v12, v[30:31]
	s_delay_alu instid0(VALU_DEP_1) | instskip(NEXT) | instid1(VALU_DEP_1)
	v_dual_mov_b32 v33, v13 :: v_dual_mov_b32 v32, v31
	v_mad_nc_u64_u32 v[32:33], 0xfc2757d1, v12, v[32:33]
	s_delay_alu instid0(VALU_DEP_1) | instskip(NEXT) | instid1(VALU_DEP_1)
	v_mov_b32_e32 v34, v33
	v_mad_nc_u64_u32 v[34:35], 0x4e441529, v12, v[34:35]
	s_delay_alu instid0(VALU_DEP_1) | instskip(NEXT) | instid1(VALU_DEP_1)
	v_mov_b32_e32 v36, v35
	v_mad_nc_u64_u32 v[36:37], 0xa2f9836e, v12, v[36:37]
	s_delay_alu instid0(VALU_DEP_3) | instskip(NEXT) | instid1(VALU_DEP_2)
	v_dual_cndmask_b32 v27, v34, v30 :: v_dual_add_nc_u32 v12, v27, v25
	v_cndmask_b32_e32 v29, v36, v32, vcc_lo
	s_delay_alu instid0(VALU_DEP_2) | instskip(NEXT) | instid1(VALU_DEP_4)
	v_cmp_lt_u32_e64 s3, 31, v12
	v_dual_cndmask_b32 v31, v37, v34 :: v_dual_cndmask_b32 v32, v32, v28
	s_delay_alu instid0(VALU_DEP_2) | instskip(NEXT) | instid1(VALU_DEP_1)
	v_cndmask_b32_e64 v25, 0, 0xffffffe0, s3
	v_dual_cndmask_b32 v25, v30, v26 :: v_dual_add_nc_u32 v12, v25, v12
	s_delay_alu instid0(VALU_DEP_3) | instskip(NEXT) | instid1(VALU_DEP_4)
	v_dual_cndmask_b32 v26, v29, v27, s2 :: v_dual_cndmask_b32 v29, v31, v29, s2
	v_cndmask_b32_e64 v27, v27, v32, s2
	s_delay_alu instid0(VALU_DEP_3) | instskip(SKIP_1) | instid1(VALU_DEP_3)
	v_dual_sub_nc_u32 v30, 32, v12 :: v_dual_cndmask_b32 v31, v32, v25, s2
	v_cmp_eq_u32_e32 vcc_lo, 0, v12
	v_dual_cndmask_b32 v29, v29, v26, s3 :: v_dual_cndmask_b32 v26, v26, v27, s3
	s_delay_alu instid0(VALU_DEP_1) | instskip(NEXT) | instid1(VALU_DEP_1)
	v_alignbit_b32 v32, v29, v26, v30
	v_dual_cndmask_b32 v27, v27, v31, s3 :: v_dual_cndmask_b32 v12, v32, v29, vcc_lo
	s_delay_alu instid0(VALU_DEP_1) | instskip(NEXT) | instid1(VALU_DEP_1)
	v_alignbit_b32 v28, v26, v27, v30
	v_dual_cndmask_b32 v24, v25, v24, s2 :: v_dual_cndmask_b32 v25, v28, v26, vcc_lo
	s_delay_alu instid0(VALU_DEP_3) | instskip(NEXT) | instid1(VALU_DEP_2)
	v_bfe_u32 v26, v12, 29, 1
	v_cndmask_b32_e64 v24, v31, v24, s3
	s_delay_alu instid0(VALU_DEP_3) | instskip(NEXT) | instid1(VALU_DEP_3)
	v_alignbit_b32 v28, v12, v25, 30
	v_sub_nc_u32_e32 v29, 0, v26
	s_delay_alu instid0(VALU_DEP_3) | instskip(NEXT) | instid1(VALU_DEP_1)
	v_alignbit_b32 v30, v27, v24, v30
	v_dual_cndmask_b32 v27, v30, v27, vcc_lo :: v_dual_bitop2_b32 v28, v28, v29 bitop3:0x14
	s_delay_alu instid0(VALU_DEP_1) | instskip(NEXT) | instid1(VALU_DEP_2)
	v_clz_i32_u32_e32 v30, v28
	v_alignbit_b32 v25, v25, v27, 30
	v_alignbit_b32 v24, v27, v24, 30
	s_delay_alu instid0(VALU_DEP_3) | instskip(NEXT) | instid1(VALU_DEP_3)
	v_min_u32_e32 v30, 32, v30
	v_xor_b32_e32 v25, v25, v29
	s_delay_alu instid0(VALU_DEP_3) | instskip(NEXT) | instid1(VALU_DEP_3)
	v_dual_lshrrev_b32 v29, 29, v12 :: v_dual_bitop2_b32 v24, v24, v29 bitop3:0x14
	v_dual_sub_nc_u32 v27, 31, v30 :: v_dual_lshlrev_b32 v31, 23, v30
	s_delay_alu instid0(VALU_DEP_1) | instskip(NEXT) | instid1(VALU_DEP_3)
	v_alignbit_b32 v28, v28, v25, v27
	v_alignbit_b32 v24, v25, v24, v27
	s_delay_alu instid0(VALU_DEP_4) | instskip(NEXT) | instid1(VALU_DEP_2)
	v_lshlrev_b32_e32 v25, 31, v29
	v_alignbit_b32 v27, v28, v24, 9
	s_delay_alu instid0(VALU_DEP_2) | instskip(SKIP_1) | instid1(VALU_DEP_3)
	v_dual_lshrrev_b32 v28, 9, v28 :: v_dual_bitop2_b32 v29, 0.5, v25 bitop3:0x54
	v_or_b32_e32 v25, 0x33000000, v25
	v_clz_i32_u32_e32 v32, v27
	s_delay_alu instid0(VALU_DEP_3) | instskip(NEXT) | instid1(VALU_DEP_2)
	v_sub_nc_u32_e32 v29, v29, v31
	v_min_u32_e32 v31, 32, v32
	s_delay_alu instid0(VALU_DEP_1) | instskip(NEXT) | instid1(VALU_DEP_3)
	v_add_lshl_u32 v30, v31, v30, 23
	v_or_b32_e32 v28, v28, v29
	v_not_b32_e32 v29, v31
	s_delay_alu instid0(VALU_DEP_2) | instskip(NEXT) | instid1(VALU_DEP_2)
	v_dual_mul_f32 v32, 0x3fc90fda, v28 :: v_dual_sub_nc_u32 v25, v25, v30
	v_alignbit_b32 v24, v27, v24, v29
	s_delay_alu instid0(VALU_DEP_2) | instskip(NEXT) | instid1(VALU_DEP_2)
	v_fma_f32 v27, 0x3fc90fda, v28, -v32
	v_lshrrev_b32_e32 v24, 9, v24
	s_delay_alu instid0(VALU_DEP_2) | instskip(NEXT) | instid1(VALU_DEP_2)
	v_fmac_f32_e32 v27, 0x33a22168, v28
	v_or_b32_e32 v24, v25, v24
	s_delay_alu instid0(VALU_DEP_1) | instskip(NEXT) | instid1(VALU_DEP_1)
	v_fmac_f32_e32 v27, 0x3fc90fda, v24
	v_dual_lshrrev_b32 v12, 30, v12 :: v_dual_add_f32 v24, v32, v27
	s_delay_alu instid0(VALU_DEP_1)
	v_add_nc_u32_e32 v25, v26, v12
	s_and_not1_saveexec_b32 s2, s26
	s_cbranch_execnz .LBB144_15
	s_branch .LBB144_16
.LBB144_14:                             ;   in Loop: Header=BB144_4 Depth=1
	s_and_not1_saveexec_b32 s2, s26
.LBB144_15:                             ;   in Loop: Header=BB144_4 Depth=1
	v_mul_f32_e64 v12, 0x3f22f983, |v7|
	s_delay_alu instid0(VALU_DEP_1) | instskip(NEXT) | instid1(VALU_DEP_1)
	v_rndne_f32_e32 v12, v12
	v_fma_f32 v24, 0xbfc90fda, v12, |v7|
	v_cvt_i32_f32_e32 v25, v12
	s_delay_alu instid0(VALU_DEP_2) | instskip(NEXT) | instid1(VALU_DEP_1)
	v_fmac_f32_e32 v24, 0xb3a22168, v12
	v_fmac_f32_e32 v24, 0xa7c234c4, v12
.LBB144_16:                             ;   in Loop: Header=BB144_4 Depth=1
	s_or_b32 exec_lo, exec_lo, s2
	v_mul_f32_e32 v26, 0.5, v9
                                        ; implicit-def: $vgpr30
                                        ; implicit-def: $vgpr28
	s_mov_b32 s3, exec_lo
	s_delay_alu instid0(VALU_DEP_1)
	v_and_b32_e32 v27, 0x7fffffff, v26
	v_cmpx_ngt_f32_e64 0x48000000, |v26|
	s_xor_b32 s26, exec_lo, s3
	s_cbranch_execz .LBB144_18
; %bb.17:                               ;   in Loop: Header=BB144_4 Depth=1
	s_delay_alu instid0(VALU_DEP_2) | instskip(SKIP_1) | instid1(VALU_DEP_2)
	v_and_or_b32 v12, v27, s21, 0x800000
	v_dual_mov_b32 v39, v13 :: v_dual_mov_b32 v41, v13
	v_mul_u64_e32 v[28:29], s[12:13], v[12:13]
	s_delay_alu instid0(VALU_DEP_1) | instskip(SKIP_1) | instid1(VALU_DEP_2)
	v_dual_mov_b32 v31, v13 :: v_dual_mov_b32 v30, v29
	v_lshrrev_b32_e32 v29, 23, v27
	v_mad_nc_u64_u32 v[30:31], 0x3c439041, v12, v[30:31]
	v_mov_b32_e32 v33, v13
	s_delay_alu instid0(VALU_DEP_3) | instskip(NEXT) | instid1(VALU_DEP_1)
	v_add_nc_u32_e32 v29, 0xffffff88, v29
	v_cmp_lt_u32_e32 vcc_lo, 63, v29
	s_delay_alu instid0(VALU_DEP_4) | instskip(SKIP_1) | instid1(VALU_DEP_2)
	v_mov_b32_e32 v32, v31
	v_cndmask_b32_e64 v31, 0, 0xffffffc0, vcc_lo
	v_mad_nc_u64_u32 v[32:33], 0xdb629599, v12, v[32:33]
	s_delay_alu instid0(VALU_DEP_2) | instskip(NEXT) | instid1(VALU_DEP_1)
	v_dual_mov_b32 v35, v13 :: v_dual_add_nc_u32 v29, v31, v29
	v_cmp_lt_u32_e64 s2, 31, v29
	s_delay_alu instid0(VALU_DEP_3) | instskip(NEXT) | instid1(VALU_DEP_2)
	v_mov_b32_e32 v34, v33
	v_cndmask_b32_e64 v31, 0, 0xffffffe0, s2
	v_cndmask_b32_e32 v28, v32, v28, vcc_lo
	s_delay_alu instid0(VALU_DEP_3) | instskip(NEXT) | instid1(VALU_DEP_1)
	v_mad_nc_u64_u32 v[34:35], 0xf534ddc0, v12, v[34:35]
	v_dual_mov_b32 v37, v13 :: v_dual_mov_b32 v36, v35
	s_delay_alu instid0(VALU_DEP_1) | instskip(NEXT) | instid1(VALU_DEP_1)
	v_mad_nc_u64_u32 v[36:37], 0xfc2757d1, v12, v[36:37]
	v_mov_b32_e32 v38, v37
	s_delay_alu instid0(VALU_DEP_1) | instskip(NEXT) | instid1(VALU_DEP_1)
	v_mad_nc_u64_u32 v[38:39], 0x4e441529, v12, v[38:39]
	v_mov_b32_e32 v40, v39
	s_delay_alu instid0(VALU_DEP_1) | instskip(NEXT) | instid1(VALU_DEP_3)
	v_mad_nc_u64_u32 v[40:41], 0xa2f9836e, v12, v[40:41]
	v_dual_cndmask_b32 v31, v38, v34 :: v_dual_add_nc_u32 v12, v31, v29
	s_delay_alu instid0(VALU_DEP_2) | instskip(NEXT) | instid1(VALU_DEP_2)
	v_cndmask_b32_e32 v33, v40, v36, vcc_lo
	v_cmp_lt_u32_e64 s3, 31, v12
	s_delay_alu instid0(VALU_DEP_4) | instskip(NEXT) | instid1(VALU_DEP_2)
	v_dual_cndmask_b32 v35, v41, v38 :: v_dual_cndmask_b32 v36, v36, v32
	v_cndmask_b32_e64 v29, 0, 0xffffffe0, s3
	s_delay_alu instid0(VALU_DEP_1) | instskip(NEXT) | instid1(VALU_DEP_3)
	v_dual_cndmask_b32 v29, v34, v30 :: v_dual_add_nc_u32 v12, v29, v12
	v_dual_cndmask_b32 v30, v33, v31, s2 :: v_dual_cndmask_b32 v33, v35, v33, s2
	s_delay_alu instid0(VALU_DEP_4) | instskip(NEXT) | instid1(VALU_DEP_3)
	v_cndmask_b32_e64 v31, v31, v36, s2
	v_dual_sub_nc_u32 v34, 32, v12 :: v_dual_cndmask_b32 v35, v36, v29, s2
	v_cmp_eq_u32_e32 vcc_lo, 0, v12
	s_delay_alu instid0(VALU_DEP_3) | instskip(NEXT) | instid1(VALU_DEP_1)
	v_dual_cndmask_b32 v33, v33, v30, s3 :: v_dual_cndmask_b32 v30, v30, v31, s3
	v_alignbit_b32 v36, v33, v30, v34
	s_delay_alu instid0(VALU_DEP_1) | instskip(NEXT) | instid1(VALU_DEP_1)
	v_dual_cndmask_b32 v31, v31, v35, s3 :: v_dual_cndmask_b32 v12, v36, v33, vcc_lo
	v_alignbit_b32 v32, v30, v31, v34
	s_delay_alu instid0(VALU_DEP_1) | instskip(NEXT) | instid1(VALU_DEP_3)
	v_dual_cndmask_b32 v28, v29, v28, s2 :: v_dual_cndmask_b32 v29, v32, v30, vcc_lo
	v_bfe_u32 v30, v12, 29, 1
	s_delay_alu instid0(VALU_DEP_2) | instskip(NEXT) | instid1(VALU_DEP_3)
	v_cndmask_b32_e64 v28, v35, v28, s3
	v_alignbit_b32 v32, v12, v29, 30
	s_delay_alu instid0(VALU_DEP_3) | instskip(NEXT) | instid1(VALU_DEP_3)
	v_sub_nc_u32_e32 v33, 0, v30
	v_alignbit_b32 v34, v31, v28, v34
	s_delay_alu instid0(VALU_DEP_1) | instskip(NEXT) | instid1(VALU_DEP_1)
	v_dual_cndmask_b32 v31, v34, v31, vcc_lo :: v_dual_bitop2_b32 v32, v32, v33 bitop3:0x14
	v_clz_i32_u32_e32 v34, v32
	s_delay_alu instid0(VALU_DEP_2) | instskip(SKIP_1) | instid1(VALU_DEP_3)
	v_alignbit_b32 v29, v29, v31, 30
	v_alignbit_b32 v28, v31, v28, 30
	v_min_u32_e32 v34, 32, v34
	s_delay_alu instid0(VALU_DEP_3) | instskip(NEXT) | instid1(VALU_DEP_3)
	v_xor_b32_e32 v29, v29, v33
	v_dual_lshrrev_b32 v33, 29, v12 :: v_dual_bitop2_b32 v28, v28, v33 bitop3:0x14
	s_delay_alu instid0(VALU_DEP_3) | instskip(NEXT) | instid1(VALU_DEP_1)
	v_dual_sub_nc_u32 v31, 31, v34 :: v_dual_lshlrev_b32 v35, 23, v34
	v_alignbit_b32 v32, v32, v29, v31
	s_delay_alu instid0(VALU_DEP_3) | instskip(NEXT) | instid1(VALU_DEP_4)
	v_alignbit_b32 v28, v29, v28, v31
	v_lshlrev_b32_e32 v29, 31, v33
	s_delay_alu instid0(VALU_DEP_2) | instskip(NEXT) | instid1(VALU_DEP_2)
	v_alignbit_b32 v31, v32, v28, 9
	v_dual_lshrrev_b32 v32, 9, v32 :: v_dual_bitop2_b32 v33, 0.5, v29 bitop3:0x54
	v_or_b32_e32 v29, 0x33000000, v29
	s_delay_alu instid0(VALU_DEP_3) | instskip(NEXT) | instid1(VALU_DEP_3)
	v_clz_i32_u32_e32 v36, v31
	v_sub_nc_u32_e32 v33, v33, v35
	s_delay_alu instid0(VALU_DEP_2) | instskip(NEXT) | instid1(VALU_DEP_1)
	v_min_u32_e32 v35, 32, v36
	v_add_lshl_u32 v34, v35, v34, 23
	s_delay_alu instid0(VALU_DEP_3) | instskip(SKIP_1) | instid1(VALU_DEP_2)
	v_or_b32_e32 v32, v32, v33
	v_not_b32_e32 v33, v35
	v_dual_mul_f32 v36, 0x3fc90fda, v32 :: v_dual_sub_nc_u32 v29, v29, v34
	s_delay_alu instid0(VALU_DEP_2) | instskip(NEXT) | instid1(VALU_DEP_2)
	v_alignbit_b32 v28, v31, v28, v33
	v_fma_f32 v31, 0x3fc90fda, v32, -v36
	s_delay_alu instid0(VALU_DEP_2) | instskip(NEXT) | instid1(VALU_DEP_2)
	v_lshrrev_b32_e32 v28, 9, v28
	v_fmac_f32_e32 v31, 0x33a22168, v32
	s_delay_alu instid0(VALU_DEP_2) | instskip(NEXT) | instid1(VALU_DEP_1)
	v_or_b32_e32 v28, v29, v28
	v_fmac_f32_e32 v31, 0x3fc90fda, v28
	s_delay_alu instid0(VALU_DEP_1) | instskip(NEXT) | instid1(VALU_DEP_1)
	v_dual_lshrrev_b32 v12, 30, v12 :: v_dual_add_f32 v28, v36, v31
	v_add_nc_u32_e32 v30, v30, v12
.LBB144_18:                             ;   in Loop: Header=BB144_4 Depth=1
	s_and_not1_saveexec_b32 s2, s26
; %bb.19:                               ;   in Loop: Header=BB144_4 Depth=1
	v_mul_f32_e64 v12, 0x3f22f983, |v26|
	s_delay_alu instid0(VALU_DEP_1) | instskip(NEXT) | instid1(VALU_DEP_1)
	v_rndne_f32_e32 v12, v12
	v_fma_f32 v28, 0xbfc90fda, v12, |v26|
	v_cvt_i32_f32_e32 v30, v12
	s_delay_alu instid0(VALU_DEP_2) | instskip(NEXT) | instid1(VALU_DEP_1)
	v_fmac_f32_e32 v28, 0xb3a22168, v12
	v_fmac_f32_e32 v28, 0xa7c234c4, v12
; %bb.20:                               ;   in Loop: Header=BB144_4 Depth=1
	s_or_b32 exec_lo, exec_lo, s2
	v_and_b32_e32 v29, 0x7fffffff, v9
	v_cmp_ngt_f32_e64 s26, 0x48000000, |v9|
                                        ; implicit-def: $vgpr32
                                        ; implicit-def: $vgpr31
	s_and_saveexec_b32 s2, s26
	s_delay_alu instid0(SALU_CYCLE_1)
	s_xor_b32 s27, exec_lo, s2
	s_cbranch_execz .LBB144_22
; %bb.21:                               ;   in Loop: Header=BB144_4 Depth=1
	v_and_or_b32 v12, v29, s21, 0x800000
	v_dual_lshrrev_b32 v31, 23, v29 :: v_dual_mov_b32 v43, v13
	s_delay_alu instid0(VALU_DEP_2) | instskip(SKIP_1) | instid1(VALU_DEP_3)
	v_mul_u64_e32 v[32:33], s[12:13], v[12:13]
	v_mov_b32_e32 v35, v13
	v_add_nc_u32_e32 v31, 0xffffff88, v31
	s_delay_alu instid0(VALU_DEP_1) | instskip(NEXT) | instid1(VALU_DEP_4)
	v_cmp_lt_u32_e32 vcc_lo, 63, v31
	v_mov_b32_e32 v34, v33
	v_cndmask_b32_e64 v33, 0, 0xffffffc0, vcc_lo
	s_delay_alu instid0(VALU_DEP_2) | instskip(NEXT) | instid1(VALU_DEP_1)
	v_mad_nc_u64_u32 v[34:35], 0x3c439041, v12, v[34:35]
	v_dual_mov_b32 v37, v13 :: v_dual_mov_b32 v36, v35
	s_delay_alu instid0(VALU_DEP_1) | instskip(NEXT) | instid1(VALU_DEP_1)
	v_mad_nc_u64_u32 v[36:37], 0xdb629599, v12, v[36:37]
	v_dual_mov_b32 v39, v13 :: v_dual_mov_b32 v38, v37
	s_delay_alu instid0(VALU_DEP_2) | instskip(NEXT) | instid1(VALU_DEP_2)
	v_cndmask_b32_e32 v32, v36, v32, vcc_lo
	v_mad_nc_u64_u32 v[38:39], 0xf534ddc0, v12, v[38:39]
	s_delay_alu instid0(VALU_DEP_1) | instskip(NEXT) | instid1(VALU_DEP_1)
	v_dual_mov_b32 v41, v13 :: v_dual_mov_b32 v40, v39
	v_mad_nc_u64_u32 v[40:41], 0xfc2757d1, v12, v[40:41]
	s_delay_alu instid0(VALU_DEP_1) | instskip(NEXT) | instid1(VALU_DEP_1)
	v_dual_mov_b32 v42, v41 :: v_dual_cndmask_b32 v39, v40, v36
	v_mad_nc_u64_u32 v[42:43], 0x4e441529, v12, v[42:43]
	v_add_nc_u32_e32 v31, v33, v31
	s_delay_alu instid0(VALU_DEP_2) | instskip(NEXT) | instid1(VALU_DEP_2)
	v_dual_mov_b32 v45, v13 :: v_dual_mov_b32 v44, v43
	v_cmp_lt_u32_e64 s2, 31, v31
	s_delay_alu instid0(VALU_DEP_2) | instskip(NEXT) | instid1(VALU_DEP_2)
	v_mad_nc_u64_u32 v[44:45], 0xa2f9836e, v12, v[44:45]
	v_cndmask_b32_e64 v33, 0, 0xffffffe0, s2
	s_delay_alu instid0(VALU_DEP_1) | instskip(NEXT) | instid1(VALU_DEP_3)
	v_dual_cndmask_b32 v33, v42, v38 :: v_dual_add_nc_u32 v12, v33, v31
	v_cndmask_b32_e32 v35, v44, v40, vcc_lo
	s_delay_alu instid0(VALU_DEP_2) | instskip(SKIP_1) | instid1(VALU_DEP_2)
	v_cmp_lt_u32_e64 s3, 31, v12
	v_cndmask_b32_e32 v37, v45, v42, vcc_lo
	v_cndmask_b32_e64 v31, 0, 0xffffffe0, s3
	s_delay_alu instid0(VALU_DEP_1) | instskip(NEXT) | instid1(VALU_DEP_3)
	v_dual_cndmask_b32 v31, v38, v34 :: v_dual_add_nc_u32 v12, v31, v12
	v_dual_cndmask_b32 v34, v35, v33, s2 :: v_dual_cndmask_b32 v35, v37, v35, s2
	s_delay_alu instid0(VALU_DEP_2) | instskip(NEXT) | instid1(VALU_DEP_3)
	v_dual_cndmask_b32 v33, v33, v39, s2 :: v_dual_sub_nc_u32 v37, 32, v12
	v_cndmask_b32_e64 v38, v39, v31, s2
	v_cmp_eq_u32_e32 vcc_lo, 0, v12
	s_delay_alu instid0(VALU_DEP_3) | instskip(NEXT) | instid1(VALU_DEP_1)
	v_dual_cndmask_b32 v35, v35, v34, s3 :: v_dual_cndmask_b32 v34, v34, v33, s3
	v_alignbit_b32 v39, v35, v34, v37
	s_delay_alu instid0(VALU_DEP_1) | instskip(NEXT) | instid1(VALU_DEP_1)
	v_dual_cndmask_b32 v33, v33, v38, s3 :: v_dual_cndmask_b32 v12, v39, v35, vcc_lo
	v_alignbit_b32 v36, v34, v33, v37
	s_delay_alu instid0(VALU_DEP_1) | instskip(NEXT) | instid1(VALU_DEP_3)
	v_dual_cndmask_b32 v31, v31, v32, s2 :: v_dual_cndmask_b32 v32, v36, v34, vcc_lo
	v_bfe_u32 v34, v12, 29, 1
	s_delay_alu instid0(VALU_DEP_2) | instskip(NEXT) | instid1(VALU_DEP_3)
	v_cndmask_b32_e64 v31, v38, v31, s3
	v_alignbit_b32 v35, v12, v32, 30
	s_delay_alu instid0(VALU_DEP_3) | instskip(NEXT) | instid1(VALU_DEP_3)
	v_sub_nc_u32_e32 v36, 0, v34
	v_alignbit_b32 v37, v33, v31, v37
	s_delay_alu instid0(VALU_DEP_1) | instskip(NEXT) | instid1(VALU_DEP_1)
	v_dual_cndmask_b32 v33, v37, v33, vcc_lo :: v_dual_bitop2_b32 v35, v35, v36 bitop3:0x14
	v_clz_i32_u32_e32 v37, v35
	s_delay_alu instid0(VALU_DEP_2) | instskip(SKIP_1) | instid1(VALU_DEP_3)
	v_alignbit_b32 v32, v32, v33, 30
	v_alignbit_b32 v31, v33, v31, 30
	v_min_u32_e32 v37, 32, v37
	s_delay_alu instid0(VALU_DEP_3) | instskip(NEXT) | instid1(VALU_DEP_3)
	v_xor_b32_e32 v32, v32, v36
	v_xor_b32_e32 v31, v31, v36
	v_dual_lshrrev_b32 v36, 29, v12 :: v_dual_lshrrev_b32 v12, 30, v12
	s_delay_alu instid0(VALU_DEP_4) | instskip(NEXT) | instid1(VALU_DEP_1)
	v_dual_sub_nc_u32 v33, 31, v37 :: v_dual_lshlrev_b32 v38, 23, v37
	v_alignbit_b32 v35, v35, v32, v33
	s_delay_alu instid0(VALU_DEP_4) | instskip(NEXT) | instid1(VALU_DEP_4)
	v_alignbit_b32 v31, v32, v31, v33
	v_lshlrev_b32_e32 v32, 31, v36
	s_delay_alu instid0(VALU_DEP_2) | instskip(NEXT) | instid1(VALU_DEP_2)
	v_alignbit_b32 v33, v35, v31, 9
	v_dual_lshrrev_b32 v35, 9, v35 :: v_dual_bitop2_b32 v36, 0.5, v32 bitop3:0x54
	v_or_b32_e32 v32, 0x33000000, v32
	s_delay_alu instid0(VALU_DEP_3) | instskip(NEXT) | instid1(VALU_DEP_3)
	v_clz_i32_u32_e32 v39, v33
	v_sub_nc_u32_e32 v36, v36, v38
	s_delay_alu instid0(VALU_DEP_2) | instskip(NEXT) | instid1(VALU_DEP_1)
	v_min_u32_e32 v38, 32, v39
	v_add_lshl_u32 v37, v38, v37, 23
	s_delay_alu instid0(VALU_DEP_3) | instskip(SKIP_1) | instid1(VALU_DEP_2)
	v_or_b32_e32 v35, v35, v36
	v_not_b32_e32 v36, v38
	v_dual_mul_f32 v39, 0x3fc90fda, v35 :: v_dual_sub_nc_u32 v32, v32, v37
	s_delay_alu instid0(VALU_DEP_2) | instskip(NEXT) | instid1(VALU_DEP_2)
	v_alignbit_b32 v31, v33, v31, v36
	v_fma_f32 v33, 0x3fc90fda, v35, -v39
	s_delay_alu instid0(VALU_DEP_2) | instskip(NEXT) | instid1(VALU_DEP_2)
	v_lshrrev_b32_e32 v31, 9, v31
	v_fmac_f32_e32 v33, 0x33a22168, v35
	s_delay_alu instid0(VALU_DEP_2) | instskip(NEXT) | instid1(VALU_DEP_1)
	v_dual_add_nc_u32 v32, v34, v12 :: v_dual_bitop2_b32 v31, v32, v31 bitop3:0x54
	v_fmac_f32_e32 v33, 0x3fc90fda, v31
	s_delay_alu instid0(VALU_DEP_1)
	v_add_f32_e32 v31, v39, v33
	s_and_not1_saveexec_b32 s2, s27
	s_branch .LBB144_23
.LBB144_22:                             ;   in Loop: Header=BB144_4 Depth=1
	s_and_not1_saveexec_b32 s2, s27
.LBB144_23:                             ;   in Loop: Header=BB144_4 Depth=1
	v_mul_f32_e64 v12, 0x3f22f983, |v9|
	s_delay_alu instid0(VALU_DEP_1) | instskip(NEXT) | instid1(VALU_DEP_1)
	v_rndne_f32_e32 v12, v12
	v_fma_f32 v31, 0xbfc90fda, v12, |v9|
	v_cvt_i32_f32_e32 v32, v12
	s_delay_alu instid0(VALU_DEP_2) | instskip(NEXT) | instid1(VALU_DEP_1)
	v_fmac_f32_e32 v31, 0xb3a22168, v12
	v_fmac_f32_e32 v31, 0xa7c234c4, v12
; %bb.24:                               ;   in Loop: Header=BB144_4 Depth=1
	s_or_b32 exec_lo, exec_lo, s2
                                        ; implicit-def: $vgpr34
                                        ; implicit-def: $vgpr33
	s_and_saveexec_b32 s2, s26
	s_delay_alu instid0(SALU_CYCLE_1)
	s_xor_b32 s26, exec_lo, s2
	s_cbranch_execz .LBB144_26
; %bb.25:                               ;   in Loop: Header=BB144_4 Depth=1
	v_and_or_b32 v12, v29, s21, 0x800000
	v_dual_lshrrev_b32 v33, 23, v29 :: v_dual_mov_b32 v45, v13
	v_mov_b32_e32 v47, v13
	s_delay_alu instid0(VALU_DEP_3) | instskip(SKIP_1) | instid1(VALU_DEP_4)
	v_mul_u64_e32 v[34:35], s[12:13], v[12:13]
	v_mov_b32_e32 v37, v13
	v_add_nc_u32_e32 v33, 0xffffff88, v33
	s_delay_alu instid0(VALU_DEP_1) | instskip(NEXT) | instid1(VALU_DEP_4)
	v_cmp_lt_u32_e32 vcc_lo, 63, v33
	v_mov_b32_e32 v36, v35
	v_cndmask_b32_e64 v35, 0, 0xffffffc0, vcc_lo
	s_delay_alu instid0(VALU_DEP_2) | instskip(NEXT) | instid1(VALU_DEP_2)
	v_mad_nc_u64_u32 v[36:37], 0x3c439041, v12, v[36:37]
	v_dual_mov_b32 v39, v13 :: v_dual_add_nc_u32 v33, v35, v33
	s_delay_alu instid0(VALU_DEP_1) | instskip(NEXT) | instid1(VALU_DEP_3)
	v_cmp_lt_u32_e64 s2, 31, v33
	v_mov_b32_e32 v38, v37
	s_delay_alu instid0(VALU_DEP_2) | instskip(NEXT) | instid1(VALU_DEP_2)
	v_cndmask_b32_e64 v35, 0, 0xffffffe0, s2
	v_mad_nc_u64_u32 v[38:39], 0xdb629599, v12, v[38:39]
	s_delay_alu instid0(VALU_DEP_1) | instskip(NEXT) | instid1(VALU_DEP_2)
	v_dual_mov_b32 v41, v13 :: v_dual_mov_b32 v40, v39
	v_cndmask_b32_e32 v34, v38, v34, vcc_lo
	s_delay_alu instid0(VALU_DEP_2) | instskip(NEXT) | instid1(VALU_DEP_1)
	v_mad_nc_u64_u32 v[40:41], 0xf534ddc0, v12, v[40:41]
	v_dual_mov_b32 v43, v13 :: v_dual_mov_b32 v42, v41
	s_delay_alu instid0(VALU_DEP_1) | instskip(NEXT) | instid1(VALU_DEP_1)
	v_mad_nc_u64_u32 v[42:43], 0xfc2757d1, v12, v[42:43]
	v_dual_mov_b32 v44, v43 :: v_dual_cndmask_b32 v41, v42, v38
	s_delay_alu instid0(VALU_DEP_1) | instskip(NEXT) | instid1(VALU_DEP_1)
	v_mad_nc_u64_u32 v[44:45], 0x4e441529, v12, v[44:45]
	v_mov_b32_e32 v46, v45
	s_delay_alu instid0(VALU_DEP_1) | instskip(NEXT) | instid1(VALU_DEP_3)
	v_mad_nc_u64_u32 v[46:47], 0xa2f9836e, v12, v[46:47]
	v_dual_cndmask_b32 v35, v44, v40 :: v_dual_add_nc_u32 v12, v35, v33
	s_delay_alu instid0(VALU_DEP_1) | instskip(NEXT) | instid1(VALU_DEP_1)
	v_cmp_lt_u32_e64 s3, 31, v12
	v_cndmask_b32_e64 v33, 0, 0xffffffe0, s3
	s_delay_alu instid0(VALU_DEP_4) | instskip(NEXT) | instid1(VALU_DEP_2)
	v_dual_cndmask_b32 v37, v46, v42, vcc_lo :: v_dual_cndmask_b32 v39, v47, v44, vcc_lo
	v_add_nc_u32_e32 v12, v33, v12
	s_delay_alu instid0(VALU_DEP_2) | instskip(NEXT) | instid1(VALU_DEP_3)
	v_dual_cndmask_b32 v33, v40, v36, vcc_lo :: v_dual_cndmask_b32 v36, v37, v35, s2
	v_cndmask_b32_e64 v37, v39, v37, s2
	s_delay_alu instid0(VALU_DEP_3) | instskip(NEXT) | instid1(VALU_DEP_3)
	v_dual_cndmask_b32 v35, v35, v41, s2 :: v_dual_sub_nc_u32 v39, 32, v12
	v_cndmask_b32_e64 v40, v41, v33, s2
	v_cmp_eq_u32_e32 vcc_lo, 0, v12
	s_delay_alu instid0(VALU_DEP_3) | instskip(NEXT) | instid1(VALU_DEP_1)
	v_dual_cndmask_b32 v37, v37, v36, s3 :: v_dual_cndmask_b32 v36, v36, v35, s3
	v_alignbit_b32 v41, v37, v36, v39
	s_delay_alu instid0(VALU_DEP_1) | instskip(NEXT) | instid1(VALU_DEP_1)
	v_dual_cndmask_b32 v35, v35, v40, s3 :: v_dual_cndmask_b32 v12, v41, v37, vcc_lo
	v_alignbit_b32 v38, v36, v35, v39
	s_delay_alu instid0(VALU_DEP_1) | instskip(NEXT) | instid1(VALU_DEP_3)
	v_dual_cndmask_b32 v33, v33, v34, s2 :: v_dual_cndmask_b32 v34, v38, v36, vcc_lo
	v_bfe_u32 v36, v12, 29, 1
	s_delay_alu instid0(VALU_DEP_2) | instskip(NEXT) | instid1(VALU_DEP_3)
	v_cndmask_b32_e64 v33, v40, v33, s3
	v_alignbit_b32 v37, v12, v34, 30
	s_delay_alu instid0(VALU_DEP_3) | instskip(NEXT) | instid1(VALU_DEP_3)
	v_sub_nc_u32_e32 v38, 0, v36
	v_alignbit_b32 v39, v35, v33, v39
	s_delay_alu instid0(VALU_DEP_1) | instskip(NEXT) | instid1(VALU_DEP_1)
	v_dual_cndmask_b32 v35, v39, v35, vcc_lo :: v_dual_bitop2_b32 v37, v37, v38 bitop3:0x14
	v_clz_i32_u32_e32 v39, v37
	s_delay_alu instid0(VALU_DEP_2) | instskip(SKIP_1) | instid1(VALU_DEP_3)
	v_alignbit_b32 v34, v34, v35, 30
	v_alignbit_b32 v33, v35, v33, 30
	v_min_u32_e32 v39, 32, v39
	s_delay_alu instid0(VALU_DEP_3) | instskip(NEXT) | instid1(VALU_DEP_3)
	v_xor_b32_e32 v34, v34, v38
	v_dual_lshrrev_b32 v38, 29, v12 :: v_dual_bitop2_b32 v33, v33, v38 bitop3:0x14
	s_delay_alu instid0(VALU_DEP_3) | instskip(SKIP_1) | instid1(VALU_DEP_2)
	v_dual_lshrrev_b32 v12, 30, v12 :: v_dual_sub_nc_u32 v35, 31, v39
	v_lshlrev_b32_e32 v40, 23, v39
	v_alignbit_b32 v37, v37, v34, v35
	s_delay_alu instid0(VALU_DEP_4) | instskip(SKIP_1) | instid1(VALU_DEP_2)
	v_alignbit_b32 v33, v34, v33, v35
	v_lshlrev_b32_e32 v34, 31, v38
	v_alignbit_b32 v35, v37, v33, 9
	s_delay_alu instid0(VALU_DEP_2) | instskip(SKIP_1) | instid1(VALU_DEP_3)
	v_dual_lshrrev_b32 v37, 9, v37 :: v_dual_bitop2_b32 v38, 0.5, v34 bitop3:0x54
	v_or_b32_e32 v34, 0x33000000, v34
	v_clz_i32_u32_e32 v41, v35
	s_delay_alu instid0(VALU_DEP_3) | instskip(NEXT) | instid1(VALU_DEP_2)
	v_sub_nc_u32_e32 v38, v38, v40
	v_min_u32_e32 v40, 32, v41
	s_delay_alu instid0(VALU_DEP_1) | instskip(NEXT) | instid1(VALU_DEP_3)
	v_add_lshl_u32 v39, v40, v39, 23
	v_or_b32_e32 v37, v37, v38
	v_not_b32_e32 v38, v40
	s_delay_alu instid0(VALU_DEP_2) | instskip(NEXT) | instid1(VALU_DEP_2)
	v_dual_mul_f32 v41, 0x3fc90fda, v37 :: v_dual_sub_nc_u32 v34, v34, v39
	v_alignbit_b32 v33, v35, v33, v38
	s_delay_alu instid0(VALU_DEP_2) | instskip(NEXT) | instid1(VALU_DEP_2)
	v_fma_f32 v35, 0x3fc90fda, v37, -v41
	v_lshrrev_b32_e32 v33, 9, v33
	s_delay_alu instid0(VALU_DEP_2) | instskip(NEXT) | instid1(VALU_DEP_2)
	v_fmac_f32_e32 v35, 0x33a22168, v37
	v_dual_add_nc_u32 v34, v36, v12 :: v_dual_bitop2_b32 v33, v34, v33 bitop3:0x54
	s_delay_alu instid0(VALU_DEP_1) | instskip(NEXT) | instid1(VALU_DEP_1)
	v_fmac_f32_e32 v35, 0x3fc90fda, v33
	v_add_f32_e32 v33, v41, v35
	s_and_not1_saveexec_b32 s2, s26
	s_cbranch_execnz .LBB144_27
	s_branch .LBB144_28
.LBB144_26:                             ;   in Loop: Header=BB144_4 Depth=1
	s_and_not1_saveexec_b32 s2, s26
.LBB144_27:                             ;   in Loop: Header=BB144_4 Depth=1
	v_mul_f32_e64 v12, 0x3f22f983, |v9|
	s_delay_alu instid0(VALU_DEP_1) | instskip(NEXT) | instid1(VALU_DEP_1)
	v_rndne_f32_e32 v12, v12
	v_fma_f32 v33, 0xbfc90fda, v12, |v9|
	v_cvt_i32_f32_e32 v34, v12
	s_delay_alu instid0(VALU_DEP_2) | instskip(NEXT) | instid1(VALU_DEP_1)
	v_fmac_f32_e32 v33, 0xb3a22168, v12
	v_fmac_f32_e32 v33, 0xa7c234c4, v12
.LBB144_28:                             ;   in Loop: Header=BB144_4 Depth=1
	s_or_b32 exec_lo, exec_lo, s2
	s_wait_loadcnt 0x0
	v_mul_f32_e32 v35, 0.5, v3
                                        ; implicit-def: $vgpr41
                                        ; implicit-def: $vgpr39
	s_mov_b32 s3, exec_lo
	s_delay_alu instid0(VALU_DEP_1)
	v_and_b32_e32 v36, 0x7fffffff, v35
	v_cmpx_ngt_f32_e64 0x48000000, |v35|
	s_xor_b32 s26, exec_lo, s3
	s_cbranch_execz .LBB144_30
; %bb.29:                               ;   in Loop: Header=BB144_4 Depth=1
	s_delay_alu instid0(VALU_DEP_2) | instskip(SKIP_2) | instid1(VALU_DEP_3)
	v_and_or_b32 v12, v36, s21, 0x800000
	v_dual_lshrrev_b32 v37, 23, v36 :: v_dual_mov_b32 v49, v13
	v_mov_b32_e32 v51, v13
	v_mul_u64_e32 v[38:39], s[12:13], v[12:13]
	v_mov_b32_e32 v41, v13
	s_delay_alu instid0(VALU_DEP_4) | instskip(NEXT) | instid1(VALU_DEP_1)
	v_add_nc_u32_e32 v37, 0xffffff88, v37
	v_cmp_lt_u32_e32 vcc_lo, 63, v37
	s_delay_alu instid0(VALU_DEP_4) | instskip(SKIP_1) | instid1(VALU_DEP_2)
	v_mov_b32_e32 v40, v39
	v_cndmask_b32_e64 v39, 0, 0xffffffc0, vcc_lo
	v_mad_nc_u64_u32 v[40:41], 0x3c439041, v12, v[40:41]
	s_delay_alu instid0(VALU_DEP_2) | instskip(NEXT) | instid1(VALU_DEP_1)
	v_dual_mov_b32 v43, v13 :: v_dual_add_nc_u32 v37, v39, v37
	v_cmp_lt_u32_e64 s2, 31, v37
	s_delay_alu instid0(VALU_DEP_3) | instskip(NEXT) | instid1(VALU_DEP_2)
	v_mov_b32_e32 v42, v41
	v_cndmask_b32_e64 v39, 0, 0xffffffe0, s2
	s_delay_alu instid0(VALU_DEP_2) | instskip(NEXT) | instid1(VALU_DEP_1)
	v_mad_nc_u64_u32 v[42:43], 0xdb629599, v12, v[42:43]
	v_dual_mov_b32 v45, v13 :: v_dual_mov_b32 v44, v43
	s_delay_alu instid0(VALU_DEP_2) | instskip(NEXT) | instid1(VALU_DEP_2)
	v_cndmask_b32_e32 v38, v42, v38, vcc_lo
	v_mad_nc_u64_u32 v[44:45], 0xf534ddc0, v12, v[44:45]
	s_delay_alu instid0(VALU_DEP_1) | instskip(NEXT) | instid1(VALU_DEP_1)
	v_dual_mov_b32 v47, v13 :: v_dual_mov_b32 v46, v45
	v_mad_nc_u64_u32 v[46:47], 0xfc2757d1, v12, v[46:47]
	s_delay_alu instid0(VALU_DEP_1) | instskip(NEXT) | instid1(VALU_DEP_1)
	v_dual_mov_b32 v48, v47 :: v_dual_cndmask_b32 v45, v46, v42
	v_mad_nc_u64_u32 v[48:49], 0x4e441529, v12, v[48:49]
	s_delay_alu instid0(VALU_DEP_1) | instskip(NEXT) | instid1(VALU_DEP_1)
	v_mov_b32_e32 v50, v49
	v_mad_nc_u64_u32 v[50:51], 0xa2f9836e, v12, v[50:51]
	s_delay_alu instid0(VALU_DEP_3) | instskip(NEXT) | instid1(VALU_DEP_1)
	v_dual_cndmask_b32 v39, v48, v44 :: v_dual_add_nc_u32 v12, v39, v37
	v_cmp_lt_u32_e64 s3, 31, v12
	s_delay_alu instid0(VALU_DEP_1) | instskip(NEXT) | instid1(VALU_DEP_4)
	v_cndmask_b32_e64 v37, 0, 0xffffffe0, s3
	v_dual_cndmask_b32 v41, v50, v46, vcc_lo :: v_dual_cndmask_b32 v43, v51, v48, vcc_lo
	s_delay_alu instid0(VALU_DEP_2) | instskip(NEXT) | instid1(VALU_DEP_2)
	v_add_nc_u32_e32 v12, v37, v12
	v_dual_cndmask_b32 v37, v44, v40, vcc_lo :: v_dual_cndmask_b32 v40, v41, v39, s2
	s_delay_alu instid0(VALU_DEP_3) | instskip(NEXT) | instid1(VALU_DEP_3)
	v_cndmask_b32_e64 v41, v43, v41, s2
	v_dual_cndmask_b32 v39, v39, v45, s2 :: v_dual_sub_nc_u32 v43, 32, v12
	s_delay_alu instid0(VALU_DEP_3) | instskip(SKIP_1) | instid1(VALU_DEP_3)
	v_cndmask_b32_e64 v44, v45, v37, s2
	v_cmp_eq_u32_e32 vcc_lo, 0, v12
	v_dual_cndmask_b32 v41, v41, v40, s3 :: v_dual_cndmask_b32 v40, v40, v39, s3
	s_delay_alu instid0(VALU_DEP_1) | instskip(NEXT) | instid1(VALU_DEP_1)
	v_alignbit_b32 v45, v41, v40, v43
	v_dual_cndmask_b32 v39, v39, v44, s3 :: v_dual_cndmask_b32 v12, v45, v41, vcc_lo
	s_delay_alu instid0(VALU_DEP_1) | instskip(NEXT) | instid1(VALU_DEP_1)
	v_alignbit_b32 v42, v40, v39, v43
	v_dual_cndmask_b32 v37, v37, v38, s2 :: v_dual_cndmask_b32 v38, v42, v40, vcc_lo
	s_delay_alu instid0(VALU_DEP_3) | instskip(NEXT) | instid1(VALU_DEP_2)
	v_bfe_u32 v40, v12, 29, 1
	v_cndmask_b32_e64 v37, v44, v37, s3
	s_delay_alu instid0(VALU_DEP_3) | instskip(NEXT) | instid1(VALU_DEP_3)
	v_alignbit_b32 v41, v12, v38, 30
	v_sub_nc_u32_e32 v42, 0, v40
	s_delay_alu instid0(VALU_DEP_3) | instskip(NEXT) | instid1(VALU_DEP_1)
	v_alignbit_b32 v43, v39, v37, v43
	v_dual_cndmask_b32 v39, v43, v39, vcc_lo :: v_dual_bitop2_b32 v41, v41, v42 bitop3:0x14
	s_delay_alu instid0(VALU_DEP_1) | instskip(NEXT) | instid1(VALU_DEP_2)
	v_clz_i32_u32_e32 v43, v41
	v_alignbit_b32 v38, v38, v39, 30
	v_alignbit_b32 v37, v39, v37, 30
	s_delay_alu instid0(VALU_DEP_3) | instskip(NEXT) | instid1(VALU_DEP_3)
	v_min_u32_e32 v43, 32, v43
	v_xor_b32_e32 v38, v38, v42
	s_delay_alu instid0(VALU_DEP_3) | instskip(NEXT) | instid1(VALU_DEP_3)
	v_dual_lshrrev_b32 v42, 29, v12 :: v_dual_bitop2_b32 v37, v37, v42 bitop3:0x14
	v_dual_lshrrev_b32 v12, 30, v12 :: v_dual_sub_nc_u32 v39, 31, v43
	v_lshlrev_b32_e32 v44, 23, v43
	s_delay_alu instid0(VALU_DEP_2) | instskip(NEXT) | instid1(VALU_DEP_4)
	v_alignbit_b32 v41, v41, v38, v39
	v_alignbit_b32 v37, v38, v37, v39
	v_lshlrev_b32_e32 v38, 31, v42
	s_delay_alu instid0(VALU_DEP_2) | instskip(NEXT) | instid1(VALU_DEP_2)
	v_alignbit_b32 v39, v41, v37, 9
	v_dual_lshrrev_b32 v41, 9, v41 :: v_dual_bitop2_b32 v42, 0.5, v38 bitop3:0x54
	v_or_b32_e32 v38, 0x33000000, v38
	s_delay_alu instid0(VALU_DEP_3) | instskip(NEXT) | instid1(VALU_DEP_3)
	v_clz_i32_u32_e32 v45, v39
	v_sub_nc_u32_e32 v42, v42, v44
	s_delay_alu instid0(VALU_DEP_2) | instskip(NEXT) | instid1(VALU_DEP_1)
	v_min_u32_e32 v44, 32, v45
	v_add_lshl_u32 v43, v44, v43, 23
	s_delay_alu instid0(VALU_DEP_3) | instskip(SKIP_1) | instid1(VALU_DEP_2)
	v_or_b32_e32 v41, v41, v42
	v_not_b32_e32 v42, v44
	v_dual_mul_f32 v45, 0x3fc90fda, v41 :: v_dual_sub_nc_u32 v38, v38, v43
	s_delay_alu instid0(VALU_DEP_2) | instskip(NEXT) | instid1(VALU_DEP_2)
	v_alignbit_b32 v37, v39, v37, v42
	v_fma_f32 v39, 0x3fc90fda, v41, -v45
	s_delay_alu instid0(VALU_DEP_2) | instskip(NEXT) | instid1(VALU_DEP_2)
	v_lshrrev_b32_e32 v37, 9, v37
	v_fmac_f32_e32 v39, 0x33a22168, v41
	s_delay_alu instid0(VALU_DEP_2) | instskip(NEXT) | instid1(VALU_DEP_1)
	v_dual_add_nc_u32 v41, v40, v12 :: v_dual_bitop2_b32 v37, v38, v37 bitop3:0x54
	v_fmac_f32_e32 v39, 0x3fc90fda, v37
	s_delay_alu instid0(VALU_DEP_1)
	v_add_f32_e32 v39, v45, v39
.LBB144_30:                             ;   in Loop: Header=BB144_4 Depth=1
	s_and_not1_saveexec_b32 s2, s26
; %bb.31:                               ;   in Loop: Header=BB144_4 Depth=1
	v_mul_f32_e64 v12, 0x3f22f983, |v35|
	s_delay_alu instid0(VALU_DEP_1) | instskip(NEXT) | instid1(VALU_DEP_1)
	v_rndne_f32_e32 v12, v12
	v_fma_f32 v39, 0xbfc90fda, v12, |v35|
	v_cvt_i32_f32_e32 v41, v12
	s_delay_alu instid0(VALU_DEP_2) | instskip(NEXT) | instid1(VALU_DEP_1)
	v_fmac_f32_e32 v39, 0xb3a22168, v12
	v_fmac_f32_e32 v39, 0xa7c234c4, v12
; %bb.32:                               ;   in Loop: Header=BB144_4 Depth=1
	s_or_b32 exec_lo, exec_lo, s2
	v_and_b32_e32 v40, 0x7fffffff, v3
	v_cmp_ngt_f32_e64 s26, 0x48000000, |v3|
                                        ; implicit-def: $vgpr47
                                        ; implicit-def: $vgpr45
	s_and_saveexec_b32 s2, s26
	s_delay_alu instid0(SALU_CYCLE_1)
	s_xor_b32 s27, exec_lo, s2
	s_cbranch_execz .LBB144_34
; %bb.33:                               ;   in Loop: Header=BB144_4 Depth=1
	v_and_or_b32 v12, v40, s21, 0x800000
	v_dual_lshrrev_b32 v37, 23, v40 :: v_dual_mov_b32 v53, v13
	v_mov_b32_e32 v55, v13
	s_delay_alu instid0(VALU_DEP_3) | instskip(SKIP_1) | instid1(VALU_DEP_4)
	v_mul_u64_e32 v[42:43], s[12:13], v[12:13]
	v_mov_b32_e32 v45, v13
	v_add_nc_u32_e32 v37, 0xffffff88, v37
	s_delay_alu instid0(VALU_DEP_1) | instskip(SKIP_1) | instid1(VALU_DEP_1)
	v_cmp_lt_u32_e32 vcc_lo, 63, v37
	v_cndmask_b32_e64 v38, 0, 0xffffffc0, vcc_lo
	v_add_nc_u32_e32 v37, v38, v37
	s_delay_alu instid0(VALU_DEP_1) | instskip(NEXT) | instid1(VALU_DEP_1)
	v_cmp_lt_u32_e64 s2, 31, v37
	v_cndmask_b32_e64 v38, 0, 0xffffffe0, s2
	v_mov_b32_e32 v44, v43
	s_delay_alu instid0(VALU_DEP_1) | instskip(NEXT) | instid1(VALU_DEP_1)
	v_mad_nc_u64_u32 v[44:45], 0x3c439041, v12, v[44:45]
	v_dual_mov_b32 v47, v13 :: v_dual_mov_b32 v46, v45
	s_delay_alu instid0(VALU_DEP_1) | instskip(NEXT) | instid1(VALU_DEP_1)
	v_mad_nc_u64_u32 v[46:47], 0xdb629599, v12, v[46:47]
	v_dual_mov_b32 v49, v13 :: v_dual_mov_b32 v48, v47
	;; [unrolled: 3-line block ×3, first 2 shown]
	s_delay_alu instid0(VALU_DEP_1) | instskip(NEXT) | instid1(VALU_DEP_1)
	v_mad_nc_u64_u32 v[50:51], 0xfc2757d1, v12, v[50:51]
	v_dual_mov_b32 v52, v51 :: v_dual_cndmask_b32 v47, v50, v46
	s_delay_alu instid0(VALU_DEP_1) | instskip(NEXT) | instid1(VALU_DEP_1)
	v_mad_nc_u64_u32 v[52:53], 0x4e441529, v12, v[52:53]
	v_mov_b32_e32 v54, v53
	s_delay_alu instid0(VALU_DEP_1) | instskip(NEXT) | instid1(VALU_DEP_3)
	v_mad_nc_u64_u32 v[54:55], 0xa2f9836e, v12, v[54:55]
	v_dual_add_nc_u32 v12, v38, v37 :: v_dual_cndmask_b32 v38, v52, v48, vcc_lo
	s_delay_alu instid0(VALU_DEP_1) | instskip(NEXT) | instid1(VALU_DEP_1)
	v_cmp_lt_u32_e64 s3, 31, v12
	v_cndmask_b32_e64 v37, 0, 0xffffffe0, s3
	s_delay_alu instid0(VALU_DEP_4) | instskip(NEXT) | instid1(VALU_DEP_2)
	v_dual_cndmask_b32 v43, v54, v50, vcc_lo :: v_dual_cndmask_b32 v45, v55, v52, vcc_lo
	v_add_nc_u32_e32 v12, v37, v12
	s_delay_alu instid0(VALU_DEP_2) | instskip(NEXT) | instid1(VALU_DEP_3)
	v_dual_cndmask_b32 v37, v48, v44, vcc_lo :: v_dual_cndmask_b32 v44, v43, v38, s2
	v_cndmask_b32_e64 v43, v45, v43, s2
	s_delay_alu instid0(VALU_DEP_3) | instskip(NEXT) | instid1(VALU_DEP_3)
	v_dual_cndmask_b32 v38, v38, v47, s2 :: v_dual_sub_nc_u32 v45, 32, v12
	v_cndmask_b32_e64 v47, v47, v37, s2
	s_delay_alu instid0(VALU_DEP_2) | instskip(NEXT) | instid1(VALU_DEP_2)
	v_dual_cndmask_b32 v43, v43, v44, s3 :: v_dual_cndmask_b32 v44, v44, v38, s3
	v_cndmask_b32_e64 v38, v38, v47, s3
	s_delay_alu instid0(VALU_DEP_2) | instskip(SKIP_2) | instid1(VALU_DEP_4)
	v_alignbit_b32 v48, v43, v44, v45
	v_cndmask_b32_e32 v42, v46, v42, vcc_lo
	v_cmp_eq_u32_e32 vcc_lo, 0, v12
	v_alignbit_b32 v46, v44, v38, v45
	s_delay_alu instid0(VALU_DEP_3) | instskip(NEXT) | instid1(VALU_DEP_2)
	v_dual_cndmask_b32 v12, v48, v43, vcc_lo :: v_dual_cndmask_b32 v37, v37, v42, s2
	v_cndmask_b32_e32 v42, v46, v44, vcc_lo
	s_delay_alu instid0(VALU_DEP_2) | instskip(NEXT) | instid1(VALU_DEP_3)
	v_bfe_u32 v43, v12, 29, 1
	v_cndmask_b32_e64 v37, v47, v37, s3
	s_delay_alu instid0(VALU_DEP_3) | instskip(NEXT) | instid1(VALU_DEP_3)
	v_alignbit_b32 v44, v12, v42, 30
	v_sub_nc_u32_e32 v46, 0, v43
	s_delay_alu instid0(VALU_DEP_3) | instskip(NEXT) | instid1(VALU_DEP_2)
	v_alignbit_b32 v45, v38, v37, v45
	v_xor_b32_e32 v44, v44, v46
	s_delay_alu instid0(VALU_DEP_2) | instskip(NEXT) | instid1(VALU_DEP_2)
	v_cndmask_b32_e32 v38, v45, v38, vcc_lo
	v_clz_i32_u32_e32 v45, v44
	s_delay_alu instid0(VALU_DEP_2) | instskip(SKIP_1) | instid1(VALU_DEP_3)
	v_alignbit_b32 v42, v42, v38, 30
	v_alignbit_b32 v37, v38, v37, 30
	v_min_u32_e32 v45, 32, v45
	s_delay_alu instid0(VALU_DEP_3) | instskip(NEXT) | instid1(VALU_DEP_3)
	v_xor_b32_e32 v38, v42, v46
	v_dual_lshrrev_b32 v46, 29, v12 :: v_dual_bitop2_b32 v37, v37, v46 bitop3:0x14
	s_delay_alu instid0(VALU_DEP_3) | instskip(SKIP_1) | instid1(VALU_DEP_2)
	v_dual_lshrrev_b32 v12, 30, v12 :: v_dual_sub_nc_u32 v42, 31, v45
	v_lshlrev_b32_e32 v47, 23, v45
	v_alignbit_b32 v44, v44, v38, v42
	s_delay_alu instid0(VALU_DEP_4) | instskip(SKIP_1) | instid1(VALU_DEP_2)
	v_alignbit_b32 v37, v38, v37, v42
	v_lshlrev_b32_e32 v38, 31, v46
	v_alignbit_b32 v42, v44, v37, 9
	s_delay_alu instid0(VALU_DEP_2) | instskip(SKIP_1) | instid1(VALU_DEP_3)
	v_dual_lshrrev_b32 v44, 9, v44 :: v_dual_bitop2_b32 v46, 0.5, v38 bitop3:0x54
	v_or_b32_e32 v38, 0x33000000, v38
	v_clz_i32_u32_e32 v48, v42
	s_delay_alu instid0(VALU_DEP_3) | instskip(NEXT) | instid1(VALU_DEP_2)
	v_sub_nc_u32_e32 v46, v46, v47
	v_min_u32_e32 v47, 32, v48
	s_delay_alu instid0(VALU_DEP_1) | instskip(NEXT) | instid1(VALU_DEP_3)
	v_add_lshl_u32 v45, v47, v45, 23
	v_or_b32_e32 v44, v44, v46
	v_not_b32_e32 v46, v47
	s_delay_alu instid0(VALU_DEP_3) | instskip(NEXT) | instid1(VALU_DEP_3)
	v_dual_add_nc_u32 v47, v43, v12 :: v_dual_sub_nc_u32 v38, v38, v45
	v_mul_f32_e32 v48, 0x3fc90fda, v44
	s_delay_alu instid0(VALU_DEP_3) | instskip(NEXT) | instid1(VALU_DEP_2)
	v_alignbit_b32 v37, v42, v37, v46
	v_fma_f32 v42, 0x3fc90fda, v44, -v48
	s_delay_alu instid0(VALU_DEP_1) | instskip(NEXT) | instid1(VALU_DEP_1)
	v_dual_fmac_f32 v42, 0x33a22168, v44 :: v_dual_lshrrev_b32 v37, 9, v37
	v_or_b32_e32 v37, v38, v37
	s_delay_alu instid0(VALU_DEP_1) | instskip(NEXT) | instid1(VALU_DEP_1)
	v_fmac_f32_e32 v42, 0x3fc90fda, v37
	v_add_f32_e32 v45, v48, v42
	s_and_not1_saveexec_b32 s2, s27
	s_branch .LBB144_35
.LBB144_34:                             ;   in Loop: Header=BB144_4 Depth=1
	s_and_not1_saveexec_b32 s2, s27
.LBB144_35:                             ;   in Loop: Header=BB144_4 Depth=1
	v_mul_f32_e64 v12, 0x3f22f983, |v3|
	s_delay_alu instid0(VALU_DEP_1) | instskip(NEXT) | instid1(VALU_DEP_1)
	v_rndne_f32_e32 v12, v12
	v_fma_f32 v45, 0xbfc90fda, v12, |v3|
	v_cvt_i32_f32_e32 v47, v12
	s_delay_alu instid0(VALU_DEP_2) | instskip(NEXT) | instid1(VALU_DEP_1)
	v_fmac_f32_e32 v45, 0xb3a22168, v12
	v_fmac_f32_e32 v45, 0xa7c234c4, v12
; %bb.36:                               ;   in Loop: Header=BB144_4 Depth=1
	s_or_b32 exec_lo, exec_lo, s2
                                        ; implicit-def: $vgpr49
                                        ; implicit-def: $vgpr48
	s_and_saveexec_b32 s2, s26
	s_delay_alu instid0(SALU_CYCLE_1)
	s_xor_b32 s26, exec_lo, s2
	s_cbranch_execz .LBB144_38
; %bb.37:                               ;   in Loop: Header=BB144_4 Depth=1
	v_and_or_b32 v12, v40, s21, 0x800000
	v_dual_lshrrev_b32 v37, 23, v40 :: v_dual_mov_b32 v57, v13
	v_mov_b32_e32 v59, v13
	s_delay_alu instid0(VALU_DEP_3) | instskip(SKIP_1) | instid1(VALU_DEP_4)
	v_mul_u64_e32 v[42:43], s[12:13], v[12:13]
	v_mov_b32_e32 v49, v13
	v_add_nc_u32_e32 v37, 0xffffff88, v37
	s_delay_alu instid0(VALU_DEP_1) | instskip(SKIP_1) | instid1(VALU_DEP_1)
	v_cmp_lt_u32_e32 vcc_lo, 63, v37
	v_cndmask_b32_e64 v38, 0, 0xffffffc0, vcc_lo
	v_add_nc_u32_e32 v37, v38, v37
	s_delay_alu instid0(VALU_DEP_1) | instskip(NEXT) | instid1(VALU_DEP_1)
	v_cmp_lt_u32_e64 s2, 31, v37
	v_cndmask_b32_e64 v38, 0, 0xffffffe0, s2
	v_mov_b32_e32 v48, v43
	s_delay_alu instid0(VALU_DEP_1) | instskip(NEXT) | instid1(VALU_DEP_1)
	v_mad_nc_u64_u32 v[48:49], 0x3c439041, v12, v[48:49]
	v_dual_mov_b32 v51, v13 :: v_dual_mov_b32 v50, v49
	s_delay_alu instid0(VALU_DEP_1) | instskip(NEXT) | instid1(VALU_DEP_1)
	v_mad_nc_u64_u32 v[50:51], 0xdb629599, v12, v[50:51]
	v_dual_mov_b32 v53, v13 :: v_dual_mov_b32 v52, v51
	s_delay_alu instid0(VALU_DEP_2) | instskip(NEXT) | instid1(VALU_DEP_2)
	v_cndmask_b32_e32 v42, v50, v42, vcc_lo
	v_mad_nc_u64_u32 v[52:53], 0xf534ddc0, v12, v[52:53]
	s_delay_alu instid0(VALU_DEP_1) | instskip(NEXT) | instid1(VALU_DEP_1)
	v_dual_mov_b32 v55, v13 :: v_dual_mov_b32 v54, v53
	v_mad_nc_u64_u32 v[54:55], 0xfc2757d1, v12, v[54:55]
	s_delay_alu instid0(VALU_DEP_1) | instskip(NEXT) | instid1(VALU_DEP_1)
	v_dual_mov_b32 v56, v55 :: v_dual_cndmask_b32 v46, v54, v50, vcc_lo
	v_mad_nc_u64_u32 v[56:57], 0x4e441529, v12, v[56:57]
	s_delay_alu instid0(VALU_DEP_1) | instskip(NEXT) | instid1(VALU_DEP_1)
	v_mov_b32_e32 v58, v57
	v_mad_nc_u64_u32 v[58:59], 0xa2f9836e, v12, v[58:59]
	s_delay_alu instid0(VALU_DEP_3) | instskip(NEXT) | instid1(VALU_DEP_1)
	v_dual_add_nc_u32 v12, v38, v37 :: v_dual_cndmask_b32 v38, v56, v52, vcc_lo
	v_cmp_lt_u32_e64 s3, 31, v12
	s_delay_alu instid0(VALU_DEP_1) | instskip(NEXT) | instid1(VALU_DEP_4)
	v_cndmask_b32_e64 v37, 0, 0xffffffe0, s3
	v_dual_cndmask_b32 v43, v58, v54 :: v_dual_cndmask_b32 v44, v59, v56
	s_delay_alu instid0(VALU_DEP_2) | instskip(NEXT) | instid1(VALU_DEP_2)
	v_add_nc_u32_e32 v12, v37, v12
	v_dual_cndmask_b32 v37, v52, v48, vcc_lo :: v_dual_cndmask_b32 v48, v43, v38, s2
	s_delay_alu instid0(VALU_DEP_3) | instskip(NEXT) | instid1(VALU_DEP_2)
	v_dual_cndmask_b32 v43, v44, v43, s2 :: v_dual_cndmask_b32 v38, v38, v46, s2
	v_dual_sub_nc_u32 v44, 32, v12 :: v_dual_cndmask_b32 v46, v46, v37, s2
	v_cmp_eq_u32_e32 vcc_lo, 0, v12
	s_delay_alu instid0(VALU_DEP_3) | instskip(NEXT) | instid1(VALU_DEP_1)
	v_dual_cndmask_b32 v43, v43, v48, s3 :: v_dual_cndmask_b32 v48, v48, v38, s3
	v_alignbit_b32 v49, v43, v48, v44
	s_delay_alu instid0(VALU_DEP_1) | instskip(NEXT) | instid1(VALU_DEP_1)
	v_cndmask_b32_e32 v12, v49, v43, vcc_lo
	v_bfe_u32 v43, v12, 29, 1
	v_cndmask_b32_e64 v38, v38, v46, s3
	s_delay_alu instid0(VALU_DEP_1) | instskip(NEXT) | instid1(VALU_DEP_1)
	v_alignbit_b32 v50, v48, v38, v44
	v_dual_cndmask_b32 v37, v37, v42, s2 :: v_dual_cndmask_b32 v42, v50, v48, vcc_lo
	s_delay_alu instid0(VALU_DEP_1) | instskip(NEXT) | instid1(VALU_DEP_2)
	v_dual_sub_nc_u32 v48, 0, v43 :: v_dual_cndmask_b32 v37, v46, v37, s3
	v_alignbit_b32 v46, v12, v42, 30
	s_delay_alu instid0(VALU_DEP_1) | instskip(NEXT) | instid1(VALU_DEP_3)
	v_xor_b32_e32 v46, v46, v48
	v_alignbit_b32 v44, v38, v37, v44
	s_delay_alu instid0(VALU_DEP_1) | instskip(NEXT) | instid1(VALU_DEP_3)
	v_cndmask_b32_e32 v38, v44, v38, vcc_lo
	v_clz_i32_u32_e32 v44, v46
	s_delay_alu instid0(VALU_DEP_2) | instskip(NEXT) | instid1(VALU_DEP_2)
	v_alignbit_b32 v42, v42, v38, 30
	v_min_u32_e32 v44, 32, v44
	v_alignbit_b32 v37, v38, v37, 30
	s_delay_alu instid0(VALU_DEP_2) | instskip(NEXT) | instid1(VALU_DEP_4)
	v_lshlrev_b32_e32 v49, 23, v44
	v_xor_b32_e32 v38, v42, v48
	v_sub_nc_u32_e32 v42, 31, v44
	s_delay_alu instid0(VALU_DEP_4) | instskip(NEXT) | instid1(VALU_DEP_2)
	v_xor_b32_e32 v37, v37, v48
	v_alignbit_b32 v46, v46, v38, v42
	v_lshrrev_b32_e32 v48, 29, v12
	s_delay_alu instid0(VALU_DEP_3) | instskip(SKIP_1) | instid1(VALU_DEP_2)
	v_alignbit_b32 v37, v38, v37, v42
	v_lshrrev_b32_e32 v12, 30, v12
	v_alignbit_b32 v42, v46, v37, 9
	s_delay_alu instid0(VALU_DEP_4) | instskip(NEXT) | instid1(VALU_DEP_2)
	v_dual_lshrrev_b32 v46, 9, v46 :: v_dual_lshlrev_b32 v38, 31, v48
	v_clz_i32_u32_e32 v50, v42
	s_delay_alu instid0(VALU_DEP_2) | instskip(NEXT) | instid1(VALU_DEP_1)
	v_or_b32_e32 v48, 0.5, v38
	v_sub_nc_u32_e32 v48, v48, v49
	s_delay_alu instid0(VALU_DEP_3) | instskip(NEXT) | instid1(VALU_DEP_2)
	v_min_u32_e32 v49, 32, v50
	v_or_b32_e32 v46, v46, v48
	s_delay_alu instid0(VALU_DEP_2) | instskip(SKIP_2) | instid1(VALU_DEP_4)
	v_not_b32_e32 v48, v49
	v_or_b32_e32 v38, 0x33000000, v38
	v_add_lshl_u32 v44, v49, v44, 23
	v_dual_mul_f32 v50, 0x3fc90fda, v46 :: v_dual_add_nc_u32 v49, v43, v12
	s_delay_alu instid0(VALU_DEP_4) | instskip(NEXT) | instid1(VALU_DEP_3)
	v_alignbit_b32 v37, v42, v37, v48
	v_sub_nc_u32_e32 v38, v38, v44
	s_delay_alu instid0(VALU_DEP_3) | instskip(NEXT) | instid1(VALU_DEP_1)
	v_fma_f32 v42, 0x3fc90fda, v46, -v50
	v_dual_fmac_f32 v42, 0x33a22168, v46 :: v_dual_lshrrev_b32 v37, 9, v37
	s_delay_alu instid0(VALU_DEP_1) | instskip(NEXT) | instid1(VALU_DEP_1)
	v_or_b32_e32 v37, v38, v37
	v_fmac_f32_e32 v42, 0x3fc90fda, v37
	s_delay_alu instid0(VALU_DEP_1)
	v_add_f32_e32 v48, v50, v42
	s_and_not1_saveexec_b32 s2, s26
	s_cbranch_execnz .LBB144_39
	s_branch .LBB144_40
.LBB144_38:                             ;   in Loop: Header=BB144_4 Depth=1
	s_and_not1_saveexec_b32 s2, s26
.LBB144_39:                             ;   in Loop: Header=BB144_4 Depth=1
	v_mul_f32_e64 v12, 0x3f22f983, |v3|
	s_delay_alu instid0(VALU_DEP_1) | instskip(NEXT) | instid1(VALU_DEP_1)
	v_rndne_f32_e32 v12, v12
	v_fma_f32 v48, 0xbfc90fda, v12, |v3|
	v_cvt_i32_f32_e32 v49, v12
	s_delay_alu instid0(VALU_DEP_2) | instskip(NEXT) | instid1(VALU_DEP_1)
	v_fmac_f32_e32 v48, 0xb3a22168, v12
	v_fmac_f32_e32 v48, 0xa7c234c4, v12
.LBB144_40:                             ;   in Loop: Header=BB144_4 Depth=1
	s_or_b32 exec_lo, exec_lo, s2
	v_mul_f32_e32 v37, 0.5, v5
                                        ; implicit-def: $vgpr44
                                        ; implicit-def: $vgpr42
	s_mov_b32 s3, exec_lo
	s_delay_alu instid0(VALU_DEP_1)
	v_and_b32_e32 v38, 0x7fffffff, v37
	v_cmpx_ngt_f32_e64 0x48000000, |v37|
	s_xor_b32 s26, exec_lo, s3
	s_cbranch_execz .LBB144_42
; %bb.41:                               ;   in Loop: Header=BB144_4 Depth=1
	s_delay_alu instid0(VALU_DEP_2) | instskip(SKIP_1) | instid1(VALU_DEP_2)
	v_and_or_b32 v12, v38, s21, 0x800000
	v_dual_mov_b32 v59, v13 :: v_dual_mov_b32 v61, v13
	v_mul_u64_e32 v[42:43], s[12:13], v[12:13]
	s_delay_alu instid0(VALU_DEP_1) | instskip(SKIP_1) | instid1(VALU_DEP_2)
	v_dual_mov_b32 v51, v13 :: v_dual_mov_b32 v50, v43
	v_lshrrev_b32_e32 v43, 23, v38
	v_mad_nc_u64_u32 v[50:51], 0x3c439041, v12, v[50:51]
	v_mov_b32_e32 v53, v13
	s_delay_alu instid0(VALU_DEP_3) | instskip(NEXT) | instid1(VALU_DEP_1)
	v_add_nc_u32_e32 v43, 0xffffff88, v43
	v_cmp_lt_u32_e32 vcc_lo, 63, v43
	s_delay_alu instid0(VALU_DEP_4) | instskip(SKIP_1) | instid1(VALU_DEP_2)
	v_mov_b32_e32 v52, v51
	v_cndmask_b32_e64 v44, 0, 0xffffffc0, vcc_lo
	v_mad_nc_u64_u32 v[52:53], 0xdb629599, v12, v[52:53]
	s_delay_alu instid0(VALU_DEP_2) | instskip(NEXT) | instid1(VALU_DEP_1)
	v_dual_mov_b32 v55, v13 :: v_dual_add_nc_u32 v43, v44, v43
	v_cmp_lt_u32_e64 s2, 31, v43
	s_delay_alu instid0(VALU_DEP_3) | instskip(NEXT) | instid1(VALU_DEP_2)
	v_dual_mov_b32 v54, v53 :: v_dual_cndmask_b32 v42, v52, v42, vcc_lo
	v_cndmask_b32_e64 v44, 0, 0xffffffe0, s2
	s_delay_alu instid0(VALU_DEP_2) | instskip(NEXT) | instid1(VALU_DEP_1)
	v_mad_nc_u64_u32 v[54:55], 0xf534ddc0, v12, v[54:55]
	v_dual_mov_b32 v57, v13 :: v_dual_mov_b32 v56, v55
	s_delay_alu instid0(VALU_DEP_1) | instskip(NEXT) | instid1(VALU_DEP_1)
	v_mad_nc_u64_u32 v[56:57], 0xfc2757d1, v12, v[56:57]
	v_dual_mov_b32 v58, v57 :: v_dual_cndmask_b32 v53, v56, v52
	s_delay_alu instid0(VALU_DEP_1) | instskip(NEXT) | instid1(VALU_DEP_1)
	v_mad_nc_u64_u32 v[58:59], 0x4e441529, v12, v[58:59]
	v_mov_b32_e32 v60, v59
	s_delay_alu instid0(VALU_DEP_1) | instskip(NEXT) | instid1(VALU_DEP_3)
	v_mad_nc_u64_u32 v[60:61], 0xa2f9836e, v12, v[60:61]
	v_dual_add_nc_u32 v12, v44, v43 :: v_dual_cndmask_b32 v44, v58, v54, vcc_lo
	s_delay_alu instid0(VALU_DEP_1) | instskip(NEXT) | instid1(VALU_DEP_1)
	v_cmp_lt_u32_e64 s3, 31, v12
	v_cndmask_b32_e64 v43, 0, 0xffffffe0, s3
	s_delay_alu instid0(VALU_DEP_4) | instskip(NEXT) | instid1(VALU_DEP_2)
	v_dual_cndmask_b32 v46, v60, v56 :: v_dual_cndmask_b32 v51, v61, v58
	v_dual_cndmask_b32 v43, v54, v50 :: v_dual_add_nc_u32 v12, v43, v12
	s_delay_alu instid0(VALU_DEP_2) | instskip(NEXT) | instid1(VALU_DEP_2)
	v_dual_cndmask_b32 v50, v46, v44, s2 :: v_dual_cndmask_b32 v46, v51, v46, s2
	v_dual_cndmask_b32 v44, v44, v53, s2 :: v_dual_sub_nc_u32 v51, 32, v12
	s_delay_alu instid0(VALU_DEP_3) | instskip(SKIP_3) | instid1(VALU_DEP_4)
	v_cndmask_b32_e64 v53, v53, v43, s2
	v_cmp_eq_u32_e32 vcc_lo, 0, v12
	v_cndmask_b32_e64 v42, v43, v42, s2
	v_cndmask_b32_e64 v46, v46, v50, s3
	v_dual_cndmask_b32 v50, v50, v44, s3 :: v_dual_cndmask_b32 v44, v44, v53, s3
	s_delay_alu instid0(VALU_DEP_3) | instskip(NEXT) | instid1(VALU_DEP_2)
	v_cndmask_b32_e64 v42, v53, v42, s3
	v_alignbit_b32 v54, v46, v50, v51
	s_delay_alu instid0(VALU_DEP_3) | instskip(NEXT) | instid1(VALU_DEP_3)
	v_alignbit_b32 v52, v50, v44, v51
	v_alignbit_b32 v51, v44, v42, v51
	s_delay_alu instid0(VALU_DEP_3) | instskip(NEXT) | instid1(VALU_DEP_2)
	v_cndmask_b32_e32 v12, v54, v46, vcc_lo
	v_dual_cndmask_b32 v43, v52, v50 :: v_dual_cndmask_b32 v44, v51, v44
	s_delay_alu instid0(VALU_DEP_2) | instskip(NEXT) | instid1(VALU_DEP_2)
	v_bfe_u32 v46, v12, 29, 1
	v_alignbit_b32 v42, v44, v42, 30
	s_delay_alu instid0(VALU_DEP_2) | instskip(NEXT) | instid1(VALU_DEP_4)
	v_sub_nc_u32_e32 v52, 0, v46
	v_alignbit_b32 v50, v12, v43, 30
	v_alignbit_b32 v43, v43, v44, 30
	s_delay_alu instid0(VALU_DEP_3) | instskip(NEXT) | instid1(VALU_DEP_3)
	v_xor_b32_e32 v42, v42, v52
	v_xor_b32_e32 v50, v50, v52
	s_delay_alu instid0(VALU_DEP_3) | instskip(NEXT) | instid1(VALU_DEP_2)
	v_xor_b32_e32 v43, v43, v52
	v_clz_i32_u32_e32 v51, v50
	s_delay_alu instid0(VALU_DEP_1) | instskip(SKIP_1) | instid1(VALU_DEP_2)
	v_min_u32_e32 v51, 32, v51
	v_dual_lshrrev_b32 v52, 29, v12 :: v_dual_lshrrev_b32 v12, 30, v12
	v_dual_sub_nc_u32 v44, 31, v51 :: v_dual_lshlrev_b32 v53, 23, v51
	s_delay_alu instid0(VALU_DEP_1) | instskip(SKIP_1) | instid1(VALU_DEP_4)
	v_alignbit_b32 v50, v50, v43, v44
	v_alignbit_b32 v42, v43, v42, v44
	v_lshlrev_b32_e32 v43, 31, v52
	s_delay_alu instid0(VALU_DEP_2) | instskip(NEXT) | instid1(VALU_DEP_2)
	v_alignbit_b32 v44, v50, v42, 9
	v_dual_lshrrev_b32 v50, 9, v50 :: v_dual_bitop2_b32 v52, 0.5, v43 bitop3:0x54
	v_or_b32_e32 v43, 0x33000000, v43
	s_delay_alu instid0(VALU_DEP_3) | instskip(NEXT) | instid1(VALU_DEP_3)
	v_clz_i32_u32_e32 v54, v44
	v_sub_nc_u32_e32 v52, v52, v53
	s_delay_alu instid0(VALU_DEP_2) | instskip(NEXT) | instid1(VALU_DEP_1)
	v_min_u32_e32 v53, 32, v54
	v_add_lshl_u32 v51, v53, v51, 23
	s_delay_alu instid0(VALU_DEP_1) | instskip(SKIP_1) | instid1(VALU_DEP_1)
	v_dual_sub_nc_u32 v43, v43, v51 :: v_dual_bitop2_b32 v50, v50, v52 bitop3:0x54
	v_not_b32_e32 v52, v53
	v_alignbit_b32 v42, v44, v42, v52
	s_delay_alu instid0(VALU_DEP_1) | instskip(NEXT) | instid1(VALU_DEP_4)
	v_lshrrev_b32_e32 v42, 9, v42
	v_mul_f32_e32 v54, 0x3fc90fda, v50
	s_delay_alu instid0(VALU_DEP_2) | instskip(NEXT) | instid1(VALU_DEP_2)
	v_or_b32_e32 v42, v43, v42
	v_fma_f32 v44, 0x3fc90fda, v50, -v54
	s_delay_alu instid0(VALU_DEP_1) | instskip(NEXT) | instid1(VALU_DEP_1)
	v_fmac_f32_e32 v44, 0x33a22168, v50
	v_fmac_f32_e32 v44, 0x3fc90fda, v42
	s_delay_alu instid0(VALU_DEP_1)
	v_add_f32_e32 v42, v54, v44
	v_add_nc_u32_e32 v44, v46, v12
.LBB144_42:                             ;   in Loop: Header=BB144_4 Depth=1
	s_and_not1_saveexec_b32 s2, s26
; %bb.43:                               ;   in Loop: Header=BB144_4 Depth=1
	v_mul_f32_e64 v12, 0x3f22f983, |v37|
	s_delay_alu instid0(VALU_DEP_1) | instskip(NEXT) | instid1(VALU_DEP_1)
	v_rndne_f32_e32 v12, v12
	v_fma_f32 v42, 0xbfc90fda, v12, |v37|
	v_cvt_i32_f32_e32 v44, v12
	s_delay_alu instid0(VALU_DEP_2) | instskip(NEXT) | instid1(VALU_DEP_1)
	v_fmac_f32_e32 v42, 0xb3a22168, v12
	v_fmac_f32_e32 v42, 0xa7c234c4, v12
; %bb.44:                               ;   in Loop: Header=BB144_4 Depth=1
	s_or_b32 exec_lo, exec_lo, s2
	v_and_b32_e32 v43, 0x7fffffff, v5
	v_cmp_ngt_f32_e64 s26, 0x48000000, |v5|
                                        ; implicit-def: $vgpr50
                                        ; implicit-def: $vgpr46
	s_and_saveexec_b32 s2, s26
	s_delay_alu instid0(SALU_CYCLE_1)
	s_xor_b32 s27, exec_lo, s2
	s_cbranch_execz .LBB144_46
; %bb.45:                               ;   in Loop: Header=BB144_4 Depth=1
	v_and_or_b32 v12, v43, s21, 0x800000
	v_dual_mov_b32 v61, v13 :: v_dual_lshrrev_b32 v46, 23, v43
	v_mov_b32_e32 v63, v13
	s_delay_alu instid0(VALU_DEP_3) | instskip(NEXT) | instid1(VALU_DEP_1)
	v_mul_u64_e32 v[50:51], s[12:13], v[12:13]
	v_dual_mov_b32 v53, v13 :: v_dual_mov_b32 v52, v51
	s_delay_alu instid0(VALU_DEP_1) | instskip(NEXT) | instid1(VALU_DEP_1)
	v_mad_nc_u64_u32 v[52:53], 0x3c439041, v12, v[52:53]
	v_dual_mov_b32 v55, v13 :: v_dual_mov_b32 v54, v53
	s_delay_alu instid0(VALU_DEP_1) | instskip(NEXT) | instid1(VALU_DEP_1)
	v_mad_nc_u64_u32 v[54:55], 0xdb629599, v12, v[54:55]
	;; [unrolled: 3-line block ×4, first 2 shown]
	v_mov_b32_e32 v60, v59
	s_delay_alu instid0(VALU_DEP_1) | instskip(SKIP_1) | instid1(VALU_DEP_1)
	v_mad_nc_u64_u32 v[60:61], 0x4e441529, v12, v[60:61]
	v_add_nc_u32_e32 v46, 0xffffff88, v46
	v_cmp_lt_u32_e32 vcc_lo, 63, v46
	v_cndmask_b32_e64 v51, 0, 0xffffffc0, vcc_lo
	s_delay_alu instid0(VALU_DEP_4) | instskip(NEXT) | instid1(VALU_DEP_2)
	v_dual_mov_b32 v62, v61 :: v_dual_cndmask_b32 v50, v54, v50, vcc_lo
	v_add_nc_u32_e32 v46, v51, v46
	s_delay_alu instid0(VALU_DEP_2) | instskip(NEXT) | instid1(VALU_DEP_2)
	v_mad_nc_u64_u32 v[62:63], 0xa2f9836e, v12, v[62:63]
	v_cmp_lt_u32_e64 s2, 31, v46
	s_delay_alu instid0(VALU_DEP_1) | instskip(NEXT) | instid1(VALU_DEP_3)
	v_cndmask_b32_e64 v51, 0, 0xffffffe0, s2
	v_dual_cndmask_b32 v53, v62, v58, vcc_lo :: v_dual_cndmask_b32 v55, v63, v60, vcc_lo
	s_delay_alu instid0(VALU_DEP_2) | instskip(SKIP_1) | instid1(VALU_DEP_2)
	v_dual_cndmask_b32 v51, v60, v56 :: v_dual_add_nc_u32 v12, v51, v46
	v_cndmask_b32_e32 v57, v58, v54, vcc_lo
	v_cmp_lt_u32_e64 s3, 31, v12
	s_delay_alu instid0(VALU_DEP_1) | instskip(NEXT) | instid1(VALU_DEP_1)
	v_cndmask_b32_e64 v46, 0, 0xffffffe0, s3
	v_add_nc_u32_e32 v12, v46, v12
	v_dual_cndmask_b32 v46, v56, v52, vcc_lo :: v_dual_cndmask_b32 v52, v53, v51, s2
	v_cndmask_b32_e64 v53, v55, v53, s2
	s_delay_alu instid0(VALU_DEP_3) | instskip(NEXT) | instid1(VALU_DEP_3)
	v_dual_cndmask_b32 v51, v51, v57, s2 :: v_dual_sub_nc_u32 v55, 32, v12
	v_cndmask_b32_e64 v56, v57, v46, s2
	v_cmp_eq_u32_e32 vcc_lo, 0, v12
	s_delay_alu instid0(VALU_DEP_3) | instskip(SKIP_1) | instid1(VALU_DEP_2)
	v_dual_cndmask_b32 v53, v53, v52, s3 :: v_dual_cndmask_b32 v52, v52, v51, s3
	v_cndmask_b32_e64 v46, v46, v50, s2
	v_alignbit_b32 v57, v53, v52, v55
	s_delay_alu instid0(VALU_DEP_1) | instskip(NEXT) | instid1(VALU_DEP_1)
	v_dual_cndmask_b32 v51, v51, v56, s3 :: v_dual_cndmask_b32 v12, v57, v53, vcc_lo
	v_alignbit_b32 v54, v52, v51, v55
	s_delay_alu instid0(VALU_DEP_1) | instskip(NEXT) | instid1(VALU_DEP_3)
	v_cndmask_b32_e32 v50, v54, v52, vcc_lo
	v_bfe_u32 v52, v12, 29, 1
	s_delay_alu instid0(VALU_DEP_1) | instskip(NEXT) | instid1(VALU_DEP_3)
	v_dual_sub_nc_u32 v54, 0, v52 :: v_dual_cndmask_b32 v46, v56, v46, s3
	v_alignbit_b32 v53, v12, v50, 30
	s_delay_alu instid0(VALU_DEP_2) | instskip(NEXT) | instid1(VALU_DEP_1)
	v_alignbit_b32 v55, v51, v46, v55
	v_dual_cndmask_b32 v51, v55, v51, vcc_lo :: v_dual_bitop2_b32 v53, v53, v54 bitop3:0x14
	s_delay_alu instid0(VALU_DEP_1) | instskip(NEXT) | instid1(VALU_DEP_2)
	v_clz_i32_u32_e32 v55, v53
	v_alignbit_b32 v50, v50, v51, 30
	s_delay_alu instid0(VALU_DEP_2) | instskip(SKIP_1) | instid1(VALU_DEP_2)
	v_min_u32_e32 v55, 32, v55
	v_alignbit_b32 v46, v51, v46, 30
	v_dual_sub_nc_u32 v51, 31, v55 :: v_dual_bitop2_b32 v50, v50, v54 bitop3:0x14
	s_delay_alu instid0(VALU_DEP_2) | instskip(SKIP_1) | instid1(VALU_DEP_3)
	v_dual_lshrrev_b32 v54, 29, v12 :: v_dual_bitop2_b32 v46, v46, v54 bitop3:0x14
	v_dual_lshlrev_b32 v56, 23, v55 :: v_dual_lshrrev_b32 v12, 30, v12
	v_alignbit_b32 v53, v53, v50, v51
	s_delay_alu instid0(VALU_DEP_3) | instskip(NEXT) | instid1(VALU_DEP_4)
	v_alignbit_b32 v46, v50, v46, v51
	v_lshlrev_b32_e32 v50, 31, v54
	s_delay_alu instid0(VALU_DEP_2) | instskip(NEXT) | instid1(VALU_DEP_2)
	v_alignbit_b32 v51, v53, v46, 9
	v_dual_lshrrev_b32 v53, 9, v53 :: v_dual_bitop2_b32 v54, 0.5, v50 bitop3:0x54
	v_or_b32_e32 v50, 0x33000000, v50
	s_delay_alu instid0(VALU_DEP_3) | instskip(NEXT) | instid1(VALU_DEP_3)
	v_clz_i32_u32_e32 v57, v51
	v_sub_nc_u32_e32 v54, v54, v56
	s_delay_alu instid0(VALU_DEP_2) | instskip(NEXT) | instid1(VALU_DEP_1)
	v_min_u32_e32 v56, 32, v57
	v_add_lshl_u32 v55, v56, v55, 23
	s_delay_alu instid0(VALU_DEP_3) | instskip(SKIP_1) | instid1(VALU_DEP_2)
	v_or_b32_e32 v53, v53, v54
	v_not_b32_e32 v54, v56
	v_dual_mul_f32 v57, 0x3fc90fda, v53 :: v_dual_sub_nc_u32 v50, v50, v55
	s_delay_alu instid0(VALU_DEP_2) | instskip(NEXT) | instid1(VALU_DEP_2)
	v_alignbit_b32 v46, v51, v46, v54
	v_fma_f32 v51, 0x3fc90fda, v53, -v57
	s_delay_alu instid0(VALU_DEP_1) | instskip(NEXT) | instid1(VALU_DEP_1)
	v_dual_fmac_f32 v51, 0x33a22168, v53 :: v_dual_lshrrev_b32 v46, 9, v46
	v_dual_add_nc_u32 v50, v52, v12 :: v_dual_bitop2_b32 v46, v50, v46 bitop3:0x54
	s_delay_alu instid0(VALU_DEP_1) | instskip(NEXT) | instid1(VALU_DEP_1)
	v_fmac_f32_e32 v51, 0x3fc90fda, v46
	v_add_f32_e32 v46, v57, v51
	s_and_not1_saveexec_b32 s2, s27
	s_branch .LBB144_47
.LBB144_46:                             ;   in Loop: Header=BB144_4 Depth=1
	s_and_not1_saveexec_b32 s2, s27
.LBB144_47:                             ;   in Loop: Header=BB144_4 Depth=1
	v_mul_f32_e64 v12, 0x3f22f983, |v5|
	s_delay_alu instid0(VALU_DEP_1) | instskip(NEXT) | instid1(VALU_DEP_1)
	v_rndne_f32_e32 v12, v12
	v_fma_f32 v46, 0xbfc90fda, v12, |v5|
	v_cvt_i32_f32_e32 v50, v12
	s_delay_alu instid0(VALU_DEP_2) | instskip(NEXT) | instid1(VALU_DEP_1)
	v_fmac_f32_e32 v46, 0xb3a22168, v12
	v_fmac_f32_e32 v46, 0xa7c234c4, v12
; %bb.48:                               ;   in Loop: Header=BB144_4 Depth=1
	s_or_b32 exec_lo, exec_lo, s2
                                        ; implicit-def: $vgpr51
                                        ; implicit-def: $vgpr12
	s_and_saveexec_b32 s2, s26
	s_delay_alu instid0(SALU_CYCLE_1)
	s_xor_b32 s26, exec_lo, s2
	s_cbranch_execz .LBB144_50
; %bb.49:                               ;   in Loop: Header=BB144_4 Depth=1
	v_and_or_b32 v12, v43, s21, 0x800000
	v_dual_lshrrev_b32 v51, 23, v43 :: v_dual_mov_b32 v63, v13
	s_delay_alu instid0(VALU_DEP_2) | instskip(SKIP_1) | instid1(VALU_DEP_3)
	v_mul_u64_e32 v[52:53], s[12:13], v[12:13]
	v_mov_b32_e32 v55, v13
	v_add_nc_u32_e32 v51, 0xffffff88, v51
	s_delay_alu instid0(VALU_DEP_1) | instskip(NEXT) | instid1(VALU_DEP_4)
	v_cmp_lt_u32_e32 vcc_lo, 63, v51
	v_mov_b32_e32 v54, v53
	v_cndmask_b32_e64 v53, 0, 0xffffffc0, vcc_lo
	s_delay_alu instid0(VALU_DEP_2) | instskip(NEXT) | instid1(VALU_DEP_1)
	v_mad_nc_u64_u32 v[54:55], 0x3c439041, v12, v[54:55]
	v_dual_mov_b32 v57, v13 :: v_dual_mov_b32 v56, v55
	s_delay_alu instid0(VALU_DEP_1) | instskip(NEXT) | instid1(VALU_DEP_1)
	v_mad_nc_u64_u32 v[56:57], 0xdb629599, v12, v[56:57]
	v_dual_mov_b32 v59, v13 :: v_dual_mov_b32 v58, v57
	s_delay_alu instid0(VALU_DEP_2) | instskip(NEXT) | instid1(VALU_DEP_2)
	v_cndmask_b32_e32 v52, v56, v52, vcc_lo
	v_mad_nc_u64_u32 v[58:59], 0xf534ddc0, v12, v[58:59]
	s_delay_alu instid0(VALU_DEP_1) | instskip(NEXT) | instid1(VALU_DEP_1)
	v_dual_mov_b32 v61, v13 :: v_dual_mov_b32 v60, v59
	v_mad_nc_u64_u32 v[60:61], 0xfc2757d1, v12, v[60:61]
	s_delay_alu instid0(VALU_DEP_1) | instskip(NEXT) | instid1(VALU_DEP_1)
	v_dual_mov_b32 v62, v61 :: v_dual_cndmask_b32 v59, v60, v56
	v_mad_nc_u64_u32 v[62:63], 0x4e441529, v12, v[62:63]
	v_add_nc_u32_e32 v51, v53, v51
	s_delay_alu instid0(VALU_DEP_2) | instskip(NEXT) | instid1(VALU_DEP_2)
	v_dual_mov_b32 v65, v13 :: v_dual_mov_b32 v64, v63
	v_cmp_lt_u32_e64 s2, 31, v51
	s_delay_alu instid0(VALU_DEP_2) | instskip(NEXT) | instid1(VALU_DEP_2)
	v_mad_nc_u64_u32 v[64:65], 0xa2f9836e, v12, v[64:65]
	v_cndmask_b32_e64 v53, 0, 0xffffffe0, s2
	s_delay_alu instid0(VALU_DEP_1) | instskip(NEXT) | instid1(VALU_DEP_3)
	v_dual_cndmask_b32 v53, v62, v58 :: v_dual_add_nc_u32 v12, v53, v51
	v_cndmask_b32_e32 v55, v64, v60, vcc_lo
	s_delay_alu instid0(VALU_DEP_2) | instskip(SKIP_1) | instid1(VALU_DEP_2)
	v_cmp_lt_u32_e64 s3, 31, v12
	v_cndmask_b32_e32 v57, v65, v62, vcc_lo
	v_cndmask_b32_e64 v51, 0, 0xffffffe0, s3
	s_delay_alu instid0(VALU_DEP_1) | instskip(NEXT) | instid1(VALU_DEP_3)
	v_dual_cndmask_b32 v51, v58, v54 :: v_dual_add_nc_u32 v12, v51, v12
	v_dual_cndmask_b32 v54, v55, v53, s2 :: v_dual_cndmask_b32 v55, v57, v55, s2
	s_delay_alu instid0(VALU_DEP_2) | instskip(NEXT) | instid1(VALU_DEP_3)
	v_dual_cndmask_b32 v53, v53, v59, s2 :: v_dual_sub_nc_u32 v57, 32, v12
	v_cndmask_b32_e64 v58, v59, v51, s2
	v_cmp_eq_u32_e32 vcc_lo, 0, v12
	s_delay_alu instid0(VALU_DEP_3) | instskip(NEXT) | instid1(VALU_DEP_1)
	v_dual_cndmask_b32 v55, v55, v54, s3 :: v_dual_cndmask_b32 v54, v54, v53, s3
	v_alignbit_b32 v59, v55, v54, v57
	s_delay_alu instid0(VALU_DEP_1) | instskip(NEXT) | instid1(VALU_DEP_1)
	v_dual_cndmask_b32 v53, v53, v58, s3 :: v_dual_cndmask_b32 v12, v59, v55, vcc_lo
	v_alignbit_b32 v56, v54, v53, v57
	s_delay_alu instid0(VALU_DEP_1) | instskip(NEXT) | instid1(VALU_DEP_3)
	v_dual_cndmask_b32 v51, v51, v52, s2 :: v_dual_cndmask_b32 v52, v56, v54, vcc_lo
	v_bfe_u32 v54, v12, 29, 1
	s_delay_alu instid0(VALU_DEP_2) | instskip(NEXT) | instid1(VALU_DEP_3)
	v_cndmask_b32_e64 v51, v58, v51, s3
	v_alignbit_b32 v55, v12, v52, 30
	s_delay_alu instid0(VALU_DEP_3) | instskip(NEXT) | instid1(VALU_DEP_3)
	v_sub_nc_u32_e32 v56, 0, v54
	v_alignbit_b32 v57, v53, v51, v57
	s_delay_alu instid0(VALU_DEP_1) | instskip(NEXT) | instid1(VALU_DEP_1)
	v_dual_cndmask_b32 v53, v57, v53, vcc_lo :: v_dual_bitop2_b32 v55, v55, v56 bitop3:0x14
	v_clz_i32_u32_e32 v57, v55
	s_delay_alu instid0(VALU_DEP_2) | instskip(SKIP_1) | instid1(VALU_DEP_3)
	v_alignbit_b32 v52, v52, v53, 30
	v_alignbit_b32 v51, v53, v51, 30
	v_min_u32_e32 v57, 32, v57
	s_delay_alu instid0(VALU_DEP_3) | instskip(NEXT) | instid1(VALU_DEP_3)
	v_xor_b32_e32 v52, v52, v56
	v_xor_b32_e32 v51, v51, v56
	s_delay_alu instid0(VALU_DEP_3) | instskip(SKIP_1) | instid1(VALU_DEP_1)
	v_dual_lshrrev_b32 v56, 29, v12 :: v_dual_lshlrev_b32 v58, 23, v57
	v_sub_nc_u32_e32 v53, 31, v57
	v_alignbit_b32 v55, v55, v52, v53
	s_delay_alu instid0(VALU_DEP_4) | instskip(NEXT) | instid1(VALU_DEP_4)
	v_alignbit_b32 v51, v52, v51, v53
	v_lshlrev_b32_e32 v52, 31, v56
	s_delay_alu instid0(VALU_DEP_2) | instskip(NEXT) | instid1(VALU_DEP_2)
	v_alignbit_b32 v53, v55, v51, 9
	v_dual_lshrrev_b32 v55, 9, v55 :: v_dual_bitop2_b32 v56, 0.5, v52 bitop3:0x54
	v_or_b32_e32 v52, 0x33000000, v52
	s_delay_alu instid0(VALU_DEP_3) | instskip(NEXT) | instid1(VALU_DEP_3)
	v_clz_i32_u32_e32 v59, v53
	v_sub_nc_u32_e32 v56, v56, v58
	s_delay_alu instid0(VALU_DEP_2) | instskip(NEXT) | instid1(VALU_DEP_1)
	v_min_u32_e32 v58, 32, v59
	v_add_lshl_u32 v57, v58, v57, 23
	s_delay_alu instid0(VALU_DEP_3) | instskip(SKIP_1) | instid1(VALU_DEP_2)
	v_or_b32_e32 v55, v55, v56
	v_not_b32_e32 v56, v58
	v_dual_mul_f32 v59, 0x3fc90fda, v55 :: v_dual_sub_nc_u32 v52, v52, v57
	s_delay_alu instid0(VALU_DEP_2) | instskip(NEXT) | instid1(VALU_DEP_2)
	v_alignbit_b32 v51, v53, v51, v56
	v_fma_f32 v53, 0x3fc90fda, v55, -v59
	s_delay_alu instid0(VALU_DEP_2) | instskip(NEXT) | instid1(VALU_DEP_2)
	v_lshrrev_b32_e32 v51, 9, v51
	v_fmac_f32_e32 v53, 0x33a22168, v55
	s_delay_alu instid0(VALU_DEP_2) | instskip(NEXT) | instid1(VALU_DEP_1)
	v_or_b32_e32 v51, v52, v51
	v_fmac_f32_e32 v53, 0x3fc90fda, v51
	s_delay_alu instid0(VALU_DEP_1) | instskip(NEXT) | instid1(VALU_DEP_1)
	v_dual_add_f32 v12, v59, v53 :: v_dual_lshrrev_b32 v51, 30, v12
	v_add_nc_u32_e32 v51, v54, v51
	s_and_not1_saveexec_b32 s2, s26
	s_cbranch_execz .LBB144_3
	s_branch .LBB144_51
.LBB144_50:                             ;   in Loop: Header=BB144_4 Depth=1
	s_and_not1_saveexec_b32 s2, s26
	s_cbranch_execz .LBB144_3
.LBB144_51:                             ;   in Loop: Header=BB144_4 Depth=1
	v_mul_f32_e64 v12, 0x3f22f983, |v5|
	s_delay_alu instid0(VALU_DEP_1) | instskip(NEXT) | instid1(VALU_DEP_1)
	v_rndne_f32_e32 v51, v12
	v_fma_f32 v12, 0xbfc90fda, v51, |v5|
	s_delay_alu instid0(VALU_DEP_1) | instskip(NEXT) | instid1(VALU_DEP_1)
	v_fmac_f32_e32 v12, 0xb3a22168, v51
	v_fmac_f32_e32 v12, 0xa7c234c4, v51
	v_cvt_i32_f32_e32 v51, v51
	s_branch .LBB144_3
.LBB144_52:
	s_or_b32 exec_lo, exec_lo, s20
	s_mov_b32 s2, 0
.LBB144_53:
	s_delay_alu instid0(SALU_CYCLE_1)
	s_and_not1_b32 vcc_lo, exec_lo, s2
	s_cbranch_vccnz .LBB144_121
; %bb.54:
	v_cmp_lt_i64_e64 s2, s[4:5], 1
	s_and_b32 vcc_lo, exec_lo, s2
	s_cbranch_vccnz .LBB144_121
; %bb.55:
	v_min_i64 v[2:3], 0x10000, s[4:5]
	v_min_u64 v[4:5], 0x10000, s[4:5]
	s_load_b32 s0, s[0:1], 0xc5c
	v_mov_b32_e32 v7, 0
	s_mov_b32 s11, 0
	s_mov_b64 s[18:19], 0xfe5163ab
	s_mov_b32 s13, s11
	s_mov_b32 s15, s11
	v_mov_b32_e32 v1, v7
	s_mov_b32 s17, s11
	s_mov_b64 s[20:21], 0
	s_mov_b32 s22, 0x7fffff
	s_mov_b32 s23, 0x395133b1
	;; [unrolled: 1-line block ×4, first 2 shown]
	s_wait_kmcnt 0x0
	s_and_b32 s10, s0, 0xffff
	s_delay_alu instid0(SALU_CYCLE_1)
	s_lshl_b32 s12, s10, 1
	s_mul_i32 s14, s10, 3
	s_lshl_b32 s16, s10, 2
	s_branch .LBB144_57
.LBB144_56:                             ;   in Loop: Header=BB144_57 Depth=1
	s_wait_xcnt 0x0
	s_or_b32 exec_lo, exec_lo, s1
	s_add_nc_u64 s[20:21], s[20:21], s[16:17]
	s_delay_alu instid0(SALU_CYCLE_1)
	v_cmp_ge_i64_e32 vcc_lo, s[20:21], v[2:3]
	s_cbranch_vccnz .LBB144_121
.LBB144_57:                             ; =>This Inner Loop Header: Depth=1
	v_add_nc_u64_e32 v[20:21], s[20:21], v[0:1]
	v_dual_mov_b32 v22, 0 :: v_dual_mov_b32 v23, 0
	s_delay_alu instid0(VALU_DEP_2)
	v_cmp_lt_u64_e64 s2, v[20:21], v[4:5]
	s_and_saveexec_b32 s0, s2
	s_cbranch_execz .LBB144_59
; %bb.58:                               ;   in Loop: Header=BB144_57 Depth=1
	v_lshl_add_u64 v[8:9], v[20:21], 3, s[6:7]
	global_load_b64 v[22:23], v[8:9], off
.LBB144_59:                             ;   in Loop: Header=BB144_57 Depth=1
	s_wait_xcnt 0x0
	s_or_b32 exec_lo, exec_lo, s0
	v_add_nc_u64_e32 v[16:17], s[10:11], v[20:21]
	v_dual_mov_b32 v12, 0 :: v_dual_mov_b32 v18, 0
	v_mov_b32_e32 v19, 0
	s_delay_alu instid0(VALU_DEP_3)
	v_cmp_lt_u64_e64 s1, v[16:17], v[4:5]
	s_and_saveexec_b32 s0, s1
	s_cbranch_execz .LBB144_61
; %bb.60:                               ;   in Loop: Header=BB144_57 Depth=1
	v_lshl_add_u64 v[8:9], v[16:17], 3, s[6:7]
	global_load_b64 v[18:19], v[8:9], off
.LBB144_61:                             ;   in Loop: Header=BB144_57 Depth=1
	s_wait_xcnt 0x0
	s_or_b32 exec_lo, exec_lo, s0
	v_add_nc_u64_e32 v[14:15], s[12:13], v[20:21]
	v_mov_b32_e32 v13, 0
	s_delay_alu instid0(VALU_DEP_2)
	v_cmp_lt_u64_e64 s0, v[14:15], v[4:5]
	s_and_saveexec_b32 s3, s0
	s_cbranch_execz .LBB144_63
; %bb.62:                               ;   in Loop: Header=BB144_57 Depth=1
	v_lshl_add_u64 v[8:9], v[14:15], 3, s[6:7]
	global_load_b64 v[12:13], v[8:9], off
.LBB144_63:                             ;   in Loop: Header=BB144_57 Depth=1
	s_wait_xcnt 0x0
	s_or_b32 exec_lo, exec_lo, s3
	v_add_nc_u64_e32 v[8:9], s[14:15], v[20:21]
	v_dual_mov_b32 v10, 0 :: v_dual_mov_b32 v11, 0
	s_delay_alu instid0(VALU_DEP_2)
	v_cmp_lt_u64_e32 vcc_lo, v[8:9], v[4:5]
	s_and_saveexec_b32 s3, vcc_lo
	s_cbranch_execz .LBB144_65
; %bb.64:                               ;   in Loop: Header=BB144_57 Depth=1
	v_lshl_add_u64 v[10:11], v[8:9], 3, s[6:7]
	global_load_b64 v[10:11], v[10:11], off
.LBB144_65:                             ;   in Loop: Header=BB144_57 Depth=1
	s_wait_xcnt 0x0
	s_or_b32 exec_lo, exec_lo, s3
	s_wait_loadcnt 0x0
	v_mul_f32_e32 v24, 0.5, v23
                                        ; implicit-def: $vgpr28
                                        ; implicit-def: $vgpr26
	s_mov_b32 s4, exec_lo
	s_delay_alu instid0(VALU_DEP_1)
	v_and_b32_e32 v25, 0x7fffffff, v24
	v_cmpx_ngt_f32_e64 0x48000000, |v24|
	s_xor_b32 s26, exec_lo, s4
	s_cbranch_execz .LBB144_67
; %bb.66:                               ;   in Loop: Header=BB144_57 Depth=1
	s_delay_alu instid0(VALU_DEP_2) | instskip(SKIP_1) | instid1(VALU_DEP_2)
	v_and_or_b32 v6, v25, s22, 0x800000
	v_dual_mov_b32 v37, v7 :: v_dual_mov_b32 v39, v7
	v_mul_u64_e32 v[26:27], s[18:19], v[6:7]
	s_delay_alu instid0(VALU_DEP_1) | instskip(SKIP_1) | instid1(VALU_DEP_2)
	v_dual_mov_b32 v29, v7 :: v_dual_mov_b32 v28, v27
	v_lshrrev_b32_e32 v27, 23, v25
	v_mad_nc_u64_u32 v[28:29], 0x3c439041, v6, v[28:29]
	v_mov_b32_e32 v31, v7
	s_delay_alu instid0(VALU_DEP_3) | instskip(NEXT) | instid1(VALU_DEP_1)
	v_add_nc_u32_e32 v27, 0xffffff88, v27
	v_cmp_lt_u32_e64 s3, 63, v27
	s_delay_alu instid0(VALU_DEP_4) | instskip(NEXT) | instid1(VALU_DEP_2)
	v_mov_b32_e32 v30, v29
	v_cndmask_b32_e64 v29, 0, 0xffffffc0, s3
	s_delay_alu instid0(VALU_DEP_2) | instskip(NEXT) | instid1(VALU_DEP_2)
	v_mad_nc_u64_u32 v[30:31], 0xdb629599, v6, v[30:31]
	v_dual_mov_b32 v33, v7 :: v_dual_add_nc_u32 v27, v29, v27
	s_delay_alu instid0(VALU_DEP_1) | instskip(NEXT) | instid1(VALU_DEP_3)
	v_cmp_lt_u32_e64 s4, 31, v27
	v_mov_b32_e32 v32, v31
	s_delay_alu instid0(VALU_DEP_2) | instskip(SKIP_1) | instid1(VALU_DEP_3)
	v_cndmask_b32_e64 v29, 0, 0xffffffe0, s4
	v_cndmask_b32_e64 v26, v30, v26, s3
	v_mad_nc_u64_u32 v[32:33], 0xf534ddc0, v6, v[32:33]
	s_delay_alu instid0(VALU_DEP_1) | instskip(NEXT) | instid1(VALU_DEP_1)
	v_dual_mov_b32 v35, v7 :: v_dual_mov_b32 v34, v33
	v_mad_nc_u64_u32 v[34:35], 0xfc2757d1, v6, v[34:35]
	s_delay_alu instid0(VALU_DEP_1) | instskip(NEXT) | instid1(VALU_DEP_1)
	v_mov_b32_e32 v36, v35
	v_mad_nc_u64_u32 v[36:37], 0x4e441529, v6, v[36:37]
	s_delay_alu instid0(VALU_DEP_1) | instskip(NEXT) | instid1(VALU_DEP_1)
	v_mov_b32_e32 v38, v37
	v_mad_nc_u64_u32 v[38:39], 0xa2f9836e, v6, v[38:39]
	s_delay_alu instid0(VALU_DEP_3) | instskip(NEXT) | instid1(VALU_DEP_2)
	v_dual_add_nc_u32 v6, v29, v27 :: v_dual_cndmask_b32 v29, v36, v32, s3
	v_cndmask_b32_e64 v31, v38, v34, s3
	s_delay_alu instid0(VALU_DEP_2) | instskip(NEXT) | instid1(VALU_DEP_4)
	v_cmp_lt_u32_e64 s5, 31, v6
	v_dual_cndmask_b32 v33, v39, v36, s3 :: v_dual_cndmask_b32 v34, v34, v30, s3
	s_delay_alu instid0(VALU_DEP_2) | instskip(NEXT) | instid1(VALU_DEP_1)
	v_cndmask_b32_e64 v27, 0, 0xffffffe0, s5
	v_dual_add_nc_u32 v6, v27, v6 :: v_dual_cndmask_b32 v27, v32, v28, s3
	s_delay_alu instid0(VALU_DEP_3) | instskip(NEXT) | instid1(VALU_DEP_4)
	v_dual_cndmask_b32 v28, v31, v29, s4 :: v_dual_cndmask_b32 v31, v33, v31, s4
	v_cndmask_b32_e64 v29, v29, v34, s4
	s_delay_alu instid0(VALU_DEP_3) | instskip(SKIP_1) | instid1(VALU_DEP_3)
	v_dual_sub_nc_u32 v32, 32, v6 :: v_dual_cndmask_b32 v33, v34, v27, s4
	v_cmp_eq_u32_e64 s3, 0, v6
	v_dual_cndmask_b32 v31, v31, v28, s5 :: v_dual_cndmask_b32 v28, v28, v29, s5
	s_delay_alu instid0(VALU_DEP_1) | instskip(NEXT) | instid1(VALU_DEP_1)
	v_alignbit_b32 v34, v31, v28, v32
	v_dual_cndmask_b32 v29, v29, v33, s5 :: v_dual_cndmask_b32 v6, v34, v31, s3
	s_delay_alu instid0(VALU_DEP_1) | instskip(NEXT) | instid1(VALU_DEP_1)
	v_alignbit_b32 v30, v28, v29, v32
	v_dual_cndmask_b32 v26, v27, v26, s4 :: v_dual_cndmask_b32 v27, v30, v28, s3
	s_delay_alu instid0(VALU_DEP_3) | instskip(NEXT) | instid1(VALU_DEP_2)
	v_bfe_u32 v28, v6, 29, 1
	v_cndmask_b32_e64 v26, v33, v26, s5
	s_delay_alu instid0(VALU_DEP_3) | instskip(NEXT) | instid1(VALU_DEP_3)
	v_alignbit_b32 v30, v6, v27, 30
	v_sub_nc_u32_e32 v31, 0, v28
	s_delay_alu instid0(VALU_DEP_3) | instskip(NEXT) | instid1(VALU_DEP_1)
	v_alignbit_b32 v32, v29, v26, v32
	v_dual_cndmask_b32 v29, v32, v29, s3 :: v_dual_bitop2_b32 v30, v30, v31 bitop3:0x14
	s_delay_alu instid0(VALU_DEP_1) | instskip(NEXT) | instid1(VALU_DEP_2)
	v_clz_i32_u32_e32 v32, v30
	v_alignbit_b32 v27, v27, v29, 30
	v_alignbit_b32 v26, v29, v26, 30
	s_delay_alu instid0(VALU_DEP_3) | instskip(NEXT) | instid1(VALU_DEP_3)
	v_min_u32_e32 v32, 32, v32
	v_xor_b32_e32 v27, v27, v31
	s_delay_alu instid0(VALU_DEP_3) | instskip(NEXT) | instid1(VALU_DEP_3)
	v_dual_lshrrev_b32 v31, 29, v6 :: v_dual_bitop2_b32 v26, v26, v31 bitop3:0x14
	v_dual_sub_nc_u32 v29, 31, v32 :: v_dual_lshlrev_b32 v33, 23, v32
	s_delay_alu instid0(VALU_DEP_1) | instskip(NEXT) | instid1(VALU_DEP_3)
	v_alignbit_b32 v30, v30, v27, v29
	v_alignbit_b32 v26, v27, v26, v29
	s_delay_alu instid0(VALU_DEP_4) | instskip(NEXT) | instid1(VALU_DEP_2)
	v_lshlrev_b32_e32 v27, 31, v31
	v_alignbit_b32 v29, v30, v26, 9
	s_delay_alu instid0(VALU_DEP_2) | instskip(SKIP_1) | instid1(VALU_DEP_3)
	v_dual_lshrrev_b32 v30, 9, v30 :: v_dual_bitop2_b32 v31, 0.5, v27 bitop3:0x54
	v_or_b32_e32 v27, 0x33000000, v27
	v_clz_i32_u32_e32 v34, v29
	s_delay_alu instid0(VALU_DEP_3) | instskip(NEXT) | instid1(VALU_DEP_2)
	v_sub_nc_u32_e32 v31, v31, v33
	v_min_u32_e32 v33, 32, v34
	s_delay_alu instid0(VALU_DEP_1) | instskip(NEXT) | instid1(VALU_DEP_3)
	v_add_lshl_u32 v32, v33, v32, 23
	v_or_b32_e32 v30, v30, v31
	v_not_b32_e32 v31, v33
	s_delay_alu instid0(VALU_DEP_2) | instskip(NEXT) | instid1(VALU_DEP_2)
	v_dual_mul_f32 v34, 0x3fc90fda, v30 :: v_dual_sub_nc_u32 v27, v27, v32
	v_alignbit_b32 v26, v29, v26, v31
	s_delay_alu instid0(VALU_DEP_2) | instskip(NEXT) | instid1(VALU_DEP_2)
	v_fma_f32 v29, 0x3fc90fda, v30, -v34
	v_lshrrev_b32_e32 v26, 9, v26
	s_delay_alu instid0(VALU_DEP_2) | instskip(NEXT) | instid1(VALU_DEP_2)
	v_fmac_f32_e32 v29, 0x33a22168, v30
	v_or_b32_e32 v26, v27, v26
	s_delay_alu instid0(VALU_DEP_1) | instskip(NEXT) | instid1(VALU_DEP_1)
	v_fmac_f32_e32 v29, 0x3fc90fda, v26
	v_dual_lshrrev_b32 v6, 30, v6 :: v_dual_add_f32 v26, v34, v29
	s_delay_alu instid0(VALU_DEP_1)
	v_add_nc_u32_e32 v28, v28, v6
.LBB144_67:                             ;   in Loop: Header=BB144_57 Depth=1
	s_and_not1_saveexec_b32 s3, s26
; %bb.68:                               ;   in Loop: Header=BB144_57 Depth=1
	v_mul_f32_e64 v6, 0x3f22f983, |v24|
	s_delay_alu instid0(VALU_DEP_1) | instskip(NEXT) | instid1(VALU_DEP_1)
	v_rndne_f32_e32 v6, v6
	v_fma_f32 v26, 0xbfc90fda, v6, |v24|
	v_cvt_i32_f32_e32 v28, v6
	s_delay_alu instid0(VALU_DEP_2) | instskip(NEXT) | instid1(VALU_DEP_1)
	v_fmac_f32_e32 v26, 0xb3a22168, v6
	v_fmac_f32_e32 v26, 0xa7c234c4, v6
; %bb.69:                               ;   in Loop: Header=BB144_57 Depth=1
	s_or_b32 exec_lo, exec_lo, s3
	v_and_b32_e32 v27, 0x7fffffff, v23
	v_cmp_ngt_f32_e64 s26, 0x48000000, |v23|
                                        ; implicit-def: $vgpr32
                                        ; implicit-def: $vgpr29
	s_and_saveexec_b32 s3, s26
	s_delay_alu instid0(SALU_CYCLE_1)
	s_xor_b32 s27, exec_lo, s3
	s_cbranch_execz .LBB144_71
; %bb.70:                               ;   in Loop: Header=BB144_57 Depth=1
	v_and_or_b32 v6, v27, s22, 0x800000
	v_dual_lshrrev_b32 v29, 23, v27 :: v_dual_mov_b32 v41, v7
	s_delay_alu instid0(VALU_DEP_2) | instskip(SKIP_1) | instid1(VALU_DEP_3)
	v_mul_u64_e32 v[30:31], s[18:19], v[6:7]
	v_mov_b32_e32 v33, v7
	v_add_nc_u32_e32 v29, 0xffffff88, v29
	s_delay_alu instid0(VALU_DEP_1) | instskip(NEXT) | instid1(VALU_DEP_4)
	v_cmp_lt_u32_e64 s3, 63, v29
	v_mov_b32_e32 v32, v31
	s_delay_alu instid0(VALU_DEP_2) | instskip(NEXT) | instid1(VALU_DEP_2)
	v_cndmask_b32_e64 v31, 0, 0xffffffc0, s3
	v_mad_nc_u64_u32 v[32:33], 0x3c439041, v6, v[32:33]
	s_delay_alu instid0(VALU_DEP_1) | instskip(NEXT) | instid1(VALU_DEP_1)
	v_dual_mov_b32 v35, v7 :: v_dual_mov_b32 v34, v33
	v_mad_nc_u64_u32 v[34:35], 0xdb629599, v6, v[34:35]
	s_delay_alu instid0(VALU_DEP_1) | instskip(NEXT) | instid1(VALU_DEP_2)
	v_dual_mov_b32 v37, v7 :: v_dual_mov_b32 v36, v35
	v_cndmask_b32_e64 v30, v34, v30, s3
	s_delay_alu instid0(VALU_DEP_2) | instskip(NEXT) | instid1(VALU_DEP_1)
	v_mad_nc_u64_u32 v[36:37], 0xf534ddc0, v6, v[36:37]
	v_dual_mov_b32 v39, v7 :: v_dual_mov_b32 v38, v37
	s_delay_alu instid0(VALU_DEP_1) | instskip(NEXT) | instid1(VALU_DEP_1)
	v_mad_nc_u64_u32 v[38:39], 0xfc2757d1, v6, v[38:39]
	v_dual_mov_b32 v40, v39 :: v_dual_cndmask_b32 v37, v38, v34, s3
	s_delay_alu instid0(VALU_DEP_1) | instskip(SKIP_1) | instid1(VALU_DEP_2)
	v_mad_nc_u64_u32 v[40:41], 0x4e441529, v6, v[40:41]
	v_add_nc_u32_e32 v29, v31, v29
	v_dual_mov_b32 v43, v7 :: v_dual_mov_b32 v42, v41
	s_delay_alu instid0(VALU_DEP_2) | instskip(NEXT) | instid1(VALU_DEP_2)
	v_cmp_lt_u32_e64 s4, 31, v29
	v_mad_nc_u64_u32 v[42:43], 0xa2f9836e, v6, v[42:43]
	s_delay_alu instid0(VALU_DEP_2) | instskip(NEXT) | instid1(VALU_DEP_1)
	v_cndmask_b32_e64 v31, 0, 0xffffffe0, s4
	v_dual_add_nc_u32 v6, v31, v29 :: v_dual_cndmask_b32 v31, v40, v36, s3
	s_delay_alu instid0(VALU_DEP_3) | instskip(NEXT) | instid1(VALU_DEP_2)
	v_cndmask_b32_e64 v33, v42, v38, s3
	v_cmp_lt_u32_e64 s5, 31, v6
	v_cndmask_b32_e64 v35, v43, v40, s3
	s_delay_alu instid0(VALU_DEP_2) | instskip(NEXT) | instid1(VALU_DEP_1)
	v_cndmask_b32_e64 v29, 0, 0xffffffe0, s5
	v_dual_add_nc_u32 v6, v29, v6 :: v_dual_cndmask_b32 v29, v36, v32, s3
	s_delay_alu instid0(VALU_DEP_3) | instskip(NEXT) | instid1(VALU_DEP_2)
	v_dual_cndmask_b32 v32, v33, v31, s4 :: v_dual_cndmask_b32 v33, v35, v33, s4
	v_dual_cndmask_b32 v31, v31, v37, s4 :: v_dual_sub_nc_u32 v35, 32, v6
	s_delay_alu instid0(VALU_DEP_3) | instskip(SKIP_1) | instid1(VALU_DEP_3)
	v_cndmask_b32_e64 v36, v37, v29, s4
	v_cmp_eq_u32_e64 s3, 0, v6
	v_dual_cndmask_b32 v33, v33, v32, s5 :: v_dual_cndmask_b32 v32, v32, v31, s5
	s_delay_alu instid0(VALU_DEP_1) | instskip(NEXT) | instid1(VALU_DEP_1)
	v_alignbit_b32 v37, v33, v32, v35
	v_dual_cndmask_b32 v31, v31, v36, s5 :: v_dual_cndmask_b32 v6, v37, v33, s3
	s_delay_alu instid0(VALU_DEP_1) | instskip(NEXT) | instid1(VALU_DEP_1)
	v_alignbit_b32 v34, v32, v31, v35
	v_dual_cndmask_b32 v29, v29, v30, s4 :: v_dual_cndmask_b32 v30, v34, v32, s3
	s_delay_alu instid0(VALU_DEP_3) | instskip(NEXT) | instid1(VALU_DEP_2)
	v_bfe_u32 v32, v6, 29, 1
	v_cndmask_b32_e64 v29, v36, v29, s5
	s_delay_alu instid0(VALU_DEP_3) | instskip(NEXT) | instid1(VALU_DEP_3)
	v_alignbit_b32 v33, v6, v30, 30
	v_sub_nc_u32_e32 v34, 0, v32
	s_delay_alu instid0(VALU_DEP_3) | instskip(NEXT) | instid1(VALU_DEP_1)
	v_alignbit_b32 v35, v31, v29, v35
	v_dual_cndmask_b32 v31, v35, v31, s3 :: v_dual_bitop2_b32 v33, v33, v34 bitop3:0x14
	s_delay_alu instid0(VALU_DEP_1) | instskip(NEXT) | instid1(VALU_DEP_2)
	v_clz_i32_u32_e32 v35, v33
	v_alignbit_b32 v30, v30, v31, 30
	v_alignbit_b32 v29, v31, v29, 30
	s_delay_alu instid0(VALU_DEP_3) | instskip(NEXT) | instid1(VALU_DEP_3)
	v_min_u32_e32 v35, 32, v35
	v_xor_b32_e32 v30, v30, v34
	s_delay_alu instid0(VALU_DEP_3) | instskip(SKIP_1) | instid1(VALU_DEP_4)
	v_xor_b32_e32 v29, v29, v34
	v_dual_lshrrev_b32 v34, 29, v6 :: v_dual_lshrrev_b32 v6, 30, v6
	v_dual_sub_nc_u32 v31, 31, v35 :: v_dual_lshlrev_b32 v36, 23, v35
	s_delay_alu instid0(VALU_DEP_2) | instskip(NEXT) | instid1(VALU_DEP_2)
	v_add_nc_u32_e32 v32, v32, v6
	v_alignbit_b32 v33, v33, v30, v31
	v_alignbit_b32 v29, v30, v29, v31
	v_lshlrev_b32_e32 v30, 31, v34
	s_delay_alu instid0(VALU_DEP_2) | instskip(NEXT) | instid1(VALU_DEP_2)
	v_alignbit_b32 v31, v33, v29, 9
	v_dual_lshrrev_b32 v33, 9, v33 :: v_dual_bitop2_b32 v34, 0.5, v30 bitop3:0x54
	v_or_b32_e32 v30, 0x33000000, v30
	s_delay_alu instid0(VALU_DEP_3) | instskip(NEXT) | instid1(VALU_DEP_3)
	v_clz_i32_u32_e32 v37, v31
	v_sub_nc_u32_e32 v34, v34, v36
	s_delay_alu instid0(VALU_DEP_2) | instskip(NEXT) | instid1(VALU_DEP_1)
	v_min_u32_e32 v36, 32, v37
	v_add_lshl_u32 v35, v36, v35, 23
	s_delay_alu instid0(VALU_DEP_3) | instskip(SKIP_1) | instid1(VALU_DEP_2)
	v_or_b32_e32 v33, v33, v34
	v_not_b32_e32 v34, v36
	v_dual_mul_f32 v37, 0x3fc90fda, v33 :: v_dual_sub_nc_u32 v30, v30, v35
	s_delay_alu instid0(VALU_DEP_2) | instskip(NEXT) | instid1(VALU_DEP_2)
	v_alignbit_b32 v29, v31, v29, v34
	v_fma_f32 v31, 0x3fc90fda, v33, -v37
	s_delay_alu instid0(VALU_DEP_2) | instskip(NEXT) | instid1(VALU_DEP_2)
	v_lshrrev_b32_e32 v29, 9, v29
	v_fmac_f32_e32 v31, 0x33a22168, v33
	s_delay_alu instid0(VALU_DEP_2) | instskip(NEXT) | instid1(VALU_DEP_1)
	v_or_b32_e32 v29, v30, v29
	v_fmac_f32_e32 v31, 0x3fc90fda, v29
	s_delay_alu instid0(VALU_DEP_1)
	v_add_f32_e32 v29, v37, v31
	s_and_not1_saveexec_b32 s3, s27
	s_branch .LBB144_72
.LBB144_71:                             ;   in Loop: Header=BB144_57 Depth=1
	s_and_not1_saveexec_b32 s3, s27
.LBB144_72:                             ;   in Loop: Header=BB144_57 Depth=1
	v_mul_f32_e64 v6, 0x3f22f983, |v23|
	s_delay_alu instid0(VALU_DEP_1) | instskip(NEXT) | instid1(VALU_DEP_1)
	v_rndne_f32_e32 v6, v6
	v_fma_f32 v29, 0xbfc90fda, v6, |v23|
	v_cvt_i32_f32_e32 v32, v6
	s_delay_alu instid0(VALU_DEP_2) | instskip(NEXT) | instid1(VALU_DEP_1)
	v_fmac_f32_e32 v29, 0xb3a22168, v6
	v_fmac_f32_e32 v29, 0xa7c234c4, v6
; %bb.73:                               ;   in Loop: Header=BB144_57 Depth=1
	s_or_b32 exec_lo, exec_lo, s3
                                        ; implicit-def: $vgpr34
                                        ; implicit-def: $vgpr33
	s_and_saveexec_b32 s3, s26
	s_delay_alu instid0(SALU_CYCLE_1)
	s_xor_b32 s26, exec_lo, s3
	s_cbranch_execz .LBB144_75
; %bb.74:                               ;   in Loop: Header=BB144_57 Depth=1
	v_and_or_b32 v6, v27, s22, 0x800000
	v_dual_mov_b32 v43, v7 :: v_dual_mov_b32 v45, v7
	s_delay_alu instid0(VALU_DEP_2) | instskip(NEXT) | instid1(VALU_DEP_1)
	v_mul_u64_e32 v[30:31], s[18:19], v[6:7]
	v_dual_mov_b32 v35, v7 :: v_dual_mov_b32 v34, v31
	v_lshrrev_b32_e32 v31, 23, v27
	s_delay_alu instid0(VALU_DEP_2) | instskip(SKIP_1) | instid1(VALU_DEP_3)
	v_mad_nc_u64_u32 v[34:35], 0x3c439041, v6, v[34:35]
	v_mov_b32_e32 v37, v7
	v_add_nc_u32_e32 v31, 0xffffff88, v31
	s_delay_alu instid0(VALU_DEP_1) | instskip(NEXT) | instid1(VALU_DEP_4)
	v_cmp_lt_u32_e64 s3, 63, v31
	v_mov_b32_e32 v36, v35
	s_delay_alu instid0(VALU_DEP_2) | instskip(NEXT) | instid1(VALU_DEP_2)
	v_cndmask_b32_e64 v33, 0, 0xffffffc0, s3
	v_mad_nc_u64_u32 v[36:37], 0xdb629599, v6, v[36:37]
	s_delay_alu instid0(VALU_DEP_2) | instskip(NEXT) | instid1(VALU_DEP_1)
	v_dual_mov_b32 v39, v7 :: v_dual_add_nc_u32 v31, v33, v31
	v_cmp_lt_u32_e64 s4, 31, v31
	s_delay_alu instid0(VALU_DEP_3) | instskip(NEXT) | instid1(VALU_DEP_2)
	v_dual_mov_b32 v38, v37 :: v_dual_cndmask_b32 v30, v36, v30, s3
	v_cndmask_b32_e64 v33, 0, 0xffffffe0, s4
	s_delay_alu instid0(VALU_DEP_2) | instskip(NEXT) | instid1(VALU_DEP_1)
	v_mad_nc_u64_u32 v[38:39], 0xf534ddc0, v6, v[38:39]
	v_dual_mov_b32 v41, v7 :: v_dual_mov_b32 v40, v39
	s_delay_alu instid0(VALU_DEP_1) | instskip(NEXT) | instid1(VALU_DEP_1)
	v_mad_nc_u64_u32 v[40:41], 0xfc2757d1, v6, v[40:41]
	v_dual_mov_b32 v42, v41 :: v_dual_cndmask_b32 v39, v40, v36, s3
	s_delay_alu instid0(VALU_DEP_1) | instskip(NEXT) | instid1(VALU_DEP_1)
	v_mad_nc_u64_u32 v[42:43], 0x4e441529, v6, v[42:43]
	v_mov_b32_e32 v44, v43
	s_delay_alu instid0(VALU_DEP_1) | instskip(NEXT) | instid1(VALU_DEP_3)
	v_mad_nc_u64_u32 v[44:45], 0xa2f9836e, v6, v[44:45]
	v_dual_add_nc_u32 v6, v33, v31 :: v_dual_cndmask_b32 v33, v42, v38, s3
	s_delay_alu instid0(VALU_DEP_1) | instskip(NEXT) | instid1(VALU_DEP_1)
	v_cmp_lt_u32_e64 s5, 31, v6
	v_cndmask_b32_e64 v31, 0, 0xffffffe0, s5
	s_delay_alu instid0(VALU_DEP_4) | instskip(NEXT) | instid1(VALU_DEP_2)
	v_dual_cndmask_b32 v35, v44, v40, s3 :: v_dual_cndmask_b32 v37, v45, v42, s3
	v_add_nc_u32_e32 v6, v31, v6
	s_delay_alu instid0(VALU_DEP_2) | instskip(NEXT) | instid1(VALU_DEP_3)
	v_dual_cndmask_b32 v31, v38, v34, s3 :: v_dual_cndmask_b32 v34, v35, v33, s4
	v_cndmask_b32_e64 v35, v37, v35, s4
	s_delay_alu instid0(VALU_DEP_3) | instskip(NEXT) | instid1(VALU_DEP_3)
	v_dual_cndmask_b32 v33, v33, v39, s4 :: v_dual_sub_nc_u32 v37, 32, v6
	v_cndmask_b32_e64 v38, v39, v31, s4
	v_cmp_eq_u32_e64 s3, 0, v6
	s_delay_alu instid0(VALU_DEP_3) | instskip(NEXT) | instid1(VALU_DEP_3)
	v_dual_cndmask_b32 v35, v35, v34, s5 :: v_dual_cndmask_b32 v34, v34, v33, s5
	v_cndmask_b32_e64 v33, v33, v38, s5
	v_cndmask_b32_e64 v30, v31, v30, s4
	s_delay_alu instid0(VALU_DEP_2) | instskip(NEXT) | instid1(VALU_DEP_1)
	v_alignbit_b32 v36, v34, v33, v37
	v_cndmask_b32_e64 v31, v36, v34, s3
	v_alignbit_b32 v39, v35, v34, v37
	s_delay_alu instid0(VALU_DEP_1) | instskip(NEXT) | instid1(VALU_DEP_1)
	v_cndmask_b32_e64 v6, v39, v35, s3
	v_bfe_u32 v34, v6, 29, 1
	s_delay_alu instid0(VALU_DEP_4) | instskip(NEXT) | instid1(VALU_DEP_2)
	v_alignbit_b32 v35, v6, v31, 30
	v_sub_nc_u32_e32 v36, 0, v34
	s_delay_alu instid0(VALU_DEP_1) | instskip(NEXT) | instid1(VALU_DEP_1)
	v_dual_cndmask_b32 v30, v38, v30, s5 :: v_dual_bitop2_b32 v35, v35, v36 bitop3:0x14
	v_alignbit_b32 v37, v33, v30, v37
	s_delay_alu instid0(VALU_DEP_1) | instskip(NEXT) | instid1(VALU_DEP_3)
	v_cndmask_b32_e64 v33, v37, v33, s3
	v_clz_i32_u32_e32 v37, v35
	s_delay_alu instid0(VALU_DEP_2) | instskip(NEXT) | instid1(VALU_DEP_2)
	v_alignbit_b32 v31, v31, v33, 30
	v_min_u32_e32 v37, 32, v37
	s_delay_alu instid0(VALU_DEP_2) | instskip(SKIP_1) | instid1(VALU_DEP_3)
	v_xor_b32_e32 v31, v31, v36
	v_alignbit_b32 v30, v33, v30, 30
	v_dual_sub_nc_u32 v33, 31, v37 :: v_dual_lshlrev_b32 v38, 23, v37
	s_delay_alu instid0(VALU_DEP_2) | instskip(NEXT) | instid1(VALU_DEP_2)
	v_dual_lshrrev_b32 v36, 29, v6 :: v_dual_bitop2_b32 v30, v30, v36 bitop3:0x14
	v_alignbit_b32 v35, v35, v31, v33
	v_lshrrev_b32_e32 v6, 30, v6
	s_delay_alu instid0(VALU_DEP_3) | instskip(NEXT) | instid1(VALU_DEP_2)
	v_alignbit_b32 v30, v31, v30, v33
	v_dual_lshlrev_b32 v31, 31, v36 :: v_dual_add_nc_u32 v34, v34, v6
	s_delay_alu instid0(VALU_DEP_2) | instskip(NEXT) | instid1(VALU_DEP_2)
	v_alignbit_b32 v33, v35, v30, 9
	v_or_b32_e32 v36, 0.5, v31
	v_lshrrev_b32_e32 v35, 9, v35
	v_or_b32_e32 v31, 0x33000000, v31
	s_delay_alu instid0(VALU_DEP_4) | instskip(NEXT) | instid1(VALU_DEP_4)
	v_clz_i32_u32_e32 v39, v33
	v_sub_nc_u32_e32 v36, v36, v38
	s_delay_alu instid0(VALU_DEP_2) | instskip(NEXT) | instid1(VALU_DEP_2)
	v_min_u32_e32 v38, 32, v39
	v_or_b32_e32 v35, v35, v36
	s_delay_alu instid0(VALU_DEP_2) | instskip(SKIP_1) | instid1(VALU_DEP_2)
	v_not_b32_e32 v36, v38
	v_add_lshl_u32 v37, v38, v37, 23
	v_alignbit_b32 v30, v33, v30, v36
	s_delay_alu instid0(VALU_DEP_1) | instskip(SKIP_1) | instid1(VALU_DEP_2)
	v_dual_sub_nc_u32 v31, v31, v37 :: v_dual_lshrrev_b32 v30, 9, v30
	v_mul_f32_e32 v39, 0x3fc90fda, v35
	v_or_b32_e32 v30, v31, v30
	s_delay_alu instid0(VALU_DEP_2) | instskip(NEXT) | instid1(VALU_DEP_1)
	v_fma_f32 v33, 0x3fc90fda, v35, -v39
	v_fmac_f32_e32 v33, 0x33a22168, v35
	s_delay_alu instid0(VALU_DEP_1) | instskip(NEXT) | instid1(VALU_DEP_1)
	v_fmac_f32_e32 v33, 0x3fc90fda, v30
	v_add_f32_e32 v33, v39, v33
	s_and_not1_saveexec_b32 s3, s26
	s_cbranch_execnz .LBB144_76
	s_branch .LBB144_77
.LBB144_75:                             ;   in Loop: Header=BB144_57 Depth=1
	s_and_not1_saveexec_b32 s3, s26
.LBB144_76:                             ;   in Loop: Header=BB144_57 Depth=1
	v_mul_f32_e64 v6, 0x3f22f983, |v23|
	s_delay_alu instid0(VALU_DEP_1) | instskip(NEXT) | instid1(VALU_DEP_1)
	v_rndne_f32_e32 v6, v6
	v_fma_f32 v33, 0xbfc90fda, v6, |v23|
	v_cvt_i32_f32_e32 v34, v6
	s_delay_alu instid0(VALU_DEP_2) | instskip(NEXT) | instid1(VALU_DEP_1)
	v_fmac_f32_e32 v33, 0xb3a22168, v6
	v_fmac_f32_e32 v33, 0xa7c234c4, v6
.LBB144_77:                             ;   in Loop: Header=BB144_57 Depth=1
	s_or_b32 exec_lo, exec_lo, s3
	v_mul_f32_e32 v30, 0.5, v19
                                        ; implicit-def: $vgpr37
                                        ; implicit-def: $vgpr35
	s_mov_b32 s4, exec_lo
	s_delay_alu instid0(VALU_DEP_1)
	v_and_b32_e32 v31, 0x7fffffff, v30
	v_cmpx_ngt_f32_e64 0x48000000, |v30|
	s_xor_b32 s26, exec_lo, s4
	s_cbranch_execz .LBB144_79
; %bb.78:                               ;   in Loop: Header=BB144_57 Depth=1
	s_delay_alu instid0(VALU_DEP_2) | instskip(SKIP_2) | instid1(VALU_DEP_3)
	v_and_or_b32 v6, v31, s22, 0x800000
	v_dual_lshrrev_b32 v35, 23, v31 :: v_dual_mov_b32 v47, v7
	v_mov_b32_e32 v49, v7
	v_mul_u64_e32 v[36:37], s[18:19], v[6:7]
	v_mov_b32_e32 v39, v7
	s_delay_alu instid0(VALU_DEP_4) | instskip(NEXT) | instid1(VALU_DEP_1)
	v_add_nc_u32_e32 v35, 0xffffff88, v35
	v_cmp_lt_u32_e64 s3, 63, v35
	s_delay_alu instid0(VALU_DEP_4) | instskip(NEXT) | instid1(VALU_DEP_2)
	v_mov_b32_e32 v38, v37
	v_cndmask_b32_e64 v37, 0, 0xffffffc0, s3
	s_delay_alu instid0(VALU_DEP_2) | instskip(NEXT) | instid1(VALU_DEP_2)
	v_mad_nc_u64_u32 v[38:39], 0x3c439041, v6, v[38:39]
	v_dual_mov_b32 v41, v7 :: v_dual_add_nc_u32 v35, v37, v35
	s_delay_alu instid0(VALU_DEP_1) | instskip(NEXT) | instid1(VALU_DEP_3)
	v_cmp_lt_u32_e64 s4, 31, v35
	v_mov_b32_e32 v40, v39
	s_delay_alu instid0(VALU_DEP_2) | instskip(NEXT) | instid1(VALU_DEP_2)
	v_cndmask_b32_e64 v37, 0, 0xffffffe0, s4
	v_mad_nc_u64_u32 v[40:41], 0xdb629599, v6, v[40:41]
	s_delay_alu instid0(VALU_DEP_1) | instskip(NEXT) | instid1(VALU_DEP_2)
	v_dual_mov_b32 v43, v7 :: v_dual_mov_b32 v42, v41
	v_cndmask_b32_e64 v36, v40, v36, s3
	s_delay_alu instid0(VALU_DEP_2) | instskip(NEXT) | instid1(VALU_DEP_1)
	v_mad_nc_u64_u32 v[42:43], 0xf534ddc0, v6, v[42:43]
	v_dual_mov_b32 v45, v7 :: v_dual_mov_b32 v44, v43
	s_delay_alu instid0(VALU_DEP_1) | instskip(NEXT) | instid1(VALU_DEP_1)
	v_mad_nc_u64_u32 v[44:45], 0xfc2757d1, v6, v[44:45]
	v_dual_mov_b32 v46, v45 :: v_dual_cndmask_b32 v43, v44, v40, s3
	s_delay_alu instid0(VALU_DEP_1) | instskip(NEXT) | instid1(VALU_DEP_1)
	v_mad_nc_u64_u32 v[46:47], 0x4e441529, v6, v[46:47]
	v_mov_b32_e32 v48, v47
	s_delay_alu instid0(VALU_DEP_1) | instskip(NEXT) | instid1(VALU_DEP_3)
	v_mad_nc_u64_u32 v[48:49], 0xa2f9836e, v6, v[48:49]
	v_dual_add_nc_u32 v6, v37, v35 :: v_dual_cndmask_b32 v37, v46, v42, s3
	s_delay_alu instid0(VALU_DEP_1) | instskip(NEXT) | instid1(VALU_DEP_1)
	v_cmp_lt_u32_e64 s5, 31, v6
	v_cndmask_b32_e64 v35, 0, 0xffffffe0, s5
	s_delay_alu instid0(VALU_DEP_4) | instskip(NEXT) | instid1(VALU_DEP_2)
	v_dual_cndmask_b32 v39, v48, v44, s3 :: v_dual_cndmask_b32 v41, v49, v46, s3
	v_add_nc_u32_e32 v6, v35, v6
	s_delay_alu instid0(VALU_DEP_2) | instskip(NEXT) | instid1(VALU_DEP_3)
	v_dual_cndmask_b32 v35, v42, v38, s3 :: v_dual_cndmask_b32 v38, v39, v37, s4
	v_cndmask_b32_e64 v39, v41, v39, s4
	s_delay_alu instid0(VALU_DEP_3) | instskip(NEXT) | instid1(VALU_DEP_3)
	v_dual_cndmask_b32 v37, v37, v43, s4 :: v_dual_sub_nc_u32 v41, 32, v6
	v_cndmask_b32_e64 v42, v43, v35, s4
	v_cmp_eq_u32_e64 s3, 0, v6
	s_delay_alu instid0(VALU_DEP_3) | instskip(NEXT) | instid1(VALU_DEP_1)
	v_dual_cndmask_b32 v39, v39, v38, s5 :: v_dual_cndmask_b32 v38, v38, v37, s5
	v_alignbit_b32 v43, v39, v38, v41
	s_delay_alu instid0(VALU_DEP_1) | instskip(NEXT) | instid1(VALU_DEP_1)
	v_dual_cndmask_b32 v37, v37, v42, s5 :: v_dual_cndmask_b32 v6, v43, v39, s3
	v_alignbit_b32 v40, v38, v37, v41
	s_delay_alu instid0(VALU_DEP_1) | instskip(NEXT) | instid1(VALU_DEP_3)
	v_dual_cndmask_b32 v35, v35, v36, s4 :: v_dual_cndmask_b32 v36, v40, v38, s3
	v_bfe_u32 v38, v6, 29, 1
	s_delay_alu instid0(VALU_DEP_2) | instskip(NEXT) | instid1(VALU_DEP_3)
	v_cndmask_b32_e64 v35, v42, v35, s5
	v_alignbit_b32 v39, v6, v36, 30
	s_delay_alu instid0(VALU_DEP_3) | instskip(NEXT) | instid1(VALU_DEP_3)
	v_sub_nc_u32_e32 v40, 0, v38
	v_alignbit_b32 v41, v37, v35, v41
	s_delay_alu instid0(VALU_DEP_1) | instskip(NEXT) | instid1(VALU_DEP_1)
	v_dual_cndmask_b32 v37, v41, v37, s3 :: v_dual_bitop2_b32 v39, v39, v40 bitop3:0x14
	v_clz_i32_u32_e32 v41, v39
	s_delay_alu instid0(VALU_DEP_2) | instskip(SKIP_1) | instid1(VALU_DEP_3)
	v_alignbit_b32 v36, v36, v37, 30
	v_alignbit_b32 v35, v37, v35, 30
	v_min_u32_e32 v41, 32, v41
	s_delay_alu instid0(VALU_DEP_3) | instskip(NEXT) | instid1(VALU_DEP_3)
	v_xor_b32_e32 v36, v36, v40
	v_dual_lshrrev_b32 v40, 29, v6 :: v_dual_bitop2_b32 v35, v35, v40 bitop3:0x14
	s_delay_alu instid0(VALU_DEP_3) | instskip(SKIP_1) | instid1(VALU_DEP_2)
	v_dual_lshrrev_b32 v6, 30, v6 :: v_dual_sub_nc_u32 v37, 31, v41
	v_lshlrev_b32_e32 v42, 23, v41
	v_alignbit_b32 v39, v39, v36, v37
	s_delay_alu instid0(VALU_DEP_4) | instskip(SKIP_1) | instid1(VALU_DEP_2)
	v_alignbit_b32 v35, v36, v35, v37
	v_lshlrev_b32_e32 v36, 31, v40
	v_alignbit_b32 v37, v39, v35, 9
	s_delay_alu instid0(VALU_DEP_2) | instskip(SKIP_1) | instid1(VALU_DEP_3)
	v_dual_lshrrev_b32 v39, 9, v39 :: v_dual_bitop2_b32 v40, 0.5, v36 bitop3:0x54
	v_or_b32_e32 v36, 0x33000000, v36
	v_clz_i32_u32_e32 v43, v37
	s_delay_alu instid0(VALU_DEP_3) | instskip(NEXT) | instid1(VALU_DEP_2)
	v_sub_nc_u32_e32 v40, v40, v42
	v_min_u32_e32 v42, 32, v43
	s_delay_alu instid0(VALU_DEP_1) | instskip(NEXT) | instid1(VALU_DEP_3)
	v_add_lshl_u32 v41, v42, v41, 23
	v_or_b32_e32 v39, v39, v40
	v_not_b32_e32 v40, v42
	s_delay_alu instid0(VALU_DEP_2) | instskip(NEXT) | instid1(VALU_DEP_2)
	v_dual_mul_f32 v43, 0x3fc90fda, v39 :: v_dual_sub_nc_u32 v36, v36, v41
	v_alignbit_b32 v35, v37, v35, v40
	s_delay_alu instid0(VALU_DEP_2) | instskip(NEXT) | instid1(VALU_DEP_2)
	v_fma_f32 v37, 0x3fc90fda, v39, -v43
	v_lshrrev_b32_e32 v35, 9, v35
	s_delay_alu instid0(VALU_DEP_2) | instskip(NEXT) | instid1(VALU_DEP_2)
	v_fmac_f32_e32 v37, 0x33a22168, v39
	v_or_b32_e32 v35, v36, v35
	s_delay_alu instid0(VALU_DEP_1) | instskip(NEXT) | instid1(VALU_DEP_1)
	v_fmac_f32_e32 v37, 0x3fc90fda, v35
	v_dual_add_f32 v35, v43, v37 :: v_dual_add_nc_u32 v37, v38, v6
.LBB144_79:                             ;   in Loop: Header=BB144_57 Depth=1
	s_and_not1_saveexec_b32 s3, s26
; %bb.80:                               ;   in Loop: Header=BB144_57 Depth=1
	v_mul_f32_e64 v6, 0x3f22f983, |v30|
	s_delay_alu instid0(VALU_DEP_1) | instskip(NEXT) | instid1(VALU_DEP_1)
	v_rndne_f32_e32 v6, v6
	v_fma_f32 v35, 0xbfc90fda, v6, |v30|
	v_cvt_i32_f32_e32 v37, v6
	s_delay_alu instid0(VALU_DEP_2) | instskip(NEXT) | instid1(VALU_DEP_1)
	v_fmac_f32_e32 v35, 0xb3a22168, v6
	v_fmac_f32_e32 v35, 0xa7c234c4, v6
; %bb.81:                               ;   in Loop: Header=BB144_57 Depth=1
	s_or_b32 exec_lo, exec_lo, s3
	v_and_b32_e32 v36, 0x7fffffff, v19
	v_cmp_ngt_f32_e64 s26, 0x48000000, |v19|
                                        ; implicit-def: $vgpr40
                                        ; implicit-def: $vgpr38
	s_and_saveexec_b32 s3, s26
	s_delay_alu instid0(SALU_CYCLE_1)
	s_xor_b32 s27, exec_lo, s3
	s_cbranch_execz .LBB144_83
; %bb.82:                               ;   in Loop: Header=BB144_57 Depth=1
	v_and_or_b32 v6, v36, s22, 0x800000
	v_dual_mov_b32 v49, v7 :: v_dual_mov_b32 v51, v7
	s_delay_alu instid0(VALU_DEP_2) | instskip(NEXT) | instid1(VALU_DEP_1)
	v_mul_u64_e32 v[38:39], s[18:19], v[6:7]
	v_dual_mov_b32 v41, v7 :: v_dual_mov_b32 v40, v39
	v_lshrrev_b32_e32 v39, 23, v36
	s_delay_alu instid0(VALU_DEP_2) | instskip(SKIP_1) | instid1(VALU_DEP_3)
	v_mad_nc_u64_u32 v[40:41], 0x3c439041, v6, v[40:41]
	v_mov_b32_e32 v43, v7
	v_add_nc_u32_e32 v39, 0xffffff88, v39
	s_delay_alu instid0(VALU_DEP_1) | instskip(NEXT) | instid1(VALU_DEP_4)
	v_cmp_lt_u32_e64 s3, 63, v39
	v_mov_b32_e32 v42, v41
	s_delay_alu instid0(VALU_DEP_2) | instskip(NEXT) | instid1(VALU_DEP_2)
	v_cndmask_b32_e64 v41, 0, 0xffffffc0, s3
	v_mad_nc_u64_u32 v[42:43], 0xdb629599, v6, v[42:43]
	s_delay_alu instid0(VALU_DEP_2) | instskip(NEXT) | instid1(VALU_DEP_1)
	v_dual_mov_b32 v45, v7 :: v_dual_add_nc_u32 v39, v41, v39
	v_cmp_lt_u32_e64 s4, 31, v39
	s_delay_alu instid0(VALU_DEP_3) | instskip(NEXT) | instid1(VALU_DEP_2)
	v_mov_b32_e32 v44, v43
	v_cndmask_b32_e64 v41, 0, 0xffffffe0, s4
	v_cndmask_b32_e64 v38, v42, v38, s3
	s_delay_alu instid0(VALU_DEP_3) | instskip(NEXT) | instid1(VALU_DEP_1)
	v_mad_nc_u64_u32 v[44:45], 0xf534ddc0, v6, v[44:45]
	v_dual_mov_b32 v47, v7 :: v_dual_mov_b32 v46, v45
	s_delay_alu instid0(VALU_DEP_1) | instskip(NEXT) | instid1(VALU_DEP_1)
	v_mad_nc_u64_u32 v[46:47], 0xfc2757d1, v6, v[46:47]
	v_mov_b32_e32 v48, v47
	s_delay_alu instid0(VALU_DEP_1) | instskip(NEXT) | instid1(VALU_DEP_1)
	v_mad_nc_u64_u32 v[48:49], 0x4e441529, v6, v[48:49]
	v_mov_b32_e32 v50, v49
	s_delay_alu instid0(VALU_DEP_1) | instskip(NEXT) | instid1(VALU_DEP_3)
	v_mad_nc_u64_u32 v[50:51], 0xa2f9836e, v6, v[50:51]
	v_dual_add_nc_u32 v6, v41, v39 :: v_dual_cndmask_b32 v41, v48, v44, s3
	s_delay_alu instid0(VALU_DEP_2) | instskip(NEXT) | instid1(VALU_DEP_2)
	v_cndmask_b32_e64 v43, v50, v46, s3
	v_cmp_lt_u32_e64 s5, 31, v6
	s_delay_alu instid0(VALU_DEP_4) | instskip(NEXT) | instid1(VALU_DEP_2)
	v_dual_cndmask_b32 v45, v51, v48, s3 :: v_dual_cndmask_b32 v46, v46, v42, s3
	v_cndmask_b32_e64 v39, 0, 0xffffffe0, s5
	s_delay_alu instid0(VALU_DEP_1) | instskip(NEXT) | instid1(VALU_DEP_3)
	v_dual_add_nc_u32 v6, v39, v6 :: v_dual_cndmask_b32 v39, v44, v40, s3
	v_dual_cndmask_b32 v40, v43, v41, s4 :: v_dual_cndmask_b32 v43, v45, v43, s4
	s_delay_alu instid0(VALU_DEP_4) | instskip(NEXT) | instid1(VALU_DEP_3)
	v_cndmask_b32_e64 v41, v41, v46, s4
	v_dual_sub_nc_u32 v44, 32, v6 :: v_dual_cndmask_b32 v45, v46, v39, s4
	v_cmp_eq_u32_e64 s3, 0, v6
	s_delay_alu instid0(VALU_DEP_3) | instskip(NEXT) | instid1(VALU_DEP_1)
	v_dual_cndmask_b32 v43, v43, v40, s5 :: v_dual_cndmask_b32 v40, v40, v41, s5
	v_alignbit_b32 v46, v43, v40, v44
	s_delay_alu instid0(VALU_DEP_1) | instskip(NEXT) | instid1(VALU_DEP_1)
	v_dual_cndmask_b32 v41, v41, v45, s5 :: v_dual_cndmask_b32 v6, v46, v43, s3
	v_alignbit_b32 v42, v40, v41, v44
	s_delay_alu instid0(VALU_DEP_1) | instskip(NEXT) | instid1(VALU_DEP_3)
	v_dual_cndmask_b32 v38, v39, v38, s4 :: v_dual_cndmask_b32 v39, v42, v40, s3
	v_bfe_u32 v40, v6, 29, 1
	s_delay_alu instid0(VALU_DEP_2) | instskip(NEXT) | instid1(VALU_DEP_3)
	v_cndmask_b32_e64 v38, v45, v38, s5
	v_alignbit_b32 v42, v6, v39, 30
	s_delay_alu instid0(VALU_DEP_3) | instskip(NEXT) | instid1(VALU_DEP_3)
	v_sub_nc_u32_e32 v43, 0, v40
	v_alignbit_b32 v44, v41, v38, v44
	s_delay_alu instid0(VALU_DEP_1) | instskip(NEXT) | instid1(VALU_DEP_1)
	v_dual_cndmask_b32 v41, v44, v41, s3 :: v_dual_bitop2_b32 v42, v42, v43 bitop3:0x14
	v_clz_i32_u32_e32 v44, v42
	s_delay_alu instid0(VALU_DEP_2) | instskip(SKIP_1) | instid1(VALU_DEP_3)
	v_alignbit_b32 v39, v39, v41, 30
	v_alignbit_b32 v38, v41, v38, 30
	v_min_u32_e32 v44, 32, v44
	s_delay_alu instid0(VALU_DEP_3) | instskip(NEXT) | instid1(VALU_DEP_3)
	v_xor_b32_e32 v39, v39, v43
	v_dual_lshrrev_b32 v43, 29, v6 :: v_dual_bitop2_b32 v38, v38, v43 bitop3:0x14
	s_delay_alu instid0(VALU_DEP_3) | instskip(NEXT) | instid1(VALU_DEP_1)
	v_dual_sub_nc_u32 v41, 31, v44 :: v_dual_lshlrev_b32 v45, 23, v44
	v_alignbit_b32 v42, v42, v39, v41
	s_delay_alu instid0(VALU_DEP_3) | instskip(NEXT) | instid1(VALU_DEP_4)
	v_alignbit_b32 v38, v39, v38, v41
	v_lshlrev_b32_e32 v39, 31, v43
	s_delay_alu instid0(VALU_DEP_2) | instskip(NEXT) | instid1(VALU_DEP_2)
	v_alignbit_b32 v41, v42, v38, 9
	v_dual_lshrrev_b32 v42, 9, v42 :: v_dual_bitop2_b32 v43, 0.5, v39 bitop3:0x54
	v_or_b32_e32 v39, 0x33000000, v39
	s_delay_alu instid0(VALU_DEP_3) | instskip(NEXT) | instid1(VALU_DEP_3)
	v_clz_i32_u32_e32 v46, v41
	v_sub_nc_u32_e32 v43, v43, v45
	s_delay_alu instid0(VALU_DEP_2) | instskip(NEXT) | instid1(VALU_DEP_1)
	v_min_u32_e32 v45, 32, v46
	v_add_lshl_u32 v44, v45, v44, 23
	s_delay_alu instid0(VALU_DEP_3) | instskip(SKIP_1) | instid1(VALU_DEP_2)
	v_or_b32_e32 v42, v42, v43
	v_not_b32_e32 v43, v45
	v_dual_mul_f32 v46, 0x3fc90fda, v42 :: v_dual_sub_nc_u32 v39, v39, v44
	s_delay_alu instid0(VALU_DEP_2) | instskip(NEXT) | instid1(VALU_DEP_2)
	v_alignbit_b32 v38, v41, v38, v43
	v_fma_f32 v41, 0x3fc90fda, v42, -v46
	s_delay_alu instid0(VALU_DEP_2) | instskip(NEXT) | instid1(VALU_DEP_2)
	v_lshrrev_b32_e32 v38, 9, v38
	v_fmac_f32_e32 v41, 0x33a22168, v42
	s_delay_alu instid0(VALU_DEP_2) | instskip(NEXT) | instid1(VALU_DEP_1)
	v_or_b32_e32 v38, v39, v38
	v_fmac_f32_e32 v41, 0x3fc90fda, v38
	s_delay_alu instid0(VALU_DEP_1) | instskip(NEXT) | instid1(VALU_DEP_1)
	v_dual_lshrrev_b32 v6, 30, v6 :: v_dual_add_f32 v38, v46, v41
	v_add_nc_u32_e32 v40, v40, v6
	s_and_not1_saveexec_b32 s3, s27
	s_branch .LBB144_84
.LBB144_83:                             ;   in Loop: Header=BB144_57 Depth=1
	s_and_not1_saveexec_b32 s3, s27
.LBB144_84:                             ;   in Loop: Header=BB144_57 Depth=1
	v_mul_f32_e64 v6, 0x3f22f983, |v19|
	s_delay_alu instid0(VALU_DEP_1) | instskip(NEXT) | instid1(VALU_DEP_1)
	v_rndne_f32_e32 v6, v6
	v_fma_f32 v38, 0xbfc90fda, v6, |v19|
	v_cvt_i32_f32_e32 v40, v6
	s_delay_alu instid0(VALU_DEP_2) | instskip(NEXT) | instid1(VALU_DEP_1)
	v_fmac_f32_e32 v38, 0xb3a22168, v6
	v_fmac_f32_e32 v38, 0xa7c234c4, v6
; %bb.85:                               ;   in Loop: Header=BB144_57 Depth=1
	s_or_b32 exec_lo, exec_lo, s3
                                        ; implicit-def: $vgpr43
                                        ; implicit-def: $vgpr42
	s_and_saveexec_b32 s3, s26
	s_delay_alu instid0(SALU_CYCLE_1)
	s_xor_b32 s26, exec_lo, s3
	s_cbranch_execz .LBB144_87
; %bb.86:                               ;   in Loop: Header=BB144_57 Depth=1
	v_and_or_b32 v6, v36, s22, 0x800000
	v_dual_lshrrev_b32 v39, 23, v36 :: v_dual_mov_b32 v53, v7
	v_mov_b32_e32 v55, v7
	s_delay_alu instid0(VALU_DEP_3) | instskip(SKIP_1) | instid1(VALU_DEP_4)
	v_mul_u64_e32 v[42:43], s[18:19], v[6:7]
	v_mov_b32_e32 v45, v7
	v_add_nc_u32_e32 v39, 0xffffff88, v39
	s_delay_alu instid0(VALU_DEP_1) | instskip(NEXT) | instid1(VALU_DEP_1)
	v_cmp_lt_u32_e64 s3, 63, v39
	v_cndmask_b32_e64 v41, 0, 0xffffffc0, s3
	s_delay_alu instid0(VALU_DEP_1) | instskip(NEXT) | instid1(VALU_DEP_1)
	v_add_nc_u32_e32 v39, v41, v39
	v_cmp_lt_u32_e64 s4, 31, v39
	s_delay_alu instid0(VALU_DEP_1) | instskip(SKIP_1) | instid1(VALU_DEP_1)
	v_cndmask_b32_e64 v41, 0, 0xffffffe0, s4
	v_mov_b32_e32 v44, v43
	v_mad_nc_u64_u32 v[44:45], 0x3c439041, v6, v[44:45]
	s_delay_alu instid0(VALU_DEP_1) | instskip(NEXT) | instid1(VALU_DEP_1)
	v_dual_mov_b32 v47, v7 :: v_dual_mov_b32 v46, v45
	v_mad_nc_u64_u32 v[46:47], 0xdb629599, v6, v[46:47]
	s_delay_alu instid0(VALU_DEP_1) | instskip(NEXT) | instid1(VALU_DEP_1)
	v_dual_mov_b32 v49, v7 :: v_dual_mov_b32 v48, v47
	;; [unrolled: 3-line block ×3, first 2 shown]
	v_mad_nc_u64_u32 v[50:51], 0xfc2757d1, v6, v[50:51]
	s_delay_alu instid0(VALU_DEP_1) | instskip(NEXT) | instid1(VALU_DEP_1)
	v_dual_mov_b32 v52, v51 :: v_dual_cndmask_b32 v47, v50, v46, s3
	v_mad_nc_u64_u32 v[52:53], 0x4e441529, v6, v[52:53]
	s_delay_alu instid0(VALU_DEP_1) | instskip(NEXT) | instid1(VALU_DEP_1)
	v_mov_b32_e32 v54, v53
	v_mad_nc_u64_u32 v[54:55], 0xa2f9836e, v6, v[54:55]
	s_delay_alu instid0(VALU_DEP_3) | instskip(NEXT) | instid1(VALU_DEP_2)
	v_dual_add_nc_u32 v6, v41, v39 :: v_dual_cndmask_b32 v41, v52, v48, s3
	v_dual_cndmask_b32 v43, v54, v50, s3 :: v_dual_cndmask_b32 v45, v55, v52, s3
	s_delay_alu instid0(VALU_DEP_2) | instskip(NEXT) | instid1(VALU_DEP_1)
	v_cmp_lt_u32_e64 s5, 31, v6
	v_cndmask_b32_e64 v39, 0, 0xffffffe0, s5
	s_delay_alu instid0(VALU_DEP_1) | instskip(NEXT) | instid1(VALU_DEP_4)
	v_dual_add_nc_u32 v6, v39, v6 :: v_dual_cndmask_b32 v39, v48, v44, s3
	v_dual_cndmask_b32 v44, v43, v41, s4 :: v_dual_cndmask_b32 v43, v45, v43, s4
	s_delay_alu instid0(VALU_DEP_2) | instskip(NEXT) | instid1(VALU_DEP_3)
	v_dual_cndmask_b32 v41, v41, v47, s4 :: v_dual_sub_nc_u32 v45, 32, v6
	v_cndmask_b32_e64 v47, v47, v39, s4
	s_delay_alu instid0(VALU_DEP_2) | instskip(NEXT) | instid1(VALU_DEP_2)
	v_dual_cndmask_b32 v43, v43, v44, s5 :: v_dual_cndmask_b32 v44, v44, v41, s5
	v_cndmask_b32_e64 v41, v41, v47, s5
	s_delay_alu instid0(VALU_DEP_2) | instskip(SKIP_2) | instid1(VALU_DEP_4)
	v_alignbit_b32 v48, v43, v44, v45
	v_cndmask_b32_e64 v42, v46, v42, s3
	v_cmp_eq_u32_e64 s3, 0, v6
	v_alignbit_b32 v46, v44, v41, v45
	s_delay_alu instid0(VALU_DEP_2) | instskip(NEXT) | instid1(VALU_DEP_2)
	v_dual_cndmask_b32 v6, v48, v43, s3 :: v_dual_cndmask_b32 v39, v39, v42, s4
	v_cndmask_b32_e64 v42, v46, v44, s3
	s_delay_alu instid0(VALU_DEP_2) | instskip(NEXT) | instid1(VALU_DEP_2)
	v_bfe_u32 v43, v6, 29, 1
	v_alignbit_b32 v44, v6, v42, 30
	s_delay_alu instid0(VALU_DEP_2) | instskip(NEXT) | instid1(VALU_DEP_1)
	v_sub_nc_u32_e32 v46, 0, v43
	v_dual_cndmask_b32 v39, v47, v39, s5 :: v_dual_bitop2_b32 v44, v44, v46 bitop3:0x14
	s_delay_alu instid0(VALU_DEP_1) | instskip(NEXT) | instid1(VALU_DEP_1)
	v_alignbit_b32 v45, v41, v39, v45
	v_cndmask_b32_e64 v41, v45, v41, s3
	s_delay_alu instid0(VALU_DEP_3) | instskip(NEXT) | instid1(VALU_DEP_2)
	v_clz_i32_u32_e32 v45, v44
	v_alignbit_b32 v42, v42, v41, 30
	s_delay_alu instid0(VALU_DEP_2) | instskip(SKIP_1) | instid1(VALU_DEP_2)
	v_min_u32_e32 v45, 32, v45
	v_alignbit_b32 v39, v41, v39, 30
	v_dual_sub_nc_u32 v42, 31, v45 :: v_dual_bitop2_b32 v41, v42, v46 bitop3:0x14
	s_delay_alu instid0(VALU_DEP_2) | instskip(SKIP_2) | instid1(VALU_DEP_4)
	v_xor_b32_e32 v39, v39, v46
	v_dual_lshrrev_b32 v46, 29, v6 :: v_dual_lshlrev_b32 v47, 23, v45
	v_lshrrev_b32_e32 v6, 30, v6
	v_alignbit_b32 v44, v44, v41, v42
	s_delay_alu instid0(VALU_DEP_4) | instskip(NEXT) | instid1(VALU_DEP_4)
	v_alignbit_b32 v39, v41, v39, v42
	v_lshlrev_b32_e32 v41, 31, v46
	s_delay_alu instid0(VALU_DEP_4) | instskip(NEXT) | instid1(VALU_DEP_3)
	v_add_nc_u32_e32 v43, v43, v6
	v_alignbit_b32 v42, v44, v39, 9
	s_delay_alu instid0(VALU_DEP_3) | instskip(SKIP_1) | instid1(VALU_DEP_3)
	v_dual_lshrrev_b32 v44, 9, v44 :: v_dual_bitop2_b32 v46, 0.5, v41 bitop3:0x54
	v_or_b32_e32 v41, 0x33000000, v41
	v_clz_i32_u32_e32 v48, v42
	s_delay_alu instid0(VALU_DEP_3) | instskip(NEXT) | instid1(VALU_DEP_2)
	v_sub_nc_u32_e32 v46, v46, v47
	v_min_u32_e32 v47, 32, v48
	s_delay_alu instid0(VALU_DEP_1) | instskip(NEXT) | instid1(VALU_DEP_1)
	v_add_lshl_u32 v45, v47, v45, 23
	v_dual_sub_nc_u32 v41, v41, v45 :: v_dual_bitop2_b32 v44, v44, v46 bitop3:0x54
	v_not_b32_e32 v46, v47
	s_delay_alu instid0(VALU_DEP_1) | instskip(NEXT) | instid1(VALU_DEP_1)
	v_alignbit_b32 v39, v42, v39, v46
	v_dual_mul_f32 v48, 0x3fc90fda, v44 :: v_dual_lshrrev_b32 v39, 9, v39
	s_delay_alu instid0(VALU_DEP_1) | instskip(NEXT) | instid1(VALU_DEP_2)
	v_or_b32_e32 v39, v41, v39
	v_fma_f32 v42, 0x3fc90fda, v44, -v48
	s_delay_alu instid0(VALU_DEP_1) | instskip(NEXT) | instid1(VALU_DEP_1)
	v_fmac_f32_e32 v42, 0x33a22168, v44
	v_fmac_f32_e32 v42, 0x3fc90fda, v39
	s_delay_alu instid0(VALU_DEP_1)
	v_add_f32_e32 v42, v48, v42
	s_and_not1_saveexec_b32 s3, s26
	s_cbranch_execnz .LBB144_88
	s_branch .LBB144_89
.LBB144_87:                             ;   in Loop: Header=BB144_57 Depth=1
	s_and_not1_saveexec_b32 s3, s26
.LBB144_88:                             ;   in Loop: Header=BB144_57 Depth=1
	v_mul_f32_e64 v6, 0x3f22f983, |v19|
	s_delay_alu instid0(VALU_DEP_1) | instskip(NEXT) | instid1(VALU_DEP_1)
	v_rndne_f32_e32 v6, v6
	v_fma_f32 v42, 0xbfc90fda, v6, |v19|
	v_cvt_i32_f32_e32 v43, v6
	s_delay_alu instid0(VALU_DEP_2) | instskip(NEXT) | instid1(VALU_DEP_1)
	v_fmac_f32_e32 v42, 0xb3a22168, v6
	v_fmac_f32_e32 v42, 0xa7c234c4, v6
.LBB144_89:                             ;   in Loop: Header=BB144_57 Depth=1
	s_or_b32 exec_lo, exec_lo, s3
	v_mul_f32_e32 v39, 0.5, v13
                                        ; implicit-def: $vgpr46
                                        ; implicit-def: $vgpr44
	s_mov_b32 s4, exec_lo
	s_delay_alu instid0(VALU_DEP_1)
	v_and_b32_e32 v41, 0x7fffffff, v39
	v_cmpx_ngt_f32_e64 0x48000000, |v39|
	s_xor_b32 s26, exec_lo, s4
	s_cbranch_execz .LBB144_91
; %bb.90:                               ;   in Loop: Header=BB144_57 Depth=1
	s_delay_alu instid0(VALU_DEP_2) | instskip(SKIP_1) | instid1(VALU_DEP_2)
	v_and_or_b32 v6, v41, s22, 0x800000
	v_mov_b32_e32 v55, v7
	v_mul_u64_e32 v[44:45], s[18:19], v[6:7]
	s_delay_alu instid0(VALU_DEP_1) | instskip(SKIP_1) | instid1(VALU_DEP_2)
	v_dual_mov_b32 v47, v7 :: v_dual_mov_b32 v46, v45
	v_lshrrev_b32_e32 v45, 23, v41
	v_mad_nc_u64_u32 v[46:47], 0x3c439041, v6, v[46:47]
	v_mov_b32_e32 v49, v7
	s_delay_alu instid0(VALU_DEP_3) | instskip(NEXT) | instid1(VALU_DEP_1)
	v_add_nc_u32_e32 v45, 0xffffff88, v45
	v_cmp_lt_u32_e64 s3, 63, v45
	s_delay_alu instid0(VALU_DEP_4) | instskip(NEXT) | instid1(VALU_DEP_2)
	v_mov_b32_e32 v48, v47
	v_cndmask_b32_e64 v47, 0, 0xffffffc0, s3
	s_delay_alu instid0(VALU_DEP_2) | instskip(NEXT) | instid1(VALU_DEP_1)
	v_mad_nc_u64_u32 v[48:49], 0xdb629599, v6, v[48:49]
	v_dual_mov_b32 v51, v7 :: v_dual_mov_b32 v50, v49
	s_delay_alu instid0(VALU_DEP_2) | instskip(NEXT) | instid1(VALU_DEP_2)
	v_cndmask_b32_e64 v44, v48, v44, s3
	v_mad_nc_u64_u32 v[50:51], 0xf534ddc0, v6, v[50:51]
	s_delay_alu instid0(VALU_DEP_1) | instskip(NEXT) | instid1(VALU_DEP_1)
	v_dual_mov_b32 v53, v7 :: v_dual_mov_b32 v52, v51
	v_mad_nc_u64_u32 v[52:53], 0xfc2757d1, v6, v[52:53]
	s_delay_alu instid0(VALU_DEP_1) | instskip(NEXT) | instid1(VALU_DEP_1)
	v_mov_b32_e32 v54, v53
	v_mad_nc_u64_u32 v[54:55], 0x4e441529, v6, v[54:55]
	v_add_nc_u32_e32 v45, v47, v45
	v_mov_b32_e32 v57, v7
	s_delay_alu instid0(VALU_DEP_2) | instskip(NEXT) | instid1(VALU_DEP_4)
	v_cmp_lt_u32_e64 s4, 31, v45
	v_mov_b32_e32 v56, v55
	s_delay_alu instid0(VALU_DEP_2) | instskip(NEXT) | instid1(VALU_DEP_2)
	v_cndmask_b32_e64 v47, 0, 0xffffffe0, s4
	v_mad_nc_u64_u32 v[56:57], 0xa2f9836e, v6, v[56:57]
	s_delay_alu instid0(VALU_DEP_2) | instskip(NEXT) | instid1(VALU_DEP_2)
	v_dual_add_nc_u32 v6, v47, v45 :: v_dual_cndmask_b32 v47, v54, v50, s3
	v_cndmask_b32_e64 v49, v56, v52, s3
	s_delay_alu instid0(VALU_DEP_2) | instskip(NEXT) | instid1(VALU_DEP_4)
	v_cmp_lt_u32_e64 s5, 31, v6
	v_dual_cndmask_b32 v51, v57, v54, s3 :: v_dual_cndmask_b32 v52, v52, v48, s3
	s_delay_alu instid0(VALU_DEP_2) | instskip(NEXT) | instid1(VALU_DEP_1)
	v_cndmask_b32_e64 v45, 0, 0xffffffe0, s5
	v_add_nc_u32_e32 v6, v45, v6
	v_dual_cndmask_b32 v45, v50, v46, s3 :: v_dual_cndmask_b32 v46, v49, v47, s4
	s_delay_alu instid0(VALU_DEP_4) | instskip(NEXT) | instid1(VALU_DEP_3)
	v_cndmask_b32_e64 v49, v51, v49, s4
	v_dual_cndmask_b32 v47, v47, v52, s4 :: v_dual_sub_nc_u32 v50, 32, v6
	s_delay_alu instid0(VALU_DEP_3) | instskip(SKIP_1) | instid1(VALU_DEP_3)
	v_cndmask_b32_e64 v51, v52, v45, s4
	v_cmp_eq_u32_e64 s3, 0, v6
	v_dual_cndmask_b32 v49, v49, v46, s5 :: v_dual_cndmask_b32 v46, v46, v47, s5
	s_delay_alu instid0(VALU_DEP_1) | instskip(NEXT) | instid1(VALU_DEP_1)
	v_alignbit_b32 v52, v49, v46, v50
	v_dual_cndmask_b32 v47, v47, v51, s5 :: v_dual_cndmask_b32 v6, v52, v49, s3
	s_delay_alu instid0(VALU_DEP_1) | instskip(NEXT) | instid1(VALU_DEP_1)
	v_alignbit_b32 v48, v46, v47, v50
	v_dual_cndmask_b32 v44, v45, v44, s4 :: v_dual_cndmask_b32 v45, v48, v46, s3
	s_delay_alu instid0(VALU_DEP_3) | instskip(NEXT) | instid1(VALU_DEP_2)
	v_bfe_u32 v46, v6, 29, 1
	v_cndmask_b32_e64 v44, v51, v44, s5
	s_delay_alu instid0(VALU_DEP_3) | instskip(NEXT) | instid1(VALU_DEP_3)
	v_alignbit_b32 v48, v6, v45, 30
	v_sub_nc_u32_e32 v49, 0, v46
	s_delay_alu instid0(VALU_DEP_3) | instskip(NEXT) | instid1(VALU_DEP_1)
	v_alignbit_b32 v50, v47, v44, v50
	v_dual_cndmask_b32 v47, v50, v47, s3 :: v_dual_bitop2_b32 v48, v48, v49 bitop3:0x14
	s_delay_alu instid0(VALU_DEP_1) | instskip(NEXT) | instid1(VALU_DEP_2)
	v_clz_i32_u32_e32 v50, v48
	v_alignbit_b32 v45, v45, v47, 30
	v_alignbit_b32 v44, v47, v44, 30
	s_delay_alu instid0(VALU_DEP_3) | instskip(NEXT) | instid1(VALU_DEP_3)
	v_min_u32_e32 v50, 32, v50
	v_xor_b32_e32 v45, v45, v49
	s_delay_alu instid0(VALU_DEP_3) | instskip(SKIP_1) | instid1(VALU_DEP_4)
	v_dual_lshrrev_b32 v49, 29, v6 :: v_dual_bitop2_b32 v44, v44, v49 bitop3:0x14
	v_lshrrev_b32_e32 v6, 30, v6
	v_dual_sub_nc_u32 v47, 31, v50 :: v_dual_lshlrev_b32 v51, 23, v50
	s_delay_alu instid0(VALU_DEP_2) | instskip(NEXT) | instid1(VALU_DEP_2)
	v_add_nc_u32_e32 v46, v46, v6
	v_alignbit_b32 v48, v48, v45, v47
	v_alignbit_b32 v44, v45, v44, v47
	v_lshlrev_b32_e32 v45, 31, v49
	s_delay_alu instid0(VALU_DEP_2) | instskip(NEXT) | instid1(VALU_DEP_2)
	v_alignbit_b32 v47, v48, v44, 9
	v_dual_lshrrev_b32 v48, 9, v48 :: v_dual_bitop2_b32 v49, 0.5, v45 bitop3:0x54
	v_or_b32_e32 v45, 0x33000000, v45
	s_delay_alu instid0(VALU_DEP_3) | instskip(NEXT) | instid1(VALU_DEP_3)
	v_clz_i32_u32_e32 v52, v47
	v_sub_nc_u32_e32 v49, v49, v51
	s_delay_alu instid0(VALU_DEP_2) | instskip(NEXT) | instid1(VALU_DEP_1)
	v_min_u32_e32 v51, 32, v52
	v_add_lshl_u32 v50, v51, v50, 23
	s_delay_alu instid0(VALU_DEP_3) | instskip(SKIP_1) | instid1(VALU_DEP_2)
	v_or_b32_e32 v48, v48, v49
	v_not_b32_e32 v49, v51
	v_dual_mul_f32 v52, 0x3fc90fda, v48 :: v_dual_sub_nc_u32 v45, v45, v50
	s_delay_alu instid0(VALU_DEP_2) | instskip(NEXT) | instid1(VALU_DEP_2)
	v_alignbit_b32 v44, v47, v44, v49
	v_fma_f32 v47, 0x3fc90fda, v48, -v52
	s_delay_alu instid0(VALU_DEP_2) | instskip(NEXT) | instid1(VALU_DEP_2)
	v_lshrrev_b32_e32 v44, 9, v44
	v_fmac_f32_e32 v47, 0x33a22168, v48
	s_delay_alu instid0(VALU_DEP_2) | instskip(NEXT) | instid1(VALU_DEP_1)
	v_or_b32_e32 v44, v45, v44
	v_fmac_f32_e32 v47, 0x3fc90fda, v44
	s_delay_alu instid0(VALU_DEP_1)
	v_add_f32_e32 v44, v52, v47
.LBB144_91:                             ;   in Loop: Header=BB144_57 Depth=1
	s_and_not1_saveexec_b32 s3, s26
; %bb.92:                               ;   in Loop: Header=BB144_57 Depth=1
	v_mul_f32_e64 v6, 0x3f22f983, |v39|
	s_delay_alu instid0(VALU_DEP_1) | instskip(NEXT) | instid1(VALU_DEP_1)
	v_rndne_f32_e32 v6, v6
	v_fma_f32 v44, 0xbfc90fda, v6, |v39|
	v_cvt_i32_f32_e32 v46, v6
	s_delay_alu instid0(VALU_DEP_2) | instskip(NEXT) | instid1(VALU_DEP_1)
	v_fmac_f32_e32 v44, 0xb3a22168, v6
	v_fmac_f32_e32 v44, 0xa7c234c4, v6
; %bb.93:                               ;   in Loop: Header=BB144_57 Depth=1
	s_or_b32 exec_lo, exec_lo, s3
	v_and_b32_e32 v45, 0x7fffffff, v13
	v_cmp_ngt_f32_e64 s26, 0x48000000, |v13|
                                        ; implicit-def: $vgpr49
                                        ; implicit-def: $vgpr47
	s_and_saveexec_b32 s3, s26
	s_delay_alu instid0(SALU_CYCLE_1)
	s_xor_b32 s27, exec_lo, s3
	s_cbranch_execz .LBB144_95
; %bb.94:                               ;   in Loop: Header=BB144_57 Depth=1
	v_and_or_b32 v6, v45, s22, 0x800000
	v_dual_lshrrev_b32 v47, 23, v45 :: v_dual_mov_b32 v59, v7
	v_mov_b32_e32 v61, v7
	s_delay_alu instid0(VALU_DEP_3) | instskip(SKIP_1) | instid1(VALU_DEP_4)
	v_mul_u64_e32 v[48:49], s[18:19], v[6:7]
	v_mov_b32_e32 v51, v7
	v_add_nc_u32_e32 v47, 0xffffff88, v47
	s_delay_alu instid0(VALU_DEP_1) | instskip(NEXT) | instid1(VALU_DEP_4)
	v_cmp_lt_u32_e64 s3, 63, v47
	v_mov_b32_e32 v50, v49
	s_delay_alu instid0(VALU_DEP_2) | instskip(NEXT) | instid1(VALU_DEP_2)
	v_cndmask_b32_e64 v49, 0, 0xffffffc0, s3
	v_mad_nc_u64_u32 v[50:51], 0x3c439041, v6, v[50:51]
	s_delay_alu instid0(VALU_DEP_2) | instskip(NEXT) | instid1(VALU_DEP_1)
	v_dual_mov_b32 v53, v7 :: v_dual_add_nc_u32 v47, v49, v47
	v_cmp_lt_u32_e64 s4, 31, v47
	s_delay_alu instid0(VALU_DEP_3) | instskip(NEXT) | instid1(VALU_DEP_2)
	v_mov_b32_e32 v52, v51
	v_cndmask_b32_e64 v49, 0, 0xffffffe0, s4
	s_delay_alu instid0(VALU_DEP_2) | instskip(NEXT) | instid1(VALU_DEP_1)
	v_mad_nc_u64_u32 v[52:53], 0xdb629599, v6, v[52:53]
	v_dual_mov_b32 v55, v7 :: v_dual_mov_b32 v54, v53
	s_delay_alu instid0(VALU_DEP_2) | instskip(NEXT) | instid1(VALU_DEP_2)
	v_cndmask_b32_e64 v48, v52, v48, s3
	v_mad_nc_u64_u32 v[54:55], 0xf534ddc0, v6, v[54:55]
	s_delay_alu instid0(VALU_DEP_1) | instskip(NEXT) | instid1(VALU_DEP_1)
	v_dual_mov_b32 v57, v7 :: v_dual_mov_b32 v56, v55
	v_mad_nc_u64_u32 v[56:57], 0xfc2757d1, v6, v[56:57]
	s_delay_alu instid0(VALU_DEP_1) | instskip(NEXT) | instid1(VALU_DEP_1)
	v_dual_mov_b32 v58, v57 :: v_dual_cndmask_b32 v55, v56, v52, s3
	v_mad_nc_u64_u32 v[58:59], 0x4e441529, v6, v[58:59]
	s_delay_alu instid0(VALU_DEP_1) | instskip(NEXT) | instid1(VALU_DEP_1)
	v_mov_b32_e32 v60, v59
	v_mad_nc_u64_u32 v[60:61], 0xa2f9836e, v6, v[60:61]
	s_delay_alu instid0(VALU_DEP_3) | instskip(NEXT) | instid1(VALU_DEP_1)
	v_dual_add_nc_u32 v6, v49, v47 :: v_dual_cndmask_b32 v49, v58, v54, s3
	v_cmp_lt_u32_e64 s5, 31, v6
	s_delay_alu instid0(VALU_DEP_1) | instskip(NEXT) | instid1(VALU_DEP_4)
	v_cndmask_b32_e64 v47, 0, 0xffffffe0, s5
	v_dual_cndmask_b32 v51, v60, v56, s3 :: v_dual_cndmask_b32 v53, v61, v58, s3
	s_delay_alu instid0(VALU_DEP_2) | instskip(NEXT) | instid1(VALU_DEP_2)
	v_add_nc_u32_e32 v6, v47, v6
	v_dual_cndmask_b32 v47, v54, v50, s3 :: v_dual_cndmask_b32 v50, v51, v49, s4
	s_delay_alu instid0(VALU_DEP_3) | instskip(NEXT) | instid1(VALU_DEP_3)
	v_cndmask_b32_e64 v51, v53, v51, s4
	v_dual_cndmask_b32 v49, v49, v55, s4 :: v_dual_sub_nc_u32 v53, 32, v6
	s_delay_alu instid0(VALU_DEP_3) | instskip(SKIP_1) | instid1(VALU_DEP_3)
	v_cndmask_b32_e64 v54, v55, v47, s4
	v_cmp_eq_u32_e64 s3, 0, v6
	v_dual_cndmask_b32 v51, v51, v50, s5 :: v_dual_cndmask_b32 v50, v50, v49, s5
	s_delay_alu instid0(VALU_DEP_1) | instskip(NEXT) | instid1(VALU_DEP_1)
	v_alignbit_b32 v55, v51, v50, v53
	v_dual_cndmask_b32 v49, v49, v54, s5 :: v_dual_cndmask_b32 v6, v55, v51, s3
	s_delay_alu instid0(VALU_DEP_1) | instskip(NEXT) | instid1(VALU_DEP_1)
	v_alignbit_b32 v52, v50, v49, v53
	v_dual_cndmask_b32 v47, v47, v48, s4 :: v_dual_cndmask_b32 v48, v52, v50, s3
	s_delay_alu instid0(VALU_DEP_3) | instskip(NEXT) | instid1(VALU_DEP_2)
	v_bfe_u32 v50, v6, 29, 1
	v_cndmask_b32_e64 v47, v54, v47, s5
	s_delay_alu instid0(VALU_DEP_3) | instskip(NEXT) | instid1(VALU_DEP_3)
	v_alignbit_b32 v51, v6, v48, 30
	v_sub_nc_u32_e32 v52, 0, v50
	s_delay_alu instid0(VALU_DEP_3) | instskip(NEXT) | instid1(VALU_DEP_1)
	v_alignbit_b32 v53, v49, v47, v53
	v_dual_cndmask_b32 v49, v53, v49, s3 :: v_dual_bitop2_b32 v51, v51, v52 bitop3:0x14
	s_delay_alu instid0(VALU_DEP_1) | instskip(NEXT) | instid1(VALU_DEP_2)
	v_clz_i32_u32_e32 v53, v51
	v_alignbit_b32 v48, v48, v49, 30
	v_alignbit_b32 v47, v49, v47, 30
	s_delay_alu instid0(VALU_DEP_3) | instskip(NEXT) | instid1(VALU_DEP_3)
	v_min_u32_e32 v53, 32, v53
	v_xor_b32_e32 v48, v48, v52
	s_delay_alu instid0(VALU_DEP_3) | instskip(NEXT) | instid1(VALU_DEP_3)
	v_dual_lshrrev_b32 v52, 29, v6 :: v_dual_bitop2_b32 v47, v47, v52 bitop3:0x14
	v_dual_lshrrev_b32 v6, 30, v6 :: v_dual_sub_nc_u32 v49, 31, v53
	v_lshlrev_b32_e32 v54, 23, v53
	s_delay_alu instid0(VALU_DEP_2) | instskip(NEXT) | instid1(VALU_DEP_4)
	v_alignbit_b32 v51, v51, v48, v49
	v_alignbit_b32 v47, v48, v47, v49
	v_lshlrev_b32_e32 v48, 31, v52
	s_delay_alu instid0(VALU_DEP_2) | instskip(NEXT) | instid1(VALU_DEP_2)
	v_alignbit_b32 v49, v51, v47, 9
	v_dual_lshrrev_b32 v51, 9, v51 :: v_dual_bitop2_b32 v52, 0.5, v48 bitop3:0x54
	v_or_b32_e32 v48, 0x33000000, v48
	s_delay_alu instid0(VALU_DEP_3) | instskip(NEXT) | instid1(VALU_DEP_3)
	v_clz_i32_u32_e32 v55, v49
	v_sub_nc_u32_e32 v52, v52, v54
	s_delay_alu instid0(VALU_DEP_2) | instskip(NEXT) | instid1(VALU_DEP_1)
	v_min_u32_e32 v54, 32, v55
	v_add_lshl_u32 v53, v54, v53, 23
	s_delay_alu instid0(VALU_DEP_3) | instskip(SKIP_1) | instid1(VALU_DEP_2)
	v_or_b32_e32 v51, v51, v52
	v_not_b32_e32 v52, v54
	v_dual_mul_f32 v55, 0x3fc90fda, v51 :: v_dual_sub_nc_u32 v48, v48, v53
	s_delay_alu instid0(VALU_DEP_2) | instskip(NEXT) | instid1(VALU_DEP_2)
	v_alignbit_b32 v47, v49, v47, v52
	v_fma_f32 v49, 0x3fc90fda, v51, -v55
	s_delay_alu instid0(VALU_DEP_2) | instskip(NEXT) | instid1(VALU_DEP_2)
	v_lshrrev_b32_e32 v47, 9, v47
	v_fmac_f32_e32 v49, 0x33a22168, v51
	s_delay_alu instid0(VALU_DEP_2) | instskip(NEXT) | instid1(VALU_DEP_1)
	v_or_b32_e32 v47, v48, v47
	v_fmac_f32_e32 v49, 0x3fc90fda, v47
	s_delay_alu instid0(VALU_DEP_1)
	v_dual_add_f32 v47, v55, v49 :: v_dual_add_nc_u32 v49, v50, v6
	s_and_not1_saveexec_b32 s3, s27
	s_branch .LBB144_96
.LBB144_95:                             ;   in Loop: Header=BB144_57 Depth=1
	s_and_not1_saveexec_b32 s3, s27
.LBB144_96:                             ;   in Loop: Header=BB144_57 Depth=1
	v_mul_f32_e64 v6, 0x3f22f983, |v13|
	s_delay_alu instid0(VALU_DEP_1) | instskip(NEXT) | instid1(VALU_DEP_1)
	v_rndne_f32_e32 v6, v6
	v_fma_f32 v47, 0xbfc90fda, v6, |v13|
	v_cvt_i32_f32_e32 v49, v6
	s_delay_alu instid0(VALU_DEP_2) | instskip(NEXT) | instid1(VALU_DEP_1)
	v_fmac_f32_e32 v47, 0xb3a22168, v6
	v_fmac_f32_e32 v47, 0xa7c234c4, v6
; %bb.97:                               ;   in Loop: Header=BB144_57 Depth=1
	s_or_b32 exec_lo, exec_lo, s3
                                        ; implicit-def: $vgpr52
                                        ; implicit-def: $vgpr51
	s_and_saveexec_b32 s3, s26
	s_delay_alu instid0(SALU_CYCLE_1)
	s_xor_b32 s26, exec_lo, s3
	s_cbranch_execz .LBB144_99
; %bb.98:                               ;   in Loop: Header=BB144_57 Depth=1
	v_and_or_b32 v6, v45, s22, 0x800000
	v_dual_mov_b32 v61, v7 :: v_dual_lshrrev_b32 v48, 23, v45
	v_mov_b32_e32 v63, v7
	s_delay_alu instid0(VALU_DEP_3) | instskip(NEXT) | instid1(VALU_DEP_3)
	v_mul_u64_e32 v[50:51], s[18:19], v[6:7]
	v_dual_mov_b32 v53, v7 :: v_dual_add_nc_u32 v48, 0xffffff88, v48
	s_delay_alu instid0(VALU_DEP_1) | instskip(NEXT) | instid1(VALU_DEP_3)
	v_cmp_lt_u32_e64 s3, 63, v48
	v_mov_b32_e32 v52, v51
	s_delay_alu instid0(VALU_DEP_2) | instskip(NEXT) | instid1(VALU_DEP_2)
	v_cndmask_b32_e64 v51, 0, 0xffffffc0, s3
	v_mad_nc_u64_u32 v[52:53], 0x3c439041, v6, v[52:53]
	s_delay_alu instid0(VALU_DEP_1) | instskip(NEXT) | instid1(VALU_DEP_1)
	v_dual_mov_b32 v55, v7 :: v_dual_mov_b32 v54, v53
	v_mad_nc_u64_u32 v[54:55], 0xdb629599, v6, v[54:55]
	s_delay_alu instid0(VALU_DEP_1) | instskip(NEXT) | instid1(VALU_DEP_2)
	v_dual_mov_b32 v57, v7 :: v_dual_mov_b32 v56, v55
	v_cndmask_b32_e64 v50, v54, v50, s3
	s_delay_alu instid0(VALU_DEP_2) | instskip(NEXT) | instid1(VALU_DEP_1)
	v_mad_nc_u64_u32 v[56:57], 0xf534ddc0, v6, v[56:57]
	v_dual_mov_b32 v59, v7 :: v_dual_mov_b32 v58, v57
	s_delay_alu instid0(VALU_DEP_1) | instskip(NEXT) | instid1(VALU_DEP_1)
	v_mad_nc_u64_u32 v[58:59], 0xfc2757d1, v6, v[58:59]
	v_dual_mov_b32 v60, v59 :: v_dual_cndmask_b32 v57, v58, v54, s3
	s_delay_alu instid0(VALU_DEP_1) | instskip(NEXT) | instid1(VALU_DEP_1)
	v_mad_nc_u64_u32 v[60:61], 0x4e441529, v6, v[60:61]
	v_dual_add_nc_u32 v48, v51, v48 :: v_dual_mov_b32 v62, v61
	s_delay_alu instid0(VALU_DEP_1) | instskip(NEXT) | instid1(VALU_DEP_2)
	v_cmp_lt_u32_e64 s4, 31, v48
	v_mad_nc_u64_u32 v[62:63], 0xa2f9836e, v6, v[62:63]
	s_delay_alu instid0(VALU_DEP_2) | instskip(NEXT) | instid1(VALU_DEP_1)
	v_cndmask_b32_e64 v51, 0, 0xffffffe0, s4
	v_add_nc_u32_e32 v6, v51, v48
	s_delay_alu instid0(VALU_DEP_3) | instskip(NEXT) | instid1(VALU_DEP_2)
	v_dual_cndmask_b32 v51, v60, v56, s3 :: v_dual_cndmask_b32 v53, v62, v58, s3
	v_cmp_lt_u32_e64 s5, 31, v6
	s_delay_alu instid0(VALU_DEP_1) | instskip(NEXT) | instid1(VALU_DEP_1)
	v_cndmask_b32_e64 v48, 0, 0xffffffe0, s5
	v_dual_cndmask_b32 v55, v63, v60, s3 :: v_dual_add_nc_u32 v6, v48, v6
	s_delay_alu instid0(VALU_DEP_4) | instskip(NEXT) | instid1(VALU_DEP_2)
	v_dual_cndmask_b32 v48, v56, v52, s3 :: v_dual_cndmask_b32 v52, v53, v51, s4
	v_cndmask_b32_e64 v53, v55, v53, s4
	s_delay_alu instid0(VALU_DEP_3) | instskip(NEXT) | instid1(VALU_DEP_3)
	v_dual_cndmask_b32 v51, v51, v57, s4 :: v_dual_sub_nc_u32 v55, 32, v6
	v_cndmask_b32_e64 v56, v57, v48, s4
	v_cmp_eq_u32_e64 s3, 0, v6
	s_delay_alu instid0(VALU_DEP_3) | instskip(NEXT) | instid1(VALU_DEP_3)
	v_dual_cndmask_b32 v53, v53, v52, s5 :: v_dual_cndmask_b32 v52, v52, v51, s5
	v_dual_cndmask_b32 v48, v48, v50, s4 :: v_dual_cndmask_b32 v51, v51, v56, s5
	s_delay_alu instid0(VALU_DEP_2) | instskip(NEXT) | instid1(VALU_DEP_2)
	v_alignbit_b32 v57, v53, v52, v55
	v_alignbit_b32 v54, v52, v51, v55
	s_delay_alu instid0(VALU_DEP_1) | instskip(NEXT) | instid1(VALU_DEP_1)
	v_dual_cndmask_b32 v6, v57, v53, s3 :: v_dual_cndmask_b32 v50, v54, v52, s3
	v_bfe_u32 v52, v6, 29, 1
	s_delay_alu instid0(VALU_DEP_1) | instskip(NEXT) | instid1(VALU_DEP_3)
	v_sub_nc_u32_e32 v54, 0, v52
	v_alignbit_b32 v53, v6, v50, 30
	s_delay_alu instid0(VALU_DEP_1) | instskip(NEXT) | instid1(VALU_DEP_1)
	v_dual_cndmask_b32 v48, v56, v48, s5 :: v_dual_bitop2_b32 v53, v53, v54 bitop3:0x14
	v_alignbit_b32 v55, v51, v48, v55
	s_delay_alu instid0(VALU_DEP_1) | instskip(NEXT) | instid1(VALU_DEP_3)
	v_cndmask_b32_e64 v51, v55, v51, s3
	v_clz_i32_u32_e32 v55, v53
	s_delay_alu instid0(VALU_DEP_2) | instskip(NEXT) | instid1(VALU_DEP_2)
	v_alignbit_b32 v50, v50, v51, 30
	v_min_u32_e32 v55, 32, v55
	s_delay_alu instid0(VALU_DEP_2) | instskip(SKIP_1) | instid1(VALU_DEP_3)
	v_xor_b32_e32 v50, v50, v54
	v_alignbit_b32 v48, v51, v48, 30
	v_dual_sub_nc_u32 v51, 31, v55 :: v_dual_lshlrev_b32 v56, 23, v55
	s_delay_alu instid0(VALU_DEP_2) | instskip(SKIP_1) | instid1(VALU_DEP_3)
	v_xor_b32_e32 v48, v48, v54
	v_lshrrev_b32_e32 v54, 29, v6
	v_alignbit_b32 v53, v53, v50, v51
	v_lshrrev_b32_e32 v6, 30, v6
	s_delay_alu instid0(VALU_DEP_4) | instskip(NEXT) | instid1(VALU_DEP_4)
	v_alignbit_b32 v48, v50, v48, v51
	v_lshlrev_b32_e32 v50, 31, v54
	s_delay_alu instid0(VALU_DEP_3) | instskip(NEXT) | instid1(VALU_DEP_3)
	v_add_nc_u32_e32 v52, v52, v6
	v_alignbit_b32 v51, v53, v48, 9
	s_delay_alu instid0(VALU_DEP_3) | instskip(NEXT) | instid1(VALU_DEP_2)
	v_dual_lshrrev_b32 v53, 9, v53 :: v_dual_bitop2_b32 v54, 0.5, v50 bitop3:0x54
	v_clz_i32_u32_e32 v57, v51
	s_delay_alu instid0(VALU_DEP_2) | instskip(SKIP_1) | instid1(VALU_DEP_3)
	v_sub_nc_u32_e32 v54, v54, v56
	v_or_b32_e32 v50, 0x33000000, v50
	v_min_u32_e32 v56, 32, v57
	s_delay_alu instid0(VALU_DEP_1) | instskip(NEXT) | instid1(VALU_DEP_4)
	v_add_lshl_u32 v55, v56, v55, 23
	v_or_b32_e32 v53, v53, v54
	v_not_b32_e32 v54, v56
	s_delay_alu instid0(VALU_DEP_3) | instskip(NEXT) | instid1(VALU_DEP_2)
	v_sub_nc_u32_e32 v50, v50, v55
	v_alignbit_b32 v48, v51, v48, v54
	s_delay_alu instid0(VALU_DEP_1) | instskip(NEXT) | instid1(VALU_DEP_1)
	v_dual_mul_f32 v57, 0x3fc90fda, v53 :: v_dual_lshrrev_b32 v48, 9, v48
	v_fma_f32 v51, 0x3fc90fda, v53, -v57
	s_delay_alu instid0(VALU_DEP_2) | instskip(NEXT) | instid1(VALU_DEP_2)
	v_or_b32_e32 v48, v50, v48
	v_fmac_f32_e32 v51, 0x33a22168, v53
	s_delay_alu instid0(VALU_DEP_1) | instskip(NEXT) | instid1(VALU_DEP_1)
	v_fmac_f32_e32 v51, 0x3fc90fda, v48
	v_add_f32_e32 v51, v57, v51
	s_and_not1_saveexec_b32 s3, s26
	s_cbranch_execnz .LBB144_100
	s_branch .LBB144_101
.LBB144_99:                             ;   in Loop: Header=BB144_57 Depth=1
	s_and_not1_saveexec_b32 s3, s26
.LBB144_100:                            ;   in Loop: Header=BB144_57 Depth=1
	v_mul_f32_e64 v6, 0x3f22f983, |v13|
	s_delay_alu instid0(VALU_DEP_1) | instskip(NEXT) | instid1(VALU_DEP_1)
	v_rndne_f32_e32 v6, v6
	v_fma_f32 v51, 0xbfc90fda, v6, |v13|
	v_cvt_i32_f32_e32 v52, v6
	s_delay_alu instid0(VALU_DEP_2) | instskip(NEXT) | instid1(VALU_DEP_1)
	v_fmac_f32_e32 v51, 0xb3a22168, v6
	v_fmac_f32_e32 v51, 0xa7c234c4, v6
.LBB144_101:                            ;   in Loop: Header=BB144_57 Depth=1
	s_or_b32 exec_lo, exec_lo, s3
	v_mul_f32_e32 v48, 0.5, v11
                                        ; implicit-def: $vgpr55
                                        ; implicit-def: $vgpr53
	s_mov_b32 s4, exec_lo
	s_delay_alu instid0(VALU_DEP_1)
	v_and_b32_e32 v50, 0x7fffffff, v48
	v_cmpx_ngt_f32_e64 0x48000000, |v48|
	s_xor_b32 s26, exec_lo, s4
	s_cbranch_execz .LBB144_103
; %bb.102:                              ;   in Loop: Header=BB144_57 Depth=1
	s_delay_alu instid0(VALU_DEP_2) | instskip(SKIP_1) | instid1(VALU_DEP_2)
	v_and_or_b32 v6, v50, s22, 0x800000
	v_dual_lshrrev_b32 v53, 23, v50 :: v_dual_mov_b32 v65, v7
	v_mul_u64_e32 v[54:55], s[18:19], v[6:7]
	v_mov_b32_e32 v57, v7
	s_delay_alu instid0(VALU_DEP_3) | instskip(NEXT) | instid1(VALU_DEP_1)
	v_add_nc_u32_e32 v53, 0xffffff88, v53
	v_cmp_lt_u32_e64 s3, 63, v53
	s_delay_alu instid0(VALU_DEP_4) | instskip(NEXT) | instid1(VALU_DEP_2)
	v_mov_b32_e32 v56, v55
	v_cndmask_b32_e64 v55, 0, 0xffffffc0, s3
	s_delay_alu instid0(VALU_DEP_2) | instskip(NEXT) | instid1(VALU_DEP_1)
	v_mad_nc_u64_u32 v[56:57], 0x3c439041, v6, v[56:57]
	v_dual_mov_b32 v59, v7 :: v_dual_mov_b32 v58, v57
	s_delay_alu instid0(VALU_DEP_1) | instskip(NEXT) | instid1(VALU_DEP_1)
	v_mad_nc_u64_u32 v[58:59], 0xdb629599, v6, v[58:59]
	v_dual_mov_b32 v61, v7 :: v_dual_mov_b32 v60, v59
	s_delay_alu instid0(VALU_DEP_2) | instskip(NEXT) | instid1(VALU_DEP_2)
	v_cndmask_b32_e64 v54, v58, v54, s3
	v_mad_nc_u64_u32 v[60:61], 0xf534ddc0, v6, v[60:61]
	s_delay_alu instid0(VALU_DEP_1) | instskip(NEXT) | instid1(VALU_DEP_1)
	v_dual_mov_b32 v63, v7 :: v_dual_mov_b32 v62, v61
	v_mad_nc_u64_u32 v[62:63], 0xfc2757d1, v6, v[62:63]
	s_delay_alu instid0(VALU_DEP_1) | instskip(NEXT) | instid1(VALU_DEP_1)
	v_dual_mov_b32 v64, v63 :: v_dual_cndmask_b32 v61, v62, v58, s3
	v_mad_nc_u64_u32 v[64:65], 0x4e441529, v6, v[64:65]
	v_add_nc_u32_e32 v53, v55, v53
	s_delay_alu instid0(VALU_DEP_2) | instskip(NEXT) | instid1(VALU_DEP_2)
	v_dual_mov_b32 v67, v7 :: v_dual_mov_b32 v66, v65
	v_cmp_lt_u32_e64 s4, 31, v53
	s_delay_alu instid0(VALU_DEP_2) | instskip(NEXT) | instid1(VALU_DEP_2)
	v_mad_nc_u64_u32 v[66:67], 0xa2f9836e, v6, v[66:67]
	v_cndmask_b32_e64 v55, 0, 0xffffffe0, s4
	s_delay_alu instid0(VALU_DEP_1) | instskip(NEXT) | instid1(VALU_DEP_3)
	v_dual_add_nc_u32 v6, v55, v53 :: v_dual_cndmask_b32 v55, v64, v60, s3
	v_cndmask_b32_e64 v57, v66, v62, s3
	s_delay_alu instid0(VALU_DEP_2) | instskip(SKIP_1) | instid1(VALU_DEP_2)
	v_cmp_lt_u32_e64 s5, 31, v6
	v_cndmask_b32_e64 v59, v67, v64, s3
	v_cndmask_b32_e64 v53, 0, 0xffffffe0, s5
	s_delay_alu instid0(VALU_DEP_1) | instskip(NEXT) | instid1(VALU_DEP_3)
	v_dual_add_nc_u32 v6, v53, v6 :: v_dual_cndmask_b32 v53, v60, v56, s3
	v_dual_cndmask_b32 v56, v57, v55, s4 :: v_dual_cndmask_b32 v57, v59, v57, s4
	s_delay_alu instid0(VALU_DEP_2) | instskip(NEXT) | instid1(VALU_DEP_3)
	v_dual_cndmask_b32 v55, v55, v61, s4 :: v_dual_sub_nc_u32 v59, 32, v6
	v_cndmask_b32_e64 v60, v61, v53, s4
	v_cmp_eq_u32_e64 s3, 0, v6
	s_delay_alu instid0(VALU_DEP_3) | instskip(NEXT) | instid1(VALU_DEP_1)
	v_dual_cndmask_b32 v57, v57, v56, s5 :: v_dual_cndmask_b32 v56, v56, v55, s5
	v_alignbit_b32 v61, v57, v56, v59
	s_delay_alu instid0(VALU_DEP_1) | instskip(NEXT) | instid1(VALU_DEP_1)
	v_dual_cndmask_b32 v55, v55, v60, s5 :: v_dual_cndmask_b32 v6, v61, v57, s3
	v_alignbit_b32 v58, v56, v55, v59
	s_delay_alu instid0(VALU_DEP_1) | instskip(NEXT) | instid1(VALU_DEP_3)
	v_dual_cndmask_b32 v53, v53, v54, s4 :: v_dual_cndmask_b32 v54, v58, v56, s3
	v_bfe_u32 v56, v6, 29, 1
	s_delay_alu instid0(VALU_DEP_2) | instskip(NEXT) | instid1(VALU_DEP_3)
	v_cndmask_b32_e64 v53, v60, v53, s5
	v_alignbit_b32 v57, v6, v54, 30
	s_delay_alu instid0(VALU_DEP_3) | instskip(NEXT) | instid1(VALU_DEP_3)
	v_sub_nc_u32_e32 v58, 0, v56
	v_alignbit_b32 v59, v55, v53, v59
	s_delay_alu instid0(VALU_DEP_1) | instskip(NEXT) | instid1(VALU_DEP_1)
	v_dual_cndmask_b32 v55, v59, v55, s3 :: v_dual_bitop2_b32 v57, v57, v58 bitop3:0x14
	v_clz_i32_u32_e32 v59, v57
	s_delay_alu instid0(VALU_DEP_2) | instskip(SKIP_1) | instid1(VALU_DEP_3)
	v_alignbit_b32 v54, v54, v55, 30
	v_alignbit_b32 v53, v55, v53, 30
	v_min_u32_e32 v59, 32, v59
	s_delay_alu instid0(VALU_DEP_3) | instskip(NEXT) | instid1(VALU_DEP_3)
	v_xor_b32_e32 v54, v54, v58
	v_xor_b32_e32 v53, v53, v58
	v_dual_lshrrev_b32 v58, 29, v6 :: v_dual_lshrrev_b32 v6, 30, v6
	s_delay_alu instid0(VALU_DEP_4) | instskip(NEXT) | instid1(VALU_DEP_1)
	v_dual_sub_nc_u32 v55, 31, v59 :: v_dual_lshlrev_b32 v60, 23, v59
	v_alignbit_b32 v57, v57, v54, v55
	s_delay_alu instid0(VALU_DEP_4) | instskip(NEXT) | instid1(VALU_DEP_4)
	v_alignbit_b32 v53, v54, v53, v55
	v_lshlrev_b32_e32 v54, 31, v58
	s_delay_alu instid0(VALU_DEP_2) | instskip(NEXT) | instid1(VALU_DEP_2)
	v_alignbit_b32 v55, v57, v53, 9
	v_dual_lshrrev_b32 v57, 9, v57 :: v_dual_bitop2_b32 v58, 0.5, v54 bitop3:0x54
	v_or_b32_e32 v54, 0x33000000, v54
	s_delay_alu instid0(VALU_DEP_3) | instskip(NEXT) | instid1(VALU_DEP_3)
	v_clz_i32_u32_e32 v61, v55
	v_sub_nc_u32_e32 v58, v58, v60
	s_delay_alu instid0(VALU_DEP_2) | instskip(NEXT) | instid1(VALU_DEP_1)
	v_min_u32_e32 v60, 32, v61
	v_add_lshl_u32 v59, v60, v59, 23
	s_delay_alu instid0(VALU_DEP_3) | instskip(SKIP_1) | instid1(VALU_DEP_2)
	v_or_b32_e32 v57, v57, v58
	v_not_b32_e32 v58, v60
	v_dual_mul_f32 v61, 0x3fc90fda, v57 :: v_dual_sub_nc_u32 v54, v54, v59
	s_delay_alu instid0(VALU_DEP_2) | instskip(NEXT) | instid1(VALU_DEP_2)
	v_alignbit_b32 v53, v55, v53, v58
	v_fma_f32 v55, 0x3fc90fda, v57, -v61
	s_delay_alu instid0(VALU_DEP_2) | instskip(NEXT) | instid1(VALU_DEP_2)
	v_lshrrev_b32_e32 v53, 9, v53
	v_fmac_f32_e32 v55, 0x33a22168, v57
	s_delay_alu instid0(VALU_DEP_2) | instskip(NEXT) | instid1(VALU_DEP_1)
	v_or_b32_e32 v53, v54, v53
	v_fmac_f32_e32 v55, 0x3fc90fda, v53
	s_delay_alu instid0(VALU_DEP_1)
	v_dual_add_f32 v53, v61, v55 :: v_dual_add_nc_u32 v55, v56, v6
.LBB144_103:                            ;   in Loop: Header=BB144_57 Depth=1
	s_and_not1_saveexec_b32 s3, s26
; %bb.104:                              ;   in Loop: Header=BB144_57 Depth=1
	v_mul_f32_e64 v6, 0x3f22f983, |v48|
	s_delay_alu instid0(VALU_DEP_1) | instskip(NEXT) | instid1(VALU_DEP_1)
	v_rndne_f32_e32 v6, v6
	v_fma_f32 v53, 0xbfc90fda, v6, |v48|
	v_cvt_i32_f32_e32 v55, v6
	s_delay_alu instid0(VALU_DEP_2) | instskip(NEXT) | instid1(VALU_DEP_1)
	v_fmac_f32_e32 v53, 0xb3a22168, v6
	v_fmac_f32_e32 v53, 0xa7c234c4, v6
; %bb.105:                              ;   in Loop: Header=BB144_57 Depth=1
	s_or_b32 exec_lo, exec_lo, s3
	v_and_b32_e32 v54, 0x7fffffff, v11
	v_cmp_ngt_f32_e64 s26, 0x48000000, |v11|
                                        ; implicit-def: $vgpr57
                                        ; implicit-def: $vgpr56
	s_and_saveexec_b32 s3, s26
	s_delay_alu instid0(SALU_CYCLE_1)
	s_xor_b32 s27, exec_lo, s3
	s_cbranch_execz .LBB144_107
; %bb.106:                              ;   in Loop: Header=BB144_57 Depth=1
	v_and_or_b32 v6, v54, s22, 0x800000
	v_mov_b32_e32 v67, v7
	s_delay_alu instid0(VALU_DEP_2) | instskip(NEXT) | instid1(VALU_DEP_1)
	v_mul_u64_e32 v[56:57], s[18:19], v[6:7]
	v_dual_mov_b32 v59, v7 :: v_dual_mov_b32 v58, v57
	v_lshrrev_b32_e32 v57, 23, v54
	s_delay_alu instid0(VALU_DEP_2) | instskip(SKIP_1) | instid1(VALU_DEP_3)
	v_mad_nc_u64_u32 v[58:59], 0x3c439041, v6, v[58:59]
	v_mov_b32_e32 v61, v7
	v_add_nc_u32_e32 v57, 0xffffff88, v57
	s_delay_alu instid0(VALU_DEP_1) | instskip(NEXT) | instid1(VALU_DEP_4)
	v_cmp_lt_u32_e64 s3, 63, v57
	v_mov_b32_e32 v60, v59
	s_delay_alu instid0(VALU_DEP_2) | instskip(NEXT) | instid1(VALU_DEP_2)
	v_cndmask_b32_e64 v59, 0, 0xffffffc0, s3
	v_mad_nc_u64_u32 v[60:61], 0xdb629599, v6, v[60:61]
	s_delay_alu instid0(VALU_DEP_1) | instskip(NEXT) | instid1(VALU_DEP_2)
	v_dual_mov_b32 v63, v7 :: v_dual_mov_b32 v62, v61
	v_cndmask_b32_e64 v56, v60, v56, s3
	s_delay_alu instid0(VALU_DEP_2) | instskip(NEXT) | instid1(VALU_DEP_1)
	v_mad_nc_u64_u32 v[62:63], 0xf534ddc0, v6, v[62:63]
	v_dual_mov_b32 v65, v7 :: v_dual_mov_b32 v64, v63
	s_delay_alu instid0(VALU_DEP_1) | instskip(NEXT) | instid1(VALU_DEP_1)
	v_mad_nc_u64_u32 v[64:65], 0xfc2757d1, v6, v[64:65]
	v_mov_b32_e32 v66, v65
	s_delay_alu instid0(VALU_DEP_1) | instskip(SKIP_2) | instid1(VALU_DEP_2)
	v_mad_nc_u64_u32 v[66:67], 0x4e441529, v6, v[66:67]
	v_add_nc_u32_e32 v57, v59, v57
	v_mov_b32_e32 v69, v7
	v_cmp_lt_u32_e64 s4, 31, v57
	s_delay_alu instid0(VALU_DEP_4) | instskip(NEXT) | instid1(VALU_DEP_2)
	v_mov_b32_e32 v68, v67
	v_cndmask_b32_e64 v59, 0, 0xffffffe0, s4
	s_delay_alu instid0(VALU_DEP_2) | instskip(NEXT) | instid1(VALU_DEP_2)
	v_mad_nc_u64_u32 v[68:69], 0xa2f9836e, v6, v[68:69]
	v_dual_add_nc_u32 v6, v59, v57 :: v_dual_cndmask_b32 v59, v66, v62, s3
	s_delay_alu instid0(VALU_DEP_2) | instskip(NEXT) | instid1(VALU_DEP_2)
	v_cndmask_b32_e64 v61, v68, v64, s3
	v_cmp_lt_u32_e64 s5, 31, v6
	s_delay_alu instid0(VALU_DEP_4) | instskip(NEXT) | instid1(VALU_DEP_2)
	v_dual_cndmask_b32 v63, v69, v66, s3 :: v_dual_cndmask_b32 v64, v64, v60, s3
	v_cndmask_b32_e64 v57, 0, 0xffffffe0, s5
	s_delay_alu instid0(VALU_DEP_1) | instskip(SKIP_1) | instid1(VALU_DEP_4)
	v_add_nc_u32_e32 v6, v57, v6
	v_dual_cndmask_b32 v57, v62, v58, s3 :: v_dual_cndmask_b32 v58, v61, v59, s4
	v_cndmask_b32_e64 v61, v63, v61, s4
	s_delay_alu instid0(VALU_DEP_3) | instskip(NEXT) | instid1(VALU_DEP_3)
	v_dual_cndmask_b32 v59, v59, v64, s4 :: v_dual_sub_nc_u32 v62, 32, v6
	v_cndmask_b32_e64 v63, v64, v57, s4
	v_cmp_eq_u32_e64 s3, 0, v6
	s_delay_alu instid0(VALU_DEP_3) | instskip(NEXT) | instid1(VALU_DEP_1)
	v_dual_cndmask_b32 v61, v61, v58, s5 :: v_dual_cndmask_b32 v58, v58, v59, s5
	v_alignbit_b32 v64, v61, v58, v62
	s_delay_alu instid0(VALU_DEP_1) | instskip(NEXT) | instid1(VALU_DEP_1)
	v_dual_cndmask_b32 v59, v59, v63, s5 :: v_dual_cndmask_b32 v6, v64, v61, s3
	v_alignbit_b32 v60, v58, v59, v62
	s_delay_alu instid0(VALU_DEP_1) | instskip(NEXT) | instid1(VALU_DEP_3)
	v_dual_cndmask_b32 v56, v57, v56, s4 :: v_dual_cndmask_b32 v57, v60, v58, s3
	v_bfe_u32 v58, v6, 29, 1
	s_delay_alu instid0(VALU_DEP_2) | instskip(NEXT) | instid1(VALU_DEP_3)
	v_cndmask_b32_e64 v56, v63, v56, s5
	v_alignbit_b32 v60, v6, v57, 30
	s_delay_alu instid0(VALU_DEP_3) | instskip(NEXT) | instid1(VALU_DEP_3)
	v_sub_nc_u32_e32 v61, 0, v58
	v_alignbit_b32 v62, v59, v56, v62
	s_delay_alu instid0(VALU_DEP_1) | instskip(NEXT) | instid1(VALU_DEP_1)
	v_dual_cndmask_b32 v59, v62, v59, s3 :: v_dual_bitop2_b32 v60, v60, v61 bitop3:0x14
	v_clz_i32_u32_e32 v62, v60
	s_delay_alu instid0(VALU_DEP_2) | instskip(SKIP_1) | instid1(VALU_DEP_3)
	v_alignbit_b32 v57, v57, v59, 30
	v_alignbit_b32 v56, v59, v56, 30
	v_min_u32_e32 v62, 32, v62
	s_delay_alu instid0(VALU_DEP_3) | instskip(NEXT) | instid1(VALU_DEP_3)
	v_xor_b32_e32 v57, v57, v61
	v_dual_lshrrev_b32 v61, 29, v6 :: v_dual_bitop2_b32 v56, v56, v61 bitop3:0x14
	v_lshrrev_b32_e32 v6, 30, v6
	s_delay_alu instid0(VALU_DEP_4) | instskip(NEXT) | instid1(VALU_DEP_1)
	v_dual_sub_nc_u32 v59, 31, v62 :: v_dual_lshlrev_b32 v63, 23, v62
	v_alignbit_b32 v60, v60, v57, v59
	s_delay_alu instid0(VALU_DEP_4) | instskip(SKIP_1) | instid1(VALU_DEP_2)
	v_alignbit_b32 v56, v57, v56, v59
	v_lshlrev_b32_e32 v57, 31, v61
	v_alignbit_b32 v59, v60, v56, 9
	s_delay_alu instid0(VALU_DEP_2) | instskip(SKIP_1) | instid1(VALU_DEP_3)
	v_dual_lshrrev_b32 v60, 9, v60 :: v_dual_bitop2_b32 v61, 0.5, v57 bitop3:0x54
	v_or_b32_e32 v57, 0x33000000, v57
	v_clz_i32_u32_e32 v64, v59
	s_delay_alu instid0(VALU_DEP_3) | instskip(NEXT) | instid1(VALU_DEP_2)
	v_sub_nc_u32_e32 v61, v61, v63
	v_min_u32_e32 v63, 32, v64
	s_delay_alu instid0(VALU_DEP_1) | instskip(NEXT) | instid1(VALU_DEP_3)
	v_add_lshl_u32 v62, v63, v62, 23
	v_or_b32_e32 v60, v60, v61
	v_not_b32_e32 v61, v63
	s_delay_alu instid0(VALU_DEP_2) | instskip(NEXT) | instid1(VALU_DEP_2)
	v_dual_mul_f32 v64, 0x3fc90fda, v60 :: v_dual_sub_nc_u32 v57, v57, v62
	v_alignbit_b32 v56, v59, v56, v61
	s_delay_alu instid0(VALU_DEP_2) | instskip(NEXT) | instid1(VALU_DEP_2)
	v_fma_f32 v59, 0x3fc90fda, v60, -v64
	v_lshrrev_b32_e32 v56, 9, v56
	s_delay_alu instid0(VALU_DEP_2) | instskip(NEXT) | instid1(VALU_DEP_2)
	v_fmac_f32_e32 v59, 0x33a22168, v60
	v_dual_add_nc_u32 v57, v58, v6 :: v_dual_bitop2_b32 v56, v57, v56 bitop3:0x54
	s_delay_alu instid0(VALU_DEP_1) | instskip(NEXT) | instid1(VALU_DEP_1)
	v_fmac_f32_e32 v59, 0x3fc90fda, v56
	v_add_f32_e32 v56, v64, v59
	s_and_not1_saveexec_b32 s3, s27
	s_branch .LBB144_108
.LBB144_107:                            ;   in Loop: Header=BB144_57 Depth=1
	s_and_not1_saveexec_b32 s3, s27
.LBB144_108:                            ;   in Loop: Header=BB144_57 Depth=1
	v_mul_f32_e64 v6, 0x3f22f983, |v11|
	s_delay_alu instid0(VALU_DEP_1) | instskip(NEXT) | instid1(VALU_DEP_1)
	v_rndne_f32_e32 v6, v6
	v_fma_f32 v56, 0xbfc90fda, v6, |v11|
	v_cvt_i32_f32_e32 v57, v6
	s_delay_alu instid0(VALU_DEP_2) | instskip(NEXT) | instid1(VALU_DEP_1)
	v_fmac_f32_e32 v56, 0xb3a22168, v6
	v_fmac_f32_e32 v56, 0xa7c234c4, v6
; %bb.109:                              ;   in Loop: Header=BB144_57 Depth=1
	s_or_b32 exec_lo, exec_lo, s3
                                        ; implicit-def: $vgpr58
                                        ; implicit-def: $vgpr6
	s_and_saveexec_b32 s3, s26
	s_delay_alu instid0(SALU_CYCLE_1)
	s_xor_b32 s26, exec_lo, s3
	s_cbranch_execz .LBB144_115
; %bb.110:                              ;   in Loop: Header=BB144_57 Depth=1
	v_and_or_b32 v6, v54, s22, 0x800000
	v_dual_mov_b32 v69, v7 :: v_dual_mov_b32 v71, v7
	s_delay_alu instid0(VALU_DEP_2) | instskip(NEXT) | instid1(VALU_DEP_1)
	v_mul_u64_e32 v[58:59], s[18:19], v[6:7]
	v_dual_mov_b32 v61, v7 :: v_dual_mov_b32 v60, v59
	v_lshrrev_b32_e32 v59, 23, v54
	s_delay_alu instid0(VALU_DEP_2) | instskip(SKIP_1) | instid1(VALU_DEP_3)
	v_mad_nc_u64_u32 v[60:61], 0x3c439041, v6, v[60:61]
	v_mov_b32_e32 v63, v7
	v_add_nc_u32_e32 v59, 0xffffff88, v59
	s_delay_alu instid0(VALU_DEP_1) | instskip(NEXT) | instid1(VALU_DEP_4)
	v_cmp_lt_u32_e64 s3, 63, v59
	v_mov_b32_e32 v62, v61
	s_delay_alu instid0(VALU_DEP_2) | instskip(NEXT) | instid1(VALU_DEP_2)
	v_cndmask_b32_e64 v61, 0, 0xffffffc0, s3
	v_mad_nc_u64_u32 v[62:63], 0xdb629599, v6, v[62:63]
	s_delay_alu instid0(VALU_DEP_2) | instskip(NEXT) | instid1(VALU_DEP_1)
	v_dual_mov_b32 v65, v7 :: v_dual_add_nc_u32 v59, v61, v59
	v_cmp_lt_u32_e64 s4, 31, v59
	s_delay_alu instid0(VALU_DEP_3) | instskip(NEXT) | instid1(VALU_DEP_2)
	v_mov_b32_e32 v64, v63
	v_cndmask_b32_e64 v61, 0, 0xffffffe0, s4
	v_cndmask_b32_e64 v58, v62, v58, s3
	s_delay_alu instid0(VALU_DEP_3) | instskip(NEXT) | instid1(VALU_DEP_1)
	v_mad_nc_u64_u32 v[64:65], 0xf534ddc0, v6, v[64:65]
	v_dual_mov_b32 v67, v7 :: v_dual_mov_b32 v66, v65
	s_delay_alu instid0(VALU_DEP_1) | instskip(NEXT) | instid1(VALU_DEP_1)
	v_mad_nc_u64_u32 v[66:67], 0xfc2757d1, v6, v[66:67]
	v_mov_b32_e32 v68, v67
	s_delay_alu instid0(VALU_DEP_1) | instskip(NEXT) | instid1(VALU_DEP_1)
	v_mad_nc_u64_u32 v[68:69], 0x4e441529, v6, v[68:69]
	v_mov_b32_e32 v70, v69
	s_delay_alu instid0(VALU_DEP_1) | instskip(NEXT) | instid1(VALU_DEP_3)
	v_mad_nc_u64_u32 v[70:71], 0xa2f9836e, v6, v[70:71]
	v_dual_add_nc_u32 v6, v61, v59 :: v_dual_cndmask_b32 v61, v68, v64, s3
	s_delay_alu instid0(VALU_DEP_2) | instskip(NEXT) | instid1(VALU_DEP_2)
	v_cndmask_b32_e64 v63, v70, v66, s3
	v_cmp_lt_u32_e64 s5, 31, v6
	s_delay_alu instid0(VALU_DEP_4) | instskip(NEXT) | instid1(VALU_DEP_2)
	v_dual_cndmask_b32 v65, v71, v68, s3 :: v_dual_cndmask_b32 v66, v66, v62, s3
	v_cndmask_b32_e64 v59, 0, 0xffffffe0, s5
	s_delay_alu instid0(VALU_DEP_1) | instskip(NEXT) | instid1(VALU_DEP_3)
	v_dual_add_nc_u32 v6, v59, v6 :: v_dual_cndmask_b32 v59, v64, v60, s3
	v_dual_cndmask_b32 v60, v63, v61, s4 :: v_dual_cndmask_b32 v63, v65, v63, s4
	s_delay_alu instid0(VALU_DEP_4) | instskip(NEXT) | instid1(VALU_DEP_3)
	v_cndmask_b32_e64 v61, v61, v66, s4
	v_dual_sub_nc_u32 v64, 32, v6 :: v_dual_cndmask_b32 v65, v66, v59, s4
	v_cmp_eq_u32_e64 s3, 0, v6
	s_delay_alu instid0(VALU_DEP_3) | instskip(NEXT) | instid1(VALU_DEP_1)
	v_dual_cndmask_b32 v63, v63, v60, s5 :: v_dual_cndmask_b32 v60, v60, v61, s5
	v_alignbit_b32 v66, v63, v60, v64
	s_delay_alu instid0(VALU_DEP_1) | instskip(NEXT) | instid1(VALU_DEP_1)
	v_dual_cndmask_b32 v61, v61, v65, s5 :: v_dual_cndmask_b32 v6, v66, v63, s3
	v_alignbit_b32 v62, v60, v61, v64
	s_delay_alu instid0(VALU_DEP_1) | instskip(NEXT) | instid1(VALU_DEP_3)
	v_dual_cndmask_b32 v58, v59, v58, s4 :: v_dual_cndmask_b32 v59, v62, v60, s3
	v_bfe_u32 v60, v6, 29, 1
	s_delay_alu instid0(VALU_DEP_2) | instskip(NEXT) | instid1(VALU_DEP_3)
	v_cndmask_b32_e64 v58, v65, v58, s5
	v_alignbit_b32 v62, v6, v59, 30
	s_delay_alu instid0(VALU_DEP_3) | instskip(NEXT) | instid1(VALU_DEP_3)
	v_sub_nc_u32_e32 v63, 0, v60
	v_alignbit_b32 v64, v61, v58, v64
	s_delay_alu instid0(VALU_DEP_1) | instskip(NEXT) | instid1(VALU_DEP_1)
	v_dual_cndmask_b32 v61, v64, v61, s3 :: v_dual_bitop2_b32 v62, v62, v63 bitop3:0x14
	v_clz_i32_u32_e32 v64, v62
	s_delay_alu instid0(VALU_DEP_2) | instskip(SKIP_1) | instid1(VALU_DEP_3)
	v_alignbit_b32 v59, v59, v61, 30
	v_alignbit_b32 v58, v61, v58, 30
	v_min_u32_e32 v64, 32, v64
	s_delay_alu instid0(VALU_DEP_3) | instskip(NEXT) | instid1(VALU_DEP_3)
	v_xor_b32_e32 v59, v59, v63
	v_dual_lshrrev_b32 v63, 29, v6 :: v_dual_bitop2_b32 v58, v58, v63 bitop3:0x14
	s_delay_alu instid0(VALU_DEP_3) | instskip(NEXT) | instid1(VALU_DEP_1)
	v_dual_sub_nc_u32 v61, 31, v64 :: v_dual_lshlrev_b32 v65, 23, v64
	v_alignbit_b32 v62, v62, v59, v61
	s_delay_alu instid0(VALU_DEP_3) | instskip(NEXT) | instid1(VALU_DEP_4)
	v_alignbit_b32 v58, v59, v58, v61
	v_lshlrev_b32_e32 v59, 31, v63
	s_delay_alu instid0(VALU_DEP_2) | instskip(NEXT) | instid1(VALU_DEP_2)
	v_alignbit_b32 v61, v62, v58, 9
	v_dual_lshrrev_b32 v62, 9, v62 :: v_dual_bitop2_b32 v63, 0.5, v59 bitop3:0x54
	v_or_b32_e32 v59, 0x33000000, v59
	s_delay_alu instid0(VALU_DEP_3) | instskip(NEXT) | instid1(VALU_DEP_3)
	v_clz_i32_u32_e32 v66, v61
	v_sub_nc_u32_e32 v63, v63, v65
	s_delay_alu instid0(VALU_DEP_2) | instskip(NEXT) | instid1(VALU_DEP_1)
	v_min_u32_e32 v65, 32, v66
	v_add_lshl_u32 v64, v65, v64, 23
	s_delay_alu instid0(VALU_DEP_3) | instskip(SKIP_1) | instid1(VALU_DEP_2)
	v_or_b32_e32 v62, v62, v63
	v_not_b32_e32 v63, v65
	v_dual_mul_f32 v66, 0x3fc90fda, v62 :: v_dual_sub_nc_u32 v59, v59, v64
	s_delay_alu instid0(VALU_DEP_2) | instskip(NEXT) | instid1(VALU_DEP_2)
	v_alignbit_b32 v58, v61, v58, v63
	v_fma_f32 v61, 0x3fc90fda, v62, -v66
	s_delay_alu instid0(VALU_DEP_2) | instskip(NEXT) | instid1(VALU_DEP_2)
	v_lshrrev_b32_e32 v58, 9, v58
	v_fmac_f32_e32 v61, 0x33a22168, v62
	s_delay_alu instid0(VALU_DEP_2) | instskip(NEXT) | instid1(VALU_DEP_1)
	v_or_b32_e32 v58, v59, v58
	v_fmac_f32_e32 v61, 0x3fc90fda, v58
	v_lshrrev_b32_e32 v58, 30, v6
	s_delay_alu instid0(VALU_DEP_1)
	v_dual_add_nc_u32 v58, v60, v58 :: v_dual_add_f32 v6, v66, v61
	s_and_not1_saveexec_b32 s3, s26
	s_cbranch_execnz .LBB144_116
.LBB144_111:                            ;   in Loop: Header=BB144_57 Depth=1
	s_or_b32 exec_lo, exec_lo, s3
	s_and_saveexec_b32 s3, s2
	s_delay_alu instid0(SALU_CYCLE_1)
	s_xor_b32 s26, exec_lo, s3
	s_cbranch_execz .LBB144_117
.LBB144_112:                            ;   in Loop: Header=BB144_57 Depth=1
	v_dual_mul_f32 v59, 0x3fb8aa3b, v22 :: v_dual_lshlrev_b32 v60, 30, v32
	v_dual_mul_f32 v61, v29, v29 :: v_dual_bitop2_b32 v32, 1, v32 bitop3:0x40
	v_dual_mul_f32 v64, v26, v26 :: v_dual_bitop2_b32 v25, v25, v24 bitop3:0x14
	s_delay_alu instid0(VALU_DEP_3)
	v_rndne_f32_e32 v62, v59
	v_dual_lshlrev_b32 v63, 30, v28 :: v_dual_bitop2_b32 v28, 1, v28 bitop3:0x40
	v_mul_f32_e32 v65, v33, v33
	v_fma_f32 v67, 0x3fb8aa3b, v22, -v59
	v_dual_fmaak_f32 v68, s24, v61, 0xbab64f3b :: v_dual_fmaak_f32 v71, s24, v64, 0xbab64f3b
	v_dual_fmaak_f32 v69, s25, v61, 0x3c0881c4 :: v_dual_fmaak_f32 v70, s25, v64, 0x3c0881c4
	v_fmamk_f32 v66, v62, 0xbf317218, v22
	v_cmp_eq_u32_e64 s3, 0, v28
	s_delay_alu instid0(VALU_DEP_3) | instskip(SKIP_4) | instid1(VALU_DEP_3)
	v_dual_sub_f32 v28, v59, v62 :: v_dual_fmaak_f32 v69, v61, v69, 0xbe2aaa9d
	v_fmac_f32_e32 v67, 0x32a5705f, v22
	v_dual_fmaak_f32 v68, v61, v68, 0x3d2aabf7 :: v_dual_fmaak_f32 v71, v64, v71, 0x3d2aabf7
	v_fmaak_f32 v70, v64, v70, 0xbe2aaa9d
	v_fmaak_f32 v72, s25, v65, 0x3c0881c4
	v_dual_add_f32 v28, v28, v67 :: v_dual_fmaak_f32 v67, v61, v68, 0xbf000004
	s_delay_alu instid0(VALU_DEP_3) | instskip(NEXT) | instid1(VALU_DEP_3)
	v_dual_mul_f32 v68, v61, v69 :: v_dual_mul_f32 v69, v64, v70
	v_fmaak_f32 v72, v65, v72, 0xbe2aaa9d
	v_fmac_f32_e32 v66, 0x3102e308, v62
	v_fmaak_f32 v70, v64, v71, 0xbf000004
	v_cmp_eq_u32_e64 s4, 0, v32
	v_cvt_i32_f32_e32 v59, v62
	v_mul_f32_e32 v71, v65, v72
	v_fmaak_f32 v73, s23, v66, 0x3ab69700
	v_fmac_f32_e32 v29, v29, v68
	v_cmp_eq_f32_e64 s5, 0x43000000, v62
	v_ldexp_f32 v62, 1.0, v59
	s_delay_alu instid0(VALU_DEP_4) | instskip(SKIP_2) | instid1(VALU_DEP_3)
	v_dual_fmac_f32 v33, v33, v71 :: v_dual_fmaak_f32 v32, v66, v73, 0x3c0887f9
	v_exp_f32_e32 v28, v28
	v_cmp_ngt_f32_e64 s2, 0xc2ce8ed0, v22
	v_cndmask_b32_e64 v62, v62, 0x7f000000, s5
	v_fmaak_f32 v74, s24, v65, 0xbab64f3b
	v_fmaak_f32 v32, v66, v32, 0x3d2aaa81
	v_and_b32_e32 v63, 0x80000000, v63
	v_lshl_add_u64 v[20:21], v[20:21], 3, s[8:9]
	v_ldexp_f32 v28, v28, v59
	v_fmac_f32_e32 v26, v26, v69
	v_fmaak_f32 v32, v66, v32, 0x3e2aaaab
	s_delay_alu instid0(VALU_DEP_3) | instskip(SKIP_1) | instid1(VALU_DEP_3)
	v_dual_cndmask_b32 v28, 0, v28, s2 :: v_dual_bitop2_b32 v27, v27, v23 bitop3:0x14
	v_cmp_nlt_f32_e64 s2, 0x42b17218, v22
	v_fma_f32 v32, v66, v32, 0.5
	s_delay_alu instid0(VALU_DEP_1) | instskip(NEXT) | instid1(VALU_DEP_1)
	v_dual_mul_f32 v32, v66, v32 :: v_dual_fmaak_f32 v73, v65, v74, 0x3d2aabf7
	v_fmac_f32_e32 v66, v66, v32
	s_delay_alu instid0(VALU_DEP_2) | instskip(SKIP_2) | instid1(VALU_DEP_2)
	v_dual_fmaak_f32 v72, v65, v73, 0xbf000004 :: v_dual_add_f32 v73, -1.0, v62
	v_fma_f32 v32, v61, v67, 1.0
	v_fma_f32 v61, v64, v70, 1.0
	v_dual_fmac_f32 v73, v62, v66 :: v_dual_cndmask_b32 v29, -v29, v32, s4
	v_and_b32_e32 v32, 1, v34
	s_delay_alu instid0(VALU_DEP_3) | instskip(SKIP_1) | instid1(VALU_DEP_4)
	v_cndmask_b32_e64 v26, v61, v26, s3
	v_cmp_class_f32_e64 s3, v24, 0x1f8
	v_dual_add_f32 v59, v73, v73 :: v_dual_lshlrev_b32 v24, 30, v34
	s_delay_alu instid0(VALU_DEP_4) | instskip(NEXT) | instid1(VALU_DEP_4)
	v_cmp_eq_u32_e64 s4, 0, v32
	v_xor3_b32 v25, v25, v63, v26
	v_fma_f32 v26, v65, v72, 1.0
	s_delay_alu instid0(VALU_DEP_4)
	v_cndmask_b32_e64 v32, v73, v59, s5
	v_cmp_nlt_f32_e64 s5, 0x42b17217, v22
	v_and_b32_e32 v24, 0x80000000, v24
	v_cndmask_b32_e64 v25, 0x7fc00000, v25, s3
	v_cmp_ngt_f32_e64 s3, 0xc1880000, v22
	v_bitop3_b32 v29, v60, v29, 0x80000000 bitop3:0x6c
	v_cndmask_b32_e64 v32, 0x7f800000, v32, s5
	s_delay_alu instid0(VALU_DEP_4) | instskip(SKIP_2) | instid1(VALU_DEP_3)
	v_add_f32_e32 v22, v25, v25
	v_cndmask_b32_e64 v26, v26, v33, s4
	v_cmp_class_f32_e64 s4, v23, 0x1f8
	v_mul_f32_e32 v22, v25, v22
	s_delay_alu instid0(VALU_DEP_3) | instskip(SKIP_3) | instid1(VALU_DEP_4)
	v_xor3_b32 v23, v27, v24, v26
	v_cndmask_b32_e64 v24, 0x7f800000, v28, s2
	v_cndmask_b32_e64 v26, -1.0, v32, s3
	v_cndmask_b32_e64 v27, 0x7fc00000, v29, s4
	v_cndmask_b32_e64 v23, 0x7fc00000, v23, s4
	s_delay_alu instid0(VALU_DEP_2) | instskip(NEXT) | instid1(VALU_DEP_2)
	v_fma_f32 v22, v26, v27, -v22
	v_mul_f32_e32 v23, v24, v23
	global_store_b64 v[20:21], v[22:23], off
	s_wait_xcnt 0x0
	s_or_b32 exec_lo, exec_lo, s26
	s_and_saveexec_b32 s3, s1
	s_cbranch_execnz .LBB144_118
.LBB144_113:                            ;   in Loop: Header=BB144_57 Depth=1
	s_or_b32 exec_lo, exec_lo, s3
	s_and_saveexec_b32 s2, s0
	s_cbranch_execz .LBB144_119
.LBB144_114:                            ;   in Loop: Header=BB144_57 Depth=1
	v_dual_mul_f32 v16, 0x3fb8aa3b, v12 :: v_dual_lshlrev_b32 v17, 30, v49
	v_dual_mul_f32 v19, v47, v47 :: v_dual_bitop2_b32 v18, 1, v49 bitop3:0x40
	v_dual_mul_f32 v24, v44, v44 :: v_dual_bitop2_b32 v23, 1, v46 bitop3:0x40
	s_delay_alu instid0(VALU_DEP_3) | instskip(SKIP_1) | instid1(VALU_DEP_4)
	v_rndne_f32_e32 v20, v16
	v_fma_f32 v27, 0x3fb8aa3b, v12, -v16
	v_fmaak_f32 v29, s25, v19, 0x3c0881c4
	s_delay_alu instid0(VALU_DEP_4) | instskip(NEXT) | instid1(VALU_DEP_4)
	v_dual_fmaak_f32 v28, s24, v19, 0xbab64f3b :: v_dual_fmaak_f32 v31, s24, v24, 0xbab64f3b
	v_dual_fmamk_f32 v25, v20, 0xbf317218, v12 :: v_dual_mul_f32 v26, v51, v51
	v_fmaak_f32 v30, s25, v24, 0x3c0881c4
	s_delay_alu instid0(VALU_DEP_4) | instskip(NEXT) | instid1(VALU_DEP_3)
	v_dual_fmaak_f32 v29, v19, v29, 0xbe2aaa9d :: v_dual_sub_f32 v16, v16, v20
	v_fmac_f32_e32 v25, 0x3102e308, v20
	v_cvt_i32_f32_e32 v35, v20
	s_delay_alu instid0(VALU_DEP_4) | instskip(NEXT) | instid1(VALU_DEP_4)
	v_fmaak_f32 v30, v24, v30, 0xbe2aaa9d
	v_dual_fmaak_f32 v32, s25, v26, 0x3c0881c4 :: v_dual_mul_f32 v29, v19, v29
	v_fmac_f32_e32 v27, 0x32a5705f, v12
	v_dual_fmaak_f32 v28, v19, v28, 0x3d2aabf7 :: v_dual_fmaak_f32 v31, v24, v31, 0x3d2aabf7
	s_delay_alu instid0(VALU_DEP_4) | instskip(NEXT) | instid1(VALU_DEP_3)
	v_dual_mul_f32 v30, v24, v30 :: v_dual_fmaak_f32 v33, s23, v25, 0x3ab69700
	v_add_f32_e32 v16, v16, v27
	v_dual_fmaak_f32 v32, v26, v32, 0xbe2aaa9d :: v_dual_fmac_f32 v47, v47, v29
	v_ldexp_f32 v27, 1.0, v35
	s_delay_alu instid0(VALU_DEP_4) | instskip(SKIP_3) | instid1(VALU_DEP_3)
	v_fmaak_f32 v33, v25, v33, 0x3c0887f9
	v_cmp_eq_f32_e64 s0, 0x43000000, v20
	v_dual_fmaak_f32 v28, v19, v28, 0xbf000004 :: v_dual_fmaak_f32 v31, v24, v31, 0xbf000004
	v_dual_mul_f32 v32, v26, v32 :: v_dual_fmac_f32 v44, v44, v30
	v_cndmask_b32_e64 v20, v27, 0x7f000000, s0
	v_fmaak_f32 v33, v25, v33, 0x3d2aaa81
	s_delay_alu instid0(VALU_DEP_4) | instskip(SKIP_2) | instid1(VALU_DEP_3)
	v_fma_f32 v19, v19, v28, 1.0
	v_exp_f32_e32 v16, v16
	v_fma_f32 v24, v24, v31, 1.0
	v_dual_add_f32 v28, -1.0, v20 :: v_dual_fmaak_f32 v33, v25, v33, 0x3e2aaaab
	v_cmp_eq_u32_e64 s1, 0, v23
	v_dual_lshlrev_b32 v22, 30, v46 :: v_dual_bitop2_b32 v21, v41, v39 bitop3:0x14
	s_delay_alu instid0(TRANS32_DEP_1) | instskip(NEXT) | instid1(VALU_DEP_4)
	v_ldexp_f32 v16, v16, v35
	v_fma_f32 v33, v25, v33, 0.5
	v_fmaak_f32 v34, s24, v26, 0xbab64f3b
	v_lshl_add_u64 v[14:15], v[14:15], 3, s[8:9]
	v_and_b32_e32 v22, 0x80000000, v22
	s_delay_alu instid0(VALU_DEP_4) | instskip(NEXT) | instid1(VALU_DEP_1)
	v_dual_fmac_f32 v51, v51, v32 :: v_dual_mul_f32 v27, v25, v33
	v_dual_fmaak_f32 v34, v26, v34, 0x3d2aabf7 :: v_dual_fmac_f32 v25, v25, v27
	s_delay_alu instid0(VALU_DEP_1) | instskip(NEXT) | instid1(VALU_DEP_2)
	v_fmaak_f32 v34, v26, v34, 0xbf000004
	v_fmac_f32_e32 v28, v20, v25
	v_cndmask_b32_e64 v20, v24, v44, s1
	v_cmp_ngt_f32_e64 s1, 0xc2ce8ed0, v12
	s_delay_alu instid0(VALU_DEP_1) | instskip(SKIP_1) | instid1(VALU_DEP_1)
	v_cndmask_b32_e64 v16, 0, v16, s1
	v_cmp_eq_u32_e64 s1, 0, v18
	v_cndmask_b32_e64 v18, -v47, v19, s1
	v_xor3_b32 v19, v21, v22, v20
	v_fma_f32 v22, v26, v34, 1.0
	v_add_f32_e32 v23, v28, v28
	v_and_b32_e32 v21, 1, v52
	v_cmp_nlt_f32_e64 s1, 0x42b17218, v12
	v_bitop3_b32 v17, v17, v18, 0x80000000 bitop3:0x6c
	s_delay_alu instid0(VALU_DEP_4) | instskip(SKIP_1) | instid1(VALU_DEP_4)
	v_cndmask_b32_e64 v20, v28, v23, s0
	v_cmp_class_f32_e64 s0, v39, 0x1f8
	v_cndmask_b32_e64 v16, 0x7f800000, v16, s1
	v_cmp_ngt_f32_e64 s1, 0xc1880000, v12
	s_delay_alu instid0(VALU_DEP_3) | instskip(SKIP_1) | instid1(VALU_DEP_1)
	v_cndmask_b32_e64 v19, 0x7fc00000, v19, s0
	v_cmp_eq_u32_e64 s0, 0, v21
	v_dual_lshlrev_b32 v23, 30, v52 :: v_dual_cndmask_b32 v21, v22, v51, s0
	v_cmp_nlt_f32_e64 s0, 0x42b17217, v12
	s_delay_alu instid0(VALU_DEP_2) | instskip(NEXT) | instid1(VALU_DEP_2)
	v_and_b32_e32 v22, 0x80000000, v23
	v_cndmask_b32_e64 v20, 0x7f800000, v20, s0
	v_xor_b32_e32 v23, v45, v13
	v_cmp_class_f32_e64 s0, v13, 0x1f8
	s_delay_alu instid0(VALU_DEP_3) | instskip(NEXT) | instid1(VALU_DEP_3)
	v_dual_add_f32 v13, v19, v19 :: v_dual_cndmask_b32 v12, -1.0, v20, s1
	v_xor3_b32 v18, v23, v22, v21
	s_delay_alu instid0(VALU_DEP_3) | instskip(NEXT) | instid1(VALU_DEP_3)
	v_cndmask_b32_e64 v17, 0x7fc00000, v17, s0
	v_mul_f32_e32 v13, v19, v13
	s_delay_alu instid0(VALU_DEP_3) | instskip(NEXT) | instid1(VALU_DEP_2)
	v_cndmask_b32_e64 v18, 0x7fc00000, v18, s0
	v_fma_f32 v12, v12, v17, -v13
	s_delay_alu instid0(VALU_DEP_2)
	v_mul_f32_e32 v13, v16, v18
	global_store_b64 v[14:15], v[12:13], off
	s_wait_xcnt 0x0
	s_or_b32 exec_lo, exec_lo, s2
	s_and_saveexec_b32 s1, vcc_lo
	s_cbranch_execz .LBB144_56
	s_branch .LBB144_120
.LBB144_115:                            ;   in Loop: Header=BB144_57 Depth=1
	s_and_not1_saveexec_b32 s3, s26
	s_cbranch_execz .LBB144_111
.LBB144_116:                            ;   in Loop: Header=BB144_57 Depth=1
	v_mul_f32_e64 v6, 0x3f22f983, |v11|
	s_delay_alu instid0(VALU_DEP_1) | instskip(NEXT) | instid1(VALU_DEP_1)
	v_rndne_f32_e32 v58, v6
	v_fma_f32 v6, 0xbfc90fda, v58, |v11|
	s_delay_alu instid0(VALU_DEP_1) | instskip(NEXT) | instid1(VALU_DEP_1)
	v_fmac_f32_e32 v6, 0xb3a22168, v58
	v_fmac_f32_e32 v6, 0xa7c234c4, v58
	v_cvt_i32_f32_e32 v58, v58
	s_or_b32 exec_lo, exec_lo, s3
	s_and_saveexec_b32 s3, s2
	s_delay_alu instid0(SALU_CYCLE_1)
	s_xor_b32 s26, exec_lo, s3
	s_cbranch_execnz .LBB144_112
.LBB144_117:                            ;   in Loop: Header=BB144_57 Depth=1
	s_or_b32 exec_lo, exec_lo, s26
	s_and_saveexec_b32 s3, s1
	s_cbranch_execz .LBB144_113
.LBB144_118:                            ;   in Loop: Header=BB144_57 Depth=1
	v_dual_mul_f32 v23, v38, v38 :: v_dual_bitop2_b32 v22, 1, v40 bitop3:0x40
	v_dual_mul_f32 v20, 0x3fb8aa3b, v18 :: v_dual_lshlrev_b32 v21, 30, v40
	v_dual_lshlrev_b32 v26, 30, v37 :: v_dual_bitop2_b32 v25, v31, v30 bitop3:0x14
	s_delay_alu instid0(VALU_DEP_3) | instskip(NEXT) | instid1(VALU_DEP_3)
	v_dual_mul_f32 v31, v42, v42 :: v_dual_fmaak_f32 v34, s25, v23, 0x3c0881c4
	v_rndne_f32_e32 v24, v20
	v_dual_mul_f32 v28, v35, v35 :: v_dual_bitop2_b32 v27, 1, v37 bitop3:0x40
	v_fma_f32 v32, 0x3fb8aa3b, v18, -v20
	s_delay_alu instid0(VALU_DEP_4) | instskip(NEXT) | instid1(VALU_DEP_4)
	v_fmaak_f32 v34, v23, v34, 0xbe2aaa9d
	v_fmamk_f32 v29, v24, 0xbf317218, v18
	s_delay_alu instid0(VALU_DEP_4) | instskip(NEXT) | instid1(VALU_DEP_3)
	v_dual_fmaak_f32 v33, s24, v23, 0xbab64f3b :: v_dual_fmaak_f32 v40, s24, v28, 0xbab64f3b
	v_dual_sub_f32 v20, v20, v24 :: v_dual_mul_f32 v34, v23, v34
	v_fmaak_f32 v37, s25, v28, 0x3c0881c4
	s_delay_alu instid0(VALU_DEP_4) | instskip(SKIP_2) | instid1(VALU_DEP_4)
	v_fmac_f32_e32 v29, 0x3102e308, v24
	v_cvt_i32_f32_e32 v62, v24
	v_dual_fmaak_f32 v33, v23, v33, 0x3d2aabf7 :: v_dual_fmaak_f32 v40, v28, v40, 0x3d2aabf7
	v_dual_fmac_f32 v38, v38, v34 :: v_dual_fmaak_f32 v37, v28, v37, 0xbe2aaa9d
	v_fmac_f32_e32 v32, 0x32a5705f, v18
	v_cmp_eq_f32_e64 s1, 0x43000000, v24
	s_delay_alu instid0(VALU_DEP_4) | instskip(NEXT) | instid1(VALU_DEP_4)
	v_dual_fmaak_f32 v33, v23, v33, 0xbf000004 :: v_dual_fmaak_f32 v40, v28, v40, 0xbf000004
	v_mul_f32_e32 v37, v28, v37
	s_delay_alu instid0(VALU_DEP_4) | instskip(SKIP_1) | instid1(VALU_DEP_4)
	v_dual_fmaak_f32 v59, s25, v31, 0x3c0881c4 :: v_dual_add_f32 v20, v20, v32
	v_ldexp_f32 v32, 1.0, v62
	v_fma_f32 v23, v23, v33, 1.0
	v_fma_f32 v28, v28, v40, 1.0
	s_delay_alu instid0(VALU_DEP_4) | instskip(SKIP_4) | instid1(VALU_DEP_4)
	v_fmaak_f32 v59, v31, v59, 0xbe2aaa9d
	v_fmaak_f32 v60, s23, v29, 0x3ab69700
	v_cndmask_b32_e64 v24, v32, 0x7f000000, s1
	v_fmac_f32_e32 v35, v35, v37
	v_cmp_eq_u32_e64 s2, 0, v27
	v_dual_mul_f32 v59, v31, v59 :: v_dual_fmaak_f32 v60, v29, v60, 0x3c0887f9
	s_delay_alu instid0(VALU_DEP_4)
	v_add_f32_e32 v33, -1.0, v24
	v_exp_f32_e32 v20, v20
	v_and_b32_e32 v26, 0x80000000, v26
	v_lshl_add_u64 v[16:17], v[16:17], 3, s[8:9]
	v_fmaak_f32 v60, v29, v60, 0x3d2aaa81
	v_fmac_f32_e32 v42, v42, v59
	s_delay_alu instid0(TRANS32_DEP_1) | instskip(NEXT) | instid1(VALU_DEP_3)
	v_ldexp_f32 v20, v20, v62
	v_fmaak_f32 v60, v29, v60, 0x3e2aaaab
	s_delay_alu instid0(VALU_DEP_1) | instskip(NEXT) | instid1(VALU_DEP_1)
	v_fma_f32 v60, v29, v60, 0.5
	v_dual_fmaak_f32 v61, s24, v31, 0xbab64f3b :: v_dual_mul_f32 v32, v29, v60
	s_delay_alu instid0(VALU_DEP_1) | instskip(NEXT) | instid1(VALU_DEP_2)
	v_fmaak_f32 v61, v31, v61, 0x3d2aabf7
	v_fmac_f32_e32 v29, v29, v32
	s_delay_alu instid0(VALU_DEP_2) | instskip(NEXT) | instid1(VALU_DEP_2)
	v_fmaak_f32 v61, v31, v61, 0xbf000004
	v_fmac_f32_e32 v33, v24, v29
	v_cndmask_b32_e64 v24, v28, v35, s2
	v_cmp_ngt_f32_e64 s2, 0xc2ce8ed0, v18
	s_delay_alu instid0(VALU_DEP_1) | instskip(SKIP_1) | instid1(VALU_DEP_1)
	v_dual_add_f32 v27, v33, v33 :: v_dual_cndmask_b32 v20, 0, v20, s2
	v_cmp_eq_u32_e64 s2, 0, v22
	v_cndmask_b32_e64 v22, -v38, v23, s2
	v_cmp_nlt_f32_e64 s2, 0x42b17218, v18
	v_xor3_b32 v23, v25, v26, v24
	v_fma_f32 v26, v31, v61, 1.0
	v_cndmask_b32_e64 v24, v33, v27, s1
	v_cmp_class_f32_e64 s1, v30, 0x1f8
	v_cndmask_b32_e64 v20, 0x7f800000, v20, s2
	v_cmp_ngt_f32_e64 s2, 0xc1880000, v18
	v_dual_lshlrev_b32 v27, 30, v43 :: v_dual_bitop2_b32 v25, 1, v43 bitop3:0x40
	s_delay_alu instid0(VALU_DEP_4) | instskip(SKIP_1) | instid1(VALU_DEP_3)
	v_cndmask_b32_e64 v23, 0x7fc00000, v23, s1
	v_bitop3_b32 v21, v21, v22, 0x80000000 bitop3:0x6c
	v_cmp_eq_u32_e64 s1, 0, v25
	s_delay_alu instid0(VALU_DEP_1) | instskip(SKIP_3) | instid1(VALU_DEP_3)
	v_cndmask_b32_e64 v25, v26, v42, s1
	v_cmp_nlt_f32_e64 s1, 0x42b17217, v18
	v_and_b32_e32 v26, 0x80000000, v27
	v_xor_b32_e32 v27, v36, v19
	v_cndmask_b32_e64 v24, 0x7f800000, v24, s1
	v_cmp_class_f32_e64 s1, v19, 0x1f8
	s_delay_alu instid0(VALU_DEP_2) | instskip(NEXT) | instid1(VALU_DEP_2)
	v_dual_add_f32 v19, v23, v23 :: v_dual_cndmask_b32 v18, -1.0, v24, s2
	v_cndmask_b32_e64 v21, 0x7fc00000, v21, s1
	s_delay_alu instid0(VALU_DEP_2) | instskip(SKIP_1) | instid1(VALU_DEP_1)
	v_mul_f32_e32 v19, v23, v19
	v_xor3_b32 v22, v27, v26, v25
	v_cndmask_b32_e64 v22, 0x7fc00000, v22, s1
	s_delay_alu instid0(VALU_DEP_1)
	v_dual_fma_f32 v18, v18, v21, -v19 :: v_dual_mul_f32 v19, v20, v22
	global_store_b64 v[16:17], v[18:19], off
	s_wait_xcnt 0x0
	s_or_b32 exec_lo, exec_lo, s3
	s_and_saveexec_b32 s2, s0
	s_cbranch_execnz .LBB144_114
.LBB144_119:                            ;   in Loop: Header=BB144_57 Depth=1
	s_or_b32 exec_lo, exec_lo, s2
	s_and_saveexec_b32 s1, vcc_lo
	s_cbranch_execz .LBB144_56
.LBB144_120:                            ;   in Loop: Header=BB144_57 Depth=1
	v_dual_mul_f32 v12, 0x3fb8aa3b, v10 :: v_dual_lshlrev_b32 v13, 30, v57
	v_dual_mul_f32 v15, v56, v56 :: v_dual_bitop2_b32 v14, 1, v57 bitop3:0x40
	v_dual_mul_f32 v20, v53, v53 :: v_dual_bitop2_b32 v19, 1, v55 bitop3:0x40
	s_delay_alu instid0(VALU_DEP_3) | instskip(SKIP_1) | instid1(VALU_DEP_4)
	v_rndne_f32_e32 v16, v12
	v_fma_f32 v23, 0x3fb8aa3b, v10, -v12
	v_fmaak_f32 v25, s25, v15, 0x3c0881c4
	s_delay_alu instid0(VALU_DEP_4) | instskip(NEXT) | instid1(VALU_DEP_4)
	v_dual_fmaak_f32 v24, s24, v15, 0xbab64f3b :: v_dual_fmaak_f32 v27, s24, v20, 0xbab64f3b
	v_dual_fmamk_f32 v21, v16, 0xbf317218, v10 :: v_dual_mul_f32 v22, v6, v6
	v_fmaak_f32 v26, s25, v20, 0x3c0881c4
	s_delay_alu instid0(VALU_DEP_4) | instskip(NEXT) | instid1(VALU_DEP_3)
	v_dual_fmaak_f32 v25, v15, v25, 0xbe2aaa9d :: v_dual_sub_f32 v12, v12, v16
	v_fmac_f32_e32 v21, 0x3102e308, v16
	v_cvt_i32_f32_e32 v31, v16
	s_delay_alu instid0(VALU_DEP_4) | instskip(NEXT) | instid1(VALU_DEP_4)
	v_fmaak_f32 v26, v20, v26, 0xbe2aaa9d
	v_dual_fmaak_f32 v28, s25, v22, 0x3c0881c4 :: v_dual_mul_f32 v25, v15, v25
	v_dual_fmaak_f32 v24, v15, v24, 0x3d2aabf7 :: v_dual_fmaak_f32 v27, v20, v27, 0x3d2aabf7
	v_cmp_eq_f32_e32 vcc_lo, 0x43000000, v16
	s_delay_alu instid0(VALU_DEP_3) | instskip(SKIP_1) | instid1(VALU_DEP_4)
	v_fmaak_f32 v28, v22, v28, 0xbe2aaa9d
	v_fmac_f32_e32 v23, 0x32a5705f, v10
	v_dual_fmaak_f32 v24, v15, v24, 0xbf000004 :: v_dual_fmaak_f32 v27, v20, v27, 0xbf000004
	v_cmp_eq_u32_e64 s0, 0, v19
	s_delay_alu instid0(VALU_DEP_4) | instskip(NEXT) | instid1(VALU_DEP_4)
	v_dual_mul_f32 v28, v22, v28 :: v_dual_fmaak_f32 v29, s23, v21, 0x3ab69700
	v_add_f32_e32 v12, v12, v23
	v_ldexp_f32 v23, 1.0, v31
	v_mul_f32_e32 v26, v20, v26
	v_fma_f32 v15, v15, v24, 1.0
	v_fmaak_f32 v29, v21, v29, 0x3c0887f9
	v_exp_f32_e32 v12, v12
	v_cndmask_b32_e64 v16, v23, 0x7f000000, vcc_lo
	v_dual_fmac_f32 v56, v56, v25 :: v_dual_fmac_f32 v53, v53, v26
	s_delay_alu instid0(VALU_DEP_3) | instskip(NEXT) | instid1(VALU_DEP_3)
	v_dual_fmaak_f32 v29, v21, v29, 0x3d2aaa81 :: v_dual_fmac_f32 v6, v6, v28
	v_add_f32_e32 v24, -1.0, v16
	v_fma_f32 v20, v20, v27, 1.0
	v_dual_lshlrev_b32 v18, 30, v55 :: v_dual_bitop2_b32 v17, v50, v48 bitop3:0x14
	s_delay_alu instid0(VALU_DEP_4) | instskip(SKIP_2) | instid1(VALU_DEP_4)
	v_fmaak_f32 v29, v21, v29, 0x3e2aaaab
	v_ldexp_f32 v12, v12, v31
	v_lshl_add_u64 v[8:9], v[8:9], 3, s[8:9]
	v_and_b32_e32 v18, 0x80000000, v18
	s_delay_alu instid0(VALU_DEP_4) | instskip(NEXT) | instid1(VALU_DEP_1)
	v_fma_f32 v29, v21, v29, 0.5
	v_dual_fmaak_f32 v30, s24, v22, 0xbab64f3b :: v_dual_mul_f32 v23, v21, v29
	s_delay_alu instid0(VALU_DEP_1) | instskip(NEXT) | instid1(VALU_DEP_1)
	v_fmac_f32_e32 v21, v21, v23
	v_fmac_f32_e32 v24, v16, v21
	v_cndmask_b32_e64 v16, v20, v53, s0
	v_cmp_ngt_f32_e64 s0, 0xc2ce8ed0, v10
	s_delay_alu instid0(VALU_DEP_1) | instskip(NEXT) | instid1(VALU_DEP_4)
	v_cndmask_b32_e64 v12, 0, v12, s0
	v_dual_fmaak_f32 v30, v22, v30, 0x3d2aabf7 :: v_dual_add_f32 v19, v24, v24
	v_cmp_eq_u32_e64 s0, 0, v14
	s_delay_alu instid0(VALU_DEP_1) | instskip(SKIP_1) | instid1(VALU_DEP_4)
	v_cndmask_b32_e64 v14, -v56, v15, s0
	v_xor3_b32 v15, v17, v18, v16
	v_cndmask_b32_e32 v16, v24, v19, vcc_lo
	v_cmp_class_f32_e64 vcc_lo, v48, 0x1f8
	v_and_b32_e32 v17, 1, v58
	v_cmp_nlt_f32_e64 s0, 0x42b17218, v10
	v_lshlrev_b32_e32 v19, 30, v58
	v_bitop3_b32 v13, v13, v14, 0x80000000 bitop3:0x6c
	v_cndmask_b32_e32 v15, 0x7fc00000, v15, vcc_lo
	v_fmaak_f32 v30, v22, v30, 0xbf000004
	v_cmp_eq_u32_e32 vcc_lo, 0, v17
	v_cndmask_b32_e64 v12, 0x7f800000, v12, s0
	v_and_b32_e32 v17, 0x80000000, v19
	v_cmp_ngt_f32_e64 s0, 0xc1880000, v10
	v_fma_f32 v18, v22, v30, 1.0
	s_delay_alu instid0(VALU_DEP_1)
	v_cndmask_b32_e32 v6, v18, v6, vcc_lo
	v_cmp_nlt_f32_e32 vcc_lo, 0x42b17217, v10
	v_cndmask_b32_e32 v16, 0x7f800000, v16, vcc_lo
	v_xor_b32_e32 v18, v54, v11
	v_cmp_class_f32_e64 vcc_lo, v11, 0x1f8
	v_add_f32_e32 v11, v15, v15
	v_cndmask_b32_e32 v13, 0x7fc00000, v13, vcc_lo
	s_delay_alu instid0(VALU_DEP_2) | instskip(SKIP_1) | instid1(VALU_DEP_1)
	v_dual_mul_f32 v11, v15, v11 :: v_dual_cndmask_b32 v10, -1.0, v16, s0
	v_xor3_b32 v6, v18, v17, v6
	v_cndmask_b32_e32 v6, 0x7fc00000, v6, vcc_lo
	s_delay_alu instid0(VALU_DEP_1)
	v_dual_fma_f32 v10, v10, v13, -v11 :: v_dual_mul_f32 v11, v12, v6
	global_store_b64 v[8:9], v[10:11], off
	s_branch .LBB144_56
.LBB144_121:
	s_sendmsg sendmsg(MSG_DEALLOC_VGPRS)
	s_endpgm
	.section	.rodata,"a",@progbits
	.p2align	6, 0x0
	.amdhsa_kernel _ZN2at6native12_GLOBAL__N_125multi_tensor_apply_kernelINS1_18TensorListMetadataILi2EEENS1_14UnaryOpFunctorIN3c107complexIfEELi2ELi1ELi1EEEJNS0_5Expm1IS8_EEEEEvT_T0_DpT1_
		.amdhsa_group_segment_fixed_size 0
		.amdhsa_private_segment_fixed_size 0
		.amdhsa_kernarg_size 3408
		.amdhsa_user_sgpr_count 2
		.amdhsa_user_sgpr_dispatch_ptr 0
		.amdhsa_user_sgpr_queue_ptr 0
		.amdhsa_user_sgpr_kernarg_segment_ptr 1
		.amdhsa_user_sgpr_dispatch_id 0
		.amdhsa_user_sgpr_kernarg_preload_length 0
		.amdhsa_user_sgpr_kernarg_preload_offset 0
		.amdhsa_user_sgpr_private_segment_size 0
		.amdhsa_wavefront_size32 1
		.amdhsa_uses_dynamic_stack 0
		.amdhsa_enable_private_segment 0
		.amdhsa_system_sgpr_workgroup_id_x 1
		.amdhsa_system_sgpr_workgroup_id_y 0
		.amdhsa_system_sgpr_workgroup_id_z 0
		.amdhsa_system_sgpr_workgroup_info 0
		.amdhsa_system_vgpr_workitem_id 0
		.amdhsa_next_free_vgpr 75
		.amdhsa_next_free_sgpr 28
		.amdhsa_named_barrier_count 0
		.amdhsa_reserve_vcc 1
		.amdhsa_float_round_mode_32 0
		.amdhsa_float_round_mode_16_64 0
		.amdhsa_float_denorm_mode_32 3
		.amdhsa_float_denorm_mode_16_64 3
		.amdhsa_fp16_overflow 0
		.amdhsa_memory_ordered 1
		.amdhsa_forward_progress 1
		.amdhsa_inst_pref_size 206
		.amdhsa_round_robin_scheduling 0
		.amdhsa_exception_fp_ieee_invalid_op 0
		.amdhsa_exception_fp_denorm_src 0
		.amdhsa_exception_fp_ieee_div_zero 0
		.amdhsa_exception_fp_ieee_overflow 0
		.amdhsa_exception_fp_ieee_underflow 0
		.amdhsa_exception_fp_ieee_inexact 0
		.amdhsa_exception_int_div_zero 0
	.end_amdhsa_kernel
	.section	.text._ZN2at6native12_GLOBAL__N_125multi_tensor_apply_kernelINS1_18TensorListMetadataILi2EEENS1_14UnaryOpFunctorIN3c107complexIfEELi2ELi1ELi1EEEJNS0_5Expm1IS8_EEEEEvT_T0_DpT1_,"axG",@progbits,_ZN2at6native12_GLOBAL__N_125multi_tensor_apply_kernelINS1_18TensorListMetadataILi2EEENS1_14UnaryOpFunctorIN3c107complexIfEELi2ELi1ELi1EEEJNS0_5Expm1IS8_EEEEEvT_T0_DpT1_,comdat
.Lfunc_end144:
	.size	_ZN2at6native12_GLOBAL__N_125multi_tensor_apply_kernelINS1_18TensorListMetadataILi2EEENS1_14UnaryOpFunctorIN3c107complexIfEELi2ELi1ELi1EEEJNS0_5Expm1IS8_EEEEEvT_T0_DpT1_, .Lfunc_end144-_ZN2at6native12_GLOBAL__N_125multi_tensor_apply_kernelINS1_18TensorListMetadataILi2EEENS1_14UnaryOpFunctorIN3c107complexIfEELi2ELi1ELi1EEEJNS0_5Expm1IS8_EEEEEvT_T0_DpT1_
                                        ; -- End function
	.set _ZN2at6native12_GLOBAL__N_125multi_tensor_apply_kernelINS1_18TensorListMetadataILi2EEENS1_14UnaryOpFunctorIN3c107complexIfEELi2ELi1ELi1EEEJNS0_5Expm1IS8_EEEEEvT_T0_DpT1_.num_vgpr, 75
	.set _ZN2at6native12_GLOBAL__N_125multi_tensor_apply_kernelINS1_18TensorListMetadataILi2EEENS1_14UnaryOpFunctorIN3c107complexIfEELi2ELi1ELi1EEEJNS0_5Expm1IS8_EEEEEvT_T0_DpT1_.num_agpr, 0
	.set _ZN2at6native12_GLOBAL__N_125multi_tensor_apply_kernelINS1_18TensorListMetadataILi2EEENS1_14UnaryOpFunctorIN3c107complexIfEELi2ELi1ELi1EEEJNS0_5Expm1IS8_EEEEEvT_T0_DpT1_.numbered_sgpr, 28
	.set _ZN2at6native12_GLOBAL__N_125multi_tensor_apply_kernelINS1_18TensorListMetadataILi2EEENS1_14UnaryOpFunctorIN3c107complexIfEELi2ELi1ELi1EEEJNS0_5Expm1IS8_EEEEEvT_T0_DpT1_.num_named_barrier, 0
	.set _ZN2at6native12_GLOBAL__N_125multi_tensor_apply_kernelINS1_18TensorListMetadataILi2EEENS1_14UnaryOpFunctorIN3c107complexIfEELi2ELi1ELi1EEEJNS0_5Expm1IS8_EEEEEvT_T0_DpT1_.private_seg_size, 0
	.set _ZN2at6native12_GLOBAL__N_125multi_tensor_apply_kernelINS1_18TensorListMetadataILi2EEENS1_14UnaryOpFunctorIN3c107complexIfEELi2ELi1ELi1EEEJNS0_5Expm1IS8_EEEEEvT_T0_DpT1_.uses_vcc, 1
	.set _ZN2at6native12_GLOBAL__N_125multi_tensor_apply_kernelINS1_18TensorListMetadataILi2EEENS1_14UnaryOpFunctorIN3c107complexIfEELi2ELi1ELi1EEEJNS0_5Expm1IS8_EEEEEvT_T0_DpT1_.uses_flat_scratch, 0
	.set _ZN2at6native12_GLOBAL__N_125multi_tensor_apply_kernelINS1_18TensorListMetadataILi2EEENS1_14UnaryOpFunctorIN3c107complexIfEELi2ELi1ELi1EEEJNS0_5Expm1IS8_EEEEEvT_T0_DpT1_.has_dyn_sized_stack, 0
	.set _ZN2at6native12_GLOBAL__N_125multi_tensor_apply_kernelINS1_18TensorListMetadataILi2EEENS1_14UnaryOpFunctorIN3c107complexIfEELi2ELi1ELi1EEEJNS0_5Expm1IS8_EEEEEvT_T0_DpT1_.has_recursion, 0
	.set _ZN2at6native12_GLOBAL__N_125multi_tensor_apply_kernelINS1_18TensorListMetadataILi2EEENS1_14UnaryOpFunctorIN3c107complexIfEELi2ELi1ELi1EEEJNS0_5Expm1IS8_EEEEEvT_T0_DpT1_.has_indirect_call, 0
	.section	.AMDGPU.csdata,"",@progbits
; Kernel info:
; codeLenInByte = 26352
; TotalNumSgprs: 30
; NumVgprs: 75
; ScratchSize: 0
; MemoryBound: 1
; FloatMode: 240
; IeeeMode: 1
; LDSByteSize: 0 bytes/workgroup (compile time only)
; SGPRBlocks: 0
; VGPRBlocks: 4
; NumSGPRsForWavesPerEU: 30
; NumVGPRsForWavesPerEU: 75
; NamedBarCnt: 0
; Occupancy: 12
; WaveLimiterHint : 0
; COMPUTE_PGM_RSRC2:SCRATCH_EN: 0
; COMPUTE_PGM_RSRC2:USER_SGPR: 2
; COMPUTE_PGM_RSRC2:TRAP_HANDLER: 0
; COMPUTE_PGM_RSRC2:TGID_X_EN: 1
; COMPUTE_PGM_RSRC2:TGID_Y_EN: 0
; COMPUTE_PGM_RSRC2:TGID_Z_EN: 0
; COMPUTE_PGM_RSRC2:TIDIG_COMP_CNT: 0
	.section	.text._ZN2at6native12_GLOBAL__N_125multi_tensor_apply_kernelINS1_18TensorListMetadataILi2EEENS1_14UnaryOpFunctorIN3c104HalfELi2ELi1ELi1EEEJNS0_5Expm1IfEEEEEvT_T0_DpT1_,"axG",@progbits,_ZN2at6native12_GLOBAL__N_125multi_tensor_apply_kernelINS1_18TensorListMetadataILi2EEENS1_14UnaryOpFunctorIN3c104HalfELi2ELi1ELi1EEEJNS0_5Expm1IfEEEEEvT_T0_DpT1_,comdat
	.globl	_ZN2at6native12_GLOBAL__N_125multi_tensor_apply_kernelINS1_18TensorListMetadataILi2EEENS1_14UnaryOpFunctorIN3c104HalfELi2ELi1ELi1EEEJNS0_5Expm1IfEEEEEvT_T0_DpT1_ ; -- Begin function _ZN2at6native12_GLOBAL__N_125multi_tensor_apply_kernelINS1_18TensorListMetadataILi2EEENS1_14UnaryOpFunctorIN3c104HalfELi2ELi1ELi1EEEJNS0_5Expm1IfEEEEEvT_T0_DpT1_
	.p2align	8
	.type	_ZN2at6native12_GLOBAL__N_125multi_tensor_apply_kernelINS1_18TensorListMetadataILi2EEENS1_14UnaryOpFunctorIN3c104HalfELi2ELi1ELi1EEEJNS0_5Expm1IfEEEEEvT_T0_DpT1_,@function
_ZN2at6native12_GLOBAL__N_125multi_tensor_apply_kernelINS1_18TensorListMetadataILi2EEENS1_14UnaryOpFunctorIN3c104HalfELi2ELi1ELi1EEEJNS0_5Expm1IfEEEEEvT_T0_DpT1_: ; @_ZN2at6native12_GLOBAL__N_125multi_tensor_apply_kernelINS1_18TensorListMetadataILi2EEENS1_14UnaryOpFunctorIN3c104HalfELi2ELi1ELi1EEEJNS0_5Expm1IfEEEEEvT_T0_DpT1_
; %bb.0:
	s_bfe_u32 s2, ttmp6, 0x4000c
	s_and_b32 s3, ttmp6, 15
	s_add_co_i32 s2, s2, 1
	s_getreg_b32 s4, hwreg(HW_REG_IB_STS2, 6, 4)
	s_mul_i32 s2, ttmp9, s2
	s_delay_alu instid0(SALU_CYCLE_1)
	s_add_co_i32 s3, s3, s2
	s_cmp_eq_u32 s4, 0
	s_cselect_b32 s2, ttmp9, s3
	s_mov_b32 s3, 0
	s_load_u8 s13, s[0:1], s2 offset:0x600
	s_add_nc_u64 s[4:5], s[0:1], s[2:3]
	s_mul_u64 s[6:7], s[2:3], 3
	s_delay_alu instid0(SALU_CYCLE_1)
	s_add_nc_u64 s[4:5], s[4:5], s[6:7]
	s_load_b32 s12, s[4:5], 0x740
	s_wait_kmcnt 0x0
	s_clause 0x2
	s_load_b64 s[8:9], s[0:1], s13 offset:0x0 scale_offset
	s_load_b64 s[10:11], s[0:1], s13 offset:0x200 scale_offset
	;; [unrolled: 1-line block ×3, first 2 shown]
	s_mov_b32 s5, s3
	s_wait_xcnt 0x0
	s_ashr_i32 s13, s12, 31
	s_delay_alu instid0(SALU_CYCLE_1)
	s_lshl_b64 s[6:7], s[12:13], 17
	s_wait_kmcnt 0x0
	s_and_b64 s[18:19], s[10:11], 7
	s_add_nc_u64 s[16:17], s[8:9], s[6:7]
	s_and_b32 s4, s14, 3
	s_and_b32 s2, s16, 7
	s_or_b64 s[4:5], s[18:19], s[4:5]
	s_lshl_b64 s[12:13], s[12:13], 16
	s_or_b64 s[2:3], s[4:5], s[2:3]
	s_sub_nc_u64 s[12:13], s[14:15], s[12:13]
	s_cmp_eq_u64 s[2:3], 0
	s_mov_b32 s2, -1
	s_cbranch_scc0 .LBB145_5
; %bb.1:
	v_min_i64 v[2:3], 0x10000, s[12:13]
	v_dual_mov_b32 v5, 0 :: v_dual_lshlrev_b32 v4, 2, v0
	s_mov_b32 s5, exec_lo
	s_delay_alu instid0(VALU_DEP_1)
	v_cmpx_lt_i64_e64 v[4:5], v[2:3]
	s_cbranch_execz .LBB145_4
; %bb.2:
	s_load_b32 s2, s[0:1], 0xc5c
	v_dual_mov_b32 v1, v5 :: v_dual_lshlrev_b32 v4, 3, v0
	s_mov_b32 s15, 0
	s_mov_b32 s16, 0xbf317218
	;; [unrolled: 1-line block ×3, first 2 shown]
	s_delay_alu instid0(VALU_DEP_1)
	v_mov_b64_e32 v[6:7], v[0:1]
	v_add_nc_u64_e32 v[4:5], s[6:7], v[4:5]
	s_mov_b32 s20, 0x3ab69700
	s_mov_b32 s22, 0x395133b1
	;; [unrolled: 1-line block ×7, first 2 shown]
	s_wait_kmcnt 0x0
	s_and_b32 s14, s2, 0xffff
	s_delay_alu instid0(SALU_CYCLE_1)
	s_lshl_b32 s30, s14, 3
.LBB145_3:                              ; =>This Inner Loop Header: Depth=1
	v_add_nc_u64_e32 v[8:9], s[8:9], v[4:5]
	v_add_nc_u64_e32 v[6:7], s[14:15], v[6:7]
	global_load_b64 v[8:9], v[8:9], off
	s_wait_loadcnt 0x0
	v_dual_lshrrev_b32 v1, 16, v9 :: v_dual_lshrrev_b32 v30, 16, v8
	v_cvt_f32_f16_e32 v10, v8
	v_cvt_f32_f16_e32 v12, v9
	s_delay_alu instid0(VALU_DEP_3) | instskip(NEXT) | instid1(VALU_DEP_4)
	v_cvt_f32_f16_e32 v13, v1
	v_cvt_f32_f16_e32 v11, v30
	s_delay_alu instid0(VALU_DEP_3) | instskip(NEXT) | instid1(VALU_DEP_2)
	v_dual_mul_f32 v14, 0x3fb8aa3b, v10 :: v_dual_mul_f32 v15, 0x3fb8aa3b, v12
	v_dual_mul_f32 v17, 0x3fb8aa3b, v13 :: v_dual_mul_f32 v18, 0x3fb8aa3b, v11
	s_delay_alu instid0(VALU_DEP_2) | instskip(NEXT) | instid1(VALU_DEP_3)
	v_rndne_f32_e32 v14, v14
	v_rndne_f32_e32 v16, v15
	s_delay_alu instid0(VALU_DEP_3) | instskip(NEXT) | instid1(VALU_DEP_4)
	v_rndne_f32_e32 v17, v17
	v_rndne_f32_e32 v15, v18
	s_delay_alu instid0(VALU_DEP_4) | instskip(NEXT) | instid1(VALU_DEP_4)
	v_cvt_i32_f32_e32 v22, v14
	v_cvt_i32_f32_e32 v23, v16
	v_cmp_eq_f32_e32 vcc_lo, 0x43000000, v16
	v_pk_fma_f32 v[18:19], v[16:17], s[16:17], v[12:13] op_sel_hi:[1,0,1]
	v_pk_fma_f32 v[20:21], v[14:15], s[16:17], v[10:11] op_sel_hi:[1,0,1]
	v_ldexp_f32 v22, 1.0, v22
	v_cvt_i32_f32_e32 v24, v15
	v_ldexp_f32 v23, 1.0, v23
	v_cvt_i32_f32_e32 v25, v17
	v_cmp_eq_f32_e64 s2, 0x43000000, v14
	v_pk_fma_f32 v[20:21], v[14:15], s[18:19], v[20:21] op_sel_hi:[1,0,1]
	v_pk_fma_f32 v[18:19], v[16:17], s[18:19], v[18:19] op_sel_hi:[1,0,1]
	v_ldexp_f32 v26, 1.0, v24
	v_ldexp_f32 v27, 1.0, v25
	v_cndmask_b32_e64 v14, v22, 0x7f000000, s2
	v_cndmask_b32_e64 v16, v23, 0x7f000000, vcc_lo
	v_pk_fma_f32 v[22:23], v[20:21], s[22:23], s[20:21] op_sel_hi:[1,0,0]
	v_pk_fma_f32 v[24:25], v[18:19], s[22:23], s[20:21] op_sel_hi:[1,0,0]
	v_cmp_eq_f32_e64 s3, 0x43000000, v17
	v_cmp_eq_f32_e64 s4, 0x43000000, v15
	s_delay_alu instid0(VALU_DEP_4) | instskip(NEXT) | instid1(VALU_DEP_4)
	v_pk_fma_f32 v[22:23], v[20:21], v[22:23], s[24:25] op_sel_hi:[1,1,0]
	v_pk_fma_f32 v[24:25], v[18:19], v[24:25], s[24:25] op_sel_hi:[1,1,0]
	s_delay_alu instid0(VALU_DEP_4) | instskip(NEXT) | instid1(VALU_DEP_4)
	v_cndmask_b32_e64 v17, v27, 0x7f000000, s3
	v_cndmask_b32_e64 v15, v26, 0x7f000000, s4
	s_delay_alu instid0(VALU_DEP_4) | instskip(NEXT) | instid1(VALU_DEP_4)
	v_pk_fma_f32 v[22:23], v[20:21], v[22:23], s[26:27] op_sel_hi:[1,1,0]
	v_pk_fma_f32 v[24:25], v[18:19], v[24:25], s[26:27] op_sel_hi:[1,1,0]
	s_delay_alu instid0(VALU_DEP_4) | instskip(NEXT) | instid1(VALU_DEP_4)
	v_pk_add_f32 v[26:27], v[16:17], -1.0 op_sel_hi:[1,0]
	v_pk_add_f32 v[28:29], v[14:15], -1.0 op_sel_hi:[1,0]
	s_delay_alu instid0(VALU_DEP_4) | instskip(NEXT) | instid1(VALU_DEP_4)
	v_pk_fma_f32 v[22:23], v[20:21], v[22:23], s[28:29] op_sel_hi:[1,1,0]
	v_pk_fma_f32 v[24:25], v[18:19], v[24:25], s[28:29] op_sel_hi:[1,1,0]
	s_delay_alu instid0(VALU_DEP_2) | instskip(NEXT) | instid1(VALU_DEP_2)
	v_pk_fma_f32 v[22:23], v[20:21], v[22:23], 0.5 op_sel_hi:[1,1,0]
	v_pk_fma_f32 v[24:25], v[18:19], v[24:25], 0.5 op_sel_hi:[1,1,0]
	s_delay_alu instid0(VALU_DEP_2) | instskip(NEXT) | instid1(VALU_DEP_2)
	v_pk_mul_f32 v[22:23], v[20:21], v[22:23]
	v_pk_mul_f32 v[24:25], v[18:19], v[24:25]
	s_delay_alu instid0(VALU_DEP_2) | instskip(NEXT) | instid1(VALU_DEP_2)
	v_pk_fma_f32 v[20:21], v[20:21], v[22:23], v[20:21]
	v_pk_fma_f32 v[18:19], v[18:19], v[24:25], v[18:19]
	s_delay_alu instid0(VALU_DEP_2) | instskip(NEXT) | instid1(VALU_DEP_2)
	v_pk_fma_f32 v[14:15], v[14:15], v[20:21], v[28:29]
	v_pk_fma_f32 v[16:17], v[16:17], v[18:19], v[26:27]
	s_delay_alu instid0(VALU_DEP_2) | instskip(NEXT) | instid1(VALU_DEP_2)
	v_pk_add_f32 v[18:19], v[14:15], v[14:15]
	v_pk_add_f32 v[20:21], v[16:17], v[16:17]
	s_delay_alu instid0(VALU_DEP_2) | instskip(NEXT) | instid1(VALU_DEP_2)
	v_dual_cndmask_b32 v14, v14, v18, s2 :: v_dual_cndmask_b32 v15, v15, v19, s4
	v_dual_cndmask_b32 v16, v16, v20, vcc_lo :: v_dual_cndmask_b32 v17, v17, v21, s3
	v_cmp_nlt_f32_e32 vcc_lo, 0x42b17217, v12
	v_cmp_nlt_f32_e64 s2, 0x42b17217, v11
	v_cmp_nlt_f32_e64 s3, 0x42b17217, v10
	;; [unrolled: 1-line block ×3, first 2 shown]
	v_lshlrev_b64_e32 v[10:11], 2, v[6:7]
	v_cndmask_b32_e32 v13, 0x7f800000, v16, vcc_lo
	v_cndmask_b32_e64 v15, 0x7f800000, v15, s2
	v_cndmask_b32_e64 v14, 0x7f800000, v14, s3
	;; [unrolled: 1-line block ×3, first 2 shown]
	v_cmp_ngt_f16_e32 vcc_lo, 0xcc40, v8
	v_cmp_ngt_f16_e64 s2, 0xcc40, v9
	s_delay_alu instid0(VALU_DEP_3) | instskip(SKIP_1) | instid1(VALU_DEP_2)
	v_cvt_pk_f16_f32 v12, v13, v12
	v_cvt_pk_f16_f32 v13, v14, v15
	v_cndmask_b32_e64 v14, 0xbc00, v12, s2
	s_wait_xcnt 0x0
	s_delay_alu instid0(VALU_DEP_2) | instskip(SKIP_3) | instid1(VALU_DEP_4)
	v_dual_lshrrev_b32 v8, 16, v12 :: v_dual_lshrrev_b32 v9, 16, v13
	v_cndmask_b32_e32 v12, 0xbc00, v13, vcc_lo
	v_cmp_ngt_f16_e32 vcc_lo, 0xcc40, v30
	v_cmp_ngt_f16_e64 s2, 0xcc40, v1
	v_cndmask_b32_e32 v13, 0xbc00, v9, vcc_lo
	s_delay_alu instid0(VALU_DEP_2)
	v_cndmask_b32_e64 v1, 0xbc00, v8, s2
	v_cmp_ge_i64_e32 vcc_lo, v[10:11], v[2:3]
	v_add_nc_u64_e32 v[8:9], s[10:11], v[4:5]
	v_add_nc_u64_e32 v[4:5], s[30:31], v[4:5]
	v_perm_b32 v10, v13, v12, 0x5040100
	v_perm_b32 v11, v1, v14, 0x5040100
	s_or_b32 s17, vcc_lo, s17
	global_store_b64 v[8:9], v[10:11], off
	s_wait_xcnt 0x0
	s_and_not1_b32 exec_lo, exec_lo, s17
	s_cbranch_execnz .LBB145_3
.LBB145_4:
	s_or_b32 exec_lo, exec_lo, s5
	s_mov_b32 s2, 0
.LBB145_5:
	s_delay_alu instid0(SALU_CYCLE_1)
	s_and_not1_b32 vcc_lo, exec_lo, s2
	s_cbranch_vccnz .LBB145_25
; %bb.6:
	v_cmp_lt_i64_e64 s2, s[12:13], 1
	s_and_b32 vcc_lo, exec_lo, s2
	s_cbranch_vccnz .LBB145_25
; %bb.7:
	s_load_b32 s0, s[0:1], 0xc5c
	v_min_i64 v[2:3], 0x10000, s[12:13]
	v_min_u64 v[4:5], 0x10000, s[12:13]
	v_dual_mov_b32 v1, 0 :: v_dual_lshlrev_b32 v10, 1, v0
	s_wait_xcnt 0x0
	s_mov_b32 s1, 0
	s_delay_alu instid0(SALU_CYCLE_1) | instskip(NEXT) | instid1(VALU_DEP_1)
	s_mov_b32 s5, s1
	v_dual_mov_b32 v11, v1 :: v_dual_mov_b32 v27, v1
	s_mov_b32 s3, s1
	s_mov_b32 s13, s1
	s_delay_alu instid0(VALU_DEP_1) | instskip(SKIP_2) | instid1(SALU_CYCLE_1)
	v_add_nc_u64_e32 v[6:7], s[8:9], v[10:11]
	s_wait_kmcnt 0x0
	s_and_b32 s0, s0, 0xffff
	v_add_nc_u64_e32 v[8:9], s[0:1], v[0:1]
	v_mad_nc_u64_u32 v[22:23], s0, 6, v[10:11]
	s_lshl_b32 s4, s0, 2
	s_mul_i32 s12, s0, 3
	v_add_nc_u64_e32 v[18:19], s[4:5], v[10:11]
	s_lshl_b32 s2, s0, 1
	v_add_nc_u64_e32 v[10:11], s[10:11], v[10:11]
	v_lshlrev_b32_e32 v26, 1, v8
	v_add_nc_u64_e32 v[12:13], s[12:13], v[0:1]
	v_add_nc_u64_e32 v[14:15], s[2:3], v[0:1]
	s_mov_b32 s3, 0xbf317218
	v_add_nc_u64_e32 v[16:17], s[8:9], v[18:19]
	v_add_nc_u64_e32 v[18:19], s[10:11], v[18:19]
	;; [unrolled: 1-line block ×6, first 2 shown]
	s_lshl_b32 s8, s0, 3
	s_mov_b32 s9, s1
	s_mov_b64 s[10:11], 0
	s_mov_b32 s12, 0x395133b1
	s_branch .LBB145_9
.LBB145_8:                              ;   in Loop: Header=BB145_9 Depth=1
	s_wait_xcnt 0x0
	s_or_b32 exec_lo, exec_lo, s0
	s_add_nc_u64 s[10:11], s[10:11], s[4:5]
	v_add_nc_u64_e32 v[6:7], s[8:9], v[6:7]
	v_cmp_ge_i64_e32 vcc_lo, s[10:11], v[2:3]
	v_add_nc_u64_e32 v[10:11], s[8:9], v[10:11]
	v_add_nc_u64_e32 v[20:21], s[8:9], v[20:21]
	;; [unrolled: 1-line block ×7, first 2 shown]
	s_cbranch_vccnz .LBB145_25
.LBB145_9:                              ; =>This Inner Loop Header: Depth=1
	s_wait_loadcnt 0x0
	v_add_nc_u64_e32 v[28:29], s[10:11], v[0:1]
	v_mov_b32_e32 v31, 0
	s_delay_alu instid0(VALU_DEP_2)
	v_cmp_lt_u64_e64 s2, v[28:29], v[4:5]
	s_and_saveexec_b32 s0, s2
	s_cbranch_execz .LBB145_11
; %bb.10:                               ;   in Loop: Header=BB145_9 Depth=1
	v_add_nc_u64_e32 v[28:29], s[6:7], v[6:7]
	global_load_u16 v31, v[28:29], off
.LBB145_11:                             ;   in Loop: Header=BB145_9 Depth=1
	s_wait_xcnt 0x0
	s_or_b32 exec_lo, exec_lo, s0
	v_add_nc_u64_e32 v[28:29], s[10:11], v[8:9]
	v_mov_b32_e32 v30, 0
	s_delay_alu instid0(VALU_DEP_2)
	v_cmp_lt_u64_e64 s1, v[28:29], v[4:5]
	v_mov_b32_e32 v29, 0
	s_and_saveexec_b32 s0, s1
	s_cbranch_execz .LBB145_13
; %bb.12:                               ;   in Loop: Header=BB145_9 Depth=1
	v_add_nc_u64_e32 v[32:33], s[6:7], v[24:25]
	global_load_u16 v30, v[32:33], off
.LBB145_13:                             ;   in Loop: Header=BB145_9 Depth=1
	s_wait_xcnt 0x0
	s_or_b32 exec_lo, exec_lo, s0
	v_add_nc_u64_e32 v[32:33], s[10:11], v[14:15]
	s_delay_alu instid0(VALU_DEP_1)
	v_cmp_lt_u64_e64 s0, v[32:33], v[4:5]
	s_and_saveexec_b32 s13, s0
	s_cbranch_execz .LBB145_15
; %bb.14:                               ;   in Loop: Header=BB145_9 Depth=1
	v_add_nc_u64_e32 v[28:29], s[6:7], v[16:17]
	global_load_u16 v29, v[28:29], off
.LBB145_15:                             ;   in Loop: Header=BB145_9 Depth=1
	s_wait_xcnt 0x0
	s_or_b32 exec_lo, exec_lo, s13
	v_add_nc_u64_e32 v[32:33], s[10:11], v[12:13]
	v_mov_b32_e32 v28, 0
	s_delay_alu instid0(VALU_DEP_2)
	v_cmp_lt_u64_e32 vcc_lo, v[32:33], v[4:5]
	s_and_saveexec_b32 s13, vcc_lo
	s_cbranch_execnz .LBB145_20
; %bb.16:                               ;   in Loop: Header=BB145_9 Depth=1
	s_or_b32 exec_lo, exec_lo, s13
	s_and_saveexec_b32 s13, s2
	s_cbranch_execnz .LBB145_21
.LBB145_17:                             ;   in Loop: Header=BB145_9 Depth=1
	s_or_b32 exec_lo, exec_lo, s13
	s_and_saveexec_b32 s2, s1
	s_cbranch_execnz .LBB145_22
.LBB145_18:                             ;   in Loop: Header=BB145_9 Depth=1
	s_or_b32 exec_lo, exec_lo, s2
	s_and_saveexec_b32 s1, s0
	s_cbranch_execnz .LBB145_23
.LBB145_19:                             ;   in Loop: Header=BB145_9 Depth=1
	s_or_b32 exec_lo, exec_lo, s1
	s_and_saveexec_b32 s0, vcc_lo
	s_cbranch_execz .LBB145_8
	s_branch .LBB145_24
.LBB145_20:                             ;   in Loop: Header=BB145_9 Depth=1
	v_add_nc_u64_e32 v[32:33], s[6:7], v[20:21]
	global_load_u16 v28, v[32:33], off
	s_wait_xcnt 0x0
	s_or_b32 exec_lo, exec_lo, s13
	s_and_saveexec_b32 s13, s2
	s_cbranch_execz .LBB145_17
.LBB145_21:                             ;   in Loop: Header=BB145_9 Depth=1
	s_wait_loadcnt 0x0
	v_cvt_f32_f16_e32 v32, v31
	s_delay_alu instid0(VALU_DEP_1) | instskip(NEXT) | instid1(VALU_DEP_1)
	v_mul_f32_e32 v33, 0x3fb8aa3b, v32
	v_rndne_f32_e32 v33, v33
	s_delay_alu instid0(VALU_DEP_1) | instskip(SKIP_2) | instid1(VALU_DEP_3)
	v_fma_mix_f32 v34, v33, s3, v31 op_sel_hi:[0,0,1]
	v_cvt_i32_f32_e32 v36, v33
	v_cmp_eq_f32_e64 s2, 0x43000000, v33
	v_fmac_f32_e32 v34, 0x3102e308, v33
	s_delay_alu instid0(VALU_DEP_3) | instskip(NEXT) | instid1(VALU_DEP_2)
	v_ldexp_f32 v36, 1.0, v36
	v_fmaak_f32 v35, s12, v34, 0x3ab69700
	s_delay_alu instid0(VALU_DEP_2) | instskip(NEXT) | instid1(VALU_DEP_2)
	v_cndmask_b32_e64 v33, v36, 0x7f000000, s2
	v_fmaak_f32 v35, v34, v35, 0x3c0887f9
	s_delay_alu instid0(VALU_DEP_1) | instskip(NEXT) | instid1(VALU_DEP_1)
	v_fmaak_f32 v35, v34, v35, 0x3d2aaa81
	v_fmaak_f32 v35, v34, v35, 0x3e2aaaab
	s_delay_alu instid0(VALU_DEP_1) | instskip(NEXT) | instid1(VALU_DEP_1)
	v_fma_f32 v35, v34, v35, 0.5
	v_mul_f32_e32 v35, v34, v35
	s_delay_alu instid0(VALU_DEP_1) | instskip(NEXT) | instid1(VALU_DEP_1)
	v_dual_fmac_f32 v34, v34, v35 :: v_dual_add_f32 v35, -1.0, v33
	v_fmac_f32_e32 v35, v33, v34
	s_delay_alu instid0(VALU_DEP_1) | instskip(NEXT) | instid1(VALU_DEP_1)
	v_add_f32_e32 v33, v35, v35
	v_cndmask_b32_e64 v33, v35, v33, s2
	v_cmp_nlt_f32_e64 s2, 0x42b17217, v32
	s_delay_alu instid0(VALU_DEP_1) | instskip(SKIP_1) | instid1(VALU_DEP_2)
	v_cndmask_b32_e64 v32, 0x7f800000, v33, s2
	v_cmp_ngt_f16_e64 s2, 0xcc40, v31
	v_cvt_f16_f32_e32 v34, v32
	v_add_nc_u64_e32 v[32:33], s[6:7], v[10:11]
	s_delay_alu instid0(VALU_DEP_2)
	v_cndmask_b32_e64 v31, 0xbc00, v34, s2
	global_store_b16 v[32:33], v31, off
	s_wait_xcnt 0x0
	s_or_b32 exec_lo, exec_lo, s13
	s_and_saveexec_b32 s2, s1
	s_cbranch_execz .LBB145_18
.LBB145_22:                             ;   in Loop: Header=BB145_9 Depth=1
	s_wait_loadcnt 0x0
	v_cvt_f32_f16_e32 v31, v30
	s_delay_alu instid0(VALU_DEP_1) | instskip(NEXT) | instid1(VALU_DEP_1)
	v_mul_f32_e32 v32, 0x3fb8aa3b, v31
	v_rndne_f32_e32 v32, v32
	s_delay_alu instid0(VALU_DEP_1) | instskip(SKIP_2) | instid1(VALU_DEP_3)
	v_fma_mix_f32 v33, v32, s3, v30 op_sel_hi:[0,0,1]
	v_cvt_i32_f32_e32 v35, v32
	v_cmp_eq_f32_e64 s1, 0x43000000, v32
	v_fmac_f32_e32 v33, 0x3102e308, v32
	s_delay_alu instid0(VALU_DEP_3) | instskip(NEXT) | instid1(VALU_DEP_2)
	v_ldexp_f32 v35, 1.0, v35
	v_fmaak_f32 v34, s12, v33, 0x3ab69700
	s_delay_alu instid0(VALU_DEP_2) | instskip(NEXT) | instid1(VALU_DEP_2)
	v_cndmask_b32_e64 v32, v35, 0x7f000000, s1
	v_fmaak_f32 v34, v33, v34, 0x3c0887f9
	s_delay_alu instid0(VALU_DEP_1) | instskip(NEXT) | instid1(VALU_DEP_1)
	v_fmaak_f32 v34, v33, v34, 0x3d2aaa81
	v_fmaak_f32 v34, v33, v34, 0x3e2aaaab
	s_delay_alu instid0(VALU_DEP_1) | instskip(NEXT) | instid1(VALU_DEP_1)
	v_fma_f32 v34, v33, v34, 0.5
	v_mul_f32_e32 v34, v33, v34
	s_delay_alu instid0(VALU_DEP_1) | instskip(NEXT) | instid1(VALU_DEP_1)
	v_dual_fmac_f32 v33, v33, v34 :: v_dual_add_f32 v34, -1.0, v32
	v_fmac_f32_e32 v34, v32, v33
	s_delay_alu instid0(VALU_DEP_1) | instskip(NEXT) | instid1(VALU_DEP_1)
	v_add_f32_e32 v32, v34, v34
	v_cndmask_b32_e64 v32, v34, v32, s1
	v_cmp_nlt_f32_e64 s1, 0x42b17217, v31
	s_delay_alu instid0(VALU_DEP_1) | instskip(SKIP_2) | instid1(VALU_DEP_3)
	v_cndmask_b32_e64 v31, 0x7f800000, v32, s1
	v_cmp_ngt_f16_e64 s1, 0xcc40, v30
	v_add_nc_u64_e32 v[32:33], s[6:7], v[26:27]
	v_cvt_f16_f32_e32 v31, v31
	s_delay_alu instid0(VALU_DEP_1)
	v_cndmask_b32_e64 v30, 0xbc00, v31, s1
	global_store_b16 v[32:33], v30, off
	s_wait_xcnt 0x0
	s_or_b32 exec_lo, exec_lo, s2
	s_and_saveexec_b32 s1, s0
	s_cbranch_execz .LBB145_19
.LBB145_23:                             ;   in Loop: Header=BB145_9 Depth=1
	s_wait_loadcnt 0x0
	v_cvt_f32_f16_e32 v30, v29
	s_delay_alu instid0(VALU_DEP_1) | instskip(NEXT) | instid1(VALU_DEP_1)
	v_mul_f32_e32 v31, 0x3fb8aa3b, v30
	v_rndne_f32_e32 v31, v31
	s_delay_alu instid0(VALU_DEP_1) | instskip(SKIP_2) | instid1(VALU_DEP_3)
	v_fma_mix_f32 v32, v31, s3, v29 op_sel_hi:[0,0,1]
	v_cvt_i32_f32_e32 v34, v31
	v_cmp_eq_f32_e64 s0, 0x43000000, v31
	v_fmac_f32_e32 v32, 0x3102e308, v31
	s_delay_alu instid0(VALU_DEP_3) | instskip(NEXT) | instid1(VALU_DEP_2)
	v_ldexp_f32 v34, 1.0, v34
	v_fmaak_f32 v33, s12, v32, 0x3ab69700
	s_delay_alu instid0(VALU_DEP_2) | instskip(NEXT) | instid1(VALU_DEP_2)
	v_cndmask_b32_e64 v31, v34, 0x7f000000, s0
	v_fmaak_f32 v33, v32, v33, 0x3c0887f9
	s_delay_alu instid0(VALU_DEP_1) | instskip(NEXT) | instid1(VALU_DEP_1)
	v_fmaak_f32 v33, v32, v33, 0x3d2aaa81
	v_fmaak_f32 v33, v32, v33, 0x3e2aaaab
	s_delay_alu instid0(VALU_DEP_1) | instskip(NEXT) | instid1(VALU_DEP_1)
	v_fma_f32 v33, v32, v33, 0.5
	v_mul_f32_e32 v33, v32, v33
	s_delay_alu instid0(VALU_DEP_1) | instskip(NEXT) | instid1(VALU_DEP_1)
	v_dual_fmac_f32 v32, v32, v33 :: v_dual_add_f32 v33, -1.0, v31
	v_fmac_f32_e32 v33, v31, v32
	s_delay_alu instid0(VALU_DEP_1) | instskip(NEXT) | instid1(VALU_DEP_1)
	v_add_f32_e32 v31, v33, v33
	v_cndmask_b32_e64 v31, v33, v31, s0
	v_cmp_nlt_f32_e64 s0, 0x42b17217, v30
	s_delay_alu instid0(VALU_DEP_1) | instskip(SKIP_1) | instid1(VALU_DEP_2)
	v_cndmask_b32_e64 v30, 0x7f800000, v31, s0
	v_cmp_ngt_f16_e64 s0, 0xcc40, v29
	v_cvt_f16_f32_e32 v32, v30
	v_add_nc_u64_e32 v[30:31], s[6:7], v[18:19]
	s_delay_alu instid0(VALU_DEP_2)
	v_cndmask_b32_e64 v29, 0xbc00, v32, s0
	global_store_b16 v[30:31], v29, off
	s_wait_xcnt 0x0
	s_or_b32 exec_lo, exec_lo, s1
	s_and_saveexec_b32 s0, vcc_lo
	s_cbranch_execz .LBB145_8
.LBB145_24:                             ;   in Loop: Header=BB145_9 Depth=1
	s_wait_loadcnt 0x0
	v_cvt_f32_f16_e32 v29, v28
	s_delay_alu instid0(VALU_DEP_1) | instskip(NEXT) | instid1(VALU_DEP_1)
	v_mul_f32_e32 v30, 0x3fb8aa3b, v29
	v_rndne_f32_e32 v30, v30
	s_delay_alu instid0(VALU_DEP_1) | instskip(SKIP_2) | instid1(VALU_DEP_3)
	v_fma_mix_f32 v31, v30, s3, v28 op_sel_hi:[0,0,1]
	v_cvt_i32_f32_e32 v33, v30
	v_cmp_eq_f32_e32 vcc_lo, 0x43000000, v30
	v_fmac_f32_e32 v31, 0x3102e308, v30
	s_delay_alu instid0(VALU_DEP_3) | instskip(NEXT) | instid1(VALU_DEP_2)
	v_ldexp_f32 v33, 1.0, v33
	v_fmaak_f32 v32, s12, v31, 0x3ab69700
	s_delay_alu instid0(VALU_DEP_2) | instskip(NEXT) | instid1(VALU_DEP_2)
	v_cndmask_b32_e64 v30, v33, 0x7f000000, vcc_lo
	v_fmaak_f32 v32, v31, v32, 0x3c0887f9
	s_delay_alu instid0(VALU_DEP_1) | instskip(NEXT) | instid1(VALU_DEP_1)
	v_fmaak_f32 v32, v31, v32, 0x3d2aaa81
	v_fmaak_f32 v32, v31, v32, 0x3e2aaaab
	s_delay_alu instid0(VALU_DEP_1) | instskip(NEXT) | instid1(VALU_DEP_1)
	v_fma_f32 v32, v31, v32, 0.5
	v_mul_f32_e32 v32, v31, v32
	s_delay_alu instid0(VALU_DEP_1) | instskip(NEXT) | instid1(VALU_DEP_1)
	v_dual_fmac_f32 v31, v31, v32 :: v_dual_add_f32 v32, -1.0, v30
	v_fmac_f32_e32 v32, v30, v31
	s_delay_alu instid0(VALU_DEP_1) | instskip(NEXT) | instid1(VALU_DEP_1)
	v_add_f32_e32 v30, v32, v32
	v_cndmask_b32_e32 v30, v32, v30, vcc_lo
	v_cmp_nlt_f32_e32 vcc_lo, 0x42b17217, v29
	s_delay_alu instid0(VALU_DEP_2) | instskip(SKIP_2) | instid1(VALU_DEP_3)
	v_cndmask_b32_e32 v29, 0x7f800000, v30, vcc_lo
	v_cmp_ngt_f16_e32 vcc_lo, 0xcc40, v28
	v_add_nc_u64_e32 v[30:31], s[6:7], v[22:23]
	v_cvt_f16_f32_e32 v29, v29
	s_delay_alu instid0(VALU_DEP_1)
	v_cndmask_b32_e32 v28, 0xbc00, v29, vcc_lo
	global_store_b16 v[30:31], v28, off
	s_branch .LBB145_8
.LBB145_25:
	s_endpgm
	.section	.rodata,"a",@progbits
	.p2align	6, 0x0
	.amdhsa_kernel _ZN2at6native12_GLOBAL__N_125multi_tensor_apply_kernelINS1_18TensorListMetadataILi2EEENS1_14UnaryOpFunctorIN3c104HalfELi2ELi1ELi1EEEJNS0_5Expm1IfEEEEEvT_T0_DpT1_
		.amdhsa_group_segment_fixed_size 0
		.amdhsa_private_segment_fixed_size 0
		.amdhsa_kernarg_size 3408
		.amdhsa_user_sgpr_count 2
		.amdhsa_user_sgpr_dispatch_ptr 0
		.amdhsa_user_sgpr_queue_ptr 0
		.amdhsa_user_sgpr_kernarg_segment_ptr 1
		.amdhsa_user_sgpr_dispatch_id 0
		.amdhsa_user_sgpr_kernarg_preload_length 0
		.amdhsa_user_sgpr_kernarg_preload_offset 0
		.amdhsa_user_sgpr_private_segment_size 0
		.amdhsa_wavefront_size32 1
		.amdhsa_uses_dynamic_stack 0
		.amdhsa_enable_private_segment 0
		.amdhsa_system_sgpr_workgroup_id_x 1
		.amdhsa_system_sgpr_workgroup_id_y 0
		.amdhsa_system_sgpr_workgroup_id_z 0
		.amdhsa_system_sgpr_workgroup_info 0
		.amdhsa_system_vgpr_workitem_id 0
		.amdhsa_next_free_vgpr 37
		.amdhsa_next_free_sgpr 32
		.amdhsa_named_barrier_count 0
		.amdhsa_reserve_vcc 1
		.amdhsa_float_round_mode_32 0
		.amdhsa_float_round_mode_16_64 0
		.amdhsa_float_denorm_mode_32 3
		.amdhsa_float_denorm_mode_16_64 3
		.amdhsa_fp16_overflow 0
		.amdhsa_memory_ordered 1
		.amdhsa_forward_progress 1
		.amdhsa_inst_pref_size 22
		.amdhsa_round_robin_scheduling 0
		.amdhsa_exception_fp_ieee_invalid_op 0
		.amdhsa_exception_fp_denorm_src 0
		.amdhsa_exception_fp_ieee_div_zero 0
		.amdhsa_exception_fp_ieee_overflow 0
		.amdhsa_exception_fp_ieee_underflow 0
		.amdhsa_exception_fp_ieee_inexact 0
		.amdhsa_exception_int_div_zero 0
	.end_amdhsa_kernel
	.section	.text._ZN2at6native12_GLOBAL__N_125multi_tensor_apply_kernelINS1_18TensorListMetadataILi2EEENS1_14UnaryOpFunctorIN3c104HalfELi2ELi1ELi1EEEJNS0_5Expm1IfEEEEEvT_T0_DpT1_,"axG",@progbits,_ZN2at6native12_GLOBAL__N_125multi_tensor_apply_kernelINS1_18TensorListMetadataILi2EEENS1_14UnaryOpFunctorIN3c104HalfELi2ELi1ELi1EEEJNS0_5Expm1IfEEEEEvT_T0_DpT1_,comdat
.Lfunc_end145:
	.size	_ZN2at6native12_GLOBAL__N_125multi_tensor_apply_kernelINS1_18TensorListMetadataILi2EEENS1_14UnaryOpFunctorIN3c104HalfELi2ELi1ELi1EEEJNS0_5Expm1IfEEEEEvT_T0_DpT1_, .Lfunc_end145-_ZN2at6native12_GLOBAL__N_125multi_tensor_apply_kernelINS1_18TensorListMetadataILi2EEENS1_14UnaryOpFunctorIN3c104HalfELi2ELi1ELi1EEEJNS0_5Expm1IfEEEEEvT_T0_DpT1_
                                        ; -- End function
	.set _ZN2at6native12_GLOBAL__N_125multi_tensor_apply_kernelINS1_18TensorListMetadataILi2EEENS1_14UnaryOpFunctorIN3c104HalfELi2ELi1ELi1EEEJNS0_5Expm1IfEEEEEvT_T0_DpT1_.num_vgpr, 37
	.set _ZN2at6native12_GLOBAL__N_125multi_tensor_apply_kernelINS1_18TensorListMetadataILi2EEENS1_14UnaryOpFunctorIN3c104HalfELi2ELi1ELi1EEEJNS0_5Expm1IfEEEEEvT_T0_DpT1_.num_agpr, 0
	.set _ZN2at6native12_GLOBAL__N_125multi_tensor_apply_kernelINS1_18TensorListMetadataILi2EEENS1_14UnaryOpFunctorIN3c104HalfELi2ELi1ELi1EEEJNS0_5Expm1IfEEEEEvT_T0_DpT1_.numbered_sgpr, 32
	.set _ZN2at6native12_GLOBAL__N_125multi_tensor_apply_kernelINS1_18TensorListMetadataILi2EEENS1_14UnaryOpFunctorIN3c104HalfELi2ELi1ELi1EEEJNS0_5Expm1IfEEEEEvT_T0_DpT1_.num_named_barrier, 0
	.set _ZN2at6native12_GLOBAL__N_125multi_tensor_apply_kernelINS1_18TensorListMetadataILi2EEENS1_14UnaryOpFunctorIN3c104HalfELi2ELi1ELi1EEEJNS0_5Expm1IfEEEEEvT_T0_DpT1_.private_seg_size, 0
	.set _ZN2at6native12_GLOBAL__N_125multi_tensor_apply_kernelINS1_18TensorListMetadataILi2EEENS1_14UnaryOpFunctorIN3c104HalfELi2ELi1ELi1EEEJNS0_5Expm1IfEEEEEvT_T0_DpT1_.uses_vcc, 1
	.set _ZN2at6native12_GLOBAL__N_125multi_tensor_apply_kernelINS1_18TensorListMetadataILi2EEENS1_14UnaryOpFunctorIN3c104HalfELi2ELi1ELi1EEEJNS0_5Expm1IfEEEEEvT_T0_DpT1_.uses_flat_scratch, 0
	.set _ZN2at6native12_GLOBAL__N_125multi_tensor_apply_kernelINS1_18TensorListMetadataILi2EEENS1_14UnaryOpFunctorIN3c104HalfELi2ELi1ELi1EEEJNS0_5Expm1IfEEEEEvT_T0_DpT1_.has_dyn_sized_stack, 0
	.set _ZN2at6native12_GLOBAL__N_125multi_tensor_apply_kernelINS1_18TensorListMetadataILi2EEENS1_14UnaryOpFunctorIN3c104HalfELi2ELi1ELi1EEEJNS0_5Expm1IfEEEEEvT_T0_DpT1_.has_recursion, 0
	.set _ZN2at6native12_GLOBAL__N_125multi_tensor_apply_kernelINS1_18TensorListMetadataILi2EEENS1_14UnaryOpFunctorIN3c104HalfELi2ELi1ELi1EEEJNS0_5Expm1IfEEEEEvT_T0_DpT1_.has_indirect_call, 0
	.section	.AMDGPU.csdata,"",@progbits
; Kernel info:
; codeLenInByte = 2700
; TotalNumSgprs: 34
; NumVgprs: 37
; ScratchSize: 0
; MemoryBound: 0
; FloatMode: 240
; IeeeMode: 1
; LDSByteSize: 0 bytes/workgroup (compile time only)
; SGPRBlocks: 0
; VGPRBlocks: 2
; NumSGPRsForWavesPerEU: 34
; NumVGPRsForWavesPerEU: 37
; NamedBarCnt: 0
; Occupancy: 16
; WaveLimiterHint : 0
; COMPUTE_PGM_RSRC2:SCRATCH_EN: 0
; COMPUTE_PGM_RSRC2:USER_SGPR: 2
; COMPUTE_PGM_RSRC2:TRAP_HANDLER: 0
; COMPUTE_PGM_RSRC2:TGID_X_EN: 1
; COMPUTE_PGM_RSRC2:TGID_Y_EN: 0
; COMPUTE_PGM_RSRC2:TGID_Z_EN: 0
; COMPUTE_PGM_RSRC2:TIDIG_COMP_CNT: 0
	.section	.text._ZN2at6native12_GLOBAL__N_125multi_tensor_apply_kernelINS1_18TensorListMetadataILi2EEENS1_14UnaryOpFunctorIN3c108BFloat16ELi2ELi1ELi1EEEJNS0_5Expm1IfEEEEEvT_T0_DpT1_,"axG",@progbits,_ZN2at6native12_GLOBAL__N_125multi_tensor_apply_kernelINS1_18TensorListMetadataILi2EEENS1_14UnaryOpFunctorIN3c108BFloat16ELi2ELi1ELi1EEEJNS0_5Expm1IfEEEEEvT_T0_DpT1_,comdat
	.globl	_ZN2at6native12_GLOBAL__N_125multi_tensor_apply_kernelINS1_18TensorListMetadataILi2EEENS1_14UnaryOpFunctorIN3c108BFloat16ELi2ELi1ELi1EEEJNS0_5Expm1IfEEEEEvT_T0_DpT1_ ; -- Begin function _ZN2at6native12_GLOBAL__N_125multi_tensor_apply_kernelINS1_18TensorListMetadataILi2EEENS1_14UnaryOpFunctorIN3c108BFloat16ELi2ELi1ELi1EEEJNS0_5Expm1IfEEEEEvT_T0_DpT1_
	.p2align	8
	.type	_ZN2at6native12_GLOBAL__N_125multi_tensor_apply_kernelINS1_18TensorListMetadataILi2EEENS1_14UnaryOpFunctorIN3c108BFloat16ELi2ELi1ELi1EEEJNS0_5Expm1IfEEEEEvT_T0_DpT1_,@function
_ZN2at6native12_GLOBAL__N_125multi_tensor_apply_kernelINS1_18TensorListMetadataILi2EEENS1_14UnaryOpFunctorIN3c108BFloat16ELi2ELi1ELi1EEEJNS0_5Expm1IfEEEEEvT_T0_DpT1_: ; @_ZN2at6native12_GLOBAL__N_125multi_tensor_apply_kernelINS1_18TensorListMetadataILi2EEENS1_14UnaryOpFunctorIN3c108BFloat16ELi2ELi1ELi1EEEJNS0_5Expm1IfEEEEEvT_T0_DpT1_
; %bb.0:
	s_bfe_u32 s2, ttmp6, 0x4000c
	s_and_b32 s3, ttmp6, 15
	s_add_co_i32 s2, s2, 1
	s_getreg_b32 s4, hwreg(HW_REG_IB_STS2, 6, 4)
	s_mul_i32 s2, ttmp9, s2
	s_delay_alu instid0(SALU_CYCLE_1)
	s_add_co_i32 s3, s3, s2
	s_cmp_eq_u32 s4, 0
	s_cselect_b32 s2, ttmp9, s3
	s_mov_b32 s3, 0
	s_load_u8 s13, s[0:1], s2 offset:0x600
	s_add_nc_u64 s[4:5], s[0:1], s[2:3]
	s_mul_u64 s[6:7], s[2:3], 3
	s_delay_alu instid0(SALU_CYCLE_1)
	s_add_nc_u64 s[4:5], s[4:5], s[6:7]
	s_load_b32 s12, s[4:5], 0x740
	s_wait_kmcnt 0x0
	s_clause 0x2
	s_load_b64 s[8:9], s[0:1], s13 offset:0x0 scale_offset
	s_load_b64 s[10:11], s[0:1], s13 offset:0x200 scale_offset
	;; [unrolled: 1-line block ×3, first 2 shown]
	s_mov_b32 s5, s3
	s_wait_xcnt 0x0
	s_ashr_i32 s13, s12, 31
	s_delay_alu instid0(SALU_CYCLE_1)
	s_lshl_b64 s[6:7], s[12:13], 17
	s_wait_kmcnt 0x0
	s_and_b64 s[18:19], s[10:11], 7
	s_add_nc_u64 s[16:17], s[8:9], s[6:7]
	s_and_b32 s4, s14, 3
	s_and_b32 s2, s16, 7
	s_or_b64 s[4:5], s[18:19], s[4:5]
	s_lshl_b64 s[12:13], s[12:13], 16
	s_or_b64 s[2:3], s[4:5], s[2:3]
	s_sub_nc_u64 s[12:13], s[14:15], s[12:13]
	s_cmp_eq_u64 s[2:3], 0
	s_mov_b32 s2, -1
	s_cbranch_scc0 .LBB146_5
; %bb.1:
	v_min_i64 v[2:3], 0x10000, s[12:13]
	v_dual_mov_b32 v5, 0 :: v_dual_lshlrev_b32 v4, 2, v0
	s_mov_b32 s5, exec_lo
	s_delay_alu instid0(VALU_DEP_1)
	v_cmpx_lt_i64_e64 v[4:5], v[2:3]
	s_cbranch_execz .LBB146_4
; %bb.2:
	s_load_b32 s2, s[0:1], 0xc5c
	v_dual_mov_b32 v1, v5 :: v_dual_lshlrev_b32 v4, 3, v0
	s_mov_b32 s15, 0
	s_mov_b32 s16, 0xbf317218
	;; [unrolled: 1-line block ×3, first 2 shown]
	s_delay_alu instid0(VALU_DEP_1)
	v_mov_b64_e32 v[6:7], v[0:1]
	v_add_nc_u64_e32 v[4:5], s[6:7], v[4:5]
	s_mov_b32 s20, 0x3ab69700
	s_mov_b32 s22, 0x395133b1
	;; [unrolled: 1-line block ×7, first 2 shown]
	s_wait_kmcnt 0x0
	s_and_b32 s14, s2, 0xffff
	s_delay_alu instid0(SALU_CYCLE_1)
	s_lshl_b32 s30, s14, 3
.LBB146_3:                              ; =>This Inner Loop Header: Depth=1
	v_add_nc_u64_e32 v[8:9], s[8:9], v[4:5]
	v_add_nc_u64_e32 v[6:7], s[14:15], v[6:7]
	global_load_b64 v[8:9], v[8:9], off
	v_lshlrev_b64_e32 v[10:11], 2, v[6:7]
	s_wait_loadcnt 0x0
	v_alignbit_b32 v1, v9, v8, 16
	v_and_b32_e32 v13, 0xffff0000, v8
	v_lshlrev_b32_e32 v12, 16, v8
	s_wait_xcnt 0x0
	v_and_b32_e32 v9, 0xffff0000, v9
	v_and_b32_e32 v8, 0xffff0000, v1
	s_delay_alu instid0(VALU_DEP_3) | instskip(NEXT) | instid1(VALU_DEP_3)
	v_dual_mul_f32 v1, 0x3fb8aa3b, v13 :: v_dual_mul_f32 v14, 0x3fb8aa3b, v12
	v_mul_f32_e32 v16, 0x3fb8aa3b, v9
	s_delay_alu instid0(VALU_DEP_3) | instskip(NEXT) | instid1(VALU_DEP_3)
	v_mul_f32_e32 v18, 0x3fb8aa3b, v8
	v_rndne_f32_e32 v15, v1
	s_delay_alu instid0(VALU_DEP_4) | instskip(NEXT) | instid1(VALU_DEP_4)
	v_rndne_f32_e32 v14, v14
	v_rndne_f32_e32 v17, v16
	s_delay_alu instid0(VALU_DEP_4) | instskip(NEXT) | instid1(VALU_DEP_4)
	v_rndne_f32_e32 v16, v18
	v_cvt_i32_f32_e32 v22, v15
	s_delay_alu instid0(VALU_DEP_4)
	v_pk_fma_f32 v[18:19], v[14:15], s[16:17], v[12:13] op_sel_hi:[1,0,1]
	v_cvt_i32_f32_e32 v1, v14
	v_cmp_eq_f32_e32 vcc_lo, 0x43000000, v14
	v_pk_fma_f32 v[20:21], v[16:17], s[16:17], v[8:9] op_sel_hi:[1,0,1]
	v_cvt_i32_f32_e32 v24, v16
	v_pk_fma_f32 v[18:19], v[14:15], s[18:19], v[18:19] op_sel_hi:[1,0,1]
	v_cmp_eq_f32_e64 s2, 0x43000000, v15
	v_cvt_i32_f32_e32 v23, v17
	v_pk_fma_f32 v[14:15], v[16:17], s[18:19], v[20:21] op_sel_hi:[1,0,1]
	v_ldexp_f32 v26, 1.0, v24
	v_pk_fma_f32 v[20:21], v[18:19], s[22:23], s[20:21] op_sel_hi:[1,0,0]
	v_ldexp_f32 v1, 1.0, v1
	v_ldexp_f32 v22, 1.0, v22
	v_pk_fma_f32 v[24:25], v[14:15], s[22:23], s[20:21] op_sel_hi:[1,0,0]
	v_ldexp_f32 v23, 1.0, v23
	v_pk_fma_f32 v[20:21], v[18:19], v[20:21], s[24:25] op_sel_hi:[1,1,0]
	v_cmp_eq_f32_e64 s3, 0x43000000, v17
	v_cmp_eq_f32_e64 s4, 0x43000000, v16
	v_pk_fma_f32 v[24:25], v[14:15], v[24:25], s[24:25] op_sel_hi:[1,1,0]
	s_delay_alu instid0(VALU_DEP_4) | instskip(NEXT) | instid1(VALU_DEP_4)
	v_pk_fma_f32 v[20:21], v[18:19], v[20:21], s[26:27] op_sel_hi:[1,1,0]
	v_cndmask_b32_e64 v17, v23, 0x7f000000, s3
	v_cndmask_b32_e64 v23, v22, 0x7f000000, s2
	s_delay_alu instid0(VALU_DEP_4) | instskip(SKIP_3) | instid1(VALU_DEP_4)
	v_pk_fma_f32 v[24:25], v[14:15], v[24:25], s[26:27] op_sel_hi:[1,1,0]
	v_cndmask_b32_e64 v22, v1, 0x7f000000, vcc_lo
	v_pk_fma_f32 v[20:21], v[18:19], v[20:21], s[28:29] op_sel_hi:[1,1,0]
	v_cndmask_b32_e64 v16, v26, 0x7f000000, s4
	v_pk_fma_f32 v[24:25], v[14:15], v[24:25], s[28:29] op_sel_hi:[1,1,0]
	s_delay_alu instid0(VALU_DEP_4) | instskip(NEXT) | instid1(VALU_DEP_4)
	v_pk_add_f32 v[26:27], v[22:23], -1.0 op_sel_hi:[1,0]
	v_pk_fma_f32 v[20:21], v[18:19], v[20:21], 0.5 op_sel_hi:[1,1,0]
	s_delay_alu instid0(VALU_DEP_4) | instskip(NEXT) | instid1(VALU_DEP_4)
	v_pk_add_f32 v[28:29], v[16:17], -1.0 op_sel_hi:[1,0]
	v_pk_fma_f32 v[24:25], v[14:15], v[24:25], 0.5 op_sel_hi:[1,1,0]
	s_delay_alu instid0(VALU_DEP_3) | instskip(NEXT) | instid1(VALU_DEP_2)
	v_pk_mul_f32 v[20:21], v[18:19], v[20:21]
	v_pk_mul_f32 v[24:25], v[14:15], v[24:25]
	s_delay_alu instid0(VALU_DEP_2) | instskip(NEXT) | instid1(VALU_DEP_2)
	v_pk_fma_f32 v[18:19], v[18:19], v[20:21], v[18:19]
	v_pk_fma_f32 v[14:15], v[14:15], v[24:25], v[14:15]
	s_delay_alu instid0(VALU_DEP_2) | instskip(NEXT) | instid1(VALU_DEP_2)
	v_pk_fma_f32 v[18:19], v[22:23], v[18:19], v[26:27]
	v_pk_fma_f32 v[14:15], v[16:17], v[14:15], v[28:29]
	s_delay_alu instid0(VALU_DEP_2) | instskip(NEXT) | instid1(VALU_DEP_2)
	v_pk_add_f32 v[16:17], v[18:19], v[18:19]
	v_pk_add_f32 v[20:21], v[14:15], v[14:15]
	s_delay_alu instid0(VALU_DEP_2) | instskip(SKIP_2) | instid1(VALU_DEP_4)
	v_dual_cndmask_b32 v1, v18, v16, vcc_lo :: v_dual_cndmask_b32 v16, v19, v17, s2
	v_cmp_nlt_f32_e32 vcc_lo, 0x42b17217, v13
	v_cmp_nlt_f32_e64 s2, 0x42b17217, v12
	v_dual_cndmask_b32 v14, v14, v20, s4 :: v_dual_cndmask_b32 v15, v15, v21, s3
	v_cmp_nlt_f32_e64 s4, 0x42b17217, v9
	v_cndmask_b32_e32 v16, 0x7f800000, v16, vcc_lo
	s_delay_alu instid0(VALU_DEP_4) | instskip(SKIP_4) | instid1(VALU_DEP_3)
	v_cndmask_b32_e64 v1, 0x7f800000, v1, s2
	v_cmp_nlt_f32_e32 vcc_lo, 0x42b17217, v8
	v_cmp_ngt_f32_e64 s2, 0xc1880000, v12
	v_cmp_ngt_f32_e64 s3, 0xc1880000, v13
	v_cndmask_b32_e64 v12, 0x7f800000, v15, s4
	v_cndmask_b32_e64 v1, -1.0, v1, s2
	v_cndmask_b32_e32 v13, 0x7f800000, v14, vcc_lo
	v_cmp_ngt_f32_e32 vcc_lo, 0xc1880000, v9
	v_cmp_ngt_f32_e64 s2, 0xc1880000, v8
	s_delay_alu instid0(VALU_DEP_4) | instskip(NEXT) | instid1(VALU_DEP_2)
	v_dual_cndmask_b32 v12, -1.0, v12, vcc_lo :: v_dual_lshrrev_b32 v14, 16, v1
	v_dual_cndmask_b32 v9, -1.0, v16, s3 :: v_dual_cndmask_b32 v8, -1.0, v13, s2
	v_cmp_o_f32_e32 vcc_lo, v1, v1
	s_delay_alu instid0(VALU_DEP_3) | instskip(NEXT) | instid1(VALU_DEP_3)
	v_dual_lshrrev_b32 v16, 16, v12 :: v_dual_bitop2_b32 v14, 1, v14 bitop3:0x40
	v_dual_lshrrev_b32 v13, 16, v9 :: v_dual_lshrrev_b32 v15, 16, v8
	v_cmp_o_f32_e64 s2, v9, v9
	s_delay_alu instid0(VALU_DEP_3) | instskip(NEXT) | instid1(VALU_DEP_4)
	v_and_b32_e32 v16, 1, v16
	v_add3_u32 v14, v1, v14, 0x7fff
	s_delay_alu instid0(VALU_DEP_4) | instskip(SKIP_1) | instid1(VALU_DEP_4)
	v_and_b32_e32 v13, 1, v13
	v_and_b32_e32 v15, 1, v15
	v_add3_u32 v16, v12, v16, 0x7fff
	s_delay_alu instid0(VALU_DEP_4) | instskip(NEXT) | instid1(VALU_DEP_4)
	v_lshrrev_b32_e32 v14, 16, v14
	v_add3_u32 v13, v9, v13, 0x7fff
	s_delay_alu instid0(VALU_DEP_4) | instskip(NEXT) | instid1(VALU_DEP_4)
	v_add3_u32 v15, v8, v15, 0x7fff
	v_and_b32_e32 v1, 0xffff0000, v16
	s_delay_alu instid0(VALU_DEP_4) | instskip(SKIP_1) | instid1(VALU_DEP_4)
	v_cndmask_b32_e32 v14, 0x7fc0, v14, vcc_lo
	v_cmp_o_f32_e32 vcc_lo, v12, v12
	v_lshrrev_b32_e32 v15, 16, v15
	v_and_b32_e32 v13, 0xffff0000, v13
	v_cndmask_b32_e32 v1, 0x7fc00000, v1, vcc_lo
	s_delay_alu instid0(VALU_DEP_3) | instskip(SKIP_1) | instid1(VALU_DEP_4)
	v_and_b32_e32 v9, 0xffff, v15
	v_cmp_o_f32_e32 vcc_lo, v8, v8
	v_cndmask_b32_e64 v13, 0x7fc00000, v13, s2
	s_delay_alu instid0(VALU_DEP_3)
	v_cndmask_b32_e32 v12, 0x7fc0, v9, vcc_lo
	v_cmp_ge_i64_e32 vcc_lo, v[10:11], v[2:3]
	v_add_nc_u64_e32 v[8:9], s[10:11], v[4:5]
	v_add_nc_u64_e32 v[4:5], s[30:31], v[4:5]
	v_or3_b32 v10, v14, 0, v13
	v_or3_b32 v11, 0, v12, v1
	s_or_b32 s17, vcc_lo, s17
	global_store_b64 v[8:9], v[10:11], off
	s_wait_xcnt 0x0
	s_and_not1_b32 exec_lo, exec_lo, s17
	s_cbranch_execnz .LBB146_3
.LBB146_4:
	s_or_b32 exec_lo, exec_lo, s5
	s_mov_b32 s2, 0
.LBB146_5:
	s_delay_alu instid0(SALU_CYCLE_1)
	s_and_not1_b32 vcc_lo, exec_lo, s2
	s_cbranch_vccnz .LBB146_25
; %bb.6:
	v_cmp_lt_i64_e64 s2, s[12:13], 1
	s_and_b32 vcc_lo, exec_lo, s2
	s_cbranch_vccnz .LBB146_25
; %bb.7:
	s_load_b32 s0, s[0:1], 0xc5c
	v_min_i64 v[2:3], 0x10000, s[12:13]
	v_min_u64 v[4:5], 0x10000, s[12:13]
	v_dual_mov_b32 v1, 0 :: v_dual_lshlrev_b32 v12, 1, v0
	s_wait_xcnt 0x0
	s_mov_b32 s1, 0
	s_mov_b64 s[4:5], 0
	s_mov_b32 s15, s1
	v_dual_mov_b32 v13, v1 :: v_dual_mov_b32 v27, v1
	s_mov_b32 s3, s1
	s_mov_b32 s19, s1
	;; [unrolled: 1-line block ×3, first 2 shown]
	s_delay_alu instid0(VALU_DEP_1)
	v_add_nc_u64_e32 v[6:7], s[8:9], v[12:13]
	v_add_nc_u64_e32 v[8:9], s[10:11], v[12:13]
	s_mov_b32 s17, s1
	s_mov_b32 s20, 0x3c0887f9
	;; [unrolled: 1-line block ×4, first 2 shown]
	s_wait_kmcnt 0x0
	s_and_b32 s0, s0, 0xffff
	s_delay_alu instid0(SALU_CYCLE_1)
	v_add_nc_u64_e32 v[10:11], s[0:1], v[0:1]
	v_mad_nc_u64_u32 v[22:23], s0, 6, v[12:13]
	s_lshl_b32 s14, s0, 2
	s_lshl_b32 s2, s0, 1
	v_add_nc_u64_e32 v[18:19], s[14:15], v[12:13]
	s_mul_i32 s18, s0, 3
	v_add_nc_u64_e32 v[14:15], s[2:3], v[0:1]
	v_lshlrev_b32_e32 v26, 1, v10
	v_add_nc_u64_e32 v[12:13], s[18:19], v[0:1]
	s_lshl_b32 s16, s0, 3
	s_mov_b32 s18, 0x3ab69700
	v_add_nc_u64_e32 v[16:17], s[8:9], v[18:19]
	v_add_nc_u64_e32 v[18:19], s[10:11], v[18:19]
	;; [unrolled: 1-line block ×6, first 2 shown]
	s_mov_b32 s8, 0x3102e308
	s_mov_b32 s10, 0x395133b1
	s_branch .LBB146_9
.LBB146_8:                              ;   in Loop: Header=BB146_9 Depth=1
	s_wait_xcnt 0x0
	s_or_b32 exec_lo, exec_lo, s2
	s_add_nc_u64 s[4:5], s[4:5], s[14:15]
	v_add_nc_u64_e32 v[6:7], s[16:17], v[6:7]
	v_cmp_ge_i64_e32 vcc_lo, s[4:5], v[2:3]
	v_add_nc_u64_e32 v[8:9], s[16:17], v[8:9]
	v_add_nc_u64_e32 v[20:21], s[16:17], v[20:21]
	;; [unrolled: 1-line block ×7, first 2 shown]
	s_cbranch_vccnz .LBB146_25
.LBB146_9:                              ; =>This Inner Loop Header: Depth=1
	v_add_nc_u64_e32 v[28:29], s[4:5], v[0:1]
	v_mov_b32_e32 v31, 0
	s_delay_alu instid0(VALU_DEP_2)
	v_cmp_lt_u64_e64 s2, v[28:29], v[4:5]
	s_and_saveexec_b32 s0, s2
	s_cbranch_execz .LBB146_11
; %bb.10:                               ;   in Loop: Header=BB146_9 Depth=1
	v_add_nc_u64_e32 v[28:29], s[6:7], v[6:7]
	global_load_u16 v28, v[28:29], off
	s_wait_loadcnt 0x0
	v_lshlrev_b32_e32 v31, 16, v28
.LBB146_11:                             ;   in Loop: Header=BB146_9 Depth=1
	s_wait_xcnt 0x0
	s_or_b32 exec_lo, exec_lo, s0
	v_add_nc_u64_e32 v[28:29], s[4:5], v[10:11]
	v_mov_b32_e32 v30, 0
	s_delay_alu instid0(VALU_DEP_2)
	v_cmp_lt_u64_e64 s1, v[28:29], v[4:5]
	v_mov_b32_e32 v29, 0
	s_and_saveexec_b32 s0, s1
	s_cbranch_execz .LBB146_13
; %bb.12:                               ;   in Loop: Header=BB146_9 Depth=1
	v_add_nc_u64_e32 v[32:33], s[6:7], v[24:25]
	global_load_u16 v28, v[32:33], off
	s_wait_loadcnt 0x0
	v_lshlrev_b32_e32 v30, 16, v28
.LBB146_13:                             ;   in Loop: Header=BB146_9 Depth=1
	s_wait_xcnt 0x0
	s_or_b32 exec_lo, exec_lo, s0
	v_add_nc_u64_e32 v[32:33], s[4:5], v[14:15]
	s_delay_alu instid0(VALU_DEP_1)
	v_cmp_lt_u64_e32 vcc_lo, v[32:33], v[4:5]
	s_and_saveexec_b32 s0, vcc_lo
	s_cbranch_execz .LBB146_15
; %bb.14:                               ;   in Loop: Header=BB146_9 Depth=1
	v_add_nc_u64_e32 v[28:29], s[6:7], v[16:17]
	global_load_u16 v28, v[28:29], off
	s_wait_loadcnt 0x0
	v_lshlrev_b32_e32 v29, 16, v28
.LBB146_15:                             ;   in Loop: Header=BB146_9 Depth=1
	s_or_b32 exec_lo, exec_lo, s0
	v_add_nc_u64_e32 v[32:33], s[4:5], v[12:13]
	v_mov_b32_e32 v28, 0
	s_delay_alu instid0(VALU_DEP_2)
	v_cmp_lt_u64_e64 s0, v[32:33], v[4:5]
	s_and_saveexec_b32 s3, s0
	s_cbranch_execnz .LBB146_23
; %bb.16:                               ;   in Loop: Header=BB146_9 Depth=1
	s_or_b32 exec_lo, exec_lo, s3
	s_and_saveexec_b32 s3, s2
	s_cbranch_execnz .LBB146_24
.LBB146_17:                             ;   in Loop: Header=BB146_9 Depth=1
	s_or_b32 exec_lo, exec_lo, s3
	s_and_saveexec_b32 s2, s1
	s_cbranch_execz .LBB146_19
.LBB146_18:                             ;   in Loop: Header=BB146_9 Depth=1
	v_mul_f32_e32 v31, 0x3fb8aa3b, v30
	s_delay_alu instid0(VALU_DEP_1) | instskip(NEXT) | instid1(VALU_DEP_1)
	v_rndne_f32_e32 v31, v31
	v_fmamk_f32 v32, v31, 0xbf317218, v30
	v_cvt_i32_f32_e32 v34, v31
	v_cmp_eq_f32_e64 s1, 0x43000000, v31
	s_delay_alu instid0(VALU_DEP_3) | instskip(NEXT) | instid1(VALU_DEP_3)
	v_fmac_f32_e32 v32, 0x3102e308, v31
	v_ldexp_f32 v34, 1.0, v34
	s_delay_alu instid0(VALU_DEP_2) | instskip(NEXT) | instid1(VALU_DEP_2)
	v_fmaak_f32 v33, s10, v32, 0x3ab69700
	v_cndmask_b32_e64 v31, v34, 0x7f000000, s1
	s_delay_alu instid0(VALU_DEP_2) | instskip(NEXT) | instid1(VALU_DEP_1)
	v_fmaak_f32 v33, v32, v33, 0x3c0887f9
	v_fmaak_f32 v33, v32, v33, 0x3d2aaa81
	s_delay_alu instid0(VALU_DEP_1) | instskip(NEXT) | instid1(VALU_DEP_1)
	v_fmaak_f32 v33, v32, v33, 0x3e2aaaab
	v_fma_f32 v33, v32, v33, 0.5
	s_delay_alu instid0(VALU_DEP_1) | instskip(NEXT) | instid1(VALU_DEP_1)
	v_mul_f32_e32 v33, v32, v33
	v_dual_fmac_f32 v32, v32, v33 :: v_dual_add_f32 v33, -1.0, v31
	s_delay_alu instid0(VALU_DEP_1) | instskip(NEXT) | instid1(VALU_DEP_1)
	v_fmac_f32_e32 v33, v31, v32
	v_add_f32_e32 v31, v33, v33
	s_delay_alu instid0(VALU_DEP_1) | instskip(SKIP_1) | instid1(VALU_DEP_1)
	v_cndmask_b32_e64 v31, v33, v31, s1
	v_cmp_nlt_f32_e64 s1, 0x42b17217, v30
	v_cndmask_b32_e64 v31, 0x7f800000, v31, s1
	v_cmp_ngt_f32_e64 s1, 0xc1880000, v30
	s_delay_alu instid0(VALU_DEP_1) | instskip(NEXT) | instid1(VALU_DEP_1)
	v_cndmask_b32_e64 v32, -1.0, v31, s1
	v_bfe_u32 v30, v32, 16, 1
	v_cmp_o_f32_e64 s1, v32, v32
	s_delay_alu instid0(VALU_DEP_2) | instskip(NEXT) | instid1(VALU_DEP_1)
	v_add3_u32 v30, v32, v30, 0x7fff
	v_lshrrev_b32_e32 v33, 16, v30
	v_add_nc_u64_e32 v[30:31], s[6:7], v[26:27]
	s_delay_alu instid0(VALU_DEP_2)
	v_cndmask_b32_e64 v32, 0x7fc0, v33, s1
	global_store_b16 v[30:31], v32, off
.LBB146_19:                             ;   in Loop: Header=BB146_9 Depth=1
	s_wait_xcnt 0x0
	s_or_b32 exec_lo, exec_lo, s2
	v_mul_f32_e32 v30, 0x3fb8aa3b, v29
	v_mul_f32_e32 v32, 0x3fb8aa3b, v28
	s_delay_alu instid0(VALU_DEP_2) | instskip(NEXT) | instid1(VALU_DEP_2)
	v_rndne_f32_e32 v31, v30
	v_rndne_f32_e32 v30, v32
	s_delay_alu instid0(VALU_DEP_2) | instskip(NEXT) | instid1(VALU_DEP_2)
	v_cvt_i32_f32_e32 v36, v31
	v_pk_fma_f32 v[32:33], v[30:31], s[12:13], v[28:29] op_sel_hi:[1,0,1]
	v_cvt_i32_f32_e32 v37, v30
	v_cmp_eq_f32_e64 s1, 0x43000000, v31
	v_cmp_eq_f32_e64 s2, 0x43000000, v30
	v_ldexp_f32 v36, 1.0, v36
	v_pk_fma_f32 v[32:33], v[30:31], s[8:9], v[32:33] op_sel_hi:[1,0,1]
	v_ldexp_f32 v37, 1.0, v37
	s_delay_alu instid0(VALU_DEP_3) | instskip(NEXT) | instid1(VALU_DEP_3)
	v_cndmask_b32_e64 v31, v36, 0x7f000000, s1
	v_pk_fma_f32 v[34:35], v[32:33], s[10:11], s[18:19] op_sel_hi:[1,0,0]
	s_delay_alu instid0(VALU_DEP_3) | instskip(NEXT) | instid1(VALU_DEP_2)
	v_cndmask_b32_e64 v30, v37, 0x7f000000, s2
	v_pk_fma_f32 v[34:35], v[32:33], v[34:35], s[20:21] op_sel_hi:[1,1,0]
	s_delay_alu instid0(VALU_DEP_2) | instskip(NEXT) | instid1(VALU_DEP_2)
	v_pk_add_f32 v[36:37], v[30:31], -1.0 op_sel_hi:[1,0]
	v_pk_fma_f32 v[34:35], v[32:33], v[34:35], s[22:23] op_sel_hi:[1,1,0]
	s_delay_alu instid0(VALU_DEP_1) | instskip(NEXT) | instid1(VALU_DEP_1)
	v_pk_fma_f32 v[34:35], v[32:33], v[34:35], s[24:25] op_sel_hi:[1,1,0]
	v_pk_fma_f32 v[34:35], v[32:33], v[34:35], 0.5 op_sel_hi:[1,1,0]
	s_delay_alu instid0(VALU_DEP_1) | instskip(NEXT) | instid1(VALU_DEP_1)
	v_pk_mul_f32 v[34:35], v[32:33], v[34:35]
	v_pk_fma_f32 v[32:33], v[32:33], v[34:35], v[32:33]
	s_delay_alu instid0(VALU_DEP_1) | instskip(NEXT) | instid1(VALU_DEP_1)
	v_pk_fma_f32 v[30:31], v[30:31], v[32:33], v[36:37]
	v_pk_add_f32 v[32:33], v[30:31], v[30:31]
	s_delay_alu instid0(VALU_DEP_1) | instskip(SKIP_1) | instid1(VALU_DEP_1)
	v_dual_cndmask_b32 v31, v31, v33, s1 :: v_dual_cndmask_b32 v30, v30, v32, s2
	v_cmp_nlt_f32_e64 s1, 0x42b17217, v29
	v_cndmask_b32_e64 v31, 0x7f800000, v31, s1
	v_cmp_nlt_f32_e64 s1, 0x42b17217, v28
	s_delay_alu instid0(VALU_DEP_1) | instskip(SKIP_1) | instid1(VALU_DEP_1)
	v_cndmask_b32_e64 v30, 0x7f800000, v30, s1
	v_cmp_ngt_f32_e64 s1, 0xc1880000, v29
	v_cndmask_b32_e64 v29, -1.0, v31, s1
	v_cmp_ngt_f32_e64 s1, 0xc1880000, v28
	s_delay_alu instid0(VALU_DEP_1) | instskip(NEXT) | instid1(VALU_DEP_3)
	v_cndmask_b32_e64 v28, -1.0, v30, s1
	v_cmp_u_f32_e64 s2, v29, v29
	s_delay_alu instid0(VALU_DEP_2)
	v_cmp_u_f32_e64 s1, v28, v28
	s_and_saveexec_b32 s3, vcc_lo
	s_cbranch_execz .LBB146_21
; %bb.20:                               ;   in Loop: Header=BB146_9 Depth=1
	v_bfe_u32 v30, v29, 16, 1
	s_delay_alu instid0(VALU_DEP_1) | instskip(SKIP_1) | instid1(VALU_DEP_2)
	v_add3_u32 v29, v29, v30, 0x7fff
	v_add_nc_u64_e32 v[30:31], s[6:7], v[18:19]
	v_lshrrev_b32_e32 v29, 16, v29
	s_delay_alu instid0(VALU_DEP_1)
	v_cndmask_b32_e64 v29, v29, 0x7fc0, s2
	global_store_b16 v[30:31], v29, off
.LBB146_21:                             ;   in Loop: Header=BB146_9 Depth=1
	s_wait_xcnt 0x0
	s_or_b32 exec_lo, exec_lo, s3
	s_and_saveexec_b32 s2, s0
	s_cbranch_execz .LBB146_8
; %bb.22:                               ;   in Loop: Header=BB146_9 Depth=1
	v_bfe_u32 v29, v28, 16, 1
	s_delay_alu instid0(VALU_DEP_1) | instskip(NEXT) | instid1(VALU_DEP_1)
	v_add3_u32 v28, v28, v29, 0x7fff
	v_lshrrev_b32_e32 v30, 16, v28
	v_add_nc_u64_e32 v[28:29], s[6:7], v[22:23]
	s_delay_alu instid0(VALU_DEP_2)
	v_cndmask_b32_e64 v30, v30, 0x7fc0, s1
	global_store_b16 v[28:29], v30, off
	s_branch .LBB146_8
.LBB146_23:                             ;   in Loop: Header=BB146_9 Depth=1
	v_add_nc_u64_e32 v[32:33], s[6:7], v[20:21]
	global_load_u16 v28, v[32:33], off
	s_wait_loadcnt 0x0
	v_lshlrev_b32_e32 v28, 16, v28
	s_wait_xcnt 0x0
	s_or_b32 exec_lo, exec_lo, s3
	s_and_saveexec_b32 s3, s2
	s_cbranch_execz .LBB146_17
.LBB146_24:                             ;   in Loop: Header=BB146_9 Depth=1
	v_mul_f32_e32 v32, 0x3fb8aa3b, v31
	s_delay_alu instid0(VALU_DEP_1) | instskip(NEXT) | instid1(VALU_DEP_1)
	v_rndne_f32_e32 v32, v32
	v_fmamk_f32 v33, v32, 0xbf317218, v31
	v_cvt_i32_f32_e32 v35, v32
	v_cmp_eq_f32_e64 s2, 0x43000000, v32
	s_delay_alu instid0(VALU_DEP_3) | instskip(NEXT) | instid1(VALU_DEP_3)
	v_fmac_f32_e32 v33, 0x3102e308, v32
	v_ldexp_f32 v35, 1.0, v35
	s_delay_alu instid0(VALU_DEP_2) | instskip(NEXT) | instid1(VALU_DEP_2)
	v_fmaak_f32 v34, s10, v33, 0x3ab69700
	v_cndmask_b32_e64 v32, v35, 0x7f000000, s2
	s_delay_alu instid0(VALU_DEP_2) | instskip(NEXT) | instid1(VALU_DEP_1)
	v_fmaak_f32 v34, v33, v34, 0x3c0887f9
	v_fmaak_f32 v34, v33, v34, 0x3d2aaa81
	s_delay_alu instid0(VALU_DEP_1) | instskip(NEXT) | instid1(VALU_DEP_1)
	v_fmaak_f32 v34, v33, v34, 0x3e2aaaab
	v_fma_f32 v34, v33, v34, 0.5
	s_delay_alu instid0(VALU_DEP_1) | instskip(NEXT) | instid1(VALU_DEP_1)
	v_mul_f32_e32 v34, v33, v34
	v_dual_fmac_f32 v33, v33, v34 :: v_dual_add_f32 v34, -1.0, v32
	s_delay_alu instid0(VALU_DEP_1) | instskip(NEXT) | instid1(VALU_DEP_1)
	v_fmac_f32_e32 v34, v32, v33
	v_add_f32_e32 v32, v34, v34
	s_delay_alu instid0(VALU_DEP_1) | instskip(SKIP_1) | instid1(VALU_DEP_1)
	v_cndmask_b32_e64 v32, v34, v32, s2
	v_cmp_nlt_f32_e64 s2, 0x42b17217, v31
	v_cndmask_b32_e64 v32, 0x7f800000, v32, s2
	v_cmp_ngt_f32_e64 s2, 0xc1880000, v31
	s_delay_alu instid0(VALU_DEP_1) | instskip(NEXT) | instid1(VALU_DEP_1)
	v_cndmask_b32_e64 v31, -1.0, v32, s2
	v_bfe_u32 v32, v31, 16, 1
	v_cmp_o_f32_e64 s2, v31, v31
	s_delay_alu instid0(VALU_DEP_2) | instskip(NEXT) | instid1(VALU_DEP_1)
	v_add3_u32 v32, v31, v32, 0x7fff
	v_lshrrev_b32_e32 v34, 16, v32
	v_add_nc_u64_e32 v[32:33], s[6:7], v[8:9]
	s_delay_alu instid0(VALU_DEP_2)
	v_cndmask_b32_e64 v31, 0x7fc0, v34, s2
	global_store_b16 v[32:33], v31, off
	s_wait_xcnt 0x0
	s_or_b32 exec_lo, exec_lo, s3
	s_and_saveexec_b32 s2, s1
	s_cbranch_execnz .LBB146_18
	s_branch .LBB146_19
.LBB146_25:
	s_endpgm
	.section	.rodata,"a",@progbits
	.p2align	6, 0x0
	.amdhsa_kernel _ZN2at6native12_GLOBAL__N_125multi_tensor_apply_kernelINS1_18TensorListMetadataILi2EEENS1_14UnaryOpFunctorIN3c108BFloat16ELi2ELi1ELi1EEEJNS0_5Expm1IfEEEEEvT_T0_DpT1_
		.amdhsa_group_segment_fixed_size 0
		.amdhsa_private_segment_fixed_size 0
		.amdhsa_kernarg_size 3408
		.amdhsa_user_sgpr_count 2
		.amdhsa_user_sgpr_dispatch_ptr 0
		.amdhsa_user_sgpr_queue_ptr 0
		.amdhsa_user_sgpr_kernarg_segment_ptr 1
		.amdhsa_user_sgpr_dispatch_id 0
		.amdhsa_user_sgpr_kernarg_preload_length 0
		.amdhsa_user_sgpr_kernarg_preload_offset 0
		.amdhsa_user_sgpr_private_segment_size 0
		.amdhsa_wavefront_size32 1
		.amdhsa_uses_dynamic_stack 0
		.amdhsa_enable_private_segment 0
		.amdhsa_system_sgpr_workgroup_id_x 1
		.amdhsa_system_sgpr_workgroup_id_y 0
		.amdhsa_system_sgpr_workgroup_id_z 0
		.amdhsa_system_sgpr_workgroup_info 0
		.amdhsa_system_vgpr_workitem_id 0
		.amdhsa_next_free_vgpr 38
		.amdhsa_next_free_sgpr 32
		.amdhsa_named_barrier_count 0
		.amdhsa_reserve_vcc 1
		.amdhsa_float_round_mode_32 0
		.amdhsa_float_round_mode_16_64 0
		.amdhsa_float_denorm_mode_32 3
		.amdhsa_float_denorm_mode_16_64 3
		.amdhsa_fp16_overflow 0
		.amdhsa_memory_ordered 1
		.amdhsa_forward_progress 1
		.amdhsa_inst_pref_size 24
		.amdhsa_round_robin_scheduling 0
		.amdhsa_exception_fp_ieee_invalid_op 0
		.amdhsa_exception_fp_denorm_src 0
		.amdhsa_exception_fp_ieee_div_zero 0
		.amdhsa_exception_fp_ieee_overflow 0
		.amdhsa_exception_fp_ieee_underflow 0
		.amdhsa_exception_fp_ieee_inexact 0
		.amdhsa_exception_int_div_zero 0
	.end_amdhsa_kernel
	.section	.text._ZN2at6native12_GLOBAL__N_125multi_tensor_apply_kernelINS1_18TensorListMetadataILi2EEENS1_14UnaryOpFunctorIN3c108BFloat16ELi2ELi1ELi1EEEJNS0_5Expm1IfEEEEEvT_T0_DpT1_,"axG",@progbits,_ZN2at6native12_GLOBAL__N_125multi_tensor_apply_kernelINS1_18TensorListMetadataILi2EEENS1_14UnaryOpFunctorIN3c108BFloat16ELi2ELi1ELi1EEEJNS0_5Expm1IfEEEEEvT_T0_DpT1_,comdat
.Lfunc_end146:
	.size	_ZN2at6native12_GLOBAL__N_125multi_tensor_apply_kernelINS1_18TensorListMetadataILi2EEENS1_14UnaryOpFunctorIN3c108BFloat16ELi2ELi1ELi1EEEJNS0_5Expm1IfEEEEEvT_T0_DpT1_, .Lfunc_end146-_ZN2at6native12_GLOBAL__N_125multi_tensor_apply_kernelINS1_18TensorListMetadataILi2EEENS1_14UnaryOpFunctorIN3c108BFloat16ELi2ELi1ELi1EEEJNS0_5Expm1IfEEEEEvT_T0_DpT1_
                                        ; -- End function
	.set _ZN2at6native12_GLOBAL__N_125multi_tensor_apply_kernelINS1_18TensorListMetadataILi2EEENS1_14UnaryOpFunctorIN3c108BFloat16ELi2ELi1ELi1EEEJNS0_5Expm1IfEEEEEvT_T0_DpT1_.num_vgpr, 38
	.set _ZN2at6native12_GLOBAL__N_125multi_tensor_apply_kernelINS1_18TensorListMetadataILi2EEENS1_14UnaryOpFunctorIN3c108BFloat16ELi2ELi1ELi1EEEJNS0_5Expm1IfEEEEEvT_T0_DpT1_.num_agpr, 0
	.set _ZN2at6native12_GLOBAL__N_125multi_tensor_apply_kernelINS1_18TensorListMetadataILi2EEENS1_14UnaryOpFunctorIN3c108BFloat16ELi2ELi1ELi1EEEJNS0_5Expm1IfEEEEEvT_T0_DpT1_.numbered_sgpr, 32
	.set _ZN2at6native12_GLOBAL__N_125multi_tensor_apply_kernelINS1_18TensorListMetadataILi2EEENS1_14UnaryOpFunctorIN3c108BFloat16ELi2ELi1ELi1EEEJNS0_5Expm1IfEEEEEvT_T0_DpT1_.num_named_barrier, 0
	.set _ZN2at6native12_GLOBAL__N_125multi_tensor_apply_kernelINS1_18TensorListMetadataILi2EEENS1_14UnaryOpFunctorIN3c108BFloat16ELi2ELi1ELi1EEEJNS0_5Expm1IfEEEEEvT_T0_DpT1_.private_seg_size, 0
	.set _ZN2at6native12_GLOBAL__N_125multi_tensor_apply_kernelINS1_18TensorListMetadataILi2EEENS1_14UnaryOpFunctorIN3c108BFloat16ELi2ELi1ELi1EEEJNS0_5Expm1IfEEEEEvT_T0_DpT1_.uses_vcc, 1
	.set _ZN2at6native12_GLOBAL__N_125multi_tensor_apply_kernelINS1_18TensorListMetadataILi2EEENS1_14UnaryOpFunctorIN3c108BFloat16ELi2ELi1ELi1EEEJNS0_5Expm1IfEEEEEvT_T0_DpT1_.uses_flat_scratch, 0
	.set _ZN2at6native12_GLOBAL__N_125multi_tensor_apply_kernelINS1_18TensorListMetadataILi2EEENS1_14UnaryOpFunctorIN3c108BFloat16ELi2ELi1ELi1EEEJNS0_5Expm1IfEEEEEvT_T0_DpT1_.has_dyn_sized_stack, 0
	.set _ZN2at6native12_GLOBAL__N_125multi_tensor_apply_kernelINS1_18TensorListMetadataILi2EEENS1_14UnaryOpFunctorIN3c108BFloat16ELi2ELi1ELi1EEEJNS0_5Expm1IfEEEEEvT_T0_DpT1_.has_recursion, 0
	.set _ZN2at6native12_GLOBAL__N_125multi_tensor_apply_kernelINS1_18TensorListMetadataILi2EEENS1_14UnaryOpFunctorIN3c108BFloat16ELi2ELi1ELi1EEEJNS0_5Expm1IfEEEEEvT_T0_DpT1_.has_indirect_call, 0
	.section	.AMDGPU.csdata,"",@progbits
; Kernel info:
; codeLenInByte = 2964
; TotalNumSgprs: 34
; NumVgprs: 38
; ScratchSize: 0
; MemoryBound: 0
; FloatMode: 240
; IeeeMode: 1
; LDSByteSize: 0 bytes/workgroup (compile time only)
; SGPRBlocks: 0
; VGPRBlocks: 2
; NumSGPRsForWavesPerEU: 34
; NumVGPRsForWavesPerEU: 38
; NamedBarCnt: 0
; Occupancy: 16
; WaveLimiterHint : 0
; COMPUTE_PGM_RSRC2:SCRATCH_EN: 0
; COMPUTE_PGM_RSRC2:USER_SGPR: 2
; COMPUTE_PGM_RSRC2:TRAP_HANDLER: 0
; COMPUTE_PGM_RSRC2:TGID_X_EN: 1
; COMPUTE_PGM_RSRC2:TGID_Y_EN: 0
; COMPUTE_PGM_RSRC2:TGID_Z_EN: 0
; COMPUTE_PGM_RSRC2:TIDIG_COMP_CNT: 0
	.section	.text._ZN2at6native12_GLOBAL__N_125multi_tensor_apply_kernelINS1_18TensorListMetadataILi1EEENS1_14UnaryOpFunctorIdLi1ELi1ELi0EEEJNS0_5Expm1IdEEEEEvT_T0_DpT1_,"axG",@progbits,_ZN2at6native12_GLOBAL__N_125multi_tensor_apply_kernelINS1_18TensorListMetadataILi1EEENS1_14UnaryOpFunctorIdLi1ELi1ELi0EEEJNS0_5Expm1IdEEEEEvT_T0_DpT1_,comdat
	.globl	_ZN2at6native12_GLOBAL__N_125multi_tensor_apply_kernelINS1_18TensorListMetadataILi1EEENS1_14UnaryOpFunctorIdLi1ELi1ELi0EEEJNS0_5Expm1IdEEEEEvT_T0_DpT1_ ; -- Begin function _ZN2at6native12_GLOBAL__N_125multi_tensor_apply_kernelINS1_18TensorListMetadataILi1EEENS1_14UnaryOpFunctorIdLi1ELi1ELi0EEEJNS0_5Expm1IdEEEEEvT_T0_DpT1_
	.p2align	8
	.type	_ZN2at6native12_GLOBAL__N_125multi_tensor_apply_kernelINS1_18TensorListMetadataILi1EEENS1_14UnaryOpFunctorIdLi1ELi1ELi0EEEJNS0_5Expm1IdEEEEEvT_T0_DpT1_,@function
_ZN2at6native12_GLOBAL__N_125multi_tensor_apply_kernelINS1_18TensorListMetadataILi1EEENS1_14UnaryOpFunctorIdLi1ELi1ELi0EEEJNS0_5Expm1IdEEEEEvT_T0_DpT1_: ; @_ZN2at6native12_GLOBAL__N_125multi_tensor_apply_kernelINS1_18TensorListMetadataILi1EEENS1_14UnaryOpFunctorIdLi1ELi1ELi0EEEJNS0_5Expm1IdEEEEEvT_T0_DpT1_
; %bb.0:
	s_bfe_u32 s2, ttmp6, 0x4000c
	s_and_b32 s3, ttmp6, 15
	s_add_co_i32 s2, s2, 1
	s_getreg_b32 s4, hwreg(HW_REG_IB_STS2, 6, 4)
	s_mul_i32 s2, ttmp9, s2
	s_delay_alu instid0(SALU_CYCLE_1)
	s_add_co_i32 s3, s3, s2
	s_cmp_eq_u32 s4, 0
	s_cselect_b32 s2, ttmp9, s3
	s_mov_b32 s3, 0
	s_load_u8 s10, s[0:1], s2 offset:0x6e0
	s_add_nc_u64 s[4:5], s[0:1], s[2:3]
	s_mul_u64 s[6:7], s[2:3], 3
	s_delay_alu instid0(SALU_CYCLE_1)
	s_add_nc_u64 s[4:5], s[4:5], s[6:7]
	s_load_b32 s6, s[4:5], 0x820
	s_wait_kmcnt 0x0
	s_clause 0x1
	s_load_b64 s[8:9], s[0:1], s10 offset:0x0 scale_offset
	s_load_b64 s[12:13], s[0:1], s10 offset:0x370 scale_offset
	s_ashr_i32 s7, s6, 31
	s_wait_kmcnt 0x0
	s_and_b64 s[4:5], s[8:9], 31
	s_and_b32 s2, s12, 3
	s_lshl_b64 s[10:11], s[6:7], 19
	s_or_b64 s[2:3], s[4:5], s[2:3]
	s_lshl_b64 s[4:5], s[6:7], 16
	s_cmp_eq_u64 s[2:3], 0
	s_sub_nc_u64 s[12:13], s[12:13], s[4:5]
	s_cbranch_scc1 .LBB147_21
; %bb.1:
	v_cmp_lt_i64_e64 s2, s[12:13], 1
	s_and_b32 vcc_lo, exec_lo, s2
	s_cbranch_vccnz .LBB147_20
; %bb.2:
	s_load_b32 s4, s[0:1], 0xd3c
	v_min_i64 v[2:3], 0x10000, s[12:13]
	v_min_u64 v[4:5], 0x10000, s[12:13]
	v_dual_mov_b32 v1, 0 :: v_dual_lshlrev_b32 v10, 3, v0
	s_mov_b32 s23, 0
	s_add_nc_u64 s[2:3], s[8:9], s[10:11]
	s_mov_b32 s5, s23
	s_delay_alu instid0(VALU_DEP_1) | instskip(SKIP_3) | instid1(VALU_DEP_2)
	v_dual_mov_b32 v11, v1 :: v_dual_mov_b32 v17, v1
	s_mov_b32 s7, s23
	v_mov_b64_e32 v[6:7], 0x3e5af4eb2a1b768b
	s_mov_b32 s15, s23
	v_add_nc_u64_e32 v[10:11], s[2:3], v[10:11]
	s_mov_b64 s[18:19], 0x40862e42fefa39ef
	s_mov_b32 s17, s23
	s_mov_b64 s[24:25], 0
                                        ; implicit-def: $vgpr18_vgpr19
                                        ; implicit-def: $vgpr18_vgpr19
	;; [unrolled: 1-line block ×8, first 2 shown]
	s_wait_kmcnt 0x0
	s_and_b32 s22, s4, 0xffff
	s_delay_alu instid0(SALU_CYCLE_1)
	v_add_nc_u64_e32 v[8:9], s[22:23], v[0:1]
	s_lshl_b32 s4, s22, 1
	s_mul_i32 s6, s22, 3
	v_add_nc_u64_e32 v[14:15], s[4:5], v[0:1]
	v_add_nc_u64_e32 v[12:13], s[6:7], v[0:1]
	s_lshl_b32 s14, s22, 2
	s_lshl_b32 s16, s22, 5
	v_lshlrev_b32_e32 v16, 3, v8
	s_mul_u64 s[20:21], s[22:23], 24
	s_lshl_b32 s22, s22, 4
	s_delay_alu instid0(VALU_DEP_1)
	v_add_nc_u64_e32 v[16:17], s[2:3], v[16:17]
	s_branch .LBB147_4
.LBB147_3:                              ;   in Loop: Header=BB147_4 Depth=1
	s_wait_xcnt 0x0
	s_or_b32 exec_lo, exec_lo, s4
	s_add_nc_u64 s[24:25], s[24:25], s[14:15]
	v_add_nc_u64_e32 v[10:11], s[16:17], v[10:11]
	v_cmp_lt_i64_e32 vcc_lo, s[24:25], v[2:3]
	v_add_nc_u64_e32 v[16:17], s[16:17], v[16:17]
	s_cbranch_vccz .LBB147_20
.LBB147_4:                              ; =>This Inner Loop Header: Depth=1
	s_wait_loadcnt 0x0
	v_add_nc_u64_e32 v[18:19], s[24:25], v[0:1]
	v_mov_b64_e32 v[26:27], 0
	v_mov_b64_e32 v[28:29], 0
	s_delay_alu instid0(VALU_DEP_3)
	v_cmp_lt_u64_e64 s4, v[18:19], v[4:5]
	s_and_saveexec_b32 s2, s4
	s_cbranch_execz .LBB147_6
; %bb.5:                                ;   in Loop: Header=BB147_4 Depth=1
	global_load_b64 v[28:29], v[10:11], off
.LBB147_6:                              ;   in Loop: Header=BB147_4 Depth=1
	s_wait_xcnt 0x0
	s_or_b32 exec_lo, exec_lo, s2
	v_add_nc_u64_e32 v[18:19], s[24:25], v[8:9]
	s_delay_alu instid0(VALU_DEP_1)
	v_cmp_lt_u64_e64 s3, v[18:19], v[4:5]
	s_and_saveexec_b32 s2, s3
	s_cbranch_execz .LBB147_8
; %bb.7:                                ;   in Loop: Header=BB147_4 Depth=1
	global_load_b64 v[26:27], v[16:17], off
.LBB147_8:                              ;   in Loop: Header=BB147_4 Depth=1
	s_wait_xcnt 0x0
	s_or_b32 exec_lo, exec_lo, s2
	v_add_nc_u64_e32 v[20:21], s[24:25], v[14:15]
	v_mov_b64_e32 v[18:19], 0
	v_add_nc_u64_e32 v[22:23], s[22:23], v[10:11]
	v_mov_b64_e32 v[24:25], 0
	s_delay_alu instid0(VALU_DEP_4)
	v_cmp_lt_u64_e64 s2, v[20:21], v[4:5]
	s_and_saveexec_b32 s5, s2
	s_cbranch_execz .LBB147_10
; %bb.9:                                ;   in Loop: Header=BB147_4 Depth=1
	global_load_b64 v[24:25], v[22:23], off
.LBB147_10:                             ;   in Loop: Header=BB147_4 Depth=1
	s_wait_xcnt 0x0
	s_or_b32 exec_lo, exec_lo, s5
	v_add_nc_u64_e32 v[20:21], s[24:25], v[12:13]
	s_delay_alu instid0(VALU_DEP_1)
	v_cmp_lt_u64_e32 vcc_lo, v[20:21], v[4:5]
	v_add_nc_u64_e32 v[20:21], s[20:21], v[10:11]
	s_and_saveexec_b32 s5, vcc_lo
	s_cbranch_execnz .LBB147_15
; %bb.11:                               ;   in Loop: Header=BB147_4 Depth=1
	s_or_b32 exec_lo, exec_lo, s5
	s_and_saveexec_b32 s7, s4
	s_cbranch_execnz .LBB147_16
.LBB147_12:                             ;   in Loop: Header=BB147_4 Depth=1
	s_or_b32 exec_lo, exec_lo, s7
	s_and_saveexec_b32 s6, s3
	s_cbranch_execnz .LBB147_17
.LBB147_13:                             ;   in Loop: Header=BB147_4 Depth=1
	s_or_b32 exec_lo, exec_lo, s6
	s_and_saveexec_b32 s5, s2
	s_cbranch_execnz .LBB147_18
.LBB147_14:                             ;   in Loop: Header=BB147_4 Depth=1
	s_or_b32 exec_lo, exec_lo, s5
	s_and_saveexec_b32 s4, vcc_lo
	s_cbranch_execz .LBB147_3
	s_branch .LBB147_19
.LBB147_15:                             ;   in Loop: Header=BB147_4 Depth=1
	global_load_b64 v[18:19], v[20:21], off
	s_wait_xcnt 0x0
	s_or_b32 exec_lo, exec_lo, s5
	s_and_saveexec_b32 s7, s4
	s_cbranch_execz .LBB147_12
.LBB147_16:                             ;   in Loop: Header=BB147_4 Depth=1
	s_wait_loadcnt 0x0
	v_mul_f64_e32 v[30:31], 0x3ff71547652b82fe, v[28:29]
	v_cmp_nlt_f64_e64 s5, s[18:19], v[28:29]
	v_cmp_ngt_f64_e64 s6, 0xc0428000, v[28:29]
	s_delay_alu instid0(VALU_DEP_3) | instskip(NEXT) | instid1(VALU_DEP_1)
	v_rndne_f64_e32 v[30:31], v[30:31]
	v_fmamk_f64 v[32:33], v[30:31], 0xbfe62e42fefa39ef, v[28:29]
	v_cvt_i32_f64_e32 v36, v[30:31]
	v_cmp_eq_f64_e64 s4, 0x40900000, v[30:31]
	s_delay_alu instid0(VALU_DEP_3) | instskip(NEXT) | instid1(VALU_DEP_3)
	v_fmac_f64_e32 v[32:33], 0xbc7abc9e3b39803f, v[30:31]
	v_ldexp_f64 v[36:37], 1.0, v36
	s_delay_alu instid0(VALU_DEP_2) | instskip(NEXT) | instid1(VALU_DEP_1)
	v_fmamk_f64 v[34:35], v[32:33], 0x3e21f32ea9d67f34, v[6:7]
	v_fmaak_f64 v[34:35], v[32:33], v[34:35], 0x3e927e500e0ac05b
	s_delay_alu instid0(VALU_DEP_1) | instskip(NEXT) | instid1(VALU_DEP_1)
	v_fmaak_f64 v[34:35], v[32:33], v[34:35], 0x3ec71de01b889c29
	v_fmaak_f64 v[34:35], v[32:33], v[34:35], 0x3efa01a0197bcfd8
	s_delay_alu instid0(VALU_DEP_1) | instskip(NEXT) | instid1(VALU_DEP_1)
	v_fmaak_f64 v[34:35], v[32:33], v[34:35], 0x3f2a01a01ac1a723
	;; [unrolled: 3-line block ×4, first 2 shown]
	v_fma_f64 v[34:35], v[32:33], v[34:35], 0.5
	s_delay_alu instid0(VALU_DEP_1) | instskip(SKIP_2) | instid1(VALU_DEP_1)
	v_mul_f64_e32 v[30:31], v[32:33], v[34:35]
	v_cndmask_b32_e64 v35, v37, 0x7fe00000, s4
	v_cndmask_b32_e64 v34, v36, 0, s4
	v_add_f64_e32 v[36:37], -1.0, v[34:35]
	s_delay_alu instid0(VALU_DEP_4) | instskip(NEXT) | instid1(VALU_DEP_1)
	v_fmac_f64_e32 v[32:33], v[32:33], v[30:31]
	v_fmac_f64_e32 v[36:37], v[34:35], v[32:33]
	s_delay_alu instid0(VALU_DEP_1) | instskip(NEXT) | instid1(VALU_DEP_1)
	v_add_f64_e32 v[30:31], v[36:37], v[36:37]
	v_dual_cndmask_b32 v31, v37, v31, s4 :: v_dual_cndmask_b32 v28, v36, v30, s4
	s_and_b32 s4, s6, s5
	s_delay_alu instid0(VALU_DEP_1) | instskip(NEXT) | instid1(VALU_DEP_2)
	v_cndmask_b32_e64 v31, 0x7ff00000, v31, s5
	v_cndmask_b32_e64 v28, 0, v28, s4
	s_delay_alu instid0(VALU_DEP_2)
	v_cndmask_b32_e64 v29, 0xbff00000, v31, s6
	global_store_b64 v[10:11], v[28:29], off
	s_wait_xcnt 0x0
	s_or_b32 exec_lo, exec_lo, s7
	s_and_saveexec_b32 s6, s3
	s_cbranch_execz .LBB147_13
.LBB147_17:                             ;   in Loop: Header=BB147_4 Depth=1
	s_wait_loadcnt 0x0
	v_mul_f64_e32 v[28:29], 0x3ff71547652b82fe, v[26:27]
	v_cmp_nlt_f64_e64 s4, s[18:19], v[26:27]
	v_cmp_ngt_f64_e64 s5, 0xc0428000, v[26:27]
	s_delay_alu instid0(VALU_DEP_3) | instskip(NEXT) | instid1(VALU_DEP_1)
	v_rndne_f64_e32 v[28:29], v[28:29]
	v_fmamk_f64 v[30:31], v[28:29], 0xbfe62e42fefa39ef, v[26:27]
	v_cvt_i32_f64_e32 v34, v[28:29]
	v_cmp_eq_f64_e64 s3, 0x40900000, v[28:29]
	s_delay_alu instid0(VALU_DEP_3) | instskip(NEXT) | instid1(VALU_DEP_3)
	v_fmac_f64_e32 v[30:31], 0xbc7abc9e3b39803f, v[28:29]
	v_ldexp_f64 v[34:35], 1.0, v34
	s_delay_alu instid0(VALU_DEP_2) | instskip(NEXT) | instid1(VALU_DEP_1)
	v_fmamk_f64 v[32:33], v[30:31], 0x3e21f32ea9d67f34, v[6:7]
	v_fmaak_f64 v[32:33], v[30:31], v[32:33], 0x3e927e500e0ac05b
	s_delay_alu instid0(VALU_DEP_1) | instskip(NEXT) | instid1(VALU_DEP_1)
	v_fmaak_f64 v[32:33], v[30:31], v[32:33], 0x3ec71de01b889c29
	v_fmaak_f64 v[32:33], v[30:31], v[32:33], 0x3efa01a0197bcfd8
	s_delay_alu instid0(VALU_DEP_1) | instskip(NEXT) | instid1(VALU_DEP_1)
	v_fmaak_f64 v[32:33], v[30:31], v[32:33], 0x3f2a01a01ac1a723
	;; [unrolled: 3-line block ×4, first 2 shown]
	v_fma_f64 v[32:33], v[30:31], v[32:33], 0.5
	s_delay_alu instid0(VALU_DEP_1) | instskip(SKIP_2) | instid1(VALU_DEP_1)
	v_mul_f64_e32 v[28:29], v[30:31], v[32:33]
	v_cndmask_b32_e64 v33, v35, 0x7fe00000, s3
	v_cndmask_b32_e64 v32, v34, 0, s3
	v_add_f64_e32 v[34:35], -1.0, v[32:33]
	s_delay_alu instid0(VALU_DEP_4) | instskip(NEXT) | instid1(VALU_DEP_1)
	v_fmac_f64_e32 v[30:31], v[30:31], v[28:29]
	v_fmac_f64_e32 v[34:35], v[32:33], v[30:31]
	s_delay_alu instid0(VALU_DEP_1) | instskip(NEXT) | instid1(VALU_DEP_1)
	v_add_f64_e32 v[28:29], v[34:35], v[34:35]
	v_dual_cndmask_b32 v29, v35, v29, s3 :: v_dual_cndmask_b32 v26, v34, v28, s3
	s_and_b32 s3, s5, s4
	s_delay_alu instid0(VALU_DEP_1) | instskip(NEXT) | instid1(VALU_DEP_2)
	v_cndmask_b32_e64 v29, 0x7ff00000, v29, s4
	v_cndmask_b32_e64 v26, 0, v26, s3
	s_delay_alu instid0(VALU_DEP_2)
	v_cndmask_b32_e64 v27, 0xbff00000, v29, s5
	global_store_b64 v[16:17], v[26:27], off
	s_wait_xcnt 0x0
	s_or_b32 exec_lo, exec_lo, s6
	s_and_saveexec_b32 s5, s2
	s_cbranch_execz .LBB147_14
.LBB147_18:                             ;   in Loop: Header=BB147_4 Depth=1
	s_wait_loadcnt 0x0
	v_mul_f64_e32 v[26:27], 0x3ff71547652b82fe, v[24:25]
	v_cmp_nlt_f64_e64 s3, s[18:19], v[24:25]
	v_cmp_ngt_f64_e64 s4, 0xc0428000, v[24:25]
	s_delay_alu instid0(VALU_DEP_3) | instskip(NEXT) | instid1(VALU_DEP_1)
	v_rndne_f64_e32 v[26:27], v[26:27]
	v_fmamk_f64 v[28:29], v[26:27], 0xbfe62e42fefa39ef, v[24:25]
	v_cvt_i32_f64_e32 v32, v[26:27]
	v_cmp_eq_f64_e64 s2, 0x40900000, v[26:27]
	s_delay_alu instid0(VALU_DEP_3) | instskip(NEXT) | instid1(VALU_DEP_3)
	v_fmac_f64_e32 v[28:29], 0xbc7abc9e3b39803f, v[26:27]
	v_ldexp_f64 v[32:33], 1.0, v32
	s_delay_alu instid0(VALU_DEP_2) | instskip(NEXT) | instid1(VALU_DEP_1)
	v_fmamk_f64 v[30:31], v[28:29], 0x3e21f32ea9d67f34, v[6:7]
	v_fmaak_f64 v[30:31], v[28:29], v[30:31], 0x3e927e500e0ac05b
	s_delay_alu instid0(VALU_DEP_1) | instskip(NEXT) | instid1(VALU_DEP_1)
	v_fmaak_f64 v[30:31], v[28:29], v[30:31], 0x3ec71de01b889c29
	v_fmaak_f64 v[30:31], v[28:29], v[30:31], 0x3efa01a0197bcfd8
	s_delay_alu instid0(VALU_DEP_1) | instskip(NEXT) | instid1(VALU_DEP_1)
	v_fmaak_f64 v[30:31], v[28:29], v[30:31], 0x3f2a01a01ac1a723
	v_fmaak_f64 v[30:31], v[28:29], v[30:31], 0x3f56c16c16c18931
	s_delay_alu instid0(VALU_DEP_1) | instskip(NEXT) | instid1(VALU_DEP_1)
	v_fmaak_f64 v[30:31], v[28:29], v[30:31], 0x3f81111111110056
	v_fmaak_f64 v[30:31], v[28:29], v[30:31], 0x3fa5555555555552
	s_delay_alu instid0(VALU_DEP_1) | instskip(NEXT) | instid1(VALU_DEP_1)
	v_fmaak_f64 v[30:31], v[28:29], v[30:31], 0x3fc5555555555557
	v_fma_f64 v[30:31], v[28:29], v[30:31], 0.5
	s_delay_alu instid0(VALU_DEP_1) | instskip(SKIP_2) | instid1(VALU_DEP_1)
	v_mul_f64_e32 v[26:27], v[28:29], v[30:31]
	v_cndmask_b32_e64 v31, v33, 0x7fe00000, s2
	v_cndmask_b32_e64 v30, v32, 0, s2
	v_add_f64_e32 v[32:33], -1.0, v[30:31]
	s_delay_alu instid0(VALU_DEP_4) | instskip(NEXT) | instid1(VALU_DEP_1)
	v_fmac_f64_e32 v[28:29], v[28:29], v[26:27]
	v_fmac_f64_e32 v[32:33], v[30:31], v[28:29]
	s_delay_alu instid0(VALU_DEP_1) | instskip(NEXT) | instid1(VALU_DEP_1)
	v_add_f64_e32 v[26:27], v[32:33], v[32:33]
	v_dual_cndmask_b32 v27, v33, v27, s2 :: v_dual_cndmask_b32 v24, v32, v26, s2
	s_and_b32 s2, s4, s3
	s_delay_alu instid0(VALU_DEP_1) | instskip(NEXT) | instid1(VALU_DEP_2)
	v_cndmask_b32_e64 v27, 0x7ff00000, v27, s3
	v_cndmask_b32_e64 v24, 0, v24, s2
	s_delay_alu instid0(VALU_DEP_2)
	v_cndmask_b32_e64 v25, 0xbff00000, v27, s4
	global_store_b64 v[22:23], v[24:25], off
	s_wait_xcnt 0x0
	s_or_b32 exec_lo, exec_lo, s5
	s_and_saveexec_b32 s4, vcc_lo
	s_cbranch_execz .LBB147_3
.LBB147_19:                             ;   in Loop: Header=BB147_4 Depth=1
	s_wait_loadcnt 0x0
	v_mul_f64_e32 v[22:23], 0x3ff71547652b82fe, v[18:19]
	v_cmp_nlt_f64_e64 s2, s[18:19], v[18:19]
	v_cmp_ngt_f64_e64 s3, 0xc0428000, v[18:19]
	s_delay_alu instid0(VALU_DEP_3) | instskip(NEXT) | instid1(VALU_DEP_1)
	v_rndne_f64_e32 v[22:23], v[22:23]
	v_fmamk_f64 v[24:25], v[22:23], 0xbfe62e42fefa39ef, v[18:19]
	v_cvt_i32_f64_e32 v28, v[22:23]
	v_cmp_eq_f64_e32 vcc_lo, 0x40900000, v[22:23]
	s_delay_alu instid0(VALU_DEP_3) | instskip(NEXT) | instid1(VALU_DEP_3)
	v_fmac_f64_e32 v[24:25], 0xbc7abc9e3b39803f, v[22:23]
	v_ldexp_f64 v[28:29], 1.0, v28
	s_delay_alu instid0(VALU_DEP_2) | instskip(NEXT) | instid1(VALU_DEP_1)
	v_fmamk_f64 v[26:27], v[24:25], 0x3e21f32ea9d67f34, v[6:7]
	v_fmaak_f64 v[26:27], v[24:25], v[26:27], 0x3e927e500e0ac05b
	s_delay_alu instid0(VALU_DEP_1) | instskip(NEXT) | instid1(VALU_DEP_1)
	v_fmaak_f64 v[26:27], v[24:25], v[26:27], 0x3ec71de01b889c29
	v_fmaak_f64 v[26:27], v[24:25], v[26:27], 0x3efa01a0197bcfd8
	s_delay_alu instid0(VALU_DEP_1) | instskip(NEXT) | instid1(VALU_DEP_1)
	v_fmaak_f64 v[26:27], v[24:25], v[26:27], 0x3f2a01a01ac1a723
	;; [unrolled: 3-line block ×4, first 2 shown]
	v_fma_f64 v[26:27], v[24:25], v[26:27], 0.5
	s_delay_alu instid0(VALU_DEP_1) | instskip(SKIP_2) | instid1(VALU_DEP_1)
	v_mul_f64_e32 v[22:23], v[24:25], v[26:27]
	v_cndmask_b32_e64 v27, v29, 0x7fe00000, vcc_lo
	v_cndmask_b32_e64 v26, v28, 0, vcc_lo
	v_add_f64_e32 v[28:29], -1.0, v[26:27]
	s_delay_alu instid0(VALU_DEP_4) | instskip(NEXT) | instid1(VALU_DEP_1)
	v_fmac_f64_e32 v[24:25], v[24:25], v[22:23]
	v_fmac_f64_e32 v[28:29], v[26:27], v[24:25]
	s_delay_alu instid0(VALU_DEP_1) | instskip(NEXT) | instid1(VALU_DEP_1)
	v_add_f64_e32 v[22:23], v[28:29], v[28:29]
	v_dual_cndmask_b32 v23, v29, v23 :: v_dual_cndmask_b32 v18, v28, v22
	s_and_b32 vcc_lo, s3, s2
	s_delay_alu instid0(VALU_DEP_1) | instskip(NEXT) | instid1(VALU_DEP_2)
	v_cndmask_b32_e64 v23, 0x7ff00000, v23, s2
	v_cndmask_b32_e32 v18, 0, v18, vcc_lo
	s_delay_alu instid0(VALU_DEP_2)
	v_cndmask_b32_e64 v19, 0xbff00000, v23, s3
	global_store_b64 v[20:21], v[18:19], off
	s_branch .LBB147_3
.LBB147_20:
	s_cbranch_execz .LBB147_22
	s_branch .LBB147_25
.LBB147_21:
.LBB147_22:
	v_min_i64 v[2:3], 0x10000, s[12:13]
	v_dual_mov_b32 v5, 0 :: v_dual_lshlrev_b32 v4, 2, v0
	s_mov_b32 s2, exec_lo
	s_delay_alu instid0(VALU_DEP_1)
	v_cmpx_lt_i64_e64 v[4:5], v[2:3]
	s_cbranch_execz .LBB147_25
; %bb.23:
	s_load_b32 s2, s[0:1], 0xd3c
	v_dual_mov_b32 v1, v5 :: v_dual_lshlrev_b32 v4, 5, v0
	s_wait_xcnt 0x0
	s_add_nc_u64 s[0:1], s[8:9], s[10:11]
	s_mov_b32 s15, 0
	s_mov_b64 s[12:13], 0x40862e42fefa39ef
	v_add_nc_u64_e32 v[6:7], s[0:1], v[4:5]
	v_mov_b64_e32 v[4:5], 0x3e5af4eb2a1b768b
	s_mov_b32 s17, s15
	s_mov_b32 s11, s15
                                        ; implicit-def: $vgpr8_vgpr9
                                        ; implicit-def: $vgpr8_vgpr9
	;; [unrolled: 1-line block ×8, first 2 shown]
	s_delay_alu instid0(VALU_DEP_2) | instskip(SKIP_2) | instid1(SALU_CYCLE_1)
	v_add_nc_u64_e32 v[6:7], 16, v[6:7]
	s_wait_kmcnt 0x0
	s_and_b32 s14, s2, 0xffff
	s_lshl_b32 s16, s14, 5
.LBB147_24:                             ; =>This Inner Loop Header: Depth=1
	s_clause 0x1
	global_load_b128 v[8:11], v[6:7], off offset:-16
	global_load_b128 v[12:15], v[6:7], off
	v_add_nc_u64_e32 v[0:1], s[14:15], v[0:1]
	s_wait_loadcnt 0x1
	v_mul_f64_e32 v[16:17], 0x3ff71547652b82fe, v[8:9]
	v_mul_f64_e32 v[18:19], 0x3ff71547652b82fe, v[10:11]
	s_wait_loadcnt 0x0
	v_mul_f64_e32 v[20:21], 0x3ff71547652b82fe, v[12:13]
	v_mul_f64_e32 v[22:23], 0x3ff71547652b82fe, v[14:15]
	v_cmp_nlt_f64_e64 s5, s[12:13], v[10:11]
	v_cmp_nlt_f64_e64 s7, s[12:13], v[12:13]
	;; [unrolled: 1-line block ×3, first 2 shown]
	v_cmp_ngt_f64_e64 s4, 0xc0428000, v[8:9]
	v_cmp_nlt_f64_e64 s9, s[12:13], v[14:15]
	v_cmp_ngt_f64_e64 s6, 0xc0428000, v[10:11]
	v_cmp_ngt_f64_e64 s8, 0xc0428000, v[12:13]
	;; [unrolled: 1-line block ×3, first 2 shown]
	v_rndne_f64_e32 v[16:17], v[16:17]
	v_rndne_f64_e32 v[18:19], v[18:19]
	;; [unrolled: 1-line block ×4, first 2 shown]
	s_delay_alu instid0(VALU_DEP_4) | instskip(NEXT) | instid1(VALU_DEP_4)
	v_fmamk_f64 v[24:25], v[16:17], 0xbfe62e42fefa39ef, v[8:9]
	v_fmamk_f64 v[26:27], v[18:19], 0xbfe62e42fefa39ef, v[10:11]
	s_delay_alu instid0(VALU_DEP_4) | instskip(NEXT) | instid1(VALU_DEP_4)
	v_fmamk_f64 v[28:29], v[20:21], 0xbfe62e42fefa39ef, v[12:13]
	v_fmamk_f64 v[30:31], v[22:23], 0xbfe62e42fefa39ef, v[14:15]
	v_cvt_i32_f64_e32 v43, v[20:21]
	v_cvt_i32_f64_e32 v42, v[18:19]
	v_cmp_eq_f64_e64 s0, 0x40900000, v[18:19]
	v_fmac_f64_e32 v[24:25], 0xbc7abc9e3b39803f, v[16:17]
	v_fmac_f64_e32 v[26:27], 0xbc7abc9e3b39803f, v[18:19]
	;; [unrolled: 1-line block ×4, first 2 shown]
	v_cmp_eq_f64_e64 s1, 0x40900000, v[20:21]
	v_cvt_i32_f64_e32 v44, v[22:23]
	v_cmp_eq_f64_e32 vcc_lo, 0x40900000, v[16:17]
	v_cmp_eq_f64_e64 s2, 0x40900000, v[22:23]
	v_cvt_i32_f64_e32 v40, v[16:17]
	v_ldexp_f64 v[18:19], 1.0, v43
	v_ldexp_f64 v[16:17], 1.0, v42
	v_fmamk_f64 v[32:33], v[24:25], 0x3e21f32ea9d67f34, v[4:5]
	v_fmamk_f64 v[34:35], v[26:27], 0x3e21f32ea9d67f34, v[4:5]
	;; [unrolled: 1-line block ×4, first 2 shown]
	v_ldexp_f64 v[20:21], 1.0, v44
	v_fmaak_f64 v[32:33], v[24:25], v[32:33], 0x3e927e500e0ac05b
	v_fmaak_f64 v[34:35], v[26:27], v[34:35], 0x3e927e500e0ac05b
	;; [unrolled: 1-line block ×4, first 2 shown]
	v_ldexp_f64 v[40:41], 1.0, v40
	v_fmaak_f64 v[32:33], v[24:25], v[32:33], 0x3ec71de01b889c29
	v_fmaak_f64 v[34:35], v[26:27], v[34:35], 0x3ec71de01b889c29
	v_fmaak_f64 v[36:37], v[28:29], v[36:37], 0x3ec71de01b889c29
	v_fmaak_f64 v[38:39], v[30:31], v[38:39], 0x3ec71de01b889c29
	s_delay_alu instid0(VALU_DEP_4) | instskip(NEXT) | instid1(VALU_DEP_4)
	v_fmaak_f64 v[32:33], v[24:25], v[32:33], 0x3efa01a0197bcfd8
	v_fmaak_f64 v[34:35], v[26:27], v[34:35], 0x3efa01a0197bcfd8
	s_delay_alu instid0(VALU_DEP_4) | instskip(NEXT) | instid1(VALU_DEP_4)
	v_fmaak_f64 v[36:37], v[28:29], v[36:37], 0x3efa01a0197bcfd8
	v_fmaak_f64 v[38:39], v[30:31], v[38:39], 0x3efa01a0197bcfd8
	;; [unrolled: 3-line block ×4, first 2 shown]
	v_cndmask_b32_e64 v19, v19, 0x7fe00000, s1
	v_cndmask_b32_e64 v18, v18, 0, s1
	;; [unrolled: 1-line block ×3, first 2 shown]
	v_fmaak_f64 v[32:33], v[24:25], v[32:33], 0x3f56c16c16c18931
	v_fmaak_f64 v[34:35], v[26:27], v[34:35], 0x3f56c16c16c18931
	;; [unrolled: 1-line block ×4, first 2 shown]
	v_add_f64_e32 v[44:45], -1.0, v[18:19]
	v_cndmask_b32_e64 v21, v21, 0x7fe00000, s2
	v_cndmask_b32_e64 v20, v20, 0, s2
	v_fmaak_f64 v[32:33], v[24:25], v[32:33], 0x3f81111111110056
	v_fmaak_f64 v[34:35], v[26:27], v[34:35], 0x3f81111111110056
	;; [unrolled: 1-line block ×4, first 2 shown]
	v_add_f64_e32 v[46:47], -1.0, v[20:21]
	v_cndmask_b32_e64 v16, v16, 0, s0
	v_fmaak_f64 v[32:33], v[24:25], v[32:33], 0x3fa5555555555552
	v_fmaak_f64 v[34:35], v[26:27], v[34:35], 0x3fa5555555555552
	;; [unrolled: 1-line block ×4, first 2 shown]
	s_delay_alu instid0(VALU_DEP_4) | instskip(NEXT) | instid1(VALU_DEP_4)
	v_fmaak_f64 v[32:33], v[24:25], v[32:33], 0x3fc5555555555557
	v_fmaak_f64 v[34:35], v[26:27], v[34:35], 0x3fc5555555555557
	s_delay_alu instid0(VALU_DEP_4) | instskip(NEXT) | instid1(VALU_DEP_4)
	v_fmaak_f64 v[36:37], v[28:29], v[36:37], 0x3fc5555555555557
	v_fmaak_f64 v[38:39], v[30:31], v[38:39], 0x3fc5555555555557
	s_delay_alu instid0(VALU_DEP_4) | instskip(NEXT) | instid1(VALU_DEP_4)
	v_fma_f64 v[32:33], v[24:25], v[32:33], 0.5
	v_fma_f64 v[34:35], v[26:27], v[34:35], 0.5
	s_delay_alu instid0(VALU_DEP_4) | instskip(NEXT) | instid1(VALU_DEP_4)
	v_fma_f64 v[36:37], v[28:29], v[36:37], 0.5
	v_fma_f64 v[38:39], v[30:31], v[38:39], 0.5
	s_delay_alu instid0(VALU_DEP_4) | instskip(NEXT) | instid1(VALU_DEP_4)
	v_mul_f64_e32 v[22:23], v[24:25], v[32:33]
	v_mul_f64_e32 v[32:33], v[26:27], v[34:35]
	s_delay_alu instid0(VALU_DEP_4) | instskip(NEXT) | instid1(VALU_DEP_2)
	v_mul_f64_e32 v[34:35], v[28:29], v[36:37]
	v_fmac_f64_e32 v[26:27], v[26:27], v[32:33]
	s_delay_alu instid0(VALU_DEP_2) | instskip(NEXT) | instid1(VALU_DEP_1)
	v_fmac_f64_e32 v[28:29], v[28:29], v[34:35]
	v_fmac_f64_e32 v[44:45], v[18:19], v[28:29]
	v_mul_f64_e32 v[36:37], v[30:31], v[38:39]
	v_cndmask_b32_e64 v39, v41, 0x7fe00000, vcc_lo
	v_cndmask_b32_e64 v38, v40, 0, vcc_lo
	s_delay_alu instid0(VALU_DEP_3) | instskip(NEXT) | instid1(VALU_DEP_1)
	v_fmac_f64_e32 v[30:31], v[30:31], v[36:37]
	v_fmac_f64_e32 v[46:47], v[20:21], v[30:31]
	v_add_f64_e32 v[42:43], -1.0, v[16:17]
	v_add_f64_e32 v[20:21], v[44:45], v[44:45]
	v_add_f64_e32 v[40:41], -1.0, v[38:39]
	s_delay_alu instid0(VALU_DEP_3) | instskip(NEXT) | instid1(VALU_DEP_3)
	v_fmac_f64_e32 v[42:43], v[16:17], v[26:27]
	v_cndmask_b32_e64 v21, v45, v21, s1
	s_delay_alu instid0(VALU_DEP_1) | instskip(NEXT) | instid1(VALU_DEP_1)
	v_cndmask_b32_e64 v10, 0x7ff00000, v21, s7
	v_cndmask_b32_e64 v13, 0xbff00000, v10, s8
	s_delay_alu instid0(VALU_DEP_4) | instskip(NEXT) | instid1(VALU_DEP_1)
	v_add_f64_e32 v[18:19], v[42:43], v[42:43]
	v_cndmask_b32_e64 v19, v43, v19, s0
	v_fmac_f64_e32 v[24:25], v[24:25], v[22:23]
	v_add_f64_e32 v[22:23], v[46:47], v[46:47]
	s_delay_alu instid0(VALU_DEP_3) | instskip(NEXT) | instid1(VALU_DEP_1)
	v_cndmask_b32_e64 v8, 0x7ff00000, v19, s5
	v_cndmask_b32_e64 v11, 0xbff00000, v8, s6
	s_delay_alu instid0(VALU_DEP_4) | instskip(NEXT) | instid1(VALU_DEP_4)
	v_fmac_f64_e32 v[40:41], v[38:39], v[24:25]
	v_cndmask_b32_e64 v23, v47, v23, s2
	v_lshlrev_b64_e32 v[24:25], 2, v[0:1]
	v_cndmask_b32_e64 v19, v46, v22, s2
	s_delay_alu instid0(VALU_DEP_3) | instskip(NEXT) | instid1(VALU_DEP_1)
	v_cndmask_b32_e64 v12, 0x7ff00000, v23, s9
	v_cndmask_b32_e64 v15, 0xbff00000, v12, s10
	v_add_f64_e32 v[16:17], v[40:41], v[40:41]
	s_delay_alu instid0(VALU_DEP_1) | instskip(SKIP_3) | instid1(VALU_DEP_3)
	v_dual_cndmask_b32 v17, v41, v17 :: v_dual_cndmask_b32 v14, v40, v16
	v_cndmask_b32_e64 v16, v42, v18, s0
	s_and_b32 vcc_lo, s4, s3
	v_cndmask_b32_e64 v18, v44, v20, s1
	v_cndmask_b32_e64 v17, 0x7ff00000, v17, s3
	v_cndmask_b32_e32 v8, 0, v14, vcc_lo
	s_and_b32 vcc_lo, s6, s5
	v_cndmask_b32_e32 v10, 0, v16, vcc_lo
	s_and_b32 vcc_lo, s8, s7
	v_cndmask_b32_e64 v9, 0xbff00000, v17, s4
	v_cndmask_b32_e32 v12, 0, v18, vcc_lo
	s_and_b32 vcc_lo, s10, s9
	v_cndmask_b32_e32 v14, 0, v19, vcc_lo
	v_cmp_ge_i64_e32 vcc_lo, v[24:25], v[2:3]
	s_clause 0x1
	global_store_b128 v[6:7], v[8:11], off offset:-16
	global_store_b128 v[6:7], v[12:15], off
	s_wait_xcnt 0x0
	v_add_nc_u64_e32 v[6:7], s[16:17], v[6:7]
	s_or_b32 s11, vcc_lo, s11
	s_delay_alu instid0(SALU_CYCLE_1)
	s_and_not1_b32 exec_lo, exec_lo, s11
	s_cbranch_execnz .LBB147_24
.LBB147_25:
	s_endpgm
	.section	.rodata,"a",@progbits
	.p2align	6, 0x0
	.amdhsa_kernel _ZN2at6native12_GLOBAL__N_125multi_tensor_apply_kernelINS1_18TensorListMetadataILi1EEENS1_14UnaryOpFunctorIdLi1ELi1ELi0EEEJNS0_5Expm1IdEEEEEvT_T0_DpT1_
		.amdhsa_group_segment_fixed_size 0
		.amdhsa_private_segment_fixed_size 0
		.amdhsa_kernarg_size 3632
		.amdhsa_user_sgpr_count 2
		.amdhsa_user_sgpr_dispatch_ptr 0
		.amdhsa_user_sgpr_queue_ptr 0
		.amdhsa_user_sgpr_kernarg_segment_ptr 1
		.amdhsa_user_sgpr_dispatch_id 0
		.amdhsa_user_sgpr_kernarg_preload_length 0
		.amdhsa_user_sgpr_kernarg_preload_offset 0
		.amdhsa_user_sgpr_private_segment_size 0
		.amdhsa_wavefront_size32 1
		.amdhsa_uses_dynamic_stack 0
		.amdhsa_enable_private_segment 0
		.amdhsa_system_sgpr_workgroup_id_x 1
		.amdhsa_system_sgpr_workgroup_id_y 0
		.amdhsa_system_sgpr_workgroup_id_z 0
		.amdhsa_system_sgpr_workgroup_info 0
		.amdhsa_system_vgpr_workitem_id 0
		.amdhsa_next_free_vgpr 48
		.amdhsa_next_free_sgpr 26
		.amdhsa_named_barrier_count 0
		.amdhsa_reserve_vcc 1
		.amdhsa_float_round_mode_32 0
		.amdhsa_float_round_mode_16_64 0
		.amdhsa_float_denorm_mode_32 3
		.amdhsa_float_denorm_mode_16_64 3
		.amdhsa_fp16_overflow 0
		.amdhsa_memory_ordered 1
		.amdhsa_forward_progress 1
		.amdhsa_inst_pref_size 28
		.amdhsa_round_robin_scheduling 0
		.amdhsa_exception_fp_ieee_invalid_op 0
		.amdhsa_exception_fp_denorm_src 0
		.amdhsa_exception_fp_ieee_div_zero 0
		.amdhsa_exception_fp_ieee_overflow 0
		.amdhsa_exception_fp_ieee_underflow 0
		.amdhsa_exception_fp_ieee_inexact 0
		.amdhsa_exception_int_div_zero 0
	.end_amdhsa_kernel
	.section	.text._ZN2at6native12_GLOBAL__N_125multi_tensor_apply_kernelINS1_18TensorListMetadataILi1EEENS1_14UnaryOpFunctorIdLi1ELi1ELi0EEEJNS0_5Expm1IdEEEEEvT_T0_DpT1_,"axG",@progbits,_ZN2at6native12_GLOBAL__N_125multi_tensor_apply_kernelINS1_18TensorListMetadataILi1EEENS1_14UnaryOpFunctorIdLi1ELi1ELi0EEEJNS0_5Expm1IdEEEEEvT_T0_DpT1_,comdat
.Lfunc_end147:
	.size	_ZN2at6native12_GLOBAL__N_125multi_tensor_apply_kernelINS1_18TensorListMetadataILi1EEENS1_14UnaryOpFunctorIdLi1ELi1ELi0EEEJNS0_5Expm1IdEEEEEvT_T0_DpT1_, .Lfunc_end147-_ZN2at6native12_GLOBAL__N_125multi_tensor_apply_kernelINS1_18TensorListMetadataILi1EEENS1_14UnaryOpFunctorIdLi1ELi1ELi0EEEJNS0_5Expm1IdEEEEEvT_T0_DpT1_
                                        ; -- End function
	.set _ZN2at6native12_GLOBAL__N_125multi_tensor_apply_kernelINS1_18TensorListMetadataILi1EEENS1_14UnaryOpFunctorIdLi1ELi1ELi0EEEJNS0_5Expm1IdEEEEEvT_T0_DpT1_.num_vgpr, 48
	.set _ZN2at6native12_GLOBAL__N_125multi_tensor_apply_kernelINS1_18TensorListMetadataILi1EEENS1_14UnaryOpFunctorIdLi1ELi1ELi0EEEJNS0_5Expm1IdEEEEEvT_T0_DpT1_.num_agpr, 0
	.set _ZN2at6native12_GLOBAL__N_125multi_tensor_apply_kernelINS1_18TensorListMetadataILi1EEENS1_14UnaryOpFunctorIdLi1ELi1ELi0EEEJNS0_5Expm1IdEEEEEvT_T0_DpT1_.numbered_sgpr, 26
	.set _ZN2at6native12_GLOBAL__N_125multi_tensor_apply_kernelINS1_18TensorListMetadataILi1EEENS1_14UnaryOpFunctorIdLi1ELi1ELi0EEEJNS0_5Expm1IdEEEEEvT_T0_DpT1_.num_named_barrier, 0
	.set _ZN2at6native12_GLOBAL__N_125multi_tensor_apply_kernelINS1_18TensorListMetadataILi1EEENS1_14UnaryOpFunctorIdLi1ELi1ELi0EEEJNS0_5Expm1IdEEEEEvT_T0_DpT1_.private_seg_size, 0
	.set _ZN2at6native12_GLOBAL__N_125multi_tensor_apply_kernelINS1_18TensorListMetadataILi1EEENS1_14UnaryOpFunctorIdLi1ELi1ELi0EEEJNS0_5Expm1IdEEEEEvT_T0_DpT1_.uses_vcc, 1
	.set _ZN2at6native12_GLOBAL__N_125multi_tensor_apply_kernelINS1_18TensorListMetadataILi1EEENS1_14UnaryOpFunctorIdLi1ELi1ELi0EEEJNS0_5Expm1IdEEEEEvT_T0_DpT1_.uses_flat_scratch, 0
	.set _ZN2at6native12_GLOBAL__N_125multi_tensor_apply_kernelINS1_18TensorListMetadataILi1EEENS1_14UnaryOpFunctorIdLi1ELi1ELi0EEEJNS0_5Expm1IdEEEEEvT_T0_DpT1_.has_dyn_sized_stack, 0
	.set _ZN2at6native12_GLOBAL__N_125multi_tensor_apply_kernelINS1_18TensorListMetadataILi1EEENS1_14UnaryOpFunctorIdLi1ELi1ELi0EEEJNS0_5Expm1IdEEEEEvT_T0_DpT1_.has_recursion, 0
	.set _ZN2at6native12_GLOBAL__N_125multi_tensor_apply_kernelINS1_18TensorListMetadataILi1EEENS1_14UnaryOpFunctorIdLi1ELi1ELi0EEEJNS0_5Expm1IdEEEEEvT_T0_DpT1_.has_indirect_call, 0
	.section	.AMDGPU.csdata,"",@progbits
; Kernel info:
; codeLenInByte = 3536
; TotalNumSgprs: 28
; NumVgprs: 48
; ScratchSize: 0
; MemoryBound: 0
; FloatMode: 240
; IeeeMode: 1
; LDSByteSize: 0 bytes/workgroup (compile time only)
; SGPRBlocks: 0
; VGPRBlocks: 2
; NumSGPRsForWavesPerEU: 28
; NumVGPRsForWavesPerEU: 48
; NamedBarCnt: 0
; Occupancy: 16
; WaveLimiterHint : 0
; COMPUTE_PGM_RSRC2:SCRATCH_EN: 0
; COMPUTE_PGM_RSRC2:USER_SGPR: 2
; COMPUTE_PGM_RSRC2:TRAP_HANDLER: 0
; COMPUTE_PGM_RSRC2:TGID_X_EN: 1
; COMPUTE_PGM_RSRC2:TGID_Y_EN: 0
; COMPUTE_PGM_RSRC2:TGID_Z_EN: 0
; COMPUTE_PGM_RSRC2:TIDIG_COMP_CNT: 0
	.section	.text._ZN2at6native12_GLOBAL__N_125multi_tensor_apply_kernelINS1_18TensorListMetadataILi1EEENS1_14UnaryOpFunctorIfLi1ELi1ELi0EEEJNS0_5Expm1IfEEEEEvT_T0_DpT1_,"axG",@progbits,_ZN2at6native12_GLOBAL__N_125multi_tensor_apply_kernelINS1_18TensorListMetadataILi1EEENS1_14UnaryOpFunctorIfLi1ELi1ELi0EEEJNS0_5Expm1IfEEEEEvT_T0_DpT1_,comdat
	.globl	_ZN2at6native12_GLOBAL__N_125multi_tensor_apply_kernelINS1_18TensorListMetadataILi1EEENS1_14UnaryOpFunctorIfLi1ELi1ELi0EEEJNS0_5Expm1IfEEEEEvT_T0_DpT1_ ; -- Begin function _ZN2at6native12_GLOBAL__N_125multi_tensor_apply_kernelINS1_18TensorListMetadataILi1EEENS1_14UnaryOpFunctorIfLi1ELi1ELi0EEEJNS0_5Expm1IfEEEEEvT_T0_DpT1_
	.p2align	8
	.type	_ZN2at6native12_GLOBAL__N_125multi_tensor_apply_kernelINS1_18TensorListMetadataILi1EEENS1_14UnaryOpFunctorIfLi1ELi1ELi0EEEJNS0_5Expm1IfEEEEEvT_T0_DpT1_,@function
_ZN2at6native12_GLOBAL__N_125multi_tensor_apply_kernelINS1_18TensorListMetadataILi1EEENS1_14UnaryOpFunctorIfLi1ELi1ELi0EEEJNS0_5Expm1IfEEEEEvT_T0_DpT1_: ; @_ZN2at6native12_GLOBAL__N_125multi_tensor_apply_kernelINS1_18TensorListMetadataILi1EEENS1_14UnaryOpFunctorIfLi1ELi1ELi0EEEJNS0_5Expm1IfEEEEEvT_T0_DpT1_
; %bb.0:
	s_bfe_u32 s2, ttmp6, 0x4000c
	s_and_b32 s3, ttmp6, 15
	s_add_co_i32 s2, s2, 1
	s_getreg_b32 s4, hwreg(HW_REG_IB_STS2, 6, 4)
	s_mul_i32 s2, ttmp9, s2
	s_delay_alu instid0(SALU_CYCLE_1)
	s_add_co_i32 s3, s3, s2
	s_cmp_eq_u32 s4, 0
	s_cselect_b32 s2, ttmp9, s3
	s_mov_b32 s3, 0
	s_load_u8 s8, s[0:1], s2 offset:0x6e0
	s_add_nc_u64 s[4:5], s[0:1], s[2:3]
	s_mul_u64 s[6:7], s[2:3], 3
	s_delay_alu instid0(SALU_CYCLE_1)
	s_add_nc_u64 s[4:5], s[4:5], s[6:7]
	s_load_b32 s10, s[4:5], 0x820
	s_wait_kmcnt 0x0
	s_clause 0x1
	s_load_b64 s[6:7], s[0:1], s8 offset:0x0 scale_offset
	s_load_b64 s[12:13], s[0:1], s8 offset:0x370 scale_offset
	s_ashr_i32 s11, s10, 31
	s_wait_kmcnt 0x0
	s_and_b64 s[4:5], s[6:7], 15
	s_and_b32 s2, s12, 3
	s_lshl_b64 s[8:9], s[10:11], 18
	s_or_b64 s[2:3], s[4:5], s[2:3]
	s_lshl_b64 s[4:5], s[10:11], 16
	s_cmp_eq_u64 s[2:3], 0
	s_sub_nc_u64 s[10:11], s[12:13], s[4:5]
	s_cbranch_scc1 .LBB148_21
; %bb.1:
	v_cmp_lt_i64_e64 s2, s[10:11], 1
	s_and_b32 vcc_lo, exec_lo, s2
	s_cbranch_vccnz .LBB148_20
; %bb.2:
	s_load_b32 s4, s[0:1], 0xd3c
	v_min_i64 v[2:3], 0x10000, s[10:11]
	v_min_u64 v[4:5], 0x10000, s[10:11]
	v_dual_mov_b32 v1, 0 :: v_dual_lshlrev_b32 v8, 2, v0
	s_mov_b32 s19, 0
	s_add_nc_u64 s[2:3], s[6:7], s[8:9]
	s_mov_b32 s5, s19
	s_delay_alu instid0(VALU_DEP_1)
	v_mov_b32_e32 v15, v1
	s_mov_b32 s17, s19
	s_mov_b32 s13, s19
	;; [unrolled: 1-line block ×3, first 2 shown]
	s_mov_b64 s[20:21], 0
	s_wait_kmcnt 0x0
	s_and_b32 s18, s4, 0xffff
	s_delay_alu instid0(SALU_CYCLE_1)
	v_add_nc_u64_e32 v[6:7], s[18:19], v[0:1]
	v_mov_b32_e32 v9, v1
	s_lshl_b32 s4, s18, 1
	s_mul_i32 s16, s18, 3
	v_add_nc_u64_e32 v[12:13], s[4:5], v[0:1]
	v_add_nc_u64_e32 v[10:11], s[16:17], v[0:1]
	s_lshl_b32 s12, s18, 2
	v_lshlrev_b32_e32 v14, 2, v6
	v_add_nc_u64_e32 v[8:9], s[2:3], v[8:9]
	s_lshl_b32 s14, s18, 4
	s_mul_u64 s[16:17], s[18:19], 12
	s_lshl_b32 s18, s18, 3
	v_add_nc_u64_e32 v[14:15], s[2:3], v[14:15]
	s_mov_b32 s5, 0x395133b1
	s_branch .LBB148_4
.LBB148_3:                              ;   in Loop: Header=BB148_4 Depth=1
	s_wait_xcnt 0x0
	s_or_b32 exec_lo, exec_lo, s2
	s_add_nc_u64 s[20:21], s[20:21], s[12:13]
	v_add_nc_u64_e32 v[8:9], s[14:15], v[8:9]
	v_cmp_lt_i64_e32 vcc_lo, s[20:21], v[2:3]
	v_add_nc_u64_e32 v[14:15], s[14:15], v[14:15]
	s_cbranch_vccz .LBB148_20
.LBB148_4:                              ; =>This Inner Loop Header: Depth=1
	v_add_nc_u64_e32 v[16:17], s[20:21], v[0:1]
	s_wait_loadcnt 0x0
	v_mov_b32_e32 v23, 0
	s_delay_alu instid0(VALU_DEP_2)
	v_cmp_lt_u64_e64 s4, v[16:17], v[4:5]
	s_and_saveexec_b32 s2, s4
	s_cbranch_execz .LBB148_6
; %bb.5:                                ;   in Loop: Header=BB148_4 Depth=1
	global_load_b32 v23, v[8:9], off
.LBB148_6:                              ;   in Loop: Header=BB148_4 Depth=1
	s_wait_xcnt 0x0
	s_or_b32 exec_lo, exec_lo, s2
	v_add_nc_u64_e32 v[16:17], s[20:21], v[6:7]
	v_dual_mov_b32 v21, 0 :: v_dual_mov_b32 v22, 0
	s_delay_alu instid0(VALU_DEP_2)
	v_cmp_lt_u64_e64 s3, v[16:17], v[4:5]
	s_and_saveexec_b32 s2, s3
	s_cbranch_execz .LBB148_8
; %bb.7:                                ;   in Loop: Header=BB148_4 Depth=1
	global_load_b32 v22, v[14:15], off
.LBB148_8:                              ;   in Loop: Header=BB148_4 Depth=1
	s_wait_xcnt 0x0
	s_or_b32 exec_lo, exec_lo, s2
	v_add_nc_u64_e32 v[16:17], s[20:21], v[12:13]
	v_add_nc_u64_e32 v[18:19], s[18:19], v[8:9]
	s_delay_alu instid0(VALU_DEP_2)
	v_cmp_lt_u64_e64 s2, v[16:17], v[4:5]
	s_and_saveexec_b32 s22, s2
	s_cbranch_execz .LBB148_10
; %bb.9:                                ;   in Loop: Header=BB148_4 Depth=1
	global_load_b32 v21, v[18:19], off
.LBB148_10:                             ;   in Loop: Header=BB148_4 Depth=1
	s_wait_xcnt 0x0
	s_or_b32 exec_lo, exec_lo, s22
	v_add_nc_u64_e32 v[16:17], s[20:21], v[10:11]
	v_mov_b32_e32 v20, 0
	s_delay_alu instid0(VALU_DEP_2)
	v_cmp_lt_u64_e32 vcc_lo, v[16:17], v[4:5]
	v_add_nc_u64_e32 v[16:17], s[16:17], v[8:9]
	s_and_saveexec_b32 s22, vcc_lo
	s_cbranch_execnz .LBB148_15
; %bb.11:                               ;   in Loop: Header=BB148_4 Depth=1
	s_or_b32 exec_lo, exec_lo, s22
	s_and_saveexec_b32 s22, s4
	s_cbranch_execnz .LBB148_16
.LBB148_12:                             ;   in Loop: Header=BB148_4 Depth=1
	s_or_b32 exec_lo, exec_lo, s22
	s_and_saveexec_b32 s4, s3
	s_cbranch_execnz .LBB148_17
.LBB148_13:                             ;   in Loop: Header=BB148_4 Depth=1
	s_or_b32 exec_lo, exec_lo, s4
	s_and_saveexec_b32 s3, s2
	s_cbranch_execnz .LBB148_18
.LBB148_14:                             ;   in Loop: Header=BB148_4 Depth=1
	s_or_b32 exec_lo, exec_lo, s3
	s_and_saveexec_b32 s2, vcc_lo
	s_cbranch_execz .LBB148_3
	s_branch .LBB148_19
.LBB148_15:                             ;   in Loop: Header=BB148_4 Depth=1
	global_load_b32 v20, v[16:17], off
	s_wait_xcnt 0x0
	s_or_b32 exec_lo, exec_lo, s22
	s_and_saveexec_b32 s22, s4
	s_cbranch_execz .LBB148_12
.LBB148_16:                             ;   in Loop: Header=BB148_4 Depth=1
	s_wait_loadcnt 0x0
	v_mul_f32_e32 v24, 0x3fb8aa3b, v23
	s_delay_alu instid0(VALU_DEP_1) | instskip(NEXT) | instid1(VALU_DEP_1)
	v_rndne_f32_e32 v24, v24
	v_fmamk_f32 v25, v24, 0xbf317218, v23
	v_cvt_i32_f32_e32 v27, v24
	v_cmp_eq_f32_e64 s4, 0x43000000, v24
	s_delay_alu instid0(VALU_DEP_3) | instskip(NEXT) | instid1(VALU_DEP_3)
	v_fmac_f32_e32 v25, 0x3102e308, v24
	v_ldexp_f32 v27, 1.0, v27
	s_delay_alu instid0(VALU_DEP_2) | instskip(NEXT) | instid1(VALU_DEP_2)
	v_fmaak_f32 v26, s5, v25, 0x3ab69700
	v_cndmask_b32_e64 v24, v27, 0x7f000000, s4
	s_delay_alu instid0(VALU_DEP_2) | instskip(NEXT) | instid1(VALU_DEP_1)
	v_fmaak_f32 v26, v25, v26, 0x3c0887f9
	v_fmaak_f32 v26, v25, v26, 0x3d2aaa81
	s_delay_alu instid0(VALU_DEP_1) | instskip(NEXT) | instid1(VALU_DEP_1)
	v_fmaak_f32 v26, v25, v26, 0x3e2aaaab
	v_fma_f32 v26, v25, v26, 0.5
	s_delay_alu instid0(VALU_DEP_1) | instskip(NEXT) | instid1(VALU_DEP_1)
	v_mul_f32_e32 v26, v25, v26
	v_dual_fmac_f32 v25, v25, v26 :: v_dual_add_f32 v26, -1.0, v24
	s_delay_alu instid0(VALU_DEP_1) | instskip(NEXT) | instid1(VALU_DEP_1)
	v_fmac_f32_e32 v26, v24, v25
	v_add_f32_e32 v24, v26, v26
	s_delay_alu instid0(VALU_DEP_1) | instskip(SKIP_1) | instid1(VALU_DEP_1)
	v_cndmask_b32_e64 v24, v26, v24, s4
	v_cmp_nlt_f32_e64 s4, 0x42b17217, v23
	v_cndmask_b32_e64 v24, 0x7f800000, v24, s4
	v_cmp_ngt_f32_e64 s4, 0xc1880000, v23
	s_delay_alu instid0(VALU_DEP_1)
	v_cndmask_b32_e64 v23, -1.0, v24, s4
	global_store_b32 v[8:9], v23, off
	s_wait_xcnt 0x0
	s_or_b32 exec_lo, exec_lo, s22
	s_and_saveexec_b32 s4, s3
	s_cbranch_execz .LBB148_13
.LBB148_17:                             ;   in Loop: Header=BB148_4 Depth=1
	s_wait_loadcnt 0x0
	v_mul_f32_e32 v23, 0x3fb8aa3b, v22
	s_delay_alu instid0(VALU_DEP_1) | instskip(NEXT) | instid1(VALU_DEP_1)
	v_rndne_f32_e32 v23, v23
	v_fmamk_f32 v24, v23, 0xbf317218, v22
	v_cvt_i32_f32_e32 v26, v23
	v_cmp_eq_f32_e64 s3, 0x43000000, v23
	s_delay_alu instid0(VALU_DEP_3) | instskip(NEXT) | instid1(VALU_DEP_3)
	v_fmac_f32_e32 v24, 0x3102e308, v23
	v_ldexp_f32 v26, 1.0, v26
	s_delay_alu instid0(VALU_DEP_2) | instskip(NEXT) | instid1(VALU_DEP_2)
	v_fmaak_f32 v25, s5, v24, 0x3ab69700
	v_cndmask_b32_e64 v23, v26, 0x7f000000, s3
	s_delay_alu instid0(VALU_DEP_2) | instskip(NEXT) | instid1(VALU_DEP_1)
	v_fmaak_f32 v25, v24, v25, 0x3c0887f9
	v_fmaak_f32 v25, v24, v25, 0x3d2aaa81
	s_delay_alu instid0(VALU_DEP_1) | instskip(NEXT) | instid1(VALU_DEP_1)
	v_fmaak_f32 v25, v24, v25, 0x3e2aaaab
	v_fma_f32 v25, v24, v25, 0.5
	s_delay_alu instid0(VALU_DEP_1) | instskip(NEXT) | instid1(VALU_DEP_1)
	v_mul_f32_e32 v25, v24, v25
	v_dual_fmac_f32 v24, v24, v25 :: v_dual_add_f32 v25, -1.0, v23
	s_delay_alu instid0(VALU_DEP_1) | instskip(NEXT) | instid1(VALU_DEP_1)
	v_fmac_f32_e32 v25, v23, v24
	v_add_f32_e32 v23, v25, v25
	s_delay_alu instid0(VALU_DEP_1) | instskip(SKIP_1) | instid1(VALU_DEP_1)
	v_cndmask_b32_e64 v23, v25, v23, s3
	v_cmp_nlt_f32_e64 s3, 0x42b17217, v22
	v_cndmask_b32_e64 v23, 0x7f800000, v23, s3
	v_cmp_ngt_f32_e64 s3, 0xc1880000, v22
	s_delay_alu instid0(VALU_DEP_1)
	v_cndmask_b32_e64 v22, -1.0, v23, s3
	global_store_b32 v[14:15], v22, off
	s_wait_xcnt 0x0
	s_or_b32 exec_lo, exec_lo, s4
	s_and_saveexec_b32 s3, s2
	s_cbranch_execz .LBB148_14
.LBB148_18:                             ;   in Loop: Header=BB148_4 Depth=1
	s_wait_loadcnt 0x0
	v_mul_f32_e32 v22, 0x3fb8aa3b, v21
	s_delay_alu instid0(VALU_DEP_1) | instskip(NEXT) | instid1(VALU_DEP_1)
	v_rndne_f32_e32 v22, v22
	v_fmamk_f32 v23, v22, 0xbf317218, v21
	v_cvt_i32_f32_e32 v25, v22
	v_cmp_eq_f32_e64 s2, 0x43000000, v22
	s_delay_alu instid0(VALU_DEP_3) | instskip(NEXT) | instid1(VALU_DEP_3)
	v_fmac_f32_e32 v23, 0x3102e308, v22
	v_ldexp_f32 v25, 1.0, v25
	s_delay_alu instid0(VALU_DEP_2) | instskip(NEXT) | instid1(VALU_DEP_2)
	v_fmaak_f32 v24, s5, v23, 0x3ab69700
	v_cndmask_b32_e64 v22, v25, 0x7f000000, s2
	s_delay_alu instid0(VALU_DEP_2) | instskip(NEXT) | instid1(VALU_DEP_1)
	v_fmaak_f32 v24, v23, v24, 0x3c0887f9
	v_fmaak_f32 v24, v23, v24, 0x3d2aaa81
	s_delay_alu instid0(VALU_DEP_1) | instskip(NEXT) | instid1(VALU_DEP_1)
	v_fmaak_f32 v24, v23, v24, 0x3e2aaaab
	v_fma_f32 v24, v23, v24, 0.5
	s_delay_alu instid0(VALU_DEP_1) | instskip(NEXT) | instid1(VALU_DEP_1)
	v_mul_f32_e32 v24, v23, v24
	v_dual_fmac_f32 v23, v23, v24 :: v_dual_add_f32 v24, -1.0, v22
	s_delay_alu instid0(VALU_DEP_1) | instskip(NEXT) | instid1(VALU_DEP_1)
	v_fmac_f32_e32 v24, v22, v23
	v_add_f32_e32 v22, v24, v24
	s_delay_alu instid0(VALU_DEP_1) | instskip(SKIP_1) | instid1(VALU_DEP_1)
	v_cndmask_b32_e64 v22, v24, v22, s2
	v_cmp_nlt_f32_e64 s2, 0x42b17217, v21
	v_cndmask_b32_e64 v22, 0x7f800000, v22, s2
	v_cmp_ngt_f32_e64 s2, 0xc1880000, v21
	s_delay_alu instid0(VALU_DEP_1)
	v_cndmask_b32_e64 v21, -1.0, v22, s2
	global_store_b32 v[18:19], v21, off
	s_wait_xcnt 0x0
	s_or_b32 exec_lo, exec_lo, s3
	s_and_saveexec_b32 s2, vcc_lo
	s_cbranch_execz .LBB148_3
.LBB148_19:                             ;   in Loop: Header=BB148_4 Depth=1
	s_wait_loadcnt 0x0
	v_mul_f32_e32 v18, 0x3fb8aa3b, v20
	s_delay_alu instid0(VALU_DEP_1) | instskip(NEXT) | instid1(VALU_DEP_1)
	v_rndne_f32_e32 v18, v18
	v_fmamk_f32 v19, v18, 0xbf317218, v20
	v_cmp_eq_f32_e32 vcc_lo, 0x43000000, v18
	v_cvt_i32_f32_e32 v22, v18
	s_delay_alu instid0(VALU_DEP_3) | instskip(NEXT) | instid1(VALU_DEP_2)
	v_fmac_f32_e32 v19, 0x3102e308, v18
	v_ldexp_f32 v22, 1.0, v22
	s_delay_alu instid0(VALU_DEP_2) | instskip(NEXT) | instid1(VALU_DEP_2)
	v_fmaak_f32 v21, s5, v19, 0x3ab69700
	v_cndmask_b32_e64 v18, v22, 0x7f000000, vcc_lo
	s_delay_alu instid0(VALU_DEP_2) | instskip(NEXT) | instid1(VALU_DEP_1)
	v_fmaak_f32 v21, v19, v21, 0x3c0887f9
	v_fmaak_f32 v21, v19, v21, 0x3d2aaa81
	s_delay_alu instid0(VALU_DEP_1) | instskip(NEXT) | instid1(VALU_DEP_1)
	v_fmaak_f32 v21, v19, v21, 0x3e2aaaab
	v_fma_f32 v21, v19, v21, 0.5
	s_delay_alu instid0(VALU_DEP_1) | instskip(NEXT) | instid1(VALU_DEP_1)
	v_mul_f32_e32 v21, v19, v21
	v_dual_fmac_f32 v19, v19, v21 :: v_dual_add_f32 v21, -1.0, v18
	s_delay_alu instid0(VALU_DEP_1) | instskip(NEXT) | instid1(VALU_DEP_1)
	v_fmac_f32_e32 v21, v18, v19
	v_add_f32_e32 v18, v21, v21
	s_delay_alu instid0(VALU_DEP_1) | instskip(SKIP_1) | instid1(VALU_DEP_2)
	v_cndmask_b32_e32 v18, v21, v18, vcc_lo
	v_cmp_nlt_f32_e32 vcc_lo, 0x42b17217, v20
	v_cndmask_b32_e32 v18, 0x7f800000, v18, vcc_lo
	v_cmp_ngt_f32_e32 vcc_lo, 0xc1880000, v20
	s_delay_alu instid0(VALU_DEP_2)
	v_cndmask_b32_e32 v18, -1.0, v18, vcc_lo
	global_store_b32 v[16:17], v18, off
	s_branch .LBB148_3
.LBB148_20:
	s_cbranch_execz .LBB148_22
	s_branch .LBB148_25
.LBB148_21:
.LBB148_22:
	v_min_i64 v[2:3], 0x10000, s[10:11]
	v_dual_mov_b32 v5, 0 :: v_dual_lshlrev_b32 v4, 2, v0
	s_mov_b32 s2, exec_lo
	s_delay_alu instid0(VALU_DEP_1)
	v_cmpx_lt_i64_e64 v[4:5], v[2:3]
	s_cbranch_execz .LBB148_25
; %bb.23:
	s_load_b32 s2, s[0:1], 0xd3c
	v_dual_mov_b32 v1, v5 :: v_dual_lshlrev_b32 v4, 4, v0
	s_wait_xcnt 0x0
	s_add_nc_u64 s[0:1], s[6:7], s[8:9]
	s_mov_b32 s5, 0
	s_mov_b32 s6, 0x3f317218
	v_add_nc_u64_e32 v[4:5], s[0:1], v[4:5]
	s_mov_b32 s8, 0xb102e308
	s_mov_b32 s10, 0x3ab69700
	;; [unrolled: 1-line block ×6, first 2 shown]
	v_add_nc_u64_e32 v[4:5], 8, v[4:5]
	s_mov_b32 s21, s5
	s_mov_b32 s3, s5
	s_wait_kmcnt 0x0
	s_and_b32 s4, s2, 0xffff
	s_delay_alu instid0(SALU_CYCLE_1)
	s_lshl_b32 s20, s4, 4
.LBB148_24:                             ; =>This Inner Loop Header: Depth=1
	global_load_b128 v[6:9], v[4:5], off offset:-8
	v_add_nc_u64_e32 v[0:1], s[4:5], v[0:1]
	s_wait_loadcnt 0x0
	v_dual_mul_f32 v10, 0x3fb8aa3b, v6 :: v_dual_mul_f32 v11, 0x3fb8aa3b, v7
	v_dual_mul_f32 v12, 0x3fb8aa3b, v8 :: v_dual_mul_f32 v13, 0x3fb8aa3b, v9
	s_delay_alu instid0(VALU_DEP_2) | instskip(NEXT) | instid1(VALU_DEP_3)
	v_rndne_f32_e32 v10, v10
	v_rndne_f32_e32 v11, v11
	s_delay_alu instid0(VALU_DEP_3) | instskip(NEXT) | instid1(VALU_DEP_4)
	v_rndne_f32_e32 v12, v12
	v_rndne_f32_e32 v13, v13
	s_delay_alu instid0(VALU_DEP_4) | instskip(NEXT) | instid1(VALU_DEP_4)
	v_cvt_i32_f32_e32 v22, v10
	v_pk_fma_f32 v[14:15], v[10:11], s[6:7], v[6:7] op_sel_hi:[1,0,1] neg_lo:[1,0,0] neg_hi:[1,0,0]
	v_cvt_i32_f32_e32 v23, v11
	s_delay_alu instid0(VALU_DEP_4)
	v_pk_fma_f32 v[16:17], v[12:13], s[6:7], v[8:9] op_sel_hi:[1,0,1] neg_lo:[1,0,0] neg_hi:[1,0,0]
	v_cmp_eq_f32_e32 vcc_lo, 0x43000000, v11
	v_ldexp_f32 v22, 1.0, v22
	v_pk_fma_f32 v[14:15], v[10:11], s[8:9], v[14:15] op_sel_hi:[1,0,1] neg_lo:[1,0,0] neg_hi:[1,0,0]
	v_ldexp_f32 v23, 1.0, v23
	v_pk_fma_f32 v[16:17], v[12:13], s[8:9], v[16:17] op_sel_hi:[1,0,1] neg_lo:[1,0,0] neg_hi:[1,0,0]
	v_cmp_eq_f32_e64 s0, 0x43000000, v10
	v_cvt_i32_f32_e32 v24, v12
	v_pk_fma_f32 v[18:19], v[14:15], s[12:13], s[10:11] op_sel_hi:[1,0,0]
	v_cvt_i32_f32_e32 v25, v13
	v_pk_fma_f32 v[20:21], v[16:17], s[12:13], s[10:11] op_sel_hi:[1,0,0]
	v_cndmask_b32_e64 v11, v23, 0x7f000000, vcc_lo
	v_cndmask_b32_e64 v10, v22, 0x7f000000, s0
	v_pk_fma_f32 v[18:19], v[14:15], v[18:19], s[14:15] op_sel_hi:[1,1,0]
	v_ldexp_f32 v24, 1.0, v24
	v_pk_fma_f32 v[20:21], v[16:17], v[20:21], s[14:15] op_sel_hi:[1,1,0]
	v_ldexp_f32 v25, 1.0, v25
	v_cmp_eq_f32_e64 s1, 0x43000000, v13
	v_pk_fma_f32 v[18:19], v[14:15], v[18:19], s[16:17] op_sel_hi:[1,1,0]
	v_cmp_eq_f32_e64 s2, 0x43000000, v12
	v_pk_fma_f32 v[20:21], v[16:17], v[20:21], s[16:17] op_sel_hi:[1,1,0]
	v_pk_add_f32 v[22:23], v[10:11], -1.0 op_sel_hi:[1,0]
	v_cndmask_b32_e64 v13, v25, 0x7f000000, s1
	v_pk_fma_f32 v[18:19], v[14:15], v[18:19], s[18:19] op_sel_hi:[1,1,0]
	v_cndmask_b32_e64 v12, v24, 0x7f000000, s2
	v_pk_fma_f32 v[20:21], v[16:17], v[20:21], s[18:19] op_sel_hi:[1,1,0]
	s_delay_alu instid0(VALU_DEP_3) | instskip(NEXT) | instid1(VALU_DEP_2)
	v_pk_fma_f32 v[18:19], v[14:15], v[18:19], 0.5 op_sel_hi:[1,1,0]
	v_pk_fma_f32 v[20:21], v[16:17], v[20:21], 0.5 op_sel_hi:[1,1,0]
	s_delay_alu instid0(VALU_DEP_2) | instskip(NEXT) | instid1(VALU_DEP_2)
	v_pk_mul_f32 v[18:19], v[14:15], v[18:19]
	v_pk_mul_f32 v[20:21], v[16:17], v[20:21]
	s_delay_alu instid0(VALU_DEP_2) | instskip(SKIP_1) | instid1(VALU_DEP_3)
	v_pk_fma_f32 v[14:15], v[14:15], v[18:19], v[14:15]
	v_pk_add_f32 v[18:19], v[12:13], -1.0 op_sel_hi:[1,0]
	v_pk_fma_f32 v[16:17], v[16:17], v[20:21], v[16:17]
	s_delay_alu instid0(VALU_DEP_3) | instskip(NEXT) | instid1(VALU_DEP_2)
	v_pk_fma_f32 v[10:11], v[10:11], v[14:15], v[22:23]
	v_pk_fma_f32 v[12:13], v[12:13], v[16:17], v[18:19]
	v_lshlrev_b64_e32 v[18:19], 2, v[0:1]
	s_delay_alu instid0(VALU_DEP_3) | instskip(NEXT) | instid1(VALU_DEP_3)
	v_pk_add_f32 v[14:15], v[10:11], v[10:11]
	v_pk_add_f32 v[16:17], v[12:13], v[12:13]
	s_delay_alu instid0(VALU_DEP_2) | instskip(SKIP_1) | instid1(VALU_DEP_3)
	v_dual_cndmask_b32 v10, v10, v14, s0 :: v_dual_cndmask_b32 v11, v11, v15, vcc_lo
	v_cmp_nlt_f32_e32 vcc_lo, 0x42b17217, v6
	v_dual_cndmask_b32 v13, v13, v17, s1 :: v_dual_cndmask_b32 v12, v12, v16, s2
	s_delay_alu instid0(VALU_DEP_3)
	v_cndmask_b32_e32 v10, 0x7f800000, v10, vcc_lo
	v_cmp_nlt_f32_e32 vcc_lo, 0x42b17217, v7
	v_cndmask_b32_e32 v11, 0x7f800000, v11, vcc_lo
	v_cmp_nlt_f32_e32 vcc_lo, 0x42b17217, v8
	;; [unrolled: 2-line block ×3, first 2 shown]
	v_cndmask_b32_e32 v13, 0x7f800000, v13, vcc_lo
	v_cmp_ngt_f32_e32 vcc_lo, 0xc1880000, v7
	v_cndmask_b32_e32 v7, -1.0, v11, vcc_lo
	v_cmp_ngt_f32_e32 vcc_lo, 0xc1880000, v6
	v_cndmask_b32_e32 v6, -1.0, v10, vcc_lo
	;; [unrolled: 2-line block ×4, first 2 shown]
	v_cmp_ge_i64_e32 vcc_lo, v[18:19], v[2:3]
	global_store_b128 v[4:5], v[6:9], off offset:-8
	s_wait_xcnt 0x0
	v_add_nc_u64_e32 v[4:5], s[20:21], v[4:5]
	s_or_b32 s3, vcc_lo, s3
	s_delay_alu instid0(SALU_CYCLE_1)
	s_and_not1_b32 exec_lo, exec_lo, s3
	s_cbranch_execnz .LBB148_24
.LBB148_25:
	s_endpgm
	.section	.rodata,"a",@progbits
	.p2align	6, 0x0
	.amdhsa_kernel _ZN2at6native12_GLOBAL__N_125multi_tensor_apply_kernelINS1_18TensorListMetadataILi1EEENS1_14UnaryOpFunctorIfLi1ELi1ELi0EEEJNS0_5Expm1IfEEEEEvT_T0_DpT1_
		.amdhsa_group_segment_fixed_size 0
		.amdhsa_private_segment_fixed_size 0
		.amdhsa_kernarg_size 3632
		.amdhsa_user_sgpr_count 2
		.amdhsa_user_sgpr_dispatch_ptr 0
		.amdhsa_user_sgpr_queue_ptr 0
		.amdhsa_user_sgpr_kernarg_segment_ptr 1
		.amdhsa_user_sgpr_dispatch_id 0
		.amdhsa_user_sgpr_kernarg_preload_length 0
		.amdhsa_user_sgpr_kernarg_preload_offset 0
		.amdhsa_user_sgpr_private_segment_size 0
		.amdhsa_wavefront_size32 1
		.amdhsa_uses_dynamic_stack 0
		.amdhsa_enable_private_segment 0
		.amdhsa_system_sgpr_workgroup_id_x 1
		.amdhsa_system_sgpr_workgroup_id_y 0
		.amdhsa_system_sgpr_workgroup_id_z 0
		.amdhsa_system_sgpr_workgroup_info 0
		.amdhsa_system_vgpr_workitem_id 0
		.amdhsa_next_free_vgpr 28
		.amdhsa_next_free_sgpr 23
		.amdhsa_named_barrier_count 0
		.amdhsa_reserve_vcc 1
		.amdhsa_float_round_mode_32 0
		.amdhsa_float_round_mode_16_64 0
		.amdhsa_float_denorm_mode_32 3
		.amdhsa_float_denorm_mode_16_64 3
		.amdhsa_fp16_overflow 0
		.amdhsa_memory_ordered 1
		.amdhsa_forward_progress 1
		.amdhsa_inst_pref_size 19
		.amdhsa_round_robin_scheduling 0
		.amdhsa_exception_fp_ieee_invalid_op 0
		.amdhsa_exception_fp_denorm_src 0
		.amdhsa_exception_fp_ieee_div_zero 0
		.amdhsa_exception_fp_ieee_overflow 0
		.amdhsa_exception_fp_ieee_underflow 0
		.amdhsa_exception_fp_ieee_inexact 0
		.amdhsa_exception_int_div_zero 0
	.end_amdhsa_kernel
	.section	.text._ZN2at6native12_GLOBAL__N_125multi_tensor_apply_kernelINS1_18TensorListMetadataILi1EEENS1_14UnaryOpFunctorIfLi1ELi1ELi0EEEJNS0_5Expm1IfEEEEEvT_T0_DpT1_,"axG",@progbits,_ZN2at6native12_GLOBAL__N_125multi_tensor_apply_kernelINS1_18TensorListMetadataILi1EEENS1_14UnaryOpFunctorIfLi1ELi1ELi0EEEJNS0_5Expm1IfEEEEEvT_T0_DpT1_,comdat
.Lfunc_end148:
	.size	_ZN2at6native12_GLOBAL__N_125multi_tensor_apply_kernelINS1_18TensorListMetadataILi1EEENS1_14UnaryOpFunctorIfLi1ELi1ELi0EEEJNS0_5Expm1IfEEEEEvT_T0_DpT1_, .Lfunc_end148-_ZN2at6native12_GLOBAL__N_125multi_tensor_apply_kernelINS1_18TensorListMetadataILi1EEENS1_14UnaryOpFunctorIfLi1ELi1ELi0EEEJNS0_5Expm1IfEEEEEvT_T0_DpT1_
                                        ; -- End function
	.set _ZN2at6native12_GLOBAL__N_125multi_tensor_apply_kernelINS1_18TensorListMetadataILi1EEENS1_14UnaryOpFunctorIfLi1ELi1ELi0EEEJNS0_5Expm1IfEEEEEvT_T0_DpT1_.num_vgpr, 28
	.set _ZN2at6native12_GLOBAL__N_125multi_tensor_apply_kernelINS1_18TensorListMetadataILi1EEENS1_14UnaryOpFunctorIfLi1ELi1ELi0EEEJNS0_5Expm1IfEEEEEvT_T0_DpT1_.num_agpr, 0
	.set _ZN2at6native12_GLOBAL__N_125multi_tensor_apply_kernelINS1_18TensorListMetadataILi1EEENS1_14UnaryOpFunctorIfLi1ELi1ELi0EEEJNS0_5Expm1IfEEEEEvT_T0_DpT1_.numbered_sgpr, 23
	.set _ZN2at6native12_GLOBAL__N_125multi_tensor_apply_kernelINS1_18TensorListMetadataILi1EEENS1_14UnaryOpFunctorIfLi1ELi1ELi0EEEJNS0_5Expm1IfEEEEEvT_T0_DpT1_.num_named_barrier, 0
	.set _ZN2at6native12_GLOBAL__N_125multi_tensor_apply_kernelINS1_18TensorListMetadataILi1EEENS1_14UnaryOpFunctorIfLi1ELi1ELi0EEEJNS0_5Expm1IfEEEEEvT_T0_DpT1_.private_seg_size, 0
	.set _ZN2at6native12_GLOBAL__N_125multi_tensor_apply_kernelINS1_18TensorListMetadataILi1EEENS1_14UnaryOpFunctorIfLi1ELi1ELi0EEEJNS0_5Expm1IfEEEEEvT_T0_DpT1_.uses_vcc, 1
	.set _ZN2at6native12_GLOBAL__N_125multi_tensor_apply_kernelINS1_18TensorListMetadataILi1EEENS1_14UnaryOpFunctorIfLi1ELi1ELi0EEEJNS0_5Expm1IfEEEEEvT_T0_DpT1_.uses_flat_scratch, 0
	.set _ZN2at6native12_GLOBAL__N_125multi_tensor_apply_kernelINS1_18TensorListMetadataILi1EEENS1_14UnaryOpFunctorIfLi1ELi1ELi0EEEJNS0_5Expm1IfEEEEEvT_T0_DpT1_.has_dyn_sized_stack, 0
	.set _ZN2at6native12_GLOBAL__N_125multi_tensor_apply_kernelINS1_18TensorListMetadataILi1EEENS1_14UnaryOpFunctorIfLi1ELi1ELi0EEEJNS0_5Expm1IfEEEEEvT_T0_DpT1_.has_recursion, 0
	.set _ZN2at6native12_GLOBAL__N_125multi_tensor_apply_kernelINS1_18TensorListMetadataILi1EEENS1_14UnaryOpFunctorIfLi1ELi1ELi0EEEJNS0_5Expm1IfEEEEEvT_T0_DpT1_.has_indirect_call, 0
	.section	.AMDGPU.csdata,"",@progbits
; Kernel info:
; codeLenInByte = 2332
; TotalNumSgprs: 25
; NumVgprs: 28
; ScratchSize: 0
; MemoryBound: 0
; FloatMode: 240
; IeeeMode: 1
; LDSByteSize: 0 bytes/workgroup (compile time only)
; SGPRBlocks: 0
; VGPRBlocks: 1
; NumSGPRsForWavesPerEU: 25
; NumVGPRsForWavesPerEU: 28
; NamedBarCnt: 0
; Occupancy: 16
; WaveLimiterHint : 0
; COMPUTE_PGM_RSRC2:SCRATCH_EN: 0
; COMPUTE_PGM_RSRC2:USER_SGPR: 2
; COMPUTE_PGM_RSRC2:TRAP_HANDLER: 0
; COMPUTE_PGM_RSRC2:TGID_X_EN: 1
; COMPUTE_PGM_RSRC2:TGID_Y_EN: 0
; COMPUTE_PGM_RSRC2:TGID_Z_EN: 0
; COMPUTE_PGM_RSRC2:TIDIG_COMP_CNT: 0
	.section	.text._ZN2at6native12_GLOBAL__N_125multi_tensor_apply_kernelINS1_18TensorListMetadataILi1EEENS1_14UnaryOpFunctorIN3c107complexIdEELi1ELi1ELi0EEEJNS0_5Expm1IS8_EEEEEvT_T0_DpT1_,"axG",@progbits,_ZN2at6native12_GLOBAL__N_125multi_tensor_apply_kernelINS1_18TensorListMetadataILi1EEENS1_14UnaryOpFunctorIN3c107complexIdEELi1ELi1ELi0EEEJNS0_5Expm1IS8_EEEEEvT_T0_DpT1_,comdat
	.globl	_ZN2at6native12_GLOBAL__N_125multi_tensor_apply_kernelINS1_18TensorListMetadataILi1EEENS1_14UnaryOpFunctorIN3c107complexIdEELi1ELi1ELi0EEEJNS0_5Expm1IS8_EEEEEvT_T0_DpT1_ ; -- Begin function _ZN2at6native12_GLOBAL__N_125multi_tensor_apply_kernelINS1_18TensorListMetadataILi1EEENS1_14UnaryOpFunctorIN3c107complexIdEELi1ELi1ELi0EEEJNS0_5Expm1IS8_EEEEEvT_T0_DpT1_
	.p2align	8
	.type	_ZN2at6native12_GLOBAL__N_125multi_tensor_apply_kernelINS1_18TensorListMetadataILi1EEENS1_14UnaryOpFunctorIN3c107complexIdEELi1ELi1ELi0EEEJNS0_5Expm1IS8_EEEEEvT_T0_DpT1_,@function
_ZN2at6native12_GLOBAL__N_125multi_tensor_apply_kernelINS1_18TensorListMetadataILi1EEENS1_14UnaryOpFunctorIN3c107complexIdEELi1ELi1ELi0EEEJNS0_5Expm1IS8_EEEEEvT_T0_DpT1_: ; @_ZN2at6native12_GLOBAL__N_125multi_tensor_apply_kernelINS1_18TensorListMetadataILi1EEENS1_14UnaryOpFunctorIN3c107complexIdEELi1ELi1ELi0EEEJNS0_5Expm1IS8_EEEEEvT_T0_DpT1_
; %bb.0:
	s_bfe_u32 s2, ttmp6, 0x4000c
	s_and_b32 s3, ttmp6, 15
	s_add_co_i32 s2, s2, 1
	s_getreg_b32 s4, hwreg(HW_REG_IB_STS2, 6, 4)
	s_mul_i32 s2, ttmp9, s2
	s_delay_alu instid0(SALU_CYCLE_1)
	s_add_co_i32 s3, s3, s2
	s_cmp_eq_u32 s4, 0
	s_cselect_b32 s2, ttmp9, s3
	s_mov_b32 s3, 0
	s_load_u8 s10, s[0:1], s2 offset:0x6e0
	s_add_nc_u64 s[4:5], s[0:1], s[2:3]
	s_mul_u64 s[6:7], s[2:3], 3
	s_delay_alu instid0(SALU_CYCLE_1)
	s_add_nc_u64 s[4:5], s[4:5], s[6:7]
	s_load_b32 s6, s[4:5], 0x820
	s_wait_kmcnt 0x0
	s_clause 0x1
	s_load_b64 s[14:15], s[0:1], s10 offset:0x0 scale_offset
	s_load_b64 s[8:9], s[0:1], s10 offset:0x370 scale_offset
	s_ashr_i32 s7, s6, 31
	s_delay_alu instid0(SALU_CYCLE_1) | instskip(SKIP_3) | instid1(SALU_CYCLE_1)
	s_lshl_b64 s[16:17], s[6:7], 20
	s_wait_kmcnt 0x0
	s_and_b32 s2, s8, 3
	s_add_nc_u64 s[20:21], s[14:15], s[16:17]
	s_and_b64 s[4:5], s[20:21], 63
	s_delay_alu instid0(SALU_CYCLE_1)
	s_or_b64 s[2:3], s[4:5], s[2:3]
	s_lshl_b64 s[4:5], s[6:7], 16
	s_cmp_eq_u64 s[2:3], 0
	s_sub_nc_u64 s[18:19], s[8:9], s[4:5]
	s_cbranch_scc1 .LBB149_69
; %bb.1:
	v_cmp_lt_i64_e64 s2, s[18:19], 1
	s_and_b32 vcc_lo, exec_lo, s2
	s_cbranch_vccnz .LBB149_68
; %bb.2:
	s_load_b32 s2, s[0:1], 0xd3c
	v_min_i64 v[18:19], 0x10000, s[18:19]
	v_min_u64 v[22:23], 0x10000, s[18:19]
	v_dual_mov_b32 v20, 0 :: v_dual_lshlrev_b32 v24, 4, v0
	s_mov_b32 s3, 0
	v_mov_b64_e32 v[26:27], 0x3e928af3fca7ab0c
	s_mov_b32 s5, s3
	s_delay_alu instid0(VALU_DEP_2)
	v_dual_mov_b32 v25, v20 :: v_dual_mov_b32 v1, v20
	s_mov_b32 s7, s3
	v_mov_b64_e32 v[28:29], 0x3e5af4eb2a1b768b
	v_mov_b64_e32 v[30:31], 0x3e21eeb69037ab78
	;; [unrolled: 1-line block ×3, first 2 shown]
	s_mov_b64 s[22:23], 0x3ff921fb54442d18
	s_mov_b64 s[24:25], 0x3fe45f306dc9c883
	;; [unrolled: 1-line block ×4, first 2 shown]
	s_mov_b32 s31, s3
	s_mov_b32 s35, s3
	s_wait_kmcnt 0x0
	s_and_b32 s2, s2, 0xffff
	s_mov_b64 s[36:37], 0
	v_mad_nc_u64_u32 v[32:33], s2, 48, v[24:25]
	s_lshl_b32 s4, s2, 1
	s_mul_i32 s6, s2, 3
	s_lshl_b32 s30, s2, 2
	v_add_nc_u64_e32 v[34:35], s[2:3], v[0:1]
	s_lshl_b32 s34, s2, 6
	s_lshl_b32 s2, s2, 5
	v_add_nc_u64_e32 v[38:39], s[6:7], v[0:1]
	v_add_nc_u64_e32 v[36:37], s[2:3], v[24:25]
	;; [unrolled: 1-line block ×3, first 2 shown]
	s_delay_alu instid0(VALU_DEP_4) | instskip(SKIP_1) | instid1(VALU_DEP_4)
	v_dual_mov_b32 v43, v20 :: v_dual_lshlrev_b32 v42, 4, v34
	v_or_b32_e32 v32, 8, v32
                                        ; implicit-def: $vgpr2_vgpr3
                                        ; implicit-def: $vgpr2_vgpr3
	;; [unrolled: 1-line block ×23, first 2 shown]
	v_or_b32_e32 v36, 8, v36
	s_branch .LBB149_4
.LBB149_3:                              ;   in Loop: Header=BB149_4 Depth=1
	s_wait_xcnt 0x0
	s_or_b32 exec_lo, exec_lo, s9
	s_add_nc_u64 s[36:37], s[36:37], s[30:31]
	s_add_nc_u64 s[20:21], s[20:21], s[34:35]
	v_cmp_ge_i64_e32 vcc_lo, s[36:37], v[18:19]
	s_cbranch_vccnz .LBB149_68
.LBB149_4:                              ; =>This Inner Loop Header: Depth=1
	v_add_nc_u64_e32 v[2:3], s[36:37], v[0:1]
	v_mov_b64_e32 v[12:13], 0
	v_add_nc_u64_e32 v[52:53], s[20:21], v[24:25]
	v_mov_b64_e32 v[16:17], 0
	v_mov_b64_e32 v[14:15], 0
	v_cmp_lt_u64_e64 s4, v[2:3], v[22:23]
	s_and_saveexec_b32 s2, s4
	s_cbranch_execz .LBB149_6
; %bb.5:                                ;   in Loop: Header=BB149_4 Depth=1
	global_load_b128 v[14:17], v[52:53], off
.LBB149_6:                              ;   in Loop: Header=BB149_4 Depth=1
	s_wait_xcnt 0x0
	s_or_b32 exec_lo, exec_lo, s2
	v_add_nc_u64_e32 v[2:3], s[36:37], v[34:35]
	v_add_nc_u64_e32 v[50:51], s[20:21], v[42:43]
	v_mov_b64_e32 v[10:11], 0
	s_delay_alu instid0(VALU_DEP_3)
	v_cmp_lt_u64_e64 s3, v[2:3], v[22:23]
	s_and_saveexec_b32 s2, s3
	s_cbranch_execz .LBB149_8
; %bb.7:                                ;   in Loop: Header=BB149_4 Depth=1
	global_load_b128 v[10:13], v[50:51], off
.LBB149_8:                              ;   in Loop: Header=BB149_4 Depth=1
	s_wait_xcnt 0x0
	s_or_b32 exec_lo, exec_lo, s2
	v_add_nc_u64_e32 v[2:3], s[36:37], v[40:41]
	v_mov_b64_e32 v[4:5], 0
	v_add_nc_u64_e32 v[48:49], s[20:21], v[36:37]
	v_mov_b64_e32 v[8:9], 0
	v_mov_b64_e32 v[6:7], 0
	v_cmp_lt_u64_e64 s2, v[2:3], v[22:23]
	s_and_saveexec_b32 s5, s2
	s_cbranch_execz .LBB149_10
; %bb.9:                                ;   in Loop: Header=BB149_4 Depth=1
	global_load_b128 v[6:9], v[48:49], off offset:-8
.LBB149_10:                             ;   in Loop: Header=BB149_4 Depth=1
	s_wait_xcnt 0x0
	s_or_b32 exec_lo, exec_lo, s5
	v_add_nc_u64_e32 v[2:3], s[36:37], v[38:39]
	v_add_nc_u64_e32 v[46:47], s[20:21], v[32:33]
	s_delay_alu instid0(VALU_DEP_2)
	v_cmp_lt_u64_e32 vcc_lo, v[2:3], v[22:23]
	v_mov_b64_e32 v[2:3], 0
	s_and_saveexec_b32 s5, vcc_lo
	s_cbranch_execz .LBB149_12
; %bb.11:                               ;   in Loop: Header=BB149_4 Depth=1
	global_load_b128 v[2:5], v[46:47], off offset:-8
.LBB149_12:                             ;   in Loop: Header=BB149_4 Depth=1
	s_wait_xcnt 0x0
	s_or_b32 exec_lo, exec_lo, s5
	s_wait_loadcnt 0x0
	v_mul_f64_e32 v[54:55], 0.5, v[16:17]
	s_mov_b32 s6, exec_lo
                                        ; implicit-def: $vgpr120
                                        ; implicit-def: $vgpr58_vgpr59
                                        ; implicit-def: $vgpr60_vgpr61
	s_delay_alu instid0(VALU_DEP_1)
	v_cmpx_ngt_f64_e64 0x41d00000, |v[54:55]|
	s_xor_b32 s6, exec_lo, s6
	s_cbranch_execz .LBB149_14
; %bb.13:                               ;   in Loop: Header=BB149_4 Depth=1
	v_ldexp_f64 v[56:57], |v[54:55]|, 0xffffff80
	v_cmp_le_f64_e64 s5, 0x7b000000, |v[54:55]|
	v_trig_preop_f64 v[58:59], |v[54:55]|, 0
	v_and_b32_e32 v21, 0x7fffffff, v55
	v_trig_preop_f64 v[60:61], |v[54:55]|, 1
	v_trig_preop_f64 v[70:71], |v[54:55]|, 2
	s_delay_alu instid0(VALU_DEP_3) | instskip(NEXT) | instid1(VALU_DEP_1)
	v_dual_cndmask_b32 v57, v21, v57, s5 :: v_dual_cndmask_b32 v56, v54, v56, s5
	v_mul_f64_e32 v[62:63], v[58:59], v[56:57]
	s_delay_alu instid0(VALU_DEP_4) | instskip(NEXT) | instid1(VALU_DEP_4)
	v_mul_f64_e32 v[64:65], v[60:61], v[56:57]
	v_mul_f64_e32 v[76:77], v[70:71], v[56:57]
	s_delay_alu instid0(VALU_DEP_3) | instskip(NEXT) | instid1(VALU_DEP_3)
	v_fma_f64 v[58:59], v[58:59], v[56:57], -v[62:63]
	v_fma_f64 v[60:61], v[60:61], v[56:57], -v[64:65]
	s_delay_alu instid0(VALU_DEP_3) | instskip(NEXT) | instid1(VALU_DEP_3)
	v_fma_f64 v[56:57], v[70:71], v[56:57], -v[76:77]
	v_add_f64_e32 v[66:67], v[64:65], v[58:59]
	s_delay_alu instid0(VALU_DEP_1) | instskip(SKIP_1) | instid1(VALU_DEP_2)
	v_add_f64_e64 v[68:69], v[66:67], -v[64:65]
	v_add_f64_e32 v[74:75], v[62:63], v[66:67]
	v_add_f64_e64 v[72:73], v[66:67], -v[68:69]
	v_add_f64_e64 v[58:59], v[58:59], -v[68:69]
	s_delay_alu instid0(VALU_DEP_3) | instskip(NEXT) | instid1(VALU_DEP_3)
	v_ldexp_f64 v[68:69], v[74:75], -2
	v_add_f64_e64 v[64:65], v[64:65], -v[72:73]
	v_add_f64_e32 v[72:73], v[76:77], v[60:61]
	s_delay_alu instid0(VALU_DEP_3) | instskip(NEXT) | instid1(VALU_DEP_3)
	v_cmp_neq_f64_e64 s5, 0x7ff00000, |v[68:69]|
	v_add_f64_e32 v[58:59], v[58:59], v[64:65]
	v_fract_f64_e32 v[64:65], v[68:69]
	s_delay_alu instid0(VALU_DEP_1) | instskip(NEXT) | instid1(VALU_DEP_1)
	v_ldexp_f64 v[64:65], v[64:65], 2
	v_dual_add_f64 v[62:63], v[74:75], -v[62:63] :: v_dual_cndmask_b32 v64, 0, v64, s5
	s_delay_alu instid0(VALU_DEP_1) | instskip(SKIP_1) | instid1(VALU_DEP_1)
	v_dual_add_f64 v[62:63], v[66:67], -v[62:63] :: v_dual_cndmask_b32 v65, 0, v65, s5
	v_add_f64_e32 v[66:67], v[72:73], v[58:59]
	v_add_f64_e32 v[68:69], v[62:63], v[66:67]
	v_add_f64_e64 v[78:79], v[66:67], -v[72:73]
	s_delay_alu instid0(VALU_DEP_2) | instskip(NEXT) | instid1(VALU_DEP_2)
	v_add_f64_e32 v[74:75], v[68:69], v[64:65]
	v_add_f64_e64 v[84:85], v[66:67], -v[78:79]
	v_add_f64_e64 v[58:59], v[58:59], -v[78:79]
	;; [unrolled: 1-line block ×3, first 2 shown]
	s_delay_alu instid0(VALU_DEP_4) | instskip(SKIP_1) | instid1(VALU_DEP_3)
	v_cmp_gt_f64_e64 s5, 0, v[74:75]
	v_add_f64_e64 v[74:75], v[72:73], -v[76:77]
	v_add_f64_e64 v[62:63], v[66:67], -v[62:63]
	s_delay_alu instid0(VALU_DEP_3) | instskip(NEXT) | instid1(VALU_DEP_3)
	v_cndmask_b32_e64 v21, 0, 0x40100000, s5
	v_add_f64_e64 v[82:83], v[72:73], -v[74:75]
	v_add_f64_e64 v[60:61], v[60:61], -v[74:75]
	;; [unrolled: 1-line block ×3, first 2 shown]
	s_delay_alu instid0(VALU_DEP_4) | instskip(NEXT) | instid1(VALU_DEP_4)
	v_add_f64_e32 v[64:65], v[64:65], v[20:21]
	v_add_f64_e64 v[74:75], v[76:77], -v[82:83]
	s_delay_alu instid0(VALU_DEP_3) | instskip(NEXT) | instid1(VALU_DEP_3)
	v_add_f64_e32 v[58:59], v[58:59], v[72:73]
	v_add_f64_e32 v[80:81], v[68:69], v[64:65]
	s_delay_alu instid0(VALU_DEP_3) | instskip(NEXT) | instid1(VALU_DEP_2)
	v_add_f64_e32 v[60:61], v[60:61], v[74:75]
	v_cvt_i32_f64_e32 v21, v[80:81]
	s_delay_alu instid0(VALU_DEP_2) | instskip(NEXT) | instid1(VALU_DEP_2)
	v_add_f64_e32 v[58:59], v[60:61], v[58:59]
	v_cvt_f64_i32_e32 v[78:79], v21
	s_delay_alu instid0(VALU_DEP_2) | instskip(NEXT) | instid1(VALU_DEP_2)
	v_add_f64_e32 v[56:57], v[56:57], v[58:59]
	v_add_f64_e64 v[64:65], v[64:65], -v[78:79]
	s_delay_alu instid0(VALU_DEP_2) | instskip(NEXT) | instid1(VALU_DEP_2)
	v_add_f64_e32 v[56:57], v[62:63], v[56:57]
	v_add_f64_e32 v[60:61], v[68:69], v[64:65]
	s_delay_alu instid0(VALU_DEP_1) | instskip(SKIP_1) | instid1(VALU_DEP_2)
	v_add_f64_e64 v[58:59], v[60:61], -v[64:65]
	v_cmp_le_f64_e64 s5, 0.5, v[60:61]
	v_add_f64_e64 v[58:59], v[68:69], -v[58:59]
	s_delay_alu instid0(VALU_DEP_2) | instskip(SKIP_1) | instid1(VALU_DEP_3)
	v_add_co_ci_u32_e64 v120, null, 0, v21, s5
	v_cndmask_b32_e64 v21, 0, 0x3ff00000, s5
	v_add_f64_e32 v[56:57], v[56:57], v[58:59]
	s_delay_alu instid0(VALU_DEP_2) | instskip(NEXT) | instid1(VALU_DEP_1)
	v_add_f64_e64 v[58:59], v[60:61], -v[20:21]
	v_add_f64_e32 v[60:61], v[58:59], v[56:57]
	s_delay_alu instid0(VALU_DEP_1) | instskip(SKIP_1) | instid1(VALU_DEP_2)
	v_mul_f64_e32 v[62:63], 0x3ff921fb54442d18, v[60:61]
	v_add_f64_e64 v[58:59], v[60:61], -v[58:59]
	v_fma_f64 v[64:65], v[60:61], s[22:23], -v[62:63]
	s_delay_alu instid0(VALU_DEP_2) | instskip(NEXT) | instid1(VALU_DEP_2)
	v_add_f64_e64 v[56:57], v[56:57], -v[58:59]
	v_fmac_f64_e32 v[64:65], 0x3c91a62633145c07, v[60:61]
	s_delay_alu instid0(VALU_DEP_1) | instskip(NEXT) | instid1(VALU_DEP_1)
	v_fmac_f64_e32 v[64:65], 0x3ff921fb54442d18, v[56:57]
	v_add_f64_e32 v[58:59], v[62:63], v[64:65]
	s_delay_alu instid0(VALU_DEP_1) | instskip(NEXT) | instid1(VALU_DEP_1)
	v_add_f64_e64 v[56:57], v[58:59], -v[62:63]
	v_add_f64_e64 v[60:61], v[64:65], -v[56:57]
.LBB149_14:                             ;   in Loop: Header=BB149_4 Depth=1
	s_and_not1_saveexec_b32 s5, s6
	s_cbranch_execz .LBB149_16
; %bb.15:                               ;   in Loop: Header=BB149_4 Depth=1
	v_mul_f64_e64 v[56:57], |v[54:55]|, s[24:25]
	s_delay_alu instid0(VALU_DEP_1) | instskip(NEXT) | instid1(VALU_DEP_1)
	v_rndne_f64_e32 v[56:57], v[56:57]
	v_fma_f64 v[58:59], v[56:57], s[26:27], |v[54:55]|
	v_mul_f64_e32 v[60:61], 0xbc91a62633145c00, v[56:57]
	v_cvt_i32_f64_e32 v120, v[56:57]
	s_delay_alu instid0(VALU_DEP_3) | instskip(NEXT) | instid1(VALU_DEP_3)
	v_fmamk_f64 v[66:67], v[56:57], 0xbc91a62633145c00, v[58:59]
	v_add_f64_e32 v[62:63], v[58:59], v[60:61]
	s_delay_alu instid0(VALU_DEP_1) | instskip(NEXT) | instid1(VALU_DEP_3)
	v_add_f64_e64 v[64:65], v[58:59], -v[62:63]
	v_add_f64_e64 v[58:59], v[62:63], -v[66:67]
	s_delay_alu instid0(VALU_DEP_2) | instskip(SKIP_1) | instid1(VALU_DEP_2)
	v_add_f64_e32 v[62:63], v[64:65], v[60:61]
	v_fmamk_f64 v[60:61], v[56:57], 0x3c91a62633145c00, v[60:61]
	v_add_f64_e32 v[58:59], v[58:59], v[62:63]
	s_delay_alu instid0(VALU_DEP_1) | instskip(NEXT) | instid1(VALU_DEP_1)
	v_add_f64_e64 v[60:61], v[58:59], -v[60:61]
	v_fmac_f64_e32 v[60:61], 0xb97b839a252049c0, v[56:57]
	s_delay_alu instid0(VALU_DEP_1) | instskip(NEXT) | instid1(VALU_DEP_1)
	v_add_f64_e32 v[58:59], v[66:67], v[60:61]
	v_add_f64_e64 v[62:63], v[58:59], -v[66:67]
	s_delay_alu instid0(VALU_DEP_1)
	v_add_f64_e64 v[60:61], v[60:61], -v[62:63]
.LBB149_16:                             ;   in Loop: Header=BB149_4 Depth=1
	s_or_b32 exec_lo, exec_lo, s5
	v_cmp_ngt_f64_e64 s6, 0x41d00000, |v[16:17]|
	v_trig_preop_f64 v[66:67], |v[16:17]|, 0
	v_trig_preop_f64 v[64:65], |v[16:17]|, 1
	v_ldexp_f64 v[70:71], |v[16:17]|, 0xffffff80
	v_trig_preop_f64 v[56:57], |v[16:17]|, 2
	v_and_b32_e32 v76, 0x7fffffff, v17
                                        ; implicit-def: $vgpr121
                                        ; implicit-def: $vgpr62_vgpr63
                                        ; implicit-def: $vgpr68_vgpr69
	s_and_saveexec_b32 s5, s6
	s_delay_alu instid0(SALU_CYCLE_1)
	s_xor_b32 s7, exec_lo, s5
	s_cbranch_execz .LBB149_18
; %bb.17:                               ;   in Loop: Header=BB149_4 Depth=1
	v_cmp_le_f64_e64 s5, 0x7b000000, |v[16:17]|
	s_delay_alu instid0(VALU_DEP_1) | instskip(SKIP_1) | instid1(VALU_DEP_1)
	v_cndmask_b32_e64 v63, v76, v71, s5
	v_cndmask_b32_e64 v62, v16, v70, s5
	v_mul_f64_e32 v[68:69], v[66:67], v[62:63]
	v_mul_f64_e32 v[72:73], v[64:65], v[62:63]
	s_delay_alu instid0(VALU_DEP_2) | instskip(NEXT) | instid1(VALU_DEP_1)
	v_fma_f64 v[74:75], v[66:67], v[62:63], -v[68:69]
	v_add_f64_e32 v[78:79], v[72:73], v[74:75]
	s_delay_alu instid0(VALU_DEP_1) | instskip(SKIP_1) | instid1(VALU_DEP_2)
	v_add_f64_e64 v[80:81], v[78:79], -v[72:73]
	v_add_f64_e32 v[84:85], v[68:69], v[78:79]
	v_add_f64_e64 v[82:83], v[78:79], -v[80:81]
	v_fma_f64 v[88:89], v[64:65], v[62:63], -v[72:73]
	v_add_f64_e64 v[74:75], v[74:75], -v[80:81]
	s_delay_alu instid0(VALU_DEP_4) | instskip(SKIP_2) | instid1(VALU_DEP_3)
	v_ldexp_f64 v[80:81], v[84:85], -2
	v_mul_f64_e32 v[86:87], v[56:57], v[62:63]
	v_add_f64_e64 v[72:73], v[72:73], -v[82:83]
	v_cmp_neq_f64_e64 s5, 0x7ff00000, |v[80:81]|
	s_delay_alu instid0(VALU_DEP_3) | instskip(NEXT) | instid1(VALU_DEP_3)
	v_fma_f64 v[62:63], v[56:57], v[62:63], -v[86:87]
	v_add_f64_e32 v[72:73], v[74:75], v[72:73]
	v_fract_f64_e32 v[74:75], v[80:81]
	s_delay_alu instid0(VALU_DEP_1) | instskip(SKIP_1) | instid1(VALU_DEP_2)
	v_ldexp_f64 v[74:75], v[74:75], 2
	v_add_f64_e32 v[82:83], v[86:87], v[88:89]
	v_dual_add_f64 v[68:69], v[84:85], -v[68:69] :: v_dual_cndmask_b32 v74, 0, v74, s5
	s_delay_alu instid0(VALU_DEP_1) | instskip(NEXT) | instid1(VALU_DEP_3)
	v_dual_add_f64 v[68:69], v[78:79], -v[68:69] :: v_dual_cndmask_b32 v75, 0, v75, s5
	v_add_f64_e32 v[78:79], v[82:83], v[72:73]
	s_delay_alu instid0(VALU_DEP_1) | instskip(SKIP_1) | instid1(VALU_DEP_2)
	v_add_f64_e32 v[80:81], v[68:69], v[78:79]
	v_add_f64_e64 v[90:91], v[78:79], -v[82:83]
	v_add_f64_e32 v[84:85], v[80:81], v[74:75]
	s_delay_alu instid0(VALU_DEP_2) | instskip(SKIP_2) | instid1(VALU_DEP_4)
	v_add_f64_e64 v[96:97], v[78:79], -v[90:91]
	v_add_f64_e64 v[72:73], v[72:73], -v[90:91]
	;; [unrolled: 1-line block ×3, first 2 shown]
	v_cmp_gt_f64_e64 s5, 0, v[84:85]
	v_add_f64_e64 v[84:85], v[82:83], -v[86:87]
	s_delay_alu instid0(VALU_DEP_3) | instskip(NEXT) | instid1(VALU_DEP_3)
	v_add_f64_e64 v[68:69], v[78:79], -v[68:69]
	v_cndmask_b32_e64 v21, 0, 0x40100000, s5
	s_delay_alu instid0(VALU_DEP_3) | instskip(SKIP_2) | instid1(VALU_DEP_4)
	v_add_f64_e64 v[94:95], v[82:83], -v[84:85]
	v_add_f64_e64 v[84:85], v[88:89], -v[84:85]
	;; [unrolled: 1-line block ×3, first 2 shown]
	v_add_f64_e32 v[74:75], v[74:75], v[20:21]
	s_delay_alu instid0(VALU_DEP_4) | instskip(NEXT) | instid1(VALU_DEP_3)
	v_add_f64_e64 v[88:89], v[86:87], -v[94:95]
	v_add_f64_e32 v[72:73], v[72:73], v[82:83]
	s_delay_alu instid0(VALU_DEP_3) | instskip(NEXT) | instid1(VALU_DEP_3)
	v_add_f64_e32 v[92:93], v[80:81], v[74:75]
	v_add_f64_e32 v[84:85], v[84:85], v[88:89]
	s_delay_alu instid0(VALU_DEP_2) | instskip(NEXT) | instid1(VALU_DEP_2)
	v_cvt_i32_f64_e32 v21, v[92:93]
	v_add_f64_e32 v[72:73], v[84:85], v[72:73]
	s_delay_alu instid0(VALU_DEP_2) | instskip(NEXT) | instid1(VALU_DEP_2)
	v_cvt_f64_i32_e32 v[90:91], v21
	v_add_f64_e32 v[62:63], v[62:63], v[72:73]
	s_delay_alu instid0(VALU_DEP_2) | instskip(NEXT) | instid1(VALU_DEP_2)
	v_add_f64_e64 v[74:75], v[74:75], -v[90:91]
	v_add_f64_e32 v[62:63], v[68:69], v[62:63]
	s_delay_alu instid0(VALU_DEP_2) | instskip(NEXT) | instid1(VALU_DEP_1)
	v_add_f64_e32 v[82:83], v[80:81], v[74:75]
	v_add_f64_e64 v[72:73], v[82:83], -v[74:75]
	v_cmp_le_f64_e64 s5, 0.5, v[82:83]
	s_delay_alu instid0(VALU_DEP_2) | instskip(NEXT) | instid1(VALU_DEP_2)
	v_add_f64_e64 v[68:69], v[80:81], -v[72:73]
	v_add_co_ci_u32_e64 v121, null, 0, v21, s5
	v_cndmask_b32_e64 v21, 0, 0x3ff00000, s5
	s_delay_alu instid0(VALU_DEP_3) | instskip(NEXT) | instid1(VALU_DEP_2)
	v_add_f64_e32 v[62:63], v[62:63], v[68:69]
	v_add_f64_e64 v[68:69], v[82:83], -v[20:21]
	s_delay_alu instid0(VALU_DEP_1) | instskip(NEXT) | instid1(VALU_DEP_1)
	v_add_f64_e32 v[72:73], v[68:69], v[62:63]
	v_mul_f64_e32 v[74:75], 0x3ff921fb54442d18, v[72:73]
	v_add_f64_e64 v[68:69], v[72:73], -v[68:69]
	s_delay_alu instid0(VALU_DEP_2) | instskip(NEXT) | instid1(VALU_DEP_2)
	v_fma_f64 v[78:79], v[72:73], s[22:23], -v[74:75]
	v_add_f64_e64 v[62:63], v[62:63], -v[68:69]
	s_delay_alu instid0(VALU_DEP_2) | instskip(NEXT) | instid1(VALU_DEP_1)
	v_fmac_f64_e32 v[78:79], 0x3c91a62633145c07, v[72:73]
	v_fmac_f64_e32 v[78:79], 0x3ff921fb54442d18, v[62:63]
	s_delay_alu instid0(VALU_DEP_1) | instskip(NEXT) | instid1(VALU_DEP_1)
	v_add_f64_e32 v[62:63], v[74:75], v[78:79]
	v_add_f64_e64 v[68:69], v[62:63], -v[74:75]
	s_delay_alu instid0(VALU_DEP_1)
	v_add_f64_e64 v[68:69], v[78:79], -v[68:69]
.LBB149_18:                             ;   in Loop: Header=BB149_4 Depth=1
	s_or_saveexec_b32 s5, s7
	v_mul_f64_e64 v[72:73], |v[16:17]|, s[24:25]
	s_delay_alu instid0(VALU_DEP_1)
	v_rndne_f64_e32 v[74:75], v[72:73]
	s_xor_b32 exec_lo, exec_lo, s5
	s_cbranch_execz .LBB149_20
; %bb.19:                               ;   in Loop: Header=BB149_4 Depth=1
	s_delay_alu instid0(VALU_DEP_1) | instskip(SKIP_2) | instid1(VALU_DEP_3)
	v_fma_f64 v[62:63], v[74:75], s[26:27], |v[16:17]|
	v_mul_f64_e32 v[68:69], 0xbc91a62633145c00, v[74:75]
	v_cvt_i32_f64_e32 v121, v[74:75]
	v_fmamk_f64 v[80:81], v[74:75], 0xbc91a62633145c00, v[62:63]
	s_delay_alu instid0(VALU_DEP_3) | instskip(NEXT) | instid1(VALU_DEP_1)
	v_add_f64_e32 v[72:73], v[62:63], v[68:69]
	v_add_f64_e64 v[78:79], v[62:63], -v[72:73]
	s_delay_alu instid0(VALU_DEP_3) | instskip(NEXT) | instid1(VALU_DEP_2)
	v_add_f64_e64 v[62:63], v[72:73], -v[80:81]
	v_add_f64_e32 v[72:73], v[78:79], v[68:69]
	v_fmamk_f64 v[68:69], v[74:75], 0x3c91a62633145c00, v[68:69]
	s_delay_alu instid0(VALU_DEP_2) | instskip(NEXT) | instid1(VALU_DEP_1)
	v_add_f64_e32 v[62:63], v[62:63], v[72:73]
	v_add_f64_e64 v[68:69], v[62:63], -v[68:69]
	s_delay_alu instid0(VALU_DEP_1) | instskip(NEXT) | instid1(VALU_DEP_1)
	v_fmac_f64_e32 v[68:69], 0xb97b839a252049c0, v[74:75]
	v_add_f64_e32 v[62:63], v[80:81], v[68:69]
	s_delay_alu instid0(VALU_DEP_1) | instskip(NEXT) | instid1(VALU_DEP_1)
	v_add_f64_e64 v[72:73], v[62:63], -v[80:81]
	v_add_f64_e64 v[68:69], v[68:69], -v[72:73]
.LBB149_20:                             ;   in Loop: Header=BB149_4 Depth=1
	s_or_b32 exec_lo, exec_lo, s5
                                        ; implicit-def: $vgpr124
                                        ; implicit-def: $vgpr72_vgpr73
                                        ; implicit-def: $vgpr80_vgpr81
	s_and_saveexec_b32 s5, s6
	s_delay_alu instid0(SALU_CYCLE_1)
	s_xor_b32 s6, exec_lo, s5
	s_cbranch_execz .LBB149_22
; %bb.21:                               ;   in Loop: Header=BB149_4 Depth=1
	v_cmp_le_f64_e64 s5, 0x7b000000, |v[16:17]|
	s_delay_alu instid0(VALU_DEP_1) | instskip(SKIP_1) | instid1(VALU_DEP_1)
	v_cndmask_b32_e64 v71, v76, v71, s5
	v_cndmask_b32_e64 v70, v16, v70, s5
	v_mul_f64_e32 v[72:73], v[66:67], v[70:71]
	v_mul_f64_e32 v[74:75], v[64:65], v[70:71]
	s_delay_alu instid0(VALU_DEP_2) | instskip(NEXT) | instid1(VALU_DEP_1)
	v_fma_f64 v[66:67], v[66:67], v[70:71], -v[72:73]
	v_add_f64_e32 v[76:77], v[74:75], v[66:67]
	s_delay_alu instid0(VALU_DEP_1) | instskip(SKIP_1) | instid1(VALU_DEP_2)
	v_add_f64_e64 v[78:79], v[76:77], -v[74:75]
	v_add_f64_e32 v[82:83], v[72:73], v[76:77]
	v_add_f64_e64 v[80:81], v[76:77], -v[78:79]
	v_add_f64_e64 v[66:67], v[66:67], -v[78:79]
	s_delay_alu instid0(VALU_DEP_3)
	v_ldexp_f64 v[78:79], v[82:83], -2
	v_add_f64_e64 v[72:73], v[82:83], -v[72:73]
	v_fma_f64 v[64:65], v[64:65], v[70:71], -v[74:75]
	v_add_f64_e64 v[74:75], v[74:75], -v[80:81]
	v_mul_f64_e32 v[84:85], v[56:57], v[70:71]
	v_cmp_neq_f64_e64 s5, 0x7ff00000, |v[78:79]|
	v_add_f64_e64 v[72:73], v[76:77], -v[72:73]
	s_delay_alu instid0(VALU_DEP_4) | instskip(SKIP_2) | instid1(VALU_DEP_2)
	v_add_f64_e32 v[66:67], v[66:67], v[74:75]
	v_fract_f64_e32 v[74:75], v[78:79]
	v_fma_f64 v[56:57], v[56:57], v[70:71], -v[84:85]
	v_ldexp_f64 v[74:75], v[74:75], 2
	s_delay_alu instid0(VALU_DEP_1) | instskip(NEXT) | instid1(VALU_DEP_1)
	v_dual_add_f64 v[80:81], v[84:85], v[64:65] :: v_dual_cndmask_b32 v74, 0, v74, s5
	v_add_f64_e32 v[76:77], v[80:81], v[66:67]
	s_delay_alu instid0(VALU_DEP_1) | instskip(SKIP_1) | instid1(VALU_DEP_2)
	v_dual_add_f64 v[78:79], v[72:73], v[76:77] :: v_dual_cndmask_b32 v75, 0, v75, s5
	v_add_f64_e64 v[86:87], v[76:77], -v[80:81]
	v_add_f64_e32 v[82:83], v[78:79], v[74:75]
	s_delay_alu instid0(VALU_DEP_2) | instskip(SKIP_2) | instid1(VALU_DEP_4)
	v_add_f64_e64 v[92:93], v[76:77], -v[86:87]
	v_add_f64_e64 v[66:67], v[66:67], -v[86:87]
	v_add_f64_e64 v[70:71], v[78:79], -v[72:73]
	v_cmp_gt_f64_e64 s5, 0, v[82:83]
	v_add_f64_e64 v[82:83], v[80:81], -v[84:85]
	s_delay_alu instid0(VALU_DEP_3) | instskip(NEXT) | instid1(VALU_DEP_3)
	v_add_f64_e64 v[70:71], v[76:77], -v[70:71]
	v_cndmask_b32_e64 v21, 0, 0x40100000, s5
	s_delay_alu instid0(VALU_DEP_3) | instskip(SKIP_2) | instid1(VALU_DEP_4)
	v_add_f64_e64 v[90:91], v[80:81], -v[82:83]
	v_add_f64_e64 v[64:65], v[64:65], -v[82:83]
	;; [unrolled: 1-line block ×3, first 2 shown]
	v_add_f64_e32 v[74:75], v[74:75], v[20:21]
	s_delay_alu instid0(VALU_DEP_4) | instskip(NEXT) | instid1(VALU_DEP_3)
	v_add_f64_e64 v[82:83], v[84:85], -v[90:91]
	v_add_f64_e32 v[66:67], v[66:67], v[80:81]
	s_delay_alu instid0(VALU_DEP_3) | instskip(NEXT) | instid1(VALU_DEP_3)
	v_add_f64_e32 v[88:89], v[78:79], v[74:75]
	v_add_f64_e32 v[64:65], v[64:65], v[82:83]
	s_delay_alu instid0(VALU_DEP_2) | instskip(NEXT) | instid1(VALU_DEP_2)
	v_cvt_i32_f64_e32 v21, v[88:89]
	v_add_f64_e32 v[64:65], v[64:65], v[66:67]
	s_delay_alu instid0(VALU_DEP_2) | instskip(NEXT) | instid1(VALU_DEP_2)
	v_cvt_f64_i32_e32 v[86:87], v21
	v_add_f64_e32 v[56:57], v[56:57], v[64:65]
	s_delay_alu instid0(VALU_DEP_2) | instskip(NEXT) | instid1(VALU_DEP_2)
	v_add_f64_e64 v[74:75], v[74:75], -v[86:87]
	v_add_f64_e32 v[56:57], v[70:71], v[56:57]
	s_delay_alu instid0(VALU_DEP_2) | instskip(NEXT) | instid1(VALU_DEP_1)
	v_add_f64_e32 v[66:67], v[78:79], v[74:75]
	v_add_f64_e64 v[64:65], v[66:67], -v[74:75]
	v_cmp_le_f64_e64 s5, 0.5, v[66:67]
	s_delay_alu instid0(VALU_DEP_2) | instskip(NEXT) | instid1(VALU_DEP_2)
	v_add_f64_e64 v[64:65], v[78:79], -v[64:65]
	v_add_co_ci_u32_e64 v124, null, 0, v21, s5
	v_cndmask_b32_e64 v21, 0, 0x3ff00000, s5
	s_delay_alu instid0(VALU_DEP_3) | instskip(NEXT) | instid1(VALU_DEP_2)
	v_add_f64_e32 v[56:57], v[56:57], v[64:65]
	v_add_f64_e64 v[64:65], v[66:67], -v[20:21]
	s_delay_alu instid0(VALU_DEP_1) | instskip(NEXT) | instid1(VALU_DEP_1)
	v_add_f64_e32 v[66:67], v[64:65], v[56:57]
	v_mul_f64_e32 v[70:71], 0x3ff921fb54442d18, v[66:67]
	v_add_f64_e64 v[64:65], v[66:67], -v[64:65]
	s_delay_alu instid0(VALU_DEP_2) | instskip(NEXT) | instid1(VALU_DEP_2)
	v_fma_f64 v[74:75], v[66:67], s[22:23], -v[70:71]
	v_add_f64_e64 v[56:57], v[56:57], -v[64:65]
	s_delay_alu instid0(VALU_DEP_2) | instskip(NEXT) | instid1(VALU_DEP_1)
	v_fmac_f64_e32 v[74:75], 0x3c91a62633145c07, v[66:67]
	v_fmac_f64_e32 v[74:75], 0x3ff921fb54442d18, v[56:57]
	s_delay_alu instid0(VALU_DEP_1) | instskip(NEXT) | instid1(VALU_DEP_1)
	v_add_f64_e32 v[72:73], v[70:71], v[74:75]
	v_add_f64_e64 v[56:57], v[72:73], -v[70:71]
	s_delay_alu instid0(VALU_DEP_1)
	v_add_f64_e64 v[80:81], v[74:75], -v[56:57]
                                        ; implicit-def: $vgpr74_vgpr75
	s_and_not1_saveexec_b32 s5, s6
	s_cbranch_execnz .LBB149_23
	s_branch .LBB149_24
.LBB149_22:                             ;   in Loop: Header=BB149_4 Depth=1
	s_and_not1_saveexec_b32 s5, s6
	s_cbranch_execz .LBB149_24
.LBB149_23:                             ;   in Loop: Header=BB149_4 Depth=1
	s_delay_alu instid0(VALU_DEP_1) | instskip(SKIP_2) | instid1(VALU_DEP_2)
	v_fma_f64 v[56:57], v[74:75], s[26:27], |v[16:17]|
	v_mul_f64_e32 v[64:65], 0xbc91a62633145c00, v[74:75]
	v_cvt_i32_f64_e32 v124, v[74:75]
	v_add_f64_e32 v[66:67], v[56:57], v[64:65]
	s_delay_alu instid0(VALU_DEP_1) | instskip(SKIP_1) | instid1(VALU_DEP_1)
	v_add_f64_e64 v[70:71], v[56:57], -v[66:67]
	v_fmamk_f64 v[56:57], v[74:75], 0xbc91a62633145c00, v[56:57]
	v_add_f64_e64 v[66:67], v[66:67], -v[56:57]
	s_delay_alu instid0(VALU_DEP_3) | instskip(SKIP_1) | instid1(VALU_DEP_2)
	v_add_f64_e32 v[70:71], v[70:71], v[64:65]
	v_fmamk_f64 v[64:65], v[74:75], 0x3c91a62633145c00, v[64:65]
	v_add_f64_e32 v[66:67], v[66:67], v[70:71]
	s_delay_alu instid0(VALU_DEP_1) | instskip(NEXT) | instid1(VALU_DEP_1)
	v_add_f64_e64 v[64:65], v[66:67], -v[64:65]
	v_fmac_f64_e32 v[64:65], 0xb97b839a252049c0, v[74:75]
	s_delay_alu instid0(VALU_DEP_1) | instskip(NEXT) | instid1(VALU_DEP_1)
	v_add_f64_e32 v[72:73], v[56:57], v[64:65]
	v_add_f64_e64 v[56:57], v[72:73], -v[56:57]
	s_delay_alu instid0(VALU_DEP_1)
	v_add_f64_e64 v[80:81], v[64:65], -v[56:57]
.LBB149_24:                             ;   in Loop: Header=BB149_4 Depth=1
	s_or_b32 exec_lo, exec_lo, s5
	v_mul_f64_e32 v[56:57], 0.5, v[12:13]
	s_mov_b32 s6, exec_lo
                                        ; implicit-def: $vgpr122
                                        ; implicit-def: $vgpr64_vgpr65
                                        ; implicit-def: $vgpr70_vgpr71
	s_delay_alu instid0(VALU_DEP_1)
	v_cmpx_ngt_f64_e64 0x41d00000, |v[56:57]|
	s_xor_b32 s6, exec_lo, s6
	s_cbranch_execz .LBB149_26
; %bb.25:                               ;   in Loop: Header=BB149_4 Depth=1
	v_ldexp_f64 v[64:65], |v[56:57]|, 0xffffff80
	v_cmp_le_f64_e64 s5, 0x7b000000, |v[56:57]|
	v_trig_preop_f64 v[66:67], |v[56:57]|, 0
	v_and_b32_e32 v21, 0x7fffffff, v57
	v_trig_preop_f64 v[70:71], |v[56:57]|, 1
	v_trig_preop_f64 v[84:85], |v[56:57]|, 2
	s_delay_alu instid0(VALU_DEP_3) | instskip(NEXT) | instid1(VALU_DEP_1)
	v_dual_cndmask_b32 v65, v21, v65, s5 :: v_dual_cndmask_b32 v64, v56, v64, s5
	v_mul_f64_e32 v[74:75], v[66:67], v[64:65]
	s_delay_alu instid0(VALU_DEP_4) | instskip(NEXT) | instid1(VALU_DEP_4)
	v_mul_f64_e32 v[76:77], v[70:71], v[64:65]
	v_mul_f64_e32 v[90:91], v[84:85], v[64:65]
	s_delay_alu instid0(VALU_DEP_3) | instskip(NEXT) | instid1(VALU_DEP_3)
	v_fma_f64 v[66:67], v[66:67], v[64:65], -v[74:75]
	v_fma_f64 v[70:71], v[70:71], v[64:65], -v[76:77]
	s_delay_alu instid0(VALU_DEP_3) | instskip(NEXT) | instid1(VALU_DEP_3)
	v_fma_f64 v[64:65], v[84:85], v[64:65], -v[90:91]
	v_add_f64_e32 v[78:79], v[76:77], v[66:67]
	s_delay_alu instid0(VALU_DEP_1) | instskip(SKIP_1) | instid1(VALU_DEP_2)
	v_add_f64_e64 v[82:83], v[78:79], -v[76:77]
	v_add_f64_e32 v[88:89], v[74:75], v[78:79]
	v_add_f64_e64 v[86:87], v[78:79], -v[82:83]
	v_add_f64_e64 v[66:67], v[66:67], -v[82:83]
	s_delay_alu instid0(VALU_DEP_3) | instskip(SKIP_1) | instid1(VALU_DEP_4)
	v_ldexp_f64 v[82:83], v[88:89], -2
	v_add_f64_e64 v[74:75], v[88:89], -v[74:75]
	v_add_f64_e64 v[76:77], v[76:77], -v[86:87]
	v_add_f64_e32 v[86:87], v[90:91], v[70:71]
	s_delay_alu instid0(VALU_DEP_4) | instskip(NEXT) | instid1(VALU_DEP_3)
	v_cmp_neq_f64_e64 s5, 0x7ff00000, |v[82:83]|
	v_add_f64_e32 v[66:67], v[66:67], v[76:77]
	v_fract_f64_e32 v[76:77], v[82:83]
	s_delay_alu instid0(VALU_DEP_1) | instskip(NEXT) | instid1(VALU_DEP_1)
	v_ldexp_f64 v[76:77], v[76:77], 2
	v_dual_add_f64 v[74:75], v[78:79], -v[74:75] :: v_dual_cndmask_b32 v77, 0, v77, s5
	s_delay_alu instid0(VALU_DEP_2) | instskip(NEXT) | instid1(VALU_DEP_1)
	v_dual_add_f64 v[78:79], v[86:87], v[66:67] :: v_dual_cndmask_b32 v76, 0, v76, s5
	v_add_f64_e32 v[82:83], v[74:75], v[78:79]
	v_add_f64_e64 v[92:93], v[78:79], -v[86:87]
	s_delay_alu instid0(VALU_DEP_2) | instskip(NEXT) | instid1(VALU_DEP_2)
	v_add_f64_e32 v[88:89], v[82:83], v[76:77]
	v_add_f64_e64 v[98:99], v[78:79], -v[92:93]
	v_add_f64_e64 v[66:67], v[66:67], -v[92:93]
	;; [unrolled: 1-line block ×3, first 2 shown]
	s_delay_alu instid0(VALU_DEP_4) | instskip(SKIP_1) | instid1(VALU_DEP_3)
	v_cmp_gt_f64_e64 s5, 0, v[88:89]
	v_add_f64_e64 v[88:89], v[86:87], -v[90:91]
	v_add_f64_e64 v[74:75], v[78:79], -v[74:75]
	s_delay_alu instid0(VALU_DEP_3) | instskip(NEXT) | instid1(VALU_DEP_3)
	v_cndmask_b32_e64 v21, 0, 0x40100000, s5
	v_add_f64_e64 v[96:97], v[86:87], -v[88:89]
	v_add_f64_e64 v[70:71], v[70:71], -v[88:89]
	;; [unrolled: 1-line block ×3, first 2 shown]
	s_delay_alu instid0(VALU_DEP_4) | instskip(NEXT) | instid1(VALU_DEP_4)
	v_add_f64_e32 v[76:77], v[76:77], v[20:21]
	v_add_f64_e64 v[88:89], v[90:91], -v[96:97]
	s_delay_alu instid0(VALU_DEP_3) | instskip(NEXT) | instid1(VALU_DEP_3)
	v_add_f64_e32 v[66:67], v[66:67], v[86:87]
	v_add_f64_e32 v[94:95], v[82:83], v[76:77]
	s_delay_alu instid0(VALU_DEP_3) | instskip(NEXT) | instid1(VALU_DEP_2)
	v_add_f64_e32 v[70:71], v[70:71], v[88:89]
	v_cvt_i32_f64_e32 v21, v[94:95]
	s_delay_alu instid0(VALU_DEP_2) | instskip(NEXT) | instid1(VALU_DEP_2)
	v_add_f64_e32 v[66:67], v[70:71], v[66:67]
	v_cvt_f64_i32_e32 v[92:93], v21
	s_delay_alu instid0(VALU_DEP_2) | instskip(NEXT) | instid1(VALU_DEP_2)
	v_add_f64_e32 v[64:65], v[64:65], v[66:67]
	v_add_f64_e64 v[76:77], v[76:77], -v[92:93]
	s_delay_alu instid0(VALU_DEP_2) | instskip(NEXT) | instid1(VALU_DEP_2)
	v_add_f64_e32 v[64:65], v[74:75], v[64:65]
	v_add_f64_e32 v[70:71], v[82:83], v[76:77]
	s_delay_alu instid0(VALU_DEP_1) | instskip(SKIP_1) | instid1(VALU_DEP_2)
	v_add_f64_e64 v[66:67], v[70:71], -v[76:77]
	v_cmp_le_f64_e64 s5, 0.5, v[70:71]
	v_add_f64_e64 v[66:67], v[82:83], -v[66:67]
	s_delay_alu instid0(VALU_DEP_2) | instskip(SKIP_1) | instid1(VALU_DEP_3)
	v_add_co_ci_u32_e64 v122, null, 0, v21, s5
	v_cndmask_b32_e64 v21, 0, 0x3ff00000, s5
	v_add_f64_e32 v[64:65], v[64:65], v[66:67]
	s_delay_alu instid0(VALU_DEP_2) | instskip(NEXT) | instid1(VALU_DEP_1)
	v_add_f64_e64 v[66:67], v[70:71], -v[20:21]
	v_add_f64_e32 v[70:71], v[66:67], v[64:65]
	s_delay_alu instid0(VALU_DEP_1) | instskip(SKIP_1) | instid1(VALU_DEP_2)
	v_mul_f64_e32 v[74:75], 0x3ff921fb54442d18, v[70:71]
	v_add_f64_e64 v[66:67], v[70:71], -v[66:67]
	v_fma_f64 v[76:77], v[70:71], s[22:23], -v[74:75]
	s_delay_alu instid0(VALU_DEP_2) | instskip(NEXT) | instid1(VALU_DEP_2)
	v_add_f64_e64 v[64:65], v[64:65], -v[66:67]
	v_fmac_f64_e32 v[76:77], 0x3c91a62633145c07, v[70:71]
	s_delay_alu instid0(VALU_DEP_1) | instskip(NEXT) | instid1(VALU_DEP_1)
	v_fmac_f64_e32 v[76:77], 0x3ff921fb54442d18, v[64:65]
	v_add_f64_e32 v[64:65], v[74:75], v[76:77]
	s_delay_alu instid0(VALU_DEP_1) | instskip(NEXT) | instid1(VALU_DEP_1)
	v_add_f64_e64 v[66:67], v[64:65], -v[74:75]
	v_add_f64_e64 v[70:71], v[76:77], -v[66:67]
.LBB149_26:                             ;   in Loop: Header=BB149_4 Depth=1
	s_and_not1_saveexec_b32 s5, s6
	s_cbranch_execz .LBB149_28
; %bb.27:                               ;   in Loop: Header=BB149_4 Depth=1
	v_mul_f64_e64 v[64:65], |v[56:57]|, s[24:25]
	s_delay_alu instid0(VALU_DEP_1) | instskip(NEXT) | instid1(VALU_DEP_1)
	v_rndne_f64_e32 v[66:67], v[64:65]
	v_fma_f64 v[64:65], v[66:67], s[26:27], |v[56:57]|
	v_mul_f64_e32 v[70:71], 0xbc91a62633145c00, v[66:67]
	v_cvt_i32_f64_e32 v122, v[66:67]
	s_delay_alu instid0(VALU_DEP_3) | instskip(NEXT) | instid1(VALU_DEP_3)
	v_fmamk_f64 v[78:79], v[66:67], 0xbc91a62633145c00, v[64:65]
	v_add_f64_e32 v[74:75], v[64:65], v[70:71]
	s_delay_alu instid0(VALU_DEP_1) | instskip(NEXT) | instid1(VALU_DEP_3)
	v_add_f64_e64 v[76:77], v[64:65], -v[74:75]
	v_add_f64_e64 v[64:65], v[74:75], -v[78:79]
	s_delay_alu instid0(VALU_DEP_2) | instskip(SKIP_1) | instid1(VALU_DEP_2)
	v_add_f64_e32 v[74:75], v[76:77], v[70:71]
	v_fmamk_f64 v[70:71], v[66:67], 0x3c91a62633145c00, v[70:71]
	v_add_f64_e32 v[64:65], v[64:65], v[74:75]
	s_delay_alu instid0(VALU_DEP_1) | instskip(NEXT) | instid1(VALU_DEP_1)
	v_add_f64_e64 v[70:71], v[64:65], -v[70:71]
	v_fmac_f64_e32 v[70:71], 0xb97b839a252049c0, v[66:67]
	s_delay_alu instid0(VALU_DEP_1) | instskip(NEXT) | instid1(VALU_DEP_1)
	v_add_f64_e32 v[64:65], v[78:79], v[70:71]
	v_add_f64_e64 v[74:75], v[64:65], -v[78:79]
	s_delay_alu instid0(VALU_DEP_1)
	v_add_f64_e64 v[70:71], v[70:71], -v[74:75]
.LBB149_28:                             ;   in Loop: Header=BB149_4 Depth=1
	s_or_b32 exec_lo, exec_lo, s5
	v_cmp_ngt_f64_e64 s6, 0x41d00000, |v[12:13]|
	v_trig_preop_f64 v[82:83], |v[12:13]|, 0
	v_trig_preop_f64 v[78:79], |v[12:13]|, 1
	v_ldexp_f64 v[84:85], |v[12:13]|, 0xffffff80
	v_trig_preop_f64 v[66:67], |v[12:13]|, 2
	v_and_b32_e32 v92, 0x7fffffff, v13
                                        ; implicit-def: $vgpr123
                                        ; implicit-def: $vgpr74_vgpr75
                                        ; implicit-def: $vgpr76_vgpr77
	s_and_saveexec_b32 s5, s6
	s_delay_alu instid0(SALU_CYCLE_1)
	s_xor_b32 s7, exec_lo, s5
	s_cbranch_execz .LBB149_30
; %bb.29:                               ;   in Loop: Header=BB149_4 Depth=1
	v_cmp_le_f64_e64 s5, 0x7b000000, |v[12:13]|
	s_delay_alu instid0(VALU_DEP_1) | instskip(SKIP_1) | instid1(VALU_DEP_1)
	v_cndmask_b32_e64 v75, v92, v85, s5
	v_cndmask_b32_e64 v74, v12, v84, s5
	v_mul_f64_e32 v[76:77], v[82:83], v[74:75]
	v_mul_f64_e32 v[86:87], v[78:79], v[74:75]
	s_delay_alu instid0(VALU_DEP_2) | instskip(NEXT) | instid1(VALU_DEP_1)
	v_fma_f64 v[88:89], v[82:83], v[74:75], -v[76:77]
	v_add_f64_e32 v[90:91], v[86:87], v[88:89]
	s_delay_alu instid0(VALU_DEP_1) | instskip(SKIP_1) | instid1(VALU_DEP_2)
	v_add_f64_e64 v[94:95], v[90:91], -v[86:87]
	v_add_f64_e32 v[98:99], v[76:77], v[90:91]
	v_add_f64_e64 v[96:97], v[90:91], -v[94:95]
	v_fma_f64 v[102:103], v[78:79], v[74:75], -v[86:87]
	v_add_f64_e64 v[88:89], v[88:89], -v[94:95]
	s_delay_alu instid0(VALU_DEP_4) | instskip(SKIP_2) | instid1(VALU_DEP_3)
	v_ldexp_f64 v[94:95], v[98:99], -2
	v_mul_f64_e32 v[100:101], v[66:67], v[74:75]
	v_add_f64_e64 v[86:87], v[86:87], -v[96:97]
	v_cmp_neq_f64_e64 s5, 0x7ff00000, |v[94:95]|
	s_delay_alu instid0(VALU_DEP_3) | instskip(SKIP_1) | instid1(VALU_DEP_4)
	v_add_f64_e32 v[96:97], v[100:101], v[102:103]
	v_fma_f64 v[74:75], v[66:67], v[74:75], -v[100:101]
	v_add_f64_e32 v[86:87], v[88:89], v[86:87]
	v_fract_f64_e32 v[88:89], v[94:95]
	s_delay_alu instid0(VALU_DEP_1) | instskip(NEXT) | instid1(VALU_DEP_1)
	v_ldexp_f64 v[88:89], v[88:89], 2
	v_cndmask_b32_e64 v89, 0, v89, s5
	v_add_f64_e64 v[76:77], v[98:99], -v[76:77]
	s_delay_alu instid0(VALU_DEP_3) | instskip(NEXT) | instid1(VALU_DEP_2)
	v_cndmask_b32_e64 v88, 0, v88, s5
	v_add_f64_e64 v[76:77], v[90:91], -v[76:77]
	v_add_f64_e32 v[90:91], v[96:97], v[86:87]
	s_delay_alu instid0(VALU_DEP_1) | instskip(SKIP_1) | instid1(VALU_DEP_2)
	v_add_f64_e32 v[94:95], v[76:77], v[90:91]
	v_add_f64_e64 v[104:105], v[90:91], -v[96:97]
	v_add_f64_e32 v[98:99], v[94:95], v[88:89]
	s_delay_alu instid0(VALU_DEP_2) | instskip(SKIP_2) | instid1(VALU_DEP_4)
	v_add_f64_e64 v[110:111], v[90:91], -v[104:105]
	v_add_f64_e64 v[86:87], v[86:87], -v[104:105]
	;; [unrolled: 1-line block ×3, first 2 shown]
	v_cmp_gt_f64_e64 s5, 0, v[98:99]
	v_add_f64_e64 v[98:99], v[96:97], -v[100:101]
	s_delay_alu instid0(VALU_DEP_3) | instskip(NEXT) | instid1(VALU_DEP_3)
	v_add_f64_e64 v[76:77], v[90:91], -v[76:77]
	v_cndmask_b32_e64 v21, 0, 0x40100000, s5
	s_delay_alu instid0(VALU_DEP_3) | instskip(SKIP_2) | instid1(VALU_DEP_4)
	v_add_f64_e64 v[108:109], v[96:97], -v[98:99]
	v_add_f64_e64 v[98:99], v[102:103], -v[98:99]
	;; [unrolled: 1-line block ×3, first 2 shown]
	v_add_f64_e32 v[88:89], v[88:89], v[20:21]
	s_delay_alu instid0(VALU_DEP_4) | instskip(NEXT) | instid1(VALU_DEP_3)
	v_add_f64_e64 v[102:103], v[100:101], -v[108:109]
	v_add_f64_e32 v[86:87], v[86:87], v[96:97]
	s_delay_alu instid0(VALU_DEP_3) | instskip(NEXT) | instid1(VALU_DEP_3)
	v_add_f64_e32 v[106:107], v[94:95], v[88:89]
	v_add_f64_e32 v[98:99], v[98:99], v[102:103]
	s_delay_alu instid0(VALU_DEP_2) | instskip(NEXT) | instid1(VALU_DEP_2)
	v_cvt_i32_f64_e32 v21, v[106:107]
	v_add_f64_e32 v[86:87], v[98:99], v[86:87]
	s_delay_alu instid0(VALU_DEP_2) | instskip(NEXT) | instid1(VALU_DEP_2)
	v_cvt_f64_i32_e32 v[104:105], v21
	v_add_f64_e32 v[74:75], v[74:75], v[86:87]
	s_delay_alu instid0(VALU_DEP_2) | instskip(NEXT) | instid1(VALU_DEP_2)
	v_add_f64_e64 v[88:89], v[88:89], -v[104:105]
	v_add_f64_e32 v[74:75], v[76:77], v[74:75]
	s_delay_alu instid0(VALU_DEP_2) | instskip(NEXT) | instid1(VALU_DEP_1)
	v_add_f64_e32 v[96:97], v[94:95], v[88:89]
	v_add_f64_e64 v[86:87], v[96:97], -v[88:89]
	v_cmp_le_f64_e64 s5, 0.5, v[96:97]
	s_delay_alu instid0(VALU_DEP_2) | instskip(NEXT) | instid1(VALU_DEP_2)
	v_add_f64_e64 v[76:77], v[94:95], -v[86:87]
	v_add_co_ci_u32_e64 v123, null, 0, v21, s5
	v_cndmask_b32_e64 v21, 0, 0x3ff00000, s5
	s_delay_alu instid0(VALU_DEP_3) | instskip(NEXT) | instid1(VALU_DEP_2)
	v_add_f64_e32 v[74:75], v[74:75], v[76:77]
	v_add_f64_e64 v[76:77], v[96:97], -v[20:21]
	s_delay_alu instid0(VALU_DEP_1) | instskip(NEXT) | instid1(VALU_DEP_1)
	v_add_f64_e32 v[86:87], v[76:77], v[74:75]
	v_mul_f64_e32 v[88:89], 0x3ff921fb54442d18, v[86:87]
	v_add_f64_e64 v[76:77], v[86:87], -v[76:77]
	s_delay_alu instid0(VALU_DEP_2) | instskip(NEXT) | instid1(VALU_DEP_2)
	v_fma_f64 v[90:91], v[86:87], s[22:23], -v[88:89]
	v_add_f64_e64 v[74:75], v[74:75], -v[76:77]
	s_delay_alu instid0(VALU_DEP_2) | instskip(NEXT) | instid1(VALU_DEP_1)
	v_fmac_f64_e32 v[90:91], 0x3c91a62633145c07, v[86:87]
	v_fmac_f64_e32 v[90:91], 0x3ff921fb54442d18, v[74:75]
	s_delay_alu instid0(VALU_DEP_1) | instskip(NEXT) | instid1(VALU_DEP_1)
	v_add_f64_e32 v[74:75], v[88:89], v[90:91]
	v_add_f64_e64 v[76:77], v[74:75], -v[88:89]
	s_delay_alu instid0(VALU_DEP_1)
	v_add_f64_e64 v[76:77], v[90:91], -v[76:77]
.LBB149_30:                             ;   in Loop: Header=BB149_4 Depth=1
	s_or_saveexec_b32 s5, s7
	v_mul_f64_e64 v[86:87], |v[12:13]|, s[24:25]
	s_delay_alu instid0(VALU_DEP_1)
	v_rndne_f64_e32 v[88:89], v[86:87]
	s_xor_b32 exec_lo, exec_lo, s5
	s_cbranch_execz .LBB149_32
; %bb.31:                               ;   in Loop: Header=BB149_4 Depth=1
	s_delay_alu instid0(VALU_DEP_1) | instskip(SKIP_2) | instid1(VALU_DEP_3)
	v_fma_f64 v[74:75], v[88:89], s[26:27], |v[12:13]|
	v_mul_f64_e32 v[76:77], 0xbc91a62633145c00, v[88:89]
	v_cvt_i32_f64_e32 v123, v[88:89]
	v_fmamk_f64 v[94:95], v[88:89], 0xbc91a62633145c00, v[74:75]
	s_delay_alu instid0(VALU_DEP_3) | instskip(NEXT) | instid1(VALU_DEP_1)
	v_add_f64_e32 v[86:87], v[74:75], v[76:77]
	v_add_f64_e64 v[90:91], v[74:75], -v[86:87]
	s_delay_alu instid0(VALU_DEP_3) | instskip(NEXT) | instid1(VALU_DEP_2)
	v_add_f64_e64 v[74:75], v[86:87], -v[94:95]
	v_add_f64_e32 v[86:87], v[90:91], v[76:77]
	v_fmamk_f64 v[76:77], v[88:89], 0x3c91a62633145c00, v[76:77]
	s_delay_alu instid0(VALU_DEP_2) | instskip(NEXT) | instid1(VALU_DEP_1)
	v_add_f64_e32 v[74:75], v[74:75], v[86:87]
	v_add_f64_e64 v[76:77], v[74:75], -v[76:77]
	s_delay_alu instid0(VALU_DEP_1) | instskip(NEXT) | instid1(VALU_DEP_1)
	v_fmac_f64_e32 v[76:77], 0xb97b839a252049c0, v[88:89]
	v_add_f64_e32 v[74:75], v[94:95], v[76:77]
	s_delay_alu instid0(VALU_DEP_1) | instskip(NEXT) | instid1(VALU_DEP_1)
	v_add_f64_e64 v[86:87], v[74:75], -v[94:95]
	v_add_f64_e64 v[76:77], v[76:77], -v[86:87]
.LBB149_32:                             ;   in Loop: Header=BB149_4 Depth=1
	s_or_b32 exec_lo, exec_lo, s5
                                        ; implicit-def: $vgpr126
                                        ; implicit-def: $vgpr86_vgpr87
                                        ; implicit-def: $vgpr90_vgpr91
	s_and_saveexec_b32 s5, s6
	s_delay_alu instid0(SALU_CYCLE_1)
	s_xor_b32 s6, exec_lo, s5
	s_cbranch_execz .LBB149_34
; %bb.33:                               ;   in Loop: Header=BB149_4 Depth=1
	v_cmp_le_f64_e64 s5, 0x7b000000, |v[12:13]|
	s_delay_alu instid0(VALU_DEP_1) | instskip(SKIP_1) | instid1(VALU_DEP_1)
	v_cndmask_b32_e64 v85, v92, v85, s5
	v_cndmask_b32_e64 v84, v12, v84, s5
	v_mul_f64_e32 v[86:87], v[82:83], v[84:85]
	v_mul_f64_e32 v[88:89], v[78:79], v[84:85]
	s_delay_alu instid0(VALU_DEP_2) | instskip(NEXT) | instid1(VALU_DEP_1)
	v_fma_f64 v[82:83], v[82:83], v[84:85], -v[86:87]
	v_add_f64_e32 v[90:91], v[88:89], v[82:83]
	s_delay_alu instid0(VALU_DEP_1) | instskip(SKIP_3) | instid1(VALU_DEP_4)
	v_add_f64_e64 v[92:93], v[90:91], -v[88:89]
	v_add_f64_e32 v[96:97], v[86:87], v[90:91]
	v_fma_f64 v[78:79], v[78:79], v[84:85], -v[88:89]
	v_mul_f64_e32 v[98:99], v[66:67], v[84:85]
	v_add_f64_e64 v[94:95], v[90:91], -v[92:93]
	v_add_f64_e64 v[82:83], v[82:83], -v[92:93]
	v_ldexp_f64 v[92:93], v[96:97], -2
	s_delay_alu instid0(VALU_DEP_3) | instskip(SKIP_1) | instid1(VALU_DEP_3)
	v_add_f64_e64 v[88:89], v[88:89], -v[94:95]
	v_add_f64_e32 v[94:95], v[98:99], v[78:79]
	v_cmp_neq_f64_e64 s5, 0x7ff00000, |v[92:93]|
	v_fma_f64 v[66:67], v[66:67], v[84:85], -v[98:99]
	s_delay_alu instid0(VALU_DEP_4) | instskip(SKIP_1) | instid1(VALU_DEP_1)
	v_add_f64_e32 v[82:83], v[82:83], v[88:89]
	v_fract_f64_e32 v[88:89], v[92:93]
	v_ldexp_f64 v[88:89], v[88:89], 2
	s_delay_alu instid0(VALU_DEP_1) | instskip(NEXT) | instid1(VALU_DEP_1)
	v_dual_add_f64 v[86:87], v[96:97], -v[86:87] :: v_dual_cndmask_b32 v88, 0, v88, s5
	v_dual_add_f64 v[86:87], v[90:91], -v[86:87] :: v_dual_cndmask_b32 v89, 0, v89, s5
	v_add_f64_e32 v[90:91], v[94:95], v[82:83]
	s_delay_alu instid0(VALU_DEP_1) | instskip(SKIP_1) | instid1(VALU_DEP_2)
	v_add_f64_e32 v[92:93], v[86:87], v[90:91]
	v_add_f64_e64 v[100:101], v[90:91], -v[94:95]
	v_add_f64_e32 v[96:97], v[92:93], v[88:89]
	s_delay_alu instid0(VALU_DEP_2) | instskip(SKIP_2) | instid1(VALU_DEP_4)
	v_add_f64_e64 v[106:107], v[90:91], -v[100:101]
	v_add_f64_e64 v[82:83], v[82:83], -v[100:101]
	;; [unrolled: 1-line block ×3, first 2 shown]
	v_cmp_gt_f64_e64 s5, 0, v[96:97]
	v_add_f64_e64 v[96:97], v[94:95], -v[98:99]
	s_delay_alu instid0(VALU_DEP_3) | instskip(NEXT) | instid1(VALU_DEP_3)
	v_add_f64_e64 v[84:85], v[90:91], -v[84:85]
	v_cndmask_b32_e64 v21, 0, 0x40100000, s5
	s_delay_alu instid0(VALU_DEP_3) | instskip(SKIP_2) | instid1(VALU_DEP_4)
	v_add_f64_e64 v[104:105], v[94:95], -v[96:97]
	v_add_f64_e64 v[78:79], v[78:79], -v[96:97]
	v_add_f64_e64 v[94:95], v[94:95], -v[106:107]
	v_add_f64_e32 v[88:89], v[88:89], v[20:21]
	s_delay_alu instid0(VALU_DEP_4) | instskip(NEXT) | instid1(VALU_DEP_3)
	v_add_f64_e64 v[96:97], v[98:99], -v[104:105]
	v_add_f64_e32 v[82:83], v[82:83], v[94:95]
	s_delay_alu instid0(VALU_DEP_3) | instskip(NEXT) | instid1(VALU_DEP_3)
	v_add_f64_e32 v[102:103], v[92:93], v[88:89]
	v_add_f64_e32 v[78:79], v[78:79], v[96:97]
	s_delay_alu instid0(VALU_DEP_2) | instskip(NEXT) | instid1(VALU_DEP_2)
	v_cvt_i32_f64_e32 v21, v[102:103]
	v_add_f64_e32 v[78:79], v[78:79], v[82:83]
	s_delay_alu instid0(VALU_DEP_2) | instskip(NEXT) | instid1(VALU_DEP_2)
	v_cvt_f64_i32_e32 v[100:101], v21
	v_add_f64_e32 v[66:67], v[66:67], v[78:79]
	s_delay_alu instid0(VALU_DEP_2) | instskip(NEXT) | instid1(VALU_DEP_2)
	v_add_f64_e64 v[88:89], v[88:89], -v[100:101]
	v_add_f64_e32 v[66:67], v[84:85], v[66:67]
	s_delay_alu instid0(VALU_DEP_2) | instskip(NEXT) | instid1(VALU_DEP_1)
	v_add_f64_e32 v[82:83], v[92:93], v[88:89]
	v_add_f64_e64 v[78:79], v[82:83], -v[88:89]
	v_cmp_le_f64_e64 s5, 0.5, v[82:83]
	s_delay_alu instid0(VALU_DEP_2) | instskip(NEXT) | instid1(VALU_DEP_2)
	v_add_f64_e64 v[78:79], v[92:93], -v[78:79]
	v_add_co_ci_u32_e64 v126, null, 0, v21, s5
	v_cndmask_b32_e64 v21, 0, 0x3ff00000, s5
	s_delay_alu instid0(VALU_DEP_3) | instskip(NEXT) | instid1(VALU_DEP_2)
	v_add_f64_e32 v[66:67], v[66:67], v[78:79]
	v_add_f64_e64 v[78:79], v[82:83], -v[20:21]
	s_delay_alu instid0(VALU_DEP_1) | instskip(NEXT) | instid1(VALU_DEP_1)
	v_add_f64_e32 v[82:83], v[78:79], v[66:67]
	v_mul_f64_e32 v[84:85], 0x3ff921fb54442d18, v[82:83]
	v_add_f64_e64 v[78:79], v[82:83], -v[78:79]
	s_delay_alu instid0(VALU_DEP_2) | instskip(NEXT) | instid1(VALU_DEP_2)
	v_fma_f64 v[88:89], v[82:83], s[22:23], -v[84:85]
	v_add_f64_e64 v[66:67], v[66:67], -v[78:79]
	s_delay_alu instid0(VALU_DEP_2) | instskip(NEXT) | instid1(VALU_DEP_1)
	v_fmac_f64_e32 v[88:89], 0x3c91a62633145c07, v[82:83]
	v_fmac_f64_e32 v[88:89], 0x3ff921fb54442d18, v[66:67]
	s_delay_alu instid0(VALU_DEP_1) | instskip(NEXT) | instid1(VALU_DEP_1)
	v_add_f64_e32 v[86:87], v[84:85], v[88:89]
	v_add_f64_e64 v[66:67], v[86:87], -v[84:85]
	s_delay_alu instid0(VALU_DEP_1)
	v_add_f64_e64 v[90:91], v[88:89], -v[66:67]
                                        ; implicit-def: $vgpr88_vgpr89
	s_and_not1_saveexec_b32 s5, s6
	s_cbranch_execnz .LBB149_35
	s_branch .LBB149_36
.LBB149_34:                             ;   in Loop: Header=BB149_4 Depth=1
	s_and_not1_saveexec_b32 s5, s6
	s_cbranch_execz .LBB149_36
.LBB149_35:                             ;   in Loop: Header=BB149_4 Depth=1
	s_delay_alu instid0(VALU_DEP_1) | instskip(SKIP_2) | instid1(VALU_DEP_2)
	v_fma_f64 v[66:67], v[88:89], s[26:27], |v[12:13]|
	v_mul_f64_e32 v[78:79], 0xbc91a62633145c00, v[88:89]
	v_cvt_i32_f64_e32 v126, v[88:89]
	v_add_f64_e32 v[82:83], v[66:67], v[78:79]
	s_delay_alu instid0(VALU_DEP_1) | instskip(SKIP_1) | instid1(VALU_DEP_1)
	v_add_f64_e64 v[84:85], v[66:67], -v[82:83]
	v_fmamk_f64 v[66:67], v[88:89], 0xbc91a62633145c00, v[66:67]
	v_add_f64_e64 v[82:83], v[82:83], -v[66:67]
	s_delay_alu instid0(VALU_DEP_3) | instskip(SKIP_1) | instid1(VALU_DEP_2)
	v_add_f64_e32 v[84:85], v[84:85], v[78:79]
	v_fmamk_f64 v[78:79], v[88:89], 0x3c91a62633145c00, v[78:79]
	v_add_f64_e32 v[82:83], v[82:83], v[84:85]
	s_delay_alu instid0(VALU_DEP_1) | instskip(NEXT) | instid1(VALU_DEP_1)
	v_add_f64_e64 v[78:79], v[82:83], -v[78:79]
	v_fmac_f64_e32 v[78:79], 0xb97b839a252049c0, v[88:89]
	s_delay_alu instid0(VALU_DEP_1) | instskip(NEXT) | instid1(VALU_DEP_1)
	v_add_f64_e32 v[86:87], v[66:67], v[78:79]
	v_add_f64_e64 v[66:67], v[86:87], -v[66:67]
	s_delay_alu instid0(VALU_DEP_1)
	v_add_f64_e64 v[90:91], v[78:79], -v[66:67]
.LBB149_36:                             ;   in Loop: Header=BB149_4 Depth=1
	s_or_b32 exec_lo, exec_lo, s5
	v_mul_f64_e32 v[66:67], 0.5, v[8:9]
	s_mov_b32 s6, exec_lo
                                        ; implicit-def: $vgpr125
                                        ; implicit-def: $vgpr78_vgpr79
                                        ; implicit-def: $vgpr84_vgpr85
	s_delay_alu instid0(VALU_DEP_1)
	v_cmpx_ngt_f64_e64 0x41d00000, |v[66:67]|
	s_xor_b32 s6, exec_lo, s6
	s_cbranch_execz .LBB149_38
; %bb.37:                               ;   in Loop: Header=BB149_4 Depth=1
	v_ldexp_f64 v[78:79], |v[66:67]|, 0xffffff80
	v_cmp_le_f64_e64 s5, 0x7b000000, |v[66:67]|
	v_trig_preop_f64 v[82:83], |v[66:67]|, 0
	v_and_b32_e32 v21, 0x7fffffff, v67
	v_trig_preop_f64 v[84:85], |v[66:67]|, 1
	v_trig_preop_f64 v[98:99], |v[66:67]|, 2
	s_delay_alu instid0(VALU_DEP_3) | instskip(NEXT) | instid1(VALU_DEP_1)
	v_dual_cndmask_b32 v79, v21, v79, s5 :: v_dual_cndmask_b32 v78, v66, v78, s5
	v_mul_f64_e32 v[88:89], v[82:83], v[78:79]
	s_delay_alu instid0(VALU_DEP_4) | instskip(NEXT) | instid1(VALU_DEP_4)
	v_mul_f64_e32 v[92:93], v[84:85], v[78:79]
	v_mul_f64_e32 v[104:105], v[98:99], v[78:79]
	s_delay_alu instid0(VALU_DEP_3) | instskip(NEXT) | instid1(VALU_DEP_3)
	v_fma_f64 v[82:83], v[82:83], v[78:79], -v[88:89]
	v_fma_f64 v[84:85], v[84:85], v[78:79], -v[92:93]
	s_delay_alu instid0(VALU_DEP_3) | instskip(NEXT) | instid1(VALU_DEP_3)
	v_fma_f64 v[78:79], v[98:99], v[78:79], -v[104:105]
	v_add_f64_e32 v[94:95], v[92:93], v[82:83]
	s_delay_alu instid0(VALU_DEP_1) | instskip(SKIP_1) | instid1(VALU_DEP_2)
	v_add_f64_e64 v[96:97], v[94:95], -v[92:93]
	v_add_f64_e32 v[102:103], v[88:89], v[94:95]
	v_add_f64_e64 v[100:101], v[94:95], -v[96:97]
	v_add_f64_e64 v[82:83], v[82:83], -v[96:97]
	s_delay_alu instid0(VALU_DEP_3) | instskip(NEXT) | instid1(VALU_DEP_3)
	v_ldexp_f64 v[96:97], v[102:103], -2
	v_add_f64_e64 v[92:93], v[92:93], -v[100:101]
	v_add_f64_e32 v[100:101], v[104:105], v[84:85]
	s_delay_alu instid0(VALU_DEP_3) | instskip(NEXT) | instid1(VALU_DEP_3)
	v_cmp_neq_f64_e64 s5, 0x7ff00000, |v[96:97]|
	v_add_f64_e32 v[82:83], v[82:83], v[92:93]
	v_fract_f64_e32 v[92:93], v[96:97]
	s_delay_alu instid0(VALU_DEP_1) | instskip(NEXT) | instid1(VALU_DEP_1)
	v_ldexp_f64 v[92:93], v[92:93], 2
	v_cndmask_b32_e64 v93, 0, v93, s5
	v_add_f64_e64 v[88:89], v[102:103], -v[88:89]
	s_delay_alu instid0(VALU_DEP_3) | instskip(NEXT) | instid1(VALU_DEP_2)
	v_cndmask_b32_e64 v92, 0, v92, s5
	v_add_f64_e64 v[88:89], v[94:95], -v[88:89]
	v_add_f64_e32 v[94:95], v[100:101], v[82:83]
	s_delay_alu instid0(VALU_DEP_1) | instskip(SKIP_1) | instid1(VALU_DEP_2)
	v_add_f64_e32 v[96:97], v[88:89], v[94:95]
	v_add_f64_e64 v[106:107], v[94:95], -v[100:101]
	v_add_f64_e32 v[102:103], v[96:97], v[92:93]
	s_delay_alu instid0(VALU_DEP_2) | instskip(SKIP_2) | instid1(VALU_DEP_4)
	v_add_f64_e64 v[112:113], v[94:95], -v[106:107]
	v_add_f64_e64 v[82:83], v[82:83], -v[106:107]
	;; [unrolled: 1-line block ×3, first 2 shown]
	v_cmp_gt_f64_e64 s5, 0, v[102:103]
	v_add_f64_e64 v[102:103], v[100:101], -v[104:105]
	s_delay_alu instid0(VALU_DEP_3) | instskip(NEXT) | instid1(VALU_DEP_3)
	v_add_f64_e64 v[88:89], v[94:95], -v[88:89]
	v_cndmask_b32_e64 v21, 0, 0x40100000, s5
	s_delay_alu instid0(VALU_DEP_3) | instskip(SKIP_2) | instid1(VALU_DEP_4)
	v_add_f64_e64 v[110:111], v[100:101], -v[102:103]
	v_add_f64_e64 v[84:85], v[84:85], -v[102:103]
	;; [unrolled: 1-line block ×3, first 2 shown]
	v_add_f64_e32 v[92:93], v[92:93], v[20:21]
	s_delay_alu instid0(VALU_DEP_4) | instskip(NEXT) | instid1(VALU_DEP_3)
	v_add_f64_e64 v[102:103], v[104:105], -v[110:111]
	v_add_f64_e32 v[82:83], v[82:83], v[100:101]
	s_delay_alu instid0(VALU_DEP_3) | instskip(NEXT) | instid1(VALU_DEP_3)
	v_add_f64_e32 v[108:109], v[96:97], v[92:93]
	v_add_f64_e32 v[84:85], v[84:85], v[102:103]
	s_delay_alu instid0(VALU_DEP_2) | instskip(NEXT) | instid1(VALU_DEP_2)
	v_cvt_i32_f64_e32 v21, v[108:109]
	v_add_f64_e32 v[82:83], v[84:85], v[82:83]
	s_delay_alu instid0(VALU_DEP_2) | instskip(NEXT) | instid1(VALU_DEP_2)
	v_cvt_f64_i32_e32 v[106:107], v21
	v_add_f64_e32 v[78:79], v[78:79], v[82:83]
	s_delay_alu instid0(VALU_DEP_2) | instskip(NEXT) | instid1(VALU_DEP_2)
	v_add_f64_e64 v[92:93], v[92:93], -v[106:107]
	v_add_f64_e32 v[78:79], v[88:89], v[78:79]
	s_delay_alu instid0(VALU_DEP_2) | instskip(NEXT) | instid1(VALU_DEP_1)
	v_add_f64_e32 v[84:85], v[96:97], v[92:93]
	v_add_f64_e64 v[82:83], v[84:85], -v[92:93]
	v_cmp_le_f64_e64 s5, 0.5, v[84:85]
	s_delay_alu instid0(VALU_DEP_2) | instskip(NEXT) | instid1(VALU_DEP_2)
	v_add_f64_e64 v[82:83], v[96:97], -v[82:83]
	v_add_co_ci_u32_e64 v125, null, 0, v21, s5
	v_cndmask_b32_e64 v21, 0, 0x3ff00000, s5
	s_delay_alu instid0(VALU_DEP_3) | instskip(NEXT) | instid1(VALU_DEP_2)
	v_add_f64_e32 v[78:79], v[78:79], v[82:83]
	v_add_f64_e64 v[82:83], v[84:85], -v[20:21]
	s_delay_alu instid0(VALU_DEP_1) | instskip(NEXT) | instid1(VALU_DEP_1)
	v_add_f64_e32 v[84:85], v[82:83], v[78:79]
	v_mul_f64_e32 v[88:89], 0x3ff921fb54442d18, v[84:85]
	v_add_f64_e64 v[82:83], v[84:85], -v[82:83]
	s_delay_alu instid0(VALU_DEP_2) | instskip(NEXT) | instid1(VALU_DEP_2)
	v_fma_f64 v[92:93], v[84:85], s[22:23], -v[88:89]
	v_add_f64_e64 v[78:79], v[78:79], -v[82:83]
	s_delay_alu instid0(VALU_DEP_2) | instskip(NEXT) | instid1(VALU_DEP_1)
	v_fmac_f64_e32 v[92:93], 0x3c91a62633145c07, v[84:85]
	v_fmac_f64_e32 v[92:93], 0x3ff921fb54442d18, v[78:79]
	s_delay_alu instid0(VALU_DEP_1) | instskip(NEXT) | instid1(VALU_DEP_1)
	v_add_f64_e32 v[78:79], v[88:89], v[92:93]
	v_add_f64_e64 v[82:83], v[78:79], -v[88:89]
	s_delay_alu instid0(VALU_DEP_1)
	v_add_f64_e64 v[84:85], v[92:93], -v[82:83]
.LBB149_38:                             ;   in Loop: Header=BB149_4 Depth=1
	s_and_not1_saveexec_b32 s5, s6
	s_cbranch_execz .LBB149_40
; %bb.39:                               ;   in Loop: Header=BB149_4 Depth=1
	v_mul_f64_e64 v[78:79], |v[66:67]|, s[24:25]
	s_delay_alu instid0(VALU_DEP_1) | instskip(NEXT) | instid1(VALU_DEP_1)
	v_rndne_f64_e32 v[82:83], v[78:79]
	v_fma_f64 v[78:79], v[82:83], s[26:27], |v[66:67]|
	v_mul_f64_e32 v[84:85], 0xbc91a62633145c00, v[82:83]
	v_cvt_i32_f64_e32 v125, v[82:83]
	s_delay_alu instid0(VALU_DEP_3) | instskip(NEXT) | instid1(VALU_DEP_3)
	v_fmamk_f64 v[94:95], v[82:83], 0xbc91a62633145c00, v[78:79]
	v_add_f64_e32 v[88:89], v[78:79], v[84:85]
	s_delay_alu instid0(VALU_DEP_1) | instskip(NEXT) | instid1(VALU_DEP_3)
	v_add_f64_e64 v[92:93], v[78:79], -v[88:89]
	v_add_f64_e64 v[78:79], v[88:89], -v[94:95]
	s_delay_alu instid0(VALU_DEP_2) | instskip(SKIP_1) | instid1(VALU_DEP_2)
	v_add_f64_e32 v[88:89], v[92:93], v[84:85]
	v_fmamk_f64 v[84:85], v[82:83], 0x3c91a62633145c00, v[84:85]
	v_add_f64_e32 v[78:79], v[78:79], v[88:89]
	s_delay_alu instid0(VALU_DEP_1) | instskip(NEXT) | instid1(VALU_DEP_1)
	v_add_f64_e64 v[84:85], v[78:79], -v[84:85]
	v_fmac_f64_e32 v[84:85], 0xb97b839a252049c0, v[82:83]
	s_delay_alu instid0(VALU_DEP_1) | instskip(NEXT) | instid1(VALU_DEP_1)
	v_add_f64_e32 v[78:79], v[94:95], v[84:85]
	v_add_f64_e64 v[88:89], v[78:79], -v[94:95]
	s_delay_alu instid0(VALU_DEP_1)
	v_add_f64_e64 v[84:85], v[84:85], -v[88:89]
.LBB149_40:                             ;   in Loop: Header=BB149_4 Depth=1
	s_or_b32 exec_lo, exec_lo, s5
	v_cmp_ngt_f64_e64 s6, 0x41d00000, |v[8:9]|
	v_trig_preop_f64 v[96:97], |v[8:9]|, 0
	v_trig_preop_f64 v[94:95], |v[8:9]|, 1
	v_ldexp_f64 v[100:101], |v[8:9]|, 0xffffff80
	v_trig_preop_f64 v[82:83], |v[8:9]|, 2
	v_and_b32_e32 v106, 0x7fffffff, v9
                                        ; implicit-def: $vgpr127
                                        ; implicit-def: $vgpr88_vgpr89
                                        ; implicit-def: $vgpr92_vgpr93
	s_and_saveexec_b32 s5, s6
	s_delay_alu instid0(SALU_CYCLE_1)
	s_xor_b32 s7, exec_lo, s5
	s_cbranch_execz .LBB149_42
; %bb.41:                               ;   in Loop: Header=BB149_4 Depth=1
	v_cmp_le_f64_e64 s5, 0x7b000000, |v[8:9]|
	s_delay_alu instid0(VALU_DEP_1) | instskip(NEXT) | instid1(VALU_DEP_1)
	v_dual_cndmask_b32 v89, v106, v101, s5 :: v_dual_cndmask_b32 v88, v8, v100, s5
	v_mul_f64_e32 v[92:93], v[96:97], v[88:89]
	v_mul_f64_e32 v[98:99], v[94:95], v[88:89]
	;; [unrolled: 1-line block ×3, first 2 shown]
	s_delay_alu instid0(VALU_DEP_3) | instskip(NEXT) | instid1(VALU_DEP_3)
	v_fma_f64 v[102:103], v[96:97], v[88:89], -v[92:93]
	v_fma_f64 v[116:117], v[94:95], v[88:89], -v[98:99]
	s_delay_alu instid0(VALU_DEP_3) | instskip(NEXT) | instid1(VALU_DEP_3)
	v_fma_f64 v[88:89], v[82:83], v[88:89], -v[114:115]
	v_add_f64_e32 v[104:105], v[98:99], v[102:103]
	s_delay_alu instid0(VALU_DEP_1) | instskip(SKIP_1) | instid1(VALU_DEP_2)
	v_add_f64_e64 v[108:109], v[104:105], -v[98:99]
	v_add_f64_e32 v[112:113], v[92:93], v[104:105]
	v_add_f64_e64 v[110:111], v[104:105], -v[108:109]
	v_add_f64_e64 v[102:103], v[102:103], -v[108:109]
	s_delay_alu instid0(VALU_DEP_3) | instskip(NEXT) | instid1(VALU_DEP_3)
	v_ldexp_f64 v[108:109], v[112:113], -2
	v_add_f64_e64 v[98:99], v[98:99], -v[110:111]
	v_add_f64_e32 v[110:111], v[114:115], v[116:117]
	s_delay_alu instid0(VALU_DEP_3) | instskip(NEXT) | instid1(VALU_DEP_3)
	v_cmp_neq_f64_e64 s5, 0x7ff00000, |v[108:109]|
	v_add_f64_e32 v[98:99], v[102:103], v[98:99]
	v_fract_f64_e32 v[102:103], v[108:109]
	s_delay_alu instid0(VALU_DEP_1) | instskip(NEXT) | instid1(VALU_DEP_1)
	v_ldexp_f64 v[102:103], v[102:103], 2
	v_dual_add_f64 v[92:93], v[112:113], -v[92:93] :: v_dual_cndmask_b32 v103, 0, v103, s5
	s_delay_alu instid0(VALU_DEP_1) | instskip(SKIP_1) | instid1(VALU_DEP_1)
	v_dual_add_f64 v[92:93], v[104:105], -v[92:93] :: v_dual_cndmask_b32 v102, 0, v102, s5
	v_add_f64_e32 v[104:105], v[110:111], v[98:99]
	v_add_f64_e32 v[108:109], v[92:93], v[104:105]
	v_add_f64_e64 v[118:119], v[104:105], -v[110:111]
	s_delay_alu instid0(VALU_DEP_2) | instskip(NEXT) | instid1(VALU_DEP_2)
	v_add_f64_e32 v[112:113], v[108:109], v[102:103]
	v_add_f64_e64 v[132:133], v[104:105], -v[118:119]
	v_add_f64_e64 v[98:99], v[98:99], -v[118:119]
	;; [unrolled: 1-line block ×3, first 2 shown]
	s_delay_alu instid0(VALU_DEP_4) | instskip(SKIP_1) | instid1(VALU_DEP_3)
	v_cmp_gt_f64_e64 s5, 0, v[112:113]
	v_add_f64_e64 v[112:113], v[110:111], -v[114:115]
	v_add_f64_e64 v[92:93], v[104:105], -v[92:93]
	s_delay_alu instid0(VALU_DEP_3) | instskip(NEXT) | instid1(VALU_DEP_3)
	v_cndmask_b32_e64 v21, 0, 0x40100000, s5
	v_add_f64_e64 v[130:131], v[110:111], -v[112:113]
	v_add_f64_e64 v[112:113], v[116:117], -v[112:113]
	;; [unrolled: 1-line block ×3, first 2 shown]
	s_delay_alu instid0(VALU_DEP_4) | instskip(NEXT) | instid1(VALU_DEP_4)
	v_add_f64_e32 v[102:103], v[102:103], v[20:21]
	v_add_f64_e64 v[116:117], v[114:115], -v[130:131]
	s_delay_alu instid0(VALU_DEP_3) | instskip(NEXT) | instid1(VALU_DEP_3)
	v_add_f64_e32 v[98:99], v[98:99], v[110:111]
	v_add_f64_e32 v[128:129], v[108:109], v[102:103]
	s_delay_alu instid0(VALU_DEP_3) | instskip(NEXT) | instid1(VALU_DEP_2)
	v_add_f64_e32 v[112:113], v[112:113], v[116:117]
	v_cvt_i32_f64_e32 v21, v[128:129]
	s_delay_alu instid0(VALU_DEP_2) | instskip(NEXT) | instid1(VALU_DEP_2)
	v_add_f64_e32 v[98:99], v[112:113], v[98:99]
	v_cvt_f64_i32_e32 v[118:119], v21
	s_delay_alu instid0(VALU_DEP_2) | instskip(NEXT) | instid1(VALU_DEP_2)
	v_add_f64_e32 v[88:89], v[88:89], v[98:99]
	v_add_f64_e64 v[102:103], v[102:103], -v[118:119]
	s_delay_alu instid0(VALU_DEP_2) | instskip(NEXT) | instid1(VALU_DEP_2)
	v_add_f64_e32 v[88:89], v[92:93], v[88:89]
	v_add_f64_e32 v[110:111], v[108:109], v[102:103]
	s_delay_alu instid0(VALU_DEP_1) | instskip(SKIP_1) | instid1(VALU_DEP_2)
	v_add_f64_e64 v[98:99], v[110:111], -v[102:103]
	v_cmp_le_f64_e64 s5, 0.5, v[110:111]
	v_add_f64_e64 v[92:93], v[108:109], -v[98:99]
	s_delay_alu instid0(VALU_DEP_2) | instskip(SKIP_1) | instid1(VALU_DEP_3)
	v_add_co_ci_u32_e64 v127, null, 0, v21, s5
	v_cndmask_b32_e64 v21, 0, 0x3ff00000, s5
	v_add_f64_e32 v[88:89], v[88:89], v[92:93]
	s_delay_alu instid0(VALU_DEP_2) | instskip(NEXT) | instid1(VALU_DEP_1)
	v_add_f64_e64 v[92:93], v[110:111], -v[20:21]
	v_add_f64_e32 v[98:99], v[92:93], v[88:89]
	s_delay_alu instid0(VALU_DEP_1) | instskip(SKIP_1) | instid1(VALU_DEP_2)
	v_mul_f64_e32 v[102:103], 0x3ff921fb54442d18, v[98:99]
	v_add_f64_e64 v[92:93], v[98:99], -v[92:93]
	v_fma_f64 v[104:105], v[98:99], s[22:23], -v[102:103]
	s_delay_alu instid0(VALU_DEP_2) | instskip(NEXT) | instid1(VALU_DEP_2)
	v_add_f64_e64 v[88:89], v[88:89], -v[92:93]
	v_fmac_f64_e32 v[104:105], 0x3c91a62633145c07, v[98:99]
	s_delay_alu instid0(VALU_DEP_1) | instskip(NEXT) | instid1(VALU_DEP_1)
	v_fmac_f64_e32 v[104:105], 0x3ff921fb54442d18, v[88:89]
	v_add_f64_e32 v[88:89], v[102:103], v[104:105]
	s_delay_alu instid0(VALU_DEP_1) | instskip(NEXT) | instid1(VALU_DEP_1)
	v_add_f64_e64 v[92:93], v[88:89], -v[102:103]
	v_add_f64_e64 v[92:93], v[104:105], -v[92:93]
.LBB149_42:                             ;   in Loop: Header=BB149_4 Depth=1
	s_or_saveexec_b32 s5, s7
	v_mul_f64_e64 v[98:99], |v[8:9]|, s[24:25]
	s_delay_alu instid0(VALU_DEP_1)
	v_rndne_f64_e32 v[104:105], v[98:99]
	s_xor_b32 exec_lo, exec_lo, s5
	s_cbranch_execz .LBB149_44
; %bb.43:                               ;   in Loop: Header=BB149_4 Depth=1
	s_delay_alu instid0(VALU_DEP_1) | instskip(SKIP_2) | instid1(VALU_DEP_3)
	v_fma_f64 v[88:89], v[104:105], s[26:27], |v[8:9]|
	v_mul_f64_e32 v[92:93], 0xbc91a62633145c00, v[104:105]
	v_cvt_i32_f64_e32 v127, v[104:105]
	v_fmamk_f64 v[108:109], v[104:105], 0xbc91a62633145c00, v[88:89]
	s_delay_alu instid0(VALU_DEP_3) | instskip(NEXT) | instid1(VALU_DEP_1)
	v_add_f64_e32 v[98:99], v[88:89], v[92:93]
	v_add_f64_e64 v[102:103], v[88:89], -v[98:99]
	s_delay_alu instid0(VALU_DEP_3) | instskip(NEXT) | instid1(VALU_DEP_2)
	v_add_f64_e64 v[88:89], v[98:99], -v[108:109]
	v_add_f64_e32 v[98:99], v[102:103], v[92:93]
	v_fmamk_f64 v[92:93], v[104:105], 0x3c91a62633145c00, v[92:93]
	s_delay_alu instid0(VALU_DEP_2) | instskip(NEXT) | instid1(VALU_DEP_1)
	v_add_f64_e32 v[88:89], v[88:89], v[98:99]
	v_add_f64_e64 v[92:93], v[88:89], -v[92:93]
	s_delay_alu instid0(VALU_DEP_1) | instskip(NEXT) | instid1(VALU_DEP_1)
	v_fmac_f64_e32 v[92:93], 0xb97b839a252049c0, v[104:105]
	v_add_f64_e32 v[88:89], v[108:109], v[92:93]
	s_delay_alu instid0(VALU_DEP_1) | instskip(NEXT) | instid1(VALU_DEP_1)
	v_add_f64_e64 v[98:99], v[88:89], -v[108:109]
	v_add_f64_e64 v[92:93], v[92:93], -v[98:99]
.LBB149_44:                             ;   in Loop: Header=BB149_4 Depth=1
	s_or_b32 exec_lo, exec_lo, s5
                                        ; implicit-def: $vgpr129
                                        ; implicit-def: $vgpr98_vgpr99
                                        ; implicit-def: $vgpr102_vgpr103
	s_and_saveexec_b32 s5, s6
	s_delay_alu instid0(SALU_CYCLE_1)
	s_xor_b32 s6, exec_lo, s5
	s_cbranch_execz .LBB149_46
; %bb.45:                               ;   in Loop: Header=BB149_4 Depth=1
	v_cmp_le_f64_e64 s5, 0x7b000000, |v[8:9]|
	s_delay_alu instid0(VALU_DEP_1) | instskip(NEXT) | instid1(VALU_DEP_1)
	v_dual_cndmask_b32 v99, v106, v101, s5 :: v_dual_cndmask_b32 v98, v8, v100, s5
	v_mul_f64_e32 v[100:101], v[96:97], v[98:99]
	v_mul_f64_e32 v[102:103], v[94:95], v[98:99]
	;; [unrolled: 1-line block ×3, first 2 shown]
	s_delay_alu instid0(VALU_DEP_3) | instskip(NEXT) | instid1(VALU_DEP_3)
	v_fma_f64 v[96:97], v[96:97], v[98:99], -v[100:101]
	v_fma_f64 v[94:95], v[94:95], v[98:99], -v[102:103]
	s_delay_alu instid0(VALU_DEP_3) | instskip(NEXT) | instid1(VALU_DEP_3)
	v_fma_f64 v[82:83], v[82:83], v[98:99], -v[112:113]
	v_add_f64_e32 v[104:105], v[102:103], v[96:97]
	s_delay_alu instid0(VALU_DEP_1) | instskip(SKIP_1) | instid1(VALU_DEP_2)
	v_add_f64_e64 v[106:107], v[104:105], -v[102:103]
	v_add_f64_e32 v[110:111], v[100:101], v[104:105]
	v_add_f64_e64 v[108:109], v[104:105], -v[106:107]
	v_add_f64_e64 v[96:97], v[96:97], -v[106:107]
	s_delay_alu instid0(VALU_DEP_3) | instskip(NEXT) | instid1(VALU_DEP_3)
	v_ldexp_f64 v[106:107], v[110:111], -2
	v_add_f64_e64 v[102:103], v[102:103], -v[108:109]
	v_add_f64_e32 v[108:109], v[112:113], v[94:95]
	s_delay_alu instid0(VALU_DEP_3) | instskip(NEXT) | instid1(VALU_DEP_3)
	v_cmp_neq_f64_e64 s5, 0x7ff00000, |v[106:107]|
	v_add_f64_e32 v[96:97], v[96:97], v[102:103]
	v_fract_f64_e32 v[102:103], v[106:107]
	s_delay_alu instid0(VALU_DEP_1) | instskip(NEXT) | instid1(VALU_DEP_1)
	v_ldexp_f64 v[102:103], v[102:103], 2
	v_dual_add_f64 v[100:101], v[110:111], -v[100:101] :: v_dual_cndmask_b32 v102, 0, v102, s5
	s_delay_alu instid0(VALU_DEP_1) | instskip(SKIP_1) | instid1(VALU_DEP_1)
	v_dual_add_f64 v[100:101], v[104:105], -v[100:101] :: v_dual_cndmask_b32 v103, 0, v103, s5
	v_add_f64_e32 v[104:105], v[108:109], v[96:97]
	v_add_f64_e32 v[106:107], v[100:101], v[104:105]
	v_add_f64_e64 v[114:115], v[104:105], -v[108:109]
	s_delay_alu instid0(VALU_DEP_2) | instskip(NEXT) | instid1(VALU_DEP_2)
	v_add_f64_e32 v[110:111], v[106:107], v[102:103]
	v_add_f64_e64 v[128:129], v[104:105], -v[114:115]
	v_add_f64_e64 v[96:97], v[96:97], -v[114:115]
	;; [unrolled: 1-line block ×3, first 2 shown]
	s_delay_alu instid0(VALU_DEP_4) | instskip(SKIP_1) | instid1(VALU_DEP_3)
	v_cmp_gt_f64_e64 s5, 0, v[110:111]
	v_add_f64_e64 v[110:111], v[108:109], -v[112:113]
	v_add_f64_e64 v[98:99], v[104:105], -v[98:99]
                                        ; implicit-def: $vgpr104_vgpr105
	s_delay_alu instid0(VALU_DEP_3) | instskip(NEXT) | instid1(VALU_DEP_3)
	v_cndmask_b32_e64 v21, 0, 0x40100000, s5
	v_add_f64_e64 v[118:119], v[108:109], -v[110:111]
	v_add_f64_e64 v[94:95], v[94:95], -v[110:111]
	;; [unrolled: 1-line block ×3, first 2 shown]
	s_delay_alu instid0(VALU_DEP_4) | instskip(NEXT) | instid1(VALU_DEP_4)
	v_add_f64_e32 v[102:103], v[102:103], v[20:21]
	v_add_f64_e64 v[110:111], v[112:113], -v[118:119]
	s_delay_alu instid0(VALU_DEP_3) | instskip(NEXT) | instid1(VALU_DEP_3)
	v_add_f64_e32 v[96:97], v[96:97], v[108:109]
	v_add_f64_e32 v[116:117], v[106:107], v[102:103]
	s_delay_alu instid0(VALU_DEP_3) | instskip(NEXT) | instid1(VALU_DEP_2)
	v_add_f64_e32 v[94:95], v[94:95], v[110:111]
	v_cvt_i32_f64_e32 v21, v[116:117]
	s_delay_alu instid0(VALU_DEP_2) | instskip(NEXT) | instid1(VALU_DEP_2)
	v_add_f64_e32 v[94:95], v[94:95], v[96:97]
	v_cvt_f64_i32_e32 v[114:115], v21
	s_delay_alu instid0(VALU_DEP_2) | instskip(NEXT) | instid1(VALU_DEP_2)
	v_add_f64_e32 v[82:83], v[82:83], v[94:95]
	v_add_f64_e64 v[102:103], v[102:103], -v[114:115]
	s_delay_alu instid0(VALU_DEP_2) | instskip(NEXT) | instid1(VALU_DEP_2)
	v_add_f64_e32 v[82:83], v[98:99], v[82:83]
	v_add_f64_e32 v[96:97], v[106:107], v[102:103]
	s_delay_alu instid0(VALU_DEP_1) | instskip(SKIP_1) | instid1(VALU_DEP_2)
	v_add_f64_e64 v[94:95], v[96:97], -v[102:103]
	v_cmp_le_f64_e64 s5, 0.5, v[96:97]
	v_add_f64_e64 v[94:95], v[106:107], -v[94:95]
	s_delay_alu instid0(VALU_DEP_2) | instskip(SKIP_1) | instid1(VALU_DEP_3)
	v_add_co_ci_u32_e64 v129, null, 0, v21, s5
	v_cndmask_b32_e64 v21, 0, 0x3ff00000, s5
	v_add_f64_e32 v[82:83], v[82:83], v[94:95]
	s_delay_alu instid0(VALU_DEP_2) | instskip(NEXT) | instid1(VALU_DEP_1)
	v_add_f64_e64 v[94:95], v[96:97], -v[20:21]
	v_add_f64_e32 v[96:97], v[94:95], v[82:83]
	s_delay_alu instid0(VALU_DEP_1) | instskip(SKIP_1) | instid1(VALU_DEP_2)
	v_mul_f64_e32 v[100:101], 0x3ff921fb54442d18, v[96:97]
	v_add_f64_e64 v[94:95], v[96:97], -v[94:95]
	v_fma_f64 v[102:103], v[96:97], s[22:23], -v[100:101]
	s_delay_alu instid0(VALU_DEP_2) | instskip(NEXT) | instid1(VALU_DEP_2)
	v_add_f64_e64 v[82:83], v[82:83], -v[94:95]
	v_fmac_f64_e32 v[102:103], 0x3c91a62633145c07, v[96:97]
	s_delay_alu instid0(VALU_DEP_1) | instskip(NEXT) | instid1(VALU_DEP_1)
	v_fmac_f64_e32 v[102:103], 0x3ff921fb54442d18, v[82:83]
	v_add_f64_e32 v[98:99], v[100:101], v[102:103]
	s_delay_alu instid0(VALU_DEP_1) | instskip(NEXT) | instid1(VALU_DEP_1)
	v_add_f64_e64 v[82:83], v[98:99], -v[100:101]
	v_add_f64_e64 v[102:103], v[102:103], -v[82:83]
	s_and_not1_saveexec_b32 s5, s6
	s_cbranch_execnz .LBB149_47
	s_branch .LBB149_48
.LBB149_46:                             ;   in Loop: Header=BB149_4 Depth=1
	s_and_not1_saveexec_b32 s5, s6
	s_cbranch_execz .LBB149_48
.LBB149_47:                             ;   in Loop: Header=BB149_4 Depth=1
	s_delay_alu instid0(VALU_DEP_1) | instskip(SKIP_2) | instid1(VALU_DEP_2)
	v_fma_f64 v[82:83], v[104:105], s[26:27], |v[8:9]|
	v_mul_f64_e32 v[94:95], 0xbc91a62633145c00, v[104:105]
	v_cvt_i32_f64_e32 v129, v[104:105]
	v_add_f64_e32 v[96:97], v[82:83], v[94:95]
	s_delay_alu instid0(VALU_DEP_1) | instskip(SKIP_1) | instid1(VALU_DEP_1)
	v_add_f64_e64 v[98:99], v[82:83], -v[96:97]
	v_fmamk_f64 v[82:83], v[104:105], 0xbc91a62633145c00, v[82:83]
	v_add_f64_e64 v[96:97], v[96:97], -v[82:83]
	s_delay_alu instid0(VALU_DEP_3) | instskip(SKIP_1) | instid1(VALU_DEP_2)
	v_add_f64_e32 v[98:99], v[98:99], v[94:95]
	v_fmamk_f64 v[94:95], v[104:105], 0x3c91a62633145c00, v[94:95]
	v_add_f64_e32 v[96:97], v[96:97], v[98:99]
	s_delay_alu instid0(VALU_DEP_1) | instskip(NEXT) | instid1(VALU_DEP_1)
	v_add_f64_e64 v[94:95], v[96:97], -v[94:95]
	v_fmac_f64_e32 v[94:95], 0xb97b839a252049c0, v[104:105]
	s_delay_alu instid0(VALU_DEP_1) | instskip(NEXT) | instid1(VALU_DEP_1)
	v_add_f64_e32 v[98:99], v[82:83], v[94:95]
	v_add_f64_e64 v[82:83], v[98:99], -v[82:83]
	s_delay_alu instid0(VALU_DEP_1)
	v_add_f64_e64 v[102:103], v[94:95], -v[82:83]
.LBB149_48:                             ;   in Loop: Header=BB149_4 Depth=1
	s_or_b32 exec_lo, exec_lo, s5
	v_mul_f64_e32 v[82:83], 0.5, v[4:5]
	s_mov_b32 s6, exec_lo
                                        ; implicit-def: $vgpr128
                                        ; implicit-def: $vgpr94_vgpr95
                                        ; implicit-def: $vgpr96_vgpr97
	s_delay_alu instid0(VALU_DEP_1)
	v_cmpx_ngt_f64_e64 0x41d00000, |v[82:83]|
	s_xor_b32 s6, exec_lo, s6
	s_cbranch_execz .LBB149_50
; %bb.49:                               ;   in Loop: Header=BB149_4 Depth=1
	v_ldexp_f64 v[94:95], |v[82:83]|, 0xffffff80
	v_cmp_le_f64_e64 s5, 0x7b000000, |v[82:83]|
	v_trig_preop_f64 v[96:97], |v[82:83]|, 0
	v_and_b32_e32 v21, 0x7fffffff, v83
	v_trig_preop_f64 v[100:101], |v[82:83]|, 1
	v_trig_preop_f64 v[112:113], |v[82:83]|, 2
	s_delay_alu instid0(VALU_DEP_3) | instskip(NEXT) | instid1(VALU_DEP_1)
	v_dual_cndmask_b32 v95, v21, v95, s5 :: v_dual_cndmask_b32 v94, v82, v94, s5
	v_mul_f64_e32 v[104:105], v[96:97], v[94:95]
	s_delay_alu instid0(VALU_DEP_4) | instskip(NEXT) | instid1(VALU_DEP_4)
	v_mul_f64_e32 v[106:107], v[100:101], v[94:95]
	v_mul_f64_e32 v[118:119], v[112:113], v[94:95]
	s_delay_alu instid0(VALU_DEP_3) | instskip(NEXT) | instid1(VALU_DEP_3)
	v_fma_f64 v[96:97], v[96:97], v[94:95], -v[104:105]
	v_fma_f64 v[100:101], v[100:101], v[94:95], -v[106:107]
	s_delay_alu instid0(VALU_DEP_3) | instskip(NEXT) | instid1(VALU_DEP_3)
	v_fma_f64 v[94:95], v[112:113], v[94:95], -v[118:119]
	v_add_f64_e32 v[108:109], v[106:107], v[96:97]
	s_delay_alu instid0(VALU_DEP_1) | instskip(SKIP_1) | instid1(VALU_DEP_2)
	v_add_f64_e64 v[110:111], v[108:109], -v[106:107]
	v_add_f64_e32 v[116:117], v[104:105], v[108:109]
	v_add_f64_e64 v[114:115], v[108:109], -v[110:111]
	v_add_f64_e64 v[96:97], v[96:97], -v[110:111]
	s_delay_alu instid0(VALU_DEP_3) | instskip(NEXT) | instid1(VALU_DEP_3)
	v_ldexp_f64 v[110:111], v[116:117], -2
	v_add_f64_e64 v[106:107], v[106:107], -v[114:115]
	v_add_f64_e32 v[114:115], v[118:119], v[100:101]
	s_delay_alu instid0(VALU_DEP_3) | instskip(NEXT) | instid1(VALU_DEP_3)
	v_cmp_neq_f64_e64 s5, 0x7ff00000, |v[110:111]|
	v_add_f64_e32 v[96:97], v[96:97], v[106:107]
	v_fract_f64_e32 v[106:107], v[110:111]
	s_delay_alu instid0(VALU_DEP_1) | instskip(NEXT) | instid1(VALU_DEP_1)
	v_ldexp_f64 v[106:107], v[106:107], 2
	v_dual_add_f64 v[104:105], v[116:117], -v[104:105] :: v_dual_cndmask_b32 v106, 0, v106, s5
	s_delay_alu instid0(VALU_DEP_1) | instskip(SKIP_1) | instid1(VALU_DEP_1)
	v_dual_add_f64 v[104:105], v[108:109], -v[104:105] :: v_dual_cndmask_b32 v107, 0, v107, s5
	v_add_f64_e32 v[108:109], v[114:115], v[96:97]
	v_add_f64_e32 v[110:111], v[104:105], v[108:109]
	v_add_f64_e64 v[130:131], v[108:109], -v[114:115]
	s_delay_alu instid0(VALU_DEP_2) | instskip(NEXT) | instid1(VALU_DEP_2)
	v_add_f64_e32 v[116:117], v[110:111], v[106:107]
	v_add_f64_e64 v[136:137], v[108:109], -v[130:131]
	v_add_f64_e64 v[96:97], v[96:97], -v[130:131]
	;; [unrolled: 1-line block ×3, first 2 shown]
	s_delay_alu instid0(VALU_DEP_4) | instskip(SKIP_1) | instid1(VALU_DEP_3)
	v_cmp_gt_f64_e64 s5, 0, v[116:117]
	v_add_f64_e64 v[116:117], v[114:115], -v[118:119]
	v_add_f64_e64 v[104:105], v[108:109], -v[104:105]
	s_delay_alu instid0(VALU_DEP_3) | instskip(NEXT) | instid1(VALU_DEP_3)
	v_cndmask_b32_e64 v21, 0, 0x40100000, s5
	v_add_f64_e64 v[134:135], v[114:115], -v[116:117]
	v_add_f64_e64 v[100:101], v[100:101], -v[116:117]
	;; [unrolled: 1-line block ×3, first 2 shown]
	s_delay_alu instid0(VALU_DEP_4) | instskip(NEXT) | instid1(VALU_DEP_4)
	v_add_f64_e32 v[106:107], v[106:107], v[20:21]
	v_add_f64_e64 v[116:117], v[118:119], -v[134:135]
	s_delay_alu instid0(VALU_DEP_3) | instskip(NEXT) | instid1(VALU_DEP_3)
	v_add_f64_e32 v[96:97], v[96:97], v[114:115]
	v_add_f64_e32 v[132:133], v[110:111], v[106:107]
	s_delay_alu instid0(VALU_DEP_3) | instskip(NEXT) | instid1(VALU_DEP_2)
	v_add_f64_e32 v[100:101], v[100:101], v[116:117]
	v_cvt_i32_f64_e32 v21, v[132:133]
	s_delay_alu instid0(VALU_DEP_2) | instskip(NEXT) | instid1(VALU_DEP_2)
	v_add_f64_e32 v[96:97], v[100:101], v[96:97]
	v_cvt_f64_i32_e32 v[130:131], v21
	s_delay_alu instid0(VALU_DEP_2) | instskip(NEXT) | instid1(VALU_DEP_2)
	v_add_f64_e32 v[94:95], v[94:95], v[96:97]
	v_add_f64_e64 v[106:107], v[106:107], -v[130:131]
	s_delay_alu instid0(VALU_DEP_2) | instskip(NEXT) | instid1(VALU_DEP_2)
	v_add_f64_e32 v[94:95], v[104:105], v[94:95]
	v_add_f64_e32 v[100:101], v[110:111], v[106:107]
	s_delay_alu instid0(VALU_DEP_1) | instskip(SKIP_1) | instid1(VALU_DEP_2)
	v_add_f64_e64 v[96:97], v[100:101], -v[106:107]
	v_cmp_le_f64_e64 s5, 0.5, v[100:101]
	v_add_f64_e64 v[96:97], v[110:111], -v[96:97]
	s_delay_alu instid0(VALU_DEP_2) | instskip(SKIP_1) | instid1(VALU_DEP_3)
	v_add_co_ci_u32_e64 v128, null, 0, v21, s5
	v_cndmask_b32_e64 v21, 0, 0x3ff00000, s5
	v_add_f64_e32 v[94:95], v[94:95], v[96:97]
	s_delay_alu instid0(VALU_DEP_2) | instskip(NEXT) | instid1(VALU_DEP_1)
	v_add_f64_e64 v[96:97], v[100:101], -v[20:21]
	v_add_f64_e32 v[100:101], v[96:97], v[94:95]
	s_delay_alu instid0(VALU_DEP_1) | instskip(SKIP_1) | instid1(VALU_DEP_2)
	v_mul_f64_e32 v[104:105], 0x3ff921fb54442d18, v[100:101]
	v_add_f64_e64 v[96:97], v[100:101], -v[96:97]
	v_fma_f64 v[106:107], v[100:101], s[22:23], -v[104:105]
	s_delay_alu instid0(VALU_DEP_2) | instskip(NEXT) | instid1(VALU_DEP_2)
	v_add_f64_e64 v[94:95], v[94:95], -v[96:97]
	v_fmac_f64_e32 v[106:107], 0x3c91a62633145c07, v[100:101]
	s_delay_alu instid0(VALU_DEP_1) | instskip(NEXT) | instid1(VALU_DEP_1)
	v_fmac_f64_e32 v[106:107], 0x3ff921fb54442d18, v[94:95]
	v_add_f64_e32 v[94:95], v[104:105], v[106:107]
	s_delay_alu instid0(VALU_DEP_1) | instskip(NEXT) | instid1(VALU_DEP_1)
	v_add_f64_e64 v[96:97], v[94:95], -v[104:105]
	v_add_f64_e64 v[96:97], v[106:107], -v[96:97]
.LBB149_50:                             ;   in Loop: Header=BB149_4 Depth=1
	s_and_not1_saveexec_b32 s5, s6
	s_cbranch_execz .LBB149_52
; %bb.51:                               ;   in Loop: Header=BB149_4 Depth=1
	v_mul_f64_e64 v[94:95], |v[82:83]|, s[24:25]
	s_delay_alu instid0(VALU_DEP_1) | instskip(NEXT) | instid1(VALU_DEP_1)
	v_rndne_f64_e32 v[100:101], v[94:95]
	v_fma_f64 v[94:95], v[100:101], s[26:27], |v[82:83]|
	v_mul_f64_e32 v[96:97], 0xbc91a62633145c00, v[100:101]
	v_cvt_i32_f64_e32 v128, v[100:101]
	s_delay_alu instid0(VALU_DEP_3) | instskip(NEXT) | instid1(VALU_DEP_3)
	v_fmamk_f64 v[108:109], v[100:101], 0xbc91a62633145c00, v[94:95]
	v_add_f64_e32 v[104:105], v[94:95], v[96:97]
	s_delay_alu instid0(VALU_DEP_1) | instskip(NEXT) | instid1(VALU_DEP_3)
	v_add_f64_e64 v[106:107], v[94:95], -v[104:105]
	v_add_f64_e64 v[94:95], v[104:105], -v[108:109]
	s_delay_alu instid0(VALU_DEP_2) | instskip(SKIP_1) | instid1(VALU_DEP_2)
	v_add_f64_e32 v[104:105], v[106:107], v[96:97]
	v_fmamk_f64 v[96:97], v[100:101], 0x3c91a62633145c00, v[96:97]
	v_add_f64_e32 v[94:95], v[94:95], v[104:105]
	s_delay_alu instid0(VALU_DEP_1) | instskip(NEXT) | instid1(VALU_DEP_1)
	v_add_f64_e64 v[96:97], v[94:95], -v[96:97]
	v_fmac_f64_e32 v[96:97], 0xb97b839a252049c0, v[100:101]
	s_delay_alu instid0(VALU_DEP_1) | instskip(NEXT) | instid1(VALU_DEP_1)
	v_add_f64_e32 v[94:95], v[108:109], v[96:97]
	v_add_f64_e64 v[104:105], v[94:95], -v[108:109]
	s_delay_alu instid0(VALU_DEP_1)
	v_add_f64_e64 v[96:97], v[96:97], -v[104:105]
.LBB149_52:                             ;   in Loop: Header=BB149_4 Depth=1
	s_or_b32 exec_lo, exec_lo, s5
	v_cmp_ngt_f64_e64 s6, 0x41d00000, |v[4:5]|
	v_trig_preop_f64 v[114:115], |v[4:5]|, 0
	v_trig_preop_f64 v[112:113], |v[4:5]|, 1
	v_ldexp_f64 v[116:117], |v[4:5]|, 0xffffff80
	v_trig_preop_f64 v[110:111], |v[4:5]|, 2
	v_and_b32_e32 v132, 0x7fffffff, v5
                                        ; implicit-def: $vgpr130
                                        ; implicit-def: $vgpr100_vgpr101
                                        ; implicit-def: $vgpr104_vgpr105
	s_and_saveexec_b32 s5, s6
	s_delay_alu instid0(SALU_CYCLE_1)
	s_xor_b32 s7, exec_lo, s5
	s_cbranch_execz .LBB149_54
; %bb.53:                               ;   in Loop: Header=BB149_4 Depth=1
	v_cmp_le_f64_e64 s5, 0x7b000000, |v[4:5]|
	s_delay_alu instid0(VALU_DEP_1) | instskip(SKIP_1) | instid1(VALU_DEP_1)
	v_cndmask_b32_e64 v101, v132, v117, s5
	v_cndmask_b32_e64 v100, v4, v116, s5
	v_mul_f64_e32 v[104:105], v[114:115], v[100:101]
	v_mul_f64_e32 v[106:107], v[112:113], v[100:101]
	s_delay_alu instid0(VALU_DEP_2) | instskip(NEXT) | instid1(VALU_DEP_1)
	v_fma_f64 v[108:109], v[114:115], v[100:101], -v[104:105]
	v_add_f64_e32 v[118:119], v[106:107], v[108:109]
	s_delay_alu instid0(VALU_DEP_1) | instskip(SKIP_1) | instid1(VALU_DEP_2)
	v_add_f64_e64 v[130:131], v[118:119], -v[106:107]
	v_add_f64_e32 v[136:137], v[104:105], v[118:119]
	v_add_f64_e64 v[134:135], v[118:119], -v[130:131]
	v_add_f64_e64 v[108:109], v[108:109], -v[130:131]
	s_delay_alu instid0(VALU_DEP_3) | instskip(SKIP_2) | instid1(VALU_DEP_3)
	v_ldexp_f64 v[130:131], v[136:137], -2
	v_fma_f64 v[140:141], v[112:113], v[100:101], -v[106:107]
	v_mul_f64_e32 v[138:139], v[110:111], v[100:101]
	v_cmp_neq_f64_e64 s5, 0x7ff00000, |v[130:131]|
	v_add_f64_e64 v[106:107], v[106:107], -v[134:135]
	s_delay_alu instid0(VALU_DEP_3) | instskip(SKIP_1) | instid1(VALU_DEP_3)
	v_add_f64_e32 v[134:135], v[138:139], v[140:141]
	v_fma_f64 v[100:101], v[110:111], v[100:101], -v[138:139]
	v_add_f64_e32 v[106:107], v[108:109], v[106:107]
	v_fract_f64_e32 v[108:109], v[130:131]
	s_delay_alu instid0(VALU_DEP_1) | instskip(NEXT) | instid1(VALU_DEP_1)
	v_ldexp_f64 v[108:109], v[108:109], 2
	v_cndmask_b32_e64 v109, 0, v109, s5
	v_add_f64_e64 v[104:105], v[136:137], -v[104:105]
	s_delay_alu instid0(VALU_DEP_3) | instskip(NEXT) | instid1(VALU_DEP_2)
	v_cndmask_b32_e64 v108, 0, v108, s5
	v_add_f64_e64 v[104:105], v[118:119], -v[104:105]
	v_add_f64_e32 v[118:119], v[134:135], v[106:107]
	s_delay_alu instid0(VALU_DEP_1) | instskip(SKIP_1) | instid1(VALU_DEP_2)
	v_add_f64_e32 v[130:131], v[104:105], v[118:119]
	v_add_f64_e64 v[142:143], v[118:119], -v[134:135]
	v_add_f64_e32 v[136:137], v[130:131], v[108:109]
	s_delay_alu instid0(VALU_DEP_2) | instskip(SKIP_2) | instid1(VALU_DEP_4)
	v_add_f64_e64 v[148:149], v[118:119], -v[142:143]
	v_add_f64_e64 v[106:107], v[106:107], -v[142:143]
	;; [unrolled: 1-line block ×3, first 2 shown]
	v_cmp_gt_f64_e64 s5, 0, v[136:137]
	v_add_f64_e64 v[136:137], v[134:135], -v[138:139]
	s_delay_alu instid0(VALU_DEP_3) | instskip(NEXT) | instid1(VALU_DEP_3)
	v_add_f64_e64 v[104:105], v[118:119], -v[104:105]
	v_cndmask_b32_e64 v21, 0, 0x40100000, s5
	s_delay_alu instid0(VALU_DEP_3) | instskip(SKIP_2) | instid1(VALU_DEP_4)
	v_add_f64_e64 v[146:147], v[134:135], -v[136:137]
	v_add_f64_e64 v[136:137], v[140:141], -v[136:137]
	;; [unrolled: 1-line block ×3, first 2 shown]
	v_add_f64_e32 v[108:109], v[108:109], v[20:21]
	s_delay_alu instid0(VALU_DEP_4) | instskip(NEXT) | instid1(VALU_DEP_3)
	v_add_f64_e64 v[140:141], v[138:139], -v[146:147]
	v_add_f64_e32 v[106:107], v[106:107], v[134:135]
	s_delay_alu instid0(VALU_DEP_3) | instskip(NEXT) | instid1(VALU_DEP_3)
	v_add_f64_e32 v[144:145], v[130:131], v[108:109]
	v_add_f64_e32 v[136:137], v[136:137], v[140:141]
	s_delay_alu instid0(VALU_DEP_2) | instskip(NEXT) | instid1(VALU_DEP_2)
	v_cvt_i32_f64_e32 v21, v[144:145]
	v_add_f64_e32 v[106:107], v[136:137], v[106:107]
	s_delay_alu instid0(VALU_DEP_2) | instskip(NEXT) | instid1(VALU_DEP_2)
	v_cvt_f64_i32_e32 v[142:143], v21
	v_add_f64_e32 v[100:101], v[100:101], v[106:107]
	s_delay_alu instid0(VALU_DEP_2) | instskip(NEXT) | instid1(VALU_DEP_2)
	v_add_f64_e64 v[108:109], v[108:109], -v[142:143]
	v_add_f64_e32 v[100:101], v[104:105], v[100:101]
	s_delay_alu instid0(VALU_DEP_2) | instskip(NEXT) | instid1(VALU_DEP_1)
	v_add_f64_e32 v[134:135], v[130:131], v[108:109]
	v_add_f64_e64 v[106:107], v[134:135], -v[108:109]
	v_cmp_le_f64_e64 s5, 0.5, v[134:135]
	s_delay_alu instid0(VALU_DEP_2) | instskip(NEXT) | instid1(VALU_DEP_2)
	v_add_f64_e64 v[104:105], v[130:131], -v[106:107]
	v_add_co_ci_u32_e64 v130, null, 0, v21, s5
	v_cndmask_b32_e64 v21, 0, 0x3ff00000, s5
	s_delay_alu instid0(VALU_DEP_3) | instskip(NEXT) | instid1(VALU_DEP_2)
	v_add_f64_e32 v[100:101], v[100:101], v[104:105]
	v_add_f64_e64 v[104:105], v[134:135], -v[20:21]
	s_delay_alu instid0(VALU_DEP_1) | instskip(NEXT) | instid1(VALU_DEP_1)
	v_add_f64_e32 v[106:107], v[104:105], v[100:101]
	v_mul_f64_e32 v[108:109], 0x3ff921fb54442d18, v[106:107]
	v_add_f64_e64 v[104:105], v[106:107], -v[104:105]
	s_delay_alu instid0(VALU_DEP_2) | instskip(NEXT) | instid1(VALU_DEP_2)
	v_fma_f64 v[118:119], v[106:107], s[22:23], -v[108:109]
	v_add_f64_e64 v[100:101], v[100:101], -v[104:105]
	s_delay_alu instid0(VALU_DEP_2) | instskip(NEXT) | instid1(VALU_DEP_1)
	v_fmac_f64_e32 v[118:119], 0x3c91a62633145c07, v[106:107]
	v_fmac_f64_e32 v[118:119], 0x3ff921fb54442d18, v[100:101]
	s_delay_alu instid0(VALU_DEP_1) | instskip(NEXT) | instid1(VALU_DEP_1)
	v_add_f64_e32 v[100:101], v[108:109], v[118:119]
	v_add_f64_e64 v[104:105], v[100:101], -v[108:109]
	s_delay_alu instid0(VALU_DEP_1)
	v_add_f64_e64 v[104:105], v[118:119], -v[104:105]
.LBB149_54:                             ;   in Loop: Header=BB149_4 Depth=1
	s_or_saveexec_b32 s5, s7
	v_mul_f64_e64 v[106:107], |v[4:5]|, s[24:25]
	s_delay_alu instid0(VALU_DEP_1)
	v_rndne_f64_e32 v[118:119], v[106:107]
	s_xor_b32 exec_lo, exec_lo, s5
	s_cbranch_execz .LBB149_56
; %bb.55:                               ;   in Loop: Header=BB149_4 Depth=1
	s_delay_alu instid0(VALU_DEP_1) | instskip(SKIP_1) | instid1(VALU_DEP_2)
	v_fma_f64 v[100:101], v[118:119], s[26:27], |v[4:5]|
	v_mul_f64_e32 v[104:105], 0xbc91a62633145c00, v[118:119]
	v_fmamk_f64 v[130:131], v[118:119], 0xbc91a62633145c00, v[100:101]
	s_delay_alu instid0(VALU_DEP_2) | instskip(NEXT) | instid1(VALU_DEP_1)
	v_add_f64_e32 v[106:107], v[100:101], v[104:105]
	v_add_f64_e64 v[108:109], v[100:101], -v[106:107]
	s_delay_alu instid0(VALU_DEP_3) | instskip(NEXT) | instid1(VALU_DEP_2)
	v_add_f64_e64 v[100:101], v[106:107], -v[130:131]
	v_add_f64_e32 v[106:107], v[108:109], v[104:105]
	v_fmamk_f64 v[104:105], v[118:119], 0x3c91a62633145c00, v[104:105]
	s_delay_alu instid0(VALU_DEP_2) | instskip(NEXT) | instid1(VALU_DEP_1)
	v_add_f64_e32 v[100:101], v[100:101], v[106:107]
	v_add_f64_e64 v[104:105], v[100:101], -v[104:105]
	s_delay_alu instid0(VALU_DEP_1) | instskip(NEXT) | instid1(VALU_DEP_1)
	v_fmac_f64_e32 v[104:105], 0xb97b839a252049c0, v[118:119]
	v_add_f64_e32 v[100:101], v[130:131], v[104:105]
	s_delay_alu instid0(VALU_DEP_1) | instskip(SKIP_1) | instid1(VALU_DEP_2)
	v_add_f64_e64 v[106:107], v[100:101], -v[130:131]
	v_cvt_i32_f64_e32 v130, v[118:119]
	v_add_f64_e64 v[104:105], v[104:105], -v[106:107]
.LBB149_56:                             ;   in Loop: Header=BB149_4 Depth=1
	s_or_b32 exec_lo, exec_lo, s5
                                        ; implicit-def: $vgpr131
                                        ; implicit-def: $vgpr106_vgpr107
                                        ; implicit-def: $vgpr108_vgpr109
	s_and_saveexec_b32 s5, s6
	s_delay_alu instid0(SALU_CYCLE_1)
	s_xor_b32 s6, exec_lo, s5
	s_cbranch_execz .LBB149_62
; %bb.57:                               ;   in Loop: Header=BB149_4 Depth=1
	v_cmp_le_f64_e64 s5, 0x7b000000, |v[4:5]|
	s_delay_alu instid0(VALU_DEP_1) | instskip(SKIP_1) | instid1(VALU_DEP_1)
	v_cndmask_b32_e64 v107, v132, v117, s5
	v_cndmask_b32_e64 v106, v4, v116, s5
	v_mul_f64_e32 v[108:109], v[114:115], v[106:107]
	v_mul_f64_e32 v[116:117], v[112:113], v[106:107]
	s_delay_alu instid0(VALU_DEP_2) | instskip(NEXT) | instid1(VALU_DEP_2)
	v_fma_f64 v[114:115], v[114:115], v[106:107], -v[108:109]
	v_fma_f64 v[112:113], v[112:113], v[106:107], -v[116:117]
	s_delay_alu instid0(VALU_DEP_2) | instskip(NEXT) | instid1(VALU_DEP_1)
	v_add_f64_e32 v[118:119], v[116:117], v[114:115]
	v_add_f64_e64 v[132:133], v[118:119], -v[116:117]
	v_add_f64_e32 v[136:137], v[108:109], v[118:119]
	s_delay_alu instid0(VALU_DEP_2) | instskip(SKIP_1) | instid1(VALU_DEP_3)
	v_add_f64_e64 v[134:135], v[118:119], -v[132:133]
	v_add_f64_e64 v[114:115], v[114:115], -v[132:133]
	v_ldexp_f64 v[132:133], v[136:137], -2
	s_delay_alu instid0(VALU_DEP_3) | instskip(NEXT) | instid1(VALU_DEP_2)
	v_add_f64_e64 v[116:117], v[116:117], -v[134:135]
	v_cmp_neq_f64_e64 s5, 0x7ff00000, |v[132:133]|
	s_delay_alu instid0(VALU_DEP_2) | instskip(SKIP_1) | instid1(VALU_DEP_1)
	v_add_f64_e32 v[114:115], v[114:115], v[116:117]
	v_fract_f64_e32 v[116:117], v[132:133]
	v_ldexp_f64 v[116:117], v[116:117], 2
	s_delay_alu instid0(VALU_DEP_1) | instskip(NEXT) | instid1(VALU_DEP_2)
	v_dual_mul_f64 v[138:139], v[110:111], v[106:107] :: v_dual_cndmask_b32 v117, 0, v117, s5
	v_cndmask_b32_e64 v116, 0, v116, s5
	v_add_f64_e64 v[108:109], v[136:137], -v[108:109]
	s_delay_alu instid0(VALU_DEP_3) | instskip(NEXT) | instid1(VALU_DEP_2)
	v_add_f64_e32 v[134:135], v[138:139], v[112:113]
	v_add_f64_e64 v[108:109], v[118:119], -v[108:109]
	s_delay_alu instid0(VALU_DEP_2) | instskip(SKIP_1) | instid1(VALU_DEP_2)
	v_add_f64_e32 v[118:119], v[134:135], v[114:115]
	v_fma_f64 v[106:107], v[110:111], v[106:107], -v[138:139]
	v_add_f64_e32 v[132:133], v[108:109], v[118:119]
	v_add_f64_e64 v[140:141], v[118:119], -v[134:135]
	s_delay_alu instid0(VALU_DEP_2) | instskip(NEXT) | instid1(VALU_DEP_2)
	v_add_f64_e32 v[136:137], v[132:133], v[116:117]
	v_add_f64_e64 v[146:147], v[118:119], -v[140:141]
	v_add_f64_e64 v[114:115], v[114:115], -v[140:141]
	;; [unrolled: 1-line block ×3, first 2 shown]
	s_delay_alu instid0(VALU_DEP_4) | instskip(SKIP_1) | instid1(VALU_DEP_3)
	v_cmp_gt_f64_e64 s5, 0, v[136:137]
	v_add_f64_e64 v[136:137], v[134:135], -v[138:139]
	v_add_f64_e64 v[108:109], v[118:119], -v[108:109]
                                        ; implicit-def: $vgpr118_vgpr119
	s_delay_alu instid0(VALU_DEP_3) | instskip(NEXT) | instid1(VALU_DEP_3)
	v_cndmask_b32_e64 v21, 0, 0x40100000, s5
	v_add_f64_e64 v[144:145], v[134:135], -v[136:137]
	v_add_f64_e64 v[112:113], v[112:113], -v[136:137]
	;; [unrolled: 1-line block ×3, first 2 shown]
	s_delay_alu instid0(VALU_DEP_4) | instskip(NEXT) | instid1(VALU_DEP_4)
	v_add_f64_e32 v[116:117], v[116:117], v[20:21]
	v_add_f64_e64 v[136:137], v[138:139], -v[144:145]
	s_delay_alu instid0(VALU_DEP_3) | instskip(NEXT) | instid1(VALU_DEP_3)
	v_add_f64_e32 v[114:115], v[114:115], v[134:135]
	v_add_f64_e32 v[142:143], v[132:133], v[116:117]
	s_delay_alu instid0(VALU_DEP_3) | instskip(NEXT) | instid1(VALU_DEP_2)
	v_add_f64_e32 v[112:113], v[112:113], v[136:137]
	v_cvt_i32_f64_e32 v21, v[142:143]
	s_delay_alu instid0(VALU_DEP_2) | instskip(NEXT) | instid1(VALU_DEP_2)
	v_add_f64_e32 v[110:111], v[112:113], v[114:115]
	v_cvt_f64_i32_e32 v[140:141], v21
	s_delay_alu instid0(VALU_DEP_2) | instskip(NEXT) | instid1(VALU_DEP_2)
	v_add_f64_e32 v[106:107], v[106:107], v[110:111]
	v_add_f64_e64 v[116:117], v[116:117], -v[140:141]
	s_delay_alu instid0(VALU_DEP_2) | instskip(NEXT) | instid1(VALU_DEP_2)
	v_add_f64_e32 v[106:107], v[108:109], v[106:107]
	v_add_f64_e32 v[112:113], v[132:133], v[116:117]
	s_delay_alu instid0(VALU_DEP_1) | instskip(SKIP_1) | instid1(VALU_DEP_2)
	v_add_f64_e64 v[110:111], v[112:113], -v[116:117]
	v_cmp_le_f64_e64 s5, 0.5, v[112:113]
	v_add_f64_e64 v[108:109], v[132:133], -v[110:111]
	s_delay_alu instid0(VALU_DEP_2) | instskip(SKIP_1) | instid1(VALU_DEP_3)
	v_add_co_ci_u32_e64 v131, null, 0, v21, s5
	v_cndmask_b32_e64 v21, 0, 0x3ff00000, s5
	v_add_f64_e32 v[106:107], v[106:107], v[108:109]
	s_delay_alu instid0(VALU_DEP_2) | instskip(NEXT) | instid1(VALU_DEP_1)
	v_add_f64_e64 v[108:109], v[112:113], -v[20:21]
	v_add_f64_e32 v[110:111], v[108:109], v[106:107]
	s_delay_alu instid0(VALU_DEP_1) | instskip(SKIP_1) | instid1(VALU_DEP_2)
	v_mul_f64_e32 v[112:113], 0x3ff921fb54442d18, v[110:111]
	v_add_f64_e64 v[108:109], v[110:111], -v[108:109]
	v_fma_f64 v[114:115], v[110:111], s[22:23], -v[112:113]
	s_delay_alu instid0(VALU_DEP_2) | instskip(NEXT) | instid1(VALU_DEP_2)
	v_add_f64_e64 v[106:107], v[106:107], -v[108:109]
	v_fmac_f64_e32 v[114:115], 0x3c91a62633145c07, v[110:111]
	s_delay_alu instid0(VALU_DEP_1) | instskip(NEXT) | instid1(VALU_DEP_1)
	v_fmac_f64_e32 v[114:115], 0x3ff921fb54442d18, v[106:107]
	v_add_f64_e32 v[106:107], v[112:113], v[114:115]
	s_delay_alu instid0(VALU_DEP_1) | instskip(NEXT) | instid1(VALU_DEP_1)
	v_add_f64_e64 v[108:109], v[106:107], -v[112:113]
	v_add_f64_e64 v[108:109], v[114:115], -v[108:109]
	s_and_not1_saveexec_b32 s5, s6
	s_cbranch_execnz .LBB149_63
.LBB149_58:                             ;   in Loop: Header=BB149_4 Depth=1
	s_or_b32 exec_lo, exec_lo, s5
	s_and_saveexec_b32 s5, s4
	s_delay_alu instid0(SALU_CYCLE_1)
	s_xor_b32 s13, exec_lo, s5
	s_cbranch_execz .LBB149_64
.LBB149_59:                             ;   in Loop: Header=BB149_4 Depth=1
	v_mul_f64_e32 v[110:111], 0x3ff71547652b82fe, v[14:15]
	v_mul_f64_e32 v[112:113], v[58:59], v[58:59]
	v_cmp_class_f64_e64 s5, v[54:55], 0x1f8
	v_dual_mul_f64 v[116:117], v[62:63], v[62:63] :: v_dual_bitop2_b32 v54, 1, v120 bitop3:0x40
	v_cmp_class_f64_e64 s9, v[16:17], 0x1f8
	v_and_b32_e32 v16, 1, v121
	v_cmp_ngt_f64_e64 s8, 0xc090cc00, v[14:15]
	s_delay_alu instid0(VALU_DEP_4)
	v_cmp_eq_u32_e64 s6, 0, v54
	v_mul_f64_e32 v[136:137], 0.5, v[60:61]
	v_mul_f64_e32 v[152:153], 0.5, v[68:69]
	v_cmp_eq_u32_e64 s10, 0, v16
	v_mul_f64_e32 v[154:155], 0.5, v[80:81]
	v_cmp_nlt_f64_e64 s7, 0x40900000, v[14:15]
	v_rndne_f64_e32 v[110:111], v[110:111]
	v_mul_f64_e32 v[114:115], 0.5, v[112:113]
	v_mul_f64_e64 v[140:141], v[58:59], -v[112:113]
	v_fmamk_f64 v[146:147], v[112:113], 0x3de5e0b2f9a43bb8, v[44:45]
	v_fmamk_f64 v[156:157], v[112:113], 0xbda907db46cc5e42, v[30:31]
	v_mul_f64_e32 v[162:163], v[112:113], v[112:113]
	v_mul_f64_e64 v[158:159], v[62:63], -v[116:117]
	v_fmamk_f64 v[160:161], v[116:117], 0x3de5e0b2f9a43bb8, v[44:45]
	v_fmaak_f64 v[146:147], v[112:113], v[146:147], 0x3ec71de3796cde01
	s_delay_alu instid0(VALU_DEP_2) | instskip(NEXT) | instid1(VALU_DEP_2)
	v_fmaak_f64 v[160:161], v[116:117], v[160:161], 0x3ec71de3796cde01
	v_fmaak_f64 v[146:147], v[112:113], v[146:147], 0xbf2a01a019e83e5c
	s_delay_alu instid0(VALU_DEP_2) | instskip(NEXT) | instid1(VALU_DEP_2)
	v_fmaak_f64 v[160:161], v[116:117], v[160:161], 0xbf2a01a019e83e5c
	v_fmaak_f64 v[146:147], v[112:113], v[146:147], 0x3f81111111110bb3
	s_delay_alu instid0(VALU_DEP_2) | instskip(SKIP_2) | instid1(VALU_DEP_4)
	v_fmaak_f64 v[160:161], v[116:117], v[160:161], 0x3f81111111110bb3
	v_fmamk_f64 v[118:119], v[110:111], 0xbfe62e42fefa39ef, v[14:15]
	v_add_f64_e64 v[134:135], -v[114:115], 1.0
	v_fmac_f64_e32 v[136:137], v[140:141], v[146:147]
	v_cvt_i32_f64_e32 v21, v[110:111]
	v_cmp_eq_f64_e64 s4, 0x40900000, v[110:111]
	v_fmac_f64_e32 v[152:153], v[158:159], v[160:161]
	v_fmac_f64_e32 v[118:119], 0xbc7abc9e3b39803f, v[110:111]
	v_add_f64_e64 v[144:145], -v[134:135], 1.0
	v_fma_f64 v[136:137], v[112:113], v[136:137], -v[60:61]
	v_ldexp_f64 v[110:111], 1.0, v21
	v_fma_f64 v[152:153], v[116:117], v[152:153], -v[68:69]
	v_fmamk_f64 v[148:149], v[118:119], 0x3e21f32ea9d67f34, v[28:29]
	s_delay_alu instid0(VALU_DEP_1) | instskip(NEXT) | instid1(VALU_DEP_1)
	v_fmaak_f64 v[148:149], v[118:119], v[148:149], 0x3e927e500e0ac05b
	v_fmaak_f64 v[148:149], v[118:119], v[148:149], 0x3ec71de01b889c29
	s_delay_alu instid0(VALU_DEP_1) | instskip(SKIP_2) | instid1(VALU_DEP_3)
	v_fmaak_f64 v[148:149], v[118:119], v[148:149], 0x3efa01a0197bcfd8
	v_add_f64_e64 v[114:115], v[144:145], -v[114:115]
	v_fmac_f64_e32 v[136:137], 0xbfc5555555555555, v[140:141]
	v_fmaak_f64 v[148:149], v[118:119], v[148:149], 0x3f2a01a01ac1a723
	v_fmamk_f64 v[144:145], v[118:119], 0x3e5ade156a5dcb37, v[26:27]
	v_cndmask_b32_e64 v111, v111, 0x7fe00000, s4
	v_fmac_f64_e32 v[152:153], 0xbfc5555555555555, v[158:159]
	v_cndmask_b32_e64 v110, v110, 0, s4
	v_fmaak_f64 v[148:149], v[118:119], v[148:149], 0x3f56c16c16c18931
	v_fmaak_f64 v[144:145], v[118:119], v[144:145], 0x3ec71dee623fde64
	s_delay_alu instid0(VALU_DEP_2) | instskip(NEXT) | instid1(VALU_DEP_2)
	v_fmaak_f64 v[148:149], v[118:119], v[148:149], 0x3f81111111110056
	v_fmaak_f64 v[144:145], v[118:119], v[144:145], 0x3efa01997c89e6b0
	s_delay_alu instid0(VALU_DEP_2) | instskip(NEXT) | instid1(VALU_DEP_2)
	;; [unrolled: 3-line block ×3, first 2 shown]
	v_fmaak_f64 v[148:149], v[118:119], v[148:149], 0x3fc5555555555557
	v_fmaak_f64 v[144:145], v[118:119], v[144:145], 0x3f56c16c1852b7b0
	v_fma_f64 v[60:61], v[58:59], -v[60:61], v[114:115]
	v_add_f64_e64 v[58:59], v[58:59], -v[136:137]
	s_delay_alu instid0(VALU_DEP_4) | instskip(SKIP_2) | instid1(VALU_DEP_2)
	v_fma_f64 v[114:115], v[118:119], v[148:149], 0.5
	v_fmaak_f64 v[148:149], v[112:113], v[156:157], 0xbe927e4fa17f65f6
	v_fmaak_f64 v[144:145], v[118:119], v[144:145], 0x3f81111111122322
	;; [unrolled: 1-line block ×3, first 2 shown]
	s_delay_alu instid0(VALU_DEP_2) | instskip(NEXT) | instid1(VALU_DEP_2)
	v_fmaak_f64 v[144:145], v[118:119], v[144:145], 0x3fa55555555502a1
	v_fmaak_f64 v[148:149], v[112:113], v[148:149], 0xbf56c16c16c16967
	s_delay_alu instid0(VALU_DEP_2) | instskip(NEXT) | instid1(VALU_DEP_2)
	v_fmaak_f64 v[144:145], v[118:119], v[144:145], 0x3fc5555555555511
	v_fmaak_f64 v[112:113], v[112:113], v[148:149], 0x3fa5555555555555
	s_delay_alu instid0(VALU_DEP_2) | instskip(NEXT) | instid1(VALU_DEP_2)
	v_fmaak_f64 v[144:145], v[118:119], v[144:145], 0x3fe000000000000b
	v_fmac_f64_e32 v[60:61], v[162:163], v[112:113]
	v_mul_f64_e32 v[112:113], v[118:119], v[114:115]
	v_fmamk_f64 v[114:115], v[116:117], 0xbda907db46cc5e42, v[30:31]
	s_delay_alu instid0(VALU_DEP_1) | instskip(NEXT) | instid1(VALU_DEP_1)
	v_fmaak_f64 v[114:115], v[116:117], v[114:115], 0xbe927e4fa17f65f6
	v_fmaak_f64 v[114:115], v[116:117], v[114:115], 0x3efa01a019f4ec90
	s_delay_alu instid0(VALU_DEP_1) | instskip(SKIP_2) | instid1(VALU_DEP_3)
	v_fmaak_f64 v[114:115], v[116:117], v[114:115], 0xbf56c16c16c16967
	v_add_f64_e32 v[60:61], v[134:135], v[60:61]
	v_mul_f64_e32 v[138:139], 0.5, v[116:117]
	v_fmaak_f64 v[114:115], v[116:117], v[114:115], 0x3fa5555555555555
	s_delay_alu instid0(VALU_DEP_3) | instskip(SKIP_1) | instid1(VALU_DEP_4)
	v_cndmask_b32_e64 v58, v60, v58, s6
	v_mul_f64_e32 v[132:133], v[72:73], v[72:73]
	v_add_f64_e64 v[150:151], -v[138:139], 1.0
	s_delay_alu instid0(VALU_DEP_2) | instskip(NEXT) | instid1(VALU_DEP_2)
	v_mul_f64_e32 v[142:143], 0.5, v[132:133]
	v_add_f64_e64 v[168:169], -v[150:151], 1.0
	s_delay_alu instid0(VALU_DEP_2) | instskip(NEXT) | instid1(VALU_DEP_2)
	v_add_f64_e64 v[146:147], -v[142:143], 1.0
	v_add_f64_e64 v[138:139], v[168:169], -v[138:139]
	s_delay_alu instid0(VALU_DEP_2) | instskip(NEXT) | instid1(VALU_DEP_2)
	v_add_f64_e64 v[170:171], -v[146:147], 1.0
	v_fma_f64 v[68:69], v[62:63], -v[68:69], v[138:139]
	s_delay_alu instid0(VALU_DEP_2) | instskip(SKIP_3) | instid1(VALU_DEP_1)
	v_add_f64_e64 v[140:141], v[170:171], -v[142:143]
	v_fma_f64 v[142:143], v[118:119], v[144:145], 1.0
	v_mul_f64_e32 v[144:145], v[116:117], v[116:117]
	v_lshlrev_b32_e32 v116, 30, v120
	v_xor_b32_e32 v54, v116, v55
	v_cndmask_b32_e64 v55, v61, v59, s6
	v_cmp_ngt_f64_e64 s6, 0xc0428000, v[14:15]
	v_add_f64_e64 v[60:61], v[62:63], -v[152:153]
	s_delay_alu instid0(VALU_DEP_3) | instskip(SKIP_3) | instid1(VALU_DEP_4)
	v_bitop3_b32 v55, v55, v54, 0x80000000 bitop3:0x78
	v_dual_mul_f64 v[164:165], v[72:73], -v[132:133] :: v_dual_cndmask_b32 v54, 0, v58, s5
	v_fmamk_f64 v[166:167], v[132:133], 0x3de5e0b2f9a43bb8, v[44:45]
	v_mul_f64_e32 v[148:149], v[132:133], v[132:133]
	v_cndmask_b32_e64 v55, 0x7ff80000, v55, s5
	v_cmp_nlt_f64_e64 s5, s[28:29], v[14:15]
	s_delay_alu instid0(VALU_DEP_4) | instskip(NEXT) | instid1(VALU_DEP_1)
	v_fmaak_f64 v[156:157], v[132:133], v[166:167], 0x3ec71de3796cde01
	v_fmaak_f64 v[156:157], v[132:133], v[156:157], 0xbf2a01a019e83e5c
	v_fma_f64 v[136:137], v[118:119], v[142:143], 1.0
	v_fmac_f64_e32 v[68:69], v[144:145], v[114:115]
	s_delay_alu instid0(VALU_DEP_3) | instskip(SKIP_1) | instid1(VALU_DEP_2)
	v_fmaak_f64 v[156:157], v[132:133], v[156:157], 0x3f81111111110bb3
	v_xor_b32_e32 v16, 0x80000000, v61
	v_fmac_f64_e32 v[154:155], v[164:165], v[156:157]
	v_fmamk_f64 v[156:157], v[132:133], 0xbda907db46cc5e42, v[30:31]
	s_and_b32 s12, s6, s5
	v_add_f64_e32 v[58:59], v[54:55], v[54:55]
	v_add_f64_e32 v[62:63], v[150:151], v[68:69]
	s_delay_alu instid0(VALU_DEP_2)
	v_dual_mul_f64 v[54:55], v[58:59], v[54:55] :: v_dual_lshlrev_b32 v58, 30, v124
	v_fma_f64 v[154:155], v[132:133], v[154:155], -v[80:81]
	v_fma_f64 v[80:81], v[72:73], -v[80:81], v[140:141]
	v_lshlrev_b32_e32 v59, 30, v121
	v_fmac_f64_e32 v[118:119], v[118:119], v[112:113]
	v_fmaak_f64 v[112:113], v[132:133], v[156:157], 0xbe927e4fa17f65f6
	v_xor_b32_e32 v17, v58, v17
	s_delay_alu instid0(VALU_DEP_2) | instskip(SKIP_1) | instid1(VALU_DEP_1)
	v_fmaak_f64 v[112:113], v[132:133], v[112:113], 0x3efa01a019f4ec90
	v_cndmask_b32_e64 v16, v16, v63, s10
	v_bitop3_b32 v59, v16, v59, 0x80000000 bitop3:0x78
	s_delay_alu instid0(VALU_DEP_3) | instskip(NEXT) | instid1(VALU_DEP_1)
	v_fmaak_f64 v[112:113], v[132:133], v[112:113], 0xbf56c16c16c16967
	v_fmaak_f64 v[112:113], v[132:133], v[112:113], 0x3fa5555555555555
	v_fmac_f64_e32 v[154:155], 0xbfc5555555555555, v[164:165]
	s_delay_alu instid0(VALU_DEP_2) | instskip(NEXT) | instid1(VALU_DEP_2)
	v_fmac_f64_e32 v[80:81], v[148:149], v[112:113]
	v_add_f64_e64 v[14:15], v[72:73], -v[154:155]
	s_delay_alu instid0(VALU_DEP_2) | instskip(SKIP_2) | instid1(VALU_DEP_1)
	v_add_f64_e32 v[68:69], v[146:147], v[80:81]
	v_ldexp_f64 v[80:81], v[136:137], v21
	v_and_b32_e32 v21, 1, v124
	v_cmp_eq_u32_e64 s11, 0, v21
	v_cndmask_b32_e64 v21, v60, v62, s10
	v_add_f64_e32 v[138:139], -1.0, v[110:111]
	s_and_b32 s10, s8, s7
	s_delay_alu instid0(VALU_DEP_2) | instskip(SKIP_1) | instid1(VALU_DEP_2)
	v_dual_cndmask_b32 v58, v68, v14, s11 :: v_dual_cndmask_b32 v14, 0, v21, s9
	v_cndmask_b32_e64 v62, 0x7ff00000, v81, s7
	v_dual_cndmask_b32 v16, 0, v58, s9 :: v_dual_cndmask_b32 v58, 0, v80, s10
	s_delay_alu instid0(VALU_DEP_4) | instskip(NEXT) | instid1(VALU_DEP_1)
	v_fmac_f64_e32 v[138:139], v[110:111], v[118:119]
	v_add_f64_e32 v[72:73], v[138:139], v[138:139]
	s_delay_alu instid0(VALU_DEP_1) | instskip(NEXT) | instid1(VALU_DEP_2)
	v_dual_cndmask_b32 v21, v139, v73, s4 :: v_dual_cndmask_b32 v15, v69, v15, s11
	v_cndmask_b32_e64 v60, v138, v72, s4
	s_delay_alu instid0(VALU_DEP_2) | instskip(NEXT) | instid1(VALU_DEP_3)
	v_cndmask_b32_e64 v21, 0x7ff00000, v21, s5
	v_bitop3_b32 v17, v15, v17, 0x80000000 bitop3:0x78
	v_cndmask_b32_e64 v15, 0x7ff80000, v59, s9
	s_delay_alu instid0(VALU_DEP_4) | instskip(NEXT) | instid1(VALU_DEP_4)
	v_dual_cndmask_b32 v60, 0, v60, s12 :: v_dual_cndmask_b32 v59, 0, v62, s8
	v_cndmask_b32_e64 v61, 0xbff00000, v21, s6
	s_delay_alu instid0(VALU_DEP_4) | instskip(NEXT) | instid1(VALU_DEP_2)
	v_cndmask_b32_e64 v17, 0x7ff80000, v17, s9
	v_fma_f64 v[14:15], v[60:61], v[14:15], -v[54:55]
	s_delay_alu instid0(VALU_DEP_2)
	v_mul_f64_e32 v[16:17], v[58:59], v[16:17]
	global_store_b128 v[52:53], v[14:17], off
	s_wait_xcnt 0x0
	s_or_b32 exec_lo, exec_lo, s13
	s_and_saveexec_b32 s11, s3
	s_cbranch_execnz .LBB149_65
.LBB149_60:                             ;   in Loop: Header=BB149_4 Depth=1
	s_or_b32 exec_lo, exec_lo, s11
	s_and_saveexec_b32 s10, s2
	s_cbranch_execz .LBB149_66
.LBB149_61:                             ;   in Loop: Header=BB149_4 Depth=1
	v_mul_f64_e32 v[12:13], v[78:79], v[78:79]
	v_mul_f64_e32 v[10:11], 0x3ff71547652b82fe, v[6:7]
	v_cmp_class_f64_e64 s4, v[66:67], 0x1f8
	v_mul_f64_e32 v[60:61], 0.5, v[84:85]
	v_mul_f64_e32 v[50:51], v[88:89], v[88:89]
	v_mul_f64_e32 v[54:55], v[98:99], v[98:99]
	v_cmp_ngt_f64_e64 s8, 0xc090cc00, v[6:7]
	v_cmp_nlt_f64_e64 s5, s[28:29], v[6:7]
	v_cmp_nlt_f64_e64 s7, 0x40900000, v[6:7]
	v_cmp_ngt_f64_e64 s6, 0xc0428000, v[6:7]
	v_mul_f64_e32 v[14:15], 0.5, v[12:13]
	v_rndne_f64_e32 v[10:11], v[10:11]
	v_fmamk_f64 v[68:69], v[12:13], 0x3de5e0b2f9a43bb8, v[44:45]
	v_fmamk_f64 v[76:77], v[12:13], 0xbda907db46cc5e42, v[30:31]
	v_mul_f64_e32 v[110:111], v[12:13], v[12:13]
	v_mul_f64_e64 v[80:81], v[88:89], -v[50:51]
	v_fmamk_f64 v[90:91], v[50:51], 0x3de5e0b2f9a43bb8, v[44:45]
	v_fmamk_f64 v[116:117], v[54:55], 0x3de5e0b2f9a43bb8, v[44:45]
	v_mul_f64_e64 v[112:113], v[98:99], -v[54:55]
	v_fmaak_f64 v[68:69], v[12:13], v[68:69], 0x3ec71de3796cde01
	v_fmaak_f64 v[76:77], v[12:13], v[76:77], 0xbe927e4fa17f65f6
	s_delay_alu instid0(VALU_DEP_2) | instskip(NEXT) | instid1(VALU_DEP_2)
	v_fmaak_f64 v[68:69], v[12:13], v[68:69], 0xbf2a01a019e83e5c
	v_fmaak_f64 v[76:77], v[12:13], v[76:77], 0x3efa01a019f4ec90
	s_delay_alu instid0(VALU_DEP_2) | instskip(NEXT) | instid1(VALU_DEP_2)
	v_fmaak_f64 v[68:69], v[12:13], v[68:69], 0x3f81111111110bb3
	v_fmaak_f64 v[76:77], v[12:13], v[76:77], 0xbf56c16c16c16967
	v_add_f64_e64 v[52:53], -v[14:15], 1.0
	v_cmp_eq_f64_e64 s2, 0x40900000, v[10:11]
	v_mul_f64_e64 v[62:63], v[78:79], -v[12:13]
	v_fmamk_f64 v[16:17], v[10:11], 0xbfe62e42fefa39ef, v[6:7]
	v_cvt_i32_f64_e32 v21, v[10:11]
	s_delay_alu instid0(VALU_DEP_2) | instskip(SKIP_2) | instid1(VALU_DEP_4)
	v_fmac_f64_e32 v[16:17], 0xbc7abc9e3b39803f, v[10:11]
	v_add_f64_e64 v[64:65], -v[52:53], 1.0
	v_fmac_f64_e32 v[60:61], v[62:63], v[68:69]
	v_ldexp_f64 v[114:115], 1.0, v21
	s_delay_alu instid0(VALU_DEP_4) | instskip(SKIP_1) | instid1(VALU_DEP_2)
	v_fmamk_f64 v[56:57], v[16:17], 0x3e21f32ea9d67f34, v[28:29]
	v_fmamk_f64 v[72:73], v[16:17], 0x3e5ade156a5dcb37, v[26:27]
	v_fmaak_f64 v[56:57], v[16:17], v[56:57], 0x3e927e500e0ac05b
	s_delay_alu instid0(VALU_DEP_2) | instskip(NEXT) | instid1(VALU_DEP_2)
	v_fmaak_f64 v[72:73], v[16:17], v[72:73], 0x3ec71dee623fde64
	v_fmaak_f64 v[56:57], v[16:17], v[56:57], 0x3ec71de01b889c29
	s_delay_alu instid0(VALU_DEP_1) | instskip(SKIP_1) | instid1(VALU_DEP_4)
	v_fmaak_f64 v[56:57], v[16:17], v[56:57], 0x3efa01a0197bcfd8
	v_add_f64_e64 v[14:15], v[64:65], -v[14:15]
	v_fmaak_f64 v[64:65], v[16:17], v[72:73], 0x3efa01997c89e6b0
	v_fma_f64 v[60:61], v[12:13], v[60:61], -v[84:85]
	v_fmaak_f64 v[12:13], v[12:13], v[76:77], 0x3fa5555555555555
	v_mul_f64_e32 v[72:73], 0.5, v[92:93]
	v_fmaak_f64 v[56:57], v[16:17], v[56:57], 0x3f2a01a01ac1a723
	v_fmaak_f64 v[64:65], v[16:17], v[64:65], 0x3f2a01a014761f6e
	s_delay_alu instid0(VALU_DEP_2) | instskip(NEXT) | instid1(VALU_DEP_2)
	v_fmaak_f64 v[56:57], v[16:17], v[56:57], 0x3f56c16c16c18931
	v_fmaak_f64 v[64:65], v[16:17], v[64:65], 0x3f56c16c1852b7b0
	s_delay_alu instid0(VALU_DEP_2) | instskip(NEXT) | instid1(VALU_DEP_2)
	;; [unrolled: 3-line block ×3, first 2 shown]
	v_fmaak_f64 v[56:57], v[16:17], v[56:57], 0x3fa5555555555552
	v_fmaak_f64 v[64:65], v[16:17], v[64:65], 0x3fa55555555502a1
	v_fma_f64 v[14:15], v[78:79], -v[84:85], v[14:15]
	v_fmaak_f64 v[84:85], v[50:51], v[90:91], 0x3ec71de3796cde01
	v_fmac_f64_e32 v[60:61], 0xbfc5555555555555, v[62:63]
	v_fmaak_f64 v[56:57], v[16:17], v[56:57], 0x3fc5555555555557
	v_fmaak_f64 v[64:65], v[16:17], v[64:65], 0x3fc5555555555511
	v_mul_f64_e32 v[90:91], 0.5, v[102:103]
	v_mul_f64_e32 v[62:63], v[50:51], v[50:51]
	v_fmaak_f64 v[84:85], v[50:51], v[84:85], 0xbf2a01a019e83e5c
	v_fma_f64 v[56:57], v[16:17], v[56:57], 0.5
	v_fmaak_f64 v[64:65], v[16:17], v[64:65], 0x3fe000000000000b
	s_delay_alu instid0(VALU_DEP_3) | instskip(NEXT) | instid1(VALU_DEP_2)
	v_fmaak_f64 v[10:11], v[50:51], v[84:85], 0x3f81111111110bb3
	v_fma_f64 v[64:65], v[16:17], v[64:65], 1.0
	s_delay_alu instid0(VALU_DEP_2) | instskip(SKIP_4) | instid1(VALU_DEP_4)
	v_fmac_f64_e32 v[72:73], v[80:81], v[10:11]
	v_fmac_f64_e32 v[14:15], v[110:111], v[12:13]
	v_add_f64_e64 v[60:61], v[78:79], -v[60:61]
	v_mul_f64_e32 v[56:57], v[16:17], v[56:57]
	v_fma_f64 v[64:65], v[16:17], v[64:65], 1.0
	v_add_f64_e32 v[14:15], v[52:53], v[14:15]
	v_mul_f64_e32 v[58:59], 0.5, v[50:51]
	v_mul_f64_e32 v[70:71], 0.5, v[54:55]
	v_fmac_f64_e32 v[16:17], v[16:17], v[56:57]
	s_delay_alu instid0(VALU_DEP_3) | instskip(NEXT) | instid1(VALU_DEP_3)
	v_add_f64_e64 v[74:75], -v[58:59], 1.0
	v_add_f64_e64 v[68:69], -v[70:71], 1.0
	s_delay_alu instid0(VALU_DEP_2) | instskip(NEXT) | instid1(VALU_DEP_2)
	v_add_f64_e64 v[86:87], -v[74:75], 1.0
	v_add_f64_e64 v[84:85], -v[68:69], 1.0
	s_delay_alu instid0(VALU_DEP_2) | instskip(SKIP_1) | instid1(VALU_DEP_1)
	v_add_f64_e64 v[10:11], v[86:87], -v[58:59]
	v_fmaak_f64 v[58:59], v[54:55], v[116:117], 0x3ec71de3796cde01
	v_fmaak_f64 v[12:13], v[54:55], v[58:59], 0xbf2a01a019e83e5c
	v_cndmask_b32_e64 v59, v115, 0x7fe00000, s2
	v_cndmask_b32_e64 v58, v114, 0, s2
	s_delay_alu instid0(VALU_DEP_1) | instskip(NEXT) | instid1(VALU_DEP_4)
	v_add_f64_e32 v[76:77], -1.0, v[58:59]
	v_fmaak_f64 v[12:13], v[54:55], v[12:13], 0x3f81111111110bb3
	s_delay_alu instid0(VALU_DEP_1) | instskip(SKIP_2) | instid1(VALU_DEP_1)
	v_fmac_f64_e32 v[90:91], v[112:113], v[12:13]
	v_add_f64_e64 v[12:13], v[84:85], -v[70:71]
	v_fmamk_f64 v[70:71], v[50:51], 0xbda907db46cc5e42, v[30:31]
	v_fmaak_f64 v[70:71], v[50:51], v[70:71], 0xbe927e4fa17f65f6
	v_fma_f64 v[10:11], v[88:89], -v[92:93], v[10:11]
	s_delay_alu instid0(VALU_DEP_2) | instskip(NEXT) | instid1(VALU_DEP_1)
	v_fmaak_f64 v[52:53], v[50:51], v[70:71], 0x3efa01a019f4ec90
	v_fmaak_f64 v[52:53], v[50:51], v[52:53], 0xbf56c16c16c16967
	v_fmac_f64_e32 v[76:77], v[58:59], v[16:17]
	v_fma_f64 v[56:57], v[50:51], v[72:73], -v[92:93]
	s_delay_alu instid0(VALU_DEP_3) | instskip(SKIP_1) | instid1(VALU_DEP_2)
	v_fmaak_f64 v[50:51], v[50:51], v[52:53], 0x3fa5555555555555
	v_fma_f64 v[12:13], v[98:99], -v[102:103], v[12:13]
	v_fmac_f64_e32 v[10:11], v[62:63], v[50:51]
	v_and_b32_e32 v50, 1, v125
	s_delay_alu instid0(VALU_DEP_1) | instskip(NEXT) | instid1(VALU_DEP_1)
	v_cmp_eq_u32_e64 s3, 0, v50
	v_dual_cndmask_b32 v58, v14, v60, s3 :: v_dual_lshlrev_b32 v14, 30, v125
	v_fmamk_f64 v[72:73], v[54:55], 0xbda907db46cc5e42, v[30:31]
	v_cndmask_b32_e64 v51, v15, v61, s3
	v_mul_f64_e32 v[70:71], v[54:55], v[54:55]
	v_fma_f64 v[52:53], v[54:55], v[90:91], -v[102:103]
	v_dual_add_f64 v[14:15], v[76:77], v[76:77] :: v_dual_bitop2_b32 v50, v14, v67 bitop3:0x14
	v_fmaak_f64 v[72:73], v[54:55], v[72:73], 0xbe927e4fa17f65f6
	s_delay_alu instid0(VALU_DEP_1) | instskip(SKIP_1) | instid1(VALU_DEP_2)
	v_fmaak_f64 v[16:17], v[54:55], v[72:73], 0x3efa01a019f4ec90
	v_add_f64_e32 v[10:11], v[74:75], v[10:11]
	v_fmaak_f64 v[16:17], v[54:55], v[16:17], 0xbf56c16c16c16967
	s_delay_alu instid0(VALU_DEP_1) | instskip(SKIP_3) | instid1(VALU_DEP_3)
	v_fmaak_f64 v[16:17], v[54:55], v[16:17], 0x3fa5555555555555
	v_bitop3_b32 v55, v51, v50, 0x80000000 bitop3:0x78
	v_ldexp_f64 v[50:51], v[64:65], v21
	v_dual_cndmask_b32 v54, 0, v58, s4 :: v_dual_bitop2_b32 v21, 1, v127 bitop3:0x40
	v_cndmask_b32_e64 v55, 0x7ff80000, v55, s4
	v_fmac_f64_e32 v[52:53], 0xbfc5555555555555, v[112:113]
	s_delay_alu instid0(VALU_DEP_3)
	v_cmp_eq_u32_e64 s3, 0, v21
	v_dual_lshlrev_b32 v21, 30, v129 :: v_dual_cndmask_b32 v14, v76, v14, s2
	v_fmac_f64_e32 v[56:57], 0xbfc5555555555555, v[80:81]
	v_fmac_f64_e32 v[12:13], v[70:71], v[16:17]
	v_cmp_class_f64_e64 s4, v[8:9], 0x1f8
	v_dual_cndmask_b32 v15, v77, v15, s2 :: v_dual_bitop2_b32 v8, 1, v129 bitop3:0x40
	v_xor_b32_e32 v9, v21, v9
	s_and_b32 s2, s6, s5
	s_delay_alu instid0(VALU_DEP_2) | instskip(SKIP_4) | instid1(VALU_DEP_2)
	v_cmp_eq_u32_e64 s9, 0, v8
	v_lshlrev_b32_e32 v8, 30, v127
	v_cndmask_b32_e64 v15, 0x7ff00000, v15, s5
	v_cndmask_b32_e64 v14, 0, v14, s2
	s_and_b32 s2, s8, s7
	v_cndmask_b32_e64 v15, 0xbff00000, v15, s6
	v_add_f64_e64 v[52:53], v[98:99], -v[52:53]
	v_add_f64_e64 v[16:17], v[88:89], -v[56:57]
	v_add_f64_e32 v[56:57], v[54:55], v[54:55]
	v_add_f64_e32 v[12:13], v[68:69], v[12:13]
	s_delay_alu instid0(VALU_DEP_3) | instskip(NEXT) | instid1(VALU_DEP_3)
	v_xor_b32_e32 v17, 0x80000000, v17
	v_mul_f64_e32 v[6:7], v[56:57], v[54:55]
	s_delay_alu instid0(VALU_DEP_3) | instskip(SKIP_1) | instid1(VALU_DEP_4)
	v_dual_cndmask_b32 v10, v16, v10, s3 :: v_dual_cndmask_b32 v13, v13, v53, s9
	v_cndmask_b32_e64 v16, 0x7ff00000, v51, s7
	v_dual_cndmask_b32 v11, v17, v11, s3 :: v_dual_cndmask_b32 v12, v12, v52, s9
	s_delay_alu instid0(VALU_DEP_1) | instskip(NEXT) | instid1(VALU_DEP_4)
	v_bitop3_b32 v17, v11, v8, 0x80000000 bitop3:0x78
	v_cndmask_b32_e64 v8, 0, v10, s4
	v_bitop3_b32 v10, v13, v9, 0x80000000 bitop3:0x78
	v_cndmask_b32_e64 v11, 0, v16, s8
	v_cndmask_b32_e64 v12, 0, v12, s4
	;; [unrolled: 1-line block ×3, first 2 shown]
	s_delay_alu instid0(VALU_DEP_4) | instskip(NEXT) | instid1(VALU_DEP_2)
	v_cndmask_b32_e64 v13, 0x7ff80000, v10, s4
	v_dual_fma_f64 v[6:7], v[14:15], v[8:9], -v[6:7] :: v_dual_cndmask_b32 v10, 0, v50, s2
	s_delay_alu instid0(VALU_DEP_1)
	v_mul_f64_e32 v[8:9], v[10:11], v[12:13]
	global_store_b128 v[48:49], v[6:9], off offset:-8
	s_wait_xcnt 0x0
	s_or_b32 exec_lo, exec_lo, s10
	s_and_saveexec_b32 s9, vcc_lo
	s_cbranch_execz .LBB149_3
	s_branch .LBB149_67
.LBB149_62:                             ;   in Loop: Header=BB149_4 Depth=1
	s_and_not1_saveexec_b32 s5, s6
	s_cbranch_execz .LBB149_58
.LBB149_63:                             ;   in Loop: Header=BB149_4 Depth=1
	s_delay_alu instid0(VALU_DEP_1) | instskip(SKIP_2) | instid1(VALU_DEP_3)
	v_fma_f64 v[106:107], v[118:119], s[26:27], |v[4:5]|
	v_mul_f64_e32 v[108:109], 0xbc91a62633145c00, v[118:119]
	v_cvt_i32_f64_e32 v131, v[118:119]
	v_fmamk_f64 v[114:115], v[118:119], 0xbc91a62633145c00, v[106:107]
	s_delay_alu instid0(VALU_DEP_3) | instskip(NEXT) | instid1(VALU_DEP_1)
	v_add_f64_e32 v[110:111], v[106:107], v[108:109]
	v_add_f64_e64 v[112:113], v[106:107], -v[110:111]
	s_delay_alu instid0(VALU_DEP_3) | instskip(NEXT) | instid1(VALU_DEP_2)
	v_add_f64_e64 v[106:107], v[110:111], -v[114:115]
	v_add_f64_e32 v[110:111], v[112:113], v[108:109]
	v_fmamk_f64 v[108:109], v[118:119], 0x3c91a62633145c00, v[108:109]
	s_delay_alu instid0(VALU_DEP_2) | instskip(NEXT) | instid1(VALU_DEP_1)
	v_add_f64_e32 v[106:107], v[106:107], v[110:111]
	v_add_f64_e64 v[108:109], v[106:107], -v[108:109]
	s_delay_alu instid0(VALU_DEP_1) | instskip(NEXT) | instid1(VALU_DEP_1)
	v_fmac_f64_e32 v[108:109], 0xb97b839a252049c0, v[118:119]
	v_add_f64_e32 v[106:107], v[114:115], v[108:109]
	s_delay_alu instid0(VALU_DEP_1) | instskip(NEXT) | instid1(VALU_DEP_1)
	v_add_f64_e64 v[110:111], v[106:107], -v[114:115]
	v_add_f64_e64 v[108:109], v[108:109], -v[110:111]
	s_or_b32 exec_lo, exec_lo, s5
	s_and_saveexec_b32 s5, s4
	s_delay_alu instid0(SALU_CYCLE_1)
	s_xor_b32 s13, exec_lo, s5
	s_cbranch_execnz .LBB149_59
.LBB149_64:                             ;   in Loop: Header=BB149_4 Depth=1
	s_or_b32 exec_lo, exec_lo, s13
	s_and_saveexec_b32 s11, s3
	s_cbranch_execz .LBB149_60
.LBB149_65:                             ;   in Loop: Header=BB149_4 Depth=1
	v_mul_f64_e32 v[16:17], v[64:65], v[64:65]
	v_mul_f64_e32 v[14:15], 0x3ff71547652b82fe, v[10:11]
	v_cmp_class_f64_e64 s5, v[56:57], 0x1f8
	v_mul_f64_e32 v[58:59], v[74:75], v[74:75]
	v_cmp_ngt_f64_e64 s9, 0xc090cc00, v[10:11]
	v_cmp_nlt_f64_e64 s6, s[28:29], v[10:11]
	v_cmp_ngt_f64_e64 s7, 0xc0428000, v[10:11]
	v_cmp_nlt_f64_e64 s8, 0x40900000, v[10:11]
	v_mul_f64_e32 v[52:53], 0.5, v[16:17]
	v_rndne_f64_e32 v[14:15], v[14:15]
	v_mul_f64_e64 v[110:111], v[64:65], -v[16:17]
	v_fmamk_f64 v[114:115], v[16:17], 0x3de5e0b2f9a43bb8, v[44:45]
	v_fmamk_f64 v[132:133], v[16:17], 0xbda907db46cc5e42, v[30:31]
	v_mul_f64_e32 v[140:141], v[16:17], v[16:17]
	v_mul_f64_e64 v[134:135], v[74:75], -v[58:59]
	v_fmamk_f64 v[138:139], v[58:59], 0x3de5e0b2f9a43bb8, v[44:45]
	v_fmaak_f64 v[114:115], v[16:17], v[114:115], 0x3ec71de3796cde01
	v_fmaak_f64 v[132:133], v[16:17], v[132:133], 0xbe927e4fa17f65f6
	s_delay_alu instid0(VALU_DEP_2) | instskip(NEXT) | instid1(VALU_DEP_2)
	v_fmaak_f64 v[114:115], v[16:17], v[114:115], 0xbf2a01a019e83e5c
	v_fmaak_f64 v[132:133], v[16:17], v[132:133], 0x3efa01a019f4ec90
	s_delay_alu instid0(VALU_DEP_2) | instskip(NEXT) | instid1(VALU_DEP_2)
	v_fmaak_f64 v[114:115], v[16:17], v[114:115], 0x3f81111111110bb3
	v_fmaak_f64 v[132:133], v[16:17], v[132:133], 0xbf56c16c16c16967
	v_add_f64_e64 v[60:61], -v[52:53], 1.0
	v_cmp_eq_f64_e64 s3, 0x40900000, v[14:15]
	v_mul_f64_e32 v[80:81], 0.5, v[70:71]
	v_fmamk_f64 v[54:55], v[14:15], 0xbfe62e42fefa39ef, v[10:11]
	v_cvt_i32_f64_e32 v21, v[14:15]
	s_delay_alu instid0(VALU_DEP_2) | instskip(SKIP_2) | instid1(VALU_DEP_4)
	v_fmac_f64_e32 v[54:55], 0xbc7abc9e3b39803f, v[14:15]
	v_add_f64_e64 v[112:113], -v[60:61], 1.0
	v_fmac_f64_e32 v[80:81], v[110:111], v[114:115]
	v_ldexp_f64 v[144:145], 1.0, v21
	s_delay_alu instid0(VALU_DEP_4) | instskip(SKIP_1) | instid1(VALU_DEP_2)
	v_fmamk_f64 v[68:69], v[54:55], 0x3e21f32ea9d67f34, v[28:29]
	v_fmamk_f64 v[118:119], v[54:55], 0x3e5ade156a5dcb37, v[26:27]
	v_fmaak_f64 v[68:69], v[54:55], v[68:69], 0x3e927e500e0ac05b
	s_delay_alu instid0(VALU_DEP_2) | instskip(NEXT) | instid1(VALU_DEP_2)
	v_fmaak_f64 v[118:119], v[54:55], v[118:119], 0x3ec71dee623fde64
	v_fmaak_f64 v[68:69], v[54:55], v[68:69], 0x3ec71de01b889c29
	s_delay_alu instid0(VALU_DEP_1) | instskip(SKIP_1) | instid1(VALU_DEP_4)
	v_fmaak_f64 v[68:69], v[54:55], v[68:69], 0x3efa01a0197bcfd8
	v_add_f64_e64 v[52:53], v[112:113], -v[52:53]
	v_fmaak_f64 v[112:113], v[54:55], v[118:119], 0x3efa01997c89e6b0
	v_fma_f64 v[80:81], v[16:17], v[80:81], -v[70:71]
	v_fmaak_f64 v[16:17], v[16:17], v[132:133], 0x3fa5555555555555
	v_mul_f64_e32 v[118:119], 0.5, v[76:77]
	v_fmaak_f64 v[68:69], v[54:55], v[68:69], 0x3f2a01a01ac1a723
	v_fmaak_f64 v[112:113], v[54:55], v[112:113], 0x3f2a01a014761f6e
	s_delay_alu instid0(VALU_DEP_2) | instskip(NEXT) | instid1(VALU_DEP_2)
	v_fmaak_f64 v[68:69], v[54:55], v[68:69], 0x3f56c16c16c18931
	v_fmaak_f64 v[112:113], v[54:55], v[112:113], 0x3f56c16c1852b7b0
	s_delay_alu instid0(VALU_DEP_2) | instskip(NEXT) | instid1(VALU_DEP_2)
	v_fmaak_f64 v[68:69], v[54:55], v[68:69], 0x3f81111111110056
	v_fmaak_f64 v[112:113], v[54:55], v[112:113], 0x3f81111111122322
	s_delay_alu instid0(VALU_DEP_2) | instskip(SKIP_1) | instid1(VALU_DEP_3)
	v_fmaak_f64 v[68:69], v[54:55], v[68:69], 0x3fa5555555555552
	v_fma_f64 v[52:53], v[64:65], -v[70:71], v[52:53]
	v_fmaak_f64 v[70:71], v[54:55], v[112:113], 0x3fa55555555502a1
	v_fmac_f64_e32 v[80:81], 0xbfc5555555555555, v[110:111]
	s_delay_alu instid0(VALU_DEP_4) | instskip(SKIP_3) | instid1(VALU_DEP_4)
	v_fmaak_f64 v[68:69], v[54:55], v[68:69], 0x3fc5555555555557
	v_fmaak_f64 v[112:113], v[58:59], v[138:139], 0x3ec71de3796cde01
	v_mul_f64_e32 v[138:139], 0.5, v[90:91]
	v_fmaak_f64 v[70:71], v[54:55], v[70:71], 0x3fc5555555555511
	v_fma_f64 v[68:69], v[54:55], v[68:69], 0.5
	s_delay_alu instid0(VALU_DEP_4) | instskip(NEXT) | instid1(VALU_DEP_3)
	v_fmaak_f64 v[112:113], v[58:59], v[112:113], 0xbf2a01a019e83e5c
	v_fmaak_f64 v[70:71], v[54:55], v[70:71], 0x3fe000000000000b
	s_delay_alu instid0(VALU_DEP_2) | instskip(NEXT) | instid1(VALU_DEP_2)
	v_fmaak_f64 v[14:15], v[58:59], v[112:113], 0x3f81111111110bb3
	v_fma_f64 v[70:71], v[54:55], v[70:71], 1.0
	s_delay_alu instid0(VALU_DEP_2) | instskip(SKIP_4) | instid1(VALU_DEP_4)
	v_fmac_f64_e32 v[118:119], v[134:135], v[14:15]
	v_fmac_f64_e32 v[52:53], v[140:141], v[16:17]
	v_add_f64_e64 v[64:65], v[64:65], -v[80:81]
	v_mul_f64_e32 v[68:69], v[54:55], v[68:69]
	v_fma_f64 v[70:71], v[54:55], v[70:71], 1.0
	v_add_f64_e32 v[52:53], v[60:61], v[52:53]
	v_mul_f64_e32 v[62:63], v[86:87], v[86:87]
	v_mul_f64_e32 v[72:73], 0.5, v[58:59]
	v_fmac_f64_e32 v[54:55], v[54:55], v[68:69]
	v_fma_f64 v[68:69], v[58:59], v[118:119], -v[76:77]
	s_delay_alu instid0(VALU_DEP_4) | instskip(NEXT) | instid1(VALU_DEP_4)
	v_mul_f64_e32 v[116:117], 0.5, v[62:63]
	v_add_f64_e64 v[120:121], -v[72:73], 1.0
	v_mul_f64_e64 v[142:143], v[86:87], -v[62:63]
	v_fmamk_f64 v[146:147], v[62:63], 0x3de5e0b2f9a43bb8, v[44:45]
	s_delay_alu instid0(VALU_DEP_4) | instskip(NEXT) | instid1(VALU_DEP_4)
	v_add_f64_e64 v[114:115], -v[116:117], 1.0
	v_add_f64_e64 v[136:137], -v[120:121], 1.0
	s_delay_alu instid0(VALU_DEP_2) | instskip(NEXT) | instid1(VALU_DEP_2)
	v_add_f64_e64 v[112:113], -v[114:115], 1.0
	v_add_f64_e64 v[14:15], v[136:137], -v[72:73]
	v_fmaak_f64 v[72:73], v[62:63], v[146:147], 0x3ec71de3796cde01
	s_delay_alu instid0(VALU_DEP_1) | instskip(SKIP_2) | instid1(VALU_DEP_3)
	v_fmaak_f64 v[16:17], v[62:63], v[72:73], 0xbf2a01a019e83e5c
	v_cndmask_b32_e64 v73, v145, 0x7fe00000, s3
	v_cndmask_b32_e64 v72, v144, 0, s3
	v_fmaak_f64 v[16:17], v[62:63], v[16:17], 0x3f81111111110bb3
	s_delay_alu instid0(VALU_DEP_1) | instskip(SKIP_1) | instid1(VALU_DEP_4)
	v_fmac_f64_e32 v[138:139], v[142:143], v[16:17]
	v_add_f64_e64 v[16:17], v[112:113], -v[116:117]
	v_add_f64_e32 v[116:117], -1.0, v[72:73]
	v_fmamk_f64 v[112:113], v[58:59], 0xbda907db46cc5e42, v[30:31]
	v_fma_f64 v[14:15], v[74:75], -v[76:77], v[14:15]
	s_delay_alu instid0(VALU_DEP_2) | instskip(NEXT) | instid1(VALU_DEP_1)
	v_fmaak_f64 v[76:77], v[58:59], v[112:113], 0xbe927e4fa17f65f6
	v_fmaak_f64 v[60:61], v[58:59], v[76:77], 0x3efa01a019f4ec90
	s_delay_alu instid0(VALU_DEP_1) | instskip(SKIP_3) | instid1(VALU_DEP_4)
	v_fmaak_f64 v[60:61], v[58:59], v[60:61], 0xbf56c16c16c16967
	v_fma_f64 v[16:17], v[86:87], -v[90:91], v[16:17]
	v_fmac_f64_e32 v[116:117], v[72:73], v[54:55]
	v_mul_f64_e32 v[110:111], v[58:59], v[58:59]
	v_fmaak_f64 v[58:59], v[58:59], v[60:61], 0x3fa5555555555555
	s_delay_alu instid0(VALU_DEP_1) | instskip(SKIP_1) | instid1(VALU_DEP_1)
	v_fmac_f64_e32 v[14:15], v[110:111], v[58:59]
	v_and_b32_e32 v58, 1, v122
	v_cmp_eq_u32_e64 s4, 0, v58
	s_delay_alu instid0(VALU_DEP_1) | instskip(SKIP_2) | instid1(VALU_DEP_3)
	v_dual_cndmask_b32 v58, v52, v64, s4 :: v_dual_lshlrev_b32 v52, 30, v122
	v_fmamk_f64 v[80:81], v[62:63], 0xbda907db46cc5e42, v[30:31]
	v_fma_f64 v[60:61], v[62:63], v[138:139], -v[90:91]
	v_dual_cndmask_b32 v58, 0, v58, s5 :: v_dual_bitop2_b32 v56, v52, v57 bitop3:0x14
	v_cndmask_b32_e64 v57, v53, v65, s4
	v_add_f64_e32 v[52:53], v[116:117], v[116:117]
	v_fmaak_f64 v[80:81], v[62:63], v[80:81], 0xbe927e4fa17f65f6
	s_delay_alu instid0(VALU_DEP_3) | instskip(SKIP_2) | instid1(VALU_DEP_4)
	v_bitop3_b32 v59, v57, v56, 0x80000000 bitop3:0x78
	v_ldexp_f64 v[56:57], v[70:71], v21
	v_and_b32_e32 v21, 1, v123
	v_fmaak_f64 v[54:55], v[62:63], v[80:81], 0x3efa01a019f4ec90
	s_delay_alu instid0(VALU_DEP_4)
	v_cndmask_b32_e64 v59, 0x7ff80000, v59, s5
	v_cmp_class_f64_e64 s5, v[12:13], 0x1f8
	v_and_b32_e32 v12, 1, v126
	v_cmp_eq_u32_e64 s4, 0, v21
	v_add_f64_e32 v[14:15], v[120:121], v[14:15]
	v_fmaak_f64 v[54:55], v[62:63], v[54:55], 0xbf56c16c16c16967
	s_delay_alu instid0(VALU_DEP_4) | instskip(SKIP_1) | instid1(VALU_DEP_3)
	v_cmp_eq_u32_e64 s10, 0, v12
	v_lshlrev_b32_e32 v12, 30, v123
	v_fmaak_f64 v[54:55], v[62:63], v[54:55], 0x3fa5555555555555
	v_fmac_f64_e32 v[60:61], 0xbfc5555555555555, v[142:143]
	v_dual_cndmask_b32 v52, v116, v52, s3 :: v_dual_cndmask_b32 v53, v117, v53, s3
	s_and_b32 s3, s7, s6
	s_delay_alu instid0(VALU_DEP_1) | instid1(SALU_CYCLE_1)
	v_cndmask_b32_e64 v52, 0, v52, s3
	s_and_b32 s3, s9, s8
	v_mul_f64_e32 v[76:77], v[62:63], v[62:63]
	v_add_f64_e32 v[62:63], v[58:59], v[58:59]
	v_cndmask_b32_e64 v21, 0x7ff00000, v53, s6
	v_cndmask_b32_e64 v53, 0x7ff00000, v57, s8
	v_add_f64_e64 v[60:61], v[86:87], -v[60:61]
	v_fmac_f64_e32 v[16:17], v[76:77], v[54:55]
	v_mul_f64_e32 v[10:11], v[62:63], v[58:59]
	s_delay_alu instid0(VALU_DEP_2) | instskip(NEXT) | instid1(VALU_DEP_1)
	v_add_f64_e32 v[16:17], v[114:115], v[16:17]
	v_cndmask_b32_e64 v16, v16, v60, s10
	v_fmac_f64_e32 v[68:69], 0xbfc5555555555555, v[134:135]
	s_delay_alu instid0(VALU_DEP_2) | instskip(NEXT) | instid1(VALU_DEP_2)
	v_dual_cndmask_b32 v17, v17, v61, s10 :: v_dual_cndmask_b32 v16, 0, v16, s5
	v_add_f64_e64 v[54:55], v[74:75], -v[68:69]
	s_delay_alu instid0(VALU_DEP_1) | instskip(NEXT) | instid1(VALU_DEP_2)
	v_cndmask_b32_e64 v14, v54, v14, s4
	v_xor_b32_e32 v54, 0x80000000, v55
	s_delay_alu instid0(VALU_DEP_1) | instskip(NEXT) | instid1(VALU_DEP_1)
	v_dual_lshlrev_b32 v55, 30, v126 :: v_dual_cndmask_b32 v15, v54, v15, s4
	v_xor_b32_e32 v13, v55, v13
	s_delay_alu instid0(VALU_DEP_2) | instskip(SKIP_1) | instid1(VALU_DEP_3)
	v_bitop3_b32 v54, v15, v12, 0x80000000 bitop3:0x78
	v_cndmask_b32_e64 v12, 0, v14, s5
	v_bitop3_b32 v14, v17, v13, 0x80000000 bitop3:0x78
	v_cndmask_b32_e64 v15, 0, v53, s9
	v_cndmask_b32_e64 v53, 0xbff00000, v21, s7
	;; [unrolled: 1-line block ×3, first 2 shown]
	s_delay_alu instid0(VALU_DEP_4) | instskip(SKIP_1) | instid1(VALU_DEP_3)
	v_cndmask_b32_e64 v17, 0x7ff80000, v14, s5
	v_cndmask_b32_e64 v14, 0, v56, s3
	v_fma_f64 v[10:11], v[52:53], v[12:13], -v[10:11]
	s_delay_alu instid0(VALU_DEP_2)
	v_mul_f64_e32 v[12:13], v[14:15], v[16:17]
	global_store_b128 v[50:51], v[10:13], off
	s_wait_xcnt 0x0
	s_or_b32 exec_lo, exec_lo, s11
	s_and_saveexec_b32 s10, s2
	s_cbranch_execnz .LBB149_61
.LBB149_66:                             ;   in Loop: Header=BB149_4 Depth=1
	s_or_b32 exec_lo, exec_lo, s10
	s_and_saveexec_b32 s9, vcc_lo
	s_cbranch_execz .LBB149_3
.LBB149_67:                             ;   in Loop: Header=BB149_4 Depth=1
	v_mul_f64_e32 v[8:9], v[94:95], v[94:95]
	v_mul_f64_e32 v[6:7], 0x3ff71547652b82fe, v[2:3]
	v_mul_f64_e32 v[54:55], 0.5, v[96:97]
	v_cmp_class_f64_e64 s3, v[82:83], 0x1f8
	v_mul_f64_e32 v[48:49], v[106:107], v[106:107]
	v_cmp_ngt_f64_e64 s7, 0xc090cc00, v[2:3]
	v_mul_f64_e32 v[78:79], 0.5, v[108:109]
	v_cmp_nlt_f64_e64 s4, s[28:29], v[2:3]
	v_cmp_ngt_f64_e64 s5, 0xc0428000, v[2:3]
	v_cmp_nlt_f64_e64 s6, 0x40900000, v[2:3]
	v_mul_f64_e32 v[10:11], 0.5, v[8:9]
	v_rndne_f64_e32 v[6:7], v[6:7]
	v_fmamk_f64 v[60:61], v[8:9], 0x3de5e0b2f9a43bb8, v[44:45]
	v_fmamk_f64 v[68:69], v[8:9], 0xbda907db46cc5e42, v[30:31]
	v_mul_f64_e32 v[76:77], v[8:9], v[8:9]
	v_fmamk_f64 v[86:87], v[48:49], 0x3de5e0b2f9a43bb8, v[44:45]
	v_mul_f64_e64 v[80:81], v[106:107], -v[48:49]
	v_fmaak_f64 v[60:61], v[8:9], v[60:61], 0x3ec71de3796cde01
	v_fmaak_f64 v[68:69], v[8:9], v[68:69], 0xbe927e4fa17f65f6
	s_delay_alu instid0(VALU_DEP_2) | instskip(NEXT) | instid1(VALU_DEP_2)
	v_fmaak_f64 v[60:61], v[8:9], v[60:61], 0xbf2a01a019e83e5c
	v_fmaak_f64 v[68:69], v[8:9], v[68:69], 0x3efa01a019f4ec90
	s_delay_alu instid0(VALU_DEP_2) | instskip(NEXT) | instid1(VALU_DEP_2)
	v_fmaak_f64 v[60:61], v[8:9], v[60:61], 0x3f81111111110bb3
	v_fmaak_f64 v[68:69], v[8:9], v[68:69], 0xbf56c16c16c16967
	v_add_f64_e64 v[16:17], -v[10:11], 1.0
	v_cmp_eq_f64_e32 vcc_lo, 0x40900000, v[6:7]
	v_mul_f64_e64 v[56:57], v[94:95], -v[8:9]
	v_fmamk_f64 v[12:13], v[6:7], 0xbfe62e42fefa39ef, v[2:3]
	v_cvt_i32_f64_e32 v21, v[6:7]
	s_delay_alu instid0(VALU_DEP_2) | instskip(SKIP_2) | instid1(VALU_DEP_4)
	v_fmac_f64_e32 v[12:13], 0xbc7abc9e3b39803f, v[6:7]
	v_add_f64_e64 v[58:59], -v[16:17], 1.0
	v_fmac_f64_e32 v[54:55], v[56:57], v[60:61]
	v_ldexp_f64 v[84:85], 1.0, v21
	s_delay_alu instid0(VALU_DEP_4) | instskip(SKIP_1) | instid1(VALU_DEP_2)
	v_fmamk_f64 v[50:51], v[12:13], 0x3e21f32ea9d67f34, v[28:29]
	v_fmamk_f64 v[64:65], v[12:13], 0x3e5ade156a5dcb37, v[26:27]
	v_fmaak_f64 v[50:51], v[12:13], v[50:51], 0x3e927e500e0ac05b
	s_delay_alu instid0(VALU_DEP_2) | instskip(NEXT) | instid1(VALU_DEP_2)
	v_fmaak_f64 v[64:65], v[12:13], v[64:65], 0x3ec71dee623fde64
	v_fmaak_f64 v[50:51], v[12:13], v[50:51], 0x3ec71de01b889c29
	s_delay_alu instid0(VALU_DEP_1) | instskip(SKIP_1) | instid1(VALU_DEP_4)
	v_fmaak_f64 v[50:51], v[12:13], v[50:51], 0x3efa01a0197bcfd8
	v_add_f64_e64 v[10:11], v[58:59], -v[10:11]
	v_fmaak_f64 v[58:59], v[12:13], v[64:65], 0x3efa01997c89e6b0
	v_fma_f64 v[54:55], v[8:9], v[54:55], -v[96:97]
	v_fmaak_f64 v[8:9], v[8:9], v[68:69], 0x3fa5555555555555
	v_mul_f64_e32 v[64:65], 0.5, v[104:105]
	v_fmaak_f64 v[50:51], v[12:13], v[50:51], 0x3f2a01a01ac1a723
	v_fmaak_f64 v[58:59], v[12:13], v[58:59], 0x3f2a01a014761f6e
	s_delay_alu instid0(VALU_DEP_2) | instskip(NEXT) | instid1(VALU_DEP_2)
	v_fmaak_f64 v[50:51], v[12:13], v[50:51], 0x3f56c16c16c18931
	v_fmaak_f64 v[58:59], v[12:13], v[58:59], 0x3f56c16c1852b7b0
	s_delay_alu instid0(VALU_DEP_2) | instskip(NEXT) | instid1(VALU_DEP_2)
	;; [unrolled: 3-line block ×3, first 2 shown]
	v_fmaak_f64 v[50:51], v[12:13], v[50:51], 0x3fa5555555555552
	v_fmaak_f64 v[58:59], v[12:13], v[58:59], 0x3fa55555555502a1
	v_fma_f64 v[10:11], v[94:95], -v[96:97], v[10:11]
	v_fmac_f64_e32 v[54:55], 0xbfc5555555555555, v[56:57]
	s_delay_alu instid0(VALU_DEP_4) | instskip(NEXT) | instid1(VALU_DEP_4)
	v_fmaak_f64 v[50:51], v[12:13], v[50:51], 0x3fc5555555555557
	v_fmaak_f64 v[58:59], v[12:13], v[58:59], 0x3fc5555555555511
	s_delay_alu instid0(VALU_DEP_2) | instskip(NEXT) | instid1(VALU_DEP_2)
	v_fma_f64 v[50:51], v[12:13], v[50:51], 0.5
	v_fmaak_f64 v[58:59], v[12:13], v[58:59], 0x3fe000000000000b
	s_delay_alu instid0(VALU_DEP_1) | instskip(SKIP_3) | instid1(VALU_DEP_4)
	v_fma_f64 v[58:59], v[12:13], v[58:59], 1.0
	v_fmac_f64_e32 v[10:11], v[76:77], v[8:9]
	v_add_f64_e64 v[54:55], v[94:95], -v[54:55]
	v_mul_f64_e32 v[50:51], v[12:13], v[50:51]
	v_fma_f64 v[58:59], v[12:13], v[58:59], 1.0
	s_delay_alu instid0(VALU_DEP_4) | instskip(SKIP_3) | instid1(VALU_DEP_3)
	v_add_f64_e32 v[10:11], v[16:17], v[10:11]
	v_mul_f64_e32 v[14:15], v[100:101], v[100:101]
	v_mul_f64_e32 v[62:63], 0.5, v[48:49]
	v_fmac_f64_e32 v[12:13], v[12:13], v[50:51]
	v_mul_f64_e32 v[52:53], 0.5, v[14:15]
	s_delay_alu instid0(VALU_DEP_3) | instskip(SKIP_3) | instid1(VALU_DEP_2)
	v_add_f64_e64 v[60:61], -v[62:63], 1.0
	v_mul_f64_e64 v[70:71], v[100:101], -v[14:15]
	v_fmamk_f64 v[74:75], v[14:15], 0x3de5e0b2f9a43bb8, v[44:45]
	v_mul_f64_e32 v[56:57], v[14:15], v[14:15]
	v_fmaak_f64 v[74:75], v[14:15], v[74:75], 0x3ec71de3796cde01
	s_delay_alu instid0(VALU_DEP_1) | instskip(NEXT) | instid1(VALU_DEP_1)
	v_fmaak_f64 v[74:75], v[14:15], v[74:75], 0xbf2a01a019e83e5c
	v_fmaak_f64 v[6:7], v[14:15], v[74:75], 0x3f81111111110bb3
	v_add_f64_e64 v[66:67], -v[52:53], 1.0
	v_add_f64_e64 v[74:75], -v[60:61], 1.0
	s_delay_alu instid0(VALU_DEP_3) | instskip(NEXT) | instid1(VALU_DEP_3)
	v_fmac_f64_e32 v[64:65], v[70:71], v[6:7]
	v_add_f64_e64 v[72:73], -v[66:67], 1.0
	s_delay_alu instid0(VALU_DEP_1) | instskip(SKIP_1) | instid1(VALU_DEP_1)
	v_add_f64_e64 v[6:7], v[72:73], -v[52:53]
	v_fmaak_f64 v[52:53], v[48:49], v[86:87], 0x3ec71de3796cde01
	v_fmaak_f64 v[8:9], v[48:49], v[52:53], 0xbf2a01a019e83e5c
	v_cndmask_b32_e64 v53, v85, 0x7fe00000, vcc_lo
	v_cndmask_b32_e64 v52, v84, 0, vcc_lo
	s_delay_alu instid0(VALU_DEP_1) | instskip(NEXT) | instid1(VALU_DEP_4)
	v_add_f64_e32 v[68:69], -1.0, v[52:53]
	v_fmaak_f64 v[8:9], v[48:49], v[8:9], 0x3f81111111110bb3
	s_delay_alu instid0(VALU_DEP_1) | instskip(SKIP_2) | instid1(VALU_DEP_1)
	v_fmac_f64_e32 v[78:79], v[80:81], v[8:9]
	v_add_f64_e64 v[8:9], v[74:75], -v[62:63]
	v_fmamk_f64 v[62:63], v[14:15], 0xbda907db46cc5e42, v[30:31]
	v_fmaak_f64 v[62:63], v[14:15], v[62:63], 0xbe927e4fa17f65f6
	v_fma_f64 v[6:7], v[100:101], -v[104:105], v[6:7]
	s_delay_alu instid0(VALU_DEP_2) | instskip(NEXT) | instid1(VALU_DEP_1)
	v_fmaak_f64 v[16:17], v[14:15], v[62:63], 0x3efa01a019f4ec90
	v_fmaak_f64 v[16:17], v[14:15], v[16:17], 0xbf56c16c16c16967
	v_fmac_f64_e32 v[68:69], v[52:53], v[12:13]
	v_fma_f64 v[50:51], v[14:15], v[64:65], -v[104:105]
	s_delay_alu instid0(VALU_DEP_3) | instskip(SKIP_1) | instid1(VALU_DEP_2)
	v_fmaak_f64 v[14:15], v[14:15], v[16:17], 0x3fa5555555555555
	v_fma_f64 v[8:9], v[106:107], -v[108:109], v[8:9]
	v_fmac_f64_e32 v[6:7], v[56:57], v[14:15]
	v_and_b32_e32 v14, 1, v128
	s_delay_alu instid0(VALU_DEP_1) | instskip(NEXT) | instid1(VALU_DEP_1)
	v_cmp_eq_u32_e64 s2, 0, v14
	v_dual_cndmask_b32 v52, v10, v54, s2 :: v_dual_lshlrev_b32 v10, 30, v128
	v_cndmask_b32_e64 v15, v11, v55, s2
	v_fmamk_f64 v[64:65], v[48:49], 0xbda907db46cc5e42, v[30:31]
	v_fma_f64 v[16:17], v[48:49], v[78:79], -v[108:109]
	s_delay_alu instid0(VALU_DEP_4) | instskip(NEXT) | instid1(VALU_DEP_3)
	v_dual_add_f64 v[10:11], v[68:69], v[68:69] :: v_dual_bitop2_b32 v14, v10, v83 bitop3:0x14
	v_fmaak_f64 v[64:65], v[48:49], v[64:65], 0xbe927e4fa17f65f6
	s_delay_alu instid0(VALU_DEP_1) | instskip(SKIP_1) | instid1(VALU_DEP_2)
	v_fmaak_f64 v[12:13], v[48:49], v[64:65], 0x3efa01a019f4ec90
	v_add_f64_e32 v[6:7], v[66:67], v[6:7]
	v_fmaak_f64 v[12:13], v[48:49], v[12:13], 0xbf56c16c16c16967
	s_delay_alu instid0(VALU_DEP_1) | instskip(SKIP_3) | instid1(VALU_DEP_2)
	v_fmaak_f64 v[12:13], v[48:49], v[12:13], 0x3fa5555555555555
	v_dual_cndmask_b32 v10, v68, v10 :: v_dual_cndmask_b32 v11, v69, v11
	s_and_b32 vcc_lo, s5, s4
	v_fmac_f64_e32 v[50:51], 0xbfc5555555555555, v[70:71]
	v_cndmask_b32_e32 v10, 0, v10, vcc_lo
	s_and_b32 vcc_lo, s7, s6
	v_mul_f64_e32 v[62:63], v[48:49], v[48:49]
	v_bitop3_b32 v49, v15, v14, 0x80000000 bitop3:0x78
	v_ldexp_f64 v[14:15], v[58:59], v21
	v_dual_cndmask_b32 v48, 0, v52, s3 :: v_dual_bitop2_b32 v21, 1, v130 bitop3:0x40
	v_cndmask_b32_e64 v11, 0x7ff00000, v11, s4
	s_delay_alu instid0(VALU_DEP_4) | instskip(SKIP_1) | instid1(VALU_DEP_4)
	v_cndmask_b32_e64 v49, 0x7ff80000, v49, s3
	v_cmp_class_f64_e64 s3, v[4:5], 0x1f8
	v_cmp_eq_u32_e64 s2, 0, v21
	v_and_b32_e32 v4, 1, v131
	v_cndmask_b32_e64 v11, 0xbff00000, v11, s5
	s_delay_alu instid0(VALU_DEP_2) | instskip(SKIP_4) | instid1(VALU_DEP_3)
	v_cmp_eq_u32_e64 s8, 0, v4
	v_lshlrev_b32_e32 v4, 30, v130
	v_fmac_f64_e32 v[8:9], v[62:63], v[12:13]
	v_add_f64_e64 v[12:13], v[100:101], -v[50:51]
	v_add_f64_e32 v[50:51], v[48:49], v[48:49]
	v_add_f64_e32 v[8:9], v[60:61], v[8:9]
	s_delay_alu instid0(VALU_DEP_3) | instskip(NEXT) | instid1(VALU_DEP_3)
	v_xor_b32_e32 v13, 0x80000000, v13
	v_dual_mul_f64 v[2:3], v[50:51], v[48:49] :: v_dual_cndmask_b32 v6, v12, v6, s2
	v_cndmask_b32_e64 v12, 0x7ff00000, v15, s6
	v_lshlrev_b32_e32 v15, 30, v131
	s_delay_alu instid0(VALU_DEP_4) | instskip(SKIP_1) | instid1(VALU_DEP_3)
	v_cndmask_b32_e64 v7, v13, v7, s2
	v_fmac_f64_e32 v[16:17], 0xbfc5555555555555, v[80:81]
	v_xor_b32_e32 v5, v15, v5
	s_delay_alu instid0(VALU_DEP_3) | instskip(SKIP_1) | instid1(VALU_DEP_4)
	v_bitop3_b32 v13, v7, v4, 0x80000000 bitop3:0x78
	v_dual_cndmask_b32 v4, 0, v6, s3 :: v_dual_cndmask_b32 v7, 0, v12, s7
	v_add_f64_e64 v[16:17], v[106:107], -v[16:17]
	s_delay_alu instid0(VALU_DEP_1) | instskip(NEXT) | instid1(VALU_DEP_1)
	v_dual_cndmask_b32 v9, v9, v17, s8 :: v_dual_cndmask_b32 v8, v8, v16, s8
	v_bitop3_b32 v6, v9, v5, 0x80000000 bitop3:0x78
	v_cndmask_b32_e64 v5, 0x7ff80000, v13, s3
	s_delay_alu instid0(VALU_DEP_3) | instskip(NEXT) | instid1(VALU_DEP_3)
	v_cndmask_b32_e64 v8, 0, v8, s3
	v_cndmask_b32_e64 v9, 0x7ff80000, v6, s3
	s_delay_alu instid0(VALU_DEP_3) | instskip(NEXT) | instid1(VALU_DEP_1)
	v_dual_fma_f64 v[2:3], v[10:11], v[4:5], -v[2:3] :: v_dual_cndmask_b32 v6, 0, v14, vcc_lo
	v_mul_f64_e32 v[4:5], v[6:7], v[8:9]
	global_store_b128 v[46:47], v[2:5], off offset:-8
	s_branch .LBB149_3
.LBB149_68:
	s_cbranch_execz .LBB149_70
	s_branch .LBB149_121
.LBB149_69:
.LBB149_70:
	v_min_i64 v[18:19], 0x10000, s[18:19]
	v_dual_mov_b32 v20, 0 :: v_dual_lshlrev_b32 v2, 2, v0
	s_mov_b32 s2, exec_lo
	s_delay_alu instid0(VALU_DEP_1) | instskip(NEXT) | instid1(VALU_DEP_1)
	v_mov_b32_e32 v3, v20
	v_cmpx_lt_i64_e64 v[2:3], v[18:19]
	s_cbranch_execz .LBB149_121
; %bb.71:
	s_load_b32 s2, s[0:1], 0xd3c
	v_dual_mov_b32 v1, v20 :: v_dual_lshlrev_b32 v2, 6, v0
	v_mov_b32_e32 v3, v20
	s_wait_xcnt 0x0
	s_add_nc_u64 s[0:1], s[14:15], s[16:17]
	v_mov_b64_e32 v[22:23], 0x3e928af3fca7ab0c
	v_mov_b64_e32 v[24:25], 0x3e5af4eb2a1b768b
	;; [unrolled: 1-line block ×4, first 2 shown]
	v_add_nc_u64_e32 v[30:31], s[0:1], v[2:3]
	s_mov_b32 s23, 0
	s_mov_b64 s[14:15], 0x3ff921fb54442d18
	s_mov_b64 s[16:17], 0x3fe45f306dc9c883
	;; [unrolled: 1-line block ×4, first 2 shown]
	s_mov_b32 s25, s23
	s_mov_b32 s13, s23
                                        ; implicit-def: $vgpr2_vgpr3
                                        ; implicit-def: $vgpr2_vgpr3
                                        ; implicit-def: $vgpr2_vgpr3
                                        ; implicit-def: $vgpr2_vgpr3
                                        ; implicit-def: $vgpr2_vgpr3
                                        ; implicit-def: $vgpr2_vgpr3
                                        ; implicit-def: $vgpr2_vgpr3
                                        ; implicit-def: $vgpr2_vgpr3
                                        ; implicit-def: $vgpr2_vgpr3
                                        ; implicit-def: $vgpr2_vgpr3
                                        ; implicit-def: $vgpr2_vgpr3
                                        ; implicit-def: $vgpr2_vgpr3
                                        ; implicit-def: $vgpr2_vgpr3
                                        ; implicit-def: $vgpr2_vgpr3
                                        ; implicit-def: $vgpr2_vgpr3
                                        ; implicit-def: $vgpr2_vgpr3
                                        ; implicit-def: $vgpr2_vgpr3
                                        ; implicit-def: $vgpr2_vgpr3
                                        ; implicit-def: $vgpr2_vgpr3
                                        ; implicit-def: $vgpr2_vgpr3
                                        ; implicit-def: $vgpr2_vgpr3
                                        ; implicit-def: $vgpr2_vgpr3
                                        ; implicit-def: $vgpr2_vgpr3
	s_wait_kmcnt 0x0
	s_and_b32 s22, s2, 0xffff
	s_delay_alu instid0(SALU_CYCLE_1)
	s_lshl_b32 s24, s22, 6
	s_branch .LBB149_73
.LBB149_72:                             ;   in Loop: Header=BB149_73 Depth=1
	s_or_b32 exec_lo, exec_lo, s0
	v_mul_f64_e32 v[98:99], v[66:67], v[66:67]
	v_dual_mul_f64 v[100:101], v[64:65], v[64:65] :: v_dual_bitop2_b32 v21, 1, v163 bitop3:0x40
	v_mul_f64_e32 v[92:93], 0x3ff71547652b82fe, v[14:15]
	v_mul_f64_e32 v[148:149], 0.5, v[80:81]
	v_mul_f64_e32 v[122:123], 0.5, v[84:85]
	v_mul_f64_e32 v[138:139], v[48:49], v[48:49]
	v_cmp_eq_u32_e64 s6, 0, v21
	v_cmp_class_f64_e64 s7, v[16:17], 0x1f8
	v_mul_f64_e32 v[130:131], v[50:51], v[50:51]
	v_mul_f64_e32 v[170:171], 0x3ff71547652b82fe, v[6:7]
	;; [unrolled: 1-line block ×3, first 2 shown]
	v_cmp_class_f64_e64 s3, v[54:55], 0x1f8
	v_cmp_ngt_f64_e64 s9, 0xc090cc00, v[14:15]
	v_cmp_nlt_f64_e64 s11, s[20:21], v[10:11]
	v_cmp_ngt_f64_e64 s12, 0xc0428000, v[10:11]
	v_cmp_ngt_f64_e64 s10, 0xc0428000, v[14:15]
	v_add_nc_u64_e32 v[0:1], s[22:23], v[0:1]
	v_lshlrev_b32_e32 v169, 30, v167
	v_mul_f64_e32 v[132:133], v[74:75], v[74:75]
	v_and_b32_e32 v167, 1, v167
	s_delay_alu instid0(VALU_DEP_3) | instskip(NEXT) | instid1(VALU_DEP_2)
	v_xor_b32_e32 v169, v169, v17
	v_cmp_eq_u32_e64 s4, 0, v167
	v_mul_f64_e32 v[88:89], 0.5, v[98:99]
	v_mul_f64_e32 v[96:97], 0.5, v[100:101]
	v_mul_f64_e64 v[110:111], v[64:65], -v[100:101]
	v_rndne_f64_e32 v[124:125], v[92:93]
	v_fmamk_f64 v[116:117], v[100:101], 0x3de5e0b2f9a43bb8, v[28:29]
	v_fmamk_f64 v[108:109], v[98:99], 0x3de5e0b2f9a43bb8, v[28:29]
	;; [unrolled: 1-line block ×3, first 2 shown]
	v_mul_f64_e32 v[180:181], v[100:101], v[100:101]
	v_fmamk_f64 v[144:145], v[98:99], 0xbda907db46cc5e42, v[26:27]
	v_fmamk_f64 v[190:191], v[130:131], 0x3de5e0b2f9a43bb8, v[28:29]
	v_mul_f64_e32 v[176:177], v[98:99], v[98:99]
	v_rndne_f64_e32 v[142:143], v[104:105]
	v_fmaak_f64 v[108:109], v[98:99], v[108:109], 0x3ec71de3796cde01
	v_mul_f64_e32 v[146:147], 0.5, v[138:139]
	v_mul_f64_e32 v[192:193], v[138:139], v[138:139]
	v_fmaak_f64 v[188:189], v[98:99], v[144:145], 0xbe927e4fa17f65f6
	v_mul_f64_e64 v[144:145], v[50:51], -v[130:131]
	v_fmaak_f64 v[118:119], v[98:99], v[108:109], 0xbf2a01a019e83e5c
	v_mul_f64_e32 v[108:109], 0.5, v[58:59]
	v_mul_f64_e32 v[134:135], 0.5, v[132:133]
	v_mul_f64_e64 v[128:129], v[74:75], -v[132:133]
	v_fmamk_f64 v[184:185], v[132:133], 0xbda907db46cc5e42, v[26:27]
	v_mul_f64_e32 v[186:187], v[132:133], v[132:133]
	v_add_f64_e64 v[90:91], -v[88:89], 1.0
	v_add_f64_e64 v[94:95], -v[96:97], 1.0
	v_fmamk_f64 v[106:107], v[124:125], 0xbfe62e42fefa39ef, v[14:15]
	v_cmp_eq_f64_e64 s0, 0x40900000, v[124:125]
	v_mul_f64_e64 v[102:103], v[66:67], -v[98:99]
	v_mul_f64_e32 v[136:137], 0.5, v[62:63]
	v_cvt_i32_f64_e32 v194, v[124:125]
	v_fmac_f64_e32 v[106:107], 0xbc7abc9e3b39803f, v[124:125]
	v_cmp_eq_f64_e64 s1, 0x40900000, v[142:143]
	v_add_f64_e64 v[92:93], -v[134:135], 1.0
	v_add_f64_e64 v[112:113], -v[90:91], 1.0
	;; [unrolled: 1-line block ×3, first 2 shown]
	s_delay_alu instid0(VALU_DEP_3) | instskip(NEXT) | instid1(VALU_DEP_3)
	v_add_f64_e64 v[174:175], -v[92:93], 1.0
	v_add_f64_e64 v[126:127], v[112:113], -v[88:89]
	v_fmaak_f64 v[112:113], v[100:101], v[116:117], 0x3ec71de3796cde01
	s_delay_alu instid0(VALU_DEP_4) | instskip(SKIP_2) | instid1(VALU_DEP_4)
	v_add_f64_e64 v[154:155], v[114:115], -v[96:97]
	v_fmaak_f64 v[116:117], v[98:99], v[118:119], 0x3f81111111110bb3
	v_fmamk_f64 v[114:115], v[132:133], 0x3de5e0b2f9a43bb8, v[28:29]
	v_fmaak_f64 v[120:121], v[100:101], v[112:113], 0xbf2a01a019e83e5c
	s_delay_alu instid0(VALU_DEP_3) | instskip(SKIP_1) | instid1(VALU_DEP_4)
	v_fmac_f64_e32 v[122:123], v[102:103], v[116:117]
	v_fmamk_f64 v[116:117], v[106:107], 0x3e21f32ea9d67f34, v[24:25]
	v_fmaak_f64 v[114:115], v[132:133], v[114:115], 0x3ec71de3796cde01
	s_delay_alu instid0(VALU_DEP_4) | instskip(SKIP_1) | instid1(VALU_DEP_4)
	v_fmaak_f64 v[172:173], v[100:101], v[120:121], 0x3f81111111110bb3
	v_fmamk_f64 v[120:121], v[142:143], 0xbfe62e42fefa39ef, v[10:11]
	v_fmaak_f64 v[116:117], v[106:107], v[116:117], 0x3e927e500e0ac05b
	s_delay_alu instid0(VALU_DEP_4)
	v_fmaak_f64 v[182:183], v[132:133], v[114:115], 0xbf2a01a019e83e5c
	v_add_f64_e64 v[114:115], -v[146:147], 1.0
	v_add_f64_e64 v[174:175], v[174:175], -v[134:135]
	v_fmac_f64_e32 v[148:149], v[110:111], v[172:173]
	v_fmac_f64_e32 v[120:121], 0xbc7abc9e3b39803f, v[142:143]
	v_fmaak_f64 v[172:173], v[106:107], v[116:117], 0x3ec71de01b889c29
	v_fmaak_f64 v[182:183], v[132:133], v[182:183], 0x3f81111111110bb3
	v_fma_f64 v[116:117], v[66:67], -v[84:85], v[126:127]
	s_delay_alu instid0(VALU_DEP_3)
	v_fmaak_f64 v[172:173], v[106:107], v[172:173], 0x3efa01a0197bcfd8
	v_fma_f64 v[126:127], v[64:65], -v[80:81], v[154:155]
	v_fmaak_f64 v[154:155], v[100:101], v[178:179], 0xbe927e4fa17f65f6
	v_fmaak_f64 v[178:179], v[98:99], v[188:189], 0x3efa01a019f4ec90
	;; [unrolled: 1-line block ×3, first 2 shown]
	v_fmamk_f64 v[190:191], v[130:131], 0xbda907db46cc5e42, v[26:27]
	v_fmaak_f64 v[172:173], v[106:107], v[172:173], 0x3f2a01a01ac1a723
	v_fmaak_f64 v[154:155], v[100:101], v[154:155], 0x3efa01a019f4ec90
	;; [unrolled: 1-line block ×3, first 2 shown]
	v_fma_f64 v[122:123], v[98:99], v[122:123], -v[84:85]
	s_delay_alu instid0(VALU_DEP_4) | instskip(NEXT) | instid1(VALU_DEP_4)
	v_fmaak_f64 v[172:173], v[106:107], v[172:173], 0x3f56c16c16c18931
	v_fmaak_f64 v[134:135], v[100:101], v[154:155], 0xbf56c16c16c16967
	s_delay_alu instid0(VALU_DEP_4) | instskip(NEXT) | instid1(VALU_DEP_3)
	v_fmaak_f64 v[98:99], v[98:99], v[178:179], 0x3fa5555555555555
	v_fmaak_f64 v[154:155], v[106:107], v[172:173], 0x3f81111111110056
	v_fma_f64 v[148:149], v[100:101], v[148:149], -v[80:81]
	s_delay_alu instid0(VALU_DEP_4) | instskip(SKIP_3) | instid1(VALU_DEP_3)
	v_fmaak_f64 v[100:101], v[100:101], v[134:135], 0x3fa5555555555555
	v_fmamk_f64 v[80:81], v[120:121], 0x3e21f32ea9d67f34, v[24:25]
	v_mul_f64_e32 v[172:173], v[130:131], v[130:131]
	v_fmaak_f64 v[134:135], v[106:107], v[154:155], 0x3fa5555555555552
	v_fmaak_f64 v[80:81], v[120:121], v[80:81], 0x3e927e500e0ac05b
	v_fmac_f64_e32 v[116:117], v[176:177], v[98:99]
	v_fmac_f64_e32 v[126:127], v[180:181], v[100:101]
	v_fmamk_f64 v[176:177], v[138:139], 0x3de5e0b2f9a43bb8, v[28:29]
	v_fmaak_f64 v[98:99], v[106:107], v[134:135], 0x3fc5555555555557
	v_fmaak_f64 v[80:81], v[120:121], v[80:81], 0x3ec71de01b889c29
	s_delay_alu instid0(VALU_DEP_2) | instskip(NEXT) | instid1(VALU_DEP_2)
	v_fma_f64 v[180:181], v[106:107], v[98:99], 0.5
	v_fmaak_f64 v[80:81], v[120:121], v[80:81], 0x3efa01a0197bcfd8
	s_delay_alu instid0(VALU_DEP_1) | instskip(SKIP_1) | instid1(VALU_DEP_2)
	v_fmaak_f64 v[80:81], v[120:121], v[80:81], 0x3f2a01a01ac1a723
	v_fmac_f64_e32 v[148:149], 0xbfc5555555555555, v[110:111]
	v_fmaak_f64 v[80:81], v[120:121], v[80:81], 0x3f56c16c16c18931
	v_add_f64_e32 v[90:91], v[90:91], v[116:117]
	v_add_f64_e32 v[126:127], v[94:95], v[126:127]
	s_delay_alu instid0(VALU_DEP_3) | instskip(SKIP_2) | instid1(VALU_DEP_1)
	v_fmaak_f64 v[124:125], v[120:121], v[80:81], 0x3f81111111110056
	v_add_f64_e64 v[148:149], v[64:65], -v[148:149]
	v_mul_f64_e32 v[152:153], 0.5, v[86:87]
	v_fmac_f64_e32 v[152:153], v[128:129], v[182:183]
	v_fmamk_f64 v[182:183], v[106:107], 0x3e5ade156a5dcb37, v[22:23]
	s_delay_alu instid0(VALU_DEP_1) | instskip(NEXT) | instid1(VALU_DEP_1)
	v_fmaak_f64 v[182:183], v[106:107], v[182:183], 0x3ec71dee623fde64
	v_fmaak_f64 v[178:179], v[106:107], v[182:183], 0x3efa01997c89e6b0
	;; [unrolled: 1-line block ×3, first 2 shown]
	v_add_f64_e64 v[188:189], -v[114:115], 1.0
	s_delay_alu instid0(VALU_DEP_3) | instskip(NEXT) | instid1(VALU_DEP_1)
	v_fmaak_f64 v[154:155], v[106:107], v[178:179], 0x3f2a01a014761f6e
	v_fmaak_f64 v[100:101], v[106:107], v[154:155], 0x3f56c16c1852b7b0
	s_delay_alu instid0(VALU_DEP_4)
	v_fmaak_f64 v[154:155], v[130:131], v[182:183], 0x3f81111111110bb3
	v_fmamk_f64 v[182:183], v[138:139], 0xbda907db46cc5e42, v[26:27]
	v_fma_f64 v[98:99], v[132:133], v[152:153], -v[86:87]
	v_fmaak_f64 v[152:153], v[132:133], v[184:185], 0xbe927e4fa17f65f6
	v_ldexp_f64 v[184:185], 1.0, v194
	v_fmaak_f64 v[100:101], v[106:107], v[100:101], 0x3f81111111122322
	v_fmac_f64_e32 v[136:137], v[144:145], v[154:155]
	v_rndne_f64_e32 v[154:155], v[170:171]
	v_fmaak_f64 v[170:171], v[130:131], v[190:191], 0xbe927e4fa17f65f6
	v_dual_lshlrev_b32 v162, 30, v162 :: v_dual_bitop2_b32 v191, 1, v162 bitop3:0x40
	v_mul_f64_e32 v[140:141], 0.5, v[56:57]
	v_fmaak_f64 v[100:101], v[106:107], v[100:101], 0x3fa55555555502a1
	v_fmaak_f64 v[152:153], v[132:133], v[152:153], 0x3efa01a019f4ec90
	s_delay_alu instid0(VALU_DEP_4)
	v_cmp_eq_u32_e64 s2, 0, v191
	v_mul_f64_e32 v[150:151], 0.5, v[130:131]
	v_fmaak_f64 v[170:171], v[130:131], v[170:171], 0x3efa01a019f4ec90
	v_xor_b32_e32 v162, v162, v55
	v_cvt_i32_f64_e32 v190, v[142:143]
	v_cndmask_b32_e64 v126, v126, v148, s2
	v_mul_f64_e32 v[104:105], v[52:53], v[52:53]
	v_fmaak_f64 v[100:101], v[106:107], v[100:101], 0x3fc5555555555511
	v_cndmask_b32_e64 v127, v127, v149, s2
	v_cmp_class_f64_e64 s2, v[12:13], 0x1f8
	v_mul_f64_e64 v[134:135], v[48:49], -v[138:139]
	v_cndmask_b32_e64 v16, 0, v126, s3
	v_fmaak_f64 v[170:171], v[130:131], v[170:171], 0xbf56c16c16c16967
	v_mul_f64_e32 v[148:149], 0.5, v[82:83]
	v_fmaak_f64 v[100:101], v[106:107], v[100:101], 0x3fe000000000000b
	v_fmac_f64_e32 v[98:99], 0xbfc5555555555555, v[128:129]
	s_delay_alu instid0(VALU_DEP_2) | instskip(SKIP_3) | instid1(VALU_DEP_1)
	v_fma_f64 v[100:101], v[106:107], v[100:101], 1.0
	v_cmp_eq_f64_e32 vcc_lo, 0x40900000, v[154:155]
	v_cvt_i32_f64_e32 v168, v[154:155]
	v_add_f64_e64 v[112:113], -v[150:151], 1.0
	v_add_f64_e64 v[84:85], -v[112:113], 1.0
	s_delay_alu instid0(VALU_DEP_1)
	v_add_f64_e64 v[150:151], v[84:85], -v[150:151]
	v_fma_f64 v[84:85], v[74:75], -v[86:87], v[174:175]
	v_fmaak_f64 v[174:175], v[138:139], v[176:177], 0x3ec71de3796cde01
	v_add_f64_e64 v[176:177], v[188:189], -v[146:147]
	v_fmaak_f64 v[146:147], v[132:133], v[152:153], 0xbf56c16c16c16967
	v_fmamk_f64 v[188:189], v[104:105], 0x3de5e0b2f9a43bb8, v[28:29]
	v_fmamk_f64 v[86:87], v[120:121], 0x3e5ade156a5dcb37, v[22:23]
	v_add_f64_e64 v[74:75], v[74:75], -v[98:99]
	v_fmaak_f64 v[174:175], v[138:139], v[174:175], 0xbf2a01a019e83e5c
	v_fmaak_f64 v[132:133], v[132:133], v[146:147], 0x3fa5555555555555
	v_mul_f64_e64 v[146:147], v[52:53], -v[104:105]
	v_fmaak_f64 v[188:189], v[104:105], v[188:189], 0x3ec71de3796cde01
	v_fmaak_f64 v[86:87], v[120:121], v[86:87], 0x3ec71dee623fde64
	;; [unrolled: 1-line block ×3, first 2 shown]
	v_mul_f64_e32 v[174:175], v[106:107], v[180:181]
	v_fmaak_f64 v[180:181], v[120:121], v[124:125], 0x3fa5555555555552
	s_delay_alu instid0(VALU_DEP_4) | instskip(NEXT) | instid1(VALU_DEP_4)
	v_fmaak_f64 v[86:87], v[120:121], v[86:87], 0x3efa01997c89e6b0
	v_fmac_f64_e32 v[140:141], v[134:135], v[152:153]
	s_delay_alu instid0(VALU_DEP_3)
	v_fmaak_f64 v[152:153], v[120:121], v[180:181], 0x3fc5555555555557
	v_fmaak_f64 v[180:181], v[138:139], v[182:183], 0xbe927e4fa17f65f6
	v_fmamk_f64 v[182:183], v[104:105], 0xbda907db46cc5e42, v[26:27]
	v_fmaak_f64 v[86:87], v[120:121], v[86:87], 0x3f2a01a014761f6e
	v_fma_f64 v[124:125], v[50:51], -v[62:63], v[150:151]
	v_fmac_f64_e32 v[84:85], v[186:187], v[132:133]
	v_fma_f64 v[186:187], v[120:121], v[152:153], 0.5
	v_fma_f64 v[152:153], v[130:131], v[136:137], -v[62:63]
	v_fmaak_f64 v[130:131], v[130:131], v[170:171], 0x3fa5555555555555
	v_cndmask_b32_e64 v171, v185, 0x7fe00000, s0
	v_cndmask_b32_e64 v170, v184, 0, s0
	v_fmaak_f64 v[184:185], v[104:105], v[188:189], 0xbf2a01a019e83e5c
	v_fma_f64 v[136:137], v[106:107], v[100:101], 1.0
	v_fmaak_f64 v[86:87], v[120:121], v[86:87], 0x3f56c16c1852b7b0
	v_fma_f64 v[132:133], v[48:49], -v[56:57], v[176:177]
	v_add_f64_e32 v[100:101], -1.0, v[170:171]
	v_fmaak_f64 v[180:181], v[138:139], v[180:181], 0x3efa01a019f4ec90
	v_and_b32_e32 v188, 1, v160
	v_fmamk_f64 v[62:63], v[154:155], 0xbfe62e42fefa39ef, v[6:7]
	v_lshlrev_b32_e32 v189, 30, v161
	v_fmaak_f64 v[86:87], v[120:121], v[86:87], 0x3f81111111122322
	v_fmac_f64_e32 v[106:107], v[106:107], v[174:175]
	v_fmaak_f64 v[174:175], v[104:105], v[184:185], 0x3f81111111110bb3
	v_cmp_eq_u32_e64 s8, 0, v188
	v_fmac_f64_e32 v[62:63], 0xbc7abc9e3b39803f, v[154:155]
	v_fma_f64 v[140:141], v[138:139], v[140:141], -v[56:57]
	v_fmaak_f64 v[86:87], v[120:121], v[86:87], 0x3fa55555555502a1
	v_fmac_f64_e32 v[108:109], v[146:147], v[174:175]
	s_delay_alu instid0(VALU_DEP_2)
	v_fmaak_f64 v[86:87], v[120:121], v[86:87], 0x3fc5555555555511
	v_fmac_f64_e32 v[124:125], v[172:173], v[130:131]
	v_fmaak_f64 v[172:173], v[138:139], v[180:181], 0xbf56c16c16c16967
	v_ldexp_f64 v[180:181], 1.0, v190
	v_fmac_f64_e32 v[152:153], 0xbfc5555555555555, v[144:145]
	v_mul_f64_e32 v[184:185], v[120:121], v[186:187]
	v_add_f64_e32 v[84:85], v[92:93], v[84:85]
	v_fmaak_f64 v[86:87], v[120:121], v[86:87], 0x3fe000000000000b
	v_fmaak_f64 v[138:139], v[138:139], v[172:173], 0x3fa5555555555555
	v_ldexp_f64 v[116:117], v[136:137], v194
	s_delay_alu instid0(VALU_DEP_3) | instskip(SKIP_1) | instid1(VALU_DEP_4)
	v_fma_f64 v[172:173], v[120:121], v[86:87], 1.0
	v_fmaak_f64 v[86:87], v[104:105], v[182:183], 0xbe927e4fa17f65f6
	v_fmac_f64_e32 v[132:133], v[192:193], v[138:139]
	v_mul_f64_e32 v[182:183], 0x3ff71547652b82fe, v[2:3]
	v_fmac_f64_e32 v[100:101], v[170:171], v[106:107]
	v_mul_f64_e32 v[138:139], v[68:69], v[68:69]
	v_fmaak_f64 v[86:87], v[104:105], v[86:87], 0x3efa01a019f4ec90
	v_fmac_f64_e32 v[140:141], 0xbfc5555555555555, v[134:135]
	v_fma_f64 v[108:109], v[104:105], v[108:109], -v[58:59]
	s_delay_alu instid0(VALU_DEP_3)
	v_fmaak_f64 v[186:187], v[104:105], v[86:87], 0xbf56c16c16c16967
	v_mul_f64_e32 v[86:87], v[42:43], v[42:43]
	v_add_f64_e32 v[54:55], v[112:113], v[124:125]
	v_cndmask_b32_e64 v155, v181, 0x7fe00000, s1
	v_cndmask_b32_e64 v154, v180, 0, s1
	v_fmaak_f64 v[170:171], v[104:105], v[186:187], 0x3fa5555555555555
	v_dual_cndmask_b32 v126, v84, v74, s4 :: v_dual_bitop2_b32 v186, 1, v159 bitop3:0x40
	s_delay_alu instid0(VALU_DEP_3) | instskip(NEXT) | instid1(VALU_DEP_2)
	v_add_f64_e32 v[180:181], -1.0, v[154:155]
	v_cmp_eq_u32_e64 s5, 0, v186
	v_fma_f64 v[172:173], v[120:121], v[172:173], 1.0
	v_fmac_f64_e32 v[120:121], v[120:121], v[184:185]
	v_add_f64_e32 v[112:113], v[114:115], v[132:133]
	v_mul_f64_e32 v[184:185], v[104:105], v[104:105]
	v_add_f64_e32 v[124:125], v[100:101], v[100:101]
	v_add_f64_e64 v[98:99], v[48:49], -v[140:141]
	v_mul_f64_e32 v[118:119], 0.5, v[40:41]
	v_fmac_f64_e32 v[108:109], 0xbfc5555555555555, v[146:147]
	v_add_f64_e64 v[146:147], v[50:51], -v[152:153]
	v_ldexp_f64 v[48:49], v[172:173], v190
	v_fmac_f64_e32 v[180:181], v[154:155], v[120:121]
	v_mul_f64_e32 v[178:179], 0.5, v[104:105]
	v_cndmask_b32_e64 v132, v100, v124, s0
	v_cndmask_b32_e64 v136, v112, v98, s5
	v_dual_cndmask_b32 v152, v146, v54, s8 :: v_dual_cndmask_b32 v54, v101, v125, s0
	v_fmac_f64_e32 v[122:123], 0xbfc5555555555555, v[102:103]
	v_fmamk_f64 v[102:103], v[62:63], 0x3e5ade156a5dcb37, v[22:23]
	v_cmp_nlt_f64_e64 s0, s[20:21], v[14:15]
	v_add_f64_e64 v[80:81], -v[178:179], 1.0
	s_delay_alu instid0(VALU_DEP_4) | instskip(NEXT) | instid1(VALU_DEP_3)
	v_add_f64_e64 v[122:123], v[66:67], -v[122:123]
	v_cndmask_b32_e64 v133, 0x7ff00000, v54, s0
	s_and_b32 s0, s10, s0
	s_delay_alu instid0(SALU_CYCLE_1) | instskip(SKIP_1) | instid1(VALU_DEP_2)
	v_cndmask_b32_e64 v132, 0, v132, s0
	s_and_b32 s0, s12, s11
	v_cndmask_b32_e64 v133, 0xbff00000, v133, s10
	v_add_f64_e64 v[176:177], -v[80:81], 1.0
	v_dual_cndmask_b32 v21, v122, v90, s6 :: v_dual_cndmask_b32 v122, v113, v99, s5
	v_cmp_nlt_f64_e64 s5, 0x40900000, v[14:15]
	v_xor_b32_e32 v123, 0x80000000, v123
	v_dual_mul_f64 v[88:89], v[36:37], v[36:37] :: v_dual_lshlrev_b32 v14, 30, v159
	v_mul_f64_e32 v[98:99], 0.5, v[70:71]
	v_lshlrev_b32_e32 v113, 30, v163
	s_delay_alu instid0(VALU_DEP_4) | instskip(NEXT) | instid1(VALU_DEP_4)
	v_dual_cndmask_b32 v112, v123, v91, s6 :: v_dual_lshlrev_b32 v123, 30, v160
	v_xor_b32_e32 v124, v14, v47
	v_cmp_class_f64_e64 s6, v[60:61], 0x1f8
	v_add_f64_e64 v[176:177], v[176:177], -v[178:179]
	v_fmamk_f64 v[178:179], v[62:63], 0x3e21f32ea9d67f34, v[24:25]
	s_delay_alu instid0(VALU_DEP_1) | instskip(SKIP_2) | instid1(VALU_DEP_3)
	v_fmaak_f64 v[106:107], v[62:63], v[178:179], 0x3e927e500e0ac05b
	v_cndmask_b32_e64 v117, 0x7ff00000, v117, s5
	v_mul_f64_e32 v[96:97], v[34:35], v[34:35]
	v_fmaak_f64 v[178:179], v[62:63], v[106:107], 0x3ec71de01b889c29
	v_fmamk_f64 v[128:129], v[88:89], 0x3de5e0b2f9a43bb8, v[28:29]
	v_fmamk_f64 v[90:91], v[88:89], 0xbda907db46cc5e42, v[26:27]
	s_delay_alu instid0(VALU_DEP_3)
	v_fmaak_f64 v[104:105], v[62:63], v[178:179], 0x3efa01a0197bcfd8
	v_fmaak_f64 v[178:179], v[62:63], v[102:103], 0x3ec71dee623fde64
	v_rndne_f64_e32 v[102:103], v[182:183]
	v_mul_f64_e32 v[182:183], 0.5, v[138:139]
	v_fmaak_f64 v[90:91], v[88:89], v[90:91], 0xbe927e4fa17f65f6
	v_fmaak_f64 v[104:105], v[62:63], v[104:105], 0x3f2a01a01ac1a723
	;; [unrolled: 1-line block ×3, first 2 shown]
	v_fma_f64 v[176:177], v[52:53], -v[58:59], v[176:177]
	v_add_f64_e64 v[52:53], v[52:53], -v[108:109]
	v_mul_f64_e64 v[58:59], v[36:37], -v[88:89]
	v_xor_b32_e32 v178, v189, v13
	v_fmaak_f64 v[90:91], v[88:89], v[90:91], 0x3efa01a019f4ec90
	v_fmaak_f64 v[64:65], v[62:63], v[104:105], 0x3f56c16c16c18931
	;; [unrolled: 1-line block ×4, first 2 shown]
	s_delay_alu instid0(VALU_DEP_3) | instskip(NEXT) | instid1(VALU_DEP_3)
	v_fmaak_f64 v[128:129], v[62:63], v[64:65], 0x3f81111111110056
	v_fmaak_f64 v[154:155], v[62:63], v[94:95], 0x3f56c16c1852b7b0
	s_delay_alu instid0(VALU_DEP_3)
	v_fmaak_f64 v[134:135], v[88:89], v[104:105], 0xbf2a01a019e83e5c
	v_mul_f64_e64 v[130:131], v[34:35], -v[96:97]
	v_fmamk_f64 v[56:57], v[96:97], 0x3de5e0b2f9a43bb8, v[28:29]
	v_mul_f64_e32 v[64:65], v[72:73], v[72:73]
	v_fmaak_f64 v[128:129], v[62:63], v[128:129], 0x3fa5555555555552
	v_fmaak_f64 v[134:135], v[88:89], v[134:135], 0x3f81111111110bb3
	s_delay_alu instid0(VALU_DEP_4) | instskip(SKIP_2) | instid1(VALU_DEP_3)
	v_fmaak_f64 v[174:175], v[96:97], v[56:57], 0x3ec71de3796cde01
	v_fmamk_f64 v[50:51], v[102:103], 0xbfe62e42fefa39ef, v[2:3]
	v_add_f64_e64 v[66:67], -v[182:183], 1.0
	v_fmaak_f64 v[174:175], v[96:97], v[174:175], 0xbf2a01a019e83e5c
	s_delay_alu instid0(VALU_DEP_3) | instskip(SKIP_1) | instid1(VALU_DEP_3)
	v_fmac_f64_e32 v[50:51], 0xbc7abc9e3b39803f, v[102:103]
	v_fmac_f64_e32 v[176:177], v[184:185], v[170:171]
	v_fmaak_f64 v[174:175], v[96:97], v[174:175], 0x3f81111111110bb3
	s_delay_alu instid0(VALU_DEP_1) | instskip(SKIP_2) | instid1(VALU_DEP_1)
	v_fmac_f64_e32 v[118:119], v[130:131], v[174:175]
	v_ldexp_f64 v[174:175], 1.0, v168
	v_fmamk_f64 v[140:141], v[64:65], 0x3de5e0b2f9a43bb8, v[28:29]
	v_fmaak_f64 v[140:141], v[64:65], v[140:141], 0x3ec71de3796cde01
	v_add_f64_e64 v[100:101], -v[66:67], 1.0
	s_delay_alu instid0(VALU_DEP_2)
	v_fmaak_f64 v[140:141], v[64:65], v[140:141], 0xbf2a01a019e83e5c
	v_fmamk_f64 v[14:15], v[50:51], 0x3e21f32ea9d67f34, v[24:25]
	v_add_f64_e32 v[80:81], v[80:81], v[176:177]
	v_fma_f64 v[94:95], v[96:97], v[118:119], -v[40:41]
	v_fmaak_f64 v[118:119], v[62:63], v[128:129], 0x3fc5555555555557
	v_cndmask_b32_e64 v115, v175, 0x7fe00000, vcc_lo
	v_cndmask_b32_e64 v114, v174, 0, vcc_lo
	s_delay_alu instid0(VALU_DEP_3)
	v_fma_f64 v[118:119], v[62:63], v[118:119], 0.5
	v_add_f64_e64 v[100:101], v[100:101], -v[182:183]
	v_fmac_f64_e32 v[94:95], 0xbfc5555555555555, v[130:131]
	v_add_f64_e32 v[130:131], v[180:181], v[180:181]
	v_mul_f64_e32 v[150:151], 0.5, v[96:97]
	v_mul_f64_e32 v[108:109], v[62:63], v[118:119]
	v_bitop3_b32 v118, v127, v162, 0x80000000 bitop3:0x78
	v_bitop3_b32 v127, v112, v113, 0x80000000 bitop3:0x78
	s_delay_alu instid0(VALU_DEP_2)
	v_cndmask_b32_e64 v17, 0x7ff80000, v118, s3
	v_cndmask_b32_e64 v118, v85, v75, s4
	v_cmp_nlt_f64_e64 s3, 0x40900000, v[10:11]
	v_cmp_ngt_f64_e64 s4, 0xc090cc00, v[10:11]
	v_mul_f64_e32 v[84:85], v[78:79], v[78:79]
	v_add_f64_e32 v[12:13], v[16:17], v[16:17]
	v_cndmask_b32_e64 v137, v180, v130, s1
	v_add_f64_e64 v[56:57], -v[150:151], 1.0
	v_cndmask_b32_e64 v74, v181, v131, s1
	s_and_b32 s1, s9, s5
	v_fmamk_f64 v[130:131], v[50:51], 0x3e5ade156a5dcb37, v[22:23]
	s_delay_alu instid0(VALU_DEP_1) | instskip(SKIP_2) | instid1(SALU_CYCLE_1)
	v_fmaak_f64 v[130:131], v[50:51], v[130:131], 0x3ec71dee623fde64
	v_cndmask_b32_e64 v49, 0x7ff00000, v49, s3
	s_and_b32 s3, s4, s3
	v_dual_mul_f64 v[110:111], 0.5, v[38:39] :: v_dual_cndmask_b32 v48, 0, v48, s3
	v_mul_f64_e32 v[16:17], v[12:13], v[16:17]
	v_fmaak_f64 v[12:13], v[50:51], v[14:15], 0x3e927e500e0ac05b
	v_fmamk_f64 v[14:15], v[138:139], 0x3de5e0b2f9a43bb8, v[28:29]
	v_cmp_nlt_f64_e64 s3, s[20:21], v[6:7]
	v_cndmask_b32_e64 v49, 0, v49, s4
	v_cmp_ngt_f64_e64 s4, 0xc0428000, v[6:7]
	v_fmaak_f64 v[12:13], v[50:51], v[12:13], 0x3ec71de01b889c29
	v_fmaak_f64 v[14:15], v[138:139], v[14:15], 0x3ec71de3796cde01
	v_add_f64_e64 v[144:145], -v[56:57], 1.0
	v_fmac_f64_e32 v[110:111], v[58:59], v[134:135]
	s_delay_alu instid0(VALU_DEP_2) | instskip(SKIP_2) | instid1(VALU_DEP_2)
	v_add_f64_e64 v[128:129], v[144:145], -v[150:151]
	v_fmaak_f64 v[144:145], v[62:63], v[154:155], 0x3f81111111122322
	v_fmamk_f64 v[150:151], v[96:97], 0xbda907db46cc5e42, v[26:27]
	v_fmaak_f64 v[134:135], v[62:63], v[144:145], 0x3fa55555555502a1
	s_delay_alu instid0(VALU_DEP_2)
	v_fmaak_f64 v[10:11], v[96:97], v[150:151], 0xbe927e4fa17f65f6
	v_bitop3_b32 v151, v122, v124, 0x80000000 bitop3:0x78
	v_fmaak_f64 v[124:125], v[50:51], v[12:13], 0x3efa01a0197bcfd8
	v_dual_cndmask_b32 v12, 0, v126, s7 :: v_dual_cndmask_b32 v122, 0, v21, s7
	v_cvt_i32_f64_e32 v21, v[102:103]
	v_fmaak_f64 v[92:93], v[62:63], v[134:135], 0x3fc5555555555511
	v_cndmask_b32_e64 v134, 0x7ff00000, v74, s11
	v_mul_f64_e64 v[144:145], v[42:43], -v[86:87]
	v_fmaak_f64 v[124:125], v[50:51], v[124:125], 0x3f2a01a01ac1a723
	s_delay_alu instid0(VALU_DEP_3)
	v_cndmask_b32_e64 v135, 0xbff00000, v134, s12
	v_fmaak_f64 v[92:93], v[62:63], v[92:93], 0x3fe000000000000b
	v_cndmask_b32_e64 v134, 0, v137, s0
	v_cmp_class_f64_e64 s0, v[46:47], 0x1f8
	v_fmaak_f64 v[124:125], v[50:51], v[124:125], 0x3f56c16c16c18931
	v_and_b32_e32 v47, 1, v161
	v_fma_f64 v[92:93], v[62:63], v[92:93], 1.0
	s_delay_alu instid0(VALU_DEP_2) | instskip(SKIP_4) | instid1(VALU_DEP_3)
	v_cmp_eq_u32_e64 s5, 0, v47
	v_fma_f64 v[40:41], v[34:35], -v[40:41], v[128:129]
	v_xor_b32_e32 v128, 0x80000000, v147
	v_add_f64_e64 v[34:35], v[34:35], -v[94:95]
	v_mul_f64_e32 v[94:95], v[86:87], v[86:87]
	v_dual_mul_f64 v[146:147], 0.5, v[44:45] :: v_dual_cndmask_b32 v119, v128, v55, s8
	v_bitop3_b32 v128, v118, v169, 0x80000000 bitop3:0x78
	s_delay_alu instid0(VALU_DEP_2)
	v_bitop3_b32 v150, v119, v123, 0x80000000 bitop3:0x78
	v_add_f64_e32 v[118:119], -1.0, v[114:115]
	v_cndmask_b32_e64 v123, 0x7ff80000, v127, s7
	v_fmaak_f64 v[126:127], v[138:139], v[14:15], 0xbf2a01a019e83e5c
	v_dual_cndmask_b32 v15, 0, v117, s9 :: v_dual_cndmask_b32 v14, 0, v116, s1
	v_fmaak_f64 v[10:11], v[96:97], v[10:11], 0x3efa01a019f4ec90
	v_cmp_eq_f64_e64 s1, 0x40900000, v[102:103]
	v_fmaak_f64 v[102:103], v[64:65], v[140:141], 0x3f81111111110bb3
	v_cndmask_b32_e64 v13, 0x7ff80000, v128, s7
	v_fmaak_f64 v[116:117], v[138:139], v[126:127], 0x3f81111111110bb3
	v_cmp_ngt_f64_e64 s7, 0xc0428000, v[2:3]
	v_cmp_class_f64_e64 s9, v[4:5], 0x1f8
	v_fmaak_f64 v[10:11], v[96:97], v[10:11], 0xbf56c16c16c16967
	v_cndmask_b32_e64 v46, 0, v136, s0
	v_cndmask_b32_e64 v47, 0x7ff80000, v151, s0
	v_mul_f64_e32 v[136:137], 0.5, v[76:77]
	v_mul_f64_e32 v[12:13], v[14:15], v[12:13]
	v_fma_f64 v[74:75], v[62:63], v[92:93], 1.0
	v_fmac_f64_e32 v[62:63], v[62:63], v[108:109]
	v_mul_f64_e64 v[92:93], v[68:69], -v[138:139]
	v_mul_f64_e32 v[108:109], v[96:97], v[96:97]
	v_fmaak_f64 v[96:97], v[96:97], v[10:11], 0x3fa5555555555555
	v_fma_f64 v[10:11], v[132:133], v[122:123], -v[16:17]
	v_fmamk_f64 v[122:123], v[86:87], 0x3de5e0b2f9a43bb8, v[28:29]
	v_fmaak_f64 v[16:17], v[88:89], v[90:91], 0xbf56c16c16c16967
	v_mul_f64_e64 v[132:133], v[72:73], -v[64:65]
	v_lshlrev_b64_e32 v[14:15], 2, v[0:1]
	s_delay_alu instid0(VALU_DEP_4) | instskip(NEXT) | instid1(VALU_DEP_4)
	v_fmaak_f64 v[122:123], v[86:87], v[122:123], 0x3ec71de3796cde01
	v_fmaak_f64 v[16:17], v[88:89], v[16:17], 0x3fa5555555555555
	v_fmac_f64_e32 v[118:119], v[114:115], v[62:63]
	v_mul_f64_e32 v[142:143], 0.5, v[88:89]
	v_fmac_f64_e32 v[98:99], v[92:93], v[116:117]
	v_fmaak_f64 v[116:117], v[50:51], v[124:125], 0x3f81111111110056
	v_fmaak_f64 v[124:125], v[50:51], v[130:131], 0x3efa01997c89e6b0
	v_mul_f64_e32 v[130:131], v[88:89], v[88:89]
	v_fmac_f64_e32 v[40:41], v[108:109], v[96:97]
	v_fmac_f64_e32 v[136:137], v[132:133], v[102:103]
	v_and_b32_e32 v102, 1, v156
	v_fmaak_f64 v[116:117], v[50:51], v[116:117], 0x3fa5555555555552
	v_fmaak_f64 v[124:125], v[50:51], v[124:125], 0x3f2a01a014761f6e
	s_delay_alu instid0(VALU_DEP_3) | instskip(NEXT) | instid1(VALU_DEP_3)
	v_cmp_eq_u32_e64 s0, 0, v102
	v_fmaak_f64 v[90:91], v[50:51], v[116:117], 0x3fc5555555555557
	s_delay_alu instid0(VALU_DEP_3) | instskip(NEXT) | instid1(VALU_DEP_2)
	v_fmaak_f64 v[108:109], v[50:51], v[124:125], 0x3f56c16c1852b7b0
	v_fma_f64 v[90:91], v[50:51], v[90:91], 0.5
	s_delay_alu instid0(VALU_DEP_2) | instskip(NEXT) | instid1(VALU_DEP_1)
	v_fmaak_f64 v[108:109], v[50:51], v[108:109], 0x3f81111111122322
	v_fmaak_f64 v[108:109], v[50:51], v[108:109], 0x3fa55555555502a1
	v_add_f64_e64 v[106:107], -v[142:143], 1.0
	v_fma_f64 v[98:99], v[138:139], v[98:99], -v[70:71]
	v_fma_f64 v[70:71], v[68:69], -v[70:71], v[100:101]
	v_mul_f64_e32 v[100:101], v[138:139], v[138:139]
	v_add_f64_e32 v[40:41], v[56:57], v[40:41]
	v_fmaak_f64 v[108:109], v[50:51], v[108:109], 0x3fc5555555555511
	s_delay_alu instid0(VALU_DEP_1) | instskip(NEXT) | instid1(VALU_DEP_1)
	v_fmaak_f64 v[108:109], v[50:51], v[108:109], 0x3fe000000000000b
	v_fma_f64 v[108:109], v[50:51], v[108:109], 1.0
	v_mul_f64_e32 v[90:91], v[50:51], v[90:91]
	v_add_f64_e64 v[120:121], -v[106:107], 1.0
	v_fmac_f64_e32 v[98:99], 0xbfc5555555555555, v[92:93]
	v_fmamk_f64 v[92:93], v[64:65], 0xbda907db46cc5e42, v[26:27]
	v_dual_cndmask_b32 v102, v40, v34, s0 :: v_dual_cndmask_b32 v103, v41, v35, s0
	v_ldexp_f64 v[34:35], v[74:75], v168
	v_add_f64_e64 v[120:121], v[120:121], -v[142:143]
	v_fmamk_f64 v[142:143], v[138:139], 0xbda907db46cc5e42, v[26:27]
	v_add_f64_e64 v[68:69], v[68:69], -v[98:99]
	v_mul_f64_e32 v[98:99], v[64:65], v[64:65]
	s_delay_alu instid0(VALU_DEP_3) | instskip(NEXT) | instid1(VALU_DEP_1)
	v_fmaak_f64 v[142:143], v[138:139], v[142:143], 0xbe927e4fa17f65f6
	v_fmaak_f64 v[142:143], v[138:139], v[142:143], 0x3efa01a019f4ec90
	v_fma_f64 v[120:121], v[36:37], -v[38:39], v[120:121]
	v_fma_f64 v[38:39], v[88:89], v[110:111], -v[38:39]
	v_fmaak_f64 v[88:89], v[86:87], v[122:123], 0xbf2a01a019e83e5c
	s_delay_alu instid0(VALU_DEP_4) | instskip(SKIP_2) | instid1(VALU_DEP_4)
	v_fmaak_f64 v[122:123], v[138:139], v[142:143], 0xbf56c16c16c16967
	v_ldexp_f64 v[110:111], 1.0, v21
	v_mul_f64_e64 v[142:143], v[78:79], -v[84:85]
	v_fmaak_f64 v[62:63], v[86:87], v[88:89], 0x3f81111111110bb3
	s_delay_alu instid0(VALU_DEP_4) | instskip(NEXT) | instid1(VALU_DEP_2)
	v_fmaak_f64 v[122:123], v[138:139], v[122:123], 0x3fa5555555555555
	v_fmac_f64_e32 v[146:147], v[144:145], v[62:63]
	s_delay_alu instid0(VALU_DEP_2)
	v_fmac_f64_e32 v[70:71], v[100:101], v[122:123]
	v_dual_cndmask_b32 v100, v80, v52, s5 :: v_dual_cndmask_b32 v101, v81, v53, s5
	v_cmp_class_f64_e64 s5, v[32:33], 0x1f8
	v_dual_add_f64 v[62:63], v[46:47], v[46:47] :: v_dual_lshlrev_b32 v32, 30, v156
	v_fmac_f64_e32 v[120:121], v[130:131], v[16:17]
	v_fmac_f64_e32 v[38:39], 0xbfc5555555555555, v[58:59]
	v_fmamk_f64 v[58:59], v[86:87], 0xbda907db46cc5e42, v[26:27]
	v_cndmask_b32_e64 v16, 0, v152, s2
	v_cndmask_b32_e64 v17, 0x7ff80000, v150, s2
	s_delay_alu instid0(VALU_DEP_3) | instskip(NEXT) | instid1(VALU_DEP_1)
	v_fmaak_f64 v[58:59], v[86:87], v[58:59], 0xbe927e4fa17f65f6
	v_fmaak_f64 v[58:59], v[86:87], v[58:59], 0x3efa01a019f4ec90
	v_add_f64_e32 v[66:67], v[66:67], v[70:71]
	v_fmaak_f64 v[70:71], v[64:65], v[92:93], 0xbe927e4fa17f65f6
	v_mul_f64_e32 v[46:47], v[62:63], v[46:47]
	s_delay_alu instid0(VALU_DEP_4) | instskip(NEXT) | instid1(VALU_DEP_3)
	v_fmaak_f64 v[58:59], v[86:87], v[58:59], 0xbf56c16c16c16967
	v_fmaak_f64 v[62:63], v[64:65], v[70:71], 0x3efa01a019f4ec90
	v_add_f64_e32 v[70:71], v[118:119], v[118:119]
	v_add_f64_e32 v[92:93], v[106:107], v[120:121]
	v_add_f64_e64 v[36:37], v[36:37], -v[38:39]
	v_mul_f64_e32 v[104:105], 0.5, v[86:87]
	v_fmaak_f64 v[40:41], v[64:65], v[62:63], 0xbf56c16c16c16967
	v_cndmask_b32_e64 v38, 0, v102, s5
	s_delay_alu instid0(VALU_DEP_2) | instskip(NEXT) | instid1(VALU_DEP_4)
	v_fmaak_f64 v[40:41], v[64:65], v[40:41], 0x3fa5555555555555
	v_add_f64_e64 v[112:113], -v[104:105], 1.0
	s_delay_alu instid0(VALU_DEP_1) | instskip(NEXT) | instid1(VALU_DEP_1)
	v_add_f64_e64 v[116:117], -v[112:113], 1.0
	v_add_f64_e64 v[104:105], v[116:117], -v[104:105]
	v_fmamk_f64 v[116:117], v[84:85], 0x3de5e0b2f9a43bb8, v[28:29]
	s_delay_alu instid0(VALU_DEP_1) | instskip(NEXT) | instid1(VALU_DEP_1)
	v_fmaak_f64 v[88:89], v[84:85], v[116:117], 0x3ec71de3796cde01
	v_fmaak_f64 v[56:57], v[84:85], v[88:89], 0xbf2a01a019e83e5c
	s_delay_alu instid0(VALU_DEP_1) | instskip(SKIP_2) | instid1(VALU_DEP_3)
	v_fmaak_f64 v[52:53], v[84:85], v[56:57], 0x3f81111111110bb3
	v_cndmask_b32_e64 v57, v111, 0x7fe00000, s1
	v_cndmask_b32_e64 v56, v110, 0, s1
	v_fmac_f64_e32 v[148:149], v[142:143], v[52:53]
	v_fma_f64 v[52:53], v[50:51], v[108:109], 1.0
	v_fmac_f64_e32 v[50:51], v[50:51], v[90:91]
	s_delay_alu instid0(VALU_DEP_4) | instskip(SKIP_4) | instid1(VALU_DEP_3)
	v_add_f64_e32 v[88:89], -1.0, v[56:57]
	v_fma_f64 v[90:91], v[42:43], -v[44:45], v[104:105]
	v_xor_b32_e32 v104, v32, v33
	v_fmaak_f64 v[32:33], v[86:87], v[58:59], 0x3fa5555555555555
	v_fmamk_f64 v[58:59], v[84:85], 0xbda907db46cc5e42, v[26:27]
	v_bitop3_b32 v39, v103, v104, 0x80000000 bitop3:0x78
	s_delay_alu instid0(VALU_DEP_1)
	v_cndmask_b32_e64 v39, 0x7ff80000, v39, s5
	v_cmp_class_f64_e64 s5, v[8:9], 0x1f8
	v_cndmask_b32_e32 v8, v118, v70, vcc_lo
	v_fmac_f64_e32 v[88:89], v[56:57], v[50:51]
	v_fmaak_f64 v[50:51], v[84:85], v[58:59], 0xbe927e4fa17f65f6
	v_fmac_f64_e32 v[90:91], v[94:95], v[32:33]
	v_and_b32_e32 v56, 1, v164
	s_delay_alu instid0(VALU_DEP_3) | instskip(NEXT) | instid1(VALU_DEP_2)
	v_fmaak_f64 v[32:33], v[84:85], v[50:51], 0x3efa01a019f4ec90
	v_cmp_eq_u32_e64 s0, 0, v56
	v_lshlrev_b32_e32 v56, 30, v164
	s_delay_alu instid0(VALU_DEP_2) | instskip(NEXT) | instid1(VALU_DEP_1)
	v_cndmask_b32_e64 v58, v66, v68, s0
	v_dual_add_f64 v[50:51], v[88:89], v[88:89] :: v_dual_cndmask_b32 v58, 0, v58, s6
	v_mul_f64_e32 v[54:55], 0.5, v[64:65]
	s_delay_alu instid0(VALU_DEP_1) | instskip(NEXT) | instid1(VALU_DEP_1)
	v_add_f64_e64 v[126:127], -v[54:55], 1.0
	v_add_f64_e64 v[124:125], -v[126:127], 1.0
	s_delay_alu instid0(VALU_DEP_1) | instskip(NEXT) | instid1(VALU_DEP_1)
	v_add_f64_e64 v[54:55], v[124:125], -v[54:55]
	v_fma_f64 v[54:55], v[72:73], -v[76:77], v[54:55]
	v_fma_f64 v[76:77], v[64:65], v[136:137], -v[76:77]
	v_xor_b32_e32 v64, 0x80000000, v37
	s_delay_alu instid0(VALU_DEP_3)
	v_fmac_f64_e32 v[54:55], v[98:99], v[40:41]
	v_fmaak_f64 v[40:41], v[84:85], v[32:33], 0xbf56c16c16c16967
	v_fma_f64 v[32:33], v[134:135], v[16:17], -v[46:47]
	v_cndmask_b32_e32 v46, v119, v71, vcc_lo
	v_add_f64_e32 v[16:17], v[38:39], v[38:39]
	v_bitop3_b32 v47, v101, v178, 0x80000000 bitop3:0x78
	s_and_b32 vcc_lo, s4, s3
	v_fmac_f64_e32 v[76:77], 0xbfc5555555555555, v[132:133]
	v_cndmask_b32_e64 v60, 0x7ff00000, v46, s3
	v_dual_fma_f64 v[44:45], v[86:87], v[146:147], -v[44:45] :: v_dual_cndmask_b32 v46, 0, v100, s2
	v_fmaak_f64 v[40:41], v[84:85], v[40:41], 0x3fa5555555555555
	v_cndmask_b32_e64 v47, 0x7ff80000, v47, s2
	v_add_f64_e32 v[54:55], v[126:127], v[54:55]
	v_mul_f64_e32 v[128:129], 0.5, v[84:85]
	v_fmac_f64_e32 v[44:45], 0xbfc5555555555555, v[144:145]
	s_delay_alu instid0(VALU_DEP_2) | instskip(NEXT) | instid1(VALU_DEP_2)
	v_add_f64_e64 v[96:97], -v[128:129], 1.0
	v_add_f64_e64 v[42:43], v[42:43], -v[44:45]
	s_delay_alu instid0(VALU_DEP_2) | instskip(NEXT) | instid1(VALU_DEP_1)
	v_add_f64_e64 v[140:141], -v[96:97], 1.0
	v_add_f64_e64 v[80:81], v[140:141], -v[128:129]
	s_delay_alu instid0(VALU_DEP_1) | instskip(SKIP_1) | instid1(VALU_DEP_1)
	v_fma_f64 v[62:63], v[78:79], -v[82:83], v[80:81]
	v_mul_f64_e32 v[80:81], v[84:85], v[84:85]
	v_fmac_f64_e32 v[62:63], v[80:81], v[40:41]
	v_ldexp_f64 v[40:41], v[52:53], v21
	v_cndmask_b32_e64 v21, v67, v69, s0
	v_xor_b32_e32 v52, v56, v61
	v_cmp_nlt_f64_e64 s0, 0x40900000, v[6:7]
	v_and_b32_e32 v61, 1, v157
	v_add_f64_e64 v[56:57], v[72:73], -v[76:77]
	s_delay_alu instid0(VALU_DEP_4) | instskip(SKIP_1) | instid1(VALU_DEP_4)
	v_bitop3_b32 v21, v21, v52, 0x80000000 bitop3:0x78
	v_add_f64_e32 v[52:53], v[112:113], v[90:91]
	v_cmp_eq_u32_e64 s2, 0, v61
	s_delay_alu instid0(VALU_DEP_3) | instskip(SKIP_1) | instid1(VALU_DEP_3)
	v_cndmask_b32_e64 v59, 0x7ff80000, v21, s6
	v_cmp_ngt_f64_e64 s6, 0xc090cc00, v[6:7]
	v_cndmask_b32_e64 v44, v64, v93, s2
	v_dual_mul_f64 v[6:7], v[16:17], v[38:39] :: v_dual_lshlrev_b32 v16, 30, v157
	v_cndmask_b32_e32 v38, 0, v8, vcc_lo
	v_cmp_nlt_f64_e32 vcc_lo, 0x40900000, v[2:3]
	v_dual_add_f64 v[36:37], v[58:59], v[58:59] :: v_dual_cndmask_b32 v21, v36, v92, s2
	s_delay_alu instid0(VALU_DEP_4)
	v_bitop3_b32 v8, v44, v16, 0x80000000 bitop3:0x78
	v_and_b32_e32 v16, 1, v158
	v_cndmask_b32_e64 v39, 0xbff00000, v60, s4
	v_cmp_ngt_f64_e64 s2, 0xc090cc00, v[2:3]
	v_cmp_nlt_f64_e64 s4, s[20:21], v[2:3]
	v_cndmask_b32_e64 v3, 0x7ff80000, v8, s5
	v_cmp_eq_u32_e64 s3, 0, v16
	v_and_b32_e32 v16, 1, v165
	v_dual_add_f64 v[44:45], v[96:97], v[62:63] :: v_dual_cndmask_b32 v2, 0, v21, s5
	s_delay_alu instid0(VALU_DEP_2) | instskip(SKIP_1) | instid1(VALU_DEP_2)
	v_cmp_eq_u32_e64 s8, 0, v16
	v_cndmask_b32_e64 v35, 0x7ff00000, v35, s0
	v_cndmask_b32_e64 v54, v56, v54, s8
	v_dual_cndmask_b32 v4, v52, v42, s3 :: v_dual_cndmask_b32 v21, v53, v43, s3
	s_and_b32 s0, s6, s0
	s_delay_alu instid0(VALU_DEP_3) | instid1(SALU_CYCLE_1)
	v_dual_cndmask_b32 v17, 0, v35, s6 :: v_dual_cndmask_b32 v16, 0, v34, s0
	v_and_b32_e32 v34, 1, v166
	v_fma_f64 v[2:3], v[38:39], v[2:3], -v[6:7]
	v_cndmask_b32_e32 v35, 0x7ff00000, v41, vcc_lo
	v_dual_cndmask_b32 v41, v89, v51, s1 :: v_dual_lshlrev_b32 v51, 30, v158
	s_delay_alu instid0(VALU_DEP_4) | instskip(SKIP_2) | instid1(VALU_DEP_4)
	v_cmp_eq_u32_e64 s0, 0, v34
	v_lshlrev_b32_e32 v34, 30, v165
	v_fma_f64 v[74:75], v[84:85], v[148:149], -v[82:83]
	v_dual_cndmask_b32 v6, 0, v4, s5 :: v_dual_bitop2_b32 v42, v51, v9 bitop3:0x14
	v_mul_f64_e32 v[8:9], v[36:37], v[58:59]
	v_xor_b32_e32 v4, 0x80000000, v57
	v_cndmask_b32_e64 v41, 0x7ff00000, v41, s4
	v_cndmask_b32_e64 v37, 0, v35, s2
	v_bitop3_b32 v21, v21, v42, 0x80000000 bitop3:0x78
	s_and_b32 vcc_lo, s2, vcc_lo
	s_delay_alu instid0(SALU_CYCLE_1) | instskip(SKIP_1) | instid1(VALU_DEP_2)
	v_dual_cndmask_b32 v4, v4, v55, s8 :: v_dual_cndmask_b32 v36, 0, v40, vcc_lo
	s_and_b32 vcc_lo, s7, s4
	v_cndmask_b32_e64 v7, 0x7ff80000, v21, s5
	v_lshlrev_b32_e32 v21, 30, v166
	s_delay_alu instid0(VALU_DEP_3) | instskip(SKIP_1) | instid1(VALU_DEP_3)
	v_bitop3_b32 v4, v4, v34, 0x80000000 bitop3:0x78
	v_cndmask_b32_e64 v39, 0xbff00000, v41, s7
	v_dual_cndmask_b32 v40, 0, v54, s9 :: v_dual_bitop2_b32 v5, v21, v5 bitop3:0x14
	v_cndmask_b32_e64 v21, v88, v50, s1
	s_delay_alu instid0(VALU_DEP_4) | instskip(SKIP_1) | instid1(VALU_DEP_1)
	v_cndmask_b32_e64 v41, 0x7ff80000, v4, s9
	v_fmac_f64_e32 v[74:75], 0xbfc5555555555555, v[142:143]
	v_add_f64_e64 v[60:61], v[78:79], -v[74:75]
	s_delay_alu instid0(VALU_DEP_1) | instskip(NEXT) | instid1(VALU_DEP_1)
	v_dual_cndmask_b32 v38, v45, v61, s0 :: v_dual_cndmask_b32 v35, v44, v60, s0
	v_bitop3_b32 v5, v38, v5, 0x80000000 bitop3:0x78
	s_delay_alu instid0(VALU_DEP_2) | instskip(SKIP_2) | instid1(VALU_DEP_4)
	v_dual_cndmask_b32 v38, 0, v21, vcc_lo :: v_dual_cndmask_b32 v42, 0, v35, s9
	v_mul_f64_e32 v[34:35], v[48:49], v[46:47]
	v_cmp_ge_i64_e32 vcc_lo, v[14:15], v[18:19]
	v_cndmask_b32_e64 v43, 0x7ff80000, v5, s9
	v_mul_f64_e32 v[4:5], v[16:17], v[6:7]
	v_fma_f64 v[6:7], v[38:39], v[40:41], -v[8:9]
	s_clause 0x1
	global_store_b128 v[30:31], v[2:5], off
	global_store_b128 v[30:31], v[32:35], off offset:16
	v_mul_f64_e32 v[8:9], v[36:37], v[42:43]
	s_clause 0x1
	global_store_b128 v[30:31], v[10:13], off offset:32
	global_store_b128 v[30:31], v[6:9], off offset:48
	s_wait_xcnt 0x0
	v_add_nc_u64_e32 v[30:31], s[24:25], v[30:31]
	s_or_b32 s13, vcc_lo, s13
	s_delay_alu instid0(SALU_CYCLE_1)
	s_and_not1_b32 exec_lo, exec_lo, s13
	s_cbranch_execz .LBB149_121
.LBB149_73:                             ; =>This Inner Loop Header: Depth=1
	s_clause 0x3
	global_load_b128 v[6:9], v[30:31], off
	global_load_b128 v[10:13], v[30:31], off offset:16
	global_load_b128 v[2:5], v[30:31], off offset:48
	;; [unrolled: 1-line block ×3, first 2 shown]
                                        ; implicit-def: $vgpr156
                                        ; implicit-def: $vgpr34_vgpr35
                                        ; implicit-def: $vgpr40_vgpr41
	s_wait_loadcnt 0x3
	v_mul_f64_e32 v[32:33], 0.5, v[8:9]
	s_delay_alu instid0(VALU_DEP_1) | instskip(SKIP_2) | instid1(SALU_CYCLE_1)
	v_cmp_ngt_f64_e64 s0, 0x41d00000, |v[32:33]|
	s_wait_xcnt 0x0
	s_and_saveexec_b32 s1, s0
	s_xor_b32 s0, exec_lo, s1
	s_cbranch_execz .LBB149_75
; %bb.74:                               ;   in Loop: Header=BB149_73 Depth=1
	v_ldexp_f64 v[34:35], |v[32:33]|, 0xffffff80
	v_cmp_le_f64_e64 vcc_lo, 0x7b000000, |v[32:33]|
	v_trig_preop_f64 v[36:37], |v[32:33]|, 0
	v_and_b32_e32 v21, 0x7fffffff, v33
	v_trig_preop_f64 v[38:39], |v[32:33]|, 1
	v_trig_preop_f64 v[48:49], |v[32:33]|, 2
	s_delay_alu instid0(VALU_DEP_3) | instskip(NEXT) | instid1(VALU_DEP_1)
	v_dual_cndmask_b32 v35, v21, v35 :: v_dual_cndmask_b32 v34, v32, v34
	v_mul_f64_e32 v[40:41], v[36:37], v[34:35]
	s_delay_alu instid0(VALU_DEP_4) | instskip(NEXT) | instid1(VALU_DEP_4)
	v_mul_f64_e32 v[42:43], v[38:39], v[34:35]
	v_mul_f64_e32 v[54:55], v[48:49], v[34:35]
	s_delay_alu instid0(VALU_DEP_3) | instskip(NEXT) | instid1(VALU_DEP_3)
	v_fma_f64 v[36:37], v[36:37], v[34:35], -v[40:41]
	v_fma_f64 v[38:39], v[38:39], v[34:35], -v[42:43]
	s_delay_alu instid0(VALU_DEP_3) | instskip(NEXT) | instid1(VALU_DEP_3)
	v_fma_f64 v[34:35], v[48:49], v[34:35], -v[54:55]
	v_add_f64_e32 v[44:45], v[42:43], v[36:37]
	s_delay_alu instid0(VALU_DEP_1) | instskip(SKIP_1) | instid1(VALU_DEP_2)
	v_add_f64_e64 v[46:47], v[44:45], -v[42:43]
	v_add_f64_e32 v[52:53], v[40:41], v[44:45]
	v_add_f64_e64 v[50:51], v[44:45], -v[46:47]
	v_add_f64_e64 v[36:37], v[36:37], -v[46:47]
	s_delay_alu instid0(VALU_DEP_3) | instskip(NEXT) | instid1(VALU_DEP_3)
	v_ldexp_f64 v[46:47], v[52:53], -2
	v_add_f64_e64 v[42:43], v[42:43], -v[50:51]
	v_add_f64_e32 v[50:51], v[54:55], v[38:39]
	s_delay_alu instid0(VALU_DEP_3) | instskip(NEXT) | instid1(VALU_DEP_3)
	v_cmp_neq_f64_e64 vcc_lo, 0x7ff00000, |v[46:47]|
	v_add_f64_e32 v[36:37], v[36:37], v[42:43]
	v_fract_f64_e32 v[42:43], v[46:47]
	s_delay_alu instid0(VALU_DEP_1) | instskip(NEXT) | instid1(VALU_DEP_1)
	v_ldexp_f64 v[42:43], v[42:43], 2
	v_dual_add_f64 v[40:41], v[52:53], -v[40:41] :: v_dual_cndmask_b32 v42, 0, v42, vcc_lo
	s_delay_alu instid0(VALU_DEP_1) | instskip(SKIP_1) | instid1(VALU_DEP_1)
	v_dual_add_f64 v[40:41], v[44:45], -v[40:41] :: v_dual_cndmask_b32 v43, 0, v43, vcc_lo
	v_add_f64_e32 v[44:45], v[50:51], v[36:37]
	v_add_f64_e32 v[46:47], v[40:41], v[44:45]
	v_add_f64_e64 v[56:57], v[44:45], -v[50:51]
	s_delay_alu instid0(VALU_DEP_2) | instskip(NEXT) | instid1(VALU_DEP_2)
	v_add_f64_e32 v[52:53], v[46:47], v[42:43]
	v_add_f64_e64 v[62:63], v[44:45], -v[56:57]
	v_add_f64_e64 v[36:37], v[36:37], -v[56:57]
	;; [unrolled: 1-line block ×3, first 2 shown]
	s_delay_alu instid0(VALU_DEP_4) | instskip(SKIP_1) | instid1(VALU_DEP_3)
	v_cmp_gt_f64_e32 vcc_lo, 0, v[52:53]
	v_add_f64_e64 v[52:53], v[50:51], -v[54:55]
	v_add_f64_e64 v[40:41], v[44:45], -v[40:41]
	v_cndmask_b32_e64 v21, 0, 0x40100000, vcc_lo
	s_delay_alu instid0(VALU_DEP_3) | instskip(SKIP_2) | instid1(VALU_DEP_4)
	v_add_f64_e64 v[60:61], v[50:51], -v[52:53]
	v_add_f64_e64 v[38:39], v[38:39], -v[52:53]
	;; [unrolled: 1-line block ×3, first 2 shown]
	v_add_f64_e32 v[42:43], v[42:43], v[20:21]
	s_delay_alu instid0(VALU_DEP_4) | instskip(NEXT) | instid1(VALU_DEP_3)
	v_add_f64_e64 v[52:53], v[54:55], -v[60:61]
	v_add_f64_e32 v[36:37], v[36:37], v[50:51]
	s_delay_alu instid0(VALU_DEP_3) | instskip(NEXT) | instid1(VALU_DEP_3)
	v_add_f64_e32 v[58:59], v[46:47], v[42:43]
	v_add_f64_e32 v[38:39], v[38:39], v[52:53]
	s_delay_alu instid0(VALU_DEP_2) | instskip(NEXT) | instid1(VALU_DEP_2)
	v_cvt_i32_f64_e32 v21, v[58:59]
	v_add_f64_e32 v[36:37], v[38:39], v[36:37]
	s_delay_alu instid0(VALU_DEP_2) | instskip(NEXT) | instid1(VALU_DEP_2)
	v_cvt_f64_i32_e32 v[56:57], v21
	v_add_f64_e32 v[34:35], v[34:35], v[36:37]
	s_delay_alu instid0(VALU_DEP_2) | instskip(NEXT) | instid1(VALU_DEP_2)
	v_add_f64_e64 v[42:43], v[42:43], -v[56:57]
	v_add_f64_e32 v[34:35], v[40:41], v[34:35]
	s_delay_alu instid0(VALU_DEP_2) | instskip(NEXT) | instid1(VALU_DEP_1)
	v_add_f64_e32 v[38:39], v[46:47], v[42:43]
	v_add_f64_e64 v[36:37], v[38:39], -v[42:43]
	v_cmp_le_f64_e32 vcc_lo, 0.5, v[38:39]
	s_delay_alu instid0(VALU_DEP_2) | instskip(SKIP_2) | instid1(VALU_DEP_3)
	v_add_f64_e64 v[36:37], v[46:47], -v[36:37]
	v_add_co_ci_u32_e64 v156, null, 0, v21, vcc_lo
	v_cndmask_b32_e64 v21, 0, 0x3ff00000, vcc_lo
	v_add_f64_e32 v[34:35], v[34:35], v[36:37]
	s_delay_alu instid0(VALU_DEP_2) | instskip(NEXT) | instid1(VALU_DEP_1)
	v_add_f64_e64 v[36:37], v[38:39], -v[20:21]
	v_add_f64_e32 v[38:39], v[36:37], v[34:35]
	s_delay_alu instid0(VALU_DEP_1) | instskip(SKIP_1) | instid1(VALU_DEP_2)
	v_mul_f64_e32 v[40:41], 0x3ff921fb54442d18, v[38:39]
	v_add_f64_e64 v[36:37], v[38:39], -v[36:37]
	v_fma_f64 v[42:43], v[38:39], s[14:15], -v[40:41]
	s_delay_alu instid0(VALU_DEP_2) | instskip(NEXT) | instid1(VALU_DEP_2)
	v_add_f64_e64 v[34:35], v[34:35], -v[36:37]
	v_fmac_f64_e32 v[42:43], 0x3c91a62633145c07, v[38:39]
	s_delay_alu instid0(VALU_DEP_1) | instskip(NEXT) | instid1(VALU_DEP_1)
	v_fmac_f64_e32 v[42:43], 0x3ff921fb54442d18, v[34:35]
	v_add_f64_e32 v[34:35], v[40:41], v[42:43]
	s_delay_alu instid0(VALU_DEP_1) | instskip(NEXT) | instid1(VALU_DEP_1)
	v_add_f64_e64 v[36:37], v[34:35], -v[40:41]
	v_add_f64_e64 v[40:41], v[42:43], -v[36:37]
.LBB149_75:                             ;   in Loop: Header=BB149_73 Depth=1
	s_and_not1_saveexec_b32 s0, s0
	s_cbranch_execz .LBB149_77
; %bb.76:                               ;   in Loop: Header=BB149_73 Depth=1
	v_mul_f64_e64 v[34:35], |v[32:33]|, s[16:17]
	s_delay_alu instid0(VALU_DEP_1) | instskip(NEXT) | instid1(VALU_DEP_1)
	v_rndne_f64_e32 v[36:37], v[34:35]
	v_fma_f64 v[34:35], v[36:37], s[18:19], |v[32:33]|
	v_mul_f64_e32 v[38:39], 0xbc91a62633145c00, v[36:37]
	v_cvt_i32_f64_e32 v156, v[36:37]
	s_delay_alu instid0(VALU_DEP_3) | instskip(NEXT) | instid1(VALU_DEP_3)
	v_fmamk_f64 v[44:45], v[36:37], 0xbc91a62633145c00, v[34:35]
	v_add_f64_e32 v[40:41], v[34:35], v[38:39]
	s_delay_alu instid0(VALU_DEP_1) | instskip(NEXT) | instid1(VALU_DEP_3)
	v_add_f64_e64 v[42:43], v[34:35], -v[40:41]
	v_add_f64_e64 v[34:35], v[40:41], -v[44:45]
	s_delay_alu instid0(VALU_DEP_2) | instskip(SKIP_1) | instid1(VALU_DEP_2)
	v_add_f64_e32 v[40:41], v[42:43], v[38:39]
	v_fmamk_f64 v[38:39], v[36:37], 0x3c91a62633145c00, v[38:39]
	v_add_f64_e32 v[34:35], v[34:35], v[40:41]
	s_delay_alu instid0(VALU_DEP_1) | instskip(NEXT) | instid1(VALU_DEP_1)
	v_add_f64_e64 v[38:39], v[34:35], -v[38:39]
	v_fmac_f64_e32 v[38:39], 0xb97b839a252049c0, v[36:37]
	s_delay_alu instid0(VALU_DEP_1) | instskip(NEXT) | instid1(VALU_DEP_1)
	v_add_f64_e32 v[34:35], v[44:45], v[38:39]
	v_add_f64_e64 v[40:41], v[34:35], -v[44:45]
	s_delay_alu instid0(VALU_DEP_1)
	v_add_f64_e64 v[40:41], v[38:39], -v[40:41]
.LBB149_77:                             ;   in Loop: Header=BB149_73 Depth=1
	s_or_b32 exec_lo, exec_lo, s0
	v_cmp_ngt_f64_e64 s0, 0x41d00000, |v[8:9]|
                                        ; implicit-def: $vgpr157
                                        ; implicit-def: $vgpr36_vgpr37
                                        ; implicit-def: $vgpr38_vgpr39
	s_and_saveexec_b32 s1, s0
	s_delay_alu instid0(SALU_CYCLE_1)
	s_xor_b32 s1, exec_lo, s1
	s_cbranch_execz .LBB149_79
; %bb.78:                               ;   in Loop: Header=BB149_73 Depth=1
	v_ldexp_f64 v[36:37], |v[8:9]|, 0xffffff80
	v_cmp_le_f64_e64 vcc_lo, 0x7b000000, |v[8:9]|
	v_trig_preop_f64 v[38:39], |v[8:9]|, 0
	v_and_b32_e32 v21, 0x7fffffff, v9
	v_trig_preop_f64 v[42:43], |v[8:9]|, 1
	v_trig_preop_f64 v[52:53], |v[8:9]|, 2
	s_delay_alu instid0(VALU_DEP_3) | instskip(NEXT) | instid1(VALU_DEP_1)
	v_dual_cndmask_b32 v37, v21, v37 :: v_dual_cndmask_b32 v36, v8, v36
	v_mul_f64_e32 v[44:45], v[38:39], v[36:37]
	s_delay_alu instid0(VALU_DEP_4) | instskip(NEXT) | instid1(VALU_DEP_4)
	v_mul_f64_e32 v[46:47], v[42:43], v[36:37]
	v_mul_f64_e32 v[58:59], v[52:53], v[36:37]
	s_delay_alu instid0(VALU_DEP_3) | instskip(NEXT) | instid1(VALU_DEP_3)
	v_fma_f64 v[38:39], v[38:39], v[36:37], -v[44:45]
	v_fma_f64 v[42:43], v[42:43], v[36:37], -v[46:47]
	s_delay_alu instid0(VALU_DEP_3) | instskip(NEXT) | instid1(VALU_DEP_3)
	v_fma_f64 v[36:37], v[52:53], v[36:37], -v[58:59]
	v_add_f64_e32 v[48:49], v[46:47], v[38:39]
	s_delay_alu instid0(VALU_DEP_1) | instskip(SKIP_1) | instid1(VALU_DEP_2)
	v_add_f64_e64 v[50:51], v[48:49], -v[46:47]
	v_add_f64_e32 v[56:57], v[44:45], v[48:49]
	v_add_f64_e64 v[54:55], v[48:49], -v[50:51]
	v_add_f64_e64 v[38:39], v[38:39], -v[50:51]
	s_delay_alu instid0(VALU_DEP_3) | instskip(NEXT) | instid1(VALU_DEP_3)
	v_ldexp_f64 v[50:51], v[56:57], -2
	v_add_f64_e64 v[46:47], v[46:47], -v[54:55]
	v_add_f64_e32 v[54:55], v[58:59], v[42:43]
	s_delay_alu instid0(VALU_DEP_3) | instskip(NEXT) | instid1(VALU_DEP_3)
	v_cmp_neq_f64_e64 vcc_lo, 0x7ff00000, |v[50:51]|
	v_add_f64_e32 v[38:39], v[38:39], v[46:47]
	v_fract_f64_e32 v[46:47], v[50:51]
	s_delay_alu instid0(VALU_DEP_1) | instskip(NEXT) | instid1(VALU_DEP_1)
	v_ldexp_f64 v[46:47], v[46:47], 2
	v_dual_add_f64 v[44:45], v[56:57], -v[44:45] :: v_dual_cndmask_b32 v47, 0, v47, vcc_lo
	s_delay_alu instid0(VALU_DEP_1) | instskip(SKIP_1) | instid1(VALU_DEP_1)
	v_dual_add_f64 v[44:45], v[48:49], -v[44:45] :: v_dual_cndmask_b32 v46, 0, v46, vcc_lo
	v_add_f64_e32 v[48:49], v[54:55], v[38:39]
	v_add_f64_e32 v[50:51], v[44:45], v[48:49]
	v_add_f64_e64 v[60:61], v[48:49], -v[54:55]
	s_delay_alu instid0(VALU_DEP_2) | instskip(NEXT) | instid1(VALU_DEP_2)
	v_add_f64_e32 v[56:57], v[50:51], v[46:47]
	v_add_f64_e64 v[66:67], v[48:49], -v[60:61]
	v_add_f64_e64 v[38:39], v[38:39], -v[60:61]
	;; [unrolled: 1-line block ×3, first 2 shown]
	s_delay_alu instid0(VALU_DEP_4) | instskip(SKIP_1) | instid1(VALU_DEP_3)
	v_cmp_gt_f64_e32 vcc_lo, 0, v[56:57]
	v_add_f64_e64 v[56:57], v[54:55], -v[58:59]
	v_add_f64_e64 v[44:45], v[48:49], -v[44:45]
	v_cndmask_b32_e64 v21, 0, 0x40100000, vcc_lo
	s_delay_alu instid0(VALU_DEP_3) | instskip(SKIP_2) | instid1(VALU_DEP_4)
	v_add_f64_e64 v[64:65], v[54:55], -v[56:57]
	v_add_f64_e64 v[42:43], v[42:43], -v[56:57]
	;; [unrolled: 1-line block ×3, first 2 shown]
	v_add_f64_e32 v[46:47], v[46:47], v[20:21]
	s_delay_alu instid0(VALU_DEP_4) | instskip(NEXT) | instid1(VALU_DEP_3)
	v_add_f64_e64 v[56:57], v[58:59], -v[64:65]
	v_add_f64_e32 v[38:39], v[38:39], v[54:55]
	s_delay_alu instid0(VALU_DEP_3) | instskip(NEXT) | instid1(VALU_DEP_3)
	v_add_f64_e32 v[62:63], v[50:51], v[46:47]
	v_add_f64_e32 v[42:43], v[42:43], v[56:57]
	s_delay_alu instid0(VALU_DEP_2) | instskip(NEXT) | instid1(VALU_DEP_2)
	v_cvt_i32_f64_e32 v21, v[62:63]
	v_add_f64_e32 v[38:39], v[42:43], v[38:39]
	s_delay_alu instid0(VALU_DEP_2) | instskip(NEXT) | instid1(VALU_DEP_2)
	v_cvt_f64_i32_e32 v[60:61], v21
	v_add_f64_e32 v[36:37], v[36:37], v[38:39]
	s_delay_alu instid0(VALU_DEP_2) | instskip(NEXT) | instid1(VALU_DEP_2)
	v_add_f64_e64 v[46:47], v[46:47], -v[60:61]
	v_add_f64_e32 v[36:37], v[44:45], v[36:37]
	s_delay_alu instid0(VALU_DEP_2) | instskip(NEXT) | instid1(VALU_DEP_1)
	v_add_f64_e32 v[42:43], v[50:51], v[46:47]
	v_add_f64_e64 v[38:39], v[42:43], -v[46:47]
	v_cmp_le_f64_e32 vcc_lo, 0.5, v[42:43]
	s_delay_alu instid0(VALU_DEP_2) | instskip(SKIP_2) | instid1(VALU_DEP_3)
	v_add_f64_e64 v[38:39], v[50:51], -v[38:39]
	v_add_co_ci_u32_e64 v157, null, 0, v21, vcc_lo
	v_cndmask_b32_e64 v21, 0, 0x3ff00000, vcc_lo
	v_add_f64_e32 v[36:37], v[36:37], v[38:39]
	s_delay_alu instid0(VALU_DEP_2) | instskip(NEXT) | instid1(VALU_DEP_1)
	v_add_f64_e64 v[38:39], v[42:43], -v[20:21]
	v_add_f64_e32 v[42:43], v[38:39], v[36:37]
	s_delay_alu instid0(VALU_DEP_1) | instskip(SKIP_1) | instid1(VALU_DEP_2)
	v_mul_f64_e32 v[44:45], 0x3ff921fb54442d18, v[42:43]
	v_add_f64_e64 v[38:39], v[42:43], -v[38:39]
	v_fma_f64 v[46:47], v[42:43], s[14:15], -v[44:45]
	s_delay_alu instid0(VALU_DEP_2) | instskip(NEXT) | instid1(VALU_DEP_2)
	v_add_f64_e64 v[36:37], v[36:37], -v[38:39]
	v_fmac_f64_e32 v[46:47], 0x3c91a62633145c07, v[42:43]
	s_delay_alu instid0(VALU_DEP_1) | instskip(NEXT) | instid1(VALU_DEP_1)
	v_fmac_f64_e32 v[46:47], 0x3ff921fb54442d18, v[36:37]
	v_add_f64_e32 v[36:37], v[44:45], v[46:47]
	s_delay_alu instid0(VALU_DEP_1) | instskip(NEXT) | instid1(VALU_DEP_1)
	v_add_f64_e64 v[38:39], v[36:37], -v[44:45]
	v_add_f64_e64 v[38:39], v[46:47], -v[38:39]
	s_and_not1_saveexec_b32 s1, s1
	s_cbranch_execz .LBB149_81
	s_branch .LBB149_80
.LBB149_79:                             ;   in Loop: Header=BB149_73 Depth=1
	s_and_not1_saveexec_b32 s1, s1
	s_cbranch_execz .LBB149_81
.LBB149_80:                             ;   in Loop: Header=BB149_73 Depth=1
	v_mul_f64_e64 v[36:37], |v[8:9]|, s[16:17]
	s_delay_alu instid0(VALU_DEP_1) | instskip(NEXT) | instid1(VALU_DEP_1)
	v_rndne_f64_e32 v[42:43], v[36:37]
	v_fma_f64 v[36:37], v[42:43], s[18:19], |v[8:9]|
	v_mul_f64_e32 v[38:39], 0xbc91a62633145c00, v[42:43]
	v_cvt_i32_f64_e32 v157, v[42:43]
	s_delay_alu instid0(VALU_DEP_3) | instskip(NEXT) | instid1(VALU_DEP_3)
	v_fmamk_f64 v[48:49], v[42:43], 0xbc91a62633145c00, v[36:37]
	v_add_f64_e32 v[44:45], v[36:37], v[38:39]
	s_delay_alu instid0(VALU_DEP_1) | instskip(NEXT) | instid1(VALU_DEP_3)
	v_add_f64_e64 v[46:47], v[36:37], -v[44:45]
	v_add_f64_e64 v[36:37], v[44:45], -v[48:49]
	s_delay_alu instid0(VALU_DEP_2) | instskip(SKIP_1) | instid1(VALU_DEP_2)
	v_add_f64_e32 v[44:45], v[46:47], v[38:39]
	v_fmamk_f64 v[38:39], v[42:43], 0x3c91a62633145c00, v[38:39]
	v_add_f64_e32 v[36:37], v[36:37], v[44:45]
	s_delay_alu instid0(VALU_DEP_1) | instskip(NEXT) | instid1(VALU_DEP_1)
	v_add_f64_e64 v[38:39], v[36:37], -v[38:39]
	v_fmac_f64_e32 v[38:39], 0xb97b839a252049c0, v[42:43]
	s_delay_alu instid0(VALU_DEP_1) | instskip(NEXT) | instid1(VALU_DEP_1)
	v_add_f64_e32 v[36:37], v[48:49], v[38:39]
	v_add_f64_e64 v[44:45], v[36:37], -v[48:49]
	s_delay_alu instid0(VALU_DEP_1)
	v_add_f64_e64 v[38:39], v[38:39], -v[44:45]
.LBB149_81:                             ;   in Loop: Header=BB149_73 Depth=1
	s_or_b32 exec_lo, exec_lo, s1
                                        ; implicit-def: $vgpr158
                                        ; implicit-def: $vgpr42_vgpr43
                                        ; implicit-def: $vgpr44_vgpr45
	s_and_saveexec_b32 s1, s0
	s_delay_alu instid0(SALU_CYCLE_1)
	s_xor_b32 s0, exec_lo, s1
	s_cbranch_execz .LBB149_83
; %bb.82:                               ;   in Loop: Header=BB149_73 Depth=1
	v_ldexp_f64 v[42:43], |v[8:9]|, 0xffffff80
	v_cmp_le_f64_e64 vcc_lo, 0x7b000000, |v[8:9]|
	v_trig_preop_f64 v[44:45], |v[8:9]|, 0
	v_and_b32_e32 v21, 0x7fffffff, v9
	v_trig_preop_f64 v[46:47], |v[8:9]|, 1
	v_trig_preop_f64 v[56:57], |v[8:9]|, 2
	s_delay_alu instid0(VALU_DEP_3) | instskip(NEXT) | instid1(VALU_DEP_1)
	v_dual_cndmask_b32 v43, v21, v43 :: v_dual_cndmask_b32 v42, v8, v42
	v_mul_f64_e32 v[48:49], v[44:45], v[42:43]
	s_delay_alu instid0(VALU_DEP_4) | instskip(NEXT) | instid1(VALU_DEP_4)
	v_mul_f64_e32 v[50:51], v[46:47], v[42:43]
	v_mul_f64_e32 v[62:63], v[56:57], v[42:43]
	s_delay_alu instid0(VALU_DEP_3) | instskip(NEXT) | instid1(VALU_DEP_3)
	v_fma_f64 v[44:45], v[44:45], v[42:43], -v[48:49]
	v_fma_f64 v[46:47], v[46:47], v[42:43], -v[50:51]
	s_delay_alu instid0(VALU_DEP_3) | instskip(NEXT) | instid1(VALU_DEP_3)
	v_fma_f64 v[42:43], v[56:57], v[42:43], -v[62:63]
	v_add_f64_e32 v[52:53], v[50:51], v[44:45]
	s_delay_alu instid0(VALU_DEP_1) | instskip(SKIP_1) | instid1(VALU_DEP_2)
	v_add_f64_e64 v[54:55], v[52:53], -v[50:51]
	v_add_f64_e32 v[60:61], v[48:49], v[52:53]
	v_add_f64_e64 v[58:59], v[52:53], -v[54:55]
	v_add_f64_e64 v[44:45], v[44:45], -v[54:55]
	s_delay_alu instid0(VALU_DEP_3) | instskip(NEXT) | instid1(VALU_DEP_3)
	v_ldexp_f64 v[54:55], v[60:61], -2
	v_add_f64_e64 v[50:51], v[50:51], -v[58:59]
	v_add_f64_e32 v[58:59], v[62:63], v[46:47]
	s_delay_alu instid0(VALU_DEP_3) | instskip(NEXT) | instid1(VALU_DEP_3)
	v_cmp_neq_f64_e64 vcc_lo, 0x7ff00000, |v[54:55]|
	v_add_f64_e32 v[44:45], v[44:45], v[50:51]
	v_fract_f64_e32 v[50:51], v[54:55]
	s_delay_alu instid0(VALU_DEP_1) | instskip(NEXT) | instid1(VALU_DEP_1)
	v_ldexp_f64 v[50:51], v[50:51], 2
	v_dual_add_f64 v[48:49], v[60:61], -v[48:49] :: v_dual_cndmask_b32 v50, 0, v50, vcc_lo
	s_delay_alu instid0(VALU_DEP_1) | instskip(SKIP_1) | instid1(VALU_DEP_1)
	v_dual_add_f64 v[48:49], v[52:53], -v[48:49] :: v_dual_cndmask_b32 v51, 0, v51, vcc_lo
	v_add_f64_e32 v[52:53], v[58:59], v[44:45]
	v_add_f64_e32 v[54:55], v[48:49], v[52:53]
	v_add_f64_e64 v[64:65], v[52:53], -v[58:59]
	s_delay_alu instid0(VALU_DEP_2) | instskip(NEXT) | instid1(VALU_DEP_2)
	v_add_f64_e32 v[60:61], v[54:55], v[50:51]
	v_add_f64_e64 v[70:71], v[52:53], -v[64:65]
	v_add_f64_e64 v[44:45], v[44:45], -v[64:65]
	;; [unrolled: 1-line block ×3, first 2 shown]
	s_delay_alu instid0(VALU_DEP_4) | instskip(SKIP_1) | instid1(VALU_DEP_3)
	v_cmp_gt_f64_e32 vcc_lo, 0, v[60:61]
	v_add_f64_e64 v[60:61], v[58:59], -v[62:63]
	v_add_f64_e64 v[48:49], v[52:53], -v[48:49]
	v_cndmask_b32_e64 v21, 0, 0x40100000, vcc_lo
	s_delay_alu instid0(VALU_DEP_3) | instskip(SKIP_2) | instid1(VALU_DEP_4)
	v_add_f64_e64 v[68:69], v[58:59], -v[60:61]
	v_add_f64_e64 v[46:47], v[46:47], -v[60:61]
	;; [unrolled: 1-line block ×3, first 2 shown]
	v_add_f64_e32 v[50:51], v[50:51], v[20:21]
	s_delay_alu instid0(VALU_DEP_4) | instskip(NEXT) | instid1(VALU_DEP_3)
	v_add_f64_e64 v[60:61], v[62:63], -v[68:69]
	v_add_f64_e32 v[44:45], v[44:45], v[58:59]
	s_delay_alu instid0(VALU_DEP_3) | instskip(NEXT) | instid1(VALU_DEP_3)
	v_add_f64_e32 v[66:67], v[54:55], v[50:51]
	v_add_f64_e32 v[46:47], v[46:47], v[60:61]
	s_delay_alu instid0(VALU_DEP_2) | instskip(NEXT) | instid1(VALU_DEP_2)
	v_cvt_i32_f64_e32 v21, v[66:67]
	v_add_f64_e32 v[44:45], v[46:47], v[44:45]
	s_delay_alu instid0(VALU_DEP_2) | instskip(NEXT) | instid1(VALU_DEP_2)
	v_cvt_f64_i32_e32 v[64:65], v21
	v_add_f64_e32 v[42:43], v[42:43], v[44:45]
	s_delay_alu instid0(VALU_DEP_2) | instskip(NEXT) | instid1(VALU_DEP_2)
	v_add_f64_e64 v[50:51], v[50:51], -v[64:65]
	v_add_f64_e32 v[42:43], v[48:49], v[42:43]
	s_delay_alu instid0(VALU_DEP_2) | instskip(NEXT) | instid1(VALU_DEP_1)
	v_add_f64_e32 v[46:47], v[54:55], v[50:51]
	v_add_f64_e64 v[44:45], v[46:47], -v[50:51]
	v_cmp_le_f64_e32 vcc_lo, 0.5, v[46:47]
	s_delay_alu instid0(VALU_DEP_2) | instskip(SKIP_2) | instid1(VALU_DEP_3)
	v_add_f64_e64 v[44:45], v[54:55], -v[44:45]
	v_add_co_ci_u32_e64 v158, null, 0, v21, vcc_lo
	v_cndmask_b32_e64 v21, 0, 0x3ff00000, vcc_lo
	v_add_f64_e32 v[42:43], v[42:43], v[44:45]
	s_delay_alu instid0(VALU_DEP_2) | instskip(NEXT) | instid1(VALU_DEP_1)
	v_add_f64_e64 v[44:45], v[46:47], -v[20:21]
	v_add_f64_e32 v[46:47], v[44:45], v[42:43]
	s_delay_alu instid0(VALU_DEP_1) | instskip(SKIP_1) | instid1(VALU_DEP_2)
	v_mul_f64_e32 v[48:49], 0x3ff921fb54442d18, v[46:47]
	v_add_f64_e64 v[44:45], v[46:47], -v[44:45]
	v_fma_f64 v[50:51], v[46:47], s[14:15], -v[48:49]
	s_delay_alu instid0(VALU_DEP_2) | instskip(NEXT) | instid1(VALU_DEP_2)
	v_add_f64_e64 v[42:43], v[42:43], -v[44:45]
	v_fmac_f64_e32 v[50:51], 0x3c91a62633145c07, v[46:47]
	s_delay_alu instid0(VALU_DEP_1) | instskip(NEXT) | instid1(VALU_DEP_1)
	v_fmac_f64_e32 v[50:51], 0x3ff921fb54442d18, v[42:43]
	v_add_f64_e32 v[42:43], v[48:49], v[50:51]
	s_delay_alu instid0(VALU_DEP_1) | instskip(NEXT) | instid1(VALU_DEP_1)
	v_add_f64_e64 v[44:45], v[42:43], -v[48:49]
	v_add_f64_e64 v[44:45], v[50:51], -v[44:45]
	s_and_not1_saveexec_b32 s0, s0
	s_cbranch_execnz .LBB149_84
	s_branch .LBB149_85
.LBB149_83:                             ;   in Loop: Header=BB149_73 Depth=1
	s_and_not1_saveexec_b32 s0, s0
	s_cbranch_execz .LBB149_85
.LBB149_84:                             ;   in Loop: Header=BB149_73 Depth=1
	v_mul_f64_e64 v[42:43], |v[8:9]|, s[16:17]
	s_delay_alu instid0(VALU_DEP_1) | instskip(NEXT) | instid1(VALU_DEP_1)
	v_rndne_f64_e32 v[46:47], v[42:43]
	v_fma_f64 v[42:43], v[46:47], s[18:19], |v[8:9]|
	v_mul_f64_e32 v[44:45], 0xbc91a62633145c00, v[46:47]
	v_cvt_i32_f64_e32 v158, v[46:47]
	s_delay_alu instid0(VALU_DEP_3) | instskip(NEXT) | instid1(VALU_DEP_3)
	v_fmamk_f64 v[52:53], v[46:47], 0xbc91a62633145c00, v[42:43]
	v_add_f64_e32 v[48:49], v[42:43], v[44:45]
	s_delay_alu instid0(VALU_DEP_1) | instskip(NEXT) | instid1(VALU_DEP_3)
	v_add_f64_e64 v[50:51], v[42:43], -v[48:49]
	v_add_f64_e64 v[42:43], v[48:49], -v[52:53]
	s_delay_alu instid0(VALU_DEP_2) | instskip(SKIP_1) | instid1(VALU_DEP_2)
	v_add_f64_e32 v[48:49], v[50:51], v[44:45]
	v_fmamk_f64 v[44:45], v[46:47], 0x3c91a62633145c00, v[44:45]
	v_add_f64_e32 v[42:43], v[42:43], v[48:49]
	s_delay_alu instid0(VALU_DEP_1) | instskip(NEXT) | instid1(VALU_DEP_1)
	v_add_f64_e64 v[44:45], v[42:43], -v[44:45]
	v_fmac_f64_e32 v[44:45], 0xb97b839a252049c0, v[46:47]
	s_delay_alu instid0(VALU_DEP_1) | instskip(NEXT) | instid1(VALU_DEP_1)
	v_add_f64_e32 v[42:43], v[52:53], v[44:45]
	v_add_f64_e64 v[48:49], v[42:43], -v[52:53]
	s_delay_alu instid0(VALU_DEP_1)
	v_add_f64_e64 v[44:45], v[44:45], -v[48:49]
.LBB149_85:                             ;   in Loop: Header=BB149_73 Depth=1
	s_or_b32 exec_lo, exec_lo, s0
	s_wait_loadcnt 0x2
	v_mul_f64_e32 v[46:47], 0.5, v[12:13]
                                        ; implicit-def: $vgpr159
                                        ; implicit-def: $vgpr48_vgpr49
                                        ; implicit-def: $vgpr56_vgpr57
	s_delay_alu instid0(VALU_DEP_1) | instskip(SKIP_1) | instid1(SALU_CYCLE_1)
	v_cmp_ngt_f64_e64 s0, 0x41d00000, |v[46:47]|
	s_and_saveexec_b32 s1, s0
	s_xor_b32 s0, exec_lo, s1
	s_cbranch_execz .LBB149_87
; %bb.86:                               ;   in Loop: Header=BB149_73 Depth=1
	v_ldexp_f64 v[48:49], |v[46:47]|, 0xffffff80
	v_cmp_le_f64_e64 vcc_lo, 0x7b000000, |v[46:47]|
	v_trig_preop_f64 v[50:51], |v[46:47]|, 0
	v_and_b32_e32 v21, 0x7fffffff, v47
	v_trig_preop_f64 v[52:53], |v[46:47]|, 1
	v_trig_preop_f64 v[62:63], |v[46:47]|, 2
	s_delay_alu instid0(VALU_DEP_3) | instskip(NEXT) | instid1(VALU_DEP_1)
	v_dual_cndmask_b32 v49, v21, v49 :: v_dual_cndmask_b32 v48, v46, v48
	v_mul_f64_e32 v[54:55], v[50:51], v[48:49]
	s_delay_alu instid0(VALU_DEP_4) | instskip(NEXT) | instid1(VALU_DEP_4)
	v_mul_f64_e32 v[56:57], v[52:53], v[48:49]
	v_mul_f64_e32 v[68:69], v[62:63], v[48:49]
	s_delay_alu instid0(VALU_DEP_3) | instskip(NEXT) | instid1(VALU_DEP_3)
	v_fma_f64 v[50:51], v[50:51], v[48:49], -v[54:55]
	v_fma_f64 v[52:53], v[52:53], v[48:49], -v[56:57]
	s_delay_alu instid0(VALU_DEP_3) | instskip(NEXT) | instid1(VALU_DEP_3)
	v_fma_f64 v[48:49], v[62:63], v[48:49], -v[68:69]
	v_add_f64_e32 v[58:59], v[56:57], v[50:51]
	s_delay_alu instid0(VALU_DEP_1) | instskip(SKIP_1) | instid1(VALU_DEP_2)
	v_add_f64_e64 v[60:61], v[58:59], -v[56:57]
	v_add_f64_e32 v[66:67], v[54:55], v[58:59]
	v_add_f64_e64 v[64:65], v[58:59], -v[60:61]
	v_add_f64_e64 v[50:51], v[50:51], -v[60:61]
	s_delay_alu instid0(VALU_DEP_3) | instskip(NEXT) | instid1(VALU_DEP_3)
	v_ldexp_f64 v[60:61], v[66:67], -2
	v_add_f64_e64 v[56:57], v[56:57], -v[64:65]
	v_add_f64_e32 v[64:65], v[68:69], v[52:53]
	s_delay_alu instid0(VALU_DEP_3) | instskip(NEXT) | instid1(VALU_DEP_3)
	v_cmp_neq_f64_e64 vcc_lo, 0x7ff00000, |v[60:61]|
	v_add_f64_e32 v[50:51], v[50:51], v[56:57]
	v_fract_f64_e32 v[56:57], v[60:61]
	s_delay_alu instid0(VALU_DEP_1) | instskip(NEXT) | instid1(VALU_DEP_1)
	v_ldexp_f64 v[56:57], v[56:57], 2
	v_dual_add_f64 v[54:55], v[66:67], -v[54:55] :: v_dual_cndmask_b32 v56, 0, v56, vcc_lo
	s_delay_alu instid0(VALU_DEP_1) | instskip(SKIP_1) | instid1(VALU_DEP_1)
	v_dual_add_f64 v[54:55], v[58:59], -v[54:55] :: v_dual_cndmask_b32 v57, 0, v57, vcc_lo
	v_add_f64_e32 v[58:59], v[64:65], v[50:51]
	v_add_f64_e32 v[60:61], v[54:55], v[58:59]
	v_add_f64_e64 v[70:71], v[58:59], -v[64:65]
	s_delay_alu instid0(VALU_DEP_2) | instskip(NEXT) | instid1(VALU_DEP_2)
	v_add_f64_e32 v[66:67], v[60:61], v[56:57]
	v_add_f64_e64 v[76:77], v[58:59], -v[70:71]
	v_add_f64_e64 v[50:51], v[50:51], -v[70:71]
	;; [unrolled: 1-line block ×3, first 2 shown]
	s_delay_alu instid0(VALU_DEP_4) | instskip(SKIP_1) | instid1(VALU_DEP_3)
	v_cmp_gt_f64_e32 vcc_lo, 0, v[66:67]
	v_add_f64_e64 v[66:67], v[64:65], -v[68:69]
	v_add_f64_e64 v[54:55], v[58:59], -v[54:55]
	v_cndmask_b32_e64 v21, 0, 0x40100000, vcc_lo
	s_delay_alu instid0(VALU_DEP_3) | instskip(SKIP_2) | instid1(VALU_DEP_4)
	v_add_f64_e64 v[74:75], v[64:65], -v[66:67]
	v_add_f64_e64 v[52:53], v[52:53], -v[66:67]
	;; [unrolled: 1-line block ×3, first 2 shown]
	v_add_f64_e32 v[56:57], v[56:57], v[20:21]
	s_delay_alu instid0(VALU_DEP_4) | instskip(NEXT) | instid1(VALU_DEP_3)
	v_add_f64_e64 v[66:67], v[68:69], -v[74:75]
	v_add_f64_e32 v[50:51], v[50:51], v[64:65]
	s_delay_alu instid0(VALU_DEP_3) | instskip(NEXT) | instid1(VALU_DEP_3)
	v_add_f64_e32 v[72:73], v[60:61], v[56:57]
	v_add_f64_e32 v[52:53], v[52:53], v[66:67]
	s_delay_alu instid0(VALU_DEP_2) | instskip(NEXT) | instid1(VALU_DEP_2)
	v_cvt_i32_f64_e32 v21, v[72:73]
	v_add_f64_e32 v[50:51], v[52:53], v[50:51]
	s_delay_alu instid0(VALU_DEP_2) | instskip(NEXT) | instid1(VALU_DEP_2)
	v_cvt_f64_i32_e32 v[70:71], v21
	v_add_f64_e32 v[48:49], v[48:49], v[50:51]
	s_delay_alu instid0(VALU_DEP_2) | instskip(NEXT) | instid1(VALU_DEP_2)
	v_add_f64_e64 v[56:57], v[56:57], -v[70:71]
	v_add_f64_e32 v[48:49], v[54:55], v[48:49]
	s_delay_alu instid0(VALU_DEP_2) | instskip(NEXT) | instid1(VALU_DEP_1)
	v_add_f64_e32 v[52:53], v[60:61], v[56:57]
	v_add_f64_e64 v[50:51], v[52:53], -v[56:57]
	v_cmp_le_f64_e32 vcc_lo, 0.5, v[52:53]
	s_delay_alu instid0(VALU_DEP_2) | instskip(SKIP_2) | instid1(VALU_DEP_3)
	v_add_f64_e64 v[50:51], v[60:61], -v[50:51]
	v_add_co_ci_u32_e64 v159, null, 0, v21, vcc_lo
	v_cndmask_b32_e64 v21, 0, 0x3ff00000, vcc_lo
	v_add_f64_e32 v[48:49], v[48:49], v[50:51]
	s_delay_alu instid0(VALU_DEP_2) | instskip(NEXT) | instid1(VALU_DEP_1)
	v_add_f64_e64 v[50:51], v[52:53], -v[20:21]
	v_add_f64_e32 v[52:53], v[50:51], v[48:49]
	s_delay_alu instid0(VALU_DEP_1) | instskip(SKIP_1) | instid1(VALU_DEP_2)
	v_mul_f64_e32 v[54:55], 0x3ff921fb54442d18, v[52:53]
	v_add_f64_e64 v[50:51], v[52:53], -v[50:51]
	v_fma_f64 v[56:57], v[52:53], s[14:15], -v[54:55]
	s_delay_alu instid0(VALU_DEP_2) | instskip(NEXT) | instid1(VALU_DEP_2)
	v_add_f64_e64 v[48:49], v[48:49], -v[50:51]
	v_fmac_f64_e32 v[56:57], 0x3c91a62633145c07, v[52:53]
	s_delay_alu instid0(VALU_DEP_1) | instskip(NEXT) | instid1(VALU_DEP_1)
	v_fmac_f64_e32 v[56:57], 0x3ff921fb54442d18, v[48:49]
	v_add_f64_e32 v[48:49], v[54:55], v[56:57]
	s_delay_alu instid0(VALU_DEP_1) | instskip(NEXT) | instid1(VALU_DEP_1)
	v_add_f64_e64 v[50:51], v[48:49], -v[54:55]
	v_add_f64_e64 v[56:57], v[56:57], -v[50:51]
.LBB149_87:                             ;   in Loop: Header=BB149_73 Depth=1
	s_and_not1_saveexec_b32 s0, s0
	s_cbranch_execz .LBB149_89
; %bb.88:                               ;   in Loop: Header=BB149_73 Depth=1
	v_mul_f64_e64 v[48:49], |v[46:47]|, s[16:17]
	s_delay_alu instid0(VALU_DEP_1) | instskip(NEXT) | instid1(VALU_DEP_1)
	v_rndne_f64_e32 v[50:51], v[48:49]
	v_fma_f64 v[48:49], v[50:51], s[18:19], |v[46:47]|
	v_mul_f64_e32 v[52:53], 0xbc91a62633145c00, v[50:51]
	v_cvt_i32_f64_e32 v159, v[50:51]
	s_delay_alu instid0(VALU_DEP_3) | instskip(NEXT) | instid1(VALU_DEP_3)
	v_fmamk_f64 v[58:59], v[50:51], 0xbc91a62633145c00, v[48:49]
	v_add_f64_e32 v[54:55], v[48:49], v[52:53]
	s_delay_alu instid0(VALU_DEP_1) | instskip(NEXT) | instid1(VALU_DEP_3)
	v_add_f64_e64 v[56:57], v[48:49], -v[54:55]
	v_add_f64_e64 v[48:49], v[54:55], -v[58:59]
	s_delay_alu instid0(VALU_DEP_2) | instskip(SKIP_1) | instid1(VALU_DEP_2)
	v_add_f64_e32 v[54:55], v[56:57], v[52:53]
	v_fmamk_f64 v[52:53], v[50:51], 0x3c91a62633145c00, v[52:53]
	v_add_f64_e32 v[48:49], v[48:49], v[54:55]
	s_delay_alu instid0(VALU_DEP_1) | instskip(NEXT) | instid1(VALU_DEP_1)
	v_add_f64_e64 v[52:53], v[48:49], -v[52:53]
	v_fmac_f64_e32 v[52:53], 0xb97b839a252049c0, v[50:51]
	s_delay_alu instid0(VALU_DEP_1) | instskip(NEXT) | instid1(VALU_DEP_1)
	v_add_f64_e32 v[48:49], v[58:59], v[52:53]
	v_add_f64_e64 v[54:55], v[48:49], -v[58:59]
	s_delay_alu instid0(VALU_DEP_1)
	v_add_f64_e64 v[56:57], v[52:53], -v[54:55]
.LBB149_89:                             ;   in Loop: Header=BB149_73 Depth=1
	s_or_b32 exec_lo, exec_lo, s0
	v_cmp_ngt_f64_e64 s0, 0x41d00000, |v[12:13]|
                                        ; implicit-def: $vgpr160
                                        ; implicit-def: $vgpr50_vgpr51
                                        ; implicit-def: $vgpr62_vgpr63
	s_and_saveexec_b32 s1, s0
	s_delay_alu instid0(SALU_CYCLE_1)
	s_xor_b32 s1, exec_lo, s1
	s_cbranch_execz .LBB149_91
; %bb.90:                               ;   in Loop: Header=BB149_73 Depth=1
	v_ldexp_f64 v[50:51], |v[12:13]|, 0xffffff80
	v_cmp_le_f64_e64 vcc_lo, 0x7b000000, |v[12:13]|
	v_trig_preop_f64 v[52:53], |v[12:13]|, 0
	v_and_b32_e32 v21, 0x7fffffff, v13
	v_trig_preop_f64 v[54:55], |v[12:13]|, 1
	v_trig_preop_f64 v[66:67], |v[12:13]|, 2
	s_delay_alu instid0(VALU_DEP_3) | instskip(NEXT) | instid1(VALU_DEP_1)
	v_dual_cndmask_b32 v51, v21, v51 :: v_dual_cndmask_b32 v50, v12, v50
	v_mul_f64_e32 v[58:59], v[52:53], v[50:51]
	s_delay_alu instid0(VALU_DEP_4) | instskip(NEXT) | instid1(VALU_DEP_4)
	v_mul_f64_e32 v[60:61], v[54:55], v[50:51]
	v_mul_f64_e32 v[72:73], v[66:67], v[50:51]
	s_delay_alu instid0(VALU_DEP_3) | instskip(NEXT) | instid1(VALU_DEP_3)
	v_fma_f64 v[52:53], v[52:53], v[50:51], -v[58:59]
	v_fma_f64 v[54:55], v[54:55], v[50:51], -v[60:61]
	s_delay_alu instid0(VALU_DEP_3) | instskip(NEXT) | instid1(VALU_DEP_3)
	v_fma_f64 v[50:51], v[66:67], v[50:51], -v[72:73]
	v_add_f64_e32 v[62:63], v[60:61], v[52:53]
	s_delay_alu instid0(VALU_DEP_1) | instskip(SKIP_1) | instid1(VALU_DEP_2)
	v_add_f64_e64 v[64:65], v[62:63], -v[60:61]
	v_add_f64_e32 v[70:71], v[58:59], v[62:63]
	v_add_f64_e64 v[68:69], v[62:63], -v[64:65]
	v_add_f64_e64 v[52:53], v[52:53], -v[64:65]
	s_delay_alu instid0(VALU_DEP_3) | instskip(NEXT) | instid1(VALU_DEP_3)
	v_ldexp_f64 v[64:65], v[70:71], -2
	v_add_f64_e64 v[60:61], v[60:61], -v[68:69]
	v_add_f64_e32 v[68:69], v[72:73], v[54:55]
	s_delay_alu instid0(VALU_DEP_3) | instskip(NEXT) | instid1(VALU_DEP_3)
	v_cmp_neq_f64_e64 vcc_lo, 0x7ff00000, |v[64:65]|
	v_add_f64_e32 v[52:53], v[52:53], v[60:61]
	v_fract_f64_e32 v[60:61], v[64:65]
	s_delay_alu instid0(VALU_DEP_1) | instskip(NEXT) | instid1(VALU_DEP_1)
	v_ldexp_f64 v[60:61], v[60:61], 2
	v_dual_add_f64 v[58:59], v[70:71], -v[58:59] :: v_dual_cndmask_b32 v61, 0, v61, vcc_lo
	s_delay_alu instid0(VALU_DEP_1) | instskip(SKIP_1) | instid1(VALU_DEP_1)
	v_dual_add_f64 v[58:59], v[62:63], -v[58:59] :: v_dual_cndmask_b32 v60, 0, v60, vcc_lo
	v_add_f64_e32 v[62:63], v[68:69], v[52:53]
	v_add_f64_e32 v[64:65], v[58:59], v[62:63]
	v_add_f64_e64 v[74:75], v[62:63], -v[68:69]
	s_delay_alu instid0(VALU_DEP_2) | instskip(NEXT) | instid1(VALU_DEP_2)
	v_add_f64_e32 v[70:71], v[64:65], v[60:61]
	v_add_f64_e64 v[80:81], v[62:63], -v[74:75]
	v_add_f64_e64 v[52:53], v[52:53], -v[74:75]
	;; [unrolled: 1-line block ×3, first 2 shown]
	s_delay_alu instid0(VALU_DEP_4) | instskip(SKIP_1) | instid1(VALU_DEP_3)
	v_cmp_gt_f64_e32 vcc_lo, 0, v[70:71]
	v_add_f64_e64 v[70:71], v[68:69], -v[72:73]
	v_add_f64_e64 v[58:59], v[62:63], -v[58:59]
	v_cndmask_b32_e64 v21, 0, 0x40100000, vcc_lo
	s_delay_alu instid0(VALU_DEP_3) | instskip(SKIP_2) | instid1(VALU_DEP_4)
	v_add_f64_e64 v[78:79], v[68:69], -v[70:71]
	v_add_f64_e64 v[54:55], v[54:55], -v[70:71]
	;; [unrolled: 1-line block ×3, first 2 shown]
	v_add_f64_e32 v[60:61], v[60:61], v[20:21]
	s_delay_alu instid0(VALU_DEP_4) | instskip(NEXT) | instid1(VALU_DEP_3)
	v_add_f64_e64 v[70:71], v[72:73], -v[78:79]
	v_add_f64_e32 v[52:53], v[52:53], v[68:69]
	s_delay_alu instid0(VALU_DEP_3) | instskip(NEXT) | instid1(VALU_DEP_3)
	v_add_f64_e32 v[76:77], v[64:65], v[60:61]
	v_add_f64_e32 v[54:55], v[54:55], v[70:71]
	s_delay_alu instid0(VALU_DEP_2) | instskip(NEXT) | instid1(VALU_DEP_2)
	v_cvt_i32_f64_e32 v21, v[76:77]
	v_add_f64_e32 v[52:53], v[54:55], v[52:53]
	s_delay_alu instid0(VALU_DEP_2) | instskip(NEXT) | instid1(VALU_DEP_2)
	v_cvt_f64_i32_e32 v[74:75], v21
	v_add_f64_e32 v[50:51], v[50:51], v[52:53]
	s_delay_alu instid0(VALU_DEP_2) | instskip(NEXT) | instid1(VALU_DEP_2)
	v_add_f64_e64 v[60:61], v[60:61], -v[74:75]
	v_add_f64_e32 v[50:51], v[58:59], v[50:51]
	s_delay_alu instid0(VALU_DEP_2) | instskip(NEXT) | instid1(VALU_DEP_1)
	v_add_f64_e32 v[54:55], v[64:65], v[60:61]
	v_add_f64_e64 v[52:53], v[54:55], -v[60:61]
	v_cmp_le_f64_e32 vcc_lo, 0.5, v[54:55]
	s_delay_alu instid0(VALU_DEP_2) | instskip(SKIP_2) | instid1(VALU_DEP_3)
	v_add_f64_e64 v[52:53], v[64:65], -v[52:53]
	v_add_co_ci_u32_e64 v160, null, 0, v21, vcc_lo
	v_cndmask_b32_e64 v21, 0, 0x3ff00000, vcc_lo
	v_add_f64_e32 v[50:51], v[50:51], v[52:53]
	s_delay_alu instid0(VALU_DEP_2) | instskip(NEXT) | instid1(VALU_DEP_1)
	v_add_f64_e64 v[52:53], v[54:55], -v[20:21]
	v_add_f64_e32 v[54:55], v[52:53], v[50:51]
	s_delay_alu instid0(VALU_DEP_1) | instskip(SKIP_1) | instid1(VALU_DEP_2)
	v_mul_f64_e32 v[58:59], 0x3ff921fb54442d18, v[54:55]
	v_add_f64_e64 v[52:53], v[54:55], -v[52:53]
	v_fma_f64 v[60:61], v[54:55], s[14:15], -v[58:59]
	s_delay_alu instid0(VALU_DEP_2) | instskip(NEXT) | instid1(VALU_DEP_2)
	v_add_f64_e64 v[50:51], v[50:51], -v[52:53]
	v_fmac_f64_e32 v[60:61], 0x3c91a62633145c07, v[54:55]
	s_delay_alu instid0(VALU_DEP_1) | instskip(NEXT) | instid1(VALU_DEP_1)
	v_fmac_f64_e32 v[60:61], 0x3ff921fb54442d18, v[50:51]
	v_add_f64_e32 v[50:51], v[58:59], v[60:61]
	s_delay_alu instid0(VALU_DEP_1) | instskip(NEXT) | instid1(VALU_DEP_1)
	v_add_f64_e64 v[52:53], v[50:51], -v[58:59]
	v_add_f64_e64 v[62:63], v[60:61], -v[52:53]
	s_and_not1_saveexec_b32 s1, s1
	s_cbranch_execz .LBB149_93
	s_branch .LBB149_92
.LBB149_91:                             ;   in Loop: Header=BB149_73 Depth=1
	s_and_not1_saveexec_b32 s1, s1
	s_cbranch_execz .LBB149_93
.LBB149_92:                             ;   in Loop: Header=BB149_73 Depth=1
	v_mul_f64_e64 v[50:51], |v[12:13]|, s[16:17]
	s_delay_alu instid0(VALU_DEP_1) | instskip(NEXT) | instid1(VALU_DEP_1)
	v_rndne_f64_e32 v[52:53], v[50:51]
	v_fma_f64 v[50:51], v[52:53], s[18:19], |v[12:13]|
	v_mul_f64_e32 v[54:55], 0xbc91a62633145c00, v[52:53]
	v_cvt_i32_f64_e32 v160, v[52:53]
	s_delay_alu instid0(VALU_DEP_3) | instskip(NEXT) | instid1(VALU_DEP_3)
	v_fmamk_f64 v[62:63], v[52:53], 0xbc91a62633145c00, v[50:51]
	v_add_f64_e32 v[58:59], v[50:51], v[54:55]
	s_delay_alu instid0(VALU_DEP_1) | instskip(NEXT) | instid1(VALU_DEP_3)
	v_add_f64_e64 v[60:61], v[50:51], -v[58:59]
	v_add_f64_e64 v[50:51], v[58:59], -v[62:63]
	s_delay_alu instid0(VALU_DEP_2) | instskip(SKIP_1) | instid1(VALU_DEP_2)
	v_add_f64_e32 v[58:59], v[60:61], v[54:55]
	v_fmamk_f64 v[54:55], v[52:53], 0x3c91a62633145c00, v[54:55]
	v_add_f64_e32 v[50:51], v[50:51], v[58:59]
	s_delay_alu instid0(VALU_DEP_1) | instskip(NEXT) | instid1(VALU_DEP_1)
	v_add_f64_e64 v[54:55], v[50:51], -v[54:55]
	v_fmac_f64_e32 v[54:55], 0xb97b839a252049c0, v[52:53]
	s_delay_alu instid0(VALU_DEP_1) | instskip(NEXT) | instid1(VALU_DEP_1)
	v_add_f64_e32 v[50:51], v[62:63], v[54:55]
	v_add_f64_e64 v[58:59], v[50:51], -v[62:63]
	s_delay_alu instid0(VALU_DEP_1)
	v_add_f64_e64 v[62:63], v[54:55], -v[58:59]
.LBB149_93:                             ;   in Loop: Header=BB149_73 Depth=1
	s_or_b32 exec_lo, exec_lo, s1
                                        ; implicit-def: $vgpr161
                                        ; implicit-def: $vgpr52_vgpr53
                                        ; implicit-def: $vgpr58_vgpr59
	s_and_saveexec_b32 s1, s0
	s_delay_alu instid0(SALU_CYCLE_1)
	s_xor_b32 s0, exec_lo, s1
	s_cbranch_execz .LBB149_95
; %bb.94:                               ;   in Loop: Header=BB149_73 Depth=1
	v_ldexp_f64 v[52:53], |v[12:13]|, 0xffffff80
	v_cmp_le_f64_e64 vcc_lo, 0x7b000000, |v[12:13]|
	v_trig_preop_f64 v[54:55], |v[12:13]|, 0
	v_and_b32_e32 v21, 0x7fffffff, v13
	v_trig_preop_f64 v[58:59], |v[12:13]|, 1
	v_trig_preop_f64 v[70:71], |v[12:13]|, 2
	s_delay_alu instid0(VALU_DEP_3) | instskip(NEXT) | instid1(VALU_DEP_1)
	v_dual_cndmask_b32 v53, v21, v53 :: v_dual_cndmask_b32 v52, v12, v52
	v_mul_f64_e32 v[60:61], v[54:55], v[52:53]
	s_delay_alu instid0(VALU_DEP_4) | instskip(NEXT) | instid1(VALU_DEP_4)
	v_mul_f64_e32 v[64:65], v[58:59], v[52:53]
	v_mul_f64_e32 v[76:77], v[70:71], v[52:53]
	s_delay_alu instid0(VALU_DEP_3) | instskip(NEXT) | instid1(VALU_DEP_3)
	v_fma_f64 v[54:55], v[54:55], v[52:53], -v[60:61]
	v_fma_f64 v[58:59], v[58:59], v[52:53], -v[64:65]
	s_delay_alu instid0(VALU_DEP_3) | instskip(NEXT) | instid1(VALU_DEP_3)
	v_fma_f64 v[52:53], v[70:71], v[52:53], -v[76:77]
	v_add_f64_e32 v[66:67], v[64:65], v[54:55]
	s_delay_alu instid0(VALU_DEP_1) | instskip(SKIP_1) | instid1(VALU_DEP_2)
	v_add_f64_e64 v[68:69], v[66:67], -v[64:65]
	v_add_f64_e32 v[74:75], v[60:61], v[66:67]
	v_add_f64_e64 v[72:73], v[66:67], -v[68:69]
	v_add_f64_e64 v[54:55], v[54:55], -v[68:69]
	s_delay_alu instid0(VALU_DEP_3) | instskip(NEXT) | instid1(VALU_DEP_3)
	v_ldexp_f64 v[68:69], v[74:75], -2
	v_add_f64_e64 v[64:65], v[64:65], -v[72:73]
	v_add_f64_e32 v[72:73], v[76:77], v[58:59]
	s_delay_alu instid0(VALU_DEP_3) | instskip(NEXT) | instid1(VALU_DEP_3)
	v_cmp_neq_f64_e64 vcc_lo, 0x7ff00000, |v[68:69]|
	v_add_f64_e32 v[54:55], v[54:55], v[64:65]
	v_fract_f64_e32 v[64:65], v[68:69]
	s_delay_alu instid0(VALU_DEP_1) | instskip(NEXT) | instid1(VALU_DEP_1)
	v_ldexp_f64 v[64:65], v[64:65], 2
	v_cndmask_b32_e32 v64, 0, v64, vcc_lo
	v_add_f64_e64 v[60:61], v[74:75], -v[60:61]
	s_delay_alu instid0(VALU_DEP_3) | instskip(NEXT) | instid1(VALU_DEP_2)
	v_cndmask_b32_e32 v65, 0, v65, vcc_lo
	v_add_f64_e64 v[60:61], v[66:67], -v[60:61]
	v_add_f64_e32 v[66:67], v[72:73], v[54:55]
	s_delay_alu instid0(VALU_DEP_1) | instskip(SKIP_1) | instid1(VALU_DEP_2)
	v_add_f64_e32 v[68:69], v[60:61], v[66:67]
	v_add_f64_e64 v[78:79], v[66:67], -v[72:73]
	v_add_f64_e32 v[74:75], v[68:69], v[64:65]
	s_delay_alu instid0(VALU_DEP_2) | instskip(SKIP_2) | instid1(VALU_DEP_4)
	v_add_f64_e64 v[84:85], v[66:67], -v[78:79]
	v_add_f64_e64 v[54:55], v[54:55], -v[78:79]
	;; [unrolled: 1-line block ×3, first 2 shown]
	v_cmp_gt_f64_e32 vcc_lo, 0, v[74:75]
	v_add_f64_e64 v[74:75], v[72:73], -v[76:77]
	s_delay_alu instid0(VALU_DEP_3) | instskip(SKIP_1) | instid1(VALU_DEP_3)
	v_add_f64_e64 v[60:61], v[66:67], -v[60:61]
	v_cndmask_b32_e64 v21, 0, 0x40100000, vcc_lo
	v_add_f64_e64 v[82:83], v[72:73], -v[74:75]
	v_add_f64_e64 v[58:59], v[58:59], -v[74:75]
	;; [unrolled: 1-line block ×3, first 2 shown]
	s_delay_alu instid0(VALU_DEP_4) | instskip(NEXT) | instid1(VALU_DEP_4)
	v_add_f64_e32 v[64:65], v[64:65], v[20:21]
	v_add_f64_e64 v[74:75], v[76:77], -v[82:83]
	s_delay_alu instid0(VALU_DEP_3) | instskip(NEXT) | instid1(VALU_DEP_3)
	v_add_f64_e32 v[54:55], v[54:55], v[72:73]
	v_add_f64_e32 v[80:81], v[68:69], v[64:65]
	s_delay_alu instid0(VALU_DEP_3) | instskip(NEXT) | instid1(VALU_DEP_2)
	v_add_f64_e32 v[58:59], v[58:59], v[74:75]
	v_cvt_i32_f64_e32 v21, v[80:81]
	s_delay_alu instid0(VALU_DEP_2) | instskip(NEXT) | instid1(VALU_DEP_2)
	v_add_f64_e32 v[54:55], v[58:59], v[54:55]
	v_cvt_f64_i32_e32 v[78:79], v21
	s_delay_alu instid0(VALU_DEP_2) | instskip(NEXT) | instid1(VALU_DEP_2)
	v_add_f64_e32 v[52:53], v[52:53], v[54:55]
	v_add_f64_e64 v[64:65], v[64:65], -v[78:79]
	s_delay_alu instid0(VALU_DEP_2) | instskip(NEXT) | instid1(VALU_DEP_2)
	v_add_f64_e32 v[52:53], v[60:61], v[52:53]
	v_add_f64_e32 v[58:59], v[68:69], v[64:65]
	s_delay_alu instid0(VALU_DEP_1) | instskip(SKIP_1) | instid1(VALU_DEP_2)
	v_add_f64_e64 v[54:55], v[58:59], -v[64:65]
	v_cmp_le_f64_e32 vcc_lo, 0.5, v[58:59]
	v_add_f64_e64 v[54:55], v[68:69], -v[54:55]
	v_add_co_ci_u32_e64 v161, null, 0, v21, vcc_lo
	v_cndmask_b32_e64 v21, 0, 0x3ff00000, vcc_lo
	s_delay_alu instid0(VALU_DEP_3) | instskip(NEXT) | instid1(VALU_DEP_2)
	v_add_f64_e32 v[52:53], v[52:53], v[54:55]
	v_add_f64_e64 v[54:55], v[58:59], -v[20:21]
	s_delay_alu instid0(VALU_DEP_1) | instskip(NEXT) | instid1(VALU_DEP_1)
	v_add_f64_e32 v[58:59], v[54:55], v[52:53]
	v_mul_f64_e32 v[60:61], 0x3ff921fb54442d18, v[58:59]
	v_add_f64_e64 v[54:55], v[58:59], -v[54:55]
	s_delay_alu instid0(VALU_DEP_2) | instskip(NEXT) | instid1(VALU_DEP_2)
	v_fma_f64 v[64:65], v[58:59], s[14:15], -v[60:61]
	v_add_f64_e64 v[52:53], v[52:53], -v[54:55]
	s_delay_alu instid0(VALU_DEP_2) | instskip(NEXT) | instid1(VALU_DEP_1)
	v_fmac_f64_e32 v[64:65], 0x3c91a62633145c07, v[58:59]
	v_fmac_f64_e32 v[64:65], 0x3ff921fb54442d18, v[52:53]
	s_delay_alu instid0(VALU_DEP_1) | instskip(NEXT) | instid1(VALU_DEP_1)
	v_add_f64_e32 v[52:53], v[60:61], v[64:65]
	v_add_f64_e64 v[54:55], v[52:53], -v[60:61]
	s_delay_alu instid0(VALU_DEP_1)
	v_add_f64_e64 v[58:59], v[64:65], -v[54:55]
	s_and_not1_saveexec_b32 s0, s0
	s_cbranch_execnz .LBB149_96
	s_branch .LBB149_97
.LBB149_95:                             ;   in Loop: Header=BB149_73 Depth=1
	s_and_not1_saveexec_b32 s0, s0
	s_cbranch_execz .LBB149_97
.LBB149_96:                             ;   in Loop: Header=BB149_73 Depth=1
	v_mul_f64_e64 v[52:53], |v[12:13]|, s[16:17]
	s_delay_alu instid0(VALU_DEP_1) | instskip(NEXT) | instid1(VALU_DEP_1)
	v_rndne_f64_e32 v[54:55], v[52:53]
	v_fma_f64 v[52:53], v[54:55], s[18:19], |v[12:13]|
	v_mul_f64_e32 v[58:59], 0xbc91a62633145c00, v[54:55]
	v_cvt_i32_f64_e32 v161, v[54:55]
	s_delay_alu instid0(VALU_DEP_3) | instskip(NEXT) | instid1(VALU_DEP_3)
	v_fmamk_f64 v[66:67], v[54:55], 0xbc91a62633145c00, v[52:53]
	v_add_f64_e32 v[60:61], v[52:53], v[58:59]
	s_delay_alu instid0(VALU_DEP_1) | instskip(NEXT) | instid1(VALU_DEP_3)
	v_add_f64_e64 v[64:65], v[52:53], -v[60:61]
	v_add_f64_e64 v[52:53], v[60:61], -v[66:67]
	s_delay_alu instid0(VALU_DEP_2) | instskip(SKIP_1) | instid1(VALU_DEP_2)
	v_add_f64_e32 v[60:61], v[64:65], v[58:59]
	v_fmamk_f64 v[58:59], v[54:55], 0x3c91a62633145c00, v[58:59]
	v_add_f64_e32 v[52:53], v[52:53], v[60:61]
	s_delay_alu instid0(VALU_DEP_1) | instskip(NEXT) | instid1(VALU_DEP_1)
	v_add_f64_e64 v[58:59], v[52:53], -v[58:59]
	v_fmac_f64_e32 v[58:59], 0xb97b839a252049c0, v[54:55]
	s_delay_alu instid0(VALU_DEP_1) | instskip(NEXT) | instid1(VALU_DEP_1)
	v_add_f64_e32 v[52:53], v[66:67], v[58:59]
	v_add_f64_e64 v[60:61], v[52:53], -v[66:67]
	s_delay_alu instid0(VALU_DEP_1)
	v_add_f64_e64 v[58:59], v[58:59], -v[60:61]
.LBB149_97:                             ;   in Loop: Header=BB149_73 Depth=1
	s_or_b32 exec_lo, exec_lo, s0
	s_wait_loadcnt 0x0
	v_mul_f64_e32 v[54:55], 0.5, v[16:17]
                                        ; implicit-def: $vgpr162
                                        ; implicit-def: $vgpr64_vgpr65
                                        ; implicit-def: $vgpr80_vgpr81
	s_delay_alu instid0(VALU_DEP_1) | instskip(SKIP_1) | instid1(SALU_CYCLE_1)
	v_cmp_ngt_f64_e64 s0, 0x41d00000, |v[54:55]|
	s_and_saveexec_b32 s1, s0
	s_xor_b32 s0, exec_lo, s1
	s_cbranch_execz .LBB149_99
; %bb.98:                               ;   in Loop: Header=BB149_73 Depth=1
	v_ldexp_f64 v[60:61], |v[54:55]|, 0xffffff80
	v_cmp_le_f64_e64 vcc_lo, 0x7b000000, |v[54:55]|
	v_trig_preop_f64 v[64:65], |v[54:55]|, 0
	v_and_b32_e32 v21, 0x7fffffff, v55
	v_trig_preop_f64 v[66:67], |v[54:55]|, 1
	v_trig_preop_f64 v[76:77], |v[54:55]|, 2
	s_delay_alu instid0(VALU_DEP_3) | instskip(NEXT) | instid1(VALU_DEP_1)
	v_dual_cndmask_b32 v61, v21, v61 :: v_dual_cndmask_b32 v60, v54, v60
	v_mul_f64_e32 v[68:69], v[64:65], v[60:61]
	s_delay_alu instid0(VALU_DEP_4) | instskip(NEXT) | instid1(VALU_DEP_4)
	v_mul_f64_e32 v[70:71], v[66:67], v[60:61]
	v_mul_f64_e32 v[82:83], v[76:77], v[60:61]
	s_delay_alu instid0(VALU_DEP_3) | instskip(NEXT) | instid1(VALU_DEP_3)
	v_fma_f64 v[64:65], v[64:65], v[60:61], -v[68:69]
	v_fma_f64 v[66:67], v[66:67], v[60:61], -v[70:71]
	s_delay_alu instid0(VALU_DEP_3) | instskip(NEXT) | instid1(VALU_DEP_3)
	v_fma_f64 v[60:61], v[76:77], v[60:61], -v[82:83]
	v_add_f64_e32 v[72:73], v[70:71], v[64:65]
	s_delay_alu instid0(VALU_DEP_1) | instskip(SKIP_1) | instid1(VALU_DEP_2)
	v_add_f64_e64 v[74:75], v[72:73], -v[70:71]
	v_add_f64_e32 v[80:81], v[68:69], v[72:73]
	v_add_f64_e64 v[78:79], v[72:73], -v[74:75]
	v_add_f64_e64 v[64:65], v[64:65], -v[74:75]
	s_delay_alu instid0(VALU_DEP_3) | instskip(NEXT) | instid1(VALU_DEP_3)
	v_ldexp_f64 v[74:75], v[80:81], -2
	v_add_f64_e64 v[70:71], v[70:71], -v[78:79]
	v_add_f64_e32 v[78:79], v[82:83], v[66:67]
	s_delay_alu instid0(VALU_DEP_3) | instskip(NEXT) | instid1(VALU_DEP_3)
	v_cmp_neq_f64_e64 vcc_lo, 0x7ff00000, |v[74:75]|
	v_add_f64_e32 v[64:65], v[64:65], v[70:71]
	v_fract_f64_e32 v[70:71], v[74:75]
	s_delay_alu instid0(VALU_DEP_1) | instskip(NEXT) | instid1(VALU_DEP_1)
	v_ldexp_f64 v[70:71], v[70:71], 2
	v_dual_add_f64 v[68:69], v[80:81], -v[68:69] :: v_dual_cndmask_b32 v71, 0, v71, vcc_lo
	s_delay_alu instid0(VALU_DEP_1) | instskip(SKIP_1) | instid1(VALU_DEP_1)
	v_dual_add_f64 v[68:69], v[72:73], -v[68:69] :: v_dual_cndmask_b32 v70, 0, v70, vcc_lo
	v_add_f64_e32 v[72:73], v[78:79], v[64:65]
	v_add_f64_e32 v[74:75], v[68:69], v[72:73]
	v_add_f64_e64 v[84:85], v[72:73], -v[78:79]
	s_delay_alu instid0(VALU_DEP_2) | instskip(NEXT) | instid1(VALU_DEP_2)
	v_add_f64_e32 v[80:81], v[74:75], v[70:71]
	v_add_f64_e64 v[90:91], v[72:73], -v[84:85]
	v_add_f64_e64 v[64:65], v[64:65], -v[84:85]
	;; [unrolled: 1-line block ×3, first 2 shown]
	s_delay_alu instid0(VALU_DEP_4) | instskip(SKIP_1) | instid1(VALU_DEP_3)
	v_cmp_gt_f64_e32 vcc_lo, 0, v[80:81]
	v_add_f64_e64 v[80:81], v[78:79], -v[82:83]
	v_add_f64_e64 v[68:69], v[72:73], -v[68:69]
	v_cndmask_b32_e64 v21, 0, 0x40100000, vcc_lo
	s_delay_alu instid0(VALU_DEP_3) | instskip(SKIP_2) | instid1(VALU_DEP_4)
	v_add_f64_e64 v[88:89], v[78:79], -v[80:81]
	v_add_f64_e64 v[66:67], v[66:67], -v[80:81]
	;; [unrolled: 1-line block ×3, first 2 shown]
	v_add_f64_e32 v[70:71], v[70:71], v[20:21]
	s_delay_alu instid0(VALU_DEP_4) | instskip(NEXT) | instid1(VALU_DEP_3)
	v_add_f64_e64 v[80:81], v[82:83], -v[88:89]
	v_add_f64_e32 v[64:65], v[64:65], v[78:79]
	s_delay_alu instid0(VALU_DEP_3) | instskip(NEXT) | instid1(VALU_DEP_3)
	v_add_f64_e32 v[86:87], v[74:75], v[70:71]
	v_add_f64_e32 v[66:67], v[66:67], v[80:81]
	s_delay_alu instid0(VALU_DEP_2) | instskip(NEXT) | instid1(VALU_DEP_2)
	v_cvt_i32_f64_e32 v21, v[86:87]
	v_add_f64_e32 v[64:65], v[66:67], v[64:65]
	s_delay_alu instid0(VALU_DEP_2) | instskip(NEXT) | instid1(VALU_DEP_2)
	v_cvt_f64_i32_e32 v[84:85], v21
	v_add_f64_e32 v[60:61], v[60:61], v[64:65]
	s_delay_alu instid0(VALU_DEP_2) | instskip(NEXT) | instid1(VALU_DEP_2)
	v_add_f64_e64 v[70:71], v[70:71], -v[84:85]
	v_add_f64_e32 v[60:61], v[68:69], v[60:61]
	s_delay_alu instid0(VALU_DEP_2) | instskip(NEXT) | instid1(VALU_DEP_1)
	v_add_f64_e32 v[66:67], v[74:75], v[70:71]
	v_add_f64_e64 v[64:65], v[66:67], -v[70:71]
	v_cmp_le_f64_e32 vcc_lo, 0.5, v[66:67]
	s_delay_alu instid0(VALU_DEP_2) | instskip(SKIP_2) | instid1(VALU_DEP_3)
	v_add_f64_e64 v[64:65], v[74:75], -v[64:65]
	v_add_co_ci_u32_e64 v162, null, 0, v21, vcc_lo
	v_cndmask_b32_e64 v21, 0, 0x3ff00000, vcc_lo
	v_add_f64_e32 v[60:61], v[60:61], v[64:65]
	s_delay_alu instid0(VALU_DEP_2) | instskip(NEXT) | instid1(VALU_DEP_1)
	v_add_f64_e64 v[64:65], v[66:67], -v[20:21]
	v_add_f64_e32 v[66:67], v[64:65], v[60:61]
	s_delay_alu instid0(VALU_DEP_1) | instskip(SKIP_1) | instid1(VALU_DEP_2)
	v_mul_f64_e32 v[68:69], 0x3ff921fb54442d18, v[66:67]
	v_add_f64_e64 v[64:65], v[66:67], -v[64:65]
	v_fma_f64 v[70:71], v[66:67], s[14:15], -v[68:69]
	s_delay_alu instid0(VALU_DEP_2) | instskip(NEXT) | instid1(VALU_DEP_2)
	v_add_f64_e64 v[60:61], v[60:61], -v[64:65]
	v_fmac_f64_e32 v[70:71], 0x3c91a62633145c07, v[66:67]
	s_delay_alu instid0(VALU_DEP_1) | instskip(NEXT) | instid1(VALU_DEP_1)
	v_fmac_f64_e32 v[70:71], 0x3ff921fb54442d18, v[60:61]
	v_add_f64_e32 v[64:65], v[68:69], v[70:71]
	s_delay_alu instid0(VALU_DEP_1) | instskip(NEXT) | instid1(VALU_DEP_1)
	v_add_f64_e64 v[60:61], v[64:65], -v[68:69]
	v_add_f64_e64 v[80:81], v[70:71], -v[60:61]
.LBB149_99:                             ;   in Loop: Header=BB149_73 Depth=1
	s_and_not1_saveexec_b32 s0, s0
	s_cbranch_execz .LBB149_101
; %bb.100:                              ;   in Loop: Header=BB149_73 Depth=1
	v_mul_f64_e64 v[60:61], |v[54:55]|, s[16:17]
	s_delay_alu instid0(VALU_DEP_1) | instskip(NEXT) | instid1(VALU_DEP_1)
	v_rndne_f64_e32 v[60:61], v[60:61]
	v_fma_f64 v[64:65], v[60:61], s[18:19], |v[54:55]|
	v_mul_f64_e32 v[66:67], 0xbc91a62633145c00, v[60:61]
	v_cvt_i32_f64_e32 v162, v[60:61]
	s_delay_alu instid0(VALU_DEP_3) | instskip(NEXT) | instid1(VALU_DEP_3)
	v_fmamk_f64 v[72:73], v[60:61], 0xbc91a62633145c00, v[64:65]
	v_add_f64_e32 v[68:69], v[64:65], v[66:67]
	s_delay_alu instid0(VALU_DEP_1) | instskip(NEXT) | instid1(VALU_DEP_3)
	v_add_f64_e64 v[70:71], v[64:65], -v[68:69]
	v_add_f64_e64 v[64:65], v[68:69], -v[72:73]
	s_delay_alu instid0(VALU_DEP_2) | instskip(SKIP_1) | instid1(VALU_DEP_2)
	v_add_f64_e32 v[68:69], v[70:71], v[66:67]
	v_fmamk_f64 v[66:67], v[60:61], 0x3c91a62633145c00, v[66:67]
	v_add_f64_e32 v[64:65], v[64:65], v[68:69]
	s_delay_alu instid0(VALU_DEP_1) | instskip(NEXT) | instid1(VALU_DEP_1)
	v_add_f64_e64 v[66:67], v[64:65], -v[66:67]
	v_fmac_f64_e32 v[66:67], 0xb97b839a252049c0, v[60:61]
	s_delay_alu instid0(VALU_DEP_1) | instskip(NEXT) | instid1(VALU_DEP_1)
	v_add_f64_e32 v[64:65], v[72:73], v[66:67]
	v_add_f64_e64 v[68:69], v[64:65], -v[72:73]
	s_delay_alu instid0(VALU_DEP_1)
	v_add_f64_e64 v[80:81], v[66:67], -v[68:69]
.LBB149_101:                            ;   in Loop: Header=BB149_73 Depth=1
	s_or_b32 exec_lo, exec_lo, s0
	v_cmp_ngt_f64_e64 s0, 0x41d00000, |v[16:17]|
                                        ; implicit-def: $vgpr163
                                        ; implicit-def: $vgpr66_vgpr67
                                        ; implicit-def: $vgpr84_vgpr85
	s_and_saveexec_b32 s1, s0
	s_delay_alu instid0(SALU_CYCLE_1)
	s_xor_b32 s1, exec_lo, s1
	s_cbranch_execz .LBB149_103
; %bb.102:                              ;   in Loop: Header=BB149_73 Depth=1
	v_ldexp_f64 v[60:61], |v[16:17]|, 0xffffff80
	v_cmp_le_f64_e64 vcc_lo, 0x7b000000, |v[16:17]|
	v_trig_preop_f64 v[66:67], |v[16:17]|, 0
	v_and_b32_e32 v21, 0x7fffffff, v17
	v_trig_preop_f64 v[68:69], |v[16:17]|, 1
	v_trig_preop_f64 v[78:79], |v[16:17]|, 2
	s_delay_alu instid0(VALU_DEP_3) | instskip(NEXT) | instid1(VALU_DEP_1)
	v_dual_cndmask_b32 v61, v21, v61 :: v_dual_cndmask_b32 v60, v16, v60
	v_mul_f64_e32 v[70:71], v[66:67], v[60:61]
	s_delay_alu instid0(VALU_DEP_4) | instskip(NEXT) | instid1(VALU_DEP_4)
	v_mul_f64_e32 v[72:73], v[68:69], v[60:61]
	v_mul_f64_e32 v[86:87], v[78:79], v[60:61]
	s_delay_alu instid0(VALU_DEP_3) | instskip(NEXT) | instid1(VALU_DEP_3)
	v_fma_f64 v[66:67], v[66:67], v[60:61], -v[70:71]
	v_fma_f64 v[68:69], v[68:69], v[60:61], -v[72:73]
	s_delay_alu instid0(VALU_DEP_3) | instskip(NEXT) | instid1(VALU_DEP_3)
	v_fma_f64 v[60:61], v[78:79], v[60:61], -v[86:87]
	v_add_f64_e32 v[74:75], v[72:73], v[66:67]
	s_delay_alu instid0(VALU_DEP_1) | instskip(SKIP_1) | instid1(VALU_DEP_2)
	v_add_f64_e64 v[76:77], v[74:75], -v[72:73]
	v_add_f64_e32 v[84:85], v[70:71], v[74:75]
	v_add_f64_e64 v[82:83], v[74:75], -v[76:77]
	v_add_f64_e64 v[66:67], v[66:67], -v[76:77]
	s_delay_alu instid0(VALU_DEP_3) | instskip(NEXT) | instid1(VALU_DEP_3)
	v_ldexp_f64 v[76:77], v[84:85], -2
	v_add_f64_e64 v[72:73], v[72:73], -v[82:83]
	v_add_f64_e32 v[82:83], v[86:87], v[68:69]
	s_delay_alu instid0(VALU_DEP_3) | instskip(NEXT) | instid1(VALU_DEP_3)
	v_cmp_neq_f64_e64 vcc_lo, 0x7ff00000, |v[76:77]|
	v_add_f64_e32 v[66:67], v[66:67], v[72:73]
	v_fract_f64_e32 v[72:73], v[76:77]
	s_delay_alu instid0(VALU_DEP_1) | instskip(NEXT) | instid1(VALU_DEP_1)
	v_ldexp_f64 v[72:73], v[72:73], 2
	v_dual_add_f64 v[70:71], v[84:85], -v[70:71] :: v_dual_cndmask_b32 v72, 0, v72, vcc_lo
	s_delay_alu instid0(VALU_DEP_1) | instskip(SKIP_1) | instid1(VALU_DEP_1)
	v_dual_add_f64 v[70:71], v[74:75], -v[70:71] :: v_dual_cndmask_b32 v73, 0, v73, vcc_lo
	v_add_f64_e32 v[74:75], v[82:83], v[66:67]
	v_add_f64_e32 v[76:77], v[70:71], v[74:75]
	v_add_f64_e64 v[88:89], v[74:75], -v[82:83]
	s_delay_alu instid0(VALU_DEP_2) | instskip(NEXT) | instid1(VALU_DEP_2)
	v_add_f64_e32 v[84:85], v[76:77], v[72:73]
	v_add_f64_e64 v[94:95], v[74:75], -v[88:89]
	v_add_f64_e64 v[66:67], v[66:67], -v[88:89]
	;; [unrolled: 1-line block ×3, first 2 shown]
	s_delay_alu instid0(VALU_DEP_4) | instskip(SKIP_1) | instid1(VALU_DEP_3)
	v_cmp_gt_f64_e32 vcc_lo, 0, v[84:85]
	v_add_f64_e64 v[84:85], v[82:83], -v[86:87]
	v_add_f64_e64 v[70:71], v[74:75], -v[70:71]
	v_cndmask_b32_e64 v21, 0, 0x40100000, vcc_lo
	s_delay_alu instid0(VALU_DEP_3) | instskip(SKIP_2) | instid1(VALU_DEP_4)
	v_add_f64_e64 v[92:93], v[82:83], -v[84:85]
	v_add_f64_e64 v[68:69], v[68:69], -v[84:85]
	;; [unrolled: 1-line block ×3, first 2 shown]
	v_add_f64_e32 v[72:73], v[72:73], v[20:21]
	s_delay_alu instid0(VALU_DEP_4) | instskip(NEXT) | instid1(VALU_DEP_3)
	v_add_f64_e64 v[84:85], v[86:87], -v[92:93]
	v_add_f64_e32 v[66:67], v[66:67], v[82:83]
	s_delay_alu instid0(VALU_DEP_3) | instskip(NEXT) | instid1(VALU_DEP_3)
	v_add_f64_e32 v[90:91], v[76:77], v[72:73]
	v_add_f64_e32 v[68:69], v[68:69], v[84:85]
	s_delay_alu instid0(VALU_DEP_2) | instskip(NEXT) | instid1(VALU_DEP_2)
	v_cvt_i32_f64_e32 v21, v[90:91]
	v_add_f64_e32 v[66:67], v[68:69], v[66:67]
	s_delay_alu instid0(VALU_DEP_2) | instskip(NEXT) | instid1(VALU_DEP_2)
	v_cvt_f64_i32_e32 v[88:89], v21
	v_add_f64_e32 v[60:61], v[60:61], v[66:67]
	s_delay_alu instid0(VALU_DEP_2) | instskip(NEXT) | instid1(VALU_DEP_2)
	v_add_f64_e64 v[72:73], v[72:73], -v[88:89]
	v_add_f64_e32 v[60:61], v[70:71], v[60:61]
	s_delay_alu instid0(VALU_DEP_2) | instskip(NEXT) | instid1(VALU_DEP_1)
	v_add_f64_e32 v[68:69], v[76:77], v[72:73]
	v_add_f64_e64 v[66:67], v[68:69], -v[72:73]
	v_cmp_le_f64_e32 vcc_lo, 0.5, v[68:69]
	s_delay_alu instid0(VALU_DEP_2) | instskip(SKIP_2) | instid1(VALU_DEP_3)
	v_add_f64_e64 v[66:67], v[76:77], -v[66:67]
	v_add_co_ci_u32_e64 v163, null, 0, v21, vcc_lo
	v_cndmask_b32_e64 v21, 0, 0x3ff00000, vcc_lo
	v_add_f64_e32 v[60:61], v[60:61], v[66:67]
	s_delay_alu instid0(VALU_DEP_2) | instskip(NEXT) | instid1(VALU_DEP_1)
	v_add_f64_e64 v[66:67], v[68:69], -v[20:21]
	v_add_f64_e32 v[68:69], v[66:67], v[60:61]
	s_delay_alu instid0(VALU_DEP_1) | instskip(SKIP_1) | instid1(VALU_DEP_2)
	v_mul_f64_e32 v[70:71], 0x3ff921fb54442d18, v[68:69]
	v_add_f64_e64 v[66:67], v[68:69], -v[66:67]
	v_fma_f64 v[72:73], v[68:69], s[14:15], -v[70:71]
	s_delay_alu instid0(VALU_DEP_2) | instskip(NEXT) | instid1(VALU_DEP_2)
	v_add_f64_e64 v[60:61], v[60:61], -v[66:67]
	v_fmac_f64_e32 v[72:73], 0x3c91a62633145c07, v[68:69]
	s_delay_alu instid0(VALU_DEP_1) | instskip(NEXT) | instid1(VALU_DEP_1)
	v_fmac_f64_e32 v[72:73], 0x3ff921fb54442d18, v[60:61]
	v_add_f64_e32 v[66:67], v[70:71], v[72:73]
	s_delay_alu instid0(VALU_DEP_1) | instskip(NEXT) | instid1(VALU_DEP_1)
	v_add_f64_e64 v[60:61], v[66:67], -v[70:71]
	v_add_f64_e64 v[84:85], v[72:73], -v[60:61]
	s_and_not1_saveexec_b32 s1, s1
	s_cbranch_execz .LBB149_105
	s_branch .LBB149_104
.LBB149_103:                            ;   in Loop: Header=BB149_73 Depth=1
	s_and_not1_saveexec_b32 s1, s1
	s_cbranch_execz .LBB149_105
.LBB149_104:                            ;   in Loop: Header=BB149_73 Depth=1
	v_mul_f64_e64 v[60:61], |v[16:17]|, s[16:17]
	s_delay_alu instid0(VALU_DEP_1) | instskip(NEXT) | instid1(VALU_DEP_1)
	v_rndne_f64_e32 v[60:61], v[60:61]
	v_fma_f64 v[66:67], v[60:61], s[18:19], |v[16:17]|
	v_mul_f64_e32 v[68:69], 0xbc91a62633145c00, v[60:61]
	v_cvt_i32_f64_e32 v163, v[60:61]
	s_delay_alu instid0(VALU_DEP_3) | instskip(NEXT) | instid1(VALU_DEP_3)
	v_fmamk_f64 v[74:75], v[60:61], 0xbc91a62633145c00, v[66:67]
	v_add_f64_e32 v[70:71], v[66:67], v[68:69]
	s_delay_alu instid0(VALU_DEP_1) | instskip(NEXT) | instid1(VALU_DEP_3)
	v_add_f64_e64 v[72:73], v[66:67], -v[70:71]
	v_add_f64_e64 v[66:67], v[70:71], -v[74:75]
	s_delay_alu instid0(VALU_DEP_2) | instskip(SKIP_1) | instid1(VALU_DEP_2)
	v_add_f64_e32 v[70:71], v[72:73], v[68:69]
	v_fmamk_f64 v[68:69], v[60:61], 0x3c91a62633145c00, v[68:69]
	v_add_f64_e32 v[66:67], v[66:67], v[70:71]
	s_delay_alu instid0(VALU_DEP_1) | instskip(NEXT) | instid1(VALU_DEP_1)
	v_add_f64_e64 v[68:69], v[66:67], -v[68:69]
	v_fmac_f64_e32 v[68:69], 0xb97b839a252049c0, v[60:61]
	s_delay_alu instid0(VALU_DEP_1) | instskip(NEXT) | instid1(VALU_DEP_1)
	v_add_f64_e32 v[66:67], v[74:75], v[68:69]
	v_add_f64_e64 v[70:71], v[66:67], -v[74:75]
	s_delay_alu instid0(VALU_DEP_1)
	v_add_f64_e64 v[84:85], v[68:69], -v[70:71]
.LBB149_105:                            ;   in Loop: Header=BB149_73 Depth=1
	s_or_b32 exec_lo, exec_lo, s1
                                        ; implicit-def: $vgpr167
                                        ; implicit-def: $vgpr74_vgpr75
                                        ; implicit-def: $vgpr86_vgpr87
	s_and_saveexec_b32 s1, s0
	s_delay_alu instid0(SALU_CYCLE_1)
	s_xor_b32 s0, exec_lo, s1
	s_cbranch_execz .LBB149_107
; %bb.106:                              ;   in Loop: Header=BB149_73 Depth=1
	v_ldexp_f64 v[60:61], |v[16:17]|, 0xffffff80
	v_cmp_le_f64_e64 vcc_lo, 0x7b000000, |v[16:17]|
	v_trig_preop_f64 v[68:69], |v[16:17]|, 0
	v_and_b32_e32 v21, 0x7fffffff, v17
	v_trig_preop_f64 v[70:71], |v[16:17]|, 1
	v_trig_preop_f64 v[82:83], |v[16:17]|, 2
	s_delay_alu instid0(VALU_DEP_3) | instskip(NEXT) | instid1(VALU_DEP_1)
	v_dual_cndmask_b32 v61, v21, v61 :: v_dual_cndmask_b32 v60, v16, v60
	v_mul_f64_e32 v[72:73], v[68:69], v[60:61]
	s_delay_alu instid0(VALU_DEP_4) | instskip(NEXT) | instid1(VALU_DEP_4)
	v_mul_f64_e32 v[74:75], v[70:71], v[60:61]
	v_mul_f64_e32 v[90:91], v[82:83], v[60:61]
	s_delay_alu instid0(VALU_DEP_3) | instskip(NEXT) | instid1(VALU_DEP_3)
	v_fma_f64 v[68:69], v[68:69], v[60:61], -v[72:73]
	v_fma_f64 v[70:71], v[70:71], v[60:61], -v[74:75]
	s_delay_alu instid0(VALU_DEP_3) | instskip(NEXT) | instid1(VALU_DEP_3)
	v_fma_f64 v[60:61], v[82:83], v[60:61], -v[90:91]
	v_add_f64_e32 v[76:77], v[74:75], v[68:69]
	s_delay_alu instid0(VALU_DEP_1) | instskip(SKIP_1) | instid1(VALU_DEP_2)
	v_add_f64_e64 v[78:79], v[76:77], -v[74:75]
	v_add_f64_e32 v[88:89], v[72:73], v[76:77]
	v_add_f64_e64 v[86:87], v[76:77], -v[78:79]
	v_add_f64_e64 v[68:69], v[68:69], -v[78:79]
	s_delay_alu instid0(VALU_DEP_3) | instskip(NEXT) | instid1(VALU_DEP_3)
	v_ldexp_f64 v[78:79], v[88:89], -2
	v_add_f64_e64 v[74:75], v[74:75], -v[86:87]
	v_add_f64_e32 v[86:87], v[90:91], v[70:71]
	s_delay_alu instid0(VALU_DEP_3) | instskip(NEXT) | instid1(VALU_DEP_3)
	v_cmp_neq_f64_e64 vcc_lo, 0x7ff00000, |v[78:79]|
	v_add_f64_e32 v[68:69], v[68:69], v[74:75]
	v_fract_f64_e32 v[74:75], v[78:79]
	s_delay_alu instid0(VALU_DEP_1) | instskip(NEXT) | instid1(VALU_DEP_1)
	v_ldexp_f64 v[74:75], v[74:75], 2
	v_dual_add_f64 v[72:73], v[88:89], -v[72:73] :: v_dual_cndmask_b32 v75, 0, v75, vcc_lo
	s_delay_alu instid0(VALU_DEP_1) | instskip(SKIP_1) | instid1(VALU_DEP_1)
	v_dual_add_f64 v[72:73], v[76:77], -v[72:73] :: v_dual_cndmask_b32 v74, 0, v74, vcc_lo
	v_add_f64_e32 v[76:77], v[86:87], v[68:69]
	v_add_f64_e32 v[78:79], v[72:73], v[76:77]
	v_add_f64_e64 v[92:93], v[76:77], -v[86:87]
	s_delay_alu instid0(VALU_DEP_2) | instskip(NEXT) | instid1(VALU_DEP_2)
	v_add_f64_e32 v[88:89], v[78:79], v[74:75]
	v_add_f64_e64 v[98:99], v[76:77], -v[92:93]
	v_add_f64_e64 v[68:69], v[68:69], -v[92:93]
	;; [unrolled: 1-line block ×3, first 2 shown]
	s_delay_alu instid0(VALU_DEP_4) | instskip(SKIP_1) | instid1(VALU_DEP_3)
	v_cmp_gt_f64_e32 vcc_lo, 0, v[88:89]
	v_add_f64_e64 v[88:89], v[86:87], -v[90:91]
	v_add_f64_e64 v[72:73], v[76:77], -v[72:73]
	v_cndmask_b32_e64 v21, 0, 0x40100000, vcc_lo
	s_delay_alu instid0(VALU_DEP_3) | instskip(SKIP_2) | instid1(VALU_DEP_4)
	v_add_f64_e64 v[96:97], v[86:87], -v[88:89]
	v_add_f64_e64 v[70:71], v[70:71], -v[88:89]
	;; [unrolled: 1-line block ×3, first 2 shown]
	v_add_f64_e32 v[74:75], v[74:75], v[20:21]
	s_delay_alu instid0(VALU_DEP_4) | instskip(NEXT) | instid1(VALU_DEP_3)
	v_add_f64_e64 v[88:89], v[90:91], -v[96:97]
	v_add_f64_e32 v[68:69], v[68:69], v[86:87]
	s_delay_alu instid0(VALU_DEP_3) | instskip(NEXT) | instid1(VALU_DEP_3)
	v_add_f64_e32 v[94:95], v[78:79], v[74:75]
	v_add_f64_e32 v[70:71], v[70:71], v[88:89]
	s_delay_alu instid0(VALU_DEP_2) | instskip(NEXT) | instid1(VALU_DEP_2)
	v_cvt_i32_f64_e32 v21, v[94:95]
	v_add_f64_e32 v[68:69], v[70:71], v[68:69]
	s_delay_alu instid0(VALU_DEP_2) | instskip(NEXT) | instid1(VALU_DEP_2)
	v_cvt_f64_i32_e32 v[92:93], v21
	v_add_f64_e32 v[60:61], v[60:61], v[68:69]
	s_delay_alu instid0(VALU_DEP_2) | instskip(NEXT) | instid1(VALU_DEP_2)
	v_add_f64_e64 v[74:75], v[74:75], -v[92:93]
	v_add_f64_e32 v[60:61], v[72:73], v[60:61]
	s_delay_alu instid0(VALU_DEP_2) | instskip(NEXT) | instid1(VALU_DEP_1)
	v_add_f64_e32 v[70:71], v[78:79], v[74:75]
	v_add_f64_e64 v[68:69], v[70:71], -v[74:75]
	v_cmp_le_f64_e32 vcc_lo, 0.5, v[70:71]
	s_delay_alu instid0(VALU_DEP_2) | instskip(SKIP_2) | instid1(VALU_DEP_3)
	v_add_f64_e64 v[68:69], v[78:79], -v[68:69]
	v_add_co_ci_u32_e64 v167, null, 0, v21, vcc_lo
	v_cndmask_b32_e64 v21, 0, 0x3ff00000, vcc_lo
	v_add_f64_e32 v[60:61], v[60:61], v[68:69]
	s_delay_alu instid0(VALU_DEP_2) | instskip(NEXT) | instid1(VALU_DEP_1)
	v_add_f64_e64 v[68:69], v[70:71], -v[20:21]
	v_add_f64_e32 v[70:71], v[68:69], v[60:61]
	s_delay_alu instid0(VALU_DEP_1) | instskip(SKIP_1) | instid1(VALU_DEP_2)
	v_mul_f64_e32 v[72:73], 0x3ff921fb54442d18, v[70:71]
	v_add_f64_e64 v[68:69], v[70:71], -v[68:69]
	v_fma_f64 v[76:77], v[70:71], s[14:15], -v[72:73]
	s_delay_alu instid0(VALU_DEP_2) | instskip(NEXT) | instid1(VALU_DEP_2)
	v_add_f64_e64 v[60:61], v[60:61], -v[68:69]
	v_fmac_f64_e32 v[76:77], 0x3c91a62633145c07, v[70:71]
	s_delay_alu instid0(VALU_DEP_1) | instskip(NEXT) | instid1(VALU_DEP_1)
	v_fmac_f64_e32 v[76:77], 0x3ff921fb54442d18, v[60:61]
	v_add_f64_e32 v[74:75], v[72:73], v[76:77]
	s_delay_alu instid0(VALU_DEP_1) | instskip(NEXT) | instid1(VALU_DEP_1)
	v_add_f64_e64 v[60:61], v[74:75], -v[72:73]
	v_add_f64_e64 v[86:87], v[76:77], -v[60:61]
	s_and_not1_saveexec_b32 s0, s0
	s_cbranch_execnz .LBB149_108
	s_branch .LBB149_109
.LBB149_107:                            ;   in Loop: Header=BB149_73 Depth=1
	s_and_not1_saveexec_b32 s0, s0
	s_cbranch_execz .LBB149_109
.LBB149_108:                            ;   in Loop: Header=BB149_73 Depth=1
	v_mul_f64_e64 v[60:61], |v[16:17]|, s[16:17]
	s_delay_alu instid0(VALU_DEP_1) | instskip(NEXT) | instid1(VALU_DEP_1)
	v_rndne_f64_e32 v[60:61], v[60:61]
	v_fma_f64 v[68:69], v[60:61], s[18:19], |v[16:17]|
	v_mul_f64_e32 v[70:71], 0xbc91a62633145c00, v[60:61]
	v_cvt_i32_f64_e32 v167, v[60:61]
	s_delay_alu instid0(VALU_DEP_2) | instskip(NEXT) | instid1(VALU_DEP_1)
	v_add_f64_e32 v[72:73], v[68:69], v[70:71]
	v_add_f64_e64 v[74:75], v[68:69], -v[72:73]
	v_fmamk_f64 v[68:69], v[60:61], 0xbc91a62633145c00, v[68:69]
	s_delay_alu instid0(VALU_DEP_1) | instskip(NEXT) | instid1(VALU_DEP_3)
	v_add_f64_e64 v[72:73], v[72:73], -v[68:69]
	v_add_f64_e32 v[74:75], v[74:75], v[70:71]
	v_fmamk_f64 v[70:71], v[60:61], 0x3c91a62633145c00, v[70:71]
	s_delay_alu instid0(VALU_DEP_2) | instskip(NEXT) | instid1(VALU_DEP_1)
	v_add_f64_e32 v[72:73], v[72:73], v[74:75]
	v_add_f64_e64 v[70:71], v[72:73], -v[70:71]
	s_delay_alu instid0(VALU_DEP_1) | instskip(NEXT) | instid1(VALU_DEP_1)
	v_fmac_f64_e32 v[70:71], 0xb97b839a252049c0, v[60:61]
	v_add_f64_e32 v[74:75], v[68:69], v[70:71]
	s_delay_alu instid0(VALU_DEP_1) | instskip(NEXT) | instid1(VALU_DEP_1)
	v_add_f64_e64 v[68:69], v[74:75], -v[68:69]
	v_add_f64_e64 v[86:87], v[70:71], -v[68:69]
.LBB149_109:                            ;   in Loop: Header=BB149_73 Depth=1
	s_or_b32 exec_lo, exec_lo, s0
	v_mul_f64_e32 v[60:61], 0.5, v[4:5]
                                        ; implicit-def: $vgpr164
                                        ; implicit-def: $vgpr68_vgpr69
                                        ; implicit-def: $vgpr70_vgpr71
	s_delay_alu instid0(VALU_DEP_1) | instskip(SKIP_1) | instid1(SALU_CYCLE_1)
	v_cmp_ngt_f64_e64 s0, 0x41d00000, |v[60:61]|
	s_and_saveexec_b32 s1, s0
	s_xor_b32 s0, exec_lo, s1
	s_cbranch_execz .LBB149_111
; %bb.110:                              ;   in Loop: Header=BB149_73 Depth=1
	v_ldexp_f64 v[68:69], |v[60:61]|, 0xffffff80
	v_cmp_le_f64_e64 vcc_lo, 0x7b000000, |v[60:61]|
	v_trig_preop_f64 v[70:71], |v[60:61]|, 0
	v_and_b32_e32 v21, 0x7fffffff, v61
	v_trig_preop_f64 v[72:73], |v[60:61]|, 1
	v_trig_preop_f64 v[90:91], |v[60:61]|, 2
	s_delay_alu instid0(VALU_DEP_3) | instskip(NEXT) | instid1(VALU_DEP_1)
	v_dual_cndmask_b32 v69, v21, v69 :: v_dual_cndmask_b32 v68, v60, v68
	v_mul_f64_e32 v[76:77], v[70:71], v[68:69]
	s_delay_alu instid0(VALU_DEP_4) | instskip(NEXT) | instid1(VALU_DEP_4)
	v_mul_f64_e32 v[78:79], v[72:73], v[68:69]
	v_mul_f64_e32 v[96:97], v[90:91], v[68:69]
	s_delay_alu instid0(VALU_DEP_3) | instskip(NEXT) | instid1(VALU_DEP_3)
	v_fma_f64 v[70:71], v[70:71], v[68:69], -v[76:77]
	v_fma_f64 v[72:73], v[72:73], v[68:69], -v[78:79]
	s_delay_alu instid0(VALU_DEP_3) | instskip(NEXT) | instid1(VALU_DEP_3)
	v_fma_f64 v[68:69], v[90:91], v[68:69], -v[96:97]
	v_add_f64_e32 v[82:83], v[78:79], v[70:71]
	s_delay_alu instid0(VALU_DEP_1) | instskip(SKIP_1) | instid1(VALU_DEP_2)
	v_add_f64_e64 v[88:89], v[82:83], -v[78:79]
	v_add_f64_e32 v[94:95], v[76:77], v[82:83]
	v_add_f64_e64 v[92:93], v[82:83], -v[88:89]
	v_add_f64_e64 v[70:71], v[70:71], -v[88:89]
	s_delay_alu instid0(VALU_DEP_3) | instskip(NEXT) | instid1(VALU_DEP_3)
	v_ldexp_f64 v[88:89], v[94:95], -2
	v_add_f64_e64 v[78:79], v[78:79], -v[92:93]
	v_add_f64_e32 v[92:93], v[96:97], v[72:73]
	s_delay_alu instid0(VALU_DEP_3) | instskip(NEXT) | instid1(VALU_DEP_3)
	v_cmp_neq_f64_e64 vcc_lo, 0x7ff00000, |v[88:89]|
	v_add_f64_e32 v[70:71], v[70:71], v[78:79]
	v_fract_f64_e32 v[78:79], v[88:89]
	s_delay_alu instid0(VALU_DEP_1) | instskip(NEXT) | instid1(VALU_DEP_1)
	v_ldexp_f64 v[78:79], v[78:79], 2
	v_dual_add_f64 v[76:77], v[94:95], -v[76:77] :: v_dual_cndmask_b32 v79, 0, v79, vcc_lo
	s_delay_alu instid0(VALU_DEP_1) | instskip(SKIP_1) | instid1(VALU_DEP_1)
	v_dual_add_f64 v[76:77], v[82:83], -v[76:77] :: v_dual_cndmask_b32 v78, 0, v78, vcc_lo
	v_add_f64_e32 v[82:83], v[92:93], v[70:71]
	v_add_f64_e32 v[88:89], v[76:77], v[82:83]
	v_add_f64_e64 v[98:99], v[82:83], -v[92:93]
	s_delay_alu instid0(VALU_DEP_2) | instskip(NEXT) | instid1(VALU_DEP_2)
	v_add_f64_e32 v[94:95], v[88:89], v[78:79]
	v_add_f64_e64 v[104:105], v[82:83], -v[98:99]
	v_add_f64_e64 v[70:71], v[70:71], -v[98:99]
	;; [unrolled: 1-line block ×3, first 2 shown]
	s_delay_alu instid0(VALU_DEP_4) | instskip(SKIP_1) | instid1(VALU_DEP_3)
	v_cmp_gt_f64_e32 vcc_lo, 0, v[94:95]
	v_add_f64_e64 v[94:95], v[92:93], -v[96:97]
	v_add_f64_e64 v[76:77], v[82:83], -v[76:77]
	v_cndmask_b32_e64 v21, 0, 0x40100000, vcc_lo
	s_delay_alu instid0(VALU_DEP_3) | instskip(SKIP_2) | instid1(VALU_DEP_4)
	v_add_f64_e64 v[102:103], v[92:93], -v[94:95]
	v_add_f64_e64 v[72:73], v[72:73], -v[94:95]
	;; [unrolled: 1-line block ×3, first 2 shown]
	v_add_f64_e32 v[78:79], v[78:79], v[20:21]
	s_delay_alu instid0(VALU_DEP_4) | instskip(NEXT) | instid1(VALU_DEP_3)
	v_add_f64_e64 v[94:95], v[96:97], -v[102:103]
	v_add_f64_e32 v[70:71], v[70:71], v[92:93]
	s_delay_alu instid0(VALU_DEP_3) | instskip(NEXT) | instid1(VALU_DEP_3)
	v_add_f64_e32 v[100:101], v[88:89], v[78:79]
	v_add_f64_e32 v[72:73], v[72:73], v[94:95]
	s_delay_alu instid0(VALU_DEP_2) | instskip(NEXT) | instid1(VALU_DEP_2)
	v_cvt_i32_f64_e32 v21, v[100:101]
	v_add_f64_e32 v[70:71], v[72:73], v[70:71]
	s_delay_alu instid0(VALU_DEP_2) | instskip(NEXT) | instid1(VALU_DEP_2)
	v_cvt_f64_i32_e32 v[98:99], v21
	v_add_f64_e32 v[68:69], v[68:69], v[70:71]
	s_delay_alu instid0(VALU_DEP_2) | instskip(NEXT) | instid1(VALU_DEP_2)
	v_add_f64_e64 v[78:79], v[78:79], -v[98:99]
	v_add_f64_e32 v[68:69], v[76:77], v[68:69]
	s_delay_alu instid0(VALU_DEP_2) | instskip(NEXT) | instid1(VALU_DEP_1)
	v_add_f64_e32 v[72:73], v[88:89], v[78:79]
	v_add_f64_e64 v[70:71], v[72:73], -v[78:79]
	v_cmp_le_f64_e32 vcc_lo, 0.5, v[72:73]
	s_delay_alu instid0(VALU_DEP_2) | instskip(SKIP_2) | instid1(VALU_DEP_3)
	v_add_f64_e64 v[70:71], v[88:89], -v[70:71]
	v_add_co_ci_u32_e64 v164, null, 0, v21, vcc_lo
	v_cndmask_b32_e64 v21, 0, 0x3ff00000, vcc_lo
	v_add_f64_e32 v[68:69], v[68:69], v[70:71]
	s_delay_alu instid0(VALU_DEP_2) | instskip(NEXT) | instid1(VALU_DEP_1)
	v_add_f64_e64 v[70:71], v[72:73], -v[20:21]
	v_add_f64_e32 v[72:73], v[70:71], v[68:69]
	s_delay_alu instid0(VALU_DEP_1) | instskip(SKIP_1) | instid1(VALU_DEP_2)
	v_mul_f64_e32 v[76:77], 0x3ff921fb54442d18, v[72:73]
	v_add_f64_e64 v[70:71], v[72:73], -v[70:71]
	v_fma_f64 v[78:79], v[72:73], s[14:15], -v[76:77]
	s_delay_alu instid0(VALU_DEP_2) | instskip(NEXT) | instid1(VALU_DEP_2)
	v_add_f64_e64 v[68:69], v[68:69], -v[70:71]
	v_fmac_f64_e32 v[78:79], 0x3c91a62633145c07, v[72:73]
	s_delay_alu instid0(VALU_DEP_1) | instskip(NEXT) | instid1(VALU_DEP_1)
	v_fmac_f64_e32 v[78:79], 0x3ff921fb54442d18, v[68:69]
	v_add_f64_e32 v[68:69], v[76:77], v[78:79]
	s_delay_alu instid0(VALU_DEP_1) | instskip(NEXT) | instid1(VALU_DEP_1)
	v_add_f64_e64 v[70:71], v[68:69], -v[76:77]
	v_add_f64_e64 v[70:71], v[78:79], -v[70:71]
.LBB149_111:                            ;   in Loop: Header=BB149_73 Depth=1
	s_and_not1_saveexec_b32 s0, s0
	s_cbranch_execz .LBB149_113
; %bb.112:                              ;   in Loop: Header=BB149_73 Depth=1
	v_mul_f64_e64 v[68:69], |v[60:61]|, s[16:17]
	s_delay_alu instid0(VALU_DEP_1) | instskip(NEXT) | instid1(VALU_DEP_1)
	v_rndne_f64_e32 v[72:73], v[68:69]
	v_fma_f64 v[68:69], v[72:73], s[18:19], |v[60:61]|
	v_mul_f64_e32 v[70:71], 0xbc91a62633145c00, v[72:73]
	v_cvt_i32_f64_e32 v164, v[72:73]
	s_delay_alu instid0(VALU_DEP_3) | instskip(NEXT) | instid1(VALU_DEP_3)
	v_fmamk_f64 v[82:83], v[72:73], 0xbc91a62633145c00, v[68:69]
	v_add_f64_e32 v[76:77], v[68:69], v[70:71]
	s_delay_alu instid0(VALU_DEP_1) | instskip(NEXT) | instid1(VALU_DEP_3)
	v_add_f64_e64 v[78:79], v[68:69], -v[76:77]
	v_add_f64_e64 v[68:69], v[76:77], -v[82:83]
	s_delay_alu instid0(VALU_DEP_2) | instskip(SKIP_1) | instid1(VALU_DEP_2)
	v_add_f64_e32 v[76:77], v[78:79], v[70:71]
	v_fmamk_f64 v[70:71], v[72:73], 0x3c91a62633145c00, v[70:71]
	v_add_f64_e32 v[68:69], v[68:69], v[76:77]
	s_delay_alu instid0(VALU_DEP_1) | instskip(NEXT) | instid1(VALU_DEP_1)
	v_add_f64_e64 v[70:71], v[68:69], -v[70:71]
	v_fmac_f64_e32 v[70:71], 0xb97b839a252049c0, v[72:73]
	s_delay_alu instid0(VALU_DEP_1) | instskip(NEXT) | instid1(VALU_DEP_1)
	v_add_f64_e32 v[68:69], v[82:83], v[70:71]
	v_add_f64_e64 v[76:77], v[68:69], -v[82:83]
	s_delay_alu instid0(VALU_DEP_1)
	v_add_f64_e64 v[70:71], v[70:71], -v[76:77]
.LBB149_113:                            ;   in Loop: Header=BB149_73 Depth=1
	s_or_b32 exec_lo, exec_lo, s0
	v_cmp_ngt_f64_e64 s0, 0x41d00000, |v[4:5]|
                                        ; implicit-def: $vgpr165
                                        ; implicit-def: $vgpr72_vgpr73
                                        ; implicit-def: $vgpr76_vgpr77
	s_and_saveexec_b32 s1, s0
	s_delay_alu instid0(SALU_CYCLE_1)
	s_xor_b32 s1, exec_lo, s1
	s_cbranch_execz .LBB149_115
; %bb.114:                              ;   in Loop: Header=BB149_73 Depth=1
	v_ldexp_f64 v[72:73], |v[4:5]|, 0xffffff80
	v_cmp_le_f64_e64 vcc_lo, 0x7b000000, |v[4:5]|
	v_trig_preop_f64 v[76:77], |v[4:5]|, 0
	v_and_b32_e32 v21, 0x7fffffff, v5
	v_trig_preop_f64 v[78:79], |v[4:5]|, 1
	v_trig_preop_f64 v[94:95], |v[4:5]|, 2
	s_delay_alu instid0(VALU_DEP_3) | instskip(NEXT) | instid1(VALU_DEP_1)
	v_dual_cndmask_b32 v73, v21, v73 :: v_dual_cndmask_b32 v72, v4, v72
	v_mul_f64_e32 v[82:83], v[76:77], v[72:73]
	s_delay_alu instid0(VALU_DEP_4) | instskip(NEXT) | instid1(VALU_DEP_4)
	v_mul_f64_e32 v[88:89], v[78:79], v[72:73]
	v_mul_f64_e32 v[100:101], v[94:95], v[72:73]
	s_delay_alu instid0(VALU_DEP_3) | instskip(NEXT) | instid1(VALU_DEP_3)
	v_fma_f64 v[76:77], v[76:77], v[72:73], -v[82:83]
	v_fma_f64 v[78:79], v[78:79], v[72:73], -v[88:89]
	s_delay_alu instid0(VALU_DEP_3) | instskip(NEXT) | instid1(VALU_DEP_3)
	v_fma_f64 v[72:73], v[94:95], v[72:73], -v[100:101]
	v_add_f64_e32 v[90:91], v[88:89], v[76:77]
	s_delay_alu instid0(VALU_DEP_1) | instskip(SKIP_1) | instid1(VALU_DEP_2)
	v_add_f64_e64 v[92:93], v[90:91], -v[88:89]
	v_add_f64_e32 v[98:99], v[82:83], v[90:91]
	v_add_f64_e64 v[96:97], v[90:91], -v[92:93]
	v_add_f64_e64 v[76:77], v[76:77], -v[92:93]
	s_delay_alu instid0(VALU_DEP_3) | instskip(NEXT) | instid1(VALU_DEP_3)
	v_ldexp_f64 v[92:93], v[98:99], -2
	v_add_f64_e64 v[88:89], v[88:89], -v[96:97]
	s_delay_alu instid0(VALU_DEP_2) | instskip(NEXT) | instid1(VALU_DEP_2)
	v_cmp_neq_f64_e64 vcc_lo, 0x7ff00000, |v[92:93]|
	v_add_f64_e32 v[76:77], v[76:77], v[88:89]
	v_fract_f64_e32 v[88:89], v[92:93]
	s_delay_alu instid0(VALU_DEP_1) | instskip(NEXT) | instid1(VALU_DEP_1)
	v_ldexp_f64 v[88:89], v[88:89], 2
	v_dual_add_f64 v[96:97], v[100:101], v[78:79] :: v_dual_cndmask_b32 v88, 0, v88, vcc_lo
	s_delay_alu instid0(VALU_DEP_2) | instskip(NEXT) | instid1(VALU_DEP_1)
	v_dual_add_f64 v[82:83], v[98:99], -v[82:83] :: v_dual_cndmask_b32 v89, 0, v89, vcc_lo
	v_add_f64_e64 v[82:83], v[90:91], -v[82:83]
	s_delay_alu instid0(VALU_DEP_3) | instskip(NEXT) | instid1(VALU_DEP_1)
	v_add_f64_e32 v[90:91], v[96:97], v[76:77]
	v_add_f64_e32 v[92:93], v[82:83], v[90:91]
	v_add_f64_e64 v[102:103], v[90:91], -v[96:97]
	s_delay_alu instid0(VALU_DEP_2) | instskip(NEXT) | instid1(VALU_DEP_2)
	v_add_f64_e32 v[98:99], v[92:93], v[88:89]
	v_add_f64_e64 v[108:109], v[90:91], -v[102:103]
	v_add_f64_e64 v[76:77], v[76:77], -v[102:103]
	v_add_f64_e64 v[82:83], v[92:93], -v[82:83]
	s_delay_alu instid0(VALU_DEP_4) | instskip(SKIP_1) | instid1(VALU_DEP_3)
	v_cmp_gt_f64_e32 vcc_lo, 0, v[98:99]
	v_add_f64_e64 v[98:99], v[96:97], -v[100:101]
	v_add_f64_e64 v[82:83], v[90:91], -v[82:83]
	v_cndmask_b32_e64 v21, 0, 0x40100000, vcc_lo
	s_delay_alu instid0(VALU_DEP_3) | instskip(SKIP_2) | instid1(VALU_DEP_4)
	v_add_f64_e64 v[106:107], v[96:97], -v[98:99]
	v_add_f64_e64 v[78:79], v[78:79], -v[98:99]
	v_add_f64_e64 v[96:97], v[96:97], -v[108:109]
	v_add_f64_e32 v[88:89], v[88:89], v[20:21]
	s_delay_alu instid0(VALU_DEP_4) | instskip(NEXT) | instid1(VALU_DEP_3)
	v_add_f64_e64 v[98:99], v[100:101], -v[106:107]
	v_add_f64_e32 v[76:77], v[76:77], v[96:97]
	s_delay_alu instid0(VALU_DEP_3) | instskip(NEXT) | instid1(VALU_DEP_3)
	v_add_f64_e32 v[104:105], v[92:93], v[88:89]
	v_add_f64_e32 v[78:79], v[78:79], v[98:99]
	s_delay_alu instid0(VALU_DEP_2) | instskip(NEXT) | instid1(VALU_DEP_2)
	v_cvt_i32_f64_e32 v21, v[104:105]
	v_add_f64_e32 v[76:77], v[78:79], v[76:77]
	s_delay_alu instid0(VALU_DEP_2) | instskip(NEXT) | instid1(VALU_DEP_2)
	v_cvt_f64_i32_e32 v[102:103], v21
	v_add_f64_e32 v[72:73], v[72:73], v[76:77]
	s_delay_alu instid0(VALU_DEP_2) | instskip(NEXT) | instid1(VALU_DEP_2)
	v_add_f64_e64 v[88:89], v[88:89], -v[102:103]
	v_add_f64_e32 v[72:73], v[82:83], v[72:73]
	s_delay_alu instid0(VALU_DEP_2) | instskip(NEXT) | instid1(VALU_DEP_1)
	v_add_f64_e32 v[78:79], v[92:93], v[88:89]
	v_add_f64_e64 v[76:77], v[78:79], -v[88:89]
	v_cmp_le_f64_e32 vcc_lo, 0.5, v[78:79]
	s_delay_alu instid0(VALU_DEP_2) | instskip(SKIP_2) | instid1(VALU_DEP_3)
	v_add_f64_e64 v[76:77], v[92:93], -v[76:77]
	v_add_co_ci_u32_e64 v165, null, 0, v21, vcc_lo
	v_cndmask_b32_e64 v21, 0, 0x3ff00000, vcc_lo
	v_add_f64_e32 v[72:73], v[72:73], v[76:77]
	s_delay_alu instid0(VALU_DEP_2) | instskip(NEXT) | instid1(VALU_DEP_1)
	v_add_f64_e64 v[76:77], v[78:79], -v[20:21]
	v_add_f64_e32 v[78:79], v[76:77], v[72:73]
	s_delay_alu instid0(VALU_DEP_1) | instskip(SKIP_1) | instid1(VALU_DEP_2)
	v_mul_f64_e32 v[82:83], 0x3ff921fb54442d18, v[78:79]
	v_add_f64_e64 v[76:77], v[78:79], -v[76:77]
	v_fma_f64 v[88:89], v[78:79], s[14:15], -v[82:83]
	s_delay_alu instid0(VALU_DEP_2) | instskip(NEXT) | instid1(VALU_DEP_2)
	v_add_f64_e64 v[72:73], v[72:73], -v[76:77]
	v_fmac_f64_e32 v[88:89], 0x3c91a62633145c07, v[78:79]
	s_delay_alu instid0(VALU_DEP_1) | instskip(NEXT) | instid1(VALU_DEP_1)
	v_fmac_f64_e32 v[88:89], 0x3ff921fb54442d18, v[72:73]
	v_add_f64_e32 v[72:73], v[82:83], v[88:89]
	s_delay_alu instid0(VALU_DEP_1) | instskip(NEXT) | instid1(VALU_DEP_1)
	v_add_f64_e64 v[76:77], v[72:73], -v[82:83]
	v_add_f64_e64 v[76:77], v[88:89], -v[76:77]
	s_and_not1_saveexec_b32 s1, s1
	s_cbranch_execz .LBB149_117
	s_branch .LBB149_116
.LBB149_115:                            ;   in Loop: Header=BB149_73 Depth=1
	s_and_not1_saveexec_b32 s1, s1
	s_cbranch_execz .LBB149_117
.LBB149_116:                            ;   in Loop: Header=BB149_73 Depth=1
	v_mul_f64_e64 v[72:73], |v[4:5]|, s[16:17]
	s_delay_alu instid0(VALU_DEP_1) | instskip(NEXT) | instid1(VALU_DEP_1)
	v_rndne_f64_e32 v[78:79], v[72:73]
	v_fma_f64 v[72:73], v[78:79], s[18:19], |v[4:5]|
	v_mul_f64_e32 v[76:77], 0xbc91a62633145c00, v[78:79]
	v_cvt_i32_f64_e32 v165, v[78:79]
	s_delay_alu instid0(VALU_DEP_3) | instskip(NEXT) | instid1(VALU_DEP_3)
	v_fmamk_f64 v[90:91], v[78:79], 0xbc91a62633145c00, v[72:73]
	v_add_f64_e32 v[82:83], v[72:73], v[76:77]
	s_delay_alu instid0(VALU_DEP_1) | instskip(NEXT) | instid1(VALU_DEP_3)
	v_add_f64_e64 v[88:89], v[72:73], -v[82:83]
	v_add_f64_e64 v[72:73], v[82:83], -v[90:91]
	s_delay_alu instid0(VALU_DEP_2) | instskip(SKIP_1) | instid1(VALU_DEP_2)
	v_add_f64_e32 v[82:83], v[88:89], v[76:77]
	v_fmamk_f64 v[76:77], v[78:79], 0x3c91a62633145c00, v[76:77]
	v_add_f64_e32 v[72:73], v[72:73], v[82:83]
	s_delay_alu instid0(VALU_DEP_1) | instskip(NEXT) | instid1(VALU_DEP_1)
	v_add_f64_e64 v[76:77], v[72:73], -v[76:77]
	v_fmac_f64_e32 v[76:77], 0xb97b839a252049c0, v[78:79]
	s_delay_alu instid0(VALU_DEP_1) | instskip(NEXT) | instid1(VALU_DEP_1)
	v_add_f64_e32 v[72:73], v[90:91], v[76:77]
	v_add_f64_e64 v[82:83], v[72:73], -v[90:91]
	s_delay_alu instid0(VALU_DEP_1)
	v_add_f64_e64 v[76:77], v[76:77], -v[82:83]
.LBB149_117:                            ;   in Loop: Header=BB149_73 Depth=1
	s_or_b32 exec_lo, exec_lo, s1
                                        ; implicit-def: $vgpr166
                                        ; implicit-def: $vgpr78_vgpr79
                                        ; implicit-def: $vgpr82_vgpr83
	s_and_saveexec_b32 s1, s0
	s_delay_alu instid0(SALU_CYCLE_1)
	s_xor_b32 s0, exec_lo, s1
	s_cbranch_execz .LBB149_119
; %bb.118:                              ;   in Loop: Header=BB149_73 Depth=1
	v_ldexp_f64 v[78:79], |v[4:5]|, 0xffffff80
	v_cmp_le_f64_e64 vcc_lo, 0x7b000000, |v[4:5]|
	v_trig_preop_f64 v[82:83], |v[4:5]|, 0
	v_and_b32_e32 v21, 0x7fffffff, v5
	v_trig_preop_f64 v[88:89], |v[4:5]|, 1
	v_trig_preop_f64 v[98:99], |v[4:5]|, 2
	s_delay_alu instid0(VALU_DEP_3) | instskip(NEXT) | instid1(VALU_DEP_1)
	v_dual_cndmask_b32 v79, v21, v79 :: v_dual_cndmask_b32 v78, v4, v78
	v_mul_f64_e32 v[90:91], v[82:83], v[78:79]
	s_delay_alu instid0(VALU_DEP_4) | instskip(NEXT) | instid1(VALU_DEP_4)
	v_mul_f64_e32 v[92:93], v[88:89], v[78:79]
	v_mul_f64_e32 v[104:105], v[98:99], v[78:79]
	s_delay_alu instid0(VALU_DEP_3) | instskip(NEXT) | instid1(VALU_DEP_3)
	v_fma_f64 v[82:83], v[82:83], v[78:79], -v[90:91]
	v_fma_f64 v[88:89], v[88:89], v[78:79], -v[92:93]
	s_delay_alu instid0(VALU_DEP_3) | instskip(NEXT) | instid1(VALU_DEP_3)
	v_fma_f64 v[78:79], v[98:99], v[78:79], -v[104:105]
	v_add_f64_e32 v[94:95], v[92:93], v[82:83]
	s_delay_alu instid0(VALU_DEP_1) | instskip(SKIP_1) | instid1(VALU_DEP_2)
	v_add_f64_e64 v[96:97], v[94:95], -v[92:93]
	v_add_f64_e32 v[102:103], v[90:91], v[94:95]
	v_add_f64_e64 v[100:101], v[94:95], -v[96:97]
	v_add_f64_e64 v[82:83], v[82:83], -v[96:97]
	s_delay_alu instid0(VALU_DEP_3) | instskip(NEXT) | instid1(VALU_DEP_3)
	v_ldexp_f64 v[96:97], v[102:103], -2
	v_add_f64_e64 v[92:93], v[92:93], -v[100:101]
	v_add_f64_e32 v[100:101], v[104:105], v[88:89]
	s_delay_alu instid0(VALU_DEP_3) | instskip(NEXT) | instid1(VALU_DEP_3)
	v_cmp_neq_f64_e64 vcc_lo, 0x7ff00000, |v[96:97]|
	v_add_f64_e32 v[82:83], v[82:83], v[92:93]
	v_fract_f64_e32 v[92:93], v[96:97]
	s_delay_alu instid0(VALU_DEP_1) | instskip(NEXT) | instid1(VALU_DEP_1)
	v_ldexp_f64 v[92:93], v[92:93], 2
	v_dual_add_f64 v[90:91], v[102:103], -v[90:91] :: v_dual_cndmask_b32 v93, 0, v93, vcc_lo
	s_delay_alu instid0(VALU_DEP_1) | instskip(SKIP_1) | instid1(VALU_DEP_1)
	v_dual_add_f64 v[90:91], v[94:95], -v[90:91] :: v_dual_cndmask_b32 v92, 0, v92, vcc_lo
	v_add_f64_e32 v[94:95], v[100:101], v[82:83]
	v_add_f64_e32 v[96:97], v[90:91], v[94:95]
	v_add_f64_e64 v[106:107], v[94:95], -v[100:101]
	s_delay_alu instid0(VALU_DEP_2) | instskip(NEXT) | instid1(VALU_DEP_2)
	v_add_f64_e32 v[102:103], v[96:97], v[92:93]
	v_add_f64_e64 v[112:113], v[94:95], -v[106:107]
	v_add_f64_e64 v[82:83], v[82:83], -v[106:107]
	v_add_f64_e64 v[90:91], v[96:97], -v[90:91]
	s_delay_alu instid0(VALU_DEP_4) | instskip(SKIP_1) | instid1(VALU_DEP_3)
	v_cmp_gt_f64_e32 vcc_lo, 0, v[102:103]
	v_add_f64_e64 v[102:103], v[100:101], -v[104:105]
	v_add_f64_e64 v[90:91], v[94:95], -v[90:91]
	v_cndmask_b32_e64 v21, 0, 0x40100000, vcc_lo
	s_delay_alu instid0(VALU_DEP_3) | instskip(SKIP_2) | instid1(VALU_DEP_4)
	v_add_f64_e64 v[110:111], v[100:101], -v[102:103]
	v_add_f64_e64 v[88:89], v[88:89], -v[102:103]
	;; [unrolled: 1-line block ×3, first 2 shown]
	v_add_f64_e32 v[92:93], v[92:93], v[20:21]
	s_delay_alu instid0(VALU_DEP_4) | instskip(NEXT) | instid1(VALU_DEP_3)
	v_add_f64_e64 v[102:103], v[104:105], -v[110:111]
	v_add_f64_e32 v[82:83], v[82:83], v[100:101]
	s_delay_alu instid0(VALU_DEP_3) | instskip(NEXT) | instid1(VALU_DEP_3)
	v_add_f64_e32 v[108:109], v[96:97], v[92:93]
	v_add_f64_e32 v[88:89], v[88:89], v[102:103]
	s_delay_alu instid0(VALU_DEP_2) | instskip(NEXT) | instid1(VALU_DEP_2)
	v_cvt_i32_f64_e32 v21, v[108:109]
	v_add_f64_e32 v[82:83], v[88:89], v[82:83]
	s_delay_alu instid0(VALU_DEP_2) | instskip(NEXT) | instid1(VALU_DEP_2)
	v_cvt_f64_i32_e32 v[106:107], v21
	v_add_f64_e32 v[78:79], v[78:79], v[82:83]
	s_delay_alu instid0(VALU_DEP_2) | instskip(NEXT) | instid1(VALU_DEP_2)
	v_add_f64_e64 v[92:93], v[92:93], -v[106:107]
	v_add_f64_e32 v[78:79], v[90:91], v[78:79]
	s_delay_alu instid0(VALU_DEP_2) | instskip(NEXT) | instid1(VALU_DEP_1)
	v_add_f64_e32 v[88:89], v[96:97], v[92:93]
	v_add_f64_e64 v[82:83], v[88:89], -v[92:93]
	v_cmp_le_f64_e32 vcc_lo, 0.5, v[88:89]
	s_delay_alu instid0(VALU_DEP_2) | instskip(SKIP_2) | instid1(VALU_DEP_3)
	v_add_f64_e64 v[82:83], v[96:97], -v[82:83]
	v_add_co_ci_u32_e64 v166, null, 0, v21, vcc_lo
	v_cndmask_b32_e64 v21, 0, 0x3ff00000, vcc_lo
	v_add_f64_e32 v[78:79], v[78:79], v[82:83]
	s_delay_alu instid0(VALU_DEP_2) | instskip(NEXT) | instid1(VALU_DEP_1)
	v_add_f64_e64 v[82:83], v[88:89], -v[20:21]
	v_add_f64_e32 v[88:89], v[82:83], v[78:79]
	s_delay_alu instid0(VALU_DEP_1) | instskip(SKIP_1) | instid1(VALU_DEP_2)
	v_mul_f64_e32 v[90:91], 0x3ff921fb54442d18, v[88:89]
	v_add_f64_e64 v[82:83], v[88:89], -v[82:83]
	v_fma_f64 v[92:93], v[88:89], s[14:15], -v[90:91]
	s_delay_alu instid0(VALU_DEP_2) | instskip(NEXT) | instid1(VALU_DEP_2)
	v_add_f64_e64 v[78:79], v[78:79], -v[82:83]
	v_fmac_f64_e32 v[92:93], 0x3c91a62633145c07, v[88:89]
	s_delay_alu instid0(VALU_DEP_1) | instskip(NEXT) | instid1(VALU_DEP_1)
	v_fmac_f64_e32 v[92:93], 0x3ff921fb54442d18, v[78:79]
	v_add_f64_e32 v[78:79], v[90:91], v[92:93]
	s_delay_alu instid0(VALU_DEP_1) | instskip(NEXT) | instid1(VALU_DEP_1)
	v_add_f64_e64 v[82:83], v[78:79], -v[90:91]
	v_add_f64_e64 v[82:83], v[92:93], -v[82:83]
	s_and_not1_saveexec_b32 s0, s0
	s_cbranch_execz .LBB149_72
	s_branch .LBB149_120
.LBB149_119:                            ;   in Loop: Header=BB149_73 Depth=1
	s_and_not1_saveexec_b32 s0, s0
	s_cbranch_execz .LBB149_72
.LBB149_120:                            ;   in Loop: Header=BB149_73 Depth=1
	v_mul_f64_e64 v[78:79], |v[4:5]|, s[16:17]
	s_delay_alu instid0(VALU_DEP_1) | instskip(NEXT) | instid1(VALU_DEP_1)
	v_rndne_f64_e32 v[88:89], v[78:79]
	v_fma_f64 v[78:79], v[88:89], s[18:19], |v[4:5]|
	v_mul_f64_e32 v[82:83], 0xbc91a62633145c00, v[88:89]
	v_cvt_i32_f64_e32 v166, v[88:89]
	s_delay_alu instid0(VALU_DEP_3) | instskip(NEXT) | instid1(VALU_DEP_3)
	v_fmamk_f64 v[94:95], v[88:89], 0xbc91a62633145c00, v[78:79]
	v_add_f64_e32 v[90:91], v[78:79], v[82:83]
	s_delay_alu instid0(VALU_DEP_1) | instskip(NEXT) | instid1(VALU_DEP_3)
	v_add_f64_e64 v[92:93], v[78:79], -v[90:91]
	v_add_f64_e64 v[78:79], v[90:91], -v[94:95]
	s_delay_alu instid0(VALU_DEP_2) | instskip(SKIP_1) | instid1(VALU_DEP_2)
	v_add_f64_e32 v[90:91], v[92:93], v[82:83]
	v_fmamk_f64 v[82:83], v[88:89], 0x3c91a62633145c00, v[82:83]
	v_add_f64_e32 v[78:79], v[78:79], v[90:91]
	s_delay_alu instid0(VALU_DEP_1) | instskip(NEXT) | instid1(VALU_DEP_1)
	v_add_f64_e64 v[82:83], v[78:79], -v[82:83]
	v_fmac_f64_e32 v[82:83], 0xb97b839a252049c0, v[88:89]
	s_delay_alu instid0(VALU_DEP_1) | instskip(NEXT) | instid1(VALU_DEP_1)
	v_add_f64_e32 v[78:79], v[94:95], v[82:83]
	v_add_f64_e64 v[90:91], v[78:79], -v[94:95]
	s_delay_alu instid0(VALU_DEP_1)
	v_add_f64_e64 v[82:83], v[82:83], -v[90:91]
	s_branch .LBB149_72
.LBB149_121:
	s_sendmsg sendmsg(MSG_DEALLOC_VGPRS)
	s_endpgm
	.section	.rodata,"a",@progbits
	.p2align	6, 0x0
	.amdhsa_kernel _ZN2at6native12_GLOBAL__N_125multi_tensor_apply_kernelINS1_18TensorListMetadataILi1EEENS1_14UnaryOpFunctorIN3c107complexIdEELi1ELi1ELi0EEEJNS0_5Expm1IS8_EEEEEvT_T0_DpT1_
		.amdhsa_group_segment_fixed_size 0
		.amdhsa_private_segment_fixed_size 0
		.amdhsa_kernarg_size 3632
		.amdhsa_user_sgpr_count 2
		.amdhsa_user_sgpr_dispatch_ptr 0
		.amdhsa_user_sgpr_queue_ptr 0
		.amdhsa_user_sgpr_kernarg_segment_ptr 1
		.amdhsa_user_sgpr_dispatch_id 0
		.amdhsa_user_sgpr_kernarg_preload_length 0
		.amdhsa_user_sgpr_kernarg_preload_offset 0
		.amdhsa_user_sgpr_private_segment_size 0
		.amdhsa_wavefront_size32 1
		.amdhsa_uses_dynamic_stack 0
		.amdhsa_enable_private_segment 0
		.amdhsa_system_sgpr_workgroup_id_x 1
		.amdhsa_system_sgpr_workgroup_id_y 0
		.amdhsa_system_sgpr_workgroup_id_z 0
		.amdhsa_system_sgpr_workgroup_info 0
		.amdhsa_system_vgpr_workitem_id 0
		.amdhsa_next_free_vgpr 195
		.amdhsa_next_free_sgpr 38
		.amdhsa_named_barrier_count 0
		.amdhsa_reserve_vcc 1
		.amdhsa_float_round_mode_32 0
		.amdhsa_float_round_mode_16_64 0
		.amdhsa_float_denorm_mode_32 3
		.amdhsa_float_denorm_mode_16_64 3
		.amdhsa_fp16_overflow 0
		.amdhsa_memory_ordered 1
		.amdhsa_forward_progress 1
		.amdhsa_inst_pref_size 248
		.amdhsa_round_robin_scheduling 0
		.amdhsa_exception_fp_ieee_invalid_op 0
		.amdhsa_exception_fp_denorm_src 0
		.amdhsa_exception_fp_ieee_div_zero 0
		.amdhsa_exception_fp_ieee_overflow 0
		.amdhsa_exception_fp_ieee_underflow 0
		.amdhsa_exception_fp_ieee_inexact 0
		.amdhsa_exception_int_div_zero 0
	.end_amdhsa_kernel
	.section	.text._ZN2at6native12_GLOBAL__N_125multi_tensor_apply_kernelINS1_18TensorListMetadataILi1EEENS1_14UnaryOpFunctorIN3c107complexIdEELi1ELi1ELi0EEEJNS0_5Expm1IS8_EEEEEvT_T0_DpT1_,"axG",@progbits,_ZN2at6native12_GLOBAL__N_125multi_tensor_apply_kernelINS1_18TensorListMetadataILi1EEENS1_14UnaryOpFunctorIN3c107complexIdEELi1ELi1ELi0EEEJNS0_5Expm1IS8_EEEEEvT_T0_DpT1_,comdat
.Lfunc_end149:
	.size	_ZN2at6native12_GLOBAL__N_125multi_tensor_apply_kernelINS1_18TensorListMetadataILi1EEENS1_14UnaryOpFunctorIN3c107complexIdEELi1ELi1ELi0EEEJNS0_5Expm1IS8_EEEEEvT_T0_DpT1_, .Lfunc_end149-_ZN2at6native12_GLOBAL__N_125multi_tensor_apply_kernelINS1_18TensorListMetadataILi1EEENS1_14UnaryOpFunctorIN3c107complexIdEELi1ELi1ELi0EEEJNS0_5Expm1IS8_EEEEEvT_T0_DpT1_
                                        ; -- End function
	.set _ZN2at6native12_GLOBAL__N_125multi_tensor_apply_kernelINS1_18TensorListMetadataILi1EEENS1_14UnaryOpFunctorIN3c107complexIdEELi1ELi1ELi0EEEJNS0_5Expm1IS8_EEEEEvT_T0_DpT1_.num_vgpr, 195
	.set _ZN2at6native12_GLOBAL__N_125multi_tensor_apply_kernelINS1_18TensorListMetadataILi1EEENS1_14UnaryOpFunctorIN3c107complexIdEELi1ELi1ELi0EEEJNS0_5Expm1IS8_EEEEEvT_T0_DpT1_.num_agpr, 0
	.set _ZN2at6native12_GLOBAL__N_125multi_tensor_apply_kernelINS1_18TensorListMetadataILi1EEENS1_14UnaryOpFunctorIN3c107complexIdEELi1ELi1ELi0EEEJNS0_5Expm1IS8_EEEEEvT_T0_DpT1_.numbered_sgpr, 38
	.set _ZN2at6native12_GLOBAL__N_125multi_tensor_apply_kernelINS1_18TensorListMetadataILi1EEENS1_14UnaryOpFunctorIN3c107complexIdEELi1ELi1ELi0EEEJNS0_5Expm1IS8_EEEEEvT_T0_DpT1_.num_named_barrier, 0
	.set _ZN2at6native12_GLOBAL__N_125multi_tensor_apply_kernelINS1_18TensorListMetadataILi1EEENS1_14UnaryOpFunctorIN3c107complexIdEELi1ELi1ELi0EEEJNS0_5Expm1IS8_EEEEEvT_T0_DpT1_.private_seg_size, 0
	.set _ZN2at6native12_GLOBAL__N_125multi_tensor_apply_kernelINS1_18TensorListMetadataILi1EEENS1_14UnaryOpFunctorIN3c107complexIdEELi1ELi1ELi0EEEJNS0_5Expm1IS8_EEEEEvT_T0_DpT1_.uses_vcc, 1
	.set _ZN2at6native12_GLOBAL__N_125multi_tensor_apply_kernelINS1_18TensorListMetadataILi1EEENS1_14UnaryOpFunctorIN3c107complexIdEELi1ELi1ELi0EEEJNS0_5Expm1IS8_EEEEEvT_T0_DpT1_.uses_flat_scratch, 0
	.set _ZN2at6native12_GLOBAL__N_125multi_tensor_apply_kernelINS1_18TensorListMetadataILi1EEENS1_14UnaryOpFunctorIN3c107complexIdEELi1ELi1ELi0EEEJNS0_5Expm1IS8_EEEEEvT_T0_DpT1_.has_dyn_sized_stack, 0
	.set _ZN2at6native12_GLOBAL__N_125multi_tensor_apply_kernelINS1_18TensorListMetadataILi1EEENS1_14UnaryOpFunctorIN3c107complexIdEELi1ELi1ELi0EEEJNS0_5Expm1IS8_EEEEEvT_T0_DpT1_.has_recursion, 0
	.set _ZN2at6native12_GLOBAL__N_125multi_tensor_apply_kernelINS1_18TensorListMetadataILi1EEENS1_14UnaryOpFunctorIN3c107complexIdEELi1ELi1ELi0EEEJNS0_5Expm1IS8_EEEEEvT_T0_DpT1_.has_indirect_call, 0
	.section	.AMDGPU.csdata,"",@progbits
; Kernel info:
; codeLenInByte = 31720
; TotalNumSgprs: 40
; NumVgprs: 195
; ScratchSize: 0
; MemoryBound: 1
; FloatMode: 240
; IeeeMode: 1
; LDSByteSize: 0 bytes/workgroup (compile time only)
; SGPRBlocks: 0
; VGPRBlocks: 12
; NumSGPRsForWavesPerEU: 40
; NumVGPRsForWavesPerEU: 195
; NamedBarCnt: 0
; Occupancy: 4
; WaveLimiterHint : 0
; COMPUTE_PGM_RSRC2:SCRATCH_EN: 0
; COMPUTE_PGM_RSRC2:USER_SGPR: 2
; COMPUTE_PGM_RSRC2:TRAP_HANDLER: 0
; COMPUTE_PGM_RSRC2:TGID_X_EN: 1
; COMPUTE_PGM_RSRC2:TGID_Y_EN: 0
; COMPUTE_PGM_RSRC2:TGID_Z_EN: 0
; COMPUTE_PGM_RSRC2:TIDIG_COMP_CNT: 0
	.section	.text._ZN2at6native12_GLOBAL__N_125multi_tensor_apply_kernelINS1_18TensorListMetadataILi1EEENS1_14UnaryOpFunctorIN3c107complexIfEELi1ELi1ELi0EEEJNS0_5Expm1IS8_EEEEEvT_T0_DpT1_,"axG",@progbits,_ZN2at6native12_GLOBAL__N_125multi_tensor_apply_kernelINS1_18TensorListMetadataILi1EEENS1_14UnaryOpFunctorIN3c107complexIfEELi1ELi1ELi0EEEJNS0_5Expm1IS8_EEEEEvT_T0_DpT1_,comdat
	.globl	_ZN2at6native12_GLOBAL__N_125multi_tensor_apply_kernelINS1_18TensorListMetadataILi1EEENS1_14UnaryOpFunctorIN3c107complexIfEELi1ELi1ELi0EEEJNS0_5Expm1IS8_EEEEEvT_T0_DpT1_ ; -- Begin function _ZN2at6native12_GLOBAL__N_125multi_tensor_apply_kernelINS1_18TensorListMetadataILi1EEENS1_14UnaryOpFunctorIN3c107complexIfEELi1ELi1ELi0EEEJNS0_5Expm1IS8_EEEEEvT_T0_DpT1_
	.p2align	8
	.type	_ZN2at6native12_GLOBAL__N_125multi_tensor_apply_kernelINS1_18TensorListMetadataILi1EEENS1_14UnaryOpFunctorIN3c107complexIfEELi1ELi1ELi0EEEJNS0_5Expm1IS8_EEEEEvT_T0_DpT1_,@function
_ZN2at6native12_GLOBAL__N_125multi_tensor_apply_kernelINS1_18TensorListMetadataILi1EEENS1_14UnaryOpFunctorIN3c107complexIfEELi1ELi1ELi0EEEJNS0_5Expm1IS8_EEEEEvT_T0_DpT1_: ; @_ZN2at6native12_GLOBAL__N_125multi_tensor_apply_kernelINS1_18TensorListMetadataILi1EEENS1_14UnaryOpFunctorIN3c107complexIfEELi1ELi1ELi0EEEJNS0_5Expm1IS8_EEEEEvT_T0_DpT1_
; %bb.0:
	s_bfe_u32 s2, ttmp6, 0x4000c
	s_and_b32 s3, ttmp6, 15
	s_add_co_i32 s2, s2, 1
	s_getreg_b32 s4, hwreg(HW_REG_IB_STS2, 6, 4)
	s_mul_i32 s2, ttmp9, s2
	s_delay_alu instid0(SALU_CYCLE_1)
	s_add_co_i32 s3, s3, s2
	s_cmp_eq_u32 s4, 0
	s_cselect_b32 s2, ttmp9, s3
	s_mov_b32 s3, 0
	s_load_u8 s10, s[0:1], s2 offset:0x6e0
	s_add_nc_u64 s[4:5], s[0:1], s[2:3]
	s_mul_u64 s[6:7], s[2:3], 3
	s_delay_alu instid0(SALU_CYCLE_1)
	s_add_nc_u64 s[4:5], s[4:5], s[6:7]
	s_load_b32 s6, s[4:5], 0x820
	s_wait_kmcnt 0x0
	s_clause 0x1
	s_load_b64 s[8:9], s[0:1], s10 offset:0x0 scale_offset
	s_load_b64 s[12:13], s[0:1], s10 offset:0x370 scale_offset
	s_ashr_i32 s7, s6, 31
	s_wait_xcnt 0x0
	s_lshl_b64 s[10:11], s[6:7], 19
	s_wait_kmcnt 0x0
	s_and_b32 s2, s12, 3
	s_add_nc_u64 s[14:15], s[8:9], s[10:11]
	s_delay_alu instid0(SALU_CYCLE_1) | instskip(NEXT) | instid1(SALU_CYCLE_1)
	s_and_b64 s[4:5], s[14:15], 31
	s_or_b64 s[2:3], s[4:5], s[2:3]
	s_lshl_b64 s[4:5], s[6:7], 16
	s_cmp_eq_u64 s[2:3], 0
	s_sub_nc_u64 s[12:13], s[12:13], s[4:5]
	s_cbranch_scc1 .LBB150_69
; %bb.1:
	v_cmp_lt_i64_e64 s2, s[12:13], 1
	s_and_b32 vcc_lo, exec_lo, s2
	s_cbranch_vccnz .LBB150_68
; %bb.2:
	s_load_b32 s2, s[0:1], 0xd3c
	v_min_i64 v[2:3], 0x10000, s[12:13]
	v_min_u64 v[4:5], 0x10000, s[12:13]
	v_dual_mov_b32 v7, 0 :: v_dual_lshlrev_b32 v8, 3, v0
	s_mov_b32 s3, 0
	s_mov_b64 s[16:17], 0
	s_mov_b32 s5, s3
	s_delay_alu instid0(VALU_DEP_1)
	v_dual_mov_b32 v1, v7 :: v_dual_mov_b32 v9, v7
	s_mov_b32 s7, s3
	s_mov_b32 s25, s3
	s_mov_b64 s[18:19], 0xfe5163ab
	s_mov_b32 s21, s3
	s_mov_b32 s23, s3
	;; [unrolled: 1-line block ×4, first 2 shown]
	s_wait_kmcnt 0x0
	s_and_b32 s2, s2, 0xffff
	s_delay_alu instid0(SALU_CYCLE_1)
	v_add_nc_u64_e32 v[12:13], s[2:3], v[0:1]
	v_mad_nc_u64_u32 v[14:15], s2, 24, v[8:9]
	s_lshl_b32 s4, s2, 1
	s_mul_i32 s6, s2, 3
	s_lshl_b32 s24, s2, 4
	v_add_nc_u64_e32 v[16:17], s[6:7], v[0:1]
	v_add_nc_u64_e32 v[18:19], s[24:25], v[8:9]
	;; [unrolled: 1-line block ×3, first 2 shown]
	v_dual_mov_b32 v11, v7 :: v_dual_lshlrev_b32 v10, 3, v12
	s_lshl_b32 s20, s2, 2
	s_lshl_b32 s22, s2, 5
	s_mov_b32 s24, 0x7fffff
	s_mov_b32 s25, 0x395133b1
	s_branch .LBB150_4
.LBB150_3:                              ;   in Loop: Header=BB150_4 Depth=1
	s_wait_xcnt 0x0
	s_or_b32 exec_lo, exec_lo, s3
	s_add_nc_u64 s[16:17], s[16:17], s[20:21]
	s_add_nc_u64 s[14:15], s[14:15], s[22:23]
	v_cmp_ge_i64_e32 vcc_lo, s[16:17], v[2:3]
	s_cbranch_vccnz .LBB150_68
.LBB150_4:                              ; =>This Inner Loop Header: Depth=1
	v_add_nc_u64_e32 v[22:23], s[16:17], v[0:1]
	v_add_nc_u64_e32 v[34:35], s[14:15], v[8:9]
	v_dual_mov_b32 v36, 0 :: v_dual_mov_b32 v37, 0
	s_delay_alu instid0(VALU_DEP_3)
	v_cmp_lt_u64_e64 s4, v[22:23], v[4:5]
	s_and_saveexec_b32 s2, s4
	s_cbranch_execz .LBB150_6
; %bb.5:                                ;   in Loop: Header=BB150_4 Depth=1
	global_load_b64 v[36:37], v[34:35], off
.LBB150_6:                              ;   in Loop: Header=BB150_4 Depth=1
	s_wait_xcnt 0x0
	s_or_b32 exec_lo, exec_lo, s2
	v_add_nc_u64_e32 v[22:23], s[16:17], v[12:13]
	v_add_nc_u64_e32 v[30:31], s[14:15], v[10:11]
	v_dual_mov_b32 v26, 0 :: v_dual_mov_b32 v32, 0
	v_mov_b32_e32 v33, 0
	s_delay_alu instid0(VALU_DEP_4)
	v_cmp_lt_u64_e64 s3, v[22:23], v[4:5]
	s_and_saveexec_b32 s2, s3
	s_cbranch_execz .LBB150_8
; %bb.7:                                ;   in Loop: Header=BB150_4 Depth=1
	global_load_b64 v[32:33], v[30:31], off
.LBB150_8:                              ;   in Loop: Header=BB150_4 Depth=1
	s_wait_xcnt 0x0
	s_or_b32 exec_lo, exec_lo, s2
	v_add_nc_u64_e32 v[22:23], s[16:17], v[20:21]
	v_add_nc_u64_e32 v[28:29], s[14:15], v[18:19]
	v_mov_b32_e32 v27, 0
	s_delay_alu instid0(VALU_DEP_3)
	v_cmp_lt_u64_e64 s2, v[22:23], v[4:5]
	s_and_saveexec_b32 s5, s2
	s_cbranch_execz .LBB150_10
; %bb.9:                                ;   in Loop: Header=BB150_4 Depth=1
	global_load_b64 v[26:27], v[28:29], off
.LBB150_10:                             ;   in Loop: Header=BB150_4 Depth=1
	s_wait_xcnt 0x0
	s_or_b32 exec_lo, exec_lo, s5
	v_add_nc_u64_e32 v[22:23], s[16:17], v[16:17]
	v_dual_mov_b32 v24, 0 :: v_dual_mov_b32 v25, 0
	s_delay_alu instid0(VALU_DEP_2)
	v_cmp_lt_u64_e32 vcc_lo, v[22:23], v[4:5]
	v_add_nc_u64_e32 v[22:23], s[14:15], v[14:15]
	s_and_saveexec_b32 s5, vcc_lo
	s_cbranch_execz .LBB150_12
; %bb.11:                               ;   in Loop: Header=BB150_4 Depth=1
	global_load_b64 v[24:25], v[22:23], off
.LBB150_12:                             ;   in Loop: Header=BB150_4 Depth=1
	s_wait_xcnt 0x0
	s_or_b32 exec_lo, exec_lo, s5
	s_wait_loadcnt 0x0
	v_mul_f32_e32 v38, 0.5, v37
                                        ; implicit-def: $vgpr42
                                        ; implicit-def: $vgpr40
	s_mov_b32 s6, exec_lo
	s_delay_alu instid0(VALU_DEP_1)
	v_and_b32_e32 v39, 0x7fffffff, v38
	v_cmpx_ngt_f32_e64 0x48000000, |v38|
	s_xor_b32 s28, exec_lo, s6
	s_cbranch_execz .LBB150_14
; %bb.13:                               ;   in Loop: Header=BB150_4 Depth=1
	s_delay_alu instid0(VALU_DEP_2) | instskip(SKIP_1) | instid1(VALU_DEP_2)
	v_and_or_b32 v6, v39, s24, 0x800000
	v_mov_b32_e32 v51, v7
	v_mul_u64_e32 v[40:41], s[18:19], v[6:7]
	s_delay_alu instid0(VALU_DEP_1) | instskip(SKIP_1) | instid1(VALU_DEP_2)
	v_dual_mov_b32 v43, v7 :: v_dual_mov_b32 v42, v41
	v_lshrrev_b32_e32 v41, 23, v39
	v_mad_nc_u64_u32 v[42:43], 0x3c439041, v6, v[42:43]
	v_mov_b32_e32 v45, v7
	s_delay_alu instid0(VALU_DEP_3) | instskip(NEXT) | instid1(VALU_DEP_1)
	v_add_nc_u32_e32 v41, 0xffffff88, v41
	v_cmp_lt_u32_e64 s5, 63, v41
	s_delay_alu instid0(VALU_DEP_4) | instskip(NEXT) | instid1(VALU_DEP_2)
	v_mov_b32_e32 v44, v43
	v_cndmask_b32_e64 v43, 0, 0xffffffc0, s5
	s_delay_alu instid0(VALU_DEP_2) | instskip(NEXT) | instid1(VALU_DEP_1)
	v_mad_nc_u64_u32 v[44:45], 0xdb629599, v6, v[44:45]
	v_dual_mov_b32 v47, v7 :: v_dual_mov_b32 v46, v45
	s_delay_alu instid0(VALU_DEP_2) | instskip(NEXT) | instid1(VALU_DEP_2)
	v_cndmask_b32_e64 v40, v44, v40, s5
	v_mad_nc_u64_u32 v[46:47], 0xf534ddc0, v6, v[46:47]
	s_delay_alu instid0(VALU_DEP_1) | instskip(NEXT) | instid1(VALU_DEP_1)
	v_dual_mov_b32 v49, v7 :: v_dual_mov_b32 v48, v47
	v_mad_nc_u64_u32 v[48:49], 0xfc2757d1, v6, v[48:49]
	s_delay_alu instid0(VALU_DEP_1) | instskip(NEXT) | instid1(VALU_DEP_1)
	v_mov_b32_e32 v50, v49
	v_mad_nc_u64_u32 v[50:51], 0x4e441529, v6, v[50:51]
	v_add_nc_u32_e32 v41, v43, v41
	v_mov_b32_e32 v53, v7
	s_delay_alu instid0(VALU_DEP_2) | instskip(NEXT) | instid1(VALU_DEP_4)
	v_cmp_lt_u32_e64 s6, 31, v41
	v_mov_b32_e32 v52, v51
	s_delay_alu instid0(VALU_DEP_2) | instskip(NEXT) | instid1(VALU_DEP_2)
	v_cndmask_b32_e64 v43, 0, 0xffffffe0, s6
	v_mad_nc_u64_u32 v[52:53], 0xa2f9836e, v6, v[52:53]
	s_delay_alu instid0(VALU_DEP_2) | instskip(NEXT) | instid1(VALU_DEP_2)
	v_dual_add_nc_u32 v6, v43, v41 :: v_dual_cndmask_b32 v43, v50, v46, s5
	v_cndmask_b32_e64 v45, v52, v48, s5
	s_delay_alu instid0(VALU_DEP_2) | instskip(NEXT) | instid1(VALU_DEP_4)
	v_cmp_lt_u32_e64 s7, 31, v6
	v_dual_cndmask_b32 v47, v53, v50, s5 :: v_dual_cndmask_b32 v48, v48, v44, s5
	s_delay_alu instid0(VALU_DEP_2) | instskip(NEXT) | instid1(VALU_DEP_1)
	v_cndmask_b32_e64 v41, 0, 0xffffffe0, s7
	v_add_nc_u32_e32 v6, v41, v6
	v_dual_cndmask_b32 v41, v46, v42, s5 :: v_dual_cndmask_b32 v42, v45, v43, s6
	s_delay_alu instid0(VALU_DEP_4) | instskip(NEXT) | instid1(VALU_DEP_3)
	v_cndmask_b32_e64 v45, v47, v45, s6
	v_dual_cndmask_b32 v43, v43, v48, s6 :: v_dual_sub_nc_u32 v46, 32, v6
	s_delay_alu instid0(VALU_DEP_3) | instskip(SKIP_1) | instid1(VALU_DEP_3)
	v_cndmask_b32_e64 v47, v48, v41, s6
	v_cmp_eq_u32_e64 s5, 0, v6
	v_dual_cndmask_b32 v45, v45, v42, s7 :: v_dual_cndmask_b32 v42, v42, v43, s7
	s_delay_alu instid0(VALU_DEP_1) | instskip(NEXT) | instid1(VALU_DEP_1)
	v_alignbit_b32 v48, v45, v42, v46
	v_dual_cndmask_b32 v43, v43, v47, s7 :: v_dual_cndmask_b32 v6, v48, v45, s5
	s_delay_alu instid0(VALU_DEP_1) | instskip(NEXT) | instid1(VALU_DEP_1)
	v_alignbit_b32 v44, v42, v43, v46
	v_dual_cndmask_b32 v40, v41, v40, s6 :: v_dual_cndmask_b32 v41, v44, v42, s5
	s_delay_alu instid0(VALU_DEP_3) | instskip(NEXT) | instid1(VALU_DEP_2)
	v_bfe_u32 v42, v6, 29, 1
	v_cndmask_b32_e64 v40, v47, v40, s7
	s_delay_alu instid0(VALU_DEP_3) | instskip(NEXT) | instid1(VALU_DEP_3)
	v_alignbit_b32 v44, v6, v41, 30
	v_sub_nc_u32_e32 v45, 0, v42
	s_delay_alu instid0(VALU_DEP_3) | instskip(NEXT) | instid1(VALU_DEP_1)
	v_alignbit_b32 v46, v43, v40, v46
	v_dual_cndmask_b32 v43, v46, v43, s5 :: v_dual_bitop2_b32 v44, v44, v45 bitop3:0x14
	s_delay_alu instid0(VALU_DEP_1) | instskip(NEXT) | instid1(VALU_DEP_2)
	v_clz_i32_u32_e32 v46, v44
	v_alignbit_b32 v41, v41, v43, 30
	v_alignbit_b32 v40, v43, v40, 30
	s_delay_alu instid0(VALU_DEP_3) | instskip(NEXT) | instid1(VALU_DEP_3)
	v_min_u32_e32 v46, 32, v46
	v_xor_b32_e32 v41, v41, v45
	s_delay_alu instid0(VALU_DEP_3) | instskip(SKIP_1) | instid1(VALU_DEP_4)
	v_dual_lshrrev_b32 v45, 29, v6 :: v_dual_bitop2_b32 v40, v40, v45 bitop3:0x14
	v_lshrrev_b32_e32 v6, 30, v6
	v_dual_sub_nc_u32 v43, 31, v46 :: v_dual_lshlrev_b32 v47, 23, v46
	s_delay_alu instid0(VALU_DEP_2) | instskip(NEXT) | instid1(VALU_DEP_2)
	v_add_nc_u32_e32 v42, v42, v6
	v_alignbit_b32 v44, v44, v41, v43
	v_alignbit_b32 v40, v41, v40, v43
	v_lshlrev_b32_e32 v41, 31, v45
	s_delay_alu instid0(VALU_DEP_2) | instskip(NEXT) | instid1(VALU_DEP_2)
	v_alignbit_b32 v43, v44, v40, 9
	v_dual_lshrrev_b32 v44, 9, v44 :: v_dual_bitop2_b32 v45, 0.5, v41 bitop3:0x54
	v_or_b32_e32 v41, 0x33000000, v41
	s_delay_alu instid0(VALU_DEP_3) | instskip(NEXT) | instid1(VALU_DEP_3)
	v_clz_i32_u32_e32 v48, v43
	v_sub_nc_u32_e32 v45, v45, v47
	s_delay_alu instid0(VALU_DEP_2) | instskip(NEXT) | instid1(VALU_DEP_1)
	v_min_u32_e32 v47, 32, v48
	v_add_lshl_u32 v46, v47, v46, 23
	s_delay_alu instid0(VALU_DEP_3) | instskip(SKIP_1) | instid1(VALU_DEP_2)
	v_or_b32_e32 v44, v44, v45
	v_not_b32_e32 v45, v47
	v_dual_mul_f32 v48, 0x3fc90fda, v44 :: v_dual_sub_nc_u32 v41, v41, v46
	s_delay_alu instid0(VALU_DEP_2) | instskip(NEXT) | instid1(VALU_DEP_2)
	v_alignbit_b32 v40, v43, v40, v45
	v_fma_f32 v43, 0x3fc90fda, v44, -v48
	s_delay_alu instid0(VALU_DEP_2) | instskip(NEXT) | instid1(VALU_DEP_2)
	v_lshrrev_b32_e32 v40, 9, v40
	v_fmac_f32_e32 v43, 0x33a22168, v44
	s_delay_alu instid0(VALU_DEP_2) | instskip(NEXT) | instid1(VALU_DEP_1)
	v_or_b32_e32 v40, v41, v40
	v_fmac_f32_e32 v43, 0x3fc90fda, v40
	s_delay_alu instid0(VALU_DEP_1)
	v_add_f32_e32 v40, v48, v43
.LBB150_14:                             ;   in Loop: Header=BB150_4 Depth=1
	s_and_not1_saveexec_b32 s5, s28
; %bb.15:                               ;   in Loop: Header=BB150_4 Depth=1
	v_mul_f32_e64 v6, 0x3f22f983, |v38|
	s_delay_alu instid0(VALU_DEP_1) | instskip(NEXT) | instid1(VALU_DEP_1)
	v_rndne_f32_e32 v6, v6
	v_fma_f32 v40, 0xbfc90fda, v6, |v38|
	v_cvt_i32_f32_e32 v42, v6
	s_delay_alu instid0(VALU_DEP_2) | instskip(NEXT) | instid1(VALU_DEP_1)
	v_fmac_f32_e32 v40, 0xb3a22168, v6
	v_fmac_f32_e32 v40, 0xa7c234c4, v6
; %bb.16:                               ;   in Loop: Header=BB150_4 Depth=1
	s_or_b32 exec_lo, exec_lo, s5
	v_and_b32_e32 v41, 0x7fffffff, v37
	v_cmp_ngt_f32_e64 s28, 0x48000000, |v37|
                                        ; implicit-def: $vgpr46
	s_delay_alu instid0(VALU_DEP_2) | instskip(SKIP_1) | instid1(VALU_DEP_2)
	v_lshrrev_b32_e32 v43, 23, v41
	v_and_or_b32 v6, v41, s24, 0x800000
	v_add_nc_u32_e32 v44, 0xffffff88, v43
                                        ; implicit-def: $vgpr43
	s_and_saveexec_b32 s5, s28
	s_delay_alu instid0(SALU_CYCLE_1)
	s_xor_b32 s29, exec_lo, s5
	s_cbranch_execz .LBB150_18
; %bb.17:                               ;   in Loop: Header=BB150_4 Depth=1
	v_mul_u64_e32 v[46:47], s[18:19], v[6:7]
	v_mov_b32_e32 v49, v7
	v_cmp_lt_u32_e64 s5, 63, v44
	s_delay_alu instid0(VALU_DEP_1) | instskip(NEXT) | instid1(VALU_DEP_4)
	v_cndmask_b32_e64 v43, 0, 0xffffffc0, s5
	v_mov_b32_e32 v48, v47
	s_delay_alu instid0(VALU_DEP_1) | instskip(NEXT) | instid1(VALU_DEP_1)
	v_mad_nc_u64_u32 v[48:49], 0x3c439041, v6, v[48:49]
	v_dual_mov_b32 v51, v7 :: v_dual_mov_b32 v50, v49
	s_delay_alu instid0(VALU_DEP_1) | instskip(NEXT) | instid1(VALU_DEP_1)
	v_mad_nc_u64_u32 v[50:51], 0xdb629599, v6, v[50:51]
	v_dual_mov_b32 v53, v7 :: v_dual_mov_b32 v52, v51
	s_delay_alu instid0(VALU_DEP_2) | instskip(NEXT) | instid1(VALU_DEP_2)
	v_cndmask_b32_e64 v46, v50, v46, s5
	v_mad_nc_u64_u32 v[52:53], 0xf534ddc0, v6, v[52:53]
	s_delay_alu instid0(VALU_DEP_1) | instskip(NEXT) | instid1(VALU_DEP_1)
	v_dual_mov_b32 v55, v7 :: v_dual_mov_b32 v54, v53
	v_mad_nc_u64_u32 v[54:55], 0xfc2757d1, v6, v[54:55]
	s_delay_alu instid0(VALU_DEP_1) | instskip(NEXT) | instid1(VALU_DEP_2)
	v_dual_mov_b32 v57, v7 :: v_dual_mov_b32 v56, v55
	v_cndmask_b32_e64 v53, v54, v50, s5
	s_delay_alu instid0(VALU_DEP_2) | instskip(NEXT) | instid1(VALU_DEP_1)
	v_mad_nc_u64_u32 v[56:57], 0x4e441529, v6, v[56:57]
	v_dual_mov_b32 v58, v57 :: v_dual_add_nc_u32 v43, v43, v44
	s_delay_alu instid0(VALU_DEP_1) | instskip(NEXT) | instid1(VALU_DEP_1)
	v_cmp_lt_u32_e64 s6, 31, v43
	v_cndmask_b32_e64 v45, 0, 0xffffffe0, s6
	s_delay_alu instid0(VALU_DEP_1) | instskip(NEXT) | instid1(VALU_DEP_1)
	v_dual_mov_b32 v59, v7 :: v_dual_add_nc_u32 v43, v45, v43
	v_mad_nc_u64_u32 v[58:59], 0xa2f9836e, v6, v[58:59]
	v_cndmask_b32_e64 v47, v56, v52, s5
	s_delay_alu instid0(VALU_DEP_3) | instskip(NEXT) | instid1(VALU_DEP_1)
	v_cmp_lt_u32_e64 s7, 31, v43
	v_cndmask_b32_e64 v45, 0, 0xffffffe0, s7
	s_delay_alu instid0(VALU_DEP_4) | instskip(NEXT) | instid1(VALU_DEP_2)
	v_dual_cndmask_b32 v49, v58, v54, s5 :: v_dual_cndmask_b32 v51, v59, v56, s5
	v_dual_add_nc_u32 v43, v45, v43 :: v_dual_cndmask_b32 v45, v52, v48, s5
	s_delay_alu instid0(VALU_DEP_2) | instskip(NEXT) | instid1(VALU_DEP_2)
	v_dual_cndmask_b32 v48, v49, v47, s6 :: v_dual_cndmask_b32 v49, v51, v49, s6
	v_dual_cndmask_b32 v47, v47, v53, s6 :: v_dual_sub_nc_u32 v51, 32, v43
	s_delay_alu instid0(VALU_DEP_3) | instskip(SKIP_1) | instid1(VALU_DEP_3)
	v_cndmask_b32_e64 v52, v53, v45, s6
	v_cmp_eq_u32_e64 s5, 0, v43
	v_dual_cndmask_b32 v49, v49, v48, s7 :: v_dual_cndmask_b32 v48, v48, v47, s7
	s_delay_alu instid0(VALU_DEP_1) | instskip(NEXT) | instid1(VALU_DEP_1)
	v_alignbit_b32 v53, v49, v48, v51
	v_dual_cndmask_b32 v47, v47, v52, s7 :: v_dual_cndmask_b32 v43, v53, v49, s5
	s_delay_alu instid0(VALU_DEP_1) | instskip(NEXT) | instid1(VALU_DEP_1)
	v_alignbit_b32 v50, v48, v47, v51
	v_dual_cndmask_b32 v45, v45, v46, s6 :: v_dual_cndmask_b32 v46, v50, v48, s5
	s_delay_alu instid0(VALU_DEP_3) | instskip(NEXT) | instid1(VALU_DEP_2)
	v_bfe_u32 v48, v43, 29, 1
	v_cndmask_b32_e64 v45, v52, v45, s7
	s_delay_alu instid0(VALU_DEP_3) | instskip(NEXT) | instid1(VALU_DEP_3)
	v_alignbit_b32 v49, v43, v46, 30
	v_sub_nc_u32_e32 v50, 0, v48
	s_delay_alu instid0(VALU_DEP_3) | instskip(NEXT) | instid1(VALU_DEP_1)
	v_alignbit_b32 v51, v47, v45, v51
	v_dual_cndmask_b32 v47, v51, v47, s5 :: v_dual_bitop2_b32 v49, v49, v50 bitop3:0x14
	s_delay_alu instid0(VALU_DEP_1) | instskip(NEXT) | instid1(VALU_DEP_2)
	v_clz_i32_u32_e32 v51, v49
	v_alignbit_b32 v46, v46, v47, 30
	v_alignbit_b32 v45, v47, v45, 30
	s_delay_alu instid0(VALU_DEP_3) | instskip(NEXT) | instid1(VALU_DEP_3)
	v_min_u32_e32 v51, 32, v51
	v_xor_b32_e32 v46, v46, v50
	s_delay_alu instid0(VALU_DEP_3) | instskip(NEXT) | instid1(VALU_DEP_3)
	v_dual_lshrrev_b32 v50, 29, v43 :: v_dual_bitop2_b32 v45, v45, v50 bitop3:0x14
	v_dual_sub_nc_u32 v47, 31, v51 :: v_dual_lshlrev_b32 v52, 23, v51
	s_delay_alu instid0(VALU_DEP_1) | instskip(NEXT) | instid1(VALU_DEP_3)
	v_alignbit_b32 v49, v49, v46, v47
	v_alignbit_b32 v45, v46, v45, v47
	s_delay_alu instid0(VALU_DEP_4) | instskip(NEXT) | instid1(VALU_DEP_2)
	v_lshlrev_b32_e32 v46, 31, v50
	v_alignbit_b32 v47, v49, v45, 9
	s_delay_alu instid0(VALU_DEP_2) | instskip(SKIP_1) | instid1(VALU_DEP_3)
	v_dual_lshrrev_b32 v49, 9, v49 :: v_dual_bitop2_b32 v50, 0.5, v46 bitop3:0x54
	v_or_b32_e32 v46, 0x33000000, v46
	v_clz_i32_u32_e32 v53, v47
	s_delay_alu instid0(VALU_DEP_3) | instskip(NEXT) | instid1(VALU_DEP_2)
	v_sub_nc_u32_e32 v50, v50, v52
	v_min_u32_e32 v52, 32, v53
	s_delay_alu instid0(VALU_DEP_1) | instskip(NEXT) | instid1(VALU_DEP_3)
	v_add_lshl_u32 v51, v52, v51, 23
	v_or_b32_e32 v49, v49, v50
	v_not_b32_e32 v50, v52
	s_delay_alu instid0(VALU_DEP_2) | instskip(NEXT) | instid1(VALU_DEP_2)
	v_dual_mul_f32 v53, 0x3fc90fda, v49 :: v_dual_sub_nc_u32 v46, v46, v51
	v_alignbit_b32 v45, v47, v45, v50
	s_delay_alu instid0(VALU_DEP_2) | instskip(NEXT) | instid1(VALU_DEP_2)
	v_fma_f32 v47, 0x3fc90fda, v49, -v53
	v_lshrrev_b32_e32 v45, 9, v45
	s_delay_alu instid0(VALU_DEP_2) | instskip(NEXT) | instid1(VALU_DEP_2)
	v_fmac_f32_e32 v47, 0x33a22168, v49
	v_or_b32_e32 v45, v46, v45
	s_delay_alu instid0(VALU_DEP_1) | instskip(SKIP_1) | instid1(VALU_DEP_1)
	v_fmac_f32_e32 v47, 0x3fc90fda, v45
	v_lshrrev_b32_e32 v45, 30, v43
	v_dual_add_f32 v43, v53, v47 :: v_dual_add_nc_u32 v46, v48, v45
.LBB150_18:                             ;   in Loop: Header=BB150_4 Depth=1
	s_or_saveexec_b32 s5, s29
	v_mul_f32_e64 v45, 0x3f22f983, |v37|
	s_delay_alu instid0(VALU_DEP_1)
	v_rndne_f32_e32 v45, v45
	s_xor_b32 exec_lo, exec_lo, s5
; %bb.19:                               ;   in Loop: Header=BB150_4 Depth=1
	s_delay_alu instid0(VALU_DEP_1) | instskip(SKIP_1) | instid1(VALU_DEP_2)
	v_fma_f32 v43, 0xbfc90fda, v45, |v37|
	v_cvt_i32_f32_e32 v46, v45
	v_fmac_f32_e32 v43, 0xb3a22168, v45
	s_delay_alu instid0(VALU_DEP_1)
	v_fmac_f32_e32 v43, 0xa7c234c4, v45
; %bb.20:                               ;   in Loop: Header=BB150_4 Depth=1
	s_or_b32 exec_lo, exec_lo, s5
                                        ; implicit-def: $vgpr48
                                        ; implicit-def: $vgpr47
	s_and_saveexec_b32 s5, s28
	s_delay_alu instid0(SALU_CYCLE_1)
	s_xor_b32 s28, exec_lo, s5
	s_cbranch_execz .LBB150_22
; %bb.21:                               ;   in Loop: Header=BB150_4 Depth=1
	v_mul_u64_e32 v[48:49], s[18:19], v[6:7]
	v_mov_b32_e32 v51, v7
	v_cmp_lt_u32_e64 s5, 63, v44
	s_delay_alu instid0(VALU_DEP_1) | instskip(NEXT) | instid1(VALU_DEP_1)
	v_cndmask_b32_e64 v45, 0, 0xffffffc0, s5
	v_dual_add_nc_u32 v47, v45, v44 :: v_dual_mov_b32 v45, v7
	s_delay_alu instid0(VALU_DEP_1) | instskip(SKIP_1) | instid1(VALU_DEP_2)
	v_cmp_lt_u32_e64 s6, 31, v47
	v_mov_b32_e32 v50, v49
	v_cndmask_b32_e64 v49, 0, 0xffffffe0, s6
	s_delay_alu instid0(VALU_DEP_2) | instskip(NEXT) | instid1(VALU_DEP_1)
	v_mad_nc_u64_u32 v[50:51], 0x3c439041, v6, v[50:51]
	v_dual_mov_b32 v53, v7 :: v_dual_mov_b32 v52, v51
	s_delay_alu instid0(VALU_DEP_1) | instskip(NEXT) | instid1(VALU_DEP_1)
	v_mad_nc_u64_u32 v[52:53], 0xdb629599, v6, v[52:53]
	v_dual_mov_b32 v55, v7 :: v_dual_mov_b32 v54, v53
	s_delay_alu instid0(VALU_DEP_1) | instskip(NEXT) | instid1(VALU_DEP_1)
	;; [unrolled: 3-line block ×3, first 2 shown]
	v_mad_nc_u64_u32 v[56:57], 0xfc2757d1, v6, v[56:57]
	v_dual_mov_b32 v59, v7 :: v_dual_mov_b32 v58, v57
	s_delay_alu instid0(VALU_DEP_2) | instskip(NEXT) | instid1(VALU_DEP_2)
	v_cndmask_b32_e64 v51, v56, v52, s5
	v_mad_nc_u64_u32 v[58:59], 0x4e441529, v6, v[58:59]
	s_delay_alu instid0(VALU_DEP_1) | instskip(NEXT) | instid1(VALU_DEP_1)
	v_mov_b32_e32 v44, v59
	v_mad_nc_u64_u32 v[44:45], 0xa2f9836e, v6, v[44:45]
	s_delay_alu instid0(VALU_DEP_3) | instskip(NEXT) | instid1(VALU_DEP_1)
	v_dual_add_nc_u32 v6, v49, v47 :: v_dual_cndmask_b32 v49, v58, v54, s5
	v_cmp_lt_u32_e64 s7, 31, v6
	s_delay_alu instid0(VALU_DEP_1) | instskip(NEXT) | instid1(VALU_DEP_4)
	v_cndmask_b32_e64 v47, 0, 0xffffffe0, s7
	v_dual_cndmask_b32 v44, v44, v56, s5 :: v_dual_cndmask_b32 v45, v45, v58, s5
	s_delay_alu instid0(VALU_DEP_2) | instskip(NEXT) | instid1(VALU_DEP_2)
	v_add_nc_u32_e32 v6, v47, v6
	v_dual_cndmask_b32 v47, v54, v50, s5 :: v_dual_cndmask_b32 v50, v44, v49, s6
	s_delay_alu instid0(VALU_DEP_3) | instskip(NEXT) | instid1(VALU_DEP_3)
	v_cndmask_b32_e64 v44, v45, v44, s6
	v_dual_cndmask_b32 v45, v49, v51, s6 :: v_dual_sub_nc_u32 v49, 32, v6
	s_delay_alu instid0(VALU_DEP_2) | instskip(NEXT) | instid1(VALU_DEP_1)
	v_dual_cndmask_b32 v51, v51, v47, s6 :: v_dual_cndmask_b32 v44, v44, v50, s7
	v_dual_cndmask_b32 v50, v50, v45, s7 :: v_dual_cndmask_b32 v45, v45, v51, s7
	v_cndmask_b32_e64 v48, v52, v48, s5
	v_cmp_eq_u32_e64 s5, 0, v6
	s_delay_alu instid0(VALU_DEP_3) | instskip(NEXT) | instid1(VALU_DEP_4)
	v_alignbit_b32 v53, v44, v50, v49
	v_alignbit_b32 v52, v50, v45, v49
	s_delay_alu instid0(VALU_DEP_2) | instskip(NEXT) | instid1(VALU_DEP_2)
	v_cndmask_b32_e64 v6, v53, v44, s5
	v_dual_cndmask_b32 v44, v47, v48, s6 :: v_dual_cndmask_b32 v47, v52, v50, s5
	s_delay_alu instid0(VALU_DEP_1) | instskip(NEXT) | instid1(VALU_DEP_3)
	v_cndmask_b32_e64 v44, v51, v44, s7
	v_bfe_u32 v48, v6, 29, 1
	s_delay_alu instid0(VALU_DEP_3) | instskip(NEXT) | instid1(VALU_DEP_3)
	v_alignbit_b32 v50, v6, v47, 30
	v_alignbit_b32 v49, v45, v44, v49
	s_delay_alu instid0(VALU_DEP_1) | instskip(NEXT) | instid1(VALU_DEP_1)
	v_dual_sub_nc_u32 v51, 0, v48 :: v_dual_cndmask_b32 v45, v49, v45, s5
	v_xor_b32_e32 v50, v50, v51
	s_delay_alu instid0(VALU_DEP_2) | instskip(NEXT) | instid1(VALU_DEP_2)
	v_alignbit_b32 v47, v47, v45, 30
	v_clz_i32_u32_e32 v49, v50
	v_alignbit_b32 v44, v45, v44, 30
	s_delay_alu instid0(VALU_DEP_2) | instskip(NEXT) | instid1(VALU_DEP_4)
	v_min_u32_e32 v49, 32, v49
	v_xor_b32_e32 v45, v47, v51
	s_delay_alu instid0(VALU_DEP_3) | instskip(NEXT) | instid1(VALU_DEP_3)
	v_dual_lshrrev_b32 v51, 29, v6 :: v_dual_bitop2_b32 v44, v44, v51 bitop3:0x14
	v_dual_lshrrev_b32 v6, 30, v6 :: v_dual_sub_nc_u32 v47, 31, v49
	s_delay_alu instid0(VALU_DEP_1) | instskip(NEXT) | instid1(VALU_DEP_2)
	v_dual_lshlrev_b32 v52, 23, v49 :: v_dual_add_nc_u32 v48, v48, v6
	v_alignbit_b32 v50, v50, v45, v47
	s_delay_alu instid0(VALU_DEP_4) | instskip(SKIP_1) | instid1(VALU_DEP_2)
	v_alignbit_b32 v44, v45, v44, v47
	v_lshlrev_b32_e32 v45, 31, v51
	v_alignbit_b32 v47, v50, v44, 9
	s_delay_alu instid0(VALU_DEP_2) | instskip(SKIP_1) | instid1(VALU_DEP_3)
	v_dual_lshrrev_b32 v50, 9, v50 :: v_dual_bitop2_b32 v51, 0.5, v45 bitop3:0x54
	v_or_b32_e32 v45, 0x33000000, v45
	v_clz_i32_u32_e32 v53, v47
	s_delay_alu instid0(VALU_DEP_3) | instskip(NEXT) | instid1(VALU_DEP_2)
	v_sub_nc_u32_e32 v51, v51, v52
	v_min_u32_e32 v52, 32, v53
	s_delay_alu instid0(VALU_DEP_1) | instskip(NEXT) | instid1(VALU_DEP_1)
	v_add_lshl_u32 v49, v52, v49, 23
	v_dual_sub_nc_u32 v45, v45, v49 :: v_dual_bitop2_b32 v50, v50, v51 bitop3:0x54
	v_not_b32_e32 v51, v52
	s_delay_alu instid0(VALU_DEP_1) | instskip(NEXT) | instid1(VALU_DEP_1)
	v_alignbit_b32 v44, v47, v44, v51
	v_dual_mul_f32 v53, 0x3fc90fda, v50 :: v_dual_lshrrev_b32 v44, 9, v44
	s_delay_alu instid0(VALU_DEP_1) | instskip(NEXT) | instid1(VALU_DEP_2)
	v_or_b32_e32 v44, v45, v44
	v_fma_f32 v47, 0x3fc90fda, v50, -v53
                                        ; implicit-def: $vgpr45
	s_delay_alu instid0(VALU_DEP_1) | instskip(NEXT) | instid1(VALU_DEP_1)
	v_fmac_f32_e32 v47, 0x33a22168, v50
	v_fmac_f32_e32 v47, 0x3fc90fda, v44
	s_delay_alu instid0(VALU_DEP_1)
	v_add_f32_e32 v47, v53, v47
	s_and_not1_saveexec_b32 s5, s28
	s_cbranch_execnz .LBB150_23
	s_branch .LBB150_24
.LBB150_22:                             ;   in Loop: Header=BB150_4 Depth=1
	s_and_not1_saveexec_b32 s5, s28
.LBB150_23:                             ;   in Loop: Header=BB150_4 Depth=1
	v_fma_f32 v47, 0xbfc90fda, v45, |v37|
	v_cvt_i32_f32_e32 v48, v45
	s_delay_alu instid0(VALU_DEP_2) | instskip(NEXT) | instid1(VALU_DEP_1)
	v_fmac_f32_e32 v47, 0xb3a22168, v45
	v_fmac_f32_e32 v47, 0xa7c234c4, v45
.LBB150_24:                             ;   in Loop: Header=BB150_4 Depth=1
	s_or_b32 exec_lo, exec_lo, s5
	v_mul_f32_e32 v44, 0.5, v33
                                        ; implicit-def: $vgpr51
                                        ; implicit-def: $vgpr49
	s_mov_b32 s6, exec_lo
	s_delay_alu instid0(VALU_DEP_1)
	v_and_b32_e32 v45, 0x7fffffff, v44
	v_cmpx_ngt_f32_e64 0x48000000, |v44|
	s_xor_b32 s28, exec_lo, s6
	s_cbranch_execz .LBB150_26
; %bb.25:                               ;   in Loop: Header=BB150_4 Depth=1
	s_delay_alu instid0(VALU_DEP_2) | instskip(SKIP_1) | instid1(VALU_DEP_2)
	v_and_or_b32 v6, v45, s24, 0x800000
	v_dual_lshrrev_b32 v49, 23, v45 :: v_dual_mov_b32 v61, v7
	v_mul_u64_e32 v[50:51], s[18:19], v[6:7]
	v_mov_b32_e32 v53, v7
	s_delay_alu instid0(VALU_DEP_3) | instskip(NEXT) | instid1(VALU_DEP_1)
	v_add_nc_u32_e32 v49, 0xffffff88, v49
	v_cmp_lt_u32_e64 s5, 63, v49
	s_delay_alu instid0(VALU_DEP_4) | instskip(NEXT) | instid1(VALU_DEP_2)
	v_mov_b32_e32 v52, v51
	v_cndmask_b32_e64 v51, 0, 0xffffffc0, s5
	s_delay_alu instid0(VALU_DEP_2) | instskip(NEXT) | instid1(VALU_DEP_1)
	v_mad_nc_u64_u32 v[52:53], 0x3c439041, v6, v[52:53]
	v_dual_mov_b32 v55, v7 :: v_dual_mov_b32 v54, v53
	s_delay_alu instid0(VALU_DEP_1) | instskip(NEXT) | instid1(VALU_DEP_1)
	v_mad_nc_u64_u32 v[54:55], 0xdb629599, v6, v[54:55]
	v_dual_mov_b32 v57, v7 :: v_dual_mov_b32 v56, v55
	s_delay_alu instid0(VALU_DEP_2) | instskip(NEXT) | instid1(VALU_DEP_2)
	v_cndmask_b32_e64 v50, v54, v50, s5
	v_mad_nc_u64_u32 v[56:57], 0xf534ddc0, v6, v[56:57]
	s_delay_alu instid0(VALU_DEP_1) | instskip(NEXT) | instid1(VALU_DEP_1)
	v_dual_mov_b32 v59, v7 :: v_dual_mov_b32 v58, v57
	v_mad_nc_u64_u32 v[58:59], 0xfc2757d1, v6, v[58:59]
	s_delay_alu instid0(VALU_DEP_1) | instskip(NEXT) | instid1(VALU_DEP_1)
	v_dual_mov_b32 v60, v59 :: v_dual_cndmask_b32 v57, v58, v54, s5
	v_mad_nc_u64_u32 v[60:61], 0x4e441529, v6, v[60:61]
	v_add_nc_u32_e32 v49, v51, v49
	s_delay_alu instid0(VALU_DEP_2) | instskip(NEXT) | instid1(VALU_DEP_2)
	v_dual_mov_b32 v63, v7 :: v_dual_mov_b32 v62, v61
	v_cmp_lt_u32_e64 s6, 31, v49
	s_delay_alu instid0(VALU_DEP_2) | instskip(NEXT) | instid1(VALU_DEP_2)
	v_mad_nc_u64_u32 v[62:63], 0xa2f9836e, v6, v[62:63]
	v_cndmask_b32_e64 v51, 0, 0xffffffe0, s6
	s_delay_alu instid0(VALU_DEP_1) | instskip(NEXT) | instid1(VALU_DEP_3)
	v_dual_add_nc_u32 v6, v51, v49 :: v_dual_cndmask_b32 v51, v60, v56, s5
	v_cndmask_b32_e64 v53, v62, v58, s5
	s_delay_alu instid0(VALU_DEP_2) | instskip(SKIP_1) | instid1(VALU_DEP_2)
	v_cmp_lt_u32_e64 s7, 31, v6
	v_cndmask_b32_e64 v55, v63, v60, s5
	v_cndmask_b32_e64 v49, 0, 0xffffffe0, s7
	s_delay_alu instid0(VALU_DEP_1) | instskip(NEXT) | instid1(VALU_DEP_3)
	v_dual_add_nc_u32 v6, v49, v6 :: v_dual_cndmask_b32 v49, v56, v52, s5
	v_dual_cndmask_b32 v52, v53, v51, s6 :: v_dual_cndmask_b32 v53, v55, v53, s6
	s_delay_alu instid0(VALU_DEP_2) | instskip(NEXT) | instid1(VALU_DEP_3)
	v_dual_cndmask_b32 v51, v51, v57, s6 :: v_dual_sub_nc_u32 v55, 32, v6
	v_cndmask_b32_e64 v56, v57, v49, s6
	v_cmp_eq_u32_e64 s5, 0, v6
	s_delay_alu instid0(VALU_DEP_3) | instskip(NEXT) | instid1(VALU_DEP_1)
	v_dual_cndmask_b32 v53, v53, v52, s7 :: v_dual_cndmask_b32 v52, v52, v51, s7
	v_alignbit_b32 v57, v53, v52, v55
	s_delay_alu instid0(VALU_DEP_1) | instskip(NEXT) | instid1(VALU_DEP_1)
	v_dual_cndmask_b32 v51, v51, v56, s7 :: v_dual_cndmask_b32 v6, v57, v53, s5
	v_alignbit_b32 v54, v52, v51, v55
	s_delay_alu instid0(VALU_DEP_1) | instskip(NEXT) | instid1(VALU_DEP_3)
	v_dual_cndmask_b32 v49, v49, v50, s6 :: v_dual_cndmask_b32 v50, v54, v52, s5
	v_bfe_u32 v52, v6, 29, 1
	s_delay_alu instid0(VALU_DEP_2) | instskip(NEXT) | instid1(VALU_DEP_3)
	v_cndmask_b32_e64 v49, v56, v49, s7
	v_alignbit_b32 v53, v6, v50, 30
	s_delay_alu instid0(VALU_DEP_3) | instskip(NEXT) | instid1(VALU_DEP_3)
	v_sub_nc_u32_e32 v54, 0, v52
	v_alignbit_b32 v55, v51, v49, v55
	s_delay_alu instid0(VALU_DEP_1) | instskip(NEXT) | instid1(VALU_DEP_1)
	v_dual_cndmask_b32 v51, v55, v51, s5 :: v_dual_bitop2_b32 v53, v53, v54 bitop3:0x14
	v_clz_i32_u32_e32 v55, v53
	s_delay_alu instid0(VALU_DEP_2) | instskip(SKIP_1) | instid1(VALU_DEP_3)
	v_alignbit_b32 v50, v50, v51, 30
	v_alignbit_b32 v49, v51, v49, 30
	v_min_u32_e32 v55, 32, v55
	s_delay_alu instid0(VALU_DEP_3) | instskip(NEXT) | instid1(VALU_DEP_3)
	v_xor_b32_e32 v50, v50, v54
	v_xor_b32_e32 v49, v49, v54
	v_dual_lshrrev_b32 v54, 29, v6 :: v_dual_lshrrev_b32 v6, 30, v6
	s_delay_alu instid0(VALU_DEP_4) | instskip(NEXT) | instid1(VALU_DEP_1)
	v_dual_sub_nc_u32 v51, 31, v55 :: v_dual_lshlrev_b32 v56, 23, v55
	v_alignbit_b32 v53, v53, v50, v51
	s_delay_alu instid0(VALU_DEP_4) | instskip(NEXT) | instid1(VALU_DEP_4)
	v_alignbit_b32 v49, v50, v49, v51
	v_lshlrev_b32_e32 v50, 31, v54
	s_delay_alu instid0(VALU_DEP_2) | instskip(NEXT) | instid1(VALU_DEP_2)
	v_alignbit_b32 v51, v53, v49, 9
	v_dual_lshrrev_b32 v53, 9, v53 :: v_dual_bitop2_b32 v54, 0.5, v50 bitop3:0x54
	v_or_b32_e32 v50, 0x33000000, v50
	s_delay_alu instid0(VALU_DEP_3) | instskip(NEXT) | instid1(VALU_DEP_3)
	v_clz_i32_u32_e32 v57, v51
	v_sub_nc_u32_e32 v54, v54, v56
	s_delay_alu instid0(VALU_DEP_2) | instskip(NEXT) | instid1(VALU_DEP_1)
	v_min_u32_e32 v56, 32, v57
	v_add_lshl_u32 v55, v56, v55, 23
	s_delay_alu instid0(VALU_DEP_3) | instskip(SKIP_1) | instid1(VALU_DEP_2)
	v_or_b32_e32 v53, v53, v54
	v_not_b32_e32 v54, v56
	v_dual_mul_f32 v57, 0x3fc90fda, v53 :: v_dual_sub_nc_u32 v50, v50, v55
	s_delay_alu instid0(VALU_DEP_2) | instskip(NEXT) | instid1(VALU_DEP_2)
	v_alignbit_b32 v49, v51, v49, v54
	v_fma_f32 v51, 0x3fc90fda, v53, -v57
	s_delay_alu instid0(VALU_DEP_2) | instskip(NEXT) | instid1(VALU_DEP_2)
	v_lshrrev_b32_e32 v49, 9, v49
	v_fmac_f32_e32 v51, 0x33a22168, v53
	s_delay_alu instid0(VALU_DEP_2) | instskip(NEXT) | instid1(VALU_DEP_1)
	v_or_b32_e32 v49, v50, v49
	v_fmac_f32_e32 v51, 0x3fc90fda, v49
	s_delay_alu instid0(VALU_DEP_1)
	v_dual_add_f32 v49, v57, v51 :: v_dual_add_nc_u32 v51, v52, v6
.LBB150_26:                             ;   in Loop: Header=BB150_4 Depth=1
	s_and_not1_saveexec_b32 s5, s28
; %bb.27:                               ;   in Loop: Header=BB150_4 Depth=1
	v_mul_f32_e64 v6, 0x3f22f983, |v44|
	s_delay_alu instid0(VALU_DEP_1) | instskip(NEXT) | instid1(VALU_DEP_1)
	v_rndne_f32_e32 v6, v6
	v_fma_f32 v49, 0xbfc90fda, v6, |v44|
	v_cvt_i32_f32_e32 v51, v6
	s_delay_alu instid0(VALU_DEP_2) | instskip(NEXT) | instid1(VALU_DEP_1)
	v_fmac_f32_e32 v49, 0xb3a22168, v6
	v_fmac_f32_e32 v49, 0xa7c234c4, v6
; %bb.28:                               ;   in Loop: Header=BB150_4 Depth=1
	s_or_b32 exec_lo, exec_lo, s5
	v_and_b32_e32 v50, 0x7fffffff, v33
	v_cmp_ngt_f32_e64 s28, 0x48000000, |v33|
                                        ; implicit-def: $vgpr54
	s_delay_alu instid0(VALU_DEP_2) | instskip(SKIP_1) | instid1(VALU_DEP_2)
	v_lshrrev_b32_e32 v52, 23, v50
	v_and_or_b32 v6, v50, s24, 0x800000
	v_add_nc_u32_e32 v53, 0xffffff88, v52
                                        ; implicit-def: $vgpr52
	s_and_saveexec_b32 s5, s28
	s_delay_alu instid0(SALU_CYCLE_1)
	s_xor_b32 s29, exec_lo, s5
	s_cbranch_execz .LBB150_30
; %bb.29:                               ;   in Loop: Header=BB150_4 Depth=1
	v_mul_u64_e32 v[54:55], s[18:19], v[6:7]
	v_mov_b32_e32 v57, v7
	v_cmp_lt_u32_e64 s5, 63, v53
	v_mov_b32_e32 v67, v7
	s_delay_alu instid0(VALU_DEP_2) | instskip(NEXT) | instid1(VALU_DEP_1)
	v_cndmask_b32_e64 v52, 0, 0xffffffc0, s5
	v_add_nc_u32_e32 v52, v52, v53
	s_delay_alu instid0(VALU_DEP_1) | instskip(SKIP_1) | instid1(VALU_DEP_2)
	v_cmp_lt_u32_e64 s6, 31, v52
	v_mov_b32_e32 v56, v55
	v_cndmask_b32_e64 v55, 0, 0xffffffe0, s6
	s_delay_alu instid0(VALU_DEP_2) | instskip(SKIP_1) | instid1(VALU_DEP_3)
	v_mad_nc_u64_u32 v[56:57], 0x3c439041, v6, v[56:57]
	v_mov_b32_e32 v59, v7
	v_add_nc_u32_e32 v52, v55, v52
	s_delay_alu instid0(VALU_DEP_1) | instskip(NEXT) | instid1(VALU_DEP_4)
	v_cmp_lt_u32_e64 s7, 31, v52
	v_mov_b32_e32 v58, v57
	s_delay_alu instid0(VALU_DEP_2) | instskip(NEXT) | instid1(VALU_DEP_2)
	v_cndmask_b32_e64 v55, 0, 0xffffffe0, s7
	v_mad_nc_u64_u32 v[58:59], 0xdb629599, v6, v[58:59]
	s_delay_alu instid0(VALU_DEP_1) | instskip(NEXT) | instid1(VALU_DEP_2)
	v_dual_mov_b32 v61, v7 :: v_dual_mov_b32 v60, v59
	v_cndmask_b32_e64 v54, v58, v54, s5
	s_delay_alu instid0(VALU_DEP_2) | instskip(NEXT) | instid1(VALU_DEP_1)
	v_mad_nc_u64_u32 v[60:61], 0xf534ddc0, v6, v[60:61]
	v_dual_mov_b32 v63, v7 :: v_dual_mov_b32 v62, v61
	s_delay_alu instid0(VALU_DEP_1) | instskip(NEXT) | instid1(VALU_DEP_1)
	v_mad_nc_u64_u32 v[62:63], 0xfc2757d1, v6, v[62:63]
	v_dual_mov_b32 v65, v7 :: v_dual_mov_b32 v64, v63
	s_delay_alu instid0(VALU_DEP_1) | instskip(NEXT) | instid1(VALU_DEP_1)
	v_mad_nc_u64_u32 v[64:65], 0x4e441529, v6, v[64:65]
	v_mov_b32_e32 v66, v65
	s_delay_alu instid0(VALU_DEP_1) | instskip(NEXT) | instid1(VALU_DEP_1)
	v_mad_nc_u64_u32 v[66:67], 0xa2f9836e, v6, v[66:67]
	v_dual_cndmask_b32 v57, v64, v60, s5 :: v_dual_cndmask_b32 v59, v66, v62, s5
	s_delay_alu instid0(VALU_DEP_2) | instskip(SKIP_1) | instid1(VALU_DEP_3)
	v_dual_cndmask_b32 v61, v67, v64, s5 :: v_dual_cndmask_b32 v62, v62, v58, s5
	v_add_nc_u32_e32 v52, v55, v52
	v_dual_cndmask_b32 v55, v60, v56, s5 :: v_dual_cndmask_b32 v56, v59, v57, s6
	s_delay_alu instid0(VALU_DEP_3) | instskip(NEXT) | instid1(VALU_DEP_3)
	v_cndmask_b32_e64 v59, v61, v59, s6
	v_dual_cndmask_b32 v57, v57, v62, s6 :: v_dual_sub_nc_u32 v60, 32, v52
	s_delay_alu instid0(VALU_DEP_3) | instskip(SKIP_1) | instid1(VALU_DEP_3)
	v_cndmask_b32_e64 v61, v62, v55, s6
	v_cmp_eq_u32_e64 s5, 0, v52
	v_dual_cndmask_b32 v59, v59, v56, s7 :: v_dual_cndmask_b32 v56, v56, v57, s7
	s_delay_alu instid0(VALU_DEP_1) | instskip(NEXT) | instid1(VALU_DEP_1)
	v_alignbit_b32 v62, v59, v56, v60
	v_dual_cndmask_b32 v57, v57, v61, s7 :: v_dual_cndmask_b32 v52, v62, v59, s5
	s_delay_alu instid0(VALU_DEP_1) | instskip(NEXT) | instid1(VALU_DEP_1)
	v_alignbit_b32 v58, v56, v57, v60
	v_dual_cndmask_b32 v54, v55, v54, s6 :: v_dual_cndmask_b32 v55, v58, v56, s5
	s_delay_alu instid0(VALU_DEP_3) | instskip(NEXT) | instid1(VALU_DEP_2)
	v_bfe_u32 v56, v52, 29, 1
	v_cndmask_b32_e64 v54, v61, v54, s7
	s_delay_alu instid0(VALU_DEP_3) | instskip(NEXT) | instid1(VALU_DEP_3)
	v_alignbit_b32 v58, v52, v55, 30
	v_sub_nc_u32_e32 v59, 0, v56
	s_delay_alu instid0(VALU_DEP_3) | instskip(NEXT) | instid1(VALU_DEP_1)
	v_alignbit_b32 v60, v57, v54, v60
	v_dual_cndmask_b32 v57, v60, v57, s5 :: v_dual_bitop2_b32 v58, v58, v59 bitop3:0x14
	s_delay_alu instid0(VALU_DEP_1) | instskip(NEXT) | instid1(VALU_DEP_2)
	v_clz_i32_u32_e32 v60, v58
	v_alignbit_b32 v55, v55, v57, 30
	v_alignbit_b32 v54, v57, v54, 30
	s_delay_alu instid0(VALU_DEP_3) | instskip(NEXT) | instid1(VALU_DEP_3)
	v_min_u32_e32 v60, 32, v60
	v_xor_b32_e32 v55, v55, v59
	s_delay_alu instid0(VALU_DEP_3) | instskip(NEXT) | instid1(VALU_DEP_3)
	v_dual_lshrrev_b32 v59, 29, v52 :: v_dual_bitop2_b32 v54, v54, v59 bitop3:0x14
	v_dual_sub_nc_u32 v57, 31, v60 :: v_dual_lshlrev_b32 v61, 23, v60
	s_delay_alu instid0(VALU_DEP_1) | instskip(NEXT) | instid1(VALU_DEP_3)
	v_alignbit_b32 v58, v58, v55, v57
	v_alignbit_b32 v54, v55, v54, v57
	s_delay_alu instid0(VALU_DEP_4) | instskip(NEXT) | instid1(VALU_DEP_2)
	v_lshlrev_b32_e32 v55, 31, v59
	v_alignbit_b32 v57, v58, v54, 9
	s_delay_alu instid0(VALU_DEP_2) | instskip(SKIP_1) | instid1(VALU_DEP_3)
	v_dual_lshrrev_b32 v58, 9, v58 :: v_dual_bitop2_b32 v59, 0.5, v55 bitop3:0x54
	v_or_b32_e32 v55, 0x33000000, v55
	v_clz_i32_u32_e32 v62, v57
	s_delay_alu instid0(VALU_DEP_3) | instskip(NEXT) | instid1(VALU_DEP_2)
	v_sub_nc_u32_e32 v59, v59, v61
	v_min_u32_e32 v61, 32, v62
	s_delay_alu instid0(VALU_DEP_1) | instskip(NEXT) | instid1(VALU_DEP_3)
	v_add_lshl_u32 v60, v61, v60, 23
	v_or_b32_e32 v58, v58, v59
	v_not_b32_e32 v59, v61
	s_delay_alu instid0(VALU_DEP_2) | instskip(NEXT) | instid1(VALU_DEP_2)
	v_dual_mul_f32 v62, 0x3fc90fda, v58 :: v_dual_sub_nc_u32 v55, v55, v60
	v_alignbit_b32 v54, v57, v54, v59
	s_delay_alu instid0(VALU_DEP_2) | instskip(NEXT) | instid1(VALU_DEP_2)
	v_fma_f32 v57, 0x3fc90fda, v58, -v62
	v_lshrrev_b32_e32 v54, 9, v54
	s_delay_alu instid0(VALU_DEP_2) | instskip(NEXT) | instid1(VALU_DEP_2)
	v_fmac_f32_e32 v57, 0x33a22168, v58
	v_or_b32_e32 v54, v55, v54
	s_delay_alu instid0(VALU_DEP_1) | instskip(NEXT) | instid1(VALU_DEP_1)
	v_dual_fmac_f32 v57, 0x3fc90fda, v54 :: v_dual_lshrrev_b32 v54, 30, v52
	v_dual_add_nc_u32 v54, v56, v54 :: v_dual_add_f32 v52, v62, v57
.LBB150_30:                             ;   in Loop: Header=BB150_4 Depth=1
	s_or_saveexec_b32 s5, s29
	v_mul_f32_e64 v55, 0x3f22f983, |v33|
	s_delay_alu instid0(VALU_DEP_1)
	v_rndne_f32_e32 v55, v55
	s_xor_b32 exec_lo, exec_lo, s5
; %bb.31:                               ;   in Loop: Header=BB150_4 Depth=1
	s_delay_alu instid0(VALU_DEP_1) | instskip(SKIP_1) | instid1(VALU_DEP_2)
	v_fma_f32 v52, 0xbfc90fda, v55, |v33|
	v_cvt_i32_f32_e32 v54, v55
	v_fmac_f32_e32 v52, 0xb3a22168, v55
	s_delay_alu instid0(VALU_DEP_1)
	v_fmac_f32_e32 v52, 0xa7c234c4, v55
; %bb.32:                               ;   in Loop: Header=BB150_4 Depth=1
	s_or_b32 exec_lo, exec_lo, s5
                                        ; implicit-def: $vgpr57
                                        ; implicit-def: $vgpr56
	s_and_saveexec_b32 s5, s28
	s_delay_alu instid0(SALU_CYCLE_1)
	s_xor_b32 s28, exec_lo, s5
	s_cbranch_execz .LBB150_34
; %bb.33:                               ;   in Loop: Header=BB150_4 Depth=1
	v_mul_u64_e32 v[56:57], s[18:19], v[6:7]
	v_mov_b32_e32 v59, v7
	v_cmp_lt_u32_e64 s5, 63, v53
	s_delay_alu instid0(VALU_DEP_1) | instskip(NEXT) | instid1(VALU_DEP_4)
	v_cndmask_b32_e64 v55, 0, 0xffffffc0, s5
	v_mov_b32_e32 v58, v57
	s_delay_alu instid0(VALU_DEP_1) | instskip(NEXT) | instid1(VALU_DEP_1)
	v_mad_nc_u64_u32 v[58:59], 0x3c439041, v6, v[58:59]
	v_dual_mov_b32 v61, v7 :: v_dual_mov_b32 v60, v59
	s_delay_alu instid0(VALU_DEP_1) | instskip(NEXT) | instid1(VALU_DEP_1)
	v_mad_nc_u64_u32 v[60:61], 0xdb629599, v6, v[60:61]
	v_dual_mov_b32 v63, v7 :: v_dual_mov_b32 v62, v61
	s_delay_alu instid0(VALU_DEP_1) | instskip(NEXT) | instid1(VALU_DEP_1)
	v_mad_nc_u64_u32 v[62:63], 0xf534ddc0, v6, v[62:63]
	v_dual_mov_b32 v65, v7 :: v_dual_mov_b32 v64, v63
	s_delay_alu instid0(VALU_DEP_1) | instskip(NEXT) | instid1(VALU_DEP_1)
	v_mad_nc_u64_u32 v[64:65], 0xfc2757d1, v6, v[64:65]
	v_dual_mov_b32 v67, v7 :: v_dual_mov_b32 v66, v65
	s_delay_alu instid0(VALU_DEP_2) | instskip(NEXT) | instid1(VALU_DEP_2)
	v_cndmask_b32_e64 v61, v64, v60, s5
	v_mad_nc_u64_u32 v[66:67], 0x4e441529, v6, v[66:67]
	v_add_nc_u32_e32 v53, v55, v53
	v_mov_b32_e32 v69, v7
	s_delay_alu instid0(VALU_DEP_2) | instskip(NEXT) | instid1(VALU_DEP_4)
	v_cmp_lt_u32_e64 s6, 31, v53
	v_mov_b32_e32 v68, v67
	s_delay_alu instid0(VALU_DEP_2) | instskip(NEXT) | instid1(VALU_DEP_2)
	v_cndmask_b32_e64 v55, 0, 0xffffffe0, s6
	v_mad_nc_u64_u32 v[68:69], 0xa2f9836e, v6, v[68:69]
	s_delay_alu instid0(VALU_DEP_2) | instskip(NEXT) | instid1(VALU_DEP_2)
	v_dual_add_nc_u32 v6, v55, v53 :: v_dual_cndmask_b32 v55, v66, v62, s5
	v_cndmask_b32_e64 v57, v68, v64, s5
	s_delay_alu instid0(VALU_DEP_2) | instskip(NEXT) | instid1(VALU_DEP_4)
	v_cmp_lt_u32_e64 s7, 31, v6
	v_cndmask_b32_e64 v59, v69, v66, s5
	s_delay_alu instid0(VALU_DEP_2) | instskip(NEXT) | instid1(VALU_DEP_1)
	v_cndmask_b32_e64 v53, 0, 0xffffffe0, s7
	v_add_nc_u32_e32 v6, v53, v6
	v_dual_cndmask_b32 v53, v62, v58, s5 :: v_dual_cndmask_b32 v58, v57, v55, s6
	s_delay_alu instid0(VALU_DEP_4) | instskip(NEXT) | instid1(VALU_DEP_3)
	v_cndmask_b32_e64 v57, v59, v57, s6
	v_dual_cndmask_b32 v55, v55, v61, s6 :: v_dual_sub_nc_u32 v59, 32, v6
	s_delay_alu instid0(VALU_DEP_3) | instskip(NEXT) | instid1(VALU_DEP_2)
	v_cndmask_b32_e64 v61, v61, v53, s6
	v_dual_cndmask_b32 v57, v57, v58, s7 :: v_dual_cndmask_b32 v58, v58, v55, s7
	s_delay_alu instid0(VALU_DEP_2) | instskip(NEXT) | instid1(VALU_DEP_2)
	v_cndmask_b32_e64 v55, v55, v61, s7
	v_alignbit_b32 v62, v57, v58, v59
	v_cndmask_b32_e64 v56, v60, v56, s5
	v_cmp_eq_u32_e64 s5, 0, v6
	s_delay_alu instid0(VALU_DEP_4) | instskip(NEXT) | instid1(VALU_DEP_2)
	v_alignbit_b32 v60, v58, v55, v59
	v_dual_cndmask_b32 v6, v62, v57, s5 :: v_dual_cndmask_b32 v53, v53, v56, s6
	s_delay_alu instid0(VALU_DEP_2) | instskip(NEXT) | instid1(VALU_DEP_2)
	v_cndmask_b32_e64 v56, v60, v58, s5
	v_bfe_u32 v57, v6, 29, 1
	s_delay_alu instid0(VALU_DEP_2) | instskip(NEXT) | instid1(VALU_DEP_2)
	v_alignbit_b32 v58, v6, v56, 30
	v_sub_nc_u32_e32 v60, 0, v57
	s_delay_alu instid0(VALU_DEP_1) | instskip(NEXT) | instid1(VALU_DEP_1)
	v_dual_cndmask_b32 v53, v61, v53, s7 :: v_dual_bitop2_b32 v58, v58, v60 bitop3:0x14
	v_alignbit_b32 v59, v55, v53, v59
	s_delay_alu instid0(VALU_DEP_1) | instskip(NEXT) | instid1(VALU_DEP_3)
	v_cndmask_b32_e64 v55, v59, v55, s5
	v_clz_i32_u32_e32 v59, v58
	s_delay_alu instid0(VALU_DEP_2) | instskip(NEXT) | instid1(VALU_DEP_2)
	v_alignbit_b32 v56, v56, v55, 30
	v_min_u32_e32 v59, 32, v59
	v_alignbit_b32 v53, v55, v53, 30
	s_delay_alu instid0(VALU_DEP_2) | instskip(NEXT) | instid1(VALU_DEP_2)
	v_dual_sub_nc_u32 v56, 31, v59 :: v_dual_bitop2_b32 v55, v56, v60 bitop3:0x14
	v_dual_lshrrev_b32 v60, 29, v6 :: v_dual_bitop2_b32 v53, v53, v60 bitop3:0x14
	v_dual_lshlrev_b32 v61, 23, v59 :: v_dual_lshrrev_b32 v6, 30, v6
	s_delay_alu instid0(VALU_DEP_3) | instskip(NEXT) | instid1(VALU_DEP_3)
	v_alignbit_b32 v58, v58, v55, v56
	v_alignbit_b32 v53, v55, v53, v56
	s_delay_alu instid0(VALU_DEP_3) | instskip(NEXT) | instid1(VALU_DEP_2)
	v_dual_lshlrev_b32 v55, 31, v60 :: v_dual_add_nc_u32 v57, v57, v6
	v_alignbit_b32 v56, v58, v53, 9
	s_delay_alu instid0(VALU_DEP_2) | instskip(SKIP_1) | instid1(VALU_DEP_3)
	v_dual_lshrrev_b32 v58, 9, v58 :: v_dual_bitop2_b32 v60, 0.5, v55 bitop3:0x54
	v_or_b32_e32 v55, 0x33000000, v55
	v_clz_i32_u32_e32 v62, v56
	s_delay_alu instid0(VALU_DEP_3) | instskip(NEXT) | instid1(VALU_DEP_2)
	v_sub_nc_u32_e32 v60, v60, v61
	v_min_u32_e32 v61, 32, v62
	s_delay_alu instid0(VALU_DEP_1) | instskip(NEXT) | instid1(VALU_DEP_1)
	v_add_lshl_u32 v59, v61, v59, 23
	v_dual_sub_nc_u32 v55, v55, v59 :: v_dual_bitop2_b32 v58, v58, v60 bitop3:0x54
	v_not_b32_e32 v60, v61
	s_delay_alu instid0(VALU_DEP_1) | instskip(NEXT) | instid1(VALU_DEP_1)
	v_alignbit_b32 v53, v56, v53, v60
	v_dual_mul_f32 v62, 0x3fc90fda, v58 :: v_dual_lshrrev_b32 v53, 9, v53
	s_delay_alu instid0(VALU_DEP_1) | instskip(NEXT) | instid1(VALU_DEP_2)
	v_or_b32_e32 v53, v55, v53
	v_fma_f32 v56, 0x3fc90fda, v58, -v62
                                        ; implicit-def: $vgpr55
	s_delay_alu instid0(VALU_DEP_1) | instskip(NEXT) | instid1(VALU_DEP_1)
	v_fmac_f32_e32 v56, 0x33a22168, v58
	v_fmac_f32_e32 v56, 0x3fc90fda, v53
	s_delay_alu instid0(VALU_DEP_1)
	v_add_f32_e32 v56, v62, v56
	s_and_not1_saveexec_b32 s5, s28
	s_cbranch_execnz .LBB150_35
	s_branch .LBB150_36
.LBB150_34:                             ;   in Loop: Header=BB150_4 Depth=1
	s_and_not1_saveexec_b32 s5, s28
.LBB150_35:                             ;   in Loop: Header=BB150_4 Depth=1
	v_fma_f32 v56, 0xbfc90fda, v55, |v33|
	v_cvt_i32_f32_e32 v57, v55
	s_delay_alu instid0(VALU_DEP_2) | instskip(NEXT) | instid1(VALU_DEP_1)
	v_fmac_f32_e32 v56, 0xb3a22168, v55
	v_fmac_f32_e32 v56, 0xa7c234c4, v55
.LBB150_36:                             ;   in Loop: Header=BB150_4 Depth=1
	s_or_b32 exec_lo, exec_lo, s5
	v_mul_f32_e32 v53, 0.5, v27
                                        ; implicit-def: $vgpr60
                                        ; implicit-def: $vgpr58
	s_mov_b32 s6, exec_lo
	s_delay_alu instid0(VALU_DEP_1)
	v_and_b32_e32 v55, 0x7fffffff, v53
	v_cmpx_ngt_f32_e64 0x48000000, |v53|
	s_xor_b32 s28, exec_lo, s6
	s_cbranch_execz .LBB150_38
; %bb.37:                               ;   in Loop: Header=BB150_4 Depth=1
	s_delay_alu instid0(VALU_DEP_2) | instskip(SKIP_1) | instid1(VALU_DEP_2)
	v_and_or_b32 v6, v55, s24, 0x800000
	v_dual_mov_b32 v69, v7 :: v_dual_mov_b32 v71, v7
	v_mul_u64_e32 v[58:59], s[18:19], v[6:7]
	s_delay_alu instid0(VALU_DEP_1) | instskip(SKIP_1) | instid1(VALU_DEP_2)
	v_dual_mov_b32 v61, v7 :: v_dual_mov_b32 v60, v59
	v_lshrrev_b32_e32 v59, 23, v55
	v_mad_nc_u64_u32 v[60:61], 0x3c439041, v6, v[60:61]
	v_mov_b32_e32 v63, v7
	s_delay_alu instid0(VALU_DEP_3) | instskip(NEXT) | instid1(VALU_DEP_1)
	v_add_nc_u32_e32 v59, 0xffffff88, v59
	v_cmp_lt_u32_e64 s5, 63, v59
	s_delay_alu instid0(VALU_DEP_4) | instskip(NEXT) | instid1(VALU_DEP_2)
	v_mov_b32_e32 v62, v61
	v_cndmask_b32_e64 v61, 0, 0xffffffc0, s5
	s_delay_alu instid0(VALU_DEP_2) | instskip(NEXT) | instid1(VALU_DEP_2)
	v_mad_nc_u64_u32 v[62:63], 0xdb629599, v6, v[62:63]
	v_dual_mov_b32 v65, v7 :: v_dual_add_nc_u32 v59, v61, v59
	s_delay_alu instid0(VALU_DEP_1) | instskip(NEXT) | instid1(VALU_DEP_3)
	v_cmp_lt_u32_e64 s6, 31, v59
	v_mov_b32_e32 v64, v63
	s_delay_alu instid0(VALU_DEP_2) | instskip(SKIP_1) | instid1(VALU_DEP_3)
	v_cndmask_b32_e64 v61, 0, 0xffffffe0, s6
	v_cndmask_b32_e64 v58, v62, v58, s5
	v_mad_nc_u64_u32 v[64:65], 0xf534ddc0, v6, v[64:65]
	s_delay_alu instid0(VALU_DEP_1) | instskip(NEXT) | instid1(VALU_DEP_1)
	v_dual_mov_b32 v67, v7 :: v_dual_mov_b32 v66, v65
	v_mad_nc_u64_u32 v[66:67], 0xfc2757d1, v6, v[66:67]
	s_delay_alu instid0(VALU_DEP_1) | instskip(NEXT) | instid1(VALU_DEP_1)
	v_mov_b32_e32 v68, v67
	v_mad_nc_u64_u32 v[68:69], 0x4e441529, v6, v[68:69]
	s_delay_alu instid0(VALU_DEP_1) | instskip(NEXT) | instid1(VALU_DEP_1)
	v_mov_b32_e32 v70, v69
	v_mad_nc_u64_u32 v[70:71], 0xa2f9836e, v6, v[70:71]
	s_delay_alu instid0(VALU_DEP_3) | instskip(NEXT) | instid1(VALU_DEP_2)
	v_dual_add_nc_u32 v6, v61, v59 :: v_dual_cndmask_b32 v61, v68, v64, s5
	v_cndmask_b32_e64 v63, v70, v66, s5
	s_delay_alu instid0(VALU_DEP_2) | instskip(NEXT) | instid1(VALU_DEP_4)
	v_cmp_lt_u32_e64 s7, 31, v6
	v_dual_cndmask_b32 v65, v71, v68, s5 :: v_dual_cndmask_b32 v66, v66, v62, s5
	s_delay_alu instid0(VALU_DEP_2) | instskip(NEXT) | instid1(VALU_DEP_1)
	v_cndmask_b32_e64 v59, 0, 0xffffffe0, s7
	v_dual_add_nc_u32 v6, v59, v6 :: v_dual_cndmask_b32 v59, v64, v60, s5
	s_delay_alu instid0(VALU_DEP_3) | instskip(NEXT) | instid1(VALU_DEP_4)
	v_dual_cndmask_b32 v60, v63, v61, s6 :: v_dual_cndmask_b32 v63, v65, v63, s6
	v_cndmask_b32_e64 v61, v61, v66, s6
	s_delay_alu instid0(VALU_DEP_3) | instskip(SKIP_1) | instid1(VALU_DEP_3)
	v_dual_sub_nc_u32 v64, 32, v6 :: v_dual_cndmask_b32 v65, v66, v59, s6
	v_cmp_eq_u32_e64 s5, 0, v6
	v_dual_cndmask_b32 v63, v63, v60, s7 :: v_dual_cndmask_b32 v60, v60, v61, s7
	s_delay_alu instid0(VALU_DEP_1) | instskip(NEXT) | instid1(VALU_DEP_1)
	v_alignbit_b32 v66, v63, v60, v64
	v_dual_cndmask_b32 v61, v61, v65, s7 :: v_dual_cndmask_b32 v6, v66, v63, s5
	s_delay_alu instid0(VALU_DEP_1) | instskip(NEXT) | instid1(VALU_DEP_1)
	v_alignbit_b32 v62, v60, v61, v64
	v_dual_cndmask_b32 v58, v59, v58, s6 :: v_dual_cndmask_b32 v59, v62, v60, s5
	s_delay_alu instid0(VALU_DEP_3) | instskip(NEXT) | instid1(VALU_DEP_2)
	v_bfe_u32 v60, v6, 29, 1
	v_cndmask_b32_e64 v58, v65, v58, s7
	s_delay_alu instid0(VALU_DEP_3) | instskip(NEXT) | instid1(VALU_DEP_3)
	v_alignbit_b32 v62, v6, v59, 30
	v_sub_nc_u32_e32 v63, 0, v60
	s_delay_alu instid0(VALU_DEP_3) | instskip(NEXT) | instid1(VALU_DEP_1)
	v_alignbit_b32 v64, v61, v58, v64
	v_dual_cndmask_b32 v61, v64, v61, s5 :: v_dual_bitop2_b32 v62, v62, v63 bitop3:0x14
	s_delay_alu instid0(VALU_DEP_1) | instskip(NEXT) | instid1(VALU_DEP_2)
	v_clz_i32_u32_e32 v64, v62
	v_alignbit_b32 v59, v59, v61, 30
	v_alignbit_b32 v58, v61, v58, 30
	s_delay_alu instid0(VALU_DEP_3) | instskip(NEXT) | instid1(VALU_DEP_3)
	v_min_u32_e32 v64, 32, v64
	v_xor_b32_e32 v59, v59, v63
	s_delay_alu instid0(VALU_DEP_3) | instskip(NEXT) | instid1(VALU_DEP_3)
	v_dual_lshrrev_b32 v63, 29, v6 :: v_dual_bitop2_b32 v58, v58, v63 bitop3:0x14
	v_dual_sub_nc_u32 v61, 31, v64 :: v_dual_lshlrev_b32 v65, 23, v64
	s_delay_alu instid0(VALU_DEP_1) | instskip(NEXT) | instid1(VALU_DEP_3)
	v_alignbit_b32 v62, v62, v59, v61
	v_alignbit_b32 v58, v59, v58, v61
	s_delay_alu instid0(VALU_DEP_4) | instskip(NEXT) | instid1(VALU_DEP_2)
	v_lshlrev_b32_e32 v59, 31, v63
	v_alignbit_b32 v61, v62, v58, 9
	s_delay_alu instid0(VALU_DEP_2) | instskip(SKIP_1) | instid1(VALU_DEP_3)
	v_dual_lshrrev_b32 v62, 9, v62 :: v_dual_bitop2_b32 v63, 0.5, v59 bitop3:0x54
	v_or_b32_e32 v59, 0x33000000, v59
	v_clz_i32_u32_e32 v66, v61
	s_delay_alu instid0(VALU_DEP_3) | instskip(NEXT) | instid1(VALU_DEP_2)
	v_sub_nc_u32_e32 v63, v63, v65
	v_min_u32_e32 v65, 32, v66
	s_delay_alu instid0(VALU_DEP_1) | instskip(NEXT) | instid1(VALU_DEP_3)
	v_add_lshl_u32 v64, v65, v64, 23
	v_or_b32_e32 v62, v62, v63
	v_not_b32_e32 v63, v65
	s_delay_alu instid0(VALU_DEP_2) | instskip(NEXT) | instid1(VALU_DEP_2)
	v_dual_mul_f32 v66, 0x3fc90fda, v62 :: v_dual_sub_nc_u32 v59, v59, v64
	v_alignbit_b32 v58, v61, v58, v63
	s_delay_alu instid0(VALU_DEP_2) | instskip(NEXT) | instid1(VALU_DEP_2)
	v_fma_f32 v61, 0x3fc90fda, v62, -v66
	v_lshrrev_b32_e32 v58, 9, v58
	s_delay_alu instid0(VALU_DEP_2) | instskip(NEXT) | instid1(VALU_DEP_2)
	v_fmac_f32_e32 v61, 0x33a22168, v62
	v_or_b32_e32 v58, v59, v58
	s_delay_alu instid0(VALU_DEP_1) | instskip(NEXT) | instid1(VALU_DEP_1)
	v_fmac_f32_e32 v61, 0x3fc90fda, v58
	v_dual_lshrrev_b32 v6, 30, v6 :: v_dual_add_f32 v58, v66, v61
	s_delay_alu instid0(VALU_DEP_1)
	v_add_nc_u32_e32 v60, v60, v6
.LBB150_38:                             ;   in Loop: Header=BB150_4 Depth=1
	s_and_not1_saveexec_b32 s5, s28
; %bb.39:                               ;   in Loop: Header=BB150_4 Depth=1
	v_mul_f32_e64 v6, 0x3f22f983, |v53|
	s_delay_alu instid0(VALU_DEP_1) | instskip(NEXT) | instid1(VALU_DEP_1)
	v_rndne_f32_e32 v6, v6
	v_fma_f32 v58, 0xbfc90fda, v6, |v53|
	v_cvt_i32_f32_e32 v60, v6
	s_delay_alu instid0(VALU_DEP_2) | instskip(NEXT) | instid1(VALU_DEP_1)
	v_fmac_f32_e32 v58, 0xb3a22168, v6
	v_fmac_f32_e32 v58, 0xa7c234c4, v6
; %bb.40:                               ;   in Loop: Header=BB150_4 Depth=1
	s_or_b32 exec_lo, exec_lo, s5
	v_and_b32_e32 v59, 0x7fffffff, v27
	v_cmp_ngt_f32_e64 s28, 0x48000000, |v27|
                                        ; implicit-def: $vgpr63
	s_delay_alu instid0(VALU_DEP_2) | instskip(SKIP_1) | instid1(VALU_DEP_2)
	v_lshrrev_b32_e32 v61, 23, v59
	v_and_or_b32 v6, v59, s24, 0x800000
	v_add_nc_u32_e32 v62, 0xffffff88, v61
                                        ; implicit-def: $vgpr61
	s_and_saveexec_b32 s5, s28
	s_delay_alu instid0(SALU_CYCLE_1)
	s_xor_b32 s29, exec_lo, s5
	s_cbranch_execz .LBB150_42
; %bb.41:                               ;   in Loop: Header=BB150_4 Depth=1
	v_mul_u64_e32 v[64:65], s[18:19], v[6:7]
	v_mov_b32_e32 v67, v7
	v_cmp_lt_u32_e64 s5, 63, v62
	v_mov_b32_e32 v77, v7
	s_delay_alu instid0(VALU_DEP_2) | instskip(NEXT) | instid1(VALU_DEP_1)
	v_cndmask_b32_e64 v61, 0, 0xffffffc0, s5
	v_add_nc_u32_e32 v61, v61, v62
	s_delay_alu instid0(VALU_DEP_1) | instskip(NEXT) | instid1(VALU_DEP_1)
	v_cmp_lt_u32_e64 s6, 31, v61
	v_cndmask_b32_e64 v63, 0, 0xffffffe0, s6
	v_mov_b32_e32 v66, v65
	s_delay_alu instid0(VALU_DEP_1) | instskip(NEXT) | instid1(VALU_DEP_1)
	v_mad_nc_u64_u32 v[66:67], 0x3c439041, v6, v[66:67]
	v_dual_mov_b32 v69, v7 :: v_dual_mov_b32 v68, v67
	s_delay_alu instid0(VALU_DEP_1) | instskip(NEXT) | instid1(VALU_DEP_1)
	v_mad_nc_u64_u32 v[68:69], 0xdb629599, v6, v[68:69]
	v_dual_mov_b32 v71, v7 :: v_dual_mov_b32 v70, v69
	s_delay_alu instid0(VALU_DEP_2) | instskip(NEXT) | instid1(VALU_DEP_2)
	v_cndmask_b32_e64 v64, v68, v64, s5
	v_mad_nc_u64_u32 v[70:71], 0xf534ddc0, v6, v[70:71]
	s_delay_alu instid0(VALU_DEP_1) | instskip(NEXT) | instid1(VALU_DEP_1)
	v_dual_mov_b32 v73, v7 :: v_dual_mov_b32 v72, v71
	v_mad_nc_u64_u32 v[72:73], 0xfc2757d1, v6, v[72:73]
	s_delay_alu instid0(VALU_DEP_1) | instskip(NEXT) | instid1(VALU_DEP_2)
	v_dual_mov_b32 v75, v7 :: v_dual_mov_b32 v74, v73
	v_cndmask_b32_e64 v71, v72, v68, s5
	s_delay_alu instid0(VALU_DEP_2) | instskip(NEXT) | instid1(VALU_DEP_1)
	v_mad_nc_u64_u32 v[74:75], 0x4e441529, v6, v[74:75]
	v_dual_mov_b32 v76, v75 :: v_dual_cndmask_b32 v65, v74, v70, s5
	s_delay_alu instid0(VALU_DEP_1) | instskip(NEXT) | instid1(VALU_DEP_1)
	v_mad_nc_u64_u32 v[76:77], 0xa2f9836e, v6, v[76:77]
	v_dual_add_nc_u32 v61, v63, v61 :: v_dual_cndmask_b32 v67, v76, v72, s5
	s_delay_alu instid0(VALU_DEP_1) | instskip(NEXT) | instid1(VALU_DEP_3)
	v_cmp_lt_u32_e64 s7, 31, v61
	v_cndmask_b32_e64 v69, v77, v74, s5
	s_delay_alu instid0(VALU_DEP_2) | instskip(NEXT) | instid1(VALU_DEP_1)
	v_cndmask_b32_e64 v63, 0, 0xffffffe0, s7
	v_dual_add_nc_u32 v61, v63, v61 :: v_dual_cndmask_b32 v63, v70, v66, s5
	s_delay_alu instid0(VALU_DEP_3) | instskip(NEXT) | instid1(VALU_DEP_2)
	v_dual_cndmask_b32 v66, v67, v65, s6 :: v_dual_cndmask_b32 v67, v69, v67, s6
	v_dual_cndmask_b32 v65, v65, v71, s6 :: v_dual_sub_nc_u32 v69, 32, v61
	s_delay_alu instid0(VALU_DEP_3) | instskip(SKIP_1) | instid1(VALU_DEP_3)
	v_cndmask_b32_e64 v70, v71, v63, s6
	v_cmp_eq_u32_e64 s5, 0, v61
	v_dual_cndmask_b32 v67, v67, v66, s7 :: v_dual_cndmask_b32 v66, v66, v65, s7
	s_delay_alu instid0(VALU_DEP_1) | instskip(NEXT) | instid1(VALU_DEP_1)
	v_alignbit_b32 v71, v67, v66, v69
	v_dual_cndmask_b32 v65, v65, v70, s7 :: v_dual_cndmask_b32 v61, v71, v67, s5
	s_delay_alu instid0(VALU_DEP_1) | instskip(NEXT) | instid1(VALU_DEP_1)
	v_alignbit_b32 v68, v66, v65, v69
	v_dual_cndmask_b32 v63, v63, v64, s6 :: v_dual_cndmask_b32 v64, v68, v66, s5
	s_delay_alu instid0(VALU_DEP_3) | instskip(NEXT) | instid1(VALU_DEP_2)
	v_bfe_u32 v66, v61, 29, 1
	v_cndmask_b32_e64 v63, v70, v63, s7
	s_delay_alu instid0(VALU_DEP_3) | instskip(NEXT) | instid1(VALU_DEP_3)
	v_alignbit_b32 v67, v61, v64, 30
	v_sub_nc_u32_e32 v68, 0, v66
	s_delay_alu instid0(VALU_DEP_3) | instskip(NEXT) | instid1(VALU_DEP_1)
	v_alignbit_b32 v69, v65, v63, v69
	v_dual_cndmask_b32 v65, v69, v65, s5 :: v_dual_bitop2_b32 v67, v67, v68 bitop3:0x14
	s_delay_alu instid0(VALU_DEP_1) | instskip(NEXT) | instid1(VALU_DEP_2)
	v_clz_i32_u32_e32 v69, v67
	v_alignbit_b32 v64, v64, v65, 30
	v_alignbit_b32 v63, v65, v63, 30
	s_delay_alu instid0(VALU_DEP_3) | instskip(NEXT) | instid1(VALU_DEP_3)
	v_min_u32_e32 v69, 32, v69
	v_xor_b32_e32 v64, v64, v68
	s_delay_alu instid0(VALU_DEP_3) | instskip(NEXT) | instid1(VALU_DEP_3)
	v_dual_lshrrev_b32 v68, 29, v61 :: v_dual_bitop2_b32 v63, v63, v68 bitop3:0x14
	v_dual_sub_nc_u32 v65, 31, v69 :: v_dual_lshlrev_b32 v70, 23, v69
	s_delay_alu instid0(VALU_DEP_1) | instskip(NEXT) | instid1(VALU_DEP_3)
	v_alignbit_b32 v67, v67, v64, v65
	v_alignbit_b32 v63, v64, v63, v65
	s_delay_alu instid0(VALU_DEP_4) | instskip(NEXT) | instid1(VALU_DEP_2)
	v_lshlrev_b32_e32 v64, 31, v68
	v_alignbit_b32 v65, v67, v63, 9
	s_delay_alu instid0(VALU_DEP_2) | instskip(SKIP_1) | instid1(VALU_DEP_3)
	v_dual_lshrrev_b32 v67, 9, v67 :: v_dual_bitop2_b32 v68, 0.5, v64 bitop3:0x54
	v_or_b32_e32 v64, 0x33000000, v64
	v_clz_i32_u32_e32 v71, v65
	s_delay_alu instid0(VALU_DEP_3) | instskip(NEXT) | instid1(VALU_DEP_2)
	v_sub_nc_u32_e32 v68, v68, v70
	v_min_u32_e32 v70, 32, v71
	s_delay_alu instid0(VALU_DEP_1) | instskip(NEXT) | instid1(VALU_DEP_3)
	v_add_lshl_u32 v69, v70, v69, 23
	v_or_b32_e32 v67, v67, v68
	v_not_b32_e32 v68, v70
	s_delay_alu instid0(VALU_DEP_2) | instskip(NEXT) | instid1(VALU_DEP_2)
	v_dual_mul_f32 v71, 0x3fc90fda, v67 :: v_dual_sub_nc_u32 v64, v64, v69
	v_alignbit_b32 v63, v65, v63, v68
	s_delay_alu instid0(VALU_DEP_2) | instskip(NEXT) | instid1(VALU_DEP_2)
	v_fma_f32 v65, 0x3fc90fda, v67, -v71
	v_lshrrev_b32_e32 v63, 9, v63
	s_delay_alu instid0(VALU_DEP_2) | instskip(NEXT) | instid1(VALU_DEP_2)
	v_fmac_f32_e32 v65, 0x33a22168, v67
	v_or_b32_e32 v63, v64, v63
	s_delay_alu instid0(VALU_DEP_1) | instskip(SKIP_1) | instid1(VALU_DEP_1)
	v_fmac_f32_e32 v65, 0x3fc90fda, v63
	v_lshrrev_b32_e32 v63, 30, v61
	v_dual_add_f32 v61, v71, v65 :: v_dual_add_nc_u32 v63, v66, v63
.LBB150_42:                             ;   in Loop: Header=BB150_4 Depth=1
	s_or_saveexec_b32 s5, s29
	v_mul_f32_e64 v64, 0x3f22f983, |v27|
	s_delay_alu instid0(VALU_DEP_1)
	v_rndne_f32_e32 v64, v64
	s_xor_b32 exec_lo, exec_lo, s5
; %bb.43:                               ;   in Loop: Header=BB150_4 Depth=1
	s_delay_alu instid0(VALU_DEP_1) | instskip(SKIP_1) | instid1(VALU_DEP_2)
	v_fma_f32 v61, 0xbfc90fda, v64, |v27|
	v_cvt_i32_f32_e32 v63, v64
	v_fmac_f32_e32 v61, 0xb3a22168, v64
	s_delay_alu instid0(VALU_DEP_1)
	v_fmac_f32_e32 v61, 0xa7c234c4, v64
; %bb.44:                               ;   in Loop: Header=BB150_4 Depth=1
	s_or_b32 exec_lo, exec_lo, s5
                                        ; implicit-def: $vgpr66
                                        ; implicit-def: $vgpr65
	s_and_saveexec_b32 s5, s28
	s_delay_alu instid0(SALU_CYCLE_1)
	s_xor_b32 s28, exec_lo, s5
	s_cbranch_execz .LBB150_46
; %bb.45:                               ;   in Loop: Header=BB150_4 Depth=1
	v_mul_u64_e32 v[64:65], s[18:19], v[6:7]
	v_mov_b32_e32 v67, v7
	v_cmp_lt_u32_e64 s5, 63, v62
	s_delay_alu instid0(VALU_DEP_3) | instskip(NEXT) | instid1(VALU_DEP_2)
	v_dual_mov_b32 v77, v7 :: v_dual_mov_b32 v66, v65
	v_cndmask_b32_e64 v65, 0, 0xffffffc0, s5
	s_delay_alu instid0(VALU_DEP_2) | instskip(NEXT) | instid1(VALU_DEP_2)
	v_mad_nc_u64_u32 v[66:67], 0x3c439041, v6, v[66:67]
	v_dual_mov_b32 v69, v7 :: v_dual_add_nc_u32 v62, v65, v62
	s_delay_alu instid0(VALU_DEP_1) | instskip(NEXT) | instid1(VALU_DEP_3)
	v_cmp_lt_u32_e64 s6, 31, v62
	v_mov_b32_e32 v68, v67
	s_delay_alu instid0(VALU_DEP_2) | instskip(NEXT) | instid1(VALU_DEP_2)
	v_cndmask_b32_e64 v65, 0, 0xffffffe0, s6
	v_mad_nc_u64_u32 v[68:69], 0xdb629599, v6, v[68:69]
	s_delay_alu instid0(VALU_DEP_1) | instskip(NEXT) | instid1(VALU_DEP_2)
	v_dual_mov_b32 v71, v7 :: v_dual_mov_b32 v70, v69
	v_cndmask_b32_e64 v64, v68, v64, s5
	s_delay_alu instid0(VALU_DEP_2) | instskip(NEXT) | instid1(VALU_DEP_1)
	v_mad_nc_u64_u32 v[70:71], 0xf534ddc0, v6, v[70:71]
	v_dual_mov_b32 v73, v7 :: v_dual_mov_b32 v72, v71
	s_delay_alu instid0(VALU_DEP_1) | instskip(NEXT) | instid1(VALU_DEP_1)
	v_mad_nc_u64_u32 v[72:73], 0xfc2757d1, v6, v[72:73]
	v_dual_mov_b32 v75, v7 :: v_dual_mov_b32 v74, v73
	s_delay_alu instid0(VALU_DEP_2) | instskip(NEXT) | instid1(VALU_DEP_2)
	v_cndmask_b32_e64 v71, v72, v68, s5
	v_mad_nc_u64_u32 v[74:75], 0x4e441529, v6, v[74:75]
	s_delay_alu instid0(VALU_DEP_1) | instskip(NEXT) | instid1(VALU_DEP_1)
	v_mov_b32_e32 v76, v75
	v_mad_nc_u64_u32 v[76:77], 0xa2f9836e, v6, v[76:77]
	v_add_nc_u32_e32 v6, v65, v62
	s_delay_alu instid0(VALU_DEP_4) | instskip(NEXT) | instid1(VALU_DEP_2)
	v_cndmask_b32_e64 v65, v74, v70, s5
	v_cmp_lt_u32_e64 s7, 31, v6
	s_delay_alu instid0(VALU_DEP_1) | instskip(SKIP_1) | instid1(VALU_DEP_2)
	v_cndmask_b32_e64 v62, 0, 0xffffffe0, s7
	v_dual_cndmask_b32 v67, v76, v72, s5 :: v_dual_cndmask_b32 v69, v77, v74, s5
	v_add_nc_u32_e32 v6, v62, v6
	s_delay_alu instid0(VALU_DEP_2) | instskip(NEXT) | instid1(VALU_DEP_3)
	v_dual_cndmask_b32 v62, v70, v66, s5 :: v_dual_cndmask_b32 v66, v67, v65, s6
	v_cndmask_b32_e64 v67, v69, v67, s6
	s_delay_alu instid0(VALU_DEP_3) | instskip(NEXT) | instid1(VALU_DEP_3)
	v_dual_cndmask_b32 v65, v65, v71, s6 :: v_dual_sub_nc_u32 v69, 32, v6
	v_cndmask_b32_e64 v70, v71, v62, s6
	v_cmp_eq_u32_e64 s5, 0, v6
	s_delay_alu instid0(VALU_DEP_3) | instskip(NEXT) | instid1(VALU_DEP_1)
	v_dual_cndmask_b32 v67, v67, v66, s7 :: v_dual_cndmask_b32 v66, v66, v65, s7
	v_alignbit_b32 v71, v67, v66, v69
	s_delay_alu instid0(VALU_DEP_1) | instskip(NEXT) | instid1(VALU_DEP_1)
	v_dual_cndmask_b32 v65, v65, v70, s7 :: v_dual_cndmask_b32 v6, v71, v67, s5
	v_alignbit_b32 v68, v66, v65, v69
	s_delay_alu instid0(VALU_DEP_1) | instskip(NEXT) | instid1(VALU_DEP_3)
	v_dual_cndmask_b32 v62, v62, v64, s6 :: v_dual_cndmask_b32 v64, v68, v66, s5
	v_bfe_u32 v66, v6, 29, 1
	s_delay_alu instid0(VALU_DEP_2) | instskip(NEXT) | instid1(VALU_DEP_2)
	v_alignbit_b32 v67, v6, v64, 30
	v_sub_nc_u32_e32 v68, 0, v66
	s_delay_alu instid0(VALU_DEP_1) | instskip(NEXT) | instid1(VALU_DEP_1)
	v_dual_cndmask_b32 v62, v70, v62, s7 :: v_dual_bitop2_b32 v67, v67, v68 bitop3:0x14
	v_alignbit_b32 v69, v65, v62, v69
	s_delay_alu instid0(VALU_DEP_1) | instskip(NEXT) | instid1(VALU_DEP_3)
	v_cndmask_b32_e64 v65, v69, v65, s5
	v_clz_i32_u32_e32 v69, v67
	s_delay_alu instid0(VALU_DEP_2) | instskip(NEXT) | instid1(VALU_DEP_2)
	v_alignbit_b32 v64, v64, v65, 30
	v_min_u32_e32 v69, 32, v69
	v_alignbit_b32 v62, v65, v62, 30
	s_delay_alu instid0(VALU_DEP_2) | instskip(NEXT) | instid1(VALU_DEP_2)
	v_dual_sub_nc_u32 v65, 31, v69 :: v_dual_bitop2_b32 v64, v64, v68 bitop3:0x14
	v_dual_lshrrev_b32 v68, 29, v6 :: v_dual_bitop2_b32 v62, v62, v68 bitop3:0x14
	v_dual_lshlrev_b32 v70, 23, v69 :: v_dual_lshrrev_b32 v6, 30, v6
	s_delay_alu instid0(VALU_DEP_3) | instskip(NEXT) | instid1(VALU_DEP_3)
	v_alignbit_b32 v67, v67, v64, v65
	v_alignbit_b32 v62, v64, v62, v65
	s_delay_alu instid0(VALU_DEP_3) | instskip(NEXT) | instid1(VALU_DEP_2)
	v_dual_lshlrev_b32 v64, 31, v68 :: v_dual_add_nc_u32 v66, v66, v6
	v_alignbit_b32 v65, v67, v62, 9
	s_delay_alu instid0(VALU_DEP_2) | instskip(SKIP_1) | instid1(VALU_DEP_3)
	v_dual_lshrrev_b32 v67, 9, v67 :: v_dual_bitop2_b32 v68, 0.5, v64 bitop3:0x54
	v_or_b32_e32 v64, 0x33000000, v64
	v_clz_i32_u32_e32 v71, v65
	s_delay_alu instid0(VALU_DEP_3) | instskip(NEXT) | instid1(VALU_DEP_2)
	v_sub_nc_u32_e32 v68, v68, v70
	v_min_u32_e32 v70, 32, v71
	s_delay_alu instid0(VALU_DEP_1) | instskip(NEXT) | instid1(VALU_DEP_3)
	v_add_lshl_u32 v69, v70, v69, 23
	v_or_b32_e32 v67, v67, v68
	v_not_b32_e32 v68, v70
	s_delay_alu instid0(VALU_DEP_2) | instskip(NEXT) | instid1(VALU_DEP_2)
	v_dual_mul_f32 v71, 0x3fc90fda, v67 :: v_dual_sub_nc_u32 v64, v64, v69
	v_alignbit_b32 v62, v65, v62, v68
	s_delay_alu instid0(VALU_DEP_2) | instskip(NEXT) | instid1(VALU_DEP_1)
	v_fma_f32 v65, 0x3fc90fda, v67, -v71
	v_dual_fmac_f32 v65, 0x33a22168, v67 :: v_dual_lshrrev_b32 v62, 9, v62
	s_delay_alu instid0(VALU_DEP_1) | instskip(NEXT) | instid1(VALU_DEP_1)
	v_or_b32_e32 v62, v64, v62
                                        ; implicit-def: $vgpr64
	v_fmac_f32_e32 v65, 0x3fc90fda, v62
	s_delay_alu instid0(VALU_DEP_1)
	v_add_f32_e32 v65, v71, v65
	s_and_not1_saveexec_b32 s5, s28
	s_cbranch_execnz .LBB150_47
	s_branch .LBB150_48
.LBB150_46:                             ;   in Loop: Header=BB150_4 Depth=1
	s_and_not1_saveexec_b32 s5, s28
.LBB150_47:                             ;   in Loop: Header=BB150_4 Depth=1
	v_fma_f32 v65, 0xbfc90fda, v64, |v27|
	v_cvt_i32_f32_e32 v66, v64
	s_delay_alu instid0(VALU_DEP_2) | instskip(NEXT) | instid1(VALU_DEP_1)
	v_fmac_f32_e32 v65, 0xb3a22168, v64
	v_fmac_f32_e32 v65, 0xa7c234c4, v64
.LBB150_48:                             ;   in Loop: Header=BB150_4 Depth=1
	s_or_b32 exec_lo, exec_lo, s5
	v_mul_f32_e32 v62, 0.5, v25
                                        ; implicit-def: $vgpr69
                                        ; implicit-def: $vgpr67
	s_mov_b32 s6, exec_lo
	s_delay_alu instid0(VALU_DEP_1)
	v_and_b32_e32 v64, 0x7fffffff, v62
	v_cmpx_ngt_f32_e64 0x48000000, |v62|
	s_xor_b32 s28, exec_lo, s6
	s_cbranch_execz .LBB150_50
; %bb.49:                               ;   in Loop: Header=BB150_4 Depth=1
	s_delay_alu instid0(VALU_DEP_2) | instskip(SKIP_2) | instid1(VALU_DEP_3)
	v_and_or_b32 v6, v64, s24, 0x800000
	v_dual_lshrrev_b32 v67, 23, v64 :: v_dual_mov_b32 v79, v7
	v_mov_b32_e32 v81, v7
	v_mul_u64_e32 v[68:69], s[18:19], v[6:7]
	v_mov_b32_e32 v71, v7
	s_delay_alu instid0(VALU_DEP_4) | instskip(NEXT) | instid1(VALU_DEP_1)
	v_add_nc_u32_e32 v67, 0xffffff88, v67
	v_cmp_lt_u32_e64 s5, 63, v67
	s_delay_alu instid0(VALU_DEP_4) | instskip(NEXT) | instid1(VALU_DEP_2)
	v_mov_b32_e32 v70, v69
	v_cndmask_b32_e64 v69, 0, 0xffffffc0, s5
	s_delay_alu instid0(VALU_DEP_2) | instskip(NEXT) | instid1(VALU_DEP_2)
	v_mad_nc_u64_u32 v[70:71], 0x3c439041, v6, v[70:71]
	v_dual_mov_b32 v73, v7 :: v_dual_add_nc_u32 v67, v69, v67
	s_delay_alu instid0(VALU_DEP_1) | instskip(NEXT) | instid1(VALU_DEP_3)
	v_cmp_lt_u32_e64 s6, 31, v67
	v_mov_b32_e32 v72, v71
	s_delay_alu instid0(VALU_DEP_2) | instskip(NEXT) | instid1(VALU_DEP_2)
	v_cndmask_b32_e64 v69, 0, 0xffffffe0, s6
	v_mad_nc_u64_u32 v[72:73], 0xdb629599, v6, v[72:73]
	s_delay_alu instid0(VALU_DEP_1) | instskip(NEXT) | instid1(VALU_DEP_2)
	v_dual_mov_b32 v75, v7 :: v_dual_mov_b32 v74, v73
	v_cndmask_b32_e64 v68, v72, v68, s5
	s_delay_alu instid0(VALU_DEP_2) | instskip(NEXT) | instid1(VALU_DEP_1)
	v_mad_nc_u64_u32 v[74:75], 0xf534ddc0, v6, v[74:75]
	v_dual_mov_b32 v77, v7 :: v_dual_mov_b32 v76, v75
	s_delay_alu instid0(VALU_DEP_1) | instskip(NEXT) | instid1(VALU_DEP_1)
	v_mad_nc_u64_u32 v[76:77], 0xfc2757d1, v6, v[76:77]
	v_dual_mov_b32 v78, v77 :: v_dual_cndmask_b32 v75, v76, v72, s5
	s_delay_alu instid0(VALU_DEP_1) | instskip(NEXT) | instid1(VALU_DEP_1)
	v_mad_nc_u64_u32 v[78:79], 0x4e441529, v6, v[78:79]
	v_mov_b32_e32 v80, v79
	s_delay_alu instid0(VALU_DEP_1) | instskip(NEXT) | instid1(VALU_DEP_3)
	v_mad_nc_u64_u32 v[80:81], 0xa2f9836e, v6, v[80:81]
	v_dual_add_nc_u32 v6, v69, v67 :: v_dual_cndmask_b32 v69, v78, v74, s5
	s_delay_alu instid0(VALU_DEP_1) | instskip(NEXT) | instid1(VALU_DEP_1)
	v_cmp_lt_u32_e64 s7, 31, v6
	v_cndmask_b32_e64 v67, 0, 0xffffffe0, s7
	s_delay_alu instid0(VALU_DEP_4) | instskip(NEXT) | instid1(VALU_DEP_2)
	v_dual_cndmask_b32 v71, v80, v76, s5 :: v_dual_cndmask_b32 v73, v81, v78, s5
	v_add_nc_u32_e32 v6, v67, v6
	s_delay_alu instid0(VALU_DEP_2) | instskip(NEXT) | instid1(VALU_DEP_3)
	v_dual_cndmask_b32 v67, v74, v70, s5 :: v_dual_cndmask_b32 v70, v71, v69, s6
	v_cndmask_b32_e64 v71, v73, v71, s6
	s_delay_alu instid0(VALU_DEP_3) | instskip(NEXT) | instid1(VALU_DEP_3)
	v_dual_cndmask_b32 v69, v69, v75, s6 :: v_dual_sub_nc_u32 v73, 32, v6
	v_cndmask_b32_e64 v74, v75, v67, s6
	v_cmp_eq_u32_e64 s5, 0, v6
	s_delay_alu instid0(VALU_DEP_3) | instskip(NEXT) | instid1(VALU_DEP_1)
	v_dual_cndmask_b32 v71, v71, v70, s7 :: v_dual_cndmask_b32 v70, v70, v69, s7
	v_alignbit_b32 v75, v71, v70, v73
	s_delay_alu instid0(VALU_DEP_1) | instskip(NEXT) | instid1(VALU_DEP_1)
	v_dual_cndmask_b32 v69, v69, v74, s7 :: v_dual_cndmask_b32 v6, v75, v71, s5
	v_alignbit_b32 v72, v70, v69, v73
	s_delay_alu instid0(VALU_DEP_1) | instskip(NEXT) | instid1(VALU_DEP_3)
	v_dual_cndmask_b32 v67, v67, v68, s6 :: v_dual_cndmask_b32 v68, v72, v70, s5
	v_bfe_u32 v70, v6, 29, 1
	s_delay_alu instid0(VALU_DEP_2) | instskip(NEXT) | instid1(VALU_DEP_3)
	v_cndmask_b32_e64 v67, v74, v67, s7
	v_alignbit_b32 v71, v6, v68, 30
	s_delay_alu instid0(VALU_DEP_3) | instskip(NEXT) | instid1(VALU_DEP_3)
	v_sub_nc_u32_e32 v72, 0, v70
	v_alignbit_b32 v73, v69, v67, v73
	s_delay_alu instid0(VALU_DEP_1) | instskip(NEXT) | instid1(VALU_DEP_1)
	v_dual_cndmask_b32 v69, v73, v69, s5 :: v_dual_bitop2_b32 v71, v71, v72 bitop3:0x14
	v_clz_i32_u32_e32 v73, v71
	s_delay_alu instid0(VALU_DEP_2) | instskip(SKIP_1) | instid1(VALU_DEP_3)
	v_alignbit_b32 v68, v68, v69, 30
	v_alignbit_b32 v67, v69, v67, 30
	v_min_u32_e32 v73, 32, v73
	s_delay_alu instid0(VALU_DEP_3) | instskip(NEXT) | instid1(VALU_DEP_3)
	v_xor_b32_e32 v68, v68, v72
	v_dual_lshrrev_b32 v72, 29, v6 :: v_dual_bitop2_b32 v67, v67, v72 bitop3:0x14
	s_delay_alu instid0(VALU_DEP_3) | instskip(SKIP_1) | instid1(VALU_DEP_2)
	v_dual_lshrrev_b32 v6, 30, v6 :: v_dual_sub_nc_u32 v69, 31, v73
	v_lshlrev_b32_e32 v74, 23, v73
	v_alignbit_b32 v71, v71, v68, v69
	s_delay_alu instid0(VALU_DEP_4) | instskip(SKIP_1) | instid1(VALU_DEP_2)
	v_alignbit_b32 v67, v68, v67, v69
	v_lshlrev_b32_e32 v68, 31, v72
	v_alignbit_b32 v69, v71, v67, 9
	s_delay_alu instid0(VALU_DEP_2) | instskip(SKIP_1) | instid1(VALU_DEP_3)
	v_dual_lshrrev_b32 v71, 9, v71 :: v_dual_bitop2_b32 v72, 0.5, v68 bitop3:0x54
	v_or_b32_e32 v68, 0x33000000, v68
	v_clz_i32_u32_e32 v75, v69
	s_delay_alu instid0(VALU_DEP_3) | instskip(NEXT) | instid1(VALU_DEP_2)
	v_sub_nc_u32_e32 v72, v72, v74
	v_min_u32_e32 v74, 32, v75
	s_delay_alu instid0(VALU_DEP_1) | instskip(NEXT) | instid1(VALU_DEP_3)
	v_add_lshl_u32 v73, v74, v73, 23
	v_or_b32_e32 v71, v71, v72
	v_not_b32_e32 v72, v74
	s_delay_alu instid0(VALU_DEP_2) | instskip(NEXT) | instid1(VALU_DEP_2)
	v_dual_mul_f32 v75, 0x3fc90fda, v71 :: v_dual_sub_nc_u32 v68, v68, v73
	v_alignbit_b32 v67, v69, v67, v72
	s_delay_alu instid0(VALU_DEP_2) | instskip(NEXT) | instid1(VALU_DEP_2)
	v_fma_f32 v69, 0x3fc90fda, v71, -v75
	v_lshrrev_b32_e32 v67, 9, v67
	s_delay_alu instid0(VALU_DEP_2) | instskip(NEXT) | instid1(VALU_DEP_2)
	v_fmac_f32_e32 v69, 0x33a22168, v71
	v_or_b32_e32 v67, v68, v67
	s_delay_alu instid0(VALU_DEP_1) | instskip(NEXT) | instid1(VALU_DEP_1)
	v_fmac_f32_e32 v69, 0x3fc90fda, v67
	v_dual_add_f32 v67, v75, v69 :: v_dual_add_nc_u32 v69, v70, v6
.LBB150_50:                             ;   in Loop: Header=BB150_4 Depth=1
	s_and_not1_saveexec_b32 s5, s28
; %bb.51:                               ;   in Loop: Header=BB150_4 Depth=1
	v_mul_f32_e64 v6, 0x3f22f983, |v62|
	s_delay_alu instid0(VALU_DEP_1) | instskip(NEXT) | instid1(VALU_DEP_1)
	v_rndne_f32_e32 v6, v6
	v_fma_f32 v67, 0xbfc90fda, v6, |v62|
	v_cvt_i32_f32_e32 v69, v6
	s_delay_alu instid0(VALU_DEP_2) | instskip(NEXT) | instid1(VALU_DEP_1)
	v_fmac_f32_e32 v67, 0xb3a22168, v6
	v_fmac_f32_e32 v67, 0xa7c234c4, v6
; %bb.52:                               ;   in Loop: Header=BB150_4 Depth=1
	s_or_b32 exec_lo, exec_lo, s5
	v_and_b32_e32 v68, 0x7fffffff, v25
	v_cmp_ngt_f32_e64 s28, 0x48000000, |v25|
                                        ; implicit-def: $vgpr71
	s_delay_alu instid0(VALU_DEP_2) | instskip(SKIP_1) | instid1(VALU_DEP_2)
	v_lshrrev_b32_e32 v70, 23, v68
	v_and_or_b32 v6, v68, s24, 0x800000
	v_add_nc_u32_e32 v74, 0xffffff88, v70
                                        ; implicit-def: $vgpr70
	s_and_saveexec_b32 s5, s28
	s_delay_alu instid0(SALU_CYCLE_1)
	s_xor_b32 s29, exec_lo, s5
	s_cbranch_execz .LBB150_54
; %bb.53:                               ;   in Loop: Header=BB150_4 Depth=1
	v_mul_u64_e32 v[70:71], s[18:19], v[6:7]
	v_mov_b32_e32 v73, v7
	v_cmp_lt_u32_e64 s5, 63, v74
	s_delay_alu instid0(VALU_DEP_3) | instskip(NEXT) | instid1(VALU_DEP_2)
	v_mov_b32_e32 v72, v71
	v_cndmask_b32_e64 v71, 0, 0xffffffc0, s5
	s_delay_alu instid0(VALU_DEP_2) | instskip(NEXT) | instid1(VALU_DEP_1)
	v_mad_nc_u64_u32 v[72:73], 0x3c439041, v6, v[72:73]
	v_dual_mov_b32 v77, v7 :: v_dual_mov_b32 v76, v73
	s_delay_alu instid0(VALU_DEP_1) | instskip(NEXT) | instid1(VALU_DEP_1)
	v_mad_nc_u64_u32 v[76:77], 0xdb629599, v6, v[76:77]
	v_dual_mov_b32 v79, v7 :: v_dual_mov_b32 v78, v77
	s_delay_alu instid0(VALU_DEP_2) | instskip(NEXT) | instid1(VALU_DEP_2)
	v_cndmask_b32_e64 v70, v76, v70, s5
	v_mad_nc_u64_u32 v[78:79], 0xf534ddc0, v6, v[78:79]
	s_delay_alu instid0(VALU_DEP_1) | instskip(NEXT) | instid1(VALU_DEP_2)
	v_dual_mov_b32 v81, v7 :: v_dual_mov_b32 v80, v79
	v_cndmask_b32_e64 v72, v78, v72, s5
	s_delay_alu instid0(VALU_DEP_2) | instskip(NEXT) | instid1(VALU_DEP_1)
	v_mad_nc_u64_u32 v[80:81], 0xfc2757d1, v6, v[80:81]
	v_dual_mov_b32 v83, v7 :: v_dual_mov_b32 v82, v81
	s_delay_alu instid0(VALU_DEP_1) | instskip(NEXT) | instid1(VALU_DEP_1)
	v_mad_nc_u64_u32 v[82:83], 0x4e441529, v6, v[82:83]
	v_dual_mov_b32 v85, v7 :: v_dual_mov_b32 v84, v83
	s_delay_alu instid0(VALU_DEP_2) | instskip(NEXT) | instid1(VALU_DEP_2)
	v_cndmask_b32_e64 v75, v82, v78, s5
	v_mad_nc_u64_u32 v[84:85], 0xa2f9836e, v6, v[84:85]
	s_delay_alu instid0(VALU_DEP_1) | instskip(NEXT) | instid1(VALU_DEP_1)
	v_dual_add_nc_u32 v71, v71, v74 :: v_dual_cndmask_b32 v77, v84, v80, s5
	v_cmp_lt_u32_e64 s6, 31, v71
	s_delay_alu instid0(VALU_DEP_3) | instskip(NEXT) | instid1(VALU_DEP_2)
	v_dual_cndmask_b32 v79, v85, v82, s5 :: v_dual_cndmask_b32 v80, v80, v76, s5
	v_cndmask_b32_e64 v73, 0, 0xffffffe0, s6
	s_delay_alu instid0(VALU_DEP_1) | instskip(NEXT) | instid1(VALU_DEP_1)
	v_dual_cndmask_b32 v70, v72, v70, s6 :: v_dual_add_nc_u32 v71, v73, v71
	v_cmp_lt_u32_e64 s7, 31, v71
	s_delay_alu instid0(VALU_DEP_1) | instskip(NEXT) | instid1(VALU_DEP_1)
	v_cndmask_b32_e64 v73, 0, 0xffffffe0, s7
	v_add_nc_u32_e32 v71, v73, v71
	v_dual_cndmask_b32 v73, v77, v75, s6 :: v_dual_cndmask_b32 v77, v79, v77, s6
	v_cndmask_b32_e64 v75, v75, v80, s6
	s_delay_alu instid0(VALU_DEP_3) | instskip(SKIP_1) | instid1(VALU_DEP_4)
	v_dual_cndmask_b32 v79, v80, v72, s6 :: v_dual_sub_nc_u32 v78, 32, v71
	v_cmp_eq_u32_e64 s5, 0, v71
	v_cndmask_b32_e64 v77, v77, v73, s7
	s_delay_alu instid0(VALU_DEP_4) | instskip(NEXT) | instid1(VALU_DEP_1)
	v_cndmask_b32_e64 v73, v73, v75, s7
	v_alignbit_b32 v80, v77, v73, v78
	s_delay_alu instid0(VALU_DEP_1) | instskip(NEXT) | instid1(VALU_DEP_1)
	v_dual_cndmask_b32 v75, v75, v79, s7 :: v_dual_cndmask_b32 v71, v80, v77, s5
	v_alignbit_b32 v76, v73, v75, v78
	s_delay_alu instid0(VALU_DEP_1) | instskip(NEXT) | instid1(VALU_DEP_3)
	v_cndmask_b32_e64 v72, v76, v73, s5
	v_bfe_u32 v73, v71, 29, 1
	s_delay_alu instid0(VALU_DEP_1) | instskip(NEXT) | instid1(VALU_DEP_3)
	v_dual_sub_nc_u32 v77, 0, v73 :: v_dual_cndmask_b32 v70, v79, v70, s7
	v_alignbit_b32 v76, v71, v72, 30
	s_delay_alu instid0(VALU_DEP_2) | instskip(NEXT) | instid1(VALU_DEP_1)
	v_alignbit_b32 v78, v75, v70, v78
	v_dual_cndmask_b32 v75, v78, v75, s5 :: v_dual_bitop2_b32 v76, v76, v77 bitop3:0x14
	s_delay_alu instid0(VALU_DEP_1) | instskip(NEXT) | instid1(VALU_DEP_2)
	v_clz_i32_u32_e32 v78, v76
	v_alignbit_b32 v72, v72, v75, 30
	s_delay_alu instid0(VALU_DEP_2) | instskip(SKIP_1) | instid1(VALU_DEP_2)
	v_min_u32_e32 v78, 32, v78
	v_alignbit_b32 v70, v75, v70, 30
	v_dual_sub_nc_u32 v75, 31, v78 :: v_dual_bitop2_b32 v72, v72, v77 bitop3:0x14
	s_delay_alu instid0(VALU_DEP_2) | instskip(SKIP_1) | instid1(VALU_DEP_3)
	v_dual_lshrrev_b32 v77, 29, v71 :: v_dual_bitop2_b32 v70, v70, v77 bitop3:0x14
	v_dual_lshlrev_b32 v79, 23, v78 :: v_dual_lshrrev_b32 v71, 30, v71
	v_alignbit_b32 v76, v76, v72, v75
	s_delay_alu instid0(VALU_DEP_3) | instskip(NEXT) | instid1(VALU_DEP_3)
	v_alignbit_b32 v70, v72, v70, v75
	v_dual_lshlrev_b32 v72, 31, v77 :: v_dual_add_nc_u32 v71, v73, v71
	s_delay_alu instid0(VALU_DEP_2) | instskip(NEXT) | instid1(VALU_DEP_2)
	v_alignbit_b32 v75, v76, v70, 9
	v_or_b32_e32 v77, 0.5, v72
	v_lshrrev_b32_e32 v76, 9, v76
	v_or_b32_e32 v72, 0x33000000, v72
	s_delay_alu instid0(VALU_DEP_4) | instskip(NEXT) | instid1(VALU_DEP_4)
	v_clz_i32_u32_e32 v80, v75
	v_sub_nc_u32_e32 v77, v77, v79
	s_delay_alu instid0(VALU_DEP_2) | instskip(NEXT) | instid1(VALU_DEP_2)
	v_min_u32_e32 v79, 32, v80
	v_or_b32_e32 v76, v76, v77
	s_delay_alu instid0(VALU_DEP_2) | instskip(SKIP_1) | instid1(VALU_DEP_2)
	v_not_b32_e32 v77, v79
	v_add_lshl_u32 v78, v79, v78, 23
	v_alignbit_b32 v70, v75, v70, v77
	s_delay_alu instid0(VALU_DEP_2) | instskip(NEXT) | instid1(VALU_DEP_2)
	v_sub_nc_u32_e32 v72, v72, v78
	v_lshrrev_b32_e32 v70, 9, v70
	s_delay_alu instid0(VALU_DEP_1) | instskip(SKIP_1) | instid1(VALU_DEP_1)
	v_or_b32_e32 v70, v72, v70
	v_mul_f32_e32 v80, 0x3fc90fda, v76
	v_fma_f32 v75, 0x3fc90fda, v76, -v80
	s_delay_alu instid0(VALU_DEP_1) | instskip(NEXT) | instid1(VALU_DEP_1)
	v_fmac_f32_e32 v75, 0x33a22168, v76
	v_fmac_f32_e32 v75, 0x3fc90fda, v70
	s_delay_alu instid0(VALU_DEP_1)
	v_add_f32_e32 v70, v80, v75
.LBB150_54:                             ;   in Loop: Header=BB150_4 Depth=1
	s_or_saveexec_b32 s5, s29
	v_mul_f32_e64 v72, 0x3f22f983, |v25|
	s_delay_alu instid0(VALU_DEP_1)
	v_rndne_f32_e32 v75, v72
	s_xor_b32 exec_lo, exec_lo, s5
; %bb.55:                               ;   in Loop: Header=BB150_4 Depth=1
	s_delay_alu instid0(VALU_DEP_1) | instskip(SKIP_1) | instid1(VALU_DEP_2)
	v_fma_f32 v70, 0xbfc90fda, v75, |v25|
	v_cvt_i32_f32_e32 v71, v75
	v_fmac_f32_e32 v70, 0xb3a22168, v75
	s_delay_alu instid0(VALU_DEP_1)
	v_fmac_f32_e32 v70, 0xa7c234c4, v75
; %bb.56:                               ;   in Loop: Header=BB150_4 Depth=1
	s_or_b32 exec_lo, exec_lo, s5
                                        ; implicit-def: $vgpr73
                                        ; implicit-def: $vgpr72
	s_and_saveexec_b32 s5, s28
	s_delay_alu instid0(SALU_CYCLE_1)
	s_xor_b32 s28, exec_lo, s5
	s_cbranch_execz .LBB150_62
; %bb.57:                               ;   in Loop: Header=BB150_4 Depth=1
	v_mul_u64_e32 v[72:73], s[18:19], v[6:7]
	v_mov_b32_e32 v77, v7
	v_cmp_lt_u32_e64 s5, 63, v74
	s_delay_alu instid0(VALU_DEP_3) | instskip(NEXT) | instid1(VALU_DEP_2)
	v_dual_mov_b32 v75, v7 :: v_dual_mov_b32 v76, v73
	v_cndmask_b32_e64 v73, 0, 0xffffffc0, s5
	s_delay_alu instid0(VALU_DEP_2) | instskip(NEXT) | instid1(VALU_DEP_2)
	v_mad_nc_u64_u32 v[76:77], 0x3c439041, v6, v[76:77]
	v_dual_mov_b32 v79, v7 :: v_dual_add_nc_u32 v73, v73, v74
	s_delay_alu instid0(VALU_DEP_1) | instskip(NEXT) | instid1(VALU_DEP_3)
	v_cmp_lt_u32_e64 s6, 31, v73
	v_mov_b32_e32 v78, v77
	s_delay_alu instid0(VALU_DEP_2) | instskip(NEXT) | instid1(VALU_DEP_2)
	v_cndmask_b32_e64 v77, 0, 0xffffffe0, s6
	v_mad_nc_u64_u32 v[78:79], 0xdb629599, v6, v[78:79]
	s_delay_alu instid0(VALU_DEP_1) | instskip(NEXT) | instid1(VALU_DEP_2)
	v_dual_mov_b32 v81, v7 :: v_dual_mov_b32 v80, v79
	v_cndmask_b32_e64 v72, v78, v72, s5
	s_delay_alu instid0(VALU_DEP_2) | instskip(NEXT) | instid1(VALU_DEP_1)
	v_mad_nc_u64_u32 v[80:81], 0xf534ddc0, v6, v[80:81]
	v_dual_mov_b32 v83, v7 :: v_dual_mov_b32 v82, v81
	s_delay_alu instid0(VALU_DEP_1) | instskip(NEXT) | instid1(VALU_DEP_1)
	v_mad_nc_u64_u32 v[82:83], 0xfc2757d1, v6, v[82:83]
	v_dual_mov_b32 v85, v7 :: v_dual_mov_b32 v84, v83
	s_delay_alu instid0(VALU_DEP_2) | instskip(NEXT) | instid1(VALU_DEP_2)
	v_cndmask_b32_e64 v79, v82, v78, s5
	v_mad_nc_u64_u32 v[84:85], 0x4e441529, v6, v[84:85]
	s_delay_alu instid0(VALU_DEP_1) | instskip(NEXT) | instid1(VALU_DEP_1)
	v_mov_b32_e32 v74, v85
	v_mad_nc_u64_u32 v[74:75], 0xa2f9836e, v6, v[74:75]
	s_delay_alu instid0(VALU_DEP_3) | instskip(NEXT) | instid1(VALU_DEP_2)
	v_dual_add_nc_u32 v6, v77, v73 :: v_dual_cndmask_b32 v77, v84, v80, s5
	v_cndmask_b32_e64 v74, v74, v82, s5
	s_delay_alu instid0(VALU_DEP_2) | instskip(NEXT) | instid1(VALU_DEP_4)
	v_cmp_lt_u32_e64 s7, 31, v6
	v_cndmask_b32_e64 v75, v75, v84, s5
	s_delay_alu instid0(VALU_DEP_2) | instskip(NEXT) | instid1(VALU_DEP_1)
	v_cndmask_b32_e64 v73, 0, 0xffffffe0, s7
	v_dual_add_nc_u32 v6, v73, v6 :: v_dual_cndmask_b32 v73, v80, v76, s5
	s_delay_alu instid0(VALU_DEP_3) | instskip(NEXT) | instid1(VALU_DEP_2)
	v_dual_cndmask_b32 v76, v74, v77, s6 :: v_dual_cndmask_b32 v74, v75, v74, s6
	v_dual_cndmask_b32 v75, v77, v79, s6 :: v_dual_sub_nc_u32 v77, 32, v6
	s_delay_alu instid0(VALU_DEP_3) | instskip(SKIP_1) | instid1(VALU_DEP_3)
	v_cndmask_b32_e64 v79, v79, v73, s6
	v_cmp_eq_u32_e64 s5, 0, v6
	v_dual_cndmask_b32 v74, v74, v76, s7 :: v_dual_cndmask_b32 v76, v76, v75, s7
	s_delay_alu instid0(VALU_DEP_1) | instskip(NEXT) | instid1(VALU_DEP_1)
	v_alignbit_b32 v80, v74, v76, v77
	v_dual_cndmask_b32 v75, v75, v79, s7 :: v_dual_cndmask_b32 v6, v80, v74, s5
	s_delay_alu instid0(VALU_DEP_1) | instskip(NEXT) | instid1(VALU_DEP_2)
	v_alignbit_b32 v78, v76, v75, v77
	v_bfe_u32 v74, v6, 29, 1
	v_cndmask_b32_e64 v72, v73, v72, s6
	s_delay_alu instid0(VALU_DEP_2) | instskip(NEXT) | instid1(VALU_DEP_2)
	v_dual_cndmask_b32 v73, v78, v76, s5 :: v_dual_sub_nc_u32 v78, 0, v74
	v_cndmask_b32_e64 v72, v79, v72, s7
	s_delay_alu instid0(VALU_DEP_2) | instskip(NEXT) | instid1(VALU_DEP_2)
	v_alignbit_b32 v76, v6, v73, 30
	v_alignbit_b32 v77, v75, v72, v77
	s_delay_alu instid0(VALU_DEP_1) | instskip(NEXT) | instid1(VALU_DEP_1)
	v_dual_cndmask_b32 v75, v77, v75, s5 :: v_dual_bitop2_b32 v76, v76, v78 bitop3:0x14
	v_clz_i32_u32_e32 v77, v76
	s_delay_alu instid0(VALU_DEP_2) | instskip(NEXT) | instid1(VALU_DEP_2)
	v_alignbit_b32 v73, v73, v75, 30
	v_min_u32_e32 v77, 32, v77
	v_alignbit_b32 v72, v75, v72, 30
	s_delay_alu instid0(VALU_DEP_2) | instskip(NEXT) | instid1(VALU_DEP_2)
	v_dual_sub_nc_u32 v75, 31, v77 :: v_dual_bitop2_b32 v73, v73, v78 bitop3:0x14
	v_xor_b32_e32 v72, v72, v78
	v_dual_lshrrev_b32 v78, 29, v6 :: v_dual_lshlrev_b32 v79, 23, v77
	v_lshrrev_b32_e32 v6, 30, v6
	s_delay_alu instid0(VALU_DEP_4) | instskip(NEXT) | instid1(VALU_DEP_4)
	v_alignbit_b32 v76, v76, v73, v75
	v_alignbit_b32 v72, v73, v72, v75
	s_delay_alu instid0(VALU_DEP_4) | instskip(NEXT) | instid1(VALU_DEP_2)
	v_lshlrev_b32_e32 v73, 31, v78
	v_alignbit_b32 v75, v76, v72, 9
	s_delay_alu instid0(VALU_DEP_2) | instskip(SKIP_1) | instid1(VALU_DEP_3)
	v_dual_lshrrev_b32 v76, 9, v76 :: v_dual_bitop2_b32 v78, 0.5, v73 bitop3:0x54
	v_or_b32_e32 v73, 0x33000000, v73
	v_clz_i32_u32_e32 v80, v75
	s_delay_alu instid0(VALU_DEP_3) | instskip(NEXT) | instid1(VALU_DEP_2)
	v_sub_nc_u32_e32 v78, v78, v79
	v_min_u32_e32 v79, 32, v80
	s_delay_alu instid0(VALU_DEP_1) | instskip(NEXT) | instid1(VALU_DEP_1)
	v_add_lshl_u32 v77, v79, v77, 23
	v_dual_sub_nc_u32 v73, v73, v77 :: v_dual_bitop2_b32 v76, v76, v78 bitop3:0x54
	v_not_b32_e32 v78, v79
	s_delay_alu instid0(VALU_DEP_1) | instskip(NEXT) | instid1(VALU_DEP_1)
	v_alignbit_b32 v72, v75, v72, v78
	v_lshrrev_b32_e32 v72, 9, v72
	s_delay_alu instid0(VALU_DEP_4) | instskip(NEXT) | instid1(VALU_DEP_2)
	v_mul_f32_e32 v80, 0x3fc90fda, v76
	v_dual_add_nc_u32 v73, v74, v6 :: v_dual_bitop2_b32 v72, v73, v72 bitop3:0x54
	s_delay_alu instid0(VALU_DEP_2) | instskip(NEXT) | instid1(VALU_DEP_1)
	v_fma_f32 v75, 0x3fc90fda, v76, -v80
	v_fmac_f32_e32 v75, 0x33a22168, v76
	s_delay_alu instid0(VALU_DEP_1) | instskip(NEXT) | instid1(VALU_DEP_1)
	v_fmac_f32_e32 v75, 0x3fc90fda, v72
	v_add_f32_e32 v72, v80, v75
                                        ; implicit-def: $vgpr75
	s_and_not1_saveexec_b32 s5, s28
	s_cbranch_execnz .LBB150_63
.LBB150_58:                             ;   in Loop: Header=BB150_4 Depth=1
	s_or_b32 exec_lo, exec_lo, s5
	s_and_saveexec_b32 s5, s4
	s_delay_alu instid0(SALU_CYCLE_1)
	s_xor_b32 s28, exec_lo, s5
	s_cbranch_execz .LBB150_64
.LBB150_59:                             ;   in Loop: Header=BB150_4 Depth=1
	v_dual_mul_f32 v6, 0x3fb8aa3b, v36 :: v_dual_mul_f32 v75, v43, v43
	v_dual_mul_f32 v78, v40, v40 :: v_dual_bitop2_b32 v39, v39, v38 bitop3:0x14
	v_dual_lshlrev_b32 v74, 30, v46 :: v_dual_bitop2_b32 v46, 1, v46 bitop3:0x40
	s_delay_alu instid0(VALU_DEP_3) | instskip(SKIP_1) | instid1(VALU_DEP_4)
	v_rndne_f32_e32 v76, v6
	v_fma_f32 v81, 0x3fb8aa3b, v36, -v6
	v_dual_fmaak_f32 v83, s27, v75, 0x3c0881c4 :: v_dual_fmaak_f32 v84, s27, v78, 0x3c0881c4
	s_delay_alu instid0(VALU_DEP_3) | instskip(SKIP_1) | instid1(VALU_DEP_3)
	v_dual_mul_f32 v79, v47, v47 :: v_dual_fmamk_f32 v80, v76, 0xbf317218, v36
	v_dual_fmaak_f32 v82, s26, v75, 0xbab64f3b :: v_dual_fmaak_f32 v85, s26, v78, 0xbab64f3b
	v_dual_sub_f32 v6, v6, v76 :: v_dual_fmaak_f32 v83, v75, v83, 0xbe2aaa9d
	v_fmac_f32_e32 v81, 0x32a5705f, v36
	s_delay_alu instid0(VALU_DEP_3) | instskip(SKIP_2) | instid1(VALU_DEP_3)
	v_dual_fmaak_f32 v82, v75, v82, 0x3d2aabf7 :: v_dual_fmaak_f32 v85, v78, v85, 0x3d2aabf7
	v_fmaak_f32 v84, v78, v84, 0xbe2aaa9d
	v_fmaak_f32 v86, s27, v79, 0x3c0881c4
	v_dual_add_f32 v6, v6, v81 :: v_dual_fmaak_f32 v81, v75, v82, 0xbf000004
	s_delay_alu instid0(VALU_DEP_3) | instskip(NEXT) | instid1(VALU_DEP_3)
	v_dual_mul_f32 v82, v75, v83 :: v_dual_mul_f32 v83, v78, v84
	v_fmaak_f32 v86, v79, v86, 0xbe2aaa9d
	v_fmac_f32_e32 v80, 0x3102e308, v76
	s_delay_alu instid0(VALU_DEP_4)
	v_exp_f32_e32 v6, v6
	v_dual_lshlrev_b32 v77, 30, v42 :: v_dual_bitop2_b32 v42, 1, v42 bitop3:0x40
	v_cmp_eq_u32_e64 s6, 0, v46
	v_cvt_i32_f32_e32 v46, v76
	v_dual_fmaak_f32 v84, v78, v85, 0xbf000004 :: v_dual_mul_f32 v85, v79, v86
	v_fmaak_f32 v87, s25, v80, 0x3ab69700
	v_cmp_ngt_f32_e64 s4, 0xc2ce8ed0, v36
	v_cmp_eq_u32_e64 s5, 0, v42
	v_ldexp_f32 v6, v6, v46
	v_fmac_f32_e32 v40, v40, v83
	v_dual_fmaak_f32 v42, v80, v87, 0x3c0887f9 :: v_dual_fmac_f32 v43, v43, v82
	v_cmp_eq_f32_e64 s7, 0x43000000, v76
	s_delay_alu instid0(VALU_DEP_4) | instskip(SKIP_1) | instid1(VALU_DEP_4)
	v_cndmask_b32_e64 v6, 0, v6, s4
	v_cmp_nlt_f32_e64 s4, 0x42b17218, v36
	v_dual_fmaak_f32 v42, v80, v42, 0x3d2aaa81 :: v_dual_fmac_f32 v47, v47, v85
	v_ldexp_f32 v76, 1.0, v46
	v_and_b32_e32 v77, 0x80000000, v77
	s_delay_alu instid0(VALU_DEP_4) | instskip(NEXT) | instid1(VALU_DEP_4)
	v_cndmask_b32_e64 v6, 0x7f800000, v6, s4
	v_fmaak_f32 v42, v80, v42, 0x3e2aaaab
	v_xor_b32_e32 v41, v41, v37
	v_cndmask_b32_e64 v76, v76, 0x7f000000, s7
	v_fmaak_f32 v88, s26, v79, 0xbab64f3b
	s_delay_alu instid0(VALU_DEP_4) | instskip(NEXT) | instid1(VALU_DEP_1)
	v_fma_f32 v42, v80, v42, 0.5
	v_dual_mul_f32 v42, v80, v42 :: v_dual_fmaak_f32 v87, v79, v88, 0x3d2aabf7
	s_delay_alu instid0(VALU_DEP_1) | instskip(NEXT) | instid1(VALU_DEP_2)
	v_fmac_f32_e32 v80, v80, v42
	v_dual_fmaak_f32 v86, v79, v87, 0xbf000004 :: v_dual_add_f32 v87, -1.0, v76
	v_fma_f32 v42, v75, v81, 1.0
	v_fma_f32 v75, v78, v84, 1.0
	s_delay_alu instid0(VALU_DEP_2) | instskip(NEXT) | instid1(VALU_DEP_2)
	v_dual_fmac_f32 v87, v76, v80 :: v_dual_cndmask_b32 v42, -v43, v42, s6
	v_cndmask_b32_e64 v40, v75, v40, s5
	v_and_b32_e32 v43, 1, v48
	v_cmp_class_f32_e64 s5, v38, 0x1f8
	s_delay_alu instid0(VALU_DEP_4) | instskip(NEXT) | instid1(VALU_DEP_4)
	v_dual_add_f32 v46, v87, v87 :: v_dual_lshlrev_b32 v38, 30, v48
	v_xor3_b32 v39, v39, v77, v40
	v_fma_f32 v40, v79, v86, 1.0
	v_cmp_eq_u32_e64 s6, 0, v43
	s_delay_alu instid0(VALU_DEP_4)
	v_cndmask_b32_e64 v43, v87, v46, s7
	v_cmp_nlt_f32_e64 s7, 0x42b17217, v36
	v_cndmask_b32_e64 v39, 0x7fc00000, v39, s5
	v_and_b32_e32 v38, 0x80000000, v38
	v_cndmask_b32_e64 v40, v40, v47, s6
	v_bitop3_b32 v42, v74, v42, 0x80000000 bitop3:0x6c
	v_cndmask_b32_e64 v43, 0x7f800000, v43, s7
	v_cmp_ngt_f32_e64 s5, 0xc1880000, v36
	v_cmp_class_f32_e64 s6, v37, 0x1f8
	v_add_f32_e32 v36, v39, v39
	v_xor3_b32 v37, v41, v38, v40
	s_delay_alu instid0(VALU_DEP_4) | instskip(NEXT) | instid1(VALU_DEP_4)
	v_cndmask_b32_e64 v38, -1.0, v43, s5
	v_cndmask_b32_e64 v40, 0x7fc00000, v42, s6
	s_delay_alu instid0(VALU_DEP_4) | instskip(NEXT) | instid1(VALU_DEP_4)
	v_mul_f32_e32 v36, v39, v36
	v_cndmask_b32_e64 v37, 0x7fc00000, v37, s6
	s_delay_alu instid0(VALU_DEP_2) | instskip(NEXT) | instid1(VALU_DEP_2)
	v_fma_f32 v36, v38, v40, -v36
	v_mul_f32_e32 v37, v6, v37
	global_store_b64 v[34:35], v[36:37], off
	s_wait_xcnt 0x0
	s_or_b32 exec_lo, exec_lo, s28
	s_and_saveexec_b32 s5, s3
	s_cbranch_execnz .LBB150_65
.LBB150_60:                             ;   in Loop: Header=BB150_4 Depth=1
	s_or_b32 exec_lo, exec_lo, s5
	s_and_saveexec_b32 s4, s2
	s_cbranch_execz .LBB150_66
.LBB150_61:                             ;   in Loop: Header=BB150_4 Depth=1
	v_dual_mul_f32 v6, 0x3fb8aa3b, v26 :: v_dual_lshlrev_b32 v35, 30, v60
	v_dual_mul_f32 v32, v61, v61 :: v_dual_bitop2_b32 v36, 1, v60 bitop3:0x40
	v_mul_f32_e32 v39, v65, v65
	s_delay_alu instid0(VALU_DEP_3) | instskip(SKIP_1) | instid1(VALU_DEP_4)
	v_rndne_f32_e32 v33, v6
	v_fma_f32 v40, 0x3fb8aa3b, v26, -v6
	v_fmaak_f32 v42, s27, v32, 0x3c0881c4
	v_dual_mul_f32 v37, v58, v58 :: v_dual_bitop2_b32 v34, v55, v53 bitop3:0x14
	s_delay_alu instid0(VALU_DEP_4) | instskip(SKIP_2) | instid1(VALU_DEP_4)
	v_dual_fmaak_f32 v45, s27, v39, 0x3c0881c4 :: v_dual_sub_f32 v6, v6, v33
	v_fmaak_f32 v41, s26, v32, 0xbab64f3b
	v_cvt_i32_f32_e32 v48, v33
	v_fmaak_f32 v44, s26, v37, 0xbab64f3b
	s_delay_alu instid0(VALU_DEP_4) | instskip(SKIP_3) | instid1(VALU_DEP_4)
	v_fmaak_f32 v45, v39, v45, 0xbe2aaa9d
	v_fmamk_f32 v38, v33, 0xbf317218, v26
	v_fmaak_f32 v41, v32, v41, 0x3d2aabf7
	v_cmp_eq_f32_e64 s2, 0x43000000, v33
	v_dual_fmaak_f32 v44, v37, v44, 0x3d2aabf7 :: v_dual_mul_f32 v45, v39, v45
	v_fmac_f32_e32 v40, 0x32a5705f, v26
	s_delay_alu instid0(VALU_DEP_4) | instskip(SKIP_1) | instid1(VALU_DEP_4)
	v_fmaak_f32 v41, v32, v41, 0xbf000004
	v_cmp_eq_u32_e64 s3, 0, v36
	v_fmaak_f32 v44, v37, v44, 0xbf000004
	v_fmac_f32_e32 v65, v65, v45
	v_dual_fmaak_f32 v43, s27, v37, 0x3c0881c4 :: v_dual_add_f32 v6, v6, v40
	v_fmaak_f32 v42, v32, v42, 0xbe2aaa9d
	v_ldexp_f32 v40, 1.0, v48
	v_dual_lshlrev_b32 v30, 30, v63 :: v_dual_bitop2_b32 v31, 1, v63 bitop3:0x40
	s_delay_alu instid0(VALU_DEP_4) | instskip(SKIP_1) | instid1(VALU_DEP_4)
	v_fmaak_f32 v43, v37, v43, 0xbe2aaa9d
	v_fmac_f32_e32 v38, 0x3102e308, v33
	v_cndmask_b32_e64 v33, v40, 0x7f000000, s2
	v_dual_fmaak_f32 v47, s26, v39, 0xbab64f3b :: v_dual_mul_f32 v42, v32, v42
	s_delay_alu instid0(VALU_DEP_3) | instskip(SKIP_1) | instid1(VALU_DEP_4)
	v_dual_mul_f32 v43, v37, v43 :: v_dual_fmaak_f32 v46, s25, v38, 0x3ab69700
	v_fma_f32 v32, v32, v41, 1.0
	v_add_f32_e32 v41, -1.0, v33
	v_exp_f32_e32 v6, v6
	s_delay_alu instid0(VALU_DEP_3) | instskip(SKIP_3) | instid1(TRANS32_DEP_1)
	v_dual_fmac_f32 v61, v61, v42 :: v_dual_fmac_f32 v58, v58, v43
	v_fmaak_f32 v46, v38, v46, 0x3c0887f9
	v_fma_f32 v37, v37, v44, 1.0
	v_and_b32_e32 v35, 0x80000000, v35
	v_ldexp_f32 v6, v6, v48
	s_delay_alu instid0(VALU_DEP_4) | instskip(NEXT) | instid1(VALU_DEP_1)
	v_fmaak_f32 v46, v38, v46, 0x3d2aaa81
	v_fmaak_f32 v46, v38, v46, 0x3e2aaaab
	s_delay_alu instid0(VALU_DEP_1) | instskip(NEXT) | instid1(VALU_DEP_1)
	v_fma_f32 v46, v38, v46, 0.5
	v_dual_mul_f32 v40, v38, v46 :: v_dual_fmaak_f32 v47, v39, v47, 0x3d2aabf7
	s_delay_alu instid0(VALU_DEP_1) | instskip(NEXT) | instid1(VALU_DEP_1)
	v_fmac_f32_e32 v38, v38, v40
	v_fmac_f32_e32 v41, v33, v38
	v_cndmask_b32_e64 v33, v37, v58, s3
	v_cmp_ngt_f32_e64 s3, 0xc2ce8ed0, v26
	s_delay_alu instid0(VALU_DEP_3) | instskip(NEXT) | instid1(VALU_DEP_2)
	v_dual_fmaak_f32 v47, v39, v47, 0xbf000004 :: v_dual_add_f32 v36, v41, v41
	v_cndmask_b32_e64 v6, 0, v6, s3
	v_cmp_eq_u32_e64 s3, 0, v31
	s_delay_alu instid0(VALU_DEP_1)
	v_cndmask_b32_e64 v31, -v61, v32, s3
	v_xor3_b32 v32, v34, v35, v33
	v_dual_cndmask_b32 v33, v41, v36, s2 :: v_dual_bitop2_b32 v34, 1, v66 bitop3:0x40
	v_cmp_class_f32_e64 s2, v53, 0x1f8
	v_fma_f32 v35, v39, v47, 1.0
	v_cmp_nlt_f32_e64 s3, 0x42b17218, v26
	v_bitop3_b32 v30, v30, v31, 0x80000000 bitop3:0x6c
	s_delay_alu instid0(VALU_DEP_4) | instskip(SKIP_1) | instid1(VALU_DEP_4)
	v_cndmask_b32_e64 v32, 0x7fc00000, v32, s2
	v_cmp_eq_u32_e64 s2, 0, v34
	v_cndmask_b32_e64 v6, 0x7f800000, v6, s3
	v_cmp_ngt_f32_e64 s3, 0xc1880000, v26
	s_delay_alu instid0(VALU_DEP_3) | instskip(SKIP_1) | instid1(VALU_DEP_1)
	v_cndmask_b32_e64 v34, v35, v65, s2
	v_cmp_nlt_f32_e64 s2, 0x42b17217, v26
	v_cndmask_b32_e64 v33, 0x7f800000, v33, s2
	v_lshlrev_b32_e32 v36, 30, v66
	v_cmp_class_f32_e64 s2, v27, 0x1f8
	s_delay_alu instid0(VALU_DEP_3) | instskip(NEXT) | instid1(VALU_DEP_3)
	v_cndmask_b32_e64 v26, -1.0, v33, s3
	v_and_b32_e32 v35, 0x80000000, v36
	v_dual_add_f32 v27, v32, v32 :: v_dual_bitop2_b32 v36, v59, v27 bitop3:0x14
	s_delay_alu instid0(VALU_DEP_4) | instskip(NEXT) | instid1(VALU_DEP_2)
	v_cndmask_b32_e64 v30, 0x7fc00000, v30, s2
	v_xor3_b32 v31, v36, v35, v34
	s_delay_alu instid0(VALU_DEP_3) | instskip(NEXT) | instid1(VALU_DEP_2)
	v_mul_f32_e32 v27, v32, v27
	v_cndmask_b32_e64 v31, 0x7fc00000, v31, s2
	s_delay_alu instid0(VALU_DEP_2) | instskip(NEXT) | instid1(VALU_DEP_2)
	v_fma_f32 v26, v26, v30, -v27
	v_mul_f32_e32 v27, v6, v31
	global_store_b64 v[28:29], v[26:27], off
	s_wait_xcnt 0x0
	s_or_b32 exec_lo, exec_lo, s4
	s_and_saveexec_b32 s3, vcc_lo
	s_cbranch_execz .LBB150_3
	s_branch .LBB150_67
.LBB150_62:                             ;   in Loop: Header=BB150_4 Depth=1
	s_and_not1_saveexec_b32 s5, s28
	s_cbranch_execz .LBB150_58
.LBB150_63:                             ;   in Loop: Header=BB150_4 Depth=1
	v_fma_f32 v72, 0xbfc90fda, v75, |v25|
	v_cvt_i32_f32_e32 v73, v75
	s_delay_alu instid0(VALU_DEP_2) | instskip(NEXT) | instid1(VALU_DEP_1)
	v_fmac_f32_e32 v72, 0xb3a22168, v75
	v_fmac_f32_e32 v72, 0xa7c234c4, v75
	s_or_b32 exec_lo, exec_lo, s5
	s_and_saveexec_b32 s5, s4
	s_delay_alu instid0(SALU_CYCLE_1)
	s_xor_b32 s28, exec_lo, s5
	s_cbranch_execnz .LBB150_59
.LBB150_64:                             ;   in Loop: Header=BB150_4 Depth=1
	s_or_b32 exec_lo, exec_lo, s28
	s_and_saveexec_b32 s5, s3
	s_cbranch_execz .LBB150_60
.LBB150_65:                             ;   in Loop: Header=BB150_4 Depth=1
	v_dual_mul_f32 v6, 0x3fb8aa3b, v32 :: v_dual_lshlrev_b32 v39, 30, v51
	v_dual_mul_f32 v36, v52, v52 :: v_dual_bitop2_b32 v40, 1, v51 bitop3:0x40
	v_dual_mul_f32 v41, v49, v49 :: v_dual_mul_f32 v43, v56, v56
	s_delay_alu instid0(VALU_DEP_3) | instskip(SKIP_2) | instid1(VALU_DEP_4)
	v_rndne_f32_e32 v37, v6
	v_xor_b32_e32 v38, v45, v44
	v_fma_f32 v45, 0x3fb8aa3b, v32, -v6
	v_dual_fmaak_f32 v47, s27, v36, 0x3c0881c4 :: v_dual_fmaak_f32 v48, s27, v41, 0x3c0881c4
	s_delay_alu instid0(VALU_DEP_4) | instskip(SKIP_1) | instid1(VALU_DEP_4)
	v_sub_f32_e32 v6, v6, v37
	v_dual_fmaak_f32 v46, s26, v36, 0xbab64f3b :: v_dual_fmaak_f32 v51, s26, v41, 0xbab64f3b
	v_fmac_f32_e32 v45, 0x32a5705f, v32
	v_fmaak_f32 v75, s26, v43, 0xbab64f3b
	v_dual_fmaak_f32 v47, v36, v47, 0xbe2aaa9d :: v_dual_fmaak_f32 v48, v41, v48, 0xbe2aaa9d
	v_fmamk_f32 v42, v37, 0xbf317218, v32
	s_delay_alu instid0(VALU_DEP_3) | instskip(NEXT) | instid1(VALU_DEP_3)
	v_dual_add_f32 v6, v6, v45 :: v_dual_fmaak_f32 v75, v43, v75, 0x3d2aabf7
	v_dual_mul_f32 v47, v36, v47 :: v_dual_mul_f32 v48, v41, v48
	s_delay_alu instid0(VALU_DEP_3) | instskip(SKIP_2) | instid1(VALU_DEP_3)
	v_fmac_f32_e32 v42, 0x3102e308, v37
	v_cvt_i32_f32_e32 v76, v37
	v_dual_fmaak_f32 v46, v36, v46, 0x3d2aabf7 :: v_dual_fmaak_f32 v51, v41, v51, 0x3d2aabf7
	v_dual_fmac_f32 v49, v49, v48 :: v_dual_fmaak_f32 v74, s25, v42, 0x3ab69700
	s_delay_alu instid0(VALU_DEP_3) | instskip(SKIP_2) | instid1(VALU_DEP_4)
	v_ldexp_f32 v45, 1.0, v76
	v_cmp_eq_f32_e64 s3, 0x43000000, v37
	v_dual_lshlrev_b32 v34, 30, v54 :: v_dual_bitop2_b32 v35, 1, v54 bitop3:0x40
	v_fmaak_f32 v74, v42, v74, 0x3c0887f9
	v_dual_fmaak_f32 v46, v36, v46, 0xbf000004 :: v_dual_fmaak_f32 v51, v41, v51, 0xbf000004
	s_delay_alu instid0(VALU_DEP_4) | instskip(SKIP_1) | instid1(VALU_DEP_3)
	v_cndmask_b32_e64 v37, v45, 0x7f000000, s3
	v_exp_f32_e32 v6, v6
	v_fmaak_f32 v74, v42, v74, 0x3d2aaa81
	v_fmaak_f32 v75, v43, v75, 0xbf000004
	v_fma_f32 v36, v36, v46, 1.0
	v_add_f32_e32 v46, -1.0, v37
	v_fma_f32 v41, v41, v51, 1.0
	v_fmaak_f32 v74, v42, v74, 0x3e2aaaab
	v_cmp_eq_u32_e64 s4, 0, v40
	v_ldexp_f32 v6, v6, v76
	v_and_b32_e32 v39, 0x80000000, v39
	s_delay_alu instid0(VALU_DEP_4) | instskip(NEXT) | instid1(VALU_DEP_1)
	v_fma_f32 v74, v42, v74, 0.5
	v_dual_fmaak_f32 v54, s27, v43, 0x3c0881c4 :: v_dual_mul_f32 v45, v42, v74
	s_delay_alu instid0(VALU_DEP_1) | instskip(NEXT) | instid1(VALU_DEP_1)
	v_dual_fmac_f32 v52, v52, v47 :: v_dual_fmac_f32 v42, v42, v45
	v_fmac_f32_e32 v46, v37, v42
	v_cndmask_b32_e64 v37, v41, v49, s4
	v_cmp_ngt_f32_e64 s4, 0xc2ce8ed0, v32
	s_delay_alu instid0(VALU_DEP_1) | instskip(SKIP_1) | instid1(VALU_DEP_1)
	v_cndmask_b32_e64 v6, 0, v6, s4
	v_cmp_eq_u32_e64 s4, 0, v35
	v_cndmask_b32_e64 v35, -v52, v36, s4
	v_cmp_nlt_f32_e64 s4, 0x42b17218, v32
	v_add_f32_e32 v40, v46, v46
	v_xor3_b32 v36, v38, v39, v37
	v_and_b32_e32 v38, 1, v57
	v_fma_f32 v39, v43, v75, 1.0
	v_cndmask_b32_e64 v6, 0x7f800000, v6, s4
	v_fmaak_f32 v54, v43, v54, 0xbe2aaa9d
	v_cndmask_b32_e64 v37, v46, v40, s3
	v_cmp_class_f32_e64 s3, v44, 0x1f8
	v_bitop3_b32 v34, v34, v35, 0x80000000 bitop3:0x6c
	v_cmp_ngt_f32_e64 s4, 0xc1880000, v32
	v_mul_f32_e32 v54, v43, v54
	s_delay_alu instid0(VALU_DEP_4) | instskip(SKIP_1) | instid1(VALU_DEP_3)
	v_cndmask_b32_e64 v36, 0x7fc00000, v36, s3
	v_cmp_eq_u32_e64 s3, 0, v38
	v_dual_fmac_f32 v56, v56, v54 :: v_dual_lshlrev_b32 v40, 30, v57
	s_delay_alu instid0(VALU_DEP_1) | instskip(SKIP_1) | instid1(VALU_DEP_3)
	v_cndmask_b32_e64 v38, v39, v56, s3
	v_cmp_nlt_f32_e64 s3, 0x42b17217, v32
	v_and_b32_e32 v39, 0x80000000, v40
	s_delay_alu instid0(VALU_DEP_2) | instskip(SKIP_1) | instid1(VALU_DEP_2)
	v_cndmask_b32_e64 v37, 0x7f800000, v37, s3
	v_cmp_class_f32_e64 s3, v33, 0x1f8
	v_cndmask_b32_e64 v32, -1.0, v37, s4
	s_delay_alu instid0(VALU_DEP_2) | instskip(SKIP_1) | instid1(VALU_DEP_1)
	v_cndmask_b32_e64 v34, 0x7fc00000, v34, s3
	v_dual_add_f32 v33, v36, v36 :: v_dual_bitop2_b32 v40, v50, v33 bitop3:0x14
	v_mul_f32_e32 v33, v36, v33
	s_delay_alu instid0(VALU_DEP_1) | instskip(NEXT) | instid1(VALU_DEP_3)
	v_fma_f32 v32, v32, v34, -v33
	v_xor3_b32 v35, v40, v39, v38
	s_delay_alu instid0(VALU_DEP_1) | instskip(NEXT) | instid1(VALU_DEP_1)
	v_cndmask_b32_e64 v35, 0x7fc00000, v35, s3
	v_mul_f32_e32 v33, v6, v35
	global_store_b64 v[30:31], v[32:33], off
	s_wait_xcnt 0x0
	s_or_b32 exec_lo, exec_lo, s5
	s_and_saveexec_b32 s4, s2
	s_cbranch_execnz .LBB150_61
.LBB150_66:                             ;   in Loop: Header=BB150_4 Depth=1
	s_or_b32 exec_lo, exec_lo, s4
	s_and_saveexec_b32 s3, vcc_lo
	s_cbranch_execz .LBB150_3
.LBB150_67:                             ;   in Loop: Header=BB150_4 Depth=1
	v_dual_mul_f32 v6, 0x3fb8aa3b, v24 :: v_dual_lshlrev_b32 v31, 30, v69
	v_dual_mul_f32 v28, v70, v70 :: v_dual_bitop2_b32 v32, 1, v69 bitop3:0x40
	v_dual_mul_f32 v33, v67, v67 :: v_dual_bitop2_b32 v30, v64, v62 bitop3:0x14
	s_delay_alu instid0(VALU_DEP_3) | instskip(NEXT) | instid1(VALU_DEP_3)
	v_rndne_f32_e32 v29, v6
	v_fmaak_f32 v38, s27, v28, 0x3c0881c4
	v_fma_f32 v36, 0x3fb8aa3b, v24, -v6
	s_delay_alu instid0(VALU_DEP_4) | instskip(NEXT) | instid1(VALU_DEP_4)
	v_dual_fmaak_f32 v37, s26, v28, 0xbab64f3b :: v_dual_fmaak_f32 v40, s26, v33, 0xbab64f3b
	v_dual_fmamk_f32 v34, v29, 0xbf317218, v24 :: v_dual_mul_f32 v35, v72, v72
	v_fmaak_f32 v39, s27, v33, 0x3c0881c4
	v_fmaak_f32 v38, v28, v38, 0xbe2aaa9d
	v_sub_f32_e32 v6, v6, v29
	v_cmp_eq_f32_e32 vcc_lo, 0x43000000, v29
	v_fmaak_f32 v41, s27, v35, 0x3c0881c4
	v_fmaak_f32 v39, v33, v39, 0xbe2aaa9d
	v_fmac_f32_e32 v34, 0x3102e308, v29
	v_mul_f32_e32 v38, v28, v38
	v_fmac_f32_e32 v36, 0x32a5705f, v24
	v_fmaak_f32 v41, v35, v41, 0xbe2aaa9d
	s_delay_alu instid0(VALU_DEP_4) | instskip(SKIP_1) | instid1(VALU_DEP_4)
	v_dual_mul_f32 v39, v33, v39 :: v_dual_fmaak_f32 v42, s25, v34, 0x3ab69700
	v_cvt_i32_f32_e32 v44, v29
	v_dual_fmaak_f32 v43, s26, v35, 0xbab64f3b :: v_dual_add_f32 v6, v6, v36
	s_delay_alu instid0(VALU_DEP_3) | instskip(NEXT) | instid1(VALU_DEP_4)
	v_dual_mul_f32 v41, v35, v41 :: v_dual_fmaak_f32 v42, v34, v42, 0x3c0887f9
	v_fmac_f32_e32 v67, v67, v39
	v_dual_fmaak_f32 v37, v28, v37, 0x3d2aabf7 :: v_dual_fmaak_f32 v40, v33, v40, 0x3d2aabf7
	v_ldexp_f32 v36, 1.0, v44
	s_delay_alu instid0(VALU_DEP_4) | instskip(SKIP_1) | instid1(VALU_DEP_3)
	v_fmaak_f32 v42, v34, v42, 0x3d2aaa81
	v_exp_f32_e32 v6, v6
	v_dual_fmaak_f32 v37, v28, v37, 0xbf000004 :: v_dual_fmaak_f32 v40, v33, v40, 0xbf000004
	s_delay_alu instid0(VALU_DEP_3) | instskip(NEXT) | instid1(VALU_DEP_3)
	v_cndmask_b32_e64 v29, v36, 0x7f000000, vcc_lo
	v_fmaak_f32 v42, v34, v42, 0x3e2aaaab
	v_cmp_eq_u32_e64 s2, 0, v32
	s_delay_alu instid0(VALU_DEP_4)
	v_fma_f32 v28, v28, v37, 1.0
	v_fma_f32 v33, v33, v40, 1.0
	v_add_f32_e32 v37, -1.0, v29
	v_fma_f32 v42, v34, v42, 0.5
	v_fmaak_f32 v43, v35, v43, 0x3d2aabf7
	v_dual_lshlrev_b32 v26, 30, v71 :: v_dual_bitop2_b32 v27, 1, v71 bitop3:0x40
	v_fmac_f32_e32 v70, v70, v38
	s_delay_alu instid0(VALU_DEP_3) | instskip(SKIP_3) | instid1(VALU_DEP_4)
	v_dual_mul_f32 v36, v34, v42 :: v_dual_fmaak_f32 v43, v35, v43, 0xbf000004
	v_fmac_f32_e32 v72, v72, v41
	v_ldexp_f32 v6, v6, v44
	v_and_b32_e32 v31, 0x80000000, v31
	v_fmac_f32_e32 v34, v34, v36
	s_delay_alu instid0(VALU_DEP_1) | instskip(SKIP_2) | instid1(VALU_DEP_1)
	v_fmac_f32_e32 v37, v29, v34
	v_cndmask_b32_e64 v29, v33, v67, s2
	v_cmp_ngt_f32_e64 s2, 0xc2ce8ed0, v24
	v_cndmask_b32_e64 v6, 0, v6, s2
	v_cmp_eq_u32_e64 s2, 0, v27
	s_delay_alu instid0(VALU_DEP_1)
	v_cndmask_b32_e64 v27, -v70, v28, s2
	v_xor3_b32 v28, v30, v31, v29
	v_fma_f32 v31, v35, v43, 1.0
	v_add_f32_e32 v32, v37, v37
	v_cmp_nlt_f32_e64 s2, 0x42b17218, v24
	v_and_b32_e32 v30, 1, v73
	v_bitop3_b32 v26, v26, v27, 0x80000000 bitop3:0x6c
	s_delay_alu instid0(VALU_DEP_4)
	v_cndmask_b32_e32 v29, v37, v32, vcc_lo
	v_cmp_class_f32_e64 vcc_lo, v62, 0x1f8
	v_cndmask_b32_e64 v6, 0x7f800000, v6, s2
	v_lshlrev_b32_e32 v32, 30, v73
	v_cmp_ngt_f32_e64 s2, 0xc1880000, v24
	v_cndmask_b32_e32 v28, 0x7fc00000, v28, vcc_lo
	v_cmp_eq_u32_e32 vcc_lo, 0, v30
	v_cndmask_b32_e32 v30, v31, v72, vcc_lo
	v_and_b32_e32 v31, 0x80000000, v32
	v_xor_b32_e32 v32, v68, v25
	v_cmp_nlt_f32_e32 vcc_lo, 0x42b17217, v24
	s_delay_alu instid0(VALU_DEP_2) | instskip(SKIP_2) | instid1(VALU_DEP_2)
	v_xor3_b32 v27, v32, v31, v30
	v_cndmask_b32_e32 v29, 0x7f800000, v29, vcc_lo
	v_cmp_class_f32_e64 vcc_lo, v25, 0x1f8
	v_dual_add_f32 v25, v28, v28 :: v_dual_cndmask_b32 v24, -1.0, v29, s2
	s_delay_alu instid0(VALU_DEP_1) | instskip(SKIP_1) | instid1(VALU_DEP_1)
	v_dual_cndmask_b32 v26, 0x7fc00000, v26 :: v_dual_mul_f32 v25, v28, v25
	v_cndmask_b32_e32 v27, 0x7fc00000, v27, vcc_lo
	v_dual_fma_f32 v24, v24, v26, -v25 :: v_dual_mul_f32 v25, v6, v27
	global_store_b64 v[22:23], v[24:25], off
	s_branch .LBB150_3
.LBB150_68:
	s_cbranch_execz .LBB150_70
	s_branch .LBB150_121
.LBB150_69:
.LBB150_70:
	v_min_i64 v[10:11], 0x10000, s[12:13]
	v_dual_mov_b32 v13, 0 :: v_dual_lshlrev_b32 v12, 2, v0
	s_mov_b32 s2, exec_lo
	s_delay_alu instid0(VALU_DEP_1)
	v_cmpx_lt_i64_e64 v[12:13], v[10:11]
	s_cbranch_execz .LBB150_121
; %bb.71:
	s_load_b32 s2, s[0:1], 0xd3c
	v_dual_mov_b32 v1, v13 :: v_dual_lshlrev_b32 v12, 5, v0
	s_wait_xcnt 0x0
	s_add_nc_u64 s[0:1], s[8:9], s[10:11]
	s_mov_b32 s3, 0
	s_mov_b32 s8, 0x7fffff
	s_mov_b64 s[4:5], 0xfe5163ab
	v_add_nc_u64_e32 v[14:15], s[0:1], v[12:13]
	s_mov_b32 s9, 0x395133b1
	s_mov_b32 s10, 0x37d75334
	;; [unrolled: 1-line block ×5, first 2 shown]
	s_wait_kmcnt 0x0
	s_and_b32 s2, s2, 0xffff
	s_delay_alu instid0(SALU_CYCLE_1)
	s_lshl_b32 s6, s2, 5
	s_branch .LBB150_73
.LBB150_72:                             ;   in Loop: Header=BB150_73 Depth=1
	s_or_b32 exec_lo, exec_lo, s0
	v_dual_mul_f32 v51, 0x3fb8aa3b, v2 :: v_dual_mul_f32 v52, v44, v44
	v_dual_mul_f32 v56, 0x3fb8aa3b, v8 :: v_dual_mul_f32 v59, v47, v47
	v_dual_mul_f32 v54, v38, v38 :: v_dual_lshlrev_b32 v57, 30, v40
	s_delay_alu instid0(VALU_DEP_3) | instskip(NEXT) | instid1(VALU_DEP_3)
	v_rndne_f32_e32 v55, v51
	v_rndne_f32_e32 v65, v56
	v_fma_f32 v60, 0x3fb8aa3b, v2, -v51
	v_and_b32_e32 v40, 1, v40
	v_dual_fmaak_f32 v61, s10, v52, 0xbab64f3b :: v_dual_fmaak_f32 v64, s10, v54, 0xbab64f3b
	v_fmamk_f32 v58, v55, 0xbf317218, v2
	v_dual_fmamk_f32 v70, v65, 0xbf317218, v8 :: v_dual_sub_f32 v51, v51, v55
	v_dual_fmaak_f32 v62, s11, v52, 0x3c0881c4 :: v_dual_fmaak_f32 v63, s11, v54, 0x3c0881c4
	v_cvt_i32_f32_e32 v69, v55
	s_delay_alu instid0(VALU_DEP_3) | instskip(SKIP_4) | instid1(VALU_DEP_3)
	v_fmac_f32_e32 v70, 0x3102e308, v65
	v_fmac_f32_e32 v60, 0x32a5705f, v2
	;; [unrolled: 1-line block ×3, first 2 shown]
	v_dual_fmaak_f32 v61, v52, v61, 0x3d2aabf7 :: v_dual_fmaak_f32 v64, v54, v64, 0x3d2aabf7
	v_dual_fmaak_f32 v62, v52, v62, 0xbe2aaa9d :: v_dual_fmaak_f32 v63, v54, v63, 0xbe2aaa9d
	v_dual_add_f32 v51, v51, v60 :: v_dual_fmaak_f32 v66, s9, v58, 0x3ab69700
	s_delay_alu instid0(VALU_DEP_2) | instskip(SKIP_2) | instid1(VALU_DEP_4)
	v_dual_fmaak_f32 v67, s11, v59, 0x3c0881c4 :: v_dual_mul_f32 v62, v52, v62
	v_ldexp_f32 v71, 1.0, v69
	v_fmaak_f32 v60, v52, v61, 0xbf000004
	v_fmaak_f32 v66, v58, v66, 0x3c0887f9
	v_cmp_eq_f32_e32 vcc_lo, 0x43000000, v55
	v_dual_lshlrev_b32 v53, 30, v46 :: v_dual_bitop2_b32 v46, 1, v46 bitop3:0x40
	v_dual_mul_f32 v63, v54, v63 :: v_dual_bitop2_b32 v35, v35, v34 bitop3:0x14
	s_delay_alu instid0(VALU_DEP_4)
	v_fmaak_f32 v66, v58, v66, 0x3d2aaa81
	v_cndmask_b32_e64 v55, v71, 0x7f000000, vcc_lo
	v_fmaak_f32 v64, v54, v64, 0xbf000004
	v_fma_f32 v52, v52, v60, 1.0
	v_cmp_eq_u32_e64 s0, 0, v46
	v_fmaak_f32 v66, v58, v66, 0x3e2aaaab
	v_exp_f32_e32 v51, v51
	v_fmac_f32_e32 v38, v38, v63
	v_fma_f32 v54, v54, v64, 1.0
	v_and_b32_e32 v57, 0x80000000, v57
	v_fma_f32 v61, v58, v66, 0.5
	v_xor_b32_e32 v39, v39, v3
	v_cmp_nlt_f32_e64 s1, 0x42b17218, v8
	v_fmac_f32_e32 v44, v44, v62
	v_ldexp_f32 v51, v51, v69
	v_mul_f32_e32 v61, v58, v61
	v_fmaak_f32 v67, v59, v67, 0xbe2aaa9d
	v_xor_b32_e32 v17, v17, v16
	v_xor_b32_e32 v19, v19, v7
	v_add_nc_u64_e32 v[0:1], s[2:3], v[0:1]
	s_delay_alu instid0(VALU_DEP_4) | instskip(SKIP_1) | instid1(VALU_DEP_2)
	v_dual_fmac_f32 v58, v58, v61 :: v_dual_mul_f32 v66, v59, v67
	v_add_f32_e32 v67, -1.0, v55
	v_dual_fmaak_f32 v68, s10, v59, 0xbab64f3b :: v_dual_fmac_f32 v47, v47, v66
	s_delay_alu instid0(VALU_DEP_2) | instskip(SKIP_1) | instid1(VALU_DEP_3)
	v_dual_fmac_f32 v67, v55, v58 :: v_dual_cndmask_b32 v44, -v44, v52, s0
	v_cmp_eq_u32_e64 s0, 0, v40
	v_fmaak_f32 v68, v59, v68, 0x3d2aabf7
	s_delay_alu instid0(VALU_DEP_3) | instskip(NEXT) | instid1(VALU_DEP_4)
	v_dual_sub_f32 v52, v56, v65 :: v_dual_add_f32 v46, v67, v67
	v_bitop3_b32 v44, v53, v44, 0x80000000 bitop3:0x6c
	s_delay_alu instid0(VALU_DEP_4) | instskip(SKIP_1) | instid1(VALU_DEP_4)
	v_cndmask_b32_e64 v38, v54, v38, s0
	v_cmp_class_f32_e64 s0, v3, 0x1f8
	v_cndmask_b32_e32 v46, v67, v46, vcc_lo
	v_cmp_ngt_f32_e32 vcc_lo, 0xc2ce8ed0, v2
	s_delay_alu instid0(VALU_DEP_4) | instskip(NEXT) | instid1(VALU_DEP_4)
	v_xor3_b32 v35, v35, v57, v38
	v_cndmask_b32_e64 v44, 0x7fc00000, v44, s0
	v_cndmask_b32_e32 v38, 0, v51, vcc_lo
	v_cmp_nlt_f32_e32 vcc_lo, 0x42b17217, v2
	v_cvt_i32_f32_e32 v51, v65
	v_cndmask_b32_e32 v46, 0x7f800000, v46, vcc_lo
	v_cmp_nlt_f32_e32 vcc_lo, 0x42b17218, v2
	v_cndmask_b32_e32 v38, 0x7f800000, v38, vcc_lo
	v_cmp_ngt_f32_e32 vcc_lo, 0xc1880000, v2
	s_delay_alu instid0(VALU_DEP_4) | instskip(SKIP_3) | instid1(VALU_DEP_2)
	v_cndmask_b32_e32 v2, -1.0, v46, vcc_lo
	v_cmp_class_f32_e64 vcc_lo, v34, 0x1f8
	v_fmaak_f32 v46, v59, v68, 0xbf000004
	v_cndmask_b32_e32 v34, 0x7fc00000, v35, vcc_lo
	v_fma_f32 v46, v59, v46, 1.0
	s_delay_alu instid0(VALU_DEP_2) | instskip(NEXT) | instid1(VALU_DEP_1)
	v_add_f32_e32 v3, v34, v34
	v_mul_f32_e32 v3, v34, v3
	v_fmaak_f32 v55, s9, v70, 0x3ab69700
	s_delay_alu instid0(VALU_DEP_1) | instskip(NEXT) | instid1(VALU_DEP_1)
	v_fmaak_f32 v40, v70, v55, 0x3c0887f9
	v_fmaak_f32 v40, v70, v40, 0x3d2aaa81
	s_delay_alu instid0(VALU_DEP_1) | instskip(SKIP_3) | instid1(VALU_DEP_4)
	v_fmaak_f32 v35, v70, v40, 0x3e2aaaab
	v_and_b32_e32 v40, 1, v48
	v_dual_fma_f32 v2, v2, v44, -v3 :: v_dual_lshlrev_b32 v44, 30, v31
	v_and_b32_e32 v31, 1, v31
	v_fma_f32 v35, v70, v35, 0.5
	s_delay_alu instid0(VALU_DEP_4) | instskip(NEXT) | instid1(VALU_DEP_2)
	v_cmp_eq_u32_e32 vcc_lo, 0, v40
	v_dual_mul_f32 v35, v70, v35 :: v_dual_lshlrev_b32 v48, 30, v48
	v_cndmask_b32_e32 v40, v46, v47, vcc_lo
	v_ldexp_f32 v46, 1.0, v51
	v_cmp_eq_f32_e32 vcc_lo, 0x43000000, v65
	s_delay_alu instid0(VALU_DEP_4) | instskip(SKIP_1) | instid1(VALU_DEP_4)
	v_and_b32_e32 v47, 0x80000000, v48
	v_fma_f32 v48, 0x3fb8aa3b, v8, -v56
	v_cndmask_b32_e64 v46, v46, 0x7f000000, vcc_lo
	s_delay_alu instid0(VALU_DEP_3) | instskip(NEXT) | instid1(VALU_DEP_3)
	v_xor3_b32 v39, v39, v47, v40
	v_fmac_f32_e32 v48, 0x32a5705f, v8
	v_dual_fmac_f32 v70, v70, v35 :: v_dual_mul_f32 v47, 0x3fb8aa3b, v6
	s_delay_alu instid0(VALU_DEP_4) | instskip(NEXT) | instid1(VALU_DEP_4)
	v_add_f32_e32 v35, -1.0, v46
	v_cndmask_b32_e64 v34, 0x7fc00000, v39, s0
	s_delay_alu instid0(VALU_DEP_4) | instskip(SKIP_1) | instid1(VALU_DEP_4)
	v_add_f32_e32 v40, v52, v48
	v_cmp_class_f32_e64 s0, v9, 0x1f8
	v_fmac_f32_e32 v35, v46, v70
	v_mul_f32_e32 v46, v30, v30
	s_delay_alu instid0(VALU_DEP_4) | instskip(NEXT) | instid1(VALU_DEP_2)
	v_exp_f32_e32 v39, v40
	v_dual_mul_f32 v3, v38, v34 :: v_dual_add_f32 v40, v35, v35
	s_delay_alu instid0(VALU_DEP_2) | instskip(NEXT) | instid1(TRANS32_DEP_1)
	v_fmaak_f32 v38, s11, v46, 0x3c0881c4
	v_ldexp_f32 v39, v39, v51
	s_delay_alu instid0(VALU_DEP_3) | instskip(SKIP_3) | instid1(VALU_DEP_3)
	v_cndmask_b32_e32 v34, v35, v40, vcc_lo
	v_dual_fmaak_f32 v35, s10, v46, 0xbab64f3b :: v_dual_mul_f32 v40, v27, v27
	v_cmp_nlt_f32_e32 vcc_lo, 0x42b17217, v8
	v_dual_fmaak_f32 v38, v46, v38, 0xbe2aaa9d :: v_dual_mul_f32 v51, v32, v32
	v_fmaak_f32 v35, v46, v35, 0x3d2aabf7
	v_cndmask_b32_e32 v34, 0x7f800000, v34, vcc_lo
	v_cmp_ngt_f32_e32 vcc_lo, 0xc2ce8ed0, v8
	s_delay_alu instid0(VALU_DEP_3) | instskip(SKIP_2) | instid1(VALU_DEP_3)
	v_dual_mul_f32 v38, v46, v38 :: v_dual_fmaak_f32 v35, v46, v35, 0xbf000004
	v_cndmask_b32_e32 v39, 0, v39, vcc_lo
	v_cmp_ngt_f32_e32 vcc_lo, 0xc1880000, v8
	v_fma_f32 v35, v46, v35, 1.0
	s_delay_alu instid0(VALU_DEP_4)
	v_fmac_f32_e32 v30, v30, v38
	v_fmaak_f32 v38, s11, v40, 0x3c0881c4
	v_fmaak_f32 v46, s10, v40, 0xbab64f3b
	v_cndmask_b32_e32 v34, -1.0, v34, vcc_lo
	v_cmp_eq_u32_e32 vcc_lo, 0, v31
	v_dual_lshlrev_b32 v31, 30, v29 :: v_dual_bitop2_b32 v29, 1, v29 bitop3:0x40
	v_cndmask_b32_e64 v30, -v30, v35, vcc_lo
	v_fmaak_f32 v35, v40, v38, 0xbe2aaa9d
	v_fmaak_f32 v38, v40, v46, 0x3d2aabf7
	v_rndne_f32_e32 v46, v47
	v_cmp_eq_u32_e32 vcc_lo, 0, v29
	s_delay_alu instid0(VALU_DEP_4) | instskip(NEXT) | instid1(VALU_DEP_4)
	v_dual_mul_f32 v35, v40, v35 :: v_dual_bitop2_b32 v26, v26, v25 bitop3:0x14
	v_fmaak_f32 v38, v40, v38, 0xbf000004
	s_delay_alu instid0(VALU_DEP_4)
	v_fmamk_f32 v48, v46, 0xbf317218, v6
	v_and_b32_e32 v31, 0x80000000, v31
	v_bitop3_b32 v30, v44, v30, 0x80000000 bitop3:0x6c
	v_fmac_f32_e32 v27, v27, v35
	v_fma_f32 v35, v40, v38, 1.0
	v_fmac_f32_e32 v48, 0x3102e308, v46
	v_fmaak_f32 v38, s11, v51, 0x3c0881c4
	v_fmaak_f32 v40, s10, v51, 0xbab64f3b
	s_delay_alu instid0(VALU_DEP_4) | instskip(NEXT) | instid1(VALU_DEP_4)
	v_cndmask_b32_e32 v27, v35, v27, vcc_lo
	v_fmaak_f32 v29, s9, v48, 0x3ab69700
	v_cmp_class_f32_e64 vcc_lo, v25, 0x1f8
	v_fmaak_f32 v35, v51, v38, 0xbe2aaa9d
	v_fmaak_f32 v38, v51, v40, 0x3d2aabf7
	v_xor3_b32 v26, v26, v31, v27
	v_fmaak_f32 v27, v48, v29, 0x3c0887f9
	s_delay_alu instid0(VALU_DEP_4) | instskip(SKIP_1) | instid1(VALU_DEP_4)
	v_mul_f32_e32 v29, v51, v35
	v_cvt_i32_f32_e32 v35, v46
	v_cndmask_b32_e32 v25, 0x7fc00000, v26, vcc_lo
	s_delay_alu instid0(VALU_DEP_4) | instskip(SKIP_2) | instid1(VALU_DEP_3)
	v_fmaak_f32 v26, v48, v27, 0x3d2aaa81
	v_and_b32_e32 v27, 1, v33
	v_fmac_f32_e32 v32, v32, v29
	v_fmaak_f32 v26, v48, v26, 0x3e2aaaab
	s_delay_alu instid0(VALU_DEP_3) | instskip(NEXT) | instid1(VALU_DEP_2)
	v_cmp_eq_u32_e32 vcc_lo, 0, v27
	v_fma_f32 v26, v48, v26, 0.5
	s_delay_alu instid0(VALU_DEP_1) | instskip(NEXT) | instid1(VALU_DEP_1)
	v_mul_f32_e32 v26, v48, v26
	v_fmac_f32_e32 v48, v48, v26
	v_fmaak_f32 v31, v51, v38, 0xbf000004
	v_sub_f32_e32 v38, v47, v46
	s_delay_alu instid0(VALU_DEP_2) | instskip(SKIP_1) | instid1(VALU_DEP_2)
	v_fma_f32 v29, v51, v31, 1.0
	v_add_f32_e32 v31, v25, v25
	v_dual_cndmask_b32 v27, v29, v32 :: v_dual_lshlrev_b32 v32, 30, v33
	v_ldexp_f32 v33, 1.0, v35
	v_cmp_eq_f32_e32 vcc_lo, 0x43000000, v46
	v_fma_f32 v29, 0x3fb8aa3b, v6, -v47
	v_mul_f32_e32 v25, v25, v31
	v_and_b32_e32 v32, 0x80000000, v32
	v_xor_b32_e32 v28, v28, v9
	v_cndmask_b32_e64 v33, v33, 0x7f000000, vcc_lo
	v_fmac_f32_e32 v29, 0x32a5705f, v6
	v_cndmask_b32_e64 v9, 0x7fc00000, v30, s0
	s_delay_alu instid0(VALU_DEP_3) | instskip(NEXT) | instid1(VALU_DEP_3)
	v_add_f32_e32 v26, -1.0, v33
	v_add_f32_e32 v29, v38, v29
	s_delay_alu instid0(VALU_DEP_3) | instskip(SKIP_1) | instid1(VALU_DEP_4)
	v_fma_f32 v8, v34, v9, -v25
	v_xor3_b32 v27, v28, v32, v27
	v_fmac_f32_e32 v26, v33, v48
	s_delay_alu instid0(VALU_DEP_4)
	v_exp_f32_e32 v28, v29
	v_nop
	v_cndmask_b32_e64 v29, 0x7f800000, v39, s1
	v_cndmask_b32_e64 v27, 0x7fc00000, v27, s0
	v_dual_add_f32 v30, v26, v26 :: v_dual_lshlrev_b32 v33, 30, v20
	v_cmp_class_f32_e64 s0, v7, 0x1f8
	s_delay_alu instid0(TRANS32_DEP_1) | instskip(NEXT) | instid1(VALU_DEP_3)
	v_ldexp_f32 v25, v28, v35
	v_dual_mul_f32 v28, v21, v21 :: v_dual_cndmask_b32 v26, v26, v30, vcc_lo
	v_cmp_ngt_f32_e32 vcc_lo, 0xc2ce8ed0, v6
	v_mul_f32_e32 v9, v29, v27
	s_delay_alu instid0(VALU_DEP_3) | instskip(SKIP_3) | instid1(VALU_DEP_4)
	v_fmaak_f32 v27, s10, v28, 0xbab64f3b
	v_fmaak_f32 v29, s11, v28, 0x3c0881c4
	v_cndmask_b32_e32 v25, 0, v25, vcc_lo
	v_cmp_nlt_f32_e32 vcc_lo, 0x42b17217, v6
	v_dual_fmaak_f32 v27, v28, v27, 0x3d2aabf7 :: v_dual_lshlrev_b32 v30, 30, v22
	s_delay_alu instid0(VALU_DEP_4) | instskip(SKIP_2) | instid1(VALU_DEP_4)
	v_fmaak_f32 v29, v28, v29, 0xbe2aaa9d
	v_cndmask_b32_e32 v26, 0x7f800000, v26, vcc_lo
	v_cmp_nlt_f32_e32 vcc_lo, 0x42b17218, v6
	v_fmaak_f32 v27, v28, v27, 0xbf000004
	s_delay_alu instid0(VALU_DEP_4) | instskip(SKIP_2) | instid1(VALU_DEP_4)
	v_mul_f32_e32 v29, v28, v29
	v_cndmask_b32_e32 v25, 0x7f800000, v25, vcc_lo
	v_cmp_ngt_f32_e32 vcc_lo, 0xc1880000, v6
	v_fma_f32 v27, v28, v27, 1.0
	s_delay_alu instid0(VALU_DEP_4) | instskip(SKIP_2) | instid1(VALU_DEP_3)
	v_dual_mul_f32 v28, 0x3fb8aa3b, v4 :: v_dual_fmac_f32 v21, v21, v29
	v_dual_cndmask_b32 v6, -1.0, v26, vcc_lo :: v_dual_bitop2_b32 v20, 1, v20 bitop3:0x40
	v_mul_f32_e32 v26, v18, v18
	v_rndne_f32_e32 v29, v28
	s_delay_alu instid0(VALU_DEP_3) | instskip(NEXT) | instid1(VALU_DEP_3)
	v_cmp_eq_u32_e32 vcc_lo, 0, v20
	v_fmaak_f32 v31, s11, v26, 0x3c0881c4
	v_fmaak_f32 v32, s10, v26, 0xbab64f3b
	s_delay_alu instid0(VALU_DEP_4) | instskip(NEXT) | instid1(VALU_DEP_3)
	v_fmamk_f32 v34, v29, 0xbf317218, v4
	v_fmaak_f32 v31, v26, v31, 0xbe2aaa9d
	s_delay_alu instid0(VALU_DEP_3) | instskip(NEXT) | instid1(VALU_DEP_2)
	v_fmaak_f32 v32, v26, v32, 0x3d2aabf7
	v_dual_fmac_f32 v34, 0x3102e308, v29 :: v_dual_mul_f32 v31, v26, v31
	s_delay_alu instid0(VALU_DEP_2) | instskip(NEXT) | instid1(VALU_DEP_2)
	v_fmaak_f32 v32, v26, v32, 0xbf000004
	v_dual_fmac_f32 v18, v18, v31 :: v_dual_bitop2_b32 v22, 1, v22 bitop3:0x40
	s_delay_alu instid0(VALU_DEP_2) | instskip(SKIP_2) | instid1(VALU_DEP_3)
	v_fma_f32 v26, v26, v32, 1.0
	v_mul_f32_e32 v31, v23, v23
	v_and_b32_e32 v32, 0x80000000, v33
	v_cndmask_b32_e32 v18, v26, v18, vcc_lo
	s_delay_alu instid0(VALU_DEP_3) | instskip(SKIP_2) | instid1(VALU_DEP_4)
	v_fmaak_f32 v20, s11, v31, 0x3c0881c4
	v_fmaak_f32 v26, s10, v31, 0xbab64f3b
	v_cmp_eq_u32_e32 vcc_lo, 0, v22
	v_xor3_b32 v17, v17, v32, v18
	s_delay_alu instid0(VALU_DEP_4) | instskip(NEXT) | instid1(VALU_DEP_4)
	v_fmaak_f32 v18, v31, v20, 0xbe2aaa9d
	v_fmaak_f32 v20, v31, v26, 0x3d2aabf7
	v_cndmask_b32_e64 v21, -v21, v27, vcc_lo
	v_cmp_class_f32_e64 vcc_lo, v16, 0x1f8
	v_dual_lshlrev_b32 v24, 30, v24 :: v_dual_bitop2_b32 v26, 1, v24 bitop3:0x40
	v_dual_cndmask_b32 v16, 0x7fc00000, v17 :: v_dual_mul_f32 v17, v31, v18
	v_fmaak_f32 v18, v31, v20, 0xbf000004
	s_delay_alu instid0(VALU_DEP_3) | instskip(SKIP_4) | instid1(VALU_DEP_4)
	v_cmp_eq_u32_e32 vcc_lo, 0, v26
	v_bitop3_b32 v20, v30, v21, 0x80000000 bitop3:0x6c
	v_and_b32_e32 v24, 0x80000000, v24
	v_fmac_f32_e32 v23, v23, v17
	v_fma_f32 v17, v31, v18, 1.0
	v_cndmask_b32_e64 v7, 0x7fc00000, v20, s0
	s_delay_alu instid0(VALU_DEP_2) | instskip(SKIP_4) | instid1(VALU_DEP_4)
	v_cndmask_b32_e32 v17, v17, v23, vcc_lo
	v_fma_f32 v18, 0x3fb8aa3b, v4, -v28
	v_sub_f32_e32 v27, v28, v29
	v_cvt_i32_f32_e32 v28, v29
	v_cmp_eq_f32_e32 vcc_lo, 0x43000000, v29
	v_dual_fmac_f32 v18, 0x32a5705f, v4 :: v_dual_lshlrev_b32 v29, 30, v42
	v_fmaak_f32 v33, s9, v34, 0x3ab69700
	v_xor3_b32 v17, v19, v24, v17
	v_ldexp_f32 v23, 1.0, v28
	s_delay_alu instid0(VALU_DEP_4)
	v_and_b32_e32 v29, 0x80000000, v29
	v_add_f32_e32 v18, v27, v18
	v_fmaak_f32 v22, v34, v33, 0x3c0887f9
	v_cndmask_b32_e64 v20, 0x7fc00000, v17, s0
	v_cndmask_b32_e64 v23, v23, 0x7f000000, vcc_lo
	v_cmp_ngt_f32_e64 s0, 0xc2ce8ed0, v4
	v_exp_f32_e32 v18, v18
	v_dual_fmaak_f32 v21, v34, v22, 0x3d2aaa81 :: v_dual_add_f32 v22, v16, v16
	s_delay_alu instid0(VALU_DEP_1) | instskip(NEXT) | instid1(TRANS32_DEP_1)
	v_mul_f32_e32 v19, v16, v22
	v_ldexp_f32 v16, v18, v28
	v_mul_f32_e32 v18, v45, v45
	s_delay_alu instid0(VALU_DEP_4) | instskip(NEXT) | instid1(VALU_DEP_3)
	v_fmaak_f32 v21, v34, v21, 0x3e2aaaab
	v_dual_fma_f32 v6, v6, v7, -v19 :: v_dual_cndmask_b32 v16, 0, v16, s0
	s_delay_alu instid0(VALU_DEP_3) | instskip(NEXT) | instid1(VALU_DEP_3)
	v_fmaak_f32 v22, s10, v18, 0xbab64f3b
	v_fma_f32 v21, v34, v21, 0.5
	v_cmp_nlt_f32_e64 s0, 0x42b17218, v4
	s_delay_alu instid0(VALU_DEP_2) | instskip(NEXT) | instid1(VALU_DEP_2)
	v_dual_mul_f32 v7, v25, v20 :: v_dual_mul_f32 v21, v34, v21
	v_cndmask_b32_e64 v24, 0x7f800000, v16, s0
	v_cmp_ngt_f32_e64 s0, 0xc1880000, v4
	s_delay_alu instid0(VALU_DEP_3) | instskip(NEXT) | instid1(VALU_DEP_1)
	v_dual_fmac_f32 v34, v34, v21 :: v_dual_add_f32 v21, -1.0, v23
	v_fmac_f32_e32 v21, v23, v34
	v_fmaak_f32 v23, s11, v18, 0x3c0881c4
	s_delay_alu instid0(VALU_DEP_2) | instskip(NEXT) | instid1(VALU_DEP_1)
	v_add_f32_e32 v17, v21, v21
	v_dual_cndmask_b32 v16, v21, v17 :: v_dual_fmaak_f32 v17, v18, v22, 0x3d2aabf7
	v_cmp_nlt_f32_e32 vcc_lo, 0x42b17217, v4
	v_mul_f32_e32 v22, v41, v41
	s_delay_alu instid0(VALU_DEP_3) | instskip(NEXT) | instid1(VALU_DEP_4)
	v_fmaak_f32 v17, v18, v17, 0xbf000004
	v_cndmask_b32_e32 v16, 0x7f800000, v16, vcc_lo
	s_delay_alu instid0(VALU_DEP_3) | instskip(SKIP_1) | instid1(VALU_DEP_4)
	v_fmaak_f32 v26, s11, v22, 0x3c0881c4
	v_fmaak_f32 v27, s10, v22, 0xbab64f3b
	v_fma_f32 v17, v18, v17, 1.0
	s_delay_alu instid0(VALU_DEP_4) | instskip(NEXT) | instid1(VALU_DEP_1)
	v_dual_cndmask_b32 v4, -1.0, v16, s0 :: v_dual_bitop2_b32 v32, 1, v42 bitop3:0x40
	v_cmp_eq_u32_e32 vcc_lo, 0, v32
	v_fmaak_f32 v21, v18, v23, 0xbe2aaa9d
	v_lshlrev_b32_e32 v23, 30, v49
	s_delay_alu instid0(VALU_DEP_2) | instskip(SKIP_2) | instid1(VALU_DEP_3)
	v_mul_f32_e32 v21, v18, v21
	v_fmaak_f32 v18, v22, v26, 0xbe2aaa9d
	v_dual_mul_f32 v26, v12, v12 :: v_dual_bitop2_b32 v28, 1, v49 bitop3:0x40
	v_fmac_f32_e32 v45, v45, v21
	v_fmaak_f32 v21, v22, v27, 0x3d2aabf7
	s_delay_alu instid0(VALU_DEP_4) | instskip(NEXT) | instid1(VALU_DEP_4)
	v_dual_mul_f32 v18, v22, v18 :: v_dual_bitop2_b32 v27, v37, v36 bitop3:0x14
	v_fmaak_f32 v30, s11, v26, 0x3c0881c4
	v_fmaak_f32 v31, s10, v26, 0xbab64f3b
	s_delay_alu instid0(VALU_DEP_4) | instskip(NEXT) | instid1(VALU_DEP_4)
	v_fmaak_f32 v21, v22, v21, 0xbf000004
	v_fmac_f32_e32 v41, v41, v18
	s_delay_alu instid0(VALU_DEP_2) | instskip(SKIP_2) | instid1(VALU_DEP_3)
	v_fma_f32 v18, v22, v21, 1.0
	v_fmaak_f32 v21, v26, v30, 0xbe2aaa9d
	v_fmaak_f32 v22, v26, v31, 0x3d2aabf7
	v_cndmask_b32_e32 v18, v18, v41, vcc_lo
	s_delay_alu instid0(VALU_DEP_3) | instskip(SKIP_1) | instid1(VALU_DEP_4)
	v_mul_f32_e32 v21, v26, v21
	v_cmp_eq_u32_e32 vcc_lo, 0, v28
	v_fmaak_f32 v22, v26, v22, 0xbf000004
	s_delay_alu instid0(VALU_DEP_4) | instskip(NEXT) | instid1(VALU_DEP_4)
	v_xor3_b32 v18, v27, v29, v18
	v_fmac_f32_e32 v12, v12, v21
	v_dual_cndmask_b32 v17, -v45, v17, vcc_lo :: v_dual_bitop2_b32 v21, 1, v50 bitop3:0x40
	v_cmp_class_f32_e64 vcc_lo, v36, 0x1f8
	v_fma_f32 v22, v26, v22, 1.0
	v_lshlrev_b32_e32 v26, 30, v50
	s_delay_alu instid0(VALU_DEP_4) | instskip(SKIP_2) | instid1(VALU_DEP_4)
	v_bitop3_b32 v17, v23, v17, 0x80000000 bitop3:0x6c
	v_cndmask_b32_e32 v18, 0x7fc00000, v18, vcc_lo
	v_cmp_eq_u32_e32 vcc_lo, 0, v21
	v_and_b32_e32 v21, 0x80000000, v26
	v_dual_cndmask_b32 v12, v22, v12, vcc_lo :: v_dual_bitop2_b32 v22, v43, v5 bitop3:0x14
	v_cmp_class_f32_e64 vcc_lo, v5, 0x1f8
	v_add_f32_e32 v5, v18, v18
	s_delay_alu instid0(VALU_DEP_3) | instskip(SKIP_1) | instid1(VALU_DEP_3)
	v_xor3_b32 v12, v22, v21, v12
	v_cndmask_b32_e32 v21, 0x7fc00000, v17, vcc_lo
	v_mul_f32_e32 v5, v18, v5
	v_lshlrev_b64_e32 v[16:17], 2, v[0:1]
	s_delay_alu instid0(VALU_DEP_4) | instskip(NEXT) | instid1(VALU_DEP_3)
	v_cndmask_b32_e32 v12, 0x7fc00000, v12, vcc_lo
	v_fma_f32 v4, v4, v21, -v5
	s_delay_alu instid0(VALU_DEP_2) | instskip(NEXT) | instid1(VALU_DEP_4)
	v_mul_f32_e32 v5, v24, v12
	v_cmp_ge_i64_e32 vcc_lo, v[16:17], v[10:11]
	s_clause 0x1
	global_store_b128 v[14:15], v[6:9], off
	global_store_b128 v[14:15], v[2:5], off offset:16
	s_wait_xcnt 0x0
	v_add_nc_u64_e32 v[14:15], s[6:7], v[14:15]
	s_or_b32 s12, vcc_lo, s12
	s_delay_alu instid0(SALU_CYCLE_1)
	s_and_not1_b32 exec_lo, exec_lo, s12
	s_cbranch_execz .LBB150_121
.LBB150_73:                             ; =>This Inner Loop Header: Depth=1
	s_clause 0x1
	global_load_b128 v[6:9], v[14:15], off
	global_load_b128 v[2:5], v[14:15], off offset:16
                                        ; implicit-def: $vgpr20
                                        ; implicit-def: $vgpr18
	s_mov_b32 s1, exec_lo
	s_wait_loadcnt 0x1
	v_mul_f32_e32 v16, 0.5, v7
	s_delay_alu instid0(VALU_DEP_1)
	v_and_b32_e32 v17, 0x7fffffff, v16
	s_wait_xcnt 0x0
	v_cmpx_ngt_f32_e64 0x48000000, |v16|
	s_xor_b32 s13, exec_lo, s1
	s_cbranch_execz .LBB150_75
; %bb.74:                               ;   in Loop: Header=BB150_73 Depth=1
	v_and_or_b32 v12, v17, s8, 0x800000
	v_mov_b32_e32 v29, v13
	s_delay_alu instid0(VALU_DEP_2) | instskip(NEXT) | instid1(VALU_DEP_1)
	v_mul_u64_e32 v[18:19], s[4:5], v[12:13]
	v_dual_mov_b32 v21, v13 :: v_dual_mov_b32 v20, v19
	v_lshrrev_b32_e32 v19, 23, v17
	s_delay_alu instid0(VALU_DEP_2) | instskip(SKIP_1) | instid1(VALU_DEP_3)
	v_mad_nc_u64_u32 v[20:21], 0x3c439041, v12, v[20:21]
	v_mov_b32_e32 v23, v13
	v_add_nc_u32_e32 v19, 0xffffff88, v19
	s_delay_alu instid0(VALU_DEP_1) | instskip(NEXT) | instid1(VALU_DEP_4)
	v_cmp_lt_u32_e32 vcc_lo, 63, v19
	v_mov_b32_e32 v22, v21
	v_cndmask_b32_e64 v21, 0, 0xffffffc0, vcc_lo
	s_delay_alu instid0(VALU_DEP_2) | instskip(NEXT) | instid1(VALU_DEP_1)
	v_mad_nc_u64_u32 v[22:23], 0xdb629599, v12, v[22:23]
	v_dual_mov_b32 v25, v13 :: v_dual_mov_b32 v24, v23
	s_delay_alu instid0(VALU_DEP_2) | instskip(NEXT) | instid1(VALU_DEP_2)
	v_cndmask_b32_e32 v18, v22, v18, vcc_lo
	v_mad_nc_u64_u32 v[24:25], 0xf534ddc0, v12, v[24:25]
	s_delay_alu instid0(VALU_DEP_1) | instskip(NEXT) | instid1(VALU_DEP_1)
	v_dual_mov_b32 v27, v13 :: v_dual_mov_b32 v26, v25
	v_mad_nc_u64_u32 v[26:27], 0xfc2757d1, v12, v[26:27]
	s_delay_alu instid0(VALU_DEP_1) | instskip(NEXT) | instid1(VALU_DEP_1)
	v_mov_b32_e32 v28, v27
	v_mad_nc_u64_u32 v[28:29], 0x4e441529, v12, v[28:29]
	v_add_nc_u32_e32 v19, v21, v19
	v_mov_b32_e32 v31, v13
	s_delay_alu instid0(VALU_DEP_2) | instskip(NEXT) | instid1(VALU_DEP_4)
	v_cmp_lt_u32_e64 s0, 31, v19
	v_mov_b32_e32 v30, v29
	s_delay_alu instid0(VALU_DEP_2) | instskip(NEXT) | instid1(VALU_DEP_2)
	v_cndmask_b32_e64 v21, 0, 0xffffffe0, s0
	v_mad_nc_u64_u32 v[30:31], 0xa2f9836e, v12, v[30:31]
	s_delay_alu instid0(VALU_DEP_2) | instskip(NEXT) | instid1(VALU_DEP_2)
	v_dual_cndmask_b32 v21, v28, v24 :: v_dual_add_nc_u32 v12, v21, v19
	v_cndmask_b32_e32 v23, v30, v26, vcc_lo
	s_delay_alu instid0(VALU_DEP_2) | instskip(NEXT) | instid1(VALU_DEP_4)
	v_cmp_lt_u32_e64 s1, 31, v12
	v_dual_cndmask_b32 v25, v31, v28 :: v_dual_cndmask_b32 v26, v26, v22
	s_delay_alu instid0(VALU_DEP_2) | instskip(NEXT) | instid1(VALU_DEP_1)
	v_cndmask_b32_e64 v19, 0, 0xffffffe0, s1
	v_add_nc_u32_e32 v12, v19, v12
	v_dual_cndmask_b32 v19, v24, v20, vcc_lo :: v_dual_cndmask_b32 v20, v23, v21, s0
	s_delay_alu instid0(VALU_DEP_4) | instskip(NEXT) | instid1(VALU_DEP_3)
	v_cndmask_b32_e64 v23, v25, v23, s0
	v_dual_cndmask_b32 v21, v21, v26, s0 :: v_dual_sub_nc_u32 v24, 32, v12
	s_delay_alu instid0(VALU_DEP_3) | instskip(SKIP_1) | instid1(VALU_DEP_3)
	v_cndmask_b32_e64 v25, v26, v19, s0
	v_cmp_eq_u32_e32 vcc_lo, 0, v12
	v_dual_cndmask_b32 v23, v23, v20, s1 :: v_dual_cndmask_b32 v20, v20, v21, s1
	s_delay_alu instid0(VALU_DEP_1) | instskip(NEXT) | instid1(VALU_DEP_1)
	v_alignbit_b32 v26, v23, v20, v24
	v_dual_cndmask_b32 v21, v21, v25, s1 :: v_dual_cndmask_b32 v12, v26, v23, vcc_lo
	s_delay_alu instid0(VALU_DEP_1) | instskip(NEXT) | instid1(VALU_DEP_1)
	v_alignbit_b32 v22, v20, v21, v24
	v_dual_cndmask_b32 v18, v19, v18, s0 :: v_dual_cndmask_b32 v19, v22, v20, vcc_lo
	s_delay_alu instid0(VALU_DEP_3) | instskip(NEXT) | instid1(VALU_DEP_2)
	v_bfe_u32 v20, v12, 29, 1
	v_cndmask_b32_e64 v18, v25, v18, s1
	s_delay_alu instid0(VALU_DEP_3) | instskip(NEXT) | instid1(VALU_DEP_3)
	v_alignbit_b32 v22, v12, v19, 30
	v_sub_nc_u32_e32 v23, 0, v20
	s_delay_alu instid0(VALU_DEP_3) | instskip(NEXT) | instid1(VALU_DEP_1)
	v_alignbit_b32 v24, v21, v18, v24
	v_dual_cndmask_b32 v21, v24, v21, vcc_lo :: v_dual_bitop2_b32 v22, v22, v23 bitop3:0x14
	s_delay_alu instid0(VALU_DEP_1) | instskip(NEXT) | instid1(VALU_DEP_2)
	v_clz_i32_u32_e32 v24, v22
	v_alignbit_b32 v19, v19, v21, 30
	v_alignbit_b32 v18, v21, v18, 30
	s_delay_alu instid0(VALU_DEP_3) | instskip(NEXT) | instid1(VALU_DEP_3)
	v_min_u32_e32 v24, 32, v24
	v_xor_b32_e32 v19, v19, v23
	s_delay_alu instid0(VALU_DEP_3) | instskip(SKIP_1) | instid1(VALU_DEP_4)
	v_dual_lshrrev_b32 v23, 29, v12 :: v_dual_bitop2_b32 v18, v18, v23 bitop3:0x14
	v_lshrrev_b32_e32 v12, 30, v12
	v_dual_sub_nc_u32 v21, 31, v24 :: v_dual_lshlrev_b32 v25, 23, v24
	s_delay_alu instid0(VALU_DEP_2) | instskip(NEXT) | instid1(VALU_DEP_2)
	v_add_nc_u32_e32 v20, v20, v12
	v_alignbit_b32 v22, v22, v19, v21
	v_alignbit_b32 v18, v19, v18, v21
	v_lshlrev_b32_e32 v19, 31, v23
	s_delay_alu instid0(VALU_DEP_2) | instskip(NEXT) | instid1(VALU_DEP_2)
	v_alignbit_b32 v21, v22, v18, 9
	v_dual_lshrrev_b32 v22, 9, v22 :: v_dual_bitop2_b32 v23, 0.5, v19 bitop3:0x54
	v_or_b32_e32 v19, 0x33000000, v19
	s_delay_alu instid0(VALU_DEP_3) | instskip(NEXT) | instid1(VALU_DEP_3)
	v_clz_i32_u32_e32 v26, v21
	v_sub_nc_u32_e32 v23, v23, v25
	s_delay_alu instid0(VALU_DEP_2) | instskip(NEXT) | instid1(VALU_DEP_1)
	v_min_u32_e32 v25, 32, v26
	v_add_lshl_u32 v24, v25, v24, 23
	s_delay_alu instid0(VALU_DEP_3) | instskip(SKIP_1) | instid1(VALU_DEP_2)
	v_or_b32_e32 v22, v22, v23
	v_not_b32_e32 v23, v25
	v_dual_mul_f32 v26, 0x3fc90fda, v22 :: v_dual_sub_nc_u32 v19, v19, v24
	s_delay_alu instid0(VALU_DEP_2) | instskip(NEXT) | instid1(VALU_DEP_2)
	v_alignbit_b32 v18, v21, v18, v23
	v_fma_f32 v21, 0x3fc90fda, v22, -v26
	s_delay_alu instid0(VALU_DEP_2) | instskip(NEXT) | instid1(VALU_DEP_2)
	v_lshrrev_b32_e32 v18, 9, v18
	v_fmac_f32_e32 v21, 0x33a22168, v22
	s_delay_alu instid0(VALU_DEP_2) | instskip(NEXT) | instid1(VALU_DEP_1)
	v_or_b32_e32 v18, v19, v18
	v_fmac_f32_e32 v21, 0x3fc90fda, v18
	s_delay_alu instid0(VALU_DEP_1)
	v_add_f32_e32 v18, v26, v21
.LBB150_75:                             ;   in Loop: Header=BB150_73 Depth=1
	s_and_not1_saveexec_b32 s0, s13
; %bb.76:                               ;   in Loop: Header=BB150_73 Depth=1
	v_mul_f32_e64 v12, 0x3f22f983, |v16|
	s_delay_alu instid0(VALU_DEP_1) | instskip(NEXT) | instid1(VALU_DEP_1)
	v_rndne_f32_e32 v12, v12
	v_fma_f32 v18, 0xbfc90fda, v12, |v16|
	v_cvt_i32_f32_e32 v20, v12
	s_delay_alu instid0(VALU_DEP_2) | instskip(NEXT) | instid1(VALU_DEP_1)
	v_fmac_f32_e32 v18, 0xb3a22168, v12
	v_fmac_f32_e32 v18, 0xa7c234c4, v12
; %bb.77:                               ;   in Loop: Header=BB150_73 Depth=1
	s_or_b32 exec_lo, exec_lo, s0
	v_and_b32_e32 v19, 0x7fffffff, v7
	v_cmp_ngt_f32_e64 s13, 0x48000000, |v7|
                                        ; implicit-def: $vgpr22
                                        ; implicit-def: $vgpr21
	s_and_saveexec_b32 s0, s13
	s_delay_alu instid0(SALU_CYCLE_1)
	s_xor_b32 s14, exec_lo, s0
	s_cbranch_execz .LBB150_79
; %bb.78:                               ;   in Loop: Header=BB150_73 Depth=1
	v_and_or_b32 v12, v19, s8, 0x800000
	v_dual_lshrrev_b32 v21, 23, v19 :: v_dual_mov_b32 v33, v13
	v_mov_b32_e32 v35, v13
	s_delay_alu instid0(VALU_DEP_3) | instskip(SKIP_1) | instid1(VALU_DEP_4)
	v_mul_u64_e32 v[22:23], s[4:5], v[12:13]
	v_mov_b32_e32 v25, v13
	v_add_nc_u32_e32 v21, 0xffffff88, v21
	s_delay_alu instid0(VALU_DEP_1) | instskip(NEXT) | instid1(VALU_DEP_4)
	v_cmp_lt_u32_e32 vcc_lo, 63, v21
	v_mov_b32_e32 v24, v23
	v_cndmask_b32_e64 v23, 0, 0xffffffc0, vcc_lo
	s_delay_alu instid0(VALU_DEP_2) | instskip(NEXT) | instid1(VALU_DEP_2)
	v_mad_nc_u64_u32 v[24:25], 0x3c439041, v12, v[24:25]
	v_dual_mov_b32 v27, v13 :: v_dual_add_nc_u32 v21, v23, v21
	s_delay_alu instid0(VALU_DEP_1) | instskip(NEXT) | instid1(VALU_DEP_3)
	v_cmp_lt_u32_e64 s0, 31, v21
	v_mov_b32_e32 v26, v25
	s_delay_alu instid0(VALU_DEP_2) | instskip(NEXT) | instid1(VALU_DEP_2)
	v_cndmask_b32_e64 v23, 0, 0xffffffe0, s0
	v_mad_nc_u64_u32 v[26:27], 0xdb629599, v12, v[26:27]
	s_delay_alu instid0(VALU_DEP_1) | instskip(NEXT) | instid1(VALU_DEP_2)
	v_dual_mov_b32 v29, v13 :: v_dual_mov_b32 v28, v27
	v_cndmask_b32_e32 v22, v26, v22, vcc_lo
	s_delay_alu instid0(VALU_DEP_2) | instskip(NEXT) | instid1(VALU_DEP_1)
	v_mad_nc_u64_u32 v[28:29], 0xf534ddc0, v12, v[28:29]
	v_dual_mov_b32 v31, v13 :: v_dual_mov_b32 v30, v29
	s_delay_alu instid0(VALU_DEP_1) | instskip(NEXT) | instid1(VALU_DEP_1)
	v_mad_nc_u64_u32 v[30:31], 0xfc2757d1, v12, v[30:31]
	v_dual_mov_b32 v32, v31 :: v_dual_cndmask_b32 v29, v30, v26
	s_delay_alu instid0(VALU_DEP_1) | instskip(NEXT) | instid1(VALU_DEP_1)
	v_mad_nc_u64_u32 v[32:33], 0x4e441529, v12, v[32:33]
	v_mov_b32_e32 v34, v33
	s_delay_alu instid0(VALU_DEP_1) | instskip(NEXT) | instid1(VALU_DEP_3)
	v_mad_nc_u64_u32 v[34:35], 0xa2f9836e, v12, v[34:35]
	v_dual_cndmask_b32 v23, v32, v28 :: v_dual_add_nc_u32 v12, v23, v21
	s_delay_alu instid0(VALU_DEP_1) | instskip(NEXT) | instid1(VALU_DEP_1)
	v_cmp_lt_u32_e64 s1, 31, v12
	v_cndmask_b32_e64 v21, 0, 0xffffffe0, s1
	s_delay_alu instid0(VALU_DEP_4) | instskip(NEXT) | instid1(VALU_DEP_2)
	v_dual_cndmask_b32 v25, v34, v30, vcc_lo :: v_dual_cndmask_b32 v27, v35, v32, vcc_lo
	v_add_nc_u32_e32 v12, v21, v12
	s_delay_alu instid0(VALU_DEP_2) | instskip(NEXT) | instid1(VALU_DEP_3)
	v_dual_cndmask_b32 v21, v28, v24, vcc_lo :: v_dual_cndmask_b32 v24, v25, v23, s0
	v_cndmask_b32_e64 v25, v27, v25, s0
	s_delay_alu instid0(VALU_DEP_3) | instskip(NEXT) | instid1(VALU_DEP_3)
	v_dual_cndmask_b32 v23, v23, v29, s0 :: v_dual_sub_nc_u32 v27, 32, v12
	v_cndmask_b32_e64 v28, v29, v21, s0
	v_cmp_eq_u32_e32 vcc_lo, 0, v12
	s_delay_alu instid0(VALU_DEP_3) | instskip(NEXT) | instid1(VALU_DEP_1)
	v_dual_cndmask_b32 v25, v25, v24, s1 :: v_dual_cndmask_b32 v24, v24, v23, s1
	v_alignbit_b32 v29, v25, v24, v27
	s_delay_alu instid0(VALU_DEP_1) | instskip(NEXT) | instid1(VALU_DEP_1)
	v_dual_cndmask_b32 v23, v23, v28, s1 :: v_dual_cndmask_b32 v12, v29, v25, vcc_lo
	v_alignbit_b32 v26, v24, v23, v27
	s_delay_alu instid0(VALU_DEP_1) | instskip(NEXT) | instid1(VALU_DEP_3)
	v_dual_cndmask_b32 v21, v21, v22, s0 :: v_dual_cndmask_b32 v22, v26, v24, vcc_lo
	v_bfe_u32 v24, v12, 29, 1
	s_delay_alu instid0(VALU_DEP_2) | instskip(NEXT) | instid1(VALU_DEP_3)
	v_cndmask_b32_e64 v21, v28, v21, s1
	v_alignbit_b32 v25, v12, v22, 30
	s_delay_alu instid0(VALU_DEP_3) | instskip(NEXT) | instid1(VALU_DEP_3)
	v_sub_nc_u32_e32 v26, 0, v24
	v_alignbit_b32 v27, v23, v21, v27
	s_delay_alu instid0(VALU_DEP_1) | instskip(NEXT) | instid1(VALU_DEP_1)
	v_dual_cndmask_b32 v23, v27, v23, vcc_lo :: v_dual_bitop2_b32 v25, v25, v26 bitop3:0x14
	v_clz_i32_u32_e32 v27, v25
	s_delay_alu instid0(VALU_DEP_2) | instskip(SKIP_1) | instid1(VALU_DEP_3)
	v_alignbit_b32 v22, v22, v23, 30
	v_alignbit_b32 v21, v23, v21, 30
	v_min_u32_e32 v27, 32, v27
	s_delay_alu instid0(VALU_DEP_3) | instskip(NEXT) | instid1(VALU_DEP_3)
	v_xor_b32_e32 v22, v22, v26
	v_dual_lshrrev_b32 v26, 29, v12 :: v_dual_bitop2_b32 v21, v21, v26 bitop3:0x14
	s_delay_alu instid0(VALU_DEP_3) | instskip(SKIP_1) | instid1(VALU_DEP_2)
	v_dual_lshrrev_b32 v12, 30, v12 :: v_dual_sub_nc_u32 v23, 31, v27
	v_lshlrev_b32_e32 v28, 23, v27
	v_alignbit_b32 v25, v25, v22, v23
	s_delay_alu instid0(VALU_DEP_4) | instskip(SKIP_1) | instid1(VALU_DEP_2)
	v_alignbit_b32 v21, v22, v21, v23
	v_lshlrev_b32_e32 v22, 31, v26
	v_alignbit_b32 v23, v25, v21, 9
	s_delay_alu instid0(VALU_DEP_2) | instskip(SKIP_1) | instid1(VALU_DEP_3)
	v_dual_lshrrev_b32 v25, 9, v25 :: v_dual_bitop2_b32 v26, 0.5, v22 bitop3:0x54
	v_or_b32_e32 v22, 0x33000000, v22
	v_clz_i32_u32_e32 v29, v23
	s_delay_alu instid0(VALU_DEP_3) | instskip(NEXT) | instid1(VALU_DEP_2)
	v_sub_nc_u32_e32 v26, v26, v28
	v_min_u32_e32 v28, 32, v29
	s_delay_alu instid0(VALU_DEP_1) | instskip(NEXT) | instid1(VALU_DEP_3)
	v_add_lshl_u32 v27, v28, v27, 23
	v_or_b32_e32 v25, v25, v26
	v_not_b32_e32 v26, v28
	s_delay_alu instid0(VALU_DEP_2) | instskip(NEXT) | instid1(VALU_DEP_2)
	v_dual_mul_f32 v29, 0x3fc90fda, v25 :: v_dual_sub_nc_u32 v22, v22, v27
	v_alignbit_b32 v21, v23, v21, v26
	s_delay_alu instid0(VALU_DEP_2) | instskip(NEXT) | instid1(VALU_DEP_2)
	v_fma_f32 v23, 0x3fc90fda, v25, -v29
	v_lshrrev_b32_e32 v21, 9, v21
	s_delay_alu instid0(VALU_DEP_2) | instskip(NEXT) | instid1(VALU_DEP_2)
	v_fmac_f32_e32 v23, 0x33a22168, v25
	v_dual_add_nc_u32 v22, v24, v12 :: v_dual_bitop2_b32 v21, v22, v21 bitop3:0x54
	s_delay_alu instid0(VALU_DEP_1) | instskip(NEXT) | instid1(VALU_DEP_1)
	v_fmac_f32_e32 v23, 0x3fc90fda, v21
	v_add_f32_e32 v21, v29, v23
	s_and_not1_saveexec_b32 s0, s14
	s_branch .LBB150_80
.LBB150_79:                             ;   in Loop: Header=BB150_73 Depth=1
	s_and_not1_saveexec_b32 s0, s14
.LBB150_80:                             ;   in Loop: Header=BB150_73 Depth=1
	v_mul_f32_e64 v12, 0x3f22f983, |v7|
	s_delay_alu instid0(VALU_DEP_1) | instskip(NEXT) | instid1(VALU_DEP_1)
	v_rndne_f32_e32 v12, v12
	v_fma_f32 v21, 0xbfc90fda, v12, |v7|
	v_cvt_i32_f32_e32 v22, v12
	s_delay_alu instid0(VALU_DEP_2) | instskip(NEXT) | instid1(VALU_DEP_1)
	v_fmac_f32_e32 v21, 0xb3a22168, v12
	v_fmac_f32_e32 v21, 0xa7c234c4, v12
; %bb.81:                               ;   in Loop: Header=BB150_73 Depth=1
	s_or_b32 exec_lo, exec_lo, s0
                                        ; implicit-def: $vgpr24
                                        ; implicit-def: $vgpr23
	s_and_saveexec_b32 s0, s13
	s_delay_alu instid0(SALU_CYCLE_1)
	s_xor_b32 s13, exec_lo, s0
	s_cbranch_execz .LBB150_83
; %bb.82:                               ;   in Loop: Header=BB150_73 Depth=1
	v_and_or_b32 v12, v19, s8, 0x800000
	v_dual_lshrrev_b32 v23, 23, v19 :: v_dual_mov_b32 v35, v13
	s_delay_alu instid0(VALU_DEP_2) | instskip(SKIP_1) | instid1(VALU_DEP_3)
	v_mul_u64_e32 v[24:25], s[4:5], v[12:13]
	v_mov_b32_e32 v27, v13
	v_add_nc_u32_e32 v23, 0xffffff88, v23
	s_delay_alu instid0(VALU_DEP_1) | instskip(NEXT) | instid1(VALU_DEP_4)
	v_cmp_lt_u32_e32 vcc_lo, 63, v23
	v_mov_b32_e32 v26, v25
	v_cndmask_b32_e64 v25, 0, 0xffffffc0, vcc_lo
	s_delay_alu instid0(VALU_DEP_2) | instskip(NEXT) | instid1(VALU_DEP_1)
	v_mad_nc_u64_u32 v[26:27], 0x3c439041, v12, v[26:27]
	v_dual_mov_b32 v29, v13 :: v_dual_mov_b32 v28, v27
	s_delay_alu instid0(VALU_DEP_1) | instskip(NEXT) | instid1(VALU_DEP_1)
	v_mad_nc_u64_u32 v[28:29], 0xdb629599, v12, v[28:29]
	v_dual_mov_b32 v31, v13 :: v_dual_mov_b32 v30, v29
	s_delay_alu instid0(VALU_DEP_2) | instskip(NEXT) | instid1(VALU_DEP_2)
	v_cndmask_b32_e32 v24, v28, v24, vcc_lo
	v_mad_nc_u64_u32 v[30:31], 0xf534ddc0, v12, v[30:31]
	s_delay_alu instid0(VALU_DEP_1) | instskip(NEXT) | instid1(VALU_DEP_1)
	v_dual_mov_b32 v33, v13 :: v_dual_mov_b32 v32, v31
	v_mad_nc_u64_u32 v[32:33], 0xfc2757d1, v12, v[32:33]
	s_delay_alu instid0(VALU_DEP_1) | instskip(NEXT) | instid1(VALU_DEP_1)
	v_dual_mov_b32 v34, v33 :: v_dual_cndmask_b32 v31, v32, v28
	v_mad_nc_u64_u32 v[34:35], 0x4e441529, v12, v[34:35]
	v_add_nc_u32_e32 v23, v25, v23
	s_delay_alu instid0(VALU_DEP_2) | instskip(NEXT) | instid1(VALU_DEP_2)
	v_dual_mov_b32 v37, v13 :: v_dual_mov_b32 v36, v35
	v_cmp_lt_u32_e64 s0, 31, v23
	s_delay_alu instid0(VALU_DEP_2) | instskip(NEXT) | instid1(VALU_DEP_2)
	v_mad_nc_u64_u32 v[36:37], 0xa2f9836e, v12, v[36:37]
	v_cndmask_b32_e64 v25, 0, 0xffffffe0, s0
	s_delay_alu instid0(VALU_DEP_1) | instskip(NEXT) | instid1(VALU_DEP_3)
	v_dual_cndmask_b32 v25, v34, v30 :: v_dual_add_nc_u32 v12, v25, v23
	v_cndmask_b32_e32 v27, v36, v32, vcc_lo
	s_delay_alu instid0(VALU_DEP_2) | instskip(SKIP_1) | instid1(VALU_DEP_2)
	v_cmp_lt_u32_e64 s1, 31, v12
	v_cndmask_b32_e32 v29, v37, v34, vcc_lo
	v_cndmask_b32_e64 v23, 0, 0xffffffe0, s1
	s_delay_alu instid0(VALU_DEP_1) | instskip(NEXT) | instid1(VALU_DEP_3)
	v_dual_cndmask_b32 v23, v30, v26 :: v_dual_add_nc_u32 v12, v23, v12
	v_dual_cndmask_b32 v26, v27, v25, s0 :: v_dual_cndmask_b32 v27, v29, v27, s0
	s_delay_alu instid0(VALU_DEP_2) | instskip(NEXT) | instid1(VALU_DEP_3)
	v_dual_cndmask_b32 v25, v25, v31, s0 :: v_dual_sub_nc_u32 v29, 32, v12
	v_cndmask_b32_e64 v30, v31, v23, s0
	v_cmp_eq_u32_e32 vcc_lo, 0, v12
	s_delay_alu instid0(VALU_DEP_3) | instskip(NEXT) | instid1(VALU_DEP_1)
	v_dual_cndmask_b32 v27, v27, v26, s1 :: v_dual_cndmask_b32 v26, v26, v25, s1
	v_alignbit_b32 v31, v27, v26, v29
	s_delay_alu instid0(VALU_DEP_1) | instskip(NEXT) | instid1(VALU_DEP_1)
	v_dual_cndmask_b32 v25, v25, v30, s1 :: v_dual_cndmask_b32 v12, v31, v27, vcc_lo
	v_alignbit_b32 v28, v26, v25, v29
	s_delay_alu instid0(VALU_DEP_1) | instskip(NEXT) | instid1(VALU_DEP_3)
	v_dual_cndmask_b32 v23, v23, v24, s0 :: v_dual_cndmask_b32 v24, v28, v26, vcc_lo
	v_bfe_u32 v26, v12, 29, 1
	s_delay_alu instid0(VALU_DEP_2) | instskip(NEXT) | instid1(VALU_DEP_3)
	v_cndmask_b32_e64 v23, v30, v23, s1
	v_alignbit_b32 v27, v12, v24, 30
	s_delay_alu instid0(VALU_DEP_3) | instskip(NEXT) | instid1(VALU_DEP_3)
	v_sub_nc_u32_e32 v28, 0, v26
	v_alignbit_b32 v29, v25, v23, v29
	s_delay_alu instid0(VALU_DEP_1) | instskip(NEXT) | instid1(VALU_DEP_1)
	v_dual_cndmask_b32 v25, v29, v25, vcc_lo :: v_dual_bitop2_b32 v27, v27, v28 bitop3:0x14
	v_clz_i32_u32_e32 v29, v27
	s_delay_alu instid0(VALU_DEP_2) | instskip(SKIP_1) | instid1(VALU_DEP_3)
	v_alignbit_b32 v24, v24, v25, 30
	v_alignbit_b32 v23, v25, v23, 30
	v_min_u32_e32 v29, 32, v29
	s_delay_alu instid0(VALU_DEP_3) | instskip(NEXT) | instid1(VALU_DEP_3)
	v_xor_b32_e32 v24, v24, v28
	v_xor_b32_e32 v23, v23, v28
	v_dual_lshrrev_b32 v28, 29, v12 :: v_dual_lshrrev_b32 v12, 30, v12
	s_delay_alu instid0(VALU_DEP_4) | instskip(NEXT) | instid1(VALU_DEP_1)
	v_dual_sub_nc_u32 v25, 31, v29 :: v_dual_lshlrev_b32 v30, 23, v29
	v_alignbit_b32 v27, v27, v24, v25
	s_delay_alu instid0(VALU_DEP_4) | instskip(NEXT) | instid1(VALU_DEP_4)
	v_alignbit_b32 v23, v24, v23, v25
	v_lshlrev_b32_e32 v24, 31, v28
	s_delay_alu instid0(VALU_DEP_2) | instskip(NEXT) | instid1(VALU_DEP_2)
	v_alignbit_b32 v25, v27, v23, 9
	v_dual_lshrrev_b32 v27, 9, v27 :: v_dual_bitop2_b32 v28, 0.5, v24 bitop3:0x54
	v_or_b32_e32 v24, 0x33000000, v24
	s_delay_alu instid0(VALU_DEP_3) | instskip(NEXT) | instid1(VALU_DEP_3)
	v_clz_i32_u32_e32 v31, v25
	v_sub_nc_u32_e32 v28, v28, v30
	s_delay_alu instid0(VALU_DEP_2) | instskip(NEXT) | instid1(VALU_DEP_1)
	v_min_u32_e32 v30, 32, v31
	v_add_lshl_u32 v29, v30, v29, 23
	s_delay_alu instid0(VALU_DEP_3) | instskip(SKIP_1) | instid1(VALU_DEP_2)
	v_or_b32_e32 v27, v27, v28
	v_not_b32_e32 v28, v30
	v_dual_mul_f32 v31, 0x3fc90fda, v27 :: v_dual_sub_nc_u32 v24, v24, v29
	s_delay_alu instid0(VALU_DEP_2) | instskip(NEXT) | instid1(VALU_DEP_2)
	v_alignbit_b32 v23, v25, v23, v28
	v_fma_f32 v25, 0x3fc90fda, v27, -v31
	s_delay_alu instid0(VALU_DEP_2) | instskip(NEXT) | instid1(VALU_DEP_2)
	v_lshrrev_b32_e32 v23, 9, v23
	v_fmac_f32_e32 v25, 0x33a22168, v27
	s_delay_alu instid0(VALU_DEP_2) | instskip(NEXT) | instid1(VALU_DEP_1)
	v_dual_add_nc_u32 v24, v26, v12 :: v_dual_bitop2_b32 v23, v24, v23 bitop3:0x54
	v_fmac_f32_e32 v25, 0x3fc90fda, v23
	s_delay_alu instid0(VALU_DEP_1)
	v_add_f32_e32 v23, v31, v25
	s_and_not1_saveexec_b32 s0, s13
	s_cbranch_execnz .LBB150_84
	s_branch .LBB150_85
.LBB150_83:                             ;   in Loop: Header=BB150_73 Depth=1
	s_and_not1_saveexec_b32 s0, s13
.LBB150_84:                             ;   in Loop: Header=BB150_73 Depth=1
	v_mul_f32_e64 v12, 0x3f22f983, |v7|
	s_delay_alu instid0(VALU_DEP_1) | instskip(NEXT) | instid1(VALU_DEP_1)
	v_rndne_f32_e32 v12, v12
	v_fma_f32 v23, 0xbfc90fda, v12, |v7|
	v_cvt_i32_f32_e32 v24, v12
	s_delay_alu instid0(VALU_DEP_2) | instskip(NEXT) | instid1(VALU_DEP_1)
	v_fmac_f32_e32 v23, 0xb3a22168, v12
	v_fmac_f32_e32 v23, 0xa7c234c4, v12
.LBB150_85:                             ;   in Loop: Header=BB150_73 Depth=1
	s_or_b32 exec_lo, exec_lo, s0
	v_mul_f32_e32 v25, 0.5, v9
                                        ; implicit-def: $vgpr29
                                        ; implicit-def: $vgpr27
	s_mov_b32 s1, exec_lo
	s_delay_alu instid0(VALU_DEP_1)
	v_and_b32_e32 v26, 0x7fffffff, v25
	v_cmpx_ngt_f32_e64 0x48000000, |v25|
	s_xor_b32 s13, exec_lo, s1
	s_cbranch_execz .LBB150_87
; %bb.86:                               ;   in Loop: Header=BB150_73 Depth=1
	s_delay_alu instid0(VALU_DEP_2) | instskip(SKIP_1) | instid1(VALU_DEP_2)
	v_and_or_b32 v12, v26, s8, 0x800000
	v_dual_lshrrev_b32 v27, 23, v26 :: v_dual_mov_b32 v39, v13
	v_mul_u64_e32 v[28:29], s[4:5], v[12:13]
	v_mov_b32_e32 v31, v13
	s_delay_alu instid0(VALU_DEP_3) | instskip(NEXT) | instid1(VALU_DEP_1)
	v_add_nc_u32_e32 v27, 0xffffff88, v27
	v_cmp_lt_u32_e32 vcc_lo, 63, v27
	s_delay_alu instid0(VALU_DEP_4) | instskip(SKIP_1) | instid1(VALU_DEP_2)
	v_mov_b32_e32 v30, v29
	v_cndmask_b32_e64 v29, 0, 0xffffffc0, vcc_lo
	v_mad_nc_u64_u32 v[30:31], 0x3c439041, v12, v[30:31]
	s_delay_alu instid0(VALU_DEP_1) | instskip(NEXT) | instid1(VALU_DEP_1)
	v_dual_mov_b32 v33, v13 :: v_dual_mov_b32 v32, v31
	v_mad_nc_u64_u32 v[32:33], 0xdb629599, v12, v[32:33]
	s_delay_alu instid0(VALU_DEP_1) | instskip(NEXT) | instid1(VALU_DEP_2)
	v_dual_mov_b32 v35, v13 :: v_dual_mov_b32 v34, v33
	v_cndmask_b32_e32 v28, v32, v28, vcc_lo
	s_delay_alu instid0(VALU_DEP_2) | instskip(NEXT) | instid1(VALU_DEP_1)
	v_mad_nc_u64_u32 v[34:35], 0xf534ddc0, v12, v[34:35]
	v_dual_mov_b32 v37, v13 :: v_dual_mov_b32 v36, v35
	s_delay_alu instid0(VALU_DEP_1) | instskip(NEXT) | instid1(VALU_DEP_1)
	v_mad_nc_u64_u32 v[36:37], 0xfc2757d1, v12, v[36:37]
	v_dual_mov_b32 v38, v37 :: v_dual_cndmask_b32 v35, v36, v32
	s_delay_alu instid0(VALU_DEP_1) | instskip(SKIP_1) | instid1(VALU_DEP_2)
	v_mad_nc_u64_u32 v[38:39], 0x4e441529, v12, v[38:39]
	v_add_nc_u32_e32 v27, v29, v27
	v_dual_mov_b32 v41, v13 :: v_dual_mov_b32 v40, v39
	s_delay_alu instid0(VALU_DEP_2) | instskip(NEXT) | instid1(VALU_DEP_2)
	v_cmp_lt_u32_e64 s0, 31, v27
	v_mad_nc_u64_u32 v[40:41], 0xa2f9836e, v12, v[40:41]
	s_delay_alu instid0(VALU_DEP_2) | instskip(NEXT) | instid1(VALU_DEP_1)
	v_cndmask_b32_e64 v29, 0, 0xffffffe0, s0
	v_dual_cndmask_b32 v29, v38, v34 :: v_dual_add_nc_u32 v12, v29, v27
	s_delay_alu instid0(VALU_DEP_3) | instskip(NEXT) | instid1(VALU_DEP_2)
	v_cndmask_b32_e32 v31, v40, v36, vcc_lo
	v_cmp_lt_u32_e64 s1, 31, v12
	v_cndmask_b32_e32 v33, v41, v38, vcc_lo
	s_delay_alu instid0(VALU_DEP_2) | instskip(NEXT) | instid1(VALU_DEP_1)
	v_cndmask_b32_e64 v27, 0, 0xffffffe0, s1
	v_dual_cndmask_b32 v27, v34, v30 :: v_dual_add_nc_u32 v12, v27, v12
	s_delay_alu instid0(VALU_DEP_3) | instskip(NEXT) | instid1(VALU_DEP_2)
	v_dual_cndmask_b32 v30, v31, v29, s0 :: v_dual_cndmask_b32 v31, v33, v31, s0
	v_dual_cndmask_b32 v29, v29, v35, s0 :: v_dual_sub_nc_u32 v33, 32, v12
	s_delay_alu instid0(VALU_DEP_3) | instskip(SKIP_1) | instid1(VALU_DEP_3)
	v_cndmask_b32_e64 v34, v35, v27, s0
	v_cmp_eq_u32_e32 vcc_lo, 0, v12
	v_dual_cndmask_b32 v31, v31, v30, s1 :: v_dual_cndmask_b32 v30, v30, v29, s1
	s_delay_alu instid0(VALU_DEP_1) | instskip(NEXT) | instid1(VALU_DEP_1)
	v_alignbit_b32 v35, v31, v30, v33
	v_dual_cndmask_b32 v29, v29, v34, s1 :: v_dual_cndmask_b32 v12, v35, v31, vcc_lo
	s_delay_alu instid0(VALU_DEP_1) | instskip(NEXT) | instid1(VALU_DEP_1)
	v_alignbit_b32 v32, v30, v29, v33
	v_dual_cndmask_b32 v27, v27, v28, s0 :: v_dual_cndmask_b32 v28, v32, v30, vcc_lo
	s_delay_alu instid0(VALU_DEP_3) | instskip(NEXT) | instid1(VALU_DEP_2)
	v_bfe_u32 v30, v12, 29, 1
	v_cndmask_b32_e64 v27, v34, v27, s1
	s_delay_alu instid0(VALU_DEP_3) | instskip(NEXT) | instid1(VALU_DEP_3)
	v_alignbit_b32 v31, v12, v28, 30
	v_sub_nc_u32_e32 v32, 0, v30
	s_delay_alu instid0(VALU_DEP_3) | instskip(NEXT) | instid1(VALU_DEP_1)
	v_alignbit_b32 v33, v29, v27, v33
	v_dual_cndmask_b32 v29, v33, v29, vcc_lo :: v_dual_bitop2_b32 v31, v31, v32 bitop3:0x14
	s_delay_alu instid0(VALU_DEP_1) | instskip(NEXT) | instid1(VALU_DEP_2)
	v_clz_i32_u32_e32 v33, v31
	v_alignbit_b32 v28, v28, v29, 30
	v_alignbit_b32 v27, v29, v27, 30
	s_delay_alu instid0(VALU_DEP_3) | instskip(NEXT) | instid1(VALU_DEP_3)
	v_min_u32_e32 v33, 32, v33
	v_xor_b32_e32 v28, v28, v32
	s_delay_alu instid0(VALU_DEP_3) | instskip(SKIP_1) | instid1(VALU_DEP_4)
	v_xor_b32_e32 v27, v27, v32
	v_dual_lshrrev_b32 v32, 29, v12 :: v_dual_lshrrev_b32 v12, 30, v12
	v_dual_sub_nc_u32 v29, 31, v33 :: v_dual_lshlrev_b32 v34, 23, v33
	s_delay_alu instid0(VALU_DEP_1) | instskip(NEXT) | instid1(VALU_DEP_4)
	v_alignbit_b32 v31, v31, v28, v29
	v_alignbit_b32 v27, v28, v27, v29
	s_delay_alu instid0(VALU_DEP_4) | instskip(NEXT) | instid1(VALU_DEP_2)
	v_lshlrev_b32_e32 v28, 31, v32
	v_alignbit_b32 v29, v31, v27, 9
	s_delay_alu instid0(VALU_DEP_2) | instskip(SKIP_1) | instid1(VALU_DEP_3)
	v_dual_lshrrev_b32 v31, 9, v31 :: v_dual_bitop2_b32 v32, 0.5, v28 bitop3:0x54
	v_or_b32_e32 v28, 0x33000000, v28
	v_clz_i32_u32_e32 v35, v29
	s_delay_alu instid0(VALU_DEP_3) | instskip(NEXT) | instid1(VALU_DEP_2)
	v_sub_nc_u32_e32 v32, v32, v34
	v_min_u32_e32 v34, 32, v35
	s_delay_alu instid0(VALU_DEP_1) | instskip(NEXT) | instid1(VALU_DEP_3)
	v_add_lshl_u32 v33, v34, v33, 23
	v_or_b32_e32 v31, v31, v32
	v_not_b32_e32 v32, v34
	s_delay_alu instid0(VALU_DEP_2) | instskip(NEXT) | instid1(VALU_DEP_2)
	v_dual_mul_f32 v35, 0x3fc90fda, v31 :: v_dual_sub_nc_u32 v28, v28, v33
	v_alignbit_b32 v27, v29, v27, v32
	s_delay_alu instid0(VALU_DEP_2) | instskip(NEXT) | instid1(VALU_DEP_2)
	v_fma_f32 v29, 0x3fc90fda, v31, -v35
	v_lshrrev_b32_e32 v27, 9, v27
	s_delay_alu instid0(VALU_DEP_2) | instskip(NEXT) | instid1(VALU_DEP_2)
	v_fmac_f32_e32 v29, 0x33a22168, v31
	v_or_b32_e32 v27, v28, v27
	s_delay_alu instid0(VALU_DEP_1) | instskip(NEXT) | instid1(VALU_DEP_1)
	v_fmac_f32_e32 v29, 0x3fc90fda, v27
	v_dual_add_f32 v27, v35, v29 :: v_dual_add_nc_u32 v29, v30, v12
.LBB150_87:                             ;   in Loop: Header=BB150_73 Depth=1
	s_and_not1_saveexec_b32 s0, s13
; %bb.88:                               ;   in Loop: Header=BB150_73 Depth=1
	v_mul_f32_e64 v12, 0x3f22f983, |v25|
	s_delay_alu instid0(VALU_DEP_1) | instskip(NEXT) | instid1(VALU_DEP_1)
	v_rndne_f32_e32 v12, v12
	v_fma_f32 v27, 0xbfc90fda, v12, |v25|
	v_cvt_i32_f32_e32 v29, v12
	s_delay_alu instid0(VALU_DEP_2) | instskip(NEXT) | instid1(VALU_DEP_1)
	v_fmac_f32_e32 v27, 0xb3a22168, v12
	v_fmac_f32_e32 v27, 0xa7c234c4, v12
; %bb.89:                               ;   in Loop: Header=BB150_73 Depth=1
	s_or_b32 exec_lo, exec_lo, s0
	v_and_b32_e32 v28, 0x7fffffff, v9
	v_cmp_ngt_f32_e64 s13, 0x48000000, |v9|
                                        ; implicit-def: $vgpr31
                                        ; implicit-def: $vgpr30
	s_and_saveexec_b32 s0, s13
	s_delay_alu instid0(SALU_CYCLE_1)
	s_xor_b32 s14, exec_lo, s0
	s_cbranch_execz .LBB150_91
; %bb.90:                               ;   in Loop: Header=BB150_73 Depth=1
	v_and_or_b32 v12, v28, s8, 0x800000
	v_mov_b32_e32 v41, v13
	s_delay_alu instid0(VALU_DEP_2) | instskip(NEXT) | instid1(VALU_DEP_1)
	v_mul_u64_e32 v[30:31], s[4:5], v[12:13]
	v_dual_mov_b32 v33, v13 :: v_dual_mov_b32 v32, v31
	v_lshrrev_b32_e32 v31, 23, v28
	s_delay_alu instid0(VALU_DEP_2) | instskip(SKIP_1) | instid1(VALU_DEP_3)
	v_mad_nc_u64_u32 v[32:33], 0x3c439041, v12, v[32:33]
	v_mov_b32_e32 v35, v13
	v_add_nc_u32_e32 v31, 0xffffff88, v31
	s_delay_alu instid0(VALU_DEP_1) | instskip(NEXT) | instid1(VALU_DEP_4)
	v_cmp_lt_u32_e32 vcc_lo, 63, v31
	v_mov_b32_e32 v34, v33
	v_cndmask_b32_e64 v33, 0, 0xffffffc0, vcc_lo
	s_delay_alu instid0(VALU_DEP_2) | instskip(NEXT) | instid1(VALU_DEP_1)
	v_mad_nc_u64_u32 v[34:35], 0xdb629599, v12, v[34:35]
	v_dual_mov_b32 v37, v13 :: v_dual_mov_b32 v36, v35
	s_delay_alu instid0(VALU_DEP_2) | instskip(NEXT) | instid1(VALU_DEP_2)
	v_cndmask_b32_e32 v30, v34, v30, vcc_lo
	v_mad_nc_u64_u32 v[36:37], 0xf534ddc0, v12, v[36:37]
	s_delay_alu instid0(VALU_DEP_1) | instskip(NEXT) | instid1(VALU_DEP_1)
	v_dual_mov_b32 v39, v13 :: v_dual_mov_b32 v38, v37
	v_mad_nc_u64_u32 v[38:39], 0xfc2757d1, v12, v[38:39]
	s_delay_alu instid0(VALU_DEP_1) | instskip(NEXT) | instid1(VALU_DEP_1)
	v_mov_b32_e32 v40, v39
	v_mad_nc_u64_u32 v[40:41], 0x4e441529, v12, v[40:41]
	v_add_nc_u32_e32 v31, v33, v31
	v_mov_b32_e32 v43, v13
	s_delay_alu instid0(VALU_DEP_2) | instskip(NEXT) | instid1(VALU_DEP_4)
	v_cmp_lt_u32_e64 s0, 31, v31
	v_mov_b32_e32 v42, v41
	s_delay_alu instid0(VALU_DEP_2) | instskip(NEXT) | instid1(VALU_DEP_2)
	v_cndmask_b32_e64 v33, 0, 0xffffffe0, s0
	v_mad_nc_u64_u32 v[42:43], 0xa2f9836e, v12, v[42:43]
	s_delay_alu instid0(VALU_DEP_2) | instskip(NEXT) | instid1(VALU_DEP_2)
	v_dual_cndmask_b32 v33, v40, v36 :: v_dual_add_nc_u32 v12, v33, v31
	v_cndmask_b32_e32 v35, v42, v38, vcc_lo
	s_delay_alu instid0(VALU_DEP_2) | instskip(NEXT) | instid1(VALU_DEP_4)
	v_cmp_lt_u32_e64 s1, 31, v12
	v_dual_cndmask_b32 v37, v43, v40 :: v_dual_cndmask_b32 v38, v38, v34
	s_delay_alu instid0(VALU_DEP_2) | instskip(NEXT) | instid1(VALU_DEP_1)
	v_cndmask_b32_e64 v31, 0, 0xffffffe0, s1
	v_add_nc_u32_e32 v12, v31, v12
	v_dual_cndmask_b32 v31, v36, v32, vcc_lo :: v_dual_cndmask_b32 v32, v35, v33, s0
	s_delay_alu instid0(VALU_DEP_4) | instskip(NEXT) | instid1(VALU_DEP_3)
	v_cndmask_b32_e64 v35, v37, v35, s0
	v_dual_cndmask_b32 v33, v33, v38, s0 :: v_dual_sub_nc_u32 v36, 32, v12
	s_delay_alu instid0(VALU_DEP_3) | instskip(SKIP_1) | instid1(VALU_DEP_3)
	v_cndmask_b32_e64 v37, v38, v31, s0
	v_cmp_eq_u32_e32 vcc_lo, 0, v12
	v_dual_cndmask_b32 v35, v35, v32, s1 :: v_dual_cndmask_b32 v32, v32, v33, s1
	s_delay_alu instid0(VALU_DEP_1) | instskip(NEXT) | instid1(VALU_DEP_1)
	v_alignbit_b32 v38, v35, v32, v36
	v_dual_cndmask_b32 v33, v33, v37, s1 :: v_dual_cndmask_b32 v12, v38, v35, vcc_lo
	s_delay_alu instid0(VALU_DEP_1) | instskip(NEXT) | instid1(VALU_DEP_1)
	v_alignbit_b32 v34, v32, v33, v36
	v_dual_cndmask_b32 v30, v31, v30, s0 :: v_dual_cndmask_b32 v31, v34, v32, vcc_lo
	s_delay_alu instid0(VALU_DEP_3) | instskip(NEXT) | instid1(VALU_DEP_2)
	v_bfe_u32 v32, v12, 29, 1
	v_cndmask_b32_e64 v30, v37, v30, s1
	s_delay_alu instid0(VALU_DEP_3) | instskip(NEXT) | instid1(VALU_DEP_3)
	v_alignbit_b32 v34, v12, v31, 30
	v_sub_nc_u32_e32 v35, 0, v32
	s_delay_alu instid0(VALU_DEP_3) | instskip(NEXT) | instid1(VALU_DEP_1)
	v_alignbit_b32 v36, v33, v30, v36
	v_dual_cndmask_b32 v33, v36, v33, vcc_lo :: v_dual_bitop2_b32 v34, v34, v35 bitop3:0x14
	s_delay_alu instid0(VALU_DEP_1) | instskip(NEXT) | instid1(VALU_DEP_2)
	v_clz_i32_u32_e32 v36, v34
	v_alignbit_b32 v31, v31, v33, 30
	v_alignbit_b32 v30, v33, v30, 30
	s_delay_alu instid0(VALU_DEP_3) | instskip(NEXT) | instid1(VALU_DEP_3)
	v_min_u32_e32 v36, 32, v36
	v_xor_b32_e32 v31, v31, v35
	s_delay_alu instid0(VALU_DEP_3) | instskip(SKIP_1) | instid1(VALU_DEP_4)
	v_dual_lshrrev_b32 v35, 29, v12 :: v_dual_bitop2_b32 v30, v30, v35 bitop3:0x14
	v_lshrrev_b32_e32 v12, 30, v12
	v_dual_sub_nc_u32 v33, 31, v36 :: v_dual_lshlrev_b32 v37, 23, v36
	s_delay_alu instid0(VALU_DEP_1) | instskip(NEXT) | instid1(VALU_DEP_4)
	v_alignbit_b32 v34, v34, v31, v33
	v_alignbit_b32 v30, v31, v30, v33
	v_lshlrev_b32_e32 v31, 31, v35
	s_delay_alu instid0(VALU_DEP_2) | instskip(NEXT) | instid1(VALU_DEP_2)
	v_alignbit_b32 v33, v34, v30, 9
	v_dual_lshrrev_b32 v34, 9, v34 :: v_dual_bitop2_b32 v35, 0.5, v31 bitop3:0x54
	v_or_b32_e32 v31, 0x33000000, v31
	s_delay_alu instid0(VALU_DEP_3) | instskip(NEXT) | instid1(VALU_DEP_3)
	v_clz_i32_u32_e32 v38, v33
	v_sub_nc_u32_e32 v35, v35, v37
	s_delay_alu instid0(VALU_DEP_2) | instskip(NEXT) | instid1(VALU_DEP_1)
	v_min_u32_e32 v37, 32, v38
	v_add_lshl_u32 v36, v37, v36, 23
	s_delay_alu instid0(VALU_DEP_3) | instskip(SKIP_1) | instid1(VALU_DEP_2)
	v_or_b32_e32 v34, v34, v35
	v_not_b32_e32 v35, v37
	v_dual_mul_f32 v38, 0x3fc90fda, v34 :: v_dual_sub_nc_u32 v31, v31, v36
	s_delay_alu instid0(VALU_DEP_2) | instskip(NEXT) | instid1(VALU_DEP_2)
	v_alignbit_b32 v30, v33, v30, v35
	v_fma_f32 v33, 0x3fc90fda, v34, -v38
	s_delay_alu instid0(VALU_DEP_2) | instskip(NEXT) | instid1(VALU_DEP_2)
	v_lshrrev_b32_e32 v30, 9, v30
	v_fmac_f32_e32 v33, 0x33a22168, v34
	s_delay_alu instid0(VALU_DEP_2) | instskip(NEXT) | instid1(VALU_DEP_1)
	v_dual_add_nc_u32 v31, v32, v12 :: v_dual_bitop2_b32 v30, v31, v30 bitop3:0x54
	v_fmac_f32_e32 v33, 0x3fc90fda, v30
	s_delay_alu instid0(VALU_DEP_1)
	v_add_f32_e32 v30, v38, v33
	s_and_not1_saveexec_b32 s0, s14
	s_branch .LBB150_92
.LBB150_91:                             ;   in Loop: Header=BB150_73 Depth=1
	s_and_not1_saveexec_b32 s0, s14
.LBB150_92:                             ;   in Loop: Header=BB150_73 Depth=1
	v_mul_f32_e64 v12, 0x3f22f983, |v9|
	s_delay_alu instid0(VALU_DEP_1) | instskip(NEXT) | instid1(VALU_DEP_1)
	v_rndne_f32_e32 v12, v12
	v_fma_f32 v30, 0xbfc90fda, v12, |v9|
	v_cvt_i32_f32_e32 v31, v12
	s_delay_alu instid0(VALU_DEP_2) | instskip(NEXT) | instid1(VALU_DEP_1)
	v_fmac_f32_e32 v30, 0xb3a22168, v12
	v_fmac_f32_e32 v30, 0xa7c234c4, v12
; %bb.93:                               ;   in Loop: Header=BB150_73 Depth=1
	s_or_b32 exec_lo, exec_lo, s0
                                        ; implicit-def: $vgpr33
                                        ; implicit-def: $vgpr32
	s_and_saveexec_b32 s0, s13
	s_delay_alu instid0(SALU_CYCLE_1)
	s_xor_b32 s13, exec_lo, s0
	s_cbranch_execz .LBB150_95
; %bb.94:                               ;   in Loop: Header=BB150_73 Depth=1
	v_and_or_b32 v12, v28, s8, 0x800000
	v_dual_mov_b32 v43, v13 :: v_dual_mov_b32 v45, v13
	s_delay_alu instid0(VALU_DEP_2) | instskip(NEXT) | instid1(VALU_DEP_1)
	v_mul_u64_e32 v[32:33], s[4:5], v[12:13]
	v_dual_mov_b32 v35, v13 :: v_dual_mov_b32 v34, v33
	v_lshrrev_b32_e32 v33, 23, v28
	s_delay_alu instid0(VALU_DEP_2) | instskip(SKIP_1) | instid1(VALU_DEP_3)
	v_mad_nc_u64_u32 v[34:35], 0x3c439041, v12, v[34:35]
	v_mov_b32_e32 v37, v13
	v_add_nc_u32_e32 v33, 0xffffff88, v33
	s_delay_alu instid0(VALU_DEP_1) | instskip(NEXT) | instid1(VALU_DEP_4)
	v_cmp_lt_u32_e32 vcc_lo, 63, v33
	v_mov_b32_e32 v36, v35
	v_cndmask_b32_e64 v35, 0, 0xffffffc0, vcc_lo
	s_delay_alu instid0(VALU_DEP_2) | instskip(NEXT) | instid1(VALU_DEP_2)
	v_mad_nc_u64_u32 v[36:37], 0xdb629599, v12, v[36:37]
	v_dual_mov_b32 v39, v13 :: v_dual_add_nc_u32 v33, v35, v33
	s_delay_alu instid0(VALU_DEP_1) | instskip(NEXT) | instid1(VALU_DEP_3)
	v_cmp_lt_u32_e64 s0, 31, v33
	v_mov_b32_e32 v38, v37
	s_delay_alu instid0(VALU_DEP_2) | instskip(SKIP_1) | instid1(VALU_DEP_3)
	v_cndmask_b32_e64 v35, 0, 0xffffffe0, s0
	v_cndmask_b32_e32 v32, v36, v32, vcc_lo
	v_mad_nc_u64_u32 v[38:39], 0xf534ddc0, v12, v[38:39]
	s_delay_alu instid0(VALU_DEP_1) | instskip(NEXT) | instid1(VALU_DEP_1)
	v_dual_mov_b32 v41, v13 :: v_dual_mov_b32 v40, v39
	v_mad_nc_u64_u32 v[40:41], 0xfc2757d1, v12, v[40:41]
	s_delay_alu instid0(VALU_DEP_1) | instskip(NEXT) | instid1(VALU_DEP_1)
	v_mov_b32_e32 v42, v41
	v_mad_nc_u64_u32 v[42:43], 0x4e441529, v12, v[42:43]
	s_delay_alu instid0(VALU_DEP_1) | instskip(NEXT) | instid1(VALU_DEP_1)
	v_mov_b32_e32 v44, v43
	v_mad_nc_u64_u32 v[44:45], 0xa2f9836e, v12, v[44:45]
	s_delay_alu instid0(VALU_DEP_3) | instskip(NEXT) | instid1(VALU_DEP_2)
	v_dual_cndmask_b32 v35, v42, v38 :: v_dual_add_nc_u32 v12, v35, v33
	v_cndmask_b32_e32 v37, v44, v40, vcc_lo
	s_delay_alu instid0(VALU_DEP_2) | instskip(NEXT) | instid1(VALU_DEP_4)
	v_cmp_lt_u32_e64 s1, 31, v12
	v_dual_cndmask_b32 v39, v45, v42 :: v_dual_cndmask_b32 v40, v40, v36
	s_delay_alu instid0(VALU_DEP_2) | instskip(NEXT) | instid1(VALU_DEP_1)
	v_cndmask_b32_e64 v33, 0, 0xffffffe0, s1
	v_dual_cndmask_b32 v33, v38, v34 :: v_dual_add_nc_u32 v12, v33, v12
	s_delay_alu instid0(VALU_DEP_3) | instskip(NEXT) | instid1(VALU_DEP_4)
	v_dual_cndmask_b32 v34, v37, v35, s0 :: v_dual_cndmask_b32 v37, v39, v37, s0
	v_cndmask_b32_e64 v35, v35, v40, s0
	s_delay_alu instid0(VALU_DEP_3) | instskip(SKIP_1) | instid1(VALU_DEP_3)
	v_dual_sub_nc_u32 v38, 32, v12 :: v_dual_cndmask_b32 v39, v40, v33, s0
	v_cmp_eq_u32_e32 vcc_lo, 0, v12
	v_dual_cndmask_b32 v37, v37, v34, s1 :: v_dual_cndmask_b32 v34, v34, v35, s1
	s_delay_alu instid0(VALU_DEP_1) | instskip(NEXT) | instid1(VALU_DEP_1)
	v_alignbit_b32 v40, v37, v34, v38
	v_dual_cndmask_b32 v35, v35, v39, s1 :: v_dual_cndmask_b32 v12, v40, v37, vcc_lo
	s_delay_alu instid0(VALU_DEP_1) | instskip(NEXT) | instid1(VALU_DEP_1)
	v_alignbit_b32 v36, v34, v35, v38
	v_dual_cndmask_b32 v32, v33, v32, s0 :: v_dual_cndmask_b32 v33, v36, v34, vcc_lo
	s_delay_alu instid0(VALU_DEP_3) | instskip(NEXT) | instid1(VALU_DEP_2)
	v_bfe_u32 v34, v12, 29, 1
	v_cndmask_b32_e64 v32, v39, v32, s1
	s_delay_alu instid0(VALU_DEP_3) | instskip(NEXT) | instid1(VALU_DEP_3)
	v_alignbit_b32 v36, v12, v33, 30
	v_sub_nc_u32_e32 v37, 0, v34
	s_delay_alu instid0(VALU_DEP_3) | instskip(NEXT) | instid1(VALU_DEP_1)
	v_alignbit_b32 v38, v35, v32, v38
	v_dual_cndmask_b32 v35, v38, v35, vcc_lo :: v_dual_bitop2_b32 v36, v36, v37 bitop3:0x14
	s_delay_alu instid0(VALU_DEP_1) | instskip(NEXT) | instid1(VALU_DEP_2)
	v_clz_i32_u32_e32 v38, v36
	v_alignbit_b32 v33, v33, v35, 30
	v_alignbit_b32 v32, v35, v32, 30
	s_delay_alu instid0(VALU_DEP_3) | instskip(NEXT) | instid1(VALU_DEP_3)
	v_min_u32_e32 v38, 32, v38
	v_xor_b32_e32 v33, v33, v37
	s_delay_alu instid0(VALU_DEP_3) | instskip(NEXT) | instid1(VALU_DEP_3)
	v_dual_lshrrev_b32 v37, 29, v12 :: v_dual_bitop2_b32 v32, v32, v37 bitop3:0x14
	v_dual_sub_nc_u32 v35, 31, v38 :: v_dual_lshlrev_b32 v39, 23, v38
	s_delay_alu instid0(VALU_DEP_1) | instskip(NEXT) | instid1(VALU_DEP_3)
	v_alignbit_b32 v36, v36, v33, v35
	v_alignbit_b32 v32, v33, v32, v35
	s_delay_alu instid0(VALU_DEP_4) | instskip(NEXT) | instid1(VALU_DEP_2)
	v_lshlrev_b32_e32 v33, 31, v37
	v_alignbit_b32 v35, v36, v32, 9
	s_delay_alu instid0(VALU_DEP_2) | instskip(SKIP_1) | instid1(VALU_DEP_3)
	v_dual_lshrrev_b32 v36, 9, v36 :: v_dual_bitop2_b32 v37, 0.5, v33 bitop3:0x54
	v_or_b32_e32 v33, 0x33000000, v33
	v_clz_i32_u32_e32 v40, v35
	s_delay_alu instid0(VALU_DEP_3) | instskip(NEXT) | instid1(VALU_DEP_2)
	v_sub_nc_u32_e32 v37, v37, v39
	v_min_u32_e32 v39, 32, v40
	s_delay_alu instid0(VALU_DEP_1) | instskip(NEXT) | instid1(VALU_DEP_3)
	v_add_lshl_u32 v38, v39, v38, 23
	v_or_b32_e32 v36, v36, v37
	v_not_b32_e32 v37, v39
	s_delay_alu instid0(VALU_DEP_2) | instskip(NEXT) | instid1(VALU_DEP_2)
	v_dual_mul_f32 v40, 0x3fc90fda, v36 :: v_dual_sub_nc_u32 v33, v33, v38
	v_alignbit_b32 v32, v35, v32, v37
	s_delay_alu instid0(VALU_DEP_2) | instskip(NEXT) | instid1(VALU_DEP_2)
	v_fma_f32 v35, 0x3fc90fda, v36, -v40
	v_lshrrev_b32_e32 v32, 9, v32
	s_delay_alu instid0(VALU_DEP_2) | instskip(NEXT) | instid1(VALU_DEP_2)
	v_fmac_f32_e32 v35, 0x33a22168, v36
	v_or_b32_e32 v32, v33, v32
	s_delay_alu instid0(VALU_DEP_1) | instskip(NEXT) | instid1(VALU_DEP_1)
	v_fmac_f32_e32 v35, 0x3fc90fda, v32
	v_dual_lshrrev_b32 v12, 30, v12 :: v_dual_add_f32 v32, v40, v35
	s_delay_alu instid0(VALU_DEP_1)
	v_add_nc_u32_e32 v33, v34, v12
	s_and_not1_saveexec_b32 s0, s13
	s_cbranch_execnz .LBB150_96
	s_branch .LBB150_97
.LBB150_95:                             ;   in Loop: Header=BB150_73 Depth=1
	s_and_not1_saveexec_b32 s0, s13
.LBB150_96:                             ;   in Loop: Header=BB150_73 Depth=1
	v_mul_f32_e64 v12, 0x3f22f983, |v9|
	s_delay_alu instid0(VALU_DEP_1) | instskip(NEXT) | instid1(VALU_DEP_1)
	v_rndne_f32_e32 v12, v12
	v_fma_f32 v32, 0xbfc90fda, v12, |v9|
	v_cvt_i32_f32_e32 v33, v12
	s_delay_alu instid0(VALU_DEP_2) | instskip(NEXT) | instid1(VALU_DEP_1)
	v_fmac_f32_e32 v32, 0xb3a22168, v12
	v_fmac_f32_e32 v32, 0xa7c234c4, v12
.LBB150_97:                             ;   in Loop: Header=BB150_73 Depth=1
	s_or_b32 exec_lo, exec_lo, s0
	s_wait_loadcnt 0x0
	v_mul_f32_e32 v34, 0.5, v3
                                        ; implicit-def: $vgpr40
                                        ; implicit-def: $vgpr38
	s_mov_b32 s1, exec_lo
	s_delay_alu instid0(VALU_DEP_1)
	v_and_b32_e32 v35, 0x7fffffff, v34
	v_cmpx_ngt_f32_e64 0x48000000, |v34|
	s_xor_b32 s13, exec_lo, s1
	s_cbranch_execz .LBB150_99
; %bb.98:                               ;   in Loop: Header=BB150_73 Depth=1
	s_delay_alu instid0(VALU_DEP_2) | instskip(SKIP_1) | instid1(VALU_DEP_2)
	v_and_or_b32 v12, v35, s8, 0x800000
	v_dual_mov_b32 v47, v13 :: v_dual_mov_b32 v49, v13
	v_mul_u64_e32 v[36:37], s[4:5], v[12:13]
	s_delay_alu instid0(VALU_DEP_1) | instskip(SKIP_1) | instid1(VALU_DEP_2)
	v_dual_mov_b32 v39, v13 :: v_dual_mov_b32 v38, v37
	v_lshrrev_b32_e32 v37, 23, v35
	v_mad_nc_u64_u32 v[38:39], 0x3c439041, v12, v[38:39]
	v_mov_b32_e32 v41, v13
	s_delay_alu instid0(VALU_DEP_3) | instskip(NEXT) | instid1(VALU_DEP_1)
	v_add_nc_u32_e32 v37, 0xffffff88, v37
	v_cmp_lt_u32_e32 vcc_lo, 63, v37
	s_delay_alu instid0(VALU_DEP_4) | instskip(SKIP_1) | instid1(VALU_DEP_2)
	v_mov_b32_e32 v40, v39
	v_cndmask_b32_e64 v39, 0, 0xffffffc0, vcc_lo
	v_mad_nc_u64_u32 v[40:41], 0xdb629599, v12, v[40:41]
	s_delay_alu instid0(VALU_DEP_2) | instskip(NEXT) | instid1(VALU_DEP_1)
	v_dual_mov_b32 v43, v13 :: v_dual_add_nc_u32 v37, v39, v37
	v_cmp_lt_u32_e64 s0, 31, v37
	s_delay_alu instid0(VALU_DEP_3) | instskip(NEXT) | instid1(VALU_DEP_2)
	v_mov_b32_e32 v42, v41
	v_cndmask_b32_e64 v39, 0, 0xffffffe0, s0
	v_cndmask_b32_e32 v36, v40, v36, vcc_lo
	s_delay_alu instid0(VALU_DEP_3) | instskip(NEXT) | instid1(VALU_DEP_1)
	v_mad_nc_u64_u32 v[42:43], 0xf534ddc0, v12, v[42:43]
	v_dual_mov_b32 v45, v13 :: v_dual_mov_b32 v44, v43
	s_delay_alu instid0(VALU_DEP_1) | instskip(NEXT) | instid1(VALU_DEP_1)
	v_mad_nc_u64_u32 v[44:45], 0xfc2757d1, v12, v[44:45]
	v_mov_b32_e32 v46, v45
	s_delay_alu instid0(VALU_DEP_1) | instskip(NEXT) | instid1(VALU_DEP_1)
	v_mad_nc_u64_u32 v[46:47], 0x4e441529, v12, v[46:47]
	v_mov_b32_e32 v48, v47
	s_delay_alu instid0(VALU_DEP_1) | instskip(NEXT) | instid1(VALU_DEP_3)
	v_mad_nc_u64_u32 v[48:49], 0xa2f9836e, v12, v[48:49]
	v_dual_cndmask_b32 v39, v46, v42 :: v_dual_add_nc_u32 v12, v39, v37
	s_delay_alu instid0(VALU_DEP_2) | instskip(NEXT) | instid1(VALU_DEP_2)
	v_cndmask_b32_e32 v41, v48, v44, vcc_lo
	v_cmp_lt_u32_e64 s1, 31, v12
	s_delay_alu instid0(VALU_DEP_4) | instskip(NEXT) | instid1(VALU_DEP_2)
	v_dual_cndmask_b32 v43, v49, v46 :: v_dual_cndmask_b32 v44, v44, v40
	v_cndmask_b32_e64 v37, 0, 0xffffffe0, s1
	s_delay_alu instid0(VALU_DEP_1) | instskip(NEXT) | instid1(VALU_DEP_3)
	v_dual_cndmask_b32 v37, v42, v38 :: v_dual_add_nc_u32 v12, v37, v12
	v_dual_cndmask_b32 v38, v41, v39, s0 :: v_dual_cndmask_b32 v41, v43, v41, s0
	s_delay_alu instid0(VALU_DEP_4) | instskip(NEXT) | instid1(VALU_DEP_3)
	v_cndmask_b32_e64 v39, v39, v44, s0
	v_dual_sub_nc_u32 v42, 32, v12 :: v_dual_cndmask_b32 v43, v44, v37, s0
	v_cmp_eq_u32_e32 vcc_lo, 0, v12
	s_delay_alu instid0(VALU_DEP_3) | instskip(NEXT) | instid1(VALU_DEP_1)
	v_dual_cndmask_b32 v41, v41, v38, s1 :: v_dual_cndmask_b32 v38, v38, v39, s1
	v_alignbit_b32 v44, v41, v38, v42
	s_delay_alu instid0(VALU_DEP_1) | instskip(NEXT) | instid1(VALU_DEP_1)
	v_dual_cndmask_b32 v39, v39, v43, s1 :: v_dual_cndmask_b32 v12, v44, v41, vcc_lo
	v_alignbit_b32 v40, v38, v39, v42
	s_delay_alu instid0(VALU_DEP_1) | instskip(NEXT) | instid1(VALU_DEP_3)
	v_dual_cndmask_b32 v36, v37, v36, s0 :: v_dual_cndmask_b32 v37, v40, v38, vcc_lo
	v_bfe_u32 v40, v12, 29, 1
	s_delay_alu instid0(VALU_DEP_2) | instskip(NEXT) | instid1(VALU_DEP_2)
	v_alignbit_b32 v38, v12, v37, 30
	v_sub_nc_u32_e32 v41, 0, v40
	s_delay_alu instid0(VALU_DEP_1) | instskip(NEXT) | instid1(VALU_DEP_1)
	v_dual_cndmask_b32 v36, v43, v36, s1 :: v_dual_bitop2_b32 v38, v38, v41 bitop3:0x14
	v_alignbit_b32 v42, v39, v36, v42
	s_delay_alu instid0(VALU_DEP_1) | instskip(NEXT) | instid1(VALU_DEP_3)
	v_cndmask_b32_e32 v39, v42, v39, vcc_lo
	v_clz_i32_u32_e32 v42, v38
	s_delay_alu instid0(VALU_DEP_2) | instskip(NEXT) | instid1(VALU_DEP_2)
	v_alignbit_b32 v37, v37, v39, 30
	v_min_u32_e32 v42, 32, v42
	v_alignbit_b32 v36, v39, v36, 30
	s_delay_alu instid0(VALU_DEP_2) | instskip(NEXT) | instid1(VALU_DEP_2)
	v_dual_sub_nc_u32 v39, 31, v42 :: v_dual_bitop2_b32 v37, v37, v41 bitop3:0x14
	v_dual_lshrrev_b32 v41, 29, v12 :: v_dual_bitop2_b32 v36, v36, v41 bitop3:0x14
	v_dual_lshlrev_b32 v43, 23, v42 :: v_dual_lshrrev_b32 v12, 30, v12
	s_delay_alu instid0(VALU_DEP_3) | instskip(NEXT) | instid1(VALU_DEP_3)
	v_alignbit_b32 v38, v38, v37, v39
	v_alignbit_b32 v36, v37, v36, v39
	s_delay_alu instid0(VALU_DEP_3) | instskip(NEXT) | instid1(VALU_DEP_2)
	v_dual_lshlrev_b32 v37, 31, v41 :: v_dual_add_nc_u32 v40, v40, v12
	v_alignbit_b32 v39, v38, v36, 9
	s_delay_alu instid0(VALU_DEP_2) | instskip(SKIP_1) | instid1(VALU_DEP_3)
	v_dual_lshrrev_b32 v38, 9, v38 :: v_dual_bitop2_b32 v41, 0.5, v37 bitop3:0x54
	v_or_b32_e32 v37, 0x33000000, v37
	v_clz_i32_u32_e32 v44, v39
	s_delay_alu instid0(VALU_DEP_3) | instskip(NEXT) | instid1(VALU_DEP_2)
	v_sub_nc_u32_e32 v41, v41, v43
	v_min_u32_e32 v43, 32, v44
	s_delay_alu instid0(VALU_DEP_1) | instskip(NEXT) | instid1(VALU_DEP_3)
	v_add_lshl_u32 v42, v43, v42, 23
	v_or_b32_e32 v38, v38, v41
	v_not_b32_e32 v41, v43
	s_delay_alu instid0(VALU_DEP_3) | instskip(NEXT) | instid1(VALU_DEP_3)
	v_sub_nc_u32_e32 v37, v37, v42
	v_mul_f32_e32 v44, 0x3fc90fda, v38
	s_delay_alu instid0(VALU_DEP_3) | instskip(NEXT) | instid1(VALU_DEP_2)
	v_alignbit_b32 v36, v39, v36, v41
	v_fma_f32 v39, 0x3fc90fda, v38, -v44
	s_delay_alu instid0(VALU_DEP_1) | instskip(NEXT) | instid1(VALU_DEP_1)
	v_dual_fmac_f32 v39, 0x33a22168, v38 :: v_dual_lshrrev_b32 v36, 9, v36
	v_or_b32_e32 v36, v37, v36
	s_delay_alu instid0(VALU_DEP_1) | instskip(NEXT) | instid1(VALU_DEP_1)
	v_fmac_f32_e32 v39, 0x3fc90fda, v36
	v_add_f32_e32 v38, v44, v39
.LBB150_99:                             ;   in Loop: Header=BB150_73 Depth=1
	s_and_not1_saveexec_b32 s0, s13
; %bb.100:                              ;   in Loop: Header=BB150_73 Depth=1
	v_mul_f32_e64 v12, 0x3f22f983, |v34|
	s_delay_alu instid0(VALU_DEP_1) | instskip(NEXT) | instid1(VALU_DEP_1)
	v_rndne_f32_e32 v12, v12
	v_fma_f32 v38, 0xbfc90fda, v12, |v34|
	v_cvt_i32_f32_e32 v40, v12
	s_delay_alu instid0(VALU_DEP_2) | instskip(NEXT) | instid1(VALU_DEP_1)
	v_fmac_f32_e32 v38, 0xb3a22168, v12
	v_fmac_f32_e32 v38, 0xa7c234c4, v12
; %bb.101:                              ;   in Loop: Header=BB150_73 Depth=1
	s_or_b32 exec_lo, exec_lo, s0
	v_and_b32_e32 v39, 0x7fffffff, v3
	v_cmp_ngt_f32_e64 s13, 0x48000000, |v3|
                                        ; implicit-def: $vgpr46
                                        ; implicit-def: $vgpr44
	s_and_saveexec_b32 s0, s13
	s_delay_alu instid0(SALU_CYCLE_1)
	s_xor_b32 s14, exec_lo, s0
	s_cbranch_execz .LBB150_103
; %bb.102:                              ;   in Loop: Header=BB150_73 Depth=1
	v_and_or_b32 v12, v39, s8, 0x800000
	v_mov_b32_e32 v51, v13
	s_delay_alu instid0(VALU_DEP_2) | instskip(NEXT) | instid1(VALU_DEP_1)
	v_mul_u64_e32 v[36:37], s[4:5], v[12:13]
	v_dual_mov_b32 v43, v13 :: v_dual_mov_b32 v42, v37
	v_lshrrev_b32_e32 v37, 23, v39
	s_delay_alu instid0(VALU_DEP_2) | instskip(SKIP_1) | instid1(VALU_DEP_3)
	v_mad_nc_u64_u32 v[42:43], 0x3c439041, v12, v[42:43]
	v_mov_b32_e32 v45, v13
	v_add_nc_u32_e32 v37, 0xffffff88, v37
	s_delay_alu instid0(VALU_DEP_1) | instskip(NEXT) | instid1(VALU_DEP_4)
	v_cmp_lt_u32_e32 vcc_lo, 63, v37
	v_mov_b32_e32 v44, v43
	v_cndmask_b32_e64 v41, 0, 0xffffffc0, vcc_lo
	s_delay_alu instid0(VALU_DEP_2) | instskip(NEXT) | instid1(VALU_DEP_1)
	v_mad_nc_u64_u32 v[44:45], 0xdb629599, v12, v[44:45]
	v_dual_mov_b32 v47, v13 :: v_dual_mov_b32 v46, v45
	s_delay_alu instid0(VALU_DEP_2) | instskip(NEXT) | instid1(VALU_DEP_2)
	v_cndmask_b32_e32 v36, v44, v36, vcc_lo
	v_mad_nc_u64_u32 v[46:47], 0xf534ddc0, v12, v[46:47]
	s_delay_alu instid0(VALU_DEP_1) | instskip(NEXT) | instid1(VALU_DEP_1)
	v_dual_mov_b32 v49, v13 :: v_dual_mov_b32 v48, v47
	v_mad_nc_u64_u32 v[48:49], 0xfc2757d1, v12, v[48:49]
	s_delay_alu instid0(VALU_DEP_1) | instskip(NEXT) | instid1(VALU_DEP_1)
	v_dual_mov_b32 v50, v49 :: v_dual_cndmask_b32 v47, v48, v44
	v_mad_nc_u64_u32 v[50:51], 0x4e441529, v12, v[50:51]
	v_add_nc_u32_e32 v37, v41, v37
	s_delay_alu instid0(VALU_DEP_2) | instskip(NEXT) | instid1(VALU_DEP_2)
	v_dual_mov_b32 v53, v13 :: v_dual_mov_b32 v52, v51
	v_cmp_lt_u32_e64 s0, 31, v37
	s_delay_alu instid0(VALU_DEP_2) | instskip(NEXT) | instid1(VALU_DEP_2)
	v_mad_nc_u64_u32 v[52:53], 0xa2f9836e, v12, v[52:53]
	v_cndmask_b32_e64 v41, 0, 0xffffffe0, s0
	s_delay_alu instid0(VALU_DEP_1) | instskip(NEXT) | instid1(VALU_DEP_3)
	v_dual_cndmask_b32 v41, v50, v46 :: v_dual_add_nc_u32 v12, v41, v37
	v_cndmask_b32_e32 v43, v52, v48, vcc_lo
	s_delay_alu instid0(VALU_DEP_2) | instskip(SKIP_1) | instid1(VALU_DEP_2)
	v_cmp_lt_u32_e64 s1, 31, v12
	v_cndmask_b32_e32 v45, v53, v50, vcc_lo
	v_cndmask_b32_e64 v37, 0, 0xffffffe0, s1
	s_delay_alu instid0(VALU_DEP_1) | instskip(NEXT) | instid1(VALU_DEP_3)
	v_dual_cndmask_b32 v37, v46, v42 :: v_dual_add_nc_u32 v12, v37, v12
	v_dual_cndmask_b32 v42, v43, v41, s0 :: v_dual_cndmask_b32 v43, v45, v43, s0
	s_delay_alu instid0(VALU_DEP_2) | instskip(NEXT) | instid1(VALU_DEP_3)
	v_dual_cndmask_b32 v41, v41, v47, s0 :: v_dual_sub_nc_u32 v45, 32, v12
	v_cndmask_b32_e64 v46, v47, v37, s0
	v_cmp_eq_u32_e32 vcc_lo, 0, v12
	s_delay_alu instid0(VALU_DEP_3) | instskip(NEXT) | instid1(VALU_DEP_1)
	v_dual_cndmask_b32 v43, v43, v42, s1 :: v_dual_cndmask_b32 v42, v42, v41, s1
	v_alignbit_b32 v47, v43, v42, v45
	s_delay_alu instid0(VALU_DEP_1) | instskip(NEXT) | instid1(VALU_DEP_1)
	v_dual_cndmask_b32 v41, v41, v46, s1 :: v_dual_cndmask_b32 v12, v47, v43, vcc_lo
	v_alignbit_b32 v44, v42, v41, v45
	s_delay_alu instid0(VALU_DEP_1) | instskip(NEXT) | instid1(VALU_DEP_3)
	v_dual_cndmask_b32 v36, v37, v36, s0 :: v_dual_cndmask_b32 v37, v44, v42, vcc_lo
	v_bfe_u32 v42, v12, 29, 1
	s_delay_alu instid0(VALU_DEP_2) | instskip(NEXT) | instid1(VALU_DEP_3)
	v_cndmask_b32_e64 v36, v46, v36, s1
	v_alignbit_b32 v43, v12, v37, 30
	s_delay_alu instid0(VALU_DEP_3) | instskip(NEXT) | instid1(VALU_DEP_3)
	v_sub_nc_u32_e32 v44, 0, v42
	v_alignbit_b32 v45, v41, v36, v45
	s_delay_alu instid0(VALU_DEP_1) | instskip(NEXT) | instid1(VALU_DEP_1)
	v_dual_cndmask_b32 v41, v45, v41, vcc_lo :: v_dual_bitop2_b32 v43, v43, v44 bitop3:0x14
	v_clz_i32_u32_e32 v45, v43
	s_delay_alu instid0(VALU_DEP_2) | instskip(SKIP_1) | instid1(VALU_DEP_3)
	v_alignbit_b32 v37, v37, v41, 30
	v_alignbit_b32 v36, v41, v36, 30
	v_min_u32_e32 v45, 32, v45
	s_delay_alu instid0(VALU_DEP_3) | instskip(NEXT) | instid1(VALU_DEP_3)
	v_xor_b32_e32 v37, v37, v44
	v_xor_b32_e32 v36, v36, v44
	v_dual_lshrrev_b32 v44, 29, v12 :: v_dual_lshrrev_b32 v12, 30, v12
	s_delay_alu instid0(VALU_DEP_4) | instskip(NEXT) | instid1(VALU_DEP_1)
	v_dual_sub_nc_u32 v41, 31, v45 :: v_dual_lshlrev_b32 v46, 23, v45
	v_alignbit_b32 v43, v43, v37, v41
	s_delay_alu instid0(VALU_DEP_4) | instskip(NEXT) | instid1(VALU_DEP_4)
	v_alignbit_b32 v36, v37, v36, v41
	v_lshlrev_b32_e32 v37, 31, v44
	s_delay_alu instid0(VALU_DEP_2) | instskip(NEXT) | instid1(VALU_DEP_2)
	v_alignbit_b32 v41, v43, v36, 9
	v_dual_lshrrev_b32 v43, 9, v43 :: v_dual_bitop2_b32 v44, 0.5, v37 bitop3:0x54
	v_or_b32_e32 v37, 0x33000000, v37
	s_delay_alu instid0(VALU_DEP_3) | instskip(NEXT) | instid1(VALU_DEP_3)
	v_clz_i32_u32_e32 v47, v41
	v_sub_nc_u32_e32 v44, v44, v46
	s_delay_alu instid0(VALU_DEP_2) | instskip(NEXT) | instid1(VALU_DEP_1)
	v_min_u32_e32 v46, 32, v47
	v_add_lshl_u32 v45, v46, v45, 23
	s_delay_alu instid0(VALU_DEP_3) | instskip(SKIP_1) | instid1(VALU_DEP_3)
	v_or_b32_e32 v43, v43, v44
	v_not_b32_e32 v44, v46
	v_dual_add_nc_u32 v46, v42, v12 :: v_dual_sub_nc_u32 v37, v37, v45
	s_delay_alu instid0(VALU_DEP_3) | instskip(NEXT) | instid1(VALU_DEP_3)
	v_mul_f32_e32 v47, 0x3fc90fda, v43
	v_alignbit_b32 v36, v41, v36, v44
	s_delay_alu instid0(VALU_DEP_2) | instskip(NEXT) | instid1(VALU_DEP_1)
	v_fma_f32 v41, 0x3fc90fda, v43, -v47
	v_dual_fmac_f32 v41, 0x33a22168, v43 :: v_dual_lshrrev_b32 v36, 9, v36
	s_delay_alu instid0(VALU_DEP_1) | instskip(NEXT) | instid1(VALU_DEP_1)
	v_or_b32_e32 v36, v37, v36
	v_fmac_f32_e32 v41, 0x3fc90fda, v36
	s_delay_alu instid0(VALU_DEP_1)
	v_add_f32_e32 v44, v47, v41
	s_and_not1_saveexec_b32 s0, s14
	s_branch .LBB150_104
.LBB150_103:                            ;   in Loop: Header=BB150_73 Depth=1
	s_and_not1_saveexec_b32 s0, s14
.LBB150_104:                            ;   in Loop: Header=BB150_73 Depth=1
	v_mul_f32_e64 v12, 0x3f22f983, |v3|
	s_delay_alu instid0(VALU_DEP_1) | instskip(NEXT) | instid1(VALU_DEP_1)
	v_rndne_f32_e32 v12, v12
	v_fma_f32 v44, 0xbfc90fda, v12, |v3|
	v_cvt_i32_f32_e32 v46, v12
	s_delay_alu instid0(VALU_DEP_2) | instskip(NEXT) | instid1(VALU_DEP_1)
	v_fmac_f32_e32 v44, 0xb3a22168, v12
	v_fmac_f32_e32 v44, 0xa7c234c4, v12
; %bb.105:                              ;   in Loop: Header=BB150_73 Depth=1
	s_or_b32 exec_lo, exec_lo, s0
                                        ; implicit-def: $vgpr48
                                        ; implicit-def: $vgpr47
	s_and_saveexec_b32 s0, s13
	s_delay_alu instid0(SALU_CYCLE_1)
	s_xor_b32 s13, exec_lo, s0
	s_cbranch_execz .LBB150_107
; %bb.106:                              ;   in Loop: Header=BB150_73 Depth=1
	v_and_or_b32 v12, v39, s8, 0x800000
	v_mov_b32_e32 v55, v13
	s_delay_alu instid0(VALU_DEP_2) | instskip(NEXT) | instid1(VALU_DEP_1)
	v_mul_u64_e32 v[36:37], s[4:5], v[12:13]
	v_dual_mov_b32 v43, v13 :: v_dual_mov_b32 v42, v37
	v_lshrrev_b32_e32 v37, 23, v39
	s_delay_alu instid0(VALU_DEP_2) | instskip(SKIP_1) | instid1(VALU_DEP_3)
	v_mad_nc_u64_u32 v[42:43], 0x3c439041, v12, v[42:43]
	v_mov_b32_e32 v49, v13
	v_add_nc_u32_e32 v37, 0xffffff88, v37
	s_delay_alu instid0(VALU_DEP_1) | instskip(NEXT) | instid1(VALU_DEP_4)
	v_cmp_lt_u32_e32 vcc_lo, 63, v37
	v_mov_b32_e32 v48, v43
	v_cndmask_b32_e64 v41, 0, 0xffffffc0, vcc_lo
	s_delay_alu instid0(VALU_DEP_2) | instskip(NEXT) | instid1(VALU_DEP_1)
	v_mad_nc_u64_u32 v[48:49], 0xdb629599, v12, v[48:49]
	v_dual_mov_b32 v51, v13 :: v_dual_mov_b32 v50, v49
	s_delay_alu instid0(VALU_DEP_2) | instskip(NEXT) | instid1(VALU_DEP_2)
	v_cndmask_b32_e32 v36, v48, v36, vcc_lo
	v_mad_nc_u64_u32 v[50:51], 0xf534ddc0, v12, v[50:51]
	s_delay_alu instid0(VALU_DEP_1) | instskip(NEXT) | instid1(VALU_DEP_1)
	v_dual_mov_b32 v53, v13 :: v_dual_mov_b32 v52, v51
	v_mad_nc_u64_u32 v[52:53], 0xfc2757d1, v12, v[52:53]
	s_delay_alu instid0(VALU_DEP_1) | instskip(NEXT) | instid1(VALU_DEP_1)
	v_dual_mov_b32 v54, v53 :: v_dual_cndmask_b32 v47, v52, v48
	v_mad_nc_u64_u32 v[54:55], 0x4e441529, v12, v[54:55]
	v_add_nc_u32_e32 v37, v41, v37
	s_delay_alu instid0(VALU_DEP_2) | instskip(NEXT) | instid1(VALU_DEP_2)
	v_dual_mov_b32 v57, v13 :: v_dual_mov_b32 v56, v55
	v_cmp_lt_u32_e64 s0, 31, v37
	s_delay_alu instid0(VALU_DEP_2) | instskip(NEXT) | instid1(VALU_DEP_2)
	v_mad_nc_u64_u32 v[56:57], 0xa2f9836e, v12, v[56:57]
	v_cndmask_b32_e64 v41, 0, 0xffffffe0, s0
	s_delay_alu instid0(VALU_DEP_1) | instskip(NEXT) | instid1(VALU_DEP_3)
	v_dual_cndmask_b32 v41, v54, v50 :: v_dual_add_nc_u32 v12, v41, v37
	v_cndmask_b32_e32 v43, v56, v52, vcc_lo
	s_delay_alu instid0(VALU_DEP_2) | instskip(SKIP_1) | instid1(VALU_DEP_2)
	v_cmp_lt_u32_e64 s1, 31, v12
	v_cndmask_b32_e32 v45, v57, v54, vcc_lo
	v_cndmask_b32_e64 v37, 0, 0xffffffe0, s1
	s_delay_alu instid0(VALU_DEP_1) | instskip(NEXT) | instid1(VALU_DEP_3)
	v_dual_cndmask_b32 v37, v50, v42 :: v_dual_add_nc_u32 v12, v37, v12
	v_dual_cndmask_b32 v42, v43, v41, s0 :: v_dual_cndmask_b32 v43, v45, v43, s0
	s_delay_alu instid0(VALU_DEP_2) | instskip(NEXT) | instid1(VALU_DEP_3)
	v_dual_cndmask_b32 v41, v41, v47, s0 :: v_dual_sub_nc_u32 v45, 32, v12
	v_cndmask_b32_e64 v47, v47, v37, s0
	v_cmp_eq_u32_e32 vcc_lo, 0, v12
	s_delay_alu instid0(VALU_DEP_3) | instskip(SKIP_1) | instid1(VALU_DEP_4)
	v_dual_cndmask_b32 v43, v43, v42, s1 :: v_dual_cndmask_b32 v42, v42, v41, s1
	v_cndmask_b32_e64 v36, v37, v36, s0
	v_cndmask_b32_e64 v41, v41, v47, s1
	s_delay_alu instid0(VALU_DEP_3) | instskip(NEXT) | instid1(VALU_DEP_3)
	v_alignbit_b32 v49, v43, v42, v45
	v_cndmask_b32_e64 v36, v47, v36, s1
	s_delay_alu instid0(VALU_DEP_3) | instskip(NEXT) | instid1(VALU_DEP_1)
	v_alignbit_b32 v48, v42, v41, v45
	v_dual_cndmask_b32 v12, v49, v43 :: v_dual_cndmask_b32 v37, v48, v42
	s_delay_alu instid0(VALU_DEP_3) | instskip(NEXT) | instid1(VALU_DEP_2)
	v_alignbit_b32 v45, v41, v36, v45
	v_bfe_u32 v42, v12, 29, 1
	s_delay_alu instid0(VALU_DEP_3) | instskip(NEXT) | instid1(VALU_DEP_2)
	v_alignbit_b32 v43, v12, v37, 30
	v_dual_cndmask_b32 v41, v45, v41, vcc_lo :: v_dual_sub_nc_u32 v47, 0, v42
	s_delay_alu instid0(VALU_DEP_1) | instskip(SKIP_1) | instid1(VALU_DEP_3)
	v_alignbit_b32 v37, v37, v41, 30
	v_alignbit_b32 v36, v41, v36, 30
	v_xor_b32_e32 v43, v43, v47
	s_delay_alu instid0(VALU_DEP_2) | instskip(NEXT) | instid1(VALU_DEP_2)
	v_xor_b32_e32 v36, v36, v47
	v_clz_i32_u32_e32 v45, v43
	s_delay_alu instid0(VALU_DEP_1) | instskip(SKIP_1) | instid1(VALU_DEP_2)
	v_min_u32_e32 v45, 32, v45
	v_dual_lshrrev_b32 v47, 29, v12 :: v_dual_bitop2_b32 v37, v37, v47 bitop3:0x14
	v_dual_lshrrev_b32 v12, 30, v12 :: v_dual_sub_nc_u32 v41, 31, v45
	v_lshlrev_b32_e32 v48, 23, v45
	s_delay_alu instid0(VALU_DEP_2) | instskip(SKIP_2) | instid1(VALU_DEP_2)
	v_alignbit_b32 v43, v43, v37, v41
	v_alignbit_b32 v36, v37, v36, v41
	v_lshlrev_b32_e32 v37, 31, v47
	v_alignbit_b32 v41, v43, v36, 9
	s_delay_alu instid0(VALU_DEP_2) | instskip(SKIP_1) | instid1(VALU_DEP_3)
	v_dual_lshrrev_b32 v43, 9, v43 :: v_dual_bitop2_b32 v47, 0.5, v37 bitop3:0x54
	v_or_b32_e32 v37, 0x33000000, v37
	v_clz_i32_u32_e32 v49, v41
	s_delay_alu instid0(VALU_DEP_3) | instskip(NEXT) | instid1(VALU_DEP_2)
	v_sub_nc_u32_e32 v47, v47, v48
	v_min_u32_e32 v48, 32, v49
	s_delay_alu instid0(VALU_DEP_1) | instskip(NEXT) | instid1(VALU_DEP_1)
	v_add_lshl_u32 v45, v48, v45, 23
	v_dual_sub_nc_u32 v37, v37, v45 :: v_dual_bitop2_b32 v43, v43, v47 bitop3:0x54
	v_not_b32_e32 v47, v48
	v_add_nc_u32_e32 v48, v42, v12
	s_delay_alu instid0(VALU_DEP_2) | instskip(NEXT) | instid1(VALU_DEP_1)
	v_alignbit_b32 v36, v41, v36, v47
	v_dual_mul_f32 v49, 0x3fc90fda, v43 :: v_dual_lshrrev_b32 v36, 9, v36
	s_delay_alu instid0(VALU_DEP_1) | instskip(NEXT) | instid1(VALU_DEP_2)
	v_or_b32_e32 v36, v37, v36
	v_fma_f32 v41, 0x3fc90fda, v43, -v49
	s_delay_alu instid0(VALU_DEP_1) | instskip(NEXT) | instid1(VALU_DEP_1)
	v_fmac_f32_e32 v41, 0x33a22168, v43
	v_fmac_f32_e32 v41, 0x3fc90fda, v36
	s_delay_alu instid0(VALU_DEP_1)
	v_add_f32_e32 v47, v49, v41
	s_and_not1_saveexec_b32 s0, s13
	s_cbranch_execnz .LBB150_108
	s_branch .LBB150_109
.LBB150_107:                            ;   in Loop: Header=BB150_73 Depth=1
	s_and_not1_saveexec_b32 s0, s13
.LBB150_108:                            ;   in Loop: Header=BB150_73 Depth=1
	v_mul_f32_e64 v12, 0x3f22f983, |v3|
	s_delay_alu instid0(VALU_DEP_1) | instskip(NEXT) | instid1(VALU_DEP_1)
	v_rndne_f32_e32 v12, v12
	v_fma_f32 v47, 0xbfc90fda, v12, |v3|
	v_cvt_i32_f32_e32 v48, v12
	s_delay_alu instid0(VALU_DEP_2) | instskip(NEXT) | instid1(VALU_DEP_1)
	v_fmac_f32_e32 v47, 0xb3a22168, v12
	v_fmac_f32_e32 v47, 0xa7c234c4, v12
.LBB150_109:                            ;   in Loop: Header=BB150_73 Depth=1
	s_or_b32 exec_lo, exec_lo, s0
	v_mul_f32_e32 v36, 0.5, v5
                                        ; implicit-def: $vgpr42
                                        ; implicit-def: $vgpr41
	s_mov_b32 s1, exec_lo
	s_delay_alu instid0(VALU_DEP_1)
	v_and_b32_e32 v37, 0x7fffffff, v36
	v_cmpx_ngt_f32_e64 0x48000000, |v36|
	s_xor_b32 s13, exec_lo, s1
	s_cbranch_execz .LBB150_111
; %bb.110:                              ;   in Loop: Header=BB150_73 Depth=1
	s_delay_alu instid0(VALU_DEP_2) | instskip(SKIP_2) | instid1(VALU_DEP_3)
	v_and_or_b32 v12, v37, s8, 0x800000
	v_dual_lshrrev_b32 v41, 23, v37 :: v_dual_mov_b32 v59, v13
	v_mov_b32_e32 v61, v13
	v_mul_u64_e32 v[42:43], s[4:5], v[12:13]
	v_mov_b32_e32 v51, v13
	s_delay_alu instid0(VALU_DEP_4) | instskip(NEXT) | instid1(VALU_DEP_1)
	v_add_nc_u32_e32 v41, 0xffffff88, v41
	v_cmp_lt_u32_e32 vcc_lo, 63, v41
	s_delay_alu instid0(VALU_DEP_4) | instskip(SKIP_1) | instid1(VALU_DEP_2)
	v_mov_b32_e32 v50, v43
	v_cndmask_b32_e64 v43, 0, 0xffffffc0, vcc_lo
	v_mad_nc_u64_u32 v[50:51], 0x3c439041, v12, v[50:51]
	s_delay_alu instid0(VALU_DEP_2) | instskip(NEXT) | instid1(VALU_DEP_1)
	v_dual_mov_b32 v53, v13 :: v_dual_add_nc_u32 v41, v43, v41
	v_cmp_lt_u32_e64 s0, 31, v41
	s_delay_alu instid0(VALU_DEP_3) | instskip(NEXT) | instid1(VALU_DEP_2)
	v_mov_b32_e32 v52, v51
	v_cndmask_b32_e64 v43, 0, 0xffffffe0, s0
	s_delay_alu instid0(VALU_DEP_2) | instskip(NEXT) | instid1(VALU_DEP_1)
	v_mad_nc_u64_u32 v[52:53], 0xdb629599, v12, v[52:53]
	v_dual_mov_b32 v55, v13 :: v_dual_mov_b32 v54, v53
	s_delay_alu instid0(VALU_DEP_2) | instskip(NEXT) | instid1(VALU_DEP_2)
	v_cndmask_b32_e32 v42, v52, v42, vcc_lo
	v_mad_nc_u64_u32 v[54:55], 0xf534ddc0, v12, v[54:55]
	s_delay_alu instid0(VALU_DEP_1) | instskip(NEXT) | instid1(VALU_DEP_1)
	v_dual_mov_b32 v57, v13 :: v_dual_mov_b32 v56, v55
	v_mad_nc_u64_u32 v[56:57], 0xfc2757d1, v12, v[56:57]
	s_delay_alu instid0(VALU_DEP_1) | instskip(NEXT) | instid1(VALU_DEP_1)
	v_dual_mov_b32 v58, v57 :: v_dual_cndmask_b32 v51, v56, v52
	v_mad_nc_u64_u32 v[58:59], 0x4e441529, v12, v[58:59]
	s_delay_alu instid0(VALU_DEP_1) | instskip(NEXT) | instid1(VALU_DEP_1)
	v_mov_b32_e32 v60, v59
	v_mad_nc_u64_u32 v[60:61], 0xa2f9836e, v12, v[60:61]
	s_delay_alu instid0(VALU_DEP_3) | instskip(NEXT) | instid1(VALU_DEP_2)
	v_dual_cndmask_b32 v43, v58, v54 :: v_dual_add_nc_u32 v12, v43, v41
	v_cndmask_b32_e32 v45, v60, v56, vcc_lo
	s_delay_alu instid0(VALU_DEP_2) | instskip(NEXT) | instid1(VALU_DEP_4)
	v_cmp_lt_u32_e64 s1, 31, v12
	v_cndmask_b32_e32 v49, v61, v58, vcc_lo
	s_delay_alu instid0(VALU_DEP_2) | instskip(NEXT) | instid1(VALU_DEP_1)
	v_cndmask_b32_e64 v41, 0, 0xffffffe0, s1
	v_dual_cndmask_b32 v41, v54, v50 :: v_dual_add_nc_u32 v12, v41, v12
	v_cndmask_b32_e64 v50, v45, v43, s0
	s_delay_alu instid0(VALU_DEP_4) | instskip(NEXT) | instid1(VALU_DEP_3)
	v_dual_cndmask_b32 v45, v49, v45, s0 :: v_dual_cndmask_b32 v43, v43, v51, s0
	v_dual_sub_nc_u32 v49, 32, v12 :: v_dual_cndmask_b32 v51, v51, v41, s0
	v_cmp_eq_u32_e32 vcc_lo, 0, v12
	s_delay_alu instid0(VALU_DEP_3) | instskip(NEXT) | instid1(VALU_DEP_1)
	v_dual_cndmask_b32 v45, v45, v50, s1 :: v_dual_cndmask_b32 v50, v50, v43, s1
	v_alignbit_b32 v53, v45, v50, v49
	s_delay_alu instid0(VALU_DEP_1) | instskip(NEXT) | instid1(VALU_DEP_1)
	v_dual_cndmask_b32 v43, v43, v51, s1 :: v_dual_cndmask_b32 v12, v53, v45, vcc_lo
	v_alignbit_b32 v52, v50, v43, v49
	s_delay_alu instid0(VALU_DEP_2) | instskip(SKIP_1) | instid1(VALU_DEP_1)
	v_bfe_u32 v45, v12, 29, 1
	v_cndmask_b32_e64 v41, v41, v42, s0
	v_dual_cndmask_b32 v42, v52, v50, vcc_lo :: v_dual_cndmask_b32 v41, v51, v41, s1
	s_delay_alu instid0(VALU_DEP_1) | instskip(NEXT) | instid1(VALU_DEP_4)
	v_alignbit_b32 v50, v12, v42, 30
	v_sub_nc_u32_e32 v51, 0, v45
	s_delay_alu instid0(VALU_DEP_3) | instskip(NEXT) | instid1(VALU_DEP_2)
	v_alignbit_b32 v49, v43, v41, v49
	v_xor_b32_e32 v50, v50, v51
	s_delay_alu instid0(VALU_DEP_2) | instskip(NEXT) | instid1(VALU_DEP_2)
	v_cndmask_b32_e32 v43, v49, v43, vcc_lo
	v_clz_i32_u32_e32 v49, v50
	s_delay_alu instid0(VALU_DEP_2) | instskip(SKIP_1) | instid1(VALU_DEP_3)
	v_alignbit_b32 v42, v42, v43, 30
	v_alignbit_b32 v41, v43, v41, 30
	v_min_u32_e32 v49, 32, v49
	s_delay_alu instid0(VALU_DEP_3) | instskip(NEXT) | instid1(VALU_DEP_2)
	v_xor_b32_e32 v42, v42, v51
	v_dual_sub_nc_u32 v43, 31, v49 :: v_dual_bitop2_b32 v41, v41, v51 bitop3:0x14
	v_dual_lshrrev_b32 v51, 29, v12 :: v_dual_lshlrev_b32 v52, 23, v49
	v_lshrrev_b32_e32 v12, 30, v12
	s_delay_alu instid0(VALU_DEP_3) | instskip(NEXT) | instid1(VALU_DEP_4)
	v_alignbit_b32 v50, v50, v42, v43
	v_alignbit_b32 v41, v42, v41, v43
	s_delay_alu instid0(VALU_DEP_4) | instskip(NEXT) | instid1(VALU_DEP_2)
	v_lshlrev_b32_e32 v42, 31, v51
	v_alignbit_b32 v43, v50, v41, 9
	s_delay_alu instid0(VALU_DEP_2) | instskip(SKIP_2) | instid1(VALU_DEP_4)
	v_or_b32_e32 v51, 0.5, v42
	v_lshrrev_b32_e32 v50, 9, v50
	v_or_b32_e32 v42, 0x33000000, v42
	v_clz_i32_u32_e32 v53, v43
	s_delay_alu instid0(VALU_DEP_4) | instskip(NEXT) | instid1(VALU_DEP_2)
	v_sub_nc_u32_e32 v51, v51, v52
	v_min_u32_e32 v52, 32, v53
	s_delay_alu instid0(VALU_DEP_2) | instskip(NEXT) | instid1(VALU_DEP_2)
	v_or_b32_e32 v50, v50, v51
	v_not_b32_e32 v51, v52
	v_add_lshl_u32 v49, v52, v49, 23
	s_delay_alu instid0(VALU_DEP_2) | instskip(NEXT) | instid1(VALU_DEP_2)
	v_alignbit_b32 v41, v43, v41, v51
	v_sub_nc_u32_e32 v42, v42, v49
	s_delay_alu instid0(VALU_DEP_2) | instskip(SKIP_1) | instid1(VALU_DEP_2)
	v_lshrrev_b32_e32 v41, 9, v41
	v_mul_f32_e32 v53, 0x3fc90fda, v50
	v_or_b32_e32 v41, v42, v41
	s_delay_alu instid0(VALU_DEP_2) | instskip(NEXT) | instid1(VALU_DEP_1)
	v_fma_f32 v43, 0x3fc90fda, v50, -v53
	v_dual_fmac_f32 v43, 0x33a22168, v50 :: v_dual_add_nc_u32 v42, v45, v12
	s_delay_alu instid0(VALU_DEP_1) | instskip(NEXT) | instid1(VALU_DEP_1)
	v_fmac_f32_e32 v43, 0x3fc90fda, v41
	v_add_f32_e32 v41, v53, v43
.LBB150_111:                            ;   in Loop: Header=BB150_73 Depth=1
	s_and_not1_saveexec_b32 s0, s13
; %bb.112:                              ;   in Loop: Header=BB150_73 Depth=1
	v_mul_f32_e64 v12, 0x3f22f983, |v36|
	s_delay_alu instid0(VALU_DEP_1) | instskip(NEXT) | instid1(VALU_DEP_1)
	v_rndne_f32_e32 v12, v12
	v_fma_f32 v41, 0xbfc90fda, v12, |v36|
	v_cvt_i32_f32_e32 v42, v12
	s_delay_alu instid0(VALU_DEP_2) | instskip(NEXT) | instid1(VALU_DEP_1)
	v_fmac_f32_e32 v41, 0xb3a22168, v12
	v_fmac_f32_e32 v41, 0xa7c234c4, v12
; %bb.113:                              ;   in Loop: Header=BB150_73 Depth=1
	s_or_b32 exec_lo, exec_lo, s0
	v_and_b32_e32 v43, 0x7fffffff, v5
	v_cmp_ngt_f32_e64 s13, 0x48000000, |v5|
                                        ; implicit-def: $vgpr49
                                        ; implicit-def: $vgpr45
	s_and_saveexec_b32 s0, s13
	s_delay_alu instid0(SALU_CYCLE_1)
	s_xor_b32 s14, exec_lo, s0
	s_cbranch_execz .LBB150_115
; %bb.114:                              ;   in Loop: Header=BB150_73 Depth=1
	v_and_or_b32 v12, v43, s8, 0x800000
	v_dual_lshrrev_b32 v45, 23, v43 :: v_dual_mov_b32 v61, v13
	s_delay_alu instid0(VALU_DEP_2) | instskip(SKIP_1) | instid1(VALU_DEP_3)
	v_mul_u64_e32 v[50:51], s[4:5], v[12:13]
	v_mov_b32_e32 v53, v13
	v_add_nc_u32_e32 v45, 0xffffff88, v45
	s_delay_alu instid0(VALU_DEP_1) | instskip(SKIP_2) | instid1(VALU_DEP_1)
	v_cmp_lt_u32_e32 vcc_lo, 63, v45
	v_cndmask_b32_e64 v49, 0, 0xffffffc0, vcc_lo
	v_mov_b32_e32 v52, v51
	v_mad_nc_u64_u32 v[52:53], 0x3c439041, v12, v[52:53]
	s_delay_alu instid0(VALU_DEP_1) | instskip(NEXT) | instid1(VALU_DEP_1)
	v_dual_mov_b32 v55, v13 :: v_dual_mov_b32 v54, v53
	v_mad_nc_u64_u32 v[54:55], 0xdb629599, v12, v[54:55]
	s_delay_alu instid0(VALU_DEP_1) | instskip(NEXT) | instid1(VALU_DEP_2)
	v_dual_mov_b32 v57, v13 :: v_dual_mov_b32 v56, v55
	v_cndmask_b32_e32 v50, v54, v50, vcc_lo
	s_delay_alu instid0(VALU_DEP_2) | instskip(NEXT) | instid1(VALU_DEP_1)
	v_mad_nc_u64_u32 v[56:57], 0xf534ddc0, v12, v[56:57]
	v_dual_mov_b32 v59, v13 :: v_dual_mov_b32 v58, v57
	s_delay_alu instid0(VALU_DEP_1) | instskip(NEXT) | instid1(VALU_DEP_1)
	v_mad_nc_u64_u32 v[58:59], 0xfc2757d1, v12, v[58:59]
	v_dual_mov_b32 v60, v59 :: v_dual_cndmask_b32 v55, v58, v54
	s_delay_alu instid0(VALU_DEP_1) | instskip(SKIP_2) | instid1(VALU_DEP_2)
	v_mad_nc_u64_u32 v[60:61], 0x4e441529, v12, v[60:61]
	v_add_nc_u32_e32 v45, v49, v45
	v_mov_b32_e32 v63, v13
	v_cmp_lt_u32_e64 s0, 31, v45
	s_delay_alu instid0(VALU_DEP_4) | instskip(NEXT) | instid1(VALU_DEP_2)
	v_mov_b32_e32 v62, v61
	v_cndmask_b32_e64 v49, 0, 0xffffffe0, s0
	s_delay_alu instid0(VALU_DEP_2) | instskip(NEXT) | instid1(VALU_DEP_2)
	v_mad_nc_u64_u32 v[62:63], 0xa2f9836e, v12, v[62:63]
	v_dual_cndmask_b32 v49, v60, v56 :: v_dual_add_nc_u32 v12, v49, v45
	s_delay_alu instid0(VALU_DEP_2) | instskip(NEXT) | instid1(VALU_DEP_2)
	v_cndmask_b32_e32 v51, v62, v58, vcc_lo
	v_cmp_lt_u32_e64 s1, 31, v12
	s_delay_alu instid0(VALU_DEP_4) | instskip(NEXT) | instid1(VALU_DEP_2)
	v_cndmask_b32_e32 v53, v63, v60, vcc_lo
	v_cndmask_b32_e64 v45, 0, 0xffffffe0, s1
	s_delay_alu instid0(VALU_DEP_1) | instskip(SKIP_1) | instid1(VALU_DEP_4)
	v_add_nc_u32_e32 v12, v45, v12
	v_dual_cndmask_b32 v45, v56, v52, vcc_lo :: v_dual_cndmask_b32 v52, v51, v49, s0
	v_cndmask_b32_e64 v51, v53, v51, s0
	s_delay_alu instid0(VALU_DEP_3) | instskip(NEXT) | instid1(VALU_DEP_3)
	v_dual_cndmask_b32 v49, v49, v55, s0 :: v_dual_sub_nc_u32 v53, 32, v12
	v_cndmask_b32_e64 v55, v55, v45, s0
	v_cmp_eq_u32_e32 vcc_lo, 0, v12
	s_delay_alu instid0(VALU_DEP_3) | instskip(SKIP_1) | instid1(VALU_DEP_4)
	v_dual_cndmask_b32 v51, v51, v52, s1 :: v_dual_cndmask_b32 v52, v52, v49, s1
	v_cndmask_b32_e64 v45, v45, v50, s0
	v_cndmask_b32_e64 v49, v49, v55, s1
	s_delay_alu instid0(VALU_DEP_3) | instskip(NEXT) | instid1(VALU_DEP_2)
	v_alignbit_b32 v56, v51, v52, v53
	v_alignbit_b32 v54, v52, v49, v53
	s_delay_alu instid0(VALU_DEP_1) | instskip(NEXT) | instid1(VALU_DEP_1)
	v_dual_cndmask_b32 v12, v56, v51, vcc_lo :: v_dual_cndmask_b32 v50, v54, v52, vcc_lo
	v_bfe_u32 v51, v12, 29, 1
	v_cndmask_b32_e64 v45, v55, v45, s1
	s_delay_alu instid0(VALU_DEP_3) | instskip(NEXT) | instid1(VALU_DEP_3)
	v_alignbit_b32 v52, v12, v50, 30
	v_sub_nc_u32_e32 v54, 0, v51
	s_delay_alu instid0(VALU_DEP_3) | instskip(NEXT) | instid1(VALU_DEP_1)
	v_alignbit_b32 v53, v49, v45, v53
	v_dual_cndmask_b32 v49, v53, v49, vcc_lo :: v_dual_bitop2_b32 v52, v52, v54 bitop3:0x14
	s_delay_alu instid0(VALU_DEP_1) | instskip(NEXT) | instid1(VALU_DEP_2)
	v_clz_i32_u32_e32 v53, v52
	v_alignbit_b32 v50, v50, v49, 30
	v_alignbit_b32 v45, v49, v45, 30
	s_delay_alu instid0(VALU_DEP_3) | instskip(NEXT) | instid1(VALU_DEP_3)
	v_min_u32_e32 v53, 32, v53
	v_xor_b32_e32 v49, v50, v54
	s_delay_alu instid0(VALU_DEP_3) | instskip(NEXT) | instid1(VALU_DEP_3)
	v_dual_lshrrev_b32 v54, 29, v12 :: v_dual_bitop2_b32 v45, v45, v54 bitop3:0x14
	v_dual_lshrrev_b32 v12, 30, v12 :: v_dual_sub_nc_u32 v50, 31, v53
	v_lshlrev_b32_e32 v55, 23, v53
	s_delay_alu instid0(VALU_DEP_2) | instskip(NEXT) | instid1(VALU_DEP_4)
	v_alignbit_b32 v52, v52, v49, v50
	v_alignbit_b32 v45, v49, v45, v50
	v_lshlrev_b32_e32 v49, 31, v54
	s_delay_alu instid0(VALU_DEP_2) | instskip(NEXT) | instid1(VALU_DEP_2)
	v_alignbit_b32 v50, v52, v45, 9
	v_dual_lshrrev_b32 v52, 9, v52 :: v_dual_bitop2_b32 v54, 0.5, v49 bitop3:0x54
	v_or_b32_e32 v49, 0x33000000, v49
	s_delay_alu instid0(VALU_DEP_3) | instskip(NEXT) | instid1(VALU_DEP_3)
	v_clz_i32_u32_e32 v56, v50
	v_sub_nc_u32_e32 v54, v54, v55
	s_delay_alu instid0(VALU_DEP_2) | instskip(NEXT) | instid1(VALU_DEP_1)
	v_min_u32_e32 v55, 32, v56
	v_add_lshl_u32 v53, v55, v53, 23
	s_delay_alu instid0(VALU_DEP_1) | instskip(SKIP_1) | instid1(VALU_DEP_1)
	v_dual_sub_nc_u32 v49, v49, v53 :: v_dual_bitop2_b32 v52, v52, v54 bitop3:0x54
	v_not_b32_e32 v54, v55
	v_alignbit_b32 v45, v50, v45, v54
	s_delay_alu instid0(VALU_DEP_1) | instskip(NEXT) | instid1(VALU_DEP_1)
	v_dual_mul_f32 v56, 0x3fc90fda, v52 :: v_dual_lshrrev_b32 v45, 9, v45
	v_or_b32_e32 v45, v49, v45
	s_delay_alu instid0(VALU_DEP_2) | instskip(SKIP_1) | instid1(VALU_DEP_2)
	v_fma_f32 v50, 0x3fc90fda, v52, -v56
	v_add_nc_u32_e32 v49, v51, v12
	v_fmac_f32_e32 v50, 0x33a22168, v52
	s_delay_alu instid0(VALU_DEP_1) | instskip(NEXT) | instid1(VALU_DEP_1)
	v_fmac_f32_e32 v50, 0x3fc90fda, v45
	v_add_f32_e32 v45, v56, v50
	s_and_not1_saveexec_b32 s0, s14
	s_branch .LBB150_116
.LBB150_115:                            ;   in Loop: Header=BB150_73 Depth=1
	s_and_not1_saveexec_b32 s0, s14
.LBB150_116:                            ;   in Loop: Header=BB150_73 Depth=1
	v_mul_f32_e64 v12, 0x3f22f983, |v5|
	s_delay_alu instid0(VALU_DEP_1) | instskip(NEXT) | instid1(VALU_DEP_1)
	v_rndne_f32_e32 v12, v12
	v_fma_f32 v45, 0xbfc90fda, v12, |v5|
	v_cvt_i32_f32_e32 v49, v12
	s_delay_alu instid0(VALU_DEP_2) | instskip(NEXT) | instid1(VALU_DEP_1)
	v_fmac_f32_e32 v45, 0xb3a22168, v12
	v_fmac_f32_e32 v45, 0xa7c234c4, v12
; %bb.117:                              ;   in Loop: Header=BB150_73 Depth=1
	s_or_b32 exec_lo, exec_lo, s0
                                        ; implicit-def: $vgpr50
                                        ; implicit-def: $vgpr12
	s_and_saveexec_b32 s0, s13
	s_delay_alu instid0(SALU_CYCLE_1)
	s_xor_b32 s13, exec_lo, s0
	s_cbranch_execz .LBB150_119
; %bb.118:                              ;   in Loop: Header=BB150_73 Depth=1
	v_and_or_b32 v12, v43, s8, 0x800000
	v_mov_b32_e32 v61, v13
	s_delay_alu instid0(VALU_DEP_2) | instskip(NEXT) | instid1(VALU_DEP_1)
	v_mul_u64_e32 v[50:51], s[4:5], v[12:13]
	v_dual_mov_b32 v53, v13 :: v_dual_mov_b32 v52, v51
	v_lshrrev_b32_e32 v51, 23, v43
	s_delay_alu instid0(VALU_DEP_2) | instskip(SKIP_1) | instid1(VALU_DEP_3)
	v_mad_nc_u64_u32 v[52:53], 0x3c439041, v12, v[52:53]
	v_mov_b32_e32 v55, v13
	v_add_nc_u32_e32 v51, 0xffffff88, v51
	s_delay_alu instid0(VALU_DEP_1) | instskip(NEXT) | instid1(VALU_DEP_4)
	v_cmp_lt_u32_e32 vcc_lo, 63, v51
	v_mov_b32_e32 v54, v53
	v_cndmask_b32_e64 v53, 0, 0xffffffc0, vcc_lo
	s_delay_alu instid0(VALU_DEP_2) | instskip(NEXT) | instid1(VALU_DEP_1)
	v_mad_nc_u64_u32 v[54:55], 0xdb629599, v12, v[54:55]
	v_dual_mov_b32 v57, v13 :: v_dual_mov_b32 v56, v55
	s_delay_alu instid0(VALU_DEP_2) | instskip(NEXT) | instid1(VALU_DEP_2)
	v_cndmask_b32_e32 v50, v54, v50, vcc_lo
	v_mad_nc_u64_u32 v[56:57], 0xf534ddc0, v12, v[56:57]
	s_delay_alu instid0(VALU_DEP_1) | instskip(NEXT) | instid1(VALU_DEP_1)
	v_dual_mov_b32 v59, v13 :: v_dual_mov_b32 v58, v57
	v_mad_nc_u64_u32 v[58:59], 0xfc2757d1, v12, v[58:59]
	s_delay_alu instid0(VALU_DEP_1) | instskip(NEXT) | instid1(VALU_DEP_1)
	v_mov_b32_e32 v60, v59
	v_mad_nc_u64_u32 v[60:61], 0x4e441529, v12, v[60:61]
	v_add_nc_u32_e32 v51, v53, v51
	v_mov_b32_e32 v63, v13
	s_delay_alu instid0(VALU_DEP_2) | instskip(NEXT) | instid1(VALU_DEP_4)
	v_cmp_lt_u32_e64 s0, 31, v51
	v_mov_b32_e32 v62, v61
	s_delay_alu instid0(VALU_DEP_2) | instskip(NEXT) | instid1(VALU_DEP_2)
	v_cndmask_b32_e64 v53, 0, 0xffffffe0, s0
	v_mad_nc_u64_u32 v[62:63], 0xa2f9836e, v12, v[62:63]
	s_delay_alu instid0(VALU_DEP_2) | instskip(NEXT) | instid1(VALU_DEP_2)
	v_dual_cndmask_b32 v53, v60, v56 :: v_dual_add_nc_u32 v12, v53, v51
	v_cndmask_b32_e32 v55, v62, v58, vcc_lo
	s_delay_alu instid0(VALU_DEP_2) | instskip(NEXT) | instid1(VALU_DEP_4)
	v_cmp_lt_u32_e64 s1, 31, v12
	v_dual_cndmask_b32 v57, v63, v60 :: v_dual_cndmask_b32 v58, v58, v54
	s_delay_alu instid0(VALU_DEP_2) | instskip(NEXT) | instid1(VALU_DEP_1)
	v_cndmask_b32_e64 v51, 0, 0xffffffe0, s1
	v_add_nc_u32_e32 v12, v51, v12
	v_dual_cndmask_b32 v51, v56, v52, vcc_lo :: v_dual_cndmask_b32 v52, v55, v53, s0
	s_delay_alu instid0(VALU_DEP_4) | instskip(NEXT) | instid1(VALU_DEP_3)
	v_cndmask_b32_e64 v55, v57, v55, s0
	v_dual_cndmask_b32 v53, v53, v58, s0 :: v_dual_sub_nc_u32 v56, 32, v12
	s_delay_alu instid0(VALU_DEP_3) | instskip(SKIP_1) | instid1(VALU_DEP_3)
	v_cndmask_b32_e64 v57, v58, v51, s0
	v_cmp_eq_u32_e32 vcc_lo, 0, v12
	v_dual_cndmask_b32 v55, v55, v52, s1 :: v_dual_cndmask_b32 v52, v52, v53, s1
	s_delay_alu instid0(VALU_DEP_1) | instskip(NEXT) | instid1(VALU_DEP_1)
	v_alignbit_b32 v58, v55, v52, v56
	v_dual_cndmask_b32 v53, v53, v57, s1 :: v_dual_cndmask_b32 v12, v58, v55, vcc_lo
	s_delay_alu instid0(VALU_DEP_1) | instskip(NEXT) | instid1(VALU_DEP_1)
	v_alignbit_b32 v54, v52, v53, v56
	v_dual_cndmask_b32 v50, v51, v50, s0 :: v_dual_cndmask_b32 v51, v54, v52, vcc_lo
	s_delay_alu instid0(VALU_DEP_3) | instskip(NEXT) | instid1(VALU_DEP_2)
	v_bfe_u32 v52, v12, 29, 1
	v_cndmask_b32_e64 v50, v57, v50, s1
	s_delay_alu instid0(VALU_DEP_3) | instskip(NEXT) | instid1(VALU_DEP_3)
	v_alignbit_b32 v54, v12, v51, 30
	v_sub_nc_u32_e32 v55, 0, v52
	s_delay_alu instid0(VALU_DEP_3) | instskip(NEXT) | instid1(VALU_DEP_1)
	v_alignbit_b32 v56, v53, v50, v56
	v_dual_cndmask_b32 v53, v56, v53, vcc_lo :: v_dual_bitop2_b32 v54, v54, v55 bitop3:0x14
	s_delay_alu instid0(VALU_DEP_1) | instskip(NEXT) | instid1(VALU_DEP_2)
	v_clz_i32_u32_e32 v56, v54
	v_alignbit_b32 v51, v51, v53, 30
	v_alignbit_b32 v50, v53, v50, 30
	s_delay_alu instid0(VALU_DEP_3) | instskip(NEXT) | instid1(VALU_DEP_3)
	v_min_u32_e32 v56, 32, v56
	v_xor_b32_e32 v51, v51, v55
	s_delay_alu instid0(VALU_DEP_3) | instskip(NEXT) | instid1(VALU_DEP_3)
	v_dual_lshrrev_b32 v55, 29, v12 :: v_dual_bitop2_b32 v50, v50, v55 bitop3:0x14
	v_dual_sub_nc_u32 v53, 31, v56 :: v_dual_lshlrev_b32 v57, 23, v56
	s_delay_alu instid0(VALU_DEP_1) | instskip(NEXT) | instid1(VALU_DEP_3)
	v_alignbit_b32 v54, v54, v51, v53
	v_alignbit_b32 v50, v51, v50, v53
	s_delay_alu instid0(VALU_DEP_4) | instskip(NEXT) | instid1(VALU_DEP_2)
	v_lshlrev_b32_e32 v51, 31, v55
	v_alignbit_b32 v53, v54, v50, 9
	s_delay_alu instid0(VALU_DEP_2) | instskip(SKIP_1) | instid1(VALU_DEP_3)
	v_dual_lshrrev_b32 v54, 9, v54 :: v_dual_bitop2_b32 v55, 0.5, v51 bitop3:0x54
	v_or_b32_e32 v51, 0x33000000, v51
	v_clz_i32_u32_e32 v58, v53
	s_delay_alu instid0(VALU_DEP_3) | instskip(NEXT) | instid1(VALU_DEP_2)
	v_sub_nc_u32_e32 v55, v55, v57
	v_min_u32_e32 v57, 32, v58
	s_delay_alu instid0(VALU_DEP_1) | instskip(NEXT) | instid1(VALU_DEP_3)
	v_add_lshl_u32 v56, v57, v56, 23
	v_or_b32_e32 v54, v54, v55
	v_not_b32_e32 v55, v57
	s_delay_alu instid0(VALU_DEP_2) | instskip(NEXT) | instid1(VALU_DEP_2)
	v_dual_mul_f32 v58, 0x3fc90fda, v54 :: v_dual_sub_nc_u32 v51, v51, v56
	v_alignbit_b32 v50, v53, v50, v55
	s_delay_alu instid0(VALU_DEP_2) | instskip(NEXT) | instid1(VALU_DEP_2)
	v_fma_f32 v53, 0x3fc90fda, v54, -v58
	v_lshrrev_b32_e32 v50, 9, v50
	s_delay_alu instid0(VALU_DEP_2) | instskip(NEXT) | instid1(VALU_DEP_2)
	v_fmac_f32_e32 v53, 0x33a22168, v54
	v_or_b32_e32 v50, v51, v50
	s_delay_alu instid0(VALU_DEP_1) | instskip(NEXT) | instid1(VALU_DEP_1)
	v_dual_fmac_f32 v53, 0x3fc90fda, v50 :: v_dual_lshrrev_b32 v50, 30, v12
	v_dual_add_nc_u32 v50, v52, v50 :: v_dual_add_f32 v12, v58, v53
	s_and_not1_saveexec_b32 s0, s13
	s_cbranch_execz .LBB150_72
	s_branch .LBB150_120
.LBB150_119:                            ;   in Loop: Header=BB150_73 Depth=1
	s_and_not1_saveexec_b32 s0, s13
	s_cbranch_execz .LBB150_72
.LBB150_120:                            ;   in Loop: Header=BB150_73 Depth=1
	v_mul_f32_e64 v12, 0x3f22f983, |v5|
	s_delay_alu instid0(VALU_DEP_1) | instskip(NEXT) | instid1(VALU_DEP_1)
	v_rndne_f32_e32 v50, v12
	v_fma_f32 v12, 0xbfc90fda, v50, |v5|
	s_delay_alu instid0(VALU_DEP_1) | instskip(NEXT) | instid1(VALU_DEP_1)
	v_fmac_f32_e32 v12, 0xb3a22168, v50
	v_fmac_f32_e32 v12, 0xa7c234c4, v50
	v_cvt_i32_f32_e32 v50, v50
	s_branch .LBB150_72
.LBB150_121:
	s_sendmsg sendmsg(MSG_DEALLOC_VGPRS)
	s_endpgm
	.section	.rodata,"a",@progbits
	.p2align	6, 0x0
	.amdhsa_kernel _ZN2at6native12_GLOBAL__N_125multi_tensor_apply_kernelINS1_18TensorListMetadataILi1EEENS1_14UnaryOpFunctorIN3c107complexIfEELi1ELi1ELi0EEEJNS0_5Expm1IS8_EEEEEvT_T0_DpT1_
		.amdhsa_group_segment_fixed_size 0
		.amdhsa_private_segment_fixed_size 0
		.amdhsa_kernarg_size 3632
		.amdhsa_user_sgpr_count 2
		.amdhsa_user_sgpr_dispatch_ptr 0
		.amdhsa_user_sgpr_queue_ptr 0
		.amdhsa_user_sgpr_kernarg_segment_ptr 1
		.amdhsa_user_sgpr_dispatch_id 0
		.amdhsa_user_sgpr_kernarg_preload_length 0
		.amdhsa_user_sgpr_kernarg_preload_offset 0
		.amdhsa_user_sgpr_private_segment_size 0
		.amdhsa_wavefront_size32 1
		.amdhsa_uses_dynamic_stack 0
		.amdhsa_enable_private_segment 0
		.amdhsa_system_sgpr_workgroup_id_x 1
		.amdhsa_system_sgpr_workgroup_id_y 0
		.amdhsa_system_sgpr_workgroup_id_z 0
		.amdhsa_system_sgpr_workgroup_info 0
		.amdhsa_system_vgpr_workitem_id 0
		.amdhsa_next_free_vgpr 89
		.amdhsa_next_free_sgpr 30
		.amdhsa_named_barrier_count 0
		.amdhsa_reserve_vcc 1
		.amdhsa_float_round_mode_32 0
		.amdhsa_float_round_mode_16_64 0
		.amdhsa_float_denorm_mode_32 3
		.amdhsa_float_denorm_mode_16_64 3
		.amdhsa_fp16_overflow 0
		.amdhsa_memory_ordered 1
		.amdhsa_forward_progress 1
		.amdhsa_inst_pref_size 204
		.amdhsa_round_robin_scheduling 0
		.amdhsa_exception_fp_ieee_invalid_op 0
		.amdhsa_exception_fp_denorm_src 0
		.amdhsa_exception_fp_ieee_div_zero 0
		.amdhsa_exception_fp_ieee_overflow 0
		.amdhsa_exception_fp_ieee_underflow 0
		.amdhsa_exception_fp_ieee_inexact 0
		.amdhsa_exception_int_div_zero 0
	.end_amdhsa_kernel
	.section	.text._ZN2at6native12_GLOBAL__N_125multi_tensor_apply_kernelINS1_18TensorListMetadataILi1EEENS1_14UnaryOpFunctorIN3c107complexIfEELi1ELi1ELi0EEEJNS0_5Expm1IS8_EEEEEvT_T0_DpT1_,"axG",@progbits,_ZN2at6native12_GLOBAL__N_125multi_tensor_apply_kernelINS1_18TensorListMetadataILi1EEENS1_14UnaryOpFunctorIN3c107complexIfEELi1ELi1ELi0EEEJNS0_5Expm1IS8_EEEEEvT_T0_DpT1_,comdat
.Lfunc_end150:
	.size	_ZN2at6native12_GLOBAL__N_125multi_tensor_apply_kernelINS1_18TensorListMetadataILi1EEENS1_14UnaryOpFunctorIN3c107complexIfEELi1ELi1ELi0EEEJNS0_5Expm1IS8_EEEEEvT_T0_DpT1_, .Lfunc_end150-_ZN2at6native12_GLOBAL__N_125multi_tensor_apply_kernelINS1_18TensorListMetadataILi1EEENS1_14UnaryOpFunctorIN3c107complexIfEELi1ELi1ELi0EEEJNS0_5Expm1IS8_EEEEEvT_T0_DpT1_
                                        ; -- End function
	.set _ZN2at6native12_GLOBAL__N_125multi_tensor_apply_kernelINS1_18TensorListMetadataILi1EEENS1_14UnaryOpFunctorIN3c107complexIfEELi1ELi1ELi0EEEJNS0_5Expm1IS8_EEEEEvT_T0_DpT1_.num_vgpr, 89
	.set _ZN2at6native12_GLOBAL__N_125multi_tensor_apply_kernelINS1_18TensorListMetadataILi1EEENS1_14UnaryOpFunctorIN3c107complexIfEELi1ELi1ELi0EEEJNS0_5Expm1IS8_EEEEEvT_T0_DpT1_.num_agpr, 0
	.set _ZN2at6native12_GLOBAL__N_125multi_tensor_apply_kernelINS1_18TensorListMetadataILi1EEENS1_14UnaryOpFunctorIN3c107complexIfEELi1ELi1ELi0EEEJNS0_5Expm1IS8_EEEEEvT_T0_DpT1_.numbered_sgpr, 30
	.set _ZN2at6native12_GLOBAL__N_125multi_tensor_apply_kernelINS1_18TensorListMetadataILi1EEENS1_14UnaryOpFunctorIN3c107complexIfEELi1ELi1ELi0EEEJNS0_5Expm1IS8_EEEEEvT_T0_DpT1_.num_named_barrier, 0
	.set _ZN2at6native12_GLOBAL__N_125multi_tensor_apply_kernelINS1_18TensorListMetadataILi1EEENS1_14UnaryOpFunctorIN3c107complexIfEELi1ELi1ELi0EEEJNS0_5Expm1IS8_EEEEEvT_T0_DpT1_.private_seg_size, 0
	.set _ZN2at6native12_GLOBAL__N_125multi_tensor_apply_kernelINS1_18TensorListMetadataILi1EEENS1_14UnaryOpFunctorIN3c107complexIfEELi1ELi1ELi0EEEJNS0_5Expm1IS8_EEEEEvT_T0_DpT1_.uses_vcc, 1
	.set _ZN2at6native12_GLOBAL__N_125multi_tensor_apply_kernelINS1_18TensorListMetadataILi1EEENS1_14UnaryOpFunctorIN3c107complexIfEELi1ELi1ELi0EEEJNS0_5Expm1IS8_EEEEEvT_T0_DpT1_.uses_flat_scratch, 0
	.set _ZN2at6native12_GLOBAL__N_125multi_tensor_apply_kernelINS1_18TensorListMetadataILi1EEENS1_14UnaryOpFunctorIN3c107complexIfEELi1ELi1ELi0EEEJNS0_5Expm1IS8_EEEEEvT_T0_DpT1_.has_dyn_sized_stack, 0
	.set _ZN2at6native12_GLOBAL__N_125multi_tensor_apply_kernelINS1_18TensorListMetadataILi1EEENS1_14UnaryOpFunctorIN3c107complexIfEELi1ELi1ELi0EEEJNS0_5Expm1IS8_EEEEEvT_T0_DpT1_.has_recursion, 0
	.set _ZN2at6native12_GLOBAL__N_125multi_tensor_apply_kernelINS1_18TensorListMetadataILi1EEENS1_14UnaryOpFunctorIN3c107complexIfEELi1ELi1ELi0EEEJNS0_5Expm1IS8_EEEEEvT_T0_DpT1_.has_indirect_call, 0
	.section	.AMDGPU.csdata,"",@progbits
; Kernel info:
; codeLenInByte = 26052
; TotalNumSgprs: 32
; NumVgprs: 89
; ScratchSize: 0
; MemoryBound: 1
; FloatMode: 240
; IeeeMode: 1
; LDSByteSize: 0 bytes/workgroup (compile time only)
; SGPRBlocks: 0
; VGPRBlocks: 5
; NumSGPRsForWavesPerEU: 32
; NumVGPRsForWavesPerEU: 89
; NamedBarCnt: 0
; Occupancy: 10
; WaveLimiterHint : 0
; COMPUTE_PGM_RSRC2:SCRATCH_EN: 0
; COMPUTE_PGM_RSRC2:USER_SGPR: 2
; COMPUTE_PGM_RSRC2:TRAP_HANDLER: 0
; COMPUTE_PGM_RSRC2:TGID_X_EN: 1
; COMPUTE_PGM_RSRC2:TGID_Y_EN: 0
; COMPUTE_PGM_RSRC2:TGID_Z_EN: 0
; COMPUTE_PGM_RSRC2:TIDIG_COMP_CNT: 0
	.section	.text._ZN2at6native12_GLOBAL__N_125multi_tensor_apply_kernelINS1_18TensorListMetadataILi1EEENS1_14UnaryOpFunctorIN3c104HalfELi1ELi1ELi0EEEJNS0_5Expm1IfEEEEEvT_T0_DpT1_,"axG",@progbits,_ZN2at6native12_GLOBAL__N_125multi_tensor_apply_kernelINS1_18TensorListMetadataILi1EEENS1_14UnaryOpFunctorIN3c104HalfELi1ELi1ELi0EEEJNS0_5Expm1IfEEEEEvT_T0_DpT1_,comdat
	.globl	_ZN2at6native12_GLOBAL__N_125multi_tensor_apply_kernelINS1_18TensorListMetadataILi1EEENS1_14UnaryOpFunctorIN3c104HalfELi1ELi1ELi0EEEJNS0_5Expm1IfEEEEEvT_T0_DpT1_ ; -- Begin function _ZN2at6native12_GLOBAL__N_125multi_tensor_apply_kernelINS1_18TensorListMetadataILi1EEENS1_14UnaryOpFunctorIN3c104HalfELi1ELi1ELi0EEEJNS0_5Expm1IfEEEEEvT_T0_DpT1_
	.p2align	8
	.type	_ZN2at6native12_GLOBAL__N_125multi_tensor_apply_kernelINS1_18TensorListMetadataILi1EEENS1_14UnaryOpFunctorIN3c104HalfELi1ELi1ELi0EEEJNS0_5Expm1IfEEEEEvT_T0_DpT1_,@function
_ZN2at6native12_GLOBAL__N_125multi_tensor_apply_kernelINS1_18TensorListMetadataILi1EEENS1_14UnaryOpFunctorIN3c104HalfELi1ELi1ELi0EEEJNS0_5Expm1IfEEEEEvT_T0_DpT1_: ; @_ZN2at6native12_GLOBAL__N_125multi_tensor_apply_kernelINS1_18TensorListMetadataILi1EEENS1_14UnaryOpFunctorIN3c104HalfELi1ELi1ELi0EEEJNS0_5Expm1IfEEEEEvT_T0_DpT1_
; %bb.0:
	s_bfe_u32 s2, ttmp6, 0x4000c
	s_and_b32 s3, ttmp6, 15
	s_add_co_i32 s2, s2, 1
	s_getreg_b32 s4, hwreg(HW_REG_IB_STS2, 6, 4)
	s_mul_i32 s2, ttmp9, s2
	s_delay_alu instid0(SALU_CYCLE_1)
	s_add_co_i32 s3, s3, s2
	s_cmp_eq_u32 s4, 0
	s_cselect_b32 s2, ttmp9, s3
	s_mov_b32 s3, 0
	s_load_u8 s8, s[0:1], s2 offset:0x6e0
	s_add_nc_u64 s[4:5], s[0:1], s[2:3]
	s_mul_u64 s[6:7], s[2:3], 3
	s_delay_alu instid0(SALU_CYCLE_1)
	s_add_nc_u64 s[4:5], s[4:5], s[6:7]
	s_load_b32 s10, s[4:5], 0x820
	s_wait_kmcnt 0x0
	s_clause 0x1
	s_load_b64 s[6:7], s[0:1], s8 offset:0x0 scale_offset
	s_load_b64 s[12:13], s[0:1], s8 offset:0x370 scale_offset
	s_ashr_i32 s11, s10, 31
	s_wait_kmcnt 0x0
	s_and_b64 s[4:5], s[6:7], 7
	s_and_b32 s2, s12, 3
	s_lshl_b64 s[8:9], s[10:11], 17
	s_or_b64 s[2:3], s[4:5], s[2:3]
	s_lshl_b64 s[4:5], s[10:11], 16
	s_cmp_eq_u64 s[2:3], 0
	s_sub_nc_u64 s[10:11], s[12:13], s[4:5]
	s_cbranch_scc1 .LBB151_21
; %bb.1:
	v_cmp_lt_i64_e64 s2, s[10:11], 1
	s_and_b32 vcc_lo, exec_lo, s2
	s_cbranch_vccnz .LBB151_20
; %bb.2:
	s_load_b32 s2, s[0:1], 0xd3c
	v_min_i64 v[2:3], 0x10000, s[10:11]
	v_min_u64 v[4:5], 0x10000, s[10:11]
	v_dual_mov_b32 v1, 0 :: v_dual_lshlrev_b32 v8, 1, v0
	s_mov_b32 s3, 0
	s_add_nc_u64 s[4:5], s[6:7], s[8:9]
	s_mov_b32 s17, s3
	s_delay_alu instid0(VALU_DEP_1)
	v_mov_b32_e32 v15, v1
	s_mov_b32 s19, s3
	s_mov_b32 s13, s3
	;; [unrolled: 1-line block ×4, first 2 shown]
	s_wait_kmcnt 0x0
	s_and_b32 s2, s2, 0xffff
	s_delay_alu instid0(SALU_CYCLE_1)
	v_add_nc_u64_e32 v[6:7], s[2:3], v[0:1]
	v_mov_b32_e32 v9, v1
	s_lshl_b32 s16, s2, 1
	s_mul_i32 s18, s2, 3
	v_add_nc_u64_e32 v[12:13], s[16:17], v[0:1]
	v_add_nc_u64_e32 v[10:11], s[18:19], v[0:1]
	s_lshl_b32 s12, s2, 2
	v_lshlrev_b32_e32 v14, 1, v6
	v_add_nc_u64_e32 v[8:9], s[4:5], v[8:9]
	s_lshl_b32 s14, s2, 3
	s_mul_u64 s[16:17], s[2:3], 6
	s_mov_b64 s[18:19], 0
	v_add_nc_u64_e32 v[14:15], s[4:5], v[14:15]
	s_mov_b32 s5, 0xbf317218
	s_branch .LBB151_4
.LBB151_3:                              ;   in Loop: Header=BB151_4 Depth=1
	s_wait_xcnt 0x0
	s_or_b32 exec_lo, exec_lo, s2
	s_add_nc_u64 s[18:19], s[18:19], s[12:13]
	v_add_nc_u64_e32 v[8:9], s[14:15], v[8:9]
	v_cmp_lt_i64_e32 vcc_lo, s[18:19], v[2:3]
	v_add_nc_u64_e32 v[14:15], s[14:15], v[14:15]
	s_cbranch_vccz .LBB151_20
.LBB151_4:                              ; =>This Inner Loop Header: Depth=1
	v_add_nc_u64_e32 v[16:17], s[18:19], v[0:1]
	s_wait_loadcnt 0x0
	v_mov_b32_e32 v23, 0
	s_delay_alu instid0(VALU_DEP_2)
	v_cmp_lt_u64_e64 s4, v[16:17], v[4:5]
	s_and_saveexec_b32 s2, s4
	s_cbranch_execz .LBB151_6
; %bb.5:                                ;   in Loop: Header=BB151_4 Depth=1
	global_load_u16 v23, v[8:9], off
.LBB151_6:                              ;   in Loop: Header=BB151_4 Depth=1
	s_wait_xcnt 0x0
	s_or_b32 exec_lo, exec_lo, s2
	v_add_nc_u64_e32 v[16:17], s[18:19], v[6:7]
	v_dual_mov_b32 v21, 0 :: v_dual_mov_b32 v22, 0
	s_delay_alu instid0(VALU_DEP_2)
	v_cmp_lt_u64_e64 s3, v[16:17], v[4:5]
	s_and_saveexec_b32 s2, s3
	s_cbranch_execz .LBB151_8
; %bb.7:                                ;   in Loop: Header=BB151_4 Depth=1
	global_load_u16 v22, v[14:15], off
.LBB151_8:                              ;   in Loop: Header=BB151_4 Depth=1
	s_wait_xcnt 0x0
	s_or_b32 exec_lo, exec_lo, s2
	v_add_nc_u64_e32 v[16:17], s[18:19], v[12:13]
	v_add_nc_u64_e32 v[18:19], s[12:13], v[8:9]
	s_delay_alu instid0(VALU_DEP_2)
	v_cmp_lt_u64_e64 s2, v[16:17], v[4:5]
	s_and_saveexec_b32 s21, s2
	s_cbranch_execz .LBB151_10
; %bb.9:                                ;   in Loop: Header=BB151_4 Depth=1
	global_load_u16 v21, v[18:19], off
.LBB151_10:                             ;   in Loop: Header=BB151_4 Depth=1
	s_wait_xcnt 0x0
	s_or_b32 exec_lo, exec_lo, s21
	v_add_nc_u64_e32 v[16:17], s[18:19], v[10:11]
	v_mov_b32_e32 v20, 0
	s_delay_alu instid0(VALU_DEP_2)
	v_cmp_lt_u64_e32 vcc_lo, v[16:17], v[4:5]
	v_add_nc_u64_e32 v[16:17], s[16:17], v[8:9]
	s_and_saveexec_b32 s21, vcc_lo
	s_cbranch_execnz .LBB151_15
; %bb.11:                               ;   in Loop: Header=BB151_4 Depth=1
	s_or_b32 exec_lo, exec_lo, s21
	s_and_saveexec_b32 s21, s4
	s_cbranch_execnz .LBB151_16
.LBB151_12:                             ;   in Loop: Header=BB151_4 Depth=1
	s_or_b32 exec_lo, exec_lo, s21
	s_and_saveexec_b32 s4, s3
	s_cbranch_execnz .LBB151_17
.LBB151_13:                             ;   in Loop: Header=BB151_4 Depth=1
	s_or_b32 exec_lo, exec_lo, s4
	s_and_saveexec_b32 s3, s2
	s_cbranch_execnz .LBB151_18
.LBB151_14:                             ;   in Loop: Header=BB151_4 Depth=1
	s_or_b32 exec_lo, exec_lo, s3
	s_and_saveexec_b32 s2, vcc_lo
	s_cbranch_execz .LBB151_3
	s_branch .LBB151_19
.LBB151_15:                             ;   in Loop: Header=BB151_4 Depth=1
	global_load_u16 v20, v[16:17], off
	s_wait_xcnt 0x0
	s_or_b32 exec_lo, exec_lo, s21
	s_and_saveexec_b32 s21, s4
	s_cbranch_execz .LBB151_12
.LBB151_16:                             ;   in Loop: Header=BB151_4 Depth=1
	s_wait_loadcnt 0x0
	v_cvt_f32_f16_e32 v24, v23
	s_delay_alu instid0(VALU_DEP_1) | instskip(NEXT) | instid1(VALU_DEP_1)
	v_mul_f32_e32 v25, 0x3fb8aa3b, v24
	v_rndne_f32_e32 v25, v25
	s_delay_alu instid0(VALU_DEP_1) | instskip(SKIP_2) | instid1(VALU_DEP_3)
	v_fma_mix_f32 v26, v25, s5, v23 op_sel_hi:[0,0,1]
	v_cvt_i32_f32_e32 v28, v25
	v_cmp_eq_f32_e64 s4, 0x43000000, v25
	v_fmac_f32_e32 v26, 0x3102e308, v25
	s_delay_alu instid0(VALU_DEP_3) | instskip(NEXT) | instid1(VALU_DEP_2)
	v_ldexp_f32 v28, 1.0, v28
	v_fmaak_f32 v27, s20, v26, 0x3ab69700
	s_delay_alu instid0(VALU_DEP_2) | instskip(NEXT) | instid1(VALU_DEP_2)
	v_cndmask_b32_e64 v25, v28, 0x7f000000, s4
	v_fmaak_f32 v27, v26, v27, 0x3c0887f9
	s_delay_alu instid0(VALU_DEP_1) | instskip(NEXT) | instid1(VALU_DEP_1)
	v_fmaak_f32 v27, v26, v27, 0x3d2aaa81
	v_fmaak_f32 v27, v26, v27, 0x3e2aaaab
	s_delay_alu instid0(VALU_DEP_1) | instskip(NEXT) | instid1(VALU_DEP_1)
	v_fma_f32 v27, v26, v27, 0.5
	v_mul_f32_e32 v27, v26, v27
	s_delay_alu instid0(VALU_DEP_1) | instskip(NEXT) | instid1(VALU_DEP_1)
	v_dual_fmac_f32 v26, v26, v27 :: v_dual_add_f32 v27, -1.0, v25
	v_fmac_f32_e32 v27, v25, v26
	s_delay_alu instid0(VALU_DEP_1) | instskip(NEXT) | instid1(VALU_DEP_1)
	v_add_f32_e32 v25, v27, v27
	v_cndmask_b32_e64 v25, v27, v25, s4
	v_cmp_nlt_f32_e64 s4, 0x42b17217, v24
	s_delay_alu instid0(VALU_DEP_1) | instskip(SKIP_1) | instid1(VALU_DEP_2)
	v_cndmask_b32_e64 v24, 0x7f800000, v25, s4
	v_cmp_ngt_f16_e64 s4, 0xcc40, v23
	v_cvt_f16_f32_e32 v24, v24
	s_delay_alu instid0(VALU_DEP_1)
	v_cndmask_b32_e64 v23, 0xbc00, v24, s4
	global_store_b16 v[8:9], v23, off
	s_wait_xcnt 0x0
	s_or_b32 exec_lo, exec_lo, s21
	s_and_saveexec_b32 s4, s3
	s_cbranch_execz .LBB151_13
.LBB151_17:                             ;   in Loop: Header=BB151_4 Depth=1
	s_wait_loadcnt 0x0
	v_cvt_f32_f16_e32 v23, v22
	s_delay_alu instid0(VALU_DEP_1) | instskip(NEXT) | instid1(VALU_DEP_1)
	v_mul_f32_e32 v24, 0x3fb8aa3b, v23
	v_rndne_f32_e32 v24, v24
	s_delay_alu instid0(VALU_DEP_1) | instskip(SKIP_2) | instid1(VALU_DEP_3)
	v_fma_mix_f32 v25, v24, s5, v22 op_sel_hi:[0,0,1]
	v_cvt_i32_f32_e32 v27, v24
	v_cmp_eq_f32_e64 s3, 0x43000000, v24
	v_fmac_f32_e32 v25, 0x3102e308, v24
	s_delay_alu instid0(VALU_DEP_3) | instskip(NEXT) | instid1(VALU_DEP_2)
	v_ldexp_f32 v27, 1.0, v27
	v_fmaak_f32 v26, s20, v25, 0x3ab69700
	s_delay_alu instid0(VALU_DEP_2) | instskip(NEXT) | instid1(VALU_DEP_2)
	v_cndmask_b32_e64 v24, v27, 0x7f000000, s3
	v_fmaak_f32 v26, v25, v26, 0x3c0887f9
	s_delay_alu instid0(VALU_DEP_1) | instskip(NEXT) | instid1(VALU_DEP_1)
	v_fmaak_f32 v26, v25, v26, 0x3d2aaa81
	v_fmaak_f32 v26, v25, v26, 0x3e2aaaab
	s_delay_alu instid0(VALU_DEP_1) | instskip(NEXT) | instid1(VALU_DEP_1)
	v_fma_f32 v26, v25, v26, 0.5
	v_mul_f32_e32 v26, v25, v26
	s_delay_alu instid0(VALU_DEP_1) | instskip(NEXT) | instid1(VALU_DEP_1)
	v_dual_fmac_f32 v25, v25, v26 :: v_dual_add_f32 v26, -1.0, v24
	v_fmac_f32_e32 v26, v24, v25
	s_delay_alu instid0(VALU_DEP_1) | instskip(NEXT) | instid1(VALU_DEP_1)
	v_add_f32_e32 v24, v26, v26
	v_cndmask_b32_e64 v24, v26, v24, s3
	v_cmp_nlt_f32_e64 s3, 0x42b17217, v23
	s_delay_alu instid0(VALU_DEP_1) | instskip(SKIP_1) | instid1(VALU_DEP_2)
	v_cndmask_b32_e64 v23, 0x7f800000, v24, s3
	v_cmp_ngt_f16_e64 s3, 0xcc40, v22
	v_cvt_f16_f32_e32 v23, v23
	s_delay_alu instid0(VALU_DEP_1)
	v_cndmask_b32_e64 v22, 0xbc00, v23, s3
	global_store_b16 v[14:15], v22, off
	s_wait_xcnt 0x0
	s_or_b32 exec_lo, exec_lo, s4
	s_and_saveexec_b32 s3, s2
	s_cbranch_execz .LBB151_14
.LBB151_18:                             ;   in Loop: Header=BB151_4 Depth=1
	s_wait_loadcnt 0x0
	v_cvt_f32_f16_e32 v22, v21
	s_delay_alu instid0(VALU_DEP_1) | instskip(NEXT) | instid1(VALU_DEP_1)
	v_mul_f32_e32 v23, 0x3fb8aa3b, v22
	v_rndne_f32_e32 v23, v23
	s_delay_alu instid0(VALU_DEP_1) | instskip(SKIP_2) | instid1(VALU_DEP_3)
	v_fma_mix_f32 v24, v23, s5, v21 op_sel_hi:[0,0,1]
	v_cvt_i32_f32_e32 v26, v23
	v_cmp_eq_f32_e64 s2, 0x43000000, v23
	v_fmac_f32_e32 v24, 0x3102e308, v23
	s_delay_alu instid0(VALU_DEP_3) | instskip(NEXT) | instid1(VALU_DEP_2)
	v_ldexp_f32 v26, 1.0, v26
	v_fmaak_f32 v25, s20, v24, 0x3ab69700
	s_delay_alu instid0(VALU_DEP_2) | instskip(NEXT) | instid1(VALU_DEP_2)
	v_cndmask_b32_e64 v23, v26, 0x7f000000, s2
	v_fmaak_f32 v25, v24, v25, 0x3c0887f9
	s_delay_alu instid0(VALU_DEP_1) | instskip(NEXT) | instid1(VALU_DEP_1)
	v_fmaak_f32 v25, v24, v25, 0x3d2aaa81
	v_fmaak_f32 v25, v24, v25, 0x3e2aaaab
	s_delay_alu instid0(VALU_DEP_1) | instskip(NEXT) | instid1(VALU_DEP_1)
	v_fma_f32 v25, v24, v25, 0.5
	v_mul_f32_e32 v25, v24, v25
	s_delay_alu instid0(VALU_DEP_1) | instskip(NEXT) | instid1(VALU_DEP_1)
	v_dual_fmac_f32 v24, v24, v25 :: v_dual_add_f32 v25, -1.0, v23
	v_fmac_f32_e32 v25, v23, v24
	s_delay_alu instid0(VALU_DEP_1) | instskip(NEXT) | instid1(VALU_DEP_1)
	v_add_f32_e32 v23, v25, v25
	v_cndmask_b32_e64 v23, v25, v23, s2
	v_cmp_nlt_f32_e64 s2, 0x42b17217, v22
	s_delay_alu instid0(VALU_DEP_1) | instskip(SKIP_1) | instid1(VALU_DEP_2)
	v_cndmask_b32_e64 v22, 0x7f800000, v23, s2
	v_cmp_ngt_f16_e64 s2, 0xcc40, v21
	v_cvt_f16_f32_e32 v22, v22
	s_delay_alu instid0(VALU_DEP_1)
	v_cndmask_b32_e64 v21, 0xbc00, v22, s2
	global_store_b16 v[18:19], v21, off
	s_wait_xcnt 0x0
	s_or_b32 exec_lo, exec_lo, s3
	s_and_saveexec_b32 s2, vcc_lo
	s_cbranch_execz .LBB151_3
.LBB151_19:                             ;   in Loop: Header=BB151_4 Depth=1
	s_wait_loadcnt 0x0
	v_cvt_f32_f16_e32 v18, v20
	s_delay_alu instid0(VALU_DEP_1) | instskip(NEXT) | instid1(VALU_DEP_1)
	v_mul_f32_e32 v19, 0x3fb8aa3b, v18
	v_rndne_f32_e32 v19, v19
	s_delay_alu instid0(VALU_DEP_1) | instskip(SKIP_2) | instid1(VALU_DEP_3)
	v_fma_mix_f32 v21, v19, s5, v20 op_sel_hi:[0,0,1]
	v_cvt_i32_f32_e32 v23, v19
	v_cmp_eq_f32_e32 vcc_lo, 0x43000000, v19
	v_fmac_f32_e32 v21, 0x3102e308, v19
	s_delay_alu instid0(VALU_DEP_3) | instskip(NEXT) | instid1(VALU_DEP_2)
	v_ldexp_f32 v23, 1.0, v23
	v_fmaak_f32 v22, s20, v21, 0x3ab69700
	s_delay_alu instid0(VALU_DEP_2) | instskip(NEXT) | instid1(VALU_DEP_2)
	v_cndmask_b32_e64 v19, v23, 0x7f000000, vcc_lo
	v_fmaak_f32 v22, v21, v22, 0x3c0887f9
	s_delay_alu instid0(VALU_DEP_1) | instskip(NEXT) | instid1(VALU_DEP_1)
	v_fmaak_f32 v22, v21, v22, 0x3d2aaa81
	v_fmaak_f32 v22, v21, v22, 0x3e2aaaab
	s_delay_alu instid0(VALU_DEP_1) | instskip(NEXT) | instid1(VALU_DEP_1)
	v_fma_f32 v22, v21, v22, 0.5
	v_mul_f32_e32 v22, v21, v22
	s_delay_alu instid0(VALU_DEP_1) | instskip(NEXT) | instid1(VALU_DEP_1)
	v_dual_fmac_f32 v21, v21, v22 :: v_dual_add_f32 v22, -1.0, v19
	v_fmac_f32_e32 v22, v19, v21
	s_delay_alu instid0(VALU_DEP_1) | instskip(NEXT) | instid1(VALU_DEP_1)
	v_add_f32_e32 v19, v22, v22
	v_cndmask_b32_e32 v19, v22, v19, vcc_lo
	v_cmp_nlt_f32_e32 vcc_lo, 0x42b17217, v18
	s_delay_alu instid0(VALU_DEP_2) | instskip(SKIP_1) | instid1(VALU_DEP_2)
	v_cndmask_b32_e32 v18, 0x7f800000, v19, vcc_lo
	v_cmp_ngt_f16_e32 vcc_lo, 0xcc40, v20
	v_cvt_f16_f32_e32 v18, v18
	s_delay_alu instid0(VALU_DEP_1)
	v_cndmask_b32_e32 v18, 0xbc00, v18, vcc_lo
	global_store_b16 v[16:17], v18, off
	s_branch .LBB151_3
.LBB151_20:
	s_cbranch_execz .LBB151_22
	s_branch .LBB151_25
.LBB151_21:
.LBB151_22:
	v_min_i64 v[2:3], 0x10000, s[10:11]
	v_dual_mov_b32 v5, 0 :: v_dual_lshlrev_b32 v4, 2, v0
	s_mov_b32 s2, exec_lo
	s_delay_alu instid0(VALU_DEP_1)
	v_cmpx_lt_i64_e64 v[4:5], v[2:3]
	s_cbranch_execz .LBB151_25
; %bb.23:
	s_load_b32 s2, s[0:1], 0xd3c
	v_dual_mov_b32 v1, v5 :: v_dual_lshlrev_b32 v4, 3, v0
	s_wait_xcnt 0x0
	s_add_nc_u64 s[0:1], s[6:7], s[8:9]
	s_mov_b32 s5, 0
	s_mov_b32 s6, 0xbf317218
	;; [unrolled: 1-line block ×3, first 2 shown]
	v_add_nc_u64_e32 v[4:5], s[0:1], v[4:5]
	s_mov_b32 s10, 0x3ab69700
	s_mov_b32 s12, 0x395133b1
	;; [unrolled: 1-line block ×7, first 2 shown]
	s_wait_kmcnt 0x0
	s_and_b32 s4, s2, 0xffff
	s_delay_alu instid0(SALU_CYCLE_1)
	s_lshl_b32 s20, s4, 3
.LBB151_24:                             ; =>This Inner Loop Header: Depth=1
	global_load_b64 v[6:7], v[4:5], off
	v_add_nc_u64_e32 v[0:1], s[4:5], v[0:1]
	s_wait_loadcnt 0x0
	v_dual_lshrrev_b32 v28, 16, v6 :: v_dual_lshrrev_b32 v29, 16, v7
	v_cvt_f32_f16_e32 v8, v6
	v_cvt_f32_f16_e32 v10, v7
	s_delay_alu instid0(VALU_DEP_3) | instskip(NEXT) | instid1(VALU_DEP_4)
	v_cvt_f32_f16_e32 v9, v28
	v_cvt_f32_f16_e32 v11, v29
	s_delay_alu instid0(VALU_DEP_3) | instskip(NEXT) | instid1(VALU_DEP_2)
	v_dual_mul_f32 v12, 0x3fb8aa3b, v8 :: v_dual_mul_f32 v13, 0x3fb8aa3b, v10
	v_dual_mul_f32 v15, 0x3fb8aa3b, v9 :: v_dual_mul_f32 v16, 0x3fb8aa3b, v11
	s_delay_alu instid0(VALU_DEP_2) | instskip(NEXT) | instid1(VALU_DEP_3)
	v_rndne_f32_e32 v12, v12
	v_rndne_f32_e32 v14, v13
	s_delay_alu instid0(VALU_DEP_3) | instskip(NEXT) | instid1(VALU_DEP_4)
	v_rndne_f32_e32 v13, v15
	v_rndne_f32_e32 v15, v16
	s_delay_alu instid0(VALU_DEP_4) | instskip(NEXT) | instid1(VALU_DEP_4)
	v_cvt_i32_f32_e32 v24, v12
	v_cvt_i32_f32_e32 v25, v14
	v_cmp_eq_f32_e32 vcc_lo, 0x43000000, v12
	v_pk_fma_f32 v[16:17], v[12:13], s[6:7], v[8:9] op_sel_hi:[1,0,1]
	v_pk_fma_f32 v[18:19], v[14:15], s[6:7], v[10:11] op_sel_hi:[1,0,1]
	v_cvt_i32_f32_e32 v26, v13
	v_cvt_i32_f32_e32 v27, v15
	v_ldexp_f32 v24, 1.0, v24
	v_pk_fma_f32 v[16:17], v[12:13], s[8:9], v[16:17] op_sel_hi:[1,0,1]
	v_pk_fma_f32 v[18:19], v[14:15], s[8:9], v[18:19] op_sel_hi:[1,0,1]
	v_ldexp_f32 v25, 1.0, v25
	v_ldexp_f32 v26, 1.0, v26
	;; [unrolled: 1-line block ×3, first 2 shown]
	v_pk_fma_f32 v[20:21], v[16:17], s[12:13], s[10:11] op_sel_hi:[1,0,0]
	v_pk_fma_f32 v[22:23], v[18:19], s[12:13], s[10:11] op_sel_hi:[1,0,0]
	v_cmp_eq_f32_e64 s0, 0x43000000, v14
	v_cmp_eq_f32_e64 s1, 0x43000000, v15
	;; [unrolled: 1-line block ×3, first 2 shown]
	v_pk_fma_f32 v[20:21], v[16:17], v[20:21], s[14:15] op_sel_hi:[1,1,0]
	v_pk_fma_f32 v[22:23], v[18:19], v[22:23], s[14:15] op_sel_hi:[1,1,0]
	v_cndmask_b32_e64 v12, v24, 0x7f000000, vcc_lo
	v_cndmask_b32_e64 v14, v25, 0x7f000000, s0
	v_cndmask_b32_e64 v15, v27, 0x7f000000, s1
	v_pk_fma_f32 v[20:21], v[16:17], v[20:21], s[16:17] op_sel_hi:[1,1,0]
	v_pk_fma_f32 v[22:23], v[18:19], v[22:23], s[16:17] op_sel_hi:[1,1,0]
	v_cndmask_b32_e64 v13, v26, 0x7f000000, s2
	s_delay_alu instid0(VALU_DEP_4) | instskip(NEXT) | instid1(VALU_DEP_4)
	v_pk_add_f32 v[24:25], v[14:15], -1.0 op_sel_hi:[1,0]
	v_pk_fma_f32 v[20:21], v[16:17], v[20:21], s[18:19] op_sel_hi:[1,1,0]
	s_delay_alu instid0(VALU_DEP_4) | instskip(NEXT) | instid1(VALU_DEP_4)
	v_pk_fma_f32 v[22:23], v[18:19], v[22:23], s[18:19] op_sel_hi:[1,1,0]
	v_pk_add_f32 v[26:27], v[12:13], -1.0 op_sel_hi:[1,0]
	s_delay_alu instid0(VALU_DEP_3) | instskip(NEXT) | instid1(VALU_DEP_3)
	v_pk_fma_f32 v[20:21], v[16:17], v[20:21], 0.5 op_sel_hi:[1,1,0]
	v_pk_fma_f32 v[22:23], v[18:19], v[22:23], 0.5 op_sel_hi:[1,1,0]
	s_delay_alu instid0(VALU_DEP_2) | instskip(NEXT) | instid1(VALU_DEP_2)
	v_pk_mul_f32 v[20:21], v[16:17], v[20:21]
	v_pk_mul_f32 v[22:23], v[18:19], v[22:23]
	s_delay_alu instid0(VALU_DEP_2) | instskip(NEXT) | instid1(VALU_DEP_2)
	v_pk_fma_f32 v[16:17], v[16:17], v[20:21], v[16:17]
	v_pk_fma_f32 v[18:19], v[18:19], v[22:23], v[18:19]
	s_delay_alu instid0(VALU_DEP_2) | instskip(NEXT) | instid1(VALU_DEP_2)
	v_pk_fma_f32 v[12:13], v[12:13], v[16:17], v[26:27]
	v_pk_fma_f32 v[14:15], v[14:15], v[18:19], v[24:25]
	s_delay_alu instid0(VALU_DEP_2) | instskip(NEXT) | instid1(VALU_DEP_2)
	v_pk_add_f32 v[18:19], v[12:13], v[12:13]
	v_pk_add_f32 v[16:17], v[14:15], v[14:15]
	s_delay_alu instid0(VALU_DEP_1) | instskip(SKIP_1) | instid1(VALU_DEP_3)
	v_dual_cndmask_b32 v12, v12, v18, vcc_lo :: v_dual_cndmask_b32 v15, v15, v17, s1
	v_cmp_nlt_f32_e32 vcc_lo, 0x42b17217, v11
	v_dual_cndmask_b32 v14, v14, v16, s0 :: v_dual_cndmask_b32 v13, v13, v19, s2
	s_delay_alu instid0(VALU_DEP_3) | instskip(SKIP_1) | instid1(VALU_DEP_3)
	v_cndmask_b32_e32 v11, 0x7f800000, v15, vcc_lo
	v_cmp_nlt_f32_e32 vcc_lo, 0x42b17217, v10
	v_cndmask_b32_e32 v10, 0x7f800000, v14, vcc_lo
	v_cmp_nlt_f32_e32 vcc_lo, 0x42b17217, v9
	s_delay_alu instid0(VALU_DEP_2)
	v_cvt_pk_f16_f32 v10, v10, v11
	v_cndmask_b32_e32 v9, 0x7f800000, v13, vcc_lo
	v_cmp_nlt_f32_e32 vcc_lo, 0x42b17217, v8
	v_cndmask_b32_e32 v8, 0x7f800000, v12, vcc_lo
	v_cmp_ngt_f16_e32 vcc_lo, 0xcc40, v7
	v_lshrrev_b32_e32 v7, 16, v10
	s_delay_alu instid0(VALU_DEP_3) | instskip(SKIP_2) | instid1(VALU_DEP_3)
	v_cvt_pk_f16_f32 v8, v8, v9
	v_cndmask_b32_e32 v9, 0xbc00, v10, vcc_lo
	v_cmp_ngt_f16_e32 vcc_lo, 0xcc40, v6
	v_lshrrev_b32_e32 v10, 16, v8
	v_cndmask_b32_e32 v8, 0xbc00, v8, vcc_lo
	v_cmp_ngt_f16_e32 vcc_lo, 0xcc40, v29
	v_cndmask_b32_e32 v11, 0xbc00, v7, vcc_lo
	v_cmp_ngt_f16_e32 vcc_lo, 0xcc40, v28
	v_lshlrev_b64_e32 v[6:7], 2, v[0:1]
	s_delay_alu instid0(VALU_DEP_3) | instskip(SKIP_1) | instid1(VALU_DEP_3)
	v_perm_b32 v9, v11, v9, 0x5040100
	v_cndmask_b32_e32 v10, 0xbc00, v10, vcc_lo
	v_cmp_ge_i64_e32 vcc_lo, v[6:7], v[2:3]
	s_delay_alu instid0(VALU_DEP_2) | instskip(SKIP_4) | instid1(SALU_CYCLE_1)
	v_perm_b32 v8, v10, v8, 0x5040100
	global_store_b64 v[4:5], v[8:9], off
	s_wait_xcnt 0x0
	v_add_nc_u64_e32 v[4:5], s[20:21], v[4:5]
	s_or_b32 s3, vcc_lo, s3
	s_and_not1_b32 exec_lo, exec_lo, s3
	s_cbranch_execnz .LBB151_24
.LBB151_25:
	s_endpgm
	.section	.rodata,"a",@progbits
	.p2align	6, 0x0
	.amdhsa_kernel _ZN2at6native12_GLOBAL__N_125multi_tensor_apply_kernelINS1_18TensorListMetadataILi1EEENS1_14UnaryOpFunctorIN3c104HalfELi1ELi1ELi0EEEJNS0_5Expm1IfEEEEEvT_T0_DpT1_
		.amdhsa_group_segment_fixed_size 0
		.amdhsa_private_segment_fixed_size 0
		.amdhsa_kernarg_size 3632
		.amdhsa_user_sgpr_count 2
		.amdhsa_user_sgpr_dispatch_ptr 0
		.amdhsa_user_sgpr_queue_ptr 0
		.amdhsa_user_sgpr_kernarg_segment_ptr 1
		.amdhsa_user_sgpr_dispatch_id 0
		.amdhsa_user_sgpr_kernarg_preload_length 0
		.amdhsa_user_sgpr_kernarg_preload_offset 0
		.amdhsa_user_sgpr_private_segment_size 0
		.amdhsa_wavefront_size32 1
		.amdhsa_uses_dynamic_stack 0
		.amdhsa_enable_private_segment 0
		.amdhsa_system_sgpr_workgroup_id_x 1
		.amdhsa_system_sgpr_workgroup_id_y 0
		.amdhsa_system_sgpr_workgroup_id_z 0
		.amdhsa_system_sgpr_workgroup_info 0
		.amdhsa_system_vgpr_workitem_id 0
		.amdhsa_next_free_vgpr 30
		.amdhsa_next_free_sgpr 22
		.amdhsa_named_barrier_count 0
		.amdhsa_reserve_vcc 1
		.amdhsa_float_round_mode_32 0
		.amdhsa_float_round_mode_16_64 0
		.amdhsa_float_denorm_mode_32 3
		.amdhsa_float_denorm_mode_16_64 3
		.amdhsa_fp16_overflow 0
		.amdhsa_memory_ordered 1
		.amdhsa_forward_progress 1
		.amdhsa_inst_pref_size 20
		.amdhsa_round_robin_scheduling 0
		.amdhsa_exception_fp_ieee_invalid_op 0
		.amdhsa_exception_fp_denorm_src 0
		.amdhsa_exception_fp_ieee_div_zero 0
		.amdhsa_exception_fp_ieee_overflow 0
		.amdhsa_exception_fp_ieee_underflow 0
		.amdhsa_exception_fp_ieee_inexact 0
		.amdhsa_exception_int_div_zero 0
	.end_amdhsa_kernel
	.section	.text._ZN2at6native12_GLOBAL__N_125multi_tensor_apply_kernelINS1_18TensorListMetadataILi1EEENS1_14UnaryOpFunctorIN3c104HalfELi1ELi1ELi0EEEJNS0_5Expm1IfEEEEEvT_T0_DpT1_,"axG",@progbits,_ZN2at6native12_GLOBAL__N_125multi_tensor_apply_kernelINS1_18TensorListMetadataILi1EEENS1_14UnaryOpFunctorIN3c104HalfELi1ELi1ELi0EEEJNS0_5Expm1IfEEEEEvT_T0_DpT1_,comdat
.Lfunc_end151:
	.size	_ZN2at6native12_GLOBAL__N_125multi_tensor_apply_kernelINS1_18TensorListMetadataILi1EEENS1_14UnaryOpFunctorIN3c104HalfELi1ELi1ELi0EEEJNS0_5Expm1IfEEEEEvT_T0_DpT1_, .Lfunc_end151-_ZN2at6native12_GLOBAL__N_125multi_tensor_apply_kernelINS1_18TensorListMetadataILi1EEENS1_14UnaryOpFunctorIN3c104HalfELi1ELi1ELi0EEEJNS0_5Expm1IfEEEEEvT_T0_DpT1_
                                        ; -- End function
	.set _ZN2at6native12_GLOBAL__N_125multi_tensor_apply_kernelINS1_18TensorListMetadataILi1EEENS1_14UnaryOpFunctorIN3c104HalfELi1ELi1ELi0EEEJNS0_5Expm1IfEEEEEvT_T0_DpT1_.num_vgpr, 30
	.set _ZN2at6native12_GLOBAL__N_125multi_tensor_apply_kernelINS1_18TensorListMetadataILi1EEENS1_14UnaryOpFunctorIN3c104HalfELi1ELi1ELi0EEEJNS0_5Expm1IfEEEEEvT_T0_DpT1_.num_agpr, 0
	.set _ZN2at6native12_GLOBAL__N_125multi_tensor_apply_kernelINS1_18TensorListMetadataILi1EEENS1_14UnaryOpFunctorIN3c104HalfELi1ELi1ELi0EEEJNS0_5Expm1IfEEEEEvT_T0_DpT1_.numbered_sgpr, 22
	.set _ZN2at6native12_GLOBAL__N_125multi_tensor_apply_kernelINS1_18TensorListMetadataILi1EEENS1_14UnaryOpFunctorIN3c104HalfELi1ELi1ELi0EEEJNS0_5Expm1IfEEEEEvT_T0_DpT1_.num_named_barrier, 0
	.set _ZN2at6native12_GLOBAL__N_125multi_tensor_apply_kernelINS1_18TensorListMetadataILi1EEENS1_14UnaryOpFunctorIN3c104HalfELi1ELi1ELi0EEEJNS0_5Expm1IfEEEEEvT_T0_DpT1_.private_seg_size, 0
	.set _ZN2at6native12_GLOBAL__N_125multi_tensor_apply_kernelINS1_18TensorListMetadataILi1EEENS1_14UnaryOpFunctorIN3c104HalfELi1ELi1ELi0EEEJNS0_5Expm1IfEEEEEvT_T0_DpT1_.uses_vcc, 1
	.set _ZN2at6native12_GLOBAL__N_125multi_tensor_apply_kernelINS1_18TensorListMetadataILi1EEENS1_14UnaryOpFunctorIN3c104HalfELi1ELi1ELi0EEEJNS0_5Expm1IfEEEEEvT_T0_DpT1_.uses_flat_scratch, 0
	.set _ZN2at6native12_GLOBAL__N_125multi_tensor_apply_kernelINS1_18TensorListMetadataILi1EEENS1_14UnaryOpFunctorIN3c104HalfELi1ELi1ELi0EEEJNS0_5Expm1IfEEEEEvT_T0_DpT1_.has_dyn_sized_stack, 0
	.set _ZN2at6native12_GLOBAL__N_125multi_tensor_apply_kernelINS1_18TensorListMetadataILi1EEENS1_14UnaryOpFunctorIN3c104HalfELi1ELi1ELi0EEEJNS0_5Expm1IfEEEEEvT_T0_DpT1_.has_recursion, 0
	.set _ZN2at6native12_GLOBAL__N_125multi_tensor_apply_kernelINS1_18TensorListMetadataILi1EEENS1_14UnaryOpFunctorIN3c104HalfELi1ELi1ELi0EEEJNS0_5Expm1IfEEEEEvT_T0_DpT1_.has_indirect_call, 0
	.section	.AMDGPU.csdata,"",@progbits
; Kernel info:
; codeLenInByte = 2508
; TotalNumSgprs: 24
; NumVgprs: 30
; ScratchSize: 0
; MemoryBound: 0
; FloatMode: 240
; IeeeMode: 1
; LDSByteSize: 0 bytes/workgroup (compile time only)
; SGPRBlocks: 0
; VGPRBlocks: 1
; NumSGPRsForWavesPerEU: 24
; NumVGPRsForWavesPerEU: 30
; NamedBarCnt: 0
; Occupancy: 16
; WaveLimiterHint : 0
; COMPUTE_PGM_RSRC2:SCRATCH_EN: 0
; COMPUTE_PGM_RSRC2:USER_SGPR: 2
; COMPUTE_PGM_RSRC2:TRAP_HANDLER: 0
; COMPUTE_PGM_RSRC2:TGID_X_EN: 1
; COMPUTE_PGM_RSRC2:TGID_Y_EN: 0
; COMPUTE_PGM_RSRC2:TGID_Z_EN: 0
; COMPUTE_PGM_RSRC2:TIDIG_COMP_CNT: 0
	.section	.text._ZN2at6native12_GLOBAL__N_125multi_tensor_apply_kernelINS1_18TensorListMetadataILi1EEENS1_14UnaryOpFunctorIN3c108BFloat16ELi1ELi1ELi0EEEJNS0_5Expm1IfEEEEEvT_T0_DpT1_,"axG",@progbits,_ZN2at6native12_GLOBAL__N_125multi_tensor_apply_kernelINS1_18TensorListMetadataILi1EEENS1_14UnaryOpFunctorIN3c108BFloat16ELi1ELi1ELi0EEEJNS0_5Expm1IfEEEEEvT_T0_DpT1_,comdat
	.globl	_ZN2at6native12_GLOBAL__N_125multi_tensor_apply_kernelINS1_18TensorListMetadataILi1EEENS1_14UnaryOpFunctorIN3c108BFloat16ELi1ELi1ELi0EEEJNS0_5Expm1IfEEEEEvT_T0_DpT1_ ; -- Begin function _ZN2at6native12_GLOBAL__N_125multi_tensor_apply_kernelINS1_18TensorListMetadataILi1EEENS1_14UnaryOpFunctorIN3c108BFloat16ELi1ELi1ELi0EEEJNS0_5Expm1IfEEEEEvT_T0_DpT1_
	.p2align	8
	.type	_ZN2at6native12_GLOBAL__N_125multi_tensor_apply_kernelINS1_18TensorListMetadataILi1EEENS1_14UnaryOpFunctorIN3c108BFloat16ELi1ELi1ELi0EEEJNS0_5Expm1IfEEEEEvT_T0_DpT1_,@function
_ZN2at6native12_GLOBAL__N_125multi_tensor_apply_kernelINS1_18TensorListMetadataILi1EEENS1_14UnaryOpFunctorIN3c108BFloat16ELi1ELi1ELi0EEEJNS0_5Expm1IfEEEEEvT_T0_DpT1_: ; @_ZN2at6native12_GLOBAL__N_125multi_tensor_apply_kernelINS1_18TensorListMetadataILi1EEENS1_14UnaryOpFunctorIN3c108BFloat16ELi1ELi1ELi0EEEJNS0_5Expm1IfEEEEEvT_T0_DpT1_
; %bb.0:
	s_bfe_u32 s2, ttmp6, 0x4000c
	s_and_b32 s3, ttmp6, 15
	s_add_co_i32 s2, s2, 1
	s_getreg_b32 s4, hwreg(HW_REG_IB_STS2, 6, 4)
	s_mul_i32 s2, ttmp9, s2
	s_delay_alu instid0(SALU_CYCLE_1)
	s_add_co_i32 s3, s3, s2
	s_cmp_eq_u32 s4, 0
	s_cselect_b32 s2, ttmp9, s3
	s_mov_b32 s3, 0
	s_load_u8 s8, s[0:1], s2 offset:0x6e0
	s_add_nc_u64 s[4:5], s[0:1], s[2:3]
	s_mul_u64 s[6:7], s[2:3], 3
	s_delay_alu instid0(SALU_CYCLE_1)
	s_add_nc_u64 s[4:5], s[4:5], s[6:7]
	s_load_b32 s10, s[4:5], 0x820
	s_wait_kmcnt 0x0
	s_clause 0x1
	s_load_b64 s[6:7], s[0:1], s8 offset:0x0 scale_offset
	s_load_b64 s[12:13], s[0:1], s8 offset:0x370 scale_offset
	s_ashr_i32 s11, s10, 31
	s_wait_kmcnt 0x0
	s_and_b64 s[4:5], s[6:7], 7
	s_and_b32 s2, s12, 3
	s_lshl_b64 s[8:9], s[10:11], 17
	s_or_b64 s[2:3], s[4:5], s[2:3]
	s_lshl_b64 s[4:5], s[10:11], 16
	s_cmp_eq_u64 s[2:3], 0
	s_sub_nc_u64 s[10:11], s[12:13], s[4:5]
	s_cbranch_scc1 .LBB152_21
; %bb.1:
	v_cmp_lt_i64_e64 s2, s[10:11], 1
	s_and_b32 vcc_lo, exec_lo, s2
	s_cbranch_vccnz .LBB152_20
; %bb.2:
	s_load_b32 s2, s[0:1], 0xd3c
	v_min_i64 v[2:3], 0x10000, s[10:11]
	v_min_u64 v[4:5], 0x10000, s[10:11]
	v_dual_mov_b32 v1, 0 :: v_dual_lshlrev_b32 v8, 1, v0
	s_mov_b32 s3, 0
	s_add_nc_u64 s[4:5], s[6:7], s[8:9]
	s_mov_b32 s23, s3
	s_delay_alu instid0(VALU_DEP_1) | instskip(SKIP_3) | instid1(VALU_DEP_1)
	v_dual_mov_b32 v9, v1 :: v_dual_mov_b32 v15, v1
	s_mov_b32 s25, s3
	s_mov_b64 s[12:13], 0
	s_mov_b32 s14, 0xbf317218
	v_add_nc_u64_e32 v[8:9], s[4:5], v[8:9]
	s_mov_b32 s17, s3
	s_mov_b32 s19, s3
	;; [unrolled: 1-line block ×6, first 2 shown]
	s_wait_kmcnt 0x0
	s_and_b32 s2, s2, 0xffff
	s_delay_alu instid0(SALU_CYCLE_1)
	v_add_nc_u64_e32 v[6:7], s[2:3], v[0:1]
	s_lshl_b32 s22, s2, 1
	s_mul_i32 s24, s2, 3
	v_add_nc_u64_e32 v[12:13], s[22:23], v[0:1]
	v_add_nc_u64_e32 v[10:11], s[24:25], v[0:1]
	s_lshl_b32 s16, s2, 2
	s_lshl_b32 s18, s2, 3
	v_lshlrev_b32_e32 v14, 1, v6
	s_mul_u64 s[20:21], s[2:3], 6
	s_mov_b32 s22, 0x3102e308
	s_mov_b32 s24, 0x395133b1
	s_delay_alu instid0(VALU_DEP_1)
	v_add_nc_u64_e32 v[14:15], s[4:5], v[14:15]
	s_branch .LBB152_4
.LBB152_3:                              ;   in Loop: Header=BB152_4 Depth=1
	s_wait_xcnt 0x0
	s_or_b32 exec_lo, exec_lo, s4
	s_add_nc_u64 s[12:13], s[12:13], s[16:17]
	v_add_nc_u64_e32 v[8:9], s[18:19], v[8:9]
	v_cmp_lt_i64_e32 vcc_lo, s[12:13], v[2:3]
	v_add_nc_u64_e32 v[14:15], s[18:19], v[14:15]
	s_cbranch_vccz .LBB152_20
.LBB152_4:                              ; =>This Inner Loop Header: Depth=1
	v_add_nc_u64_e32 v[16:17], s[12:13], v[0:1]
	v_mov_b32_e32 v23, 0
	s_delay_alu instid0(VALU_DEP_2)
	v_cmp_lt_u64_e64 s4, v[16:17], v[4:5]
	s_and_saveexec_b32 s2, s4
	s_cbranch_execz .LBB152_6
; %bb.5:                                ;   in Loop: Header=BB152_4 Depth=1
	global_load_u16 v16, v[8:9], off
	s_wait_loadcnt 0x0
	v_lshlrev_b32_e32 v23, 16, v16
.LBB152_6:                              ;   in Loop: Header=BB152_4 Depth=1
	s_wait_xcnt 0x0
	s_or_b32 exec_lo, exec_lo, s2
	v_add_nc_u64_e32 v[16:17], s[12:13], v[6:7]
	v_dual_mov_b32 v19, 0 :: v_dual_mov_b32 v22, 0
	s_delay_alu instid0(VALU_DEP_2)
	v_cmp_lt_u64_e64 s3, v[16:17], v[4:5]
	s_and_saveexec_b32 s2, s3
	s_cbranch_execz .LBB152_8
; %bb.7:                                ;   in Loop: Header=BB152_4 Depth=1
	global_load_u16 v16, v[14:15], off
	s_wait_loadcnt 0x0
	v_lshlrev_b32_e32 v22, 16, v16
.LBB152_8:                              ;   in Loop: Header=BB152_4 Depth=1
	s_wait_xcnt 0x0
	s_or_b32 exec_lo, exec_lo, s2
	v_add_nc_u64_e32 v[16:17], s[12:13], v[12:13]
	s_delay_alu instid0(VALU_DEP_1)
	v_cmp_lt_u64_e32 vcc_lo, v[16:17], v[4:5]
	v_add_nc_u64_e32 v[16:17], s[16:17], v[8:9]
	s_and_saveexec_b32 s2, vcc_lo
	s_cbranch_execz .LBB152_10
; %bb.9:                                ;   in Loop: Header=BB152_4 Depth=1
	global_load_u16 v18, v[16:17], off
	s_wait_loadcnt 0x0
	v_lshlrev_b32_e32 v19, 16, v18
.LBB152_10:                             ;   in Loop: Header=BB152_4 Depth=1
	s_wait_xcnt 0x0
	s_or_b32 exec_lo, exec_lo, s2
	v_add_nc_u64_e32 v[20:21], s[12:13], v[10:11]
	v_mov_b32_e32 v18, 0
	s_delay_alu instid0(VALU_DEP_2)
	v_cmp_lt_u64_e64 s2, v[20:21], v[4:5]
	v_add_nc_u64_e32 v[20:21], s[20:21], v[8:9]
	s_and_saveexec_b32 s5, s2
	s_cbranch_execnz .LBB152_18
; %bb.11:                               ;   in Loop: Header=BB152_4 Depth=1
	s_or_b32 exec_lo, exec_lo, s5
	s_and_saveexec_b32 s5, s4
	s_cbranch_execnz .LBB152_19
.LBB152_12:                             ;   in Loop: Header=BB152_4 Depth=1
	s_or_b32 exec_lo, exec_lo, s5
	s_and_saveexec_b32 s4, s3
	s_cbranch_execz .LBB152_14
.LBB152_13:                             ;   in Loop: Header=BB152_4 Depth=1
	v_mul_f32_e32 v23, 0x3fb8aa3b, v22
	s_delay_alu instid0(VALU_DEP_1) | instskip(NEXT) | instid1(VALU_DEP_1)
	v_rndne_f32_e32 v23, v23
	v_fmamk_f32 v24, v23, 0xbf317218, v22
	v_cvt_i32_f32_e32 v26, v23
	v_cmp_eq_f32_e64 s3, 0x43000000, v23
	s_delay_alu instid0(VALU_DEP_3) | instskip(NEXT) | instid1(VALU_DEP_3)
	v_fmac_f32_e32 v24, 0x3102e308, v23
	v_ldexp_f32 v26, 1.0, v26
	s_delay_alu instid0(VALU_DEP_2) | instskip(NEXT) | instid1(VALU_DEP_2)
	v_fmaak_f32 v25, s24, v24, 0x3ab69700
	v_cndmask_b32_e64 v23, v26, 0x7f000000, s3
	s_delay_alu instid0(VALU_DEP_2) | instskip(NEXT) | instid1(VALU_DEP_1)
	v_fmaak_f32 v25, v24, v25, 0x3c0887f9
	v_fmaak_f32 v25, v24, v25, 0x3d2aaa81
	s_delay_alu instid0(VALU_DEP_1) | instskip(NEXT) | instid1(VALU_DEP_1)
	v_fmaak_f32 v25, v24, v25, 0x3e2aaaab
	v_fma_f32 v25, v24, v25, 0.5
	s_delay_alu instid0(VALU_DEP_1) | instskip(NEXT) | instid1(VALU_DEP_1)
	v_mul_f32_e32 v25, v24, v25
	v_dual_fmac_f32 v24, v24, v25 :: v_dual_add_f32 v25, -1.0, v23
	s_delay_alu instid0(VALU_DEP_1) | instskip(NEXT) | instid1(VALU_DEP_1)
	v_fmac_f32_e32 v25, v23, v24
	v_add_f32_e32 v23, v25, v25
	s_delay_alu instid0(VALU_DEP_1) | instskip(SKIP_1) | instid1(VALU_DEP_1)
	v_cndmask_b32_e64 v23, v25, v23, s3
	v_cmp_nlt_f32_e64 s3, 0x42b17217, v22
	v_cndmask_b32_e64 v23, 0x7f800000, v23, s3
	v_cmp_ngt_f32_e64 s3, 0xc1880000, v22
	s_delay_alu instid0(VALU_DEP_1) | instskip(NEXT) | instid1(VALU_DEP_1)
	v_cndmask_b32_e64 v22, -1.0, v23, s3
	v_bfe_u32 v23, v22, 16, 1
	v_cmp_o_f32_e64 s3, v22, v22
	s_delay_alu instid0(VALU_DEP_2) | instskip(NEXT) | instid1(VALU_DEP_1)
	v_add3_u32 v23, v22, v23, 0x7fff
	v_lshrrev_b32_e32 v23, 16, v23
	s_delay_alu instid0(VALU_DEP_1)
	v_cndmask_b32_e64 v22, 0x7fc0, v23, s3
	global_store_b16 v[14:15], v22, off
.LBB152_14:                             ;   in Loop: Header=BB152_4 Depth=1
	s_wait_xcnt 0x0
	s_or_b32 exec_lo, exec_lo, s4
	v_mul_f32_e32 v22, 0x3fb8aa3b, v19
	v_mul_f32_e32 v24, 0x3fb8aa3b, v18
	s_delay_alu instid0(VALU_DEP_2) | instskip(NEXT) | instid1(VALU_DEP_2)
	v_rndne_f32_e32 v23, v22
	v_rndne_f32_e32 v22, v24
	s_delay_alu instid0(VALU_DEP_2) | instskip(NEXT) | instid1(VALU_DEP_2)
	v_cvt_i32_f32_e32 v28, v23
	v_pk_fma_f32 v[24:25], v[22:23], s[14:15], v[18:19] op_sel_hi:[1,0,1]
	v_cvt_i32_f32_e32 v29, v22
	v_cmp_eq_f32_e64 s3, 0x43000000, v23
	v_cmp_eq_f32_e64 s4, 0x43000000, v22
	v_ldexp_f32 v28, 1.0, v28
	v_pk_fma_f32 v[24:25], v[22:23], s[22:23], v[24:25] op_sel_hi:[1,0,1]
	v_ldexp_f32 v29, 1.0, v29
	s_delay_alu instid0(VALU_DEP_3) | instskip(NEXT) | instid1(VALU_DEP_3)
	v_cndmask_b32_e64 v23, v28, 0x7f000000, s3
	v_pk_fma_f32 v[26:27], v[24:25], s[24:25], s[26:27] op_sel_hi:[1,0,0]
	s_delay_alu instid0(VALU_DEP_3) | instskip(NEXT) | instid1(VALU_DEP_2)
	v_cndmask_b32_e64 v22, v29, 0x7f000000, s4
	v_pk_fma_f32 v[26:27], v[24:25], v[26:27], s[28:29] op_sel_hi:[1,1,0]
	s_delay_alu instid0(VALU_DEP_2) | instskip(NEXT) | instid1(VALU_DEP_2)
	v_pk_add_f32 v[28:29], v[22:23], -1.0 op_sel_hi:[1,0]
	v_pk_fma_f32 v[26:27], v[24:25], v[26:27], s[30:31] op_sel_hi:[1,1,0]
	s_delay_alu instid0(VALU_DEP_1) | instskip(NEXT) | instid1(VALU_DEP_1)
	v_pk_fma_f32 v[26:27], v[24:25], v[26:27], s[34:35] op_sel_hi:[1,1,0]
	v_pk_fma_f32 v[26:27], v[24:25], v[26:27], 0.5 op_sel_hi:[1,1,0]
	s_delay_alu instid0(VALU_DEP_1) | instskip(NEXT) | instid1(VALU_DEP_1)
	v_pk_mul_f32 v[26:27], v[24:25], v[26:27]
	v_pk_fma_f32 v[24:25], v[24:25], v[26:27], v[24:25]
	s_delay_alu instid0(VALU_DEP_1) | instskip(NEXT) | instid1(VALU_DEP_1)
	v_pk_fma_f32 v[22:23], v[22:23], v[24:25], v[28:29]
	v_pk_add_f32 v[24:25], v[22:23], v[22:23]
	s_delay_alu instid0(VALU_DEP_1) | instskip(SKIP_1) | instid1(VALU_DEP_1)
	v_dual_cndmask_b32 v23, v23, v25, s3 :: v_dual_cndmask_b32 v22, v22, v24, s4
	v_cmp_nlt_f32_e64 s3, 0x42b17217, v19
	v_cndmask_b32_e64 v23, 0x7f800000, v23, s3
	v_cmp_nlt_f32_e64 s3, 0x42b17217, v18
	s_delay_alu instid0(VALU_DEP_1) | instskip(SKIP_1) | instid1(VALU_DEP_1)
	v_cndmask_b32_e64 v22, 0x7f800000, v22, s3
	v_cmp_ngt_f32_e64 s3, 0xc1880000, v19
	v_cndmask_b32_e64 v19, -1.0, v23, s3
	v_cmp_ngt_f32_e64 s3, 0xc1880000, v18
	s_delay_alu instid0(VALU_DEP_1) | instskip(NEXT) | instid1(VALU_DEP_3)
	v_cndmask_b32_e64 v18, -1.0, v22, s3
	v_cmp_u_f32_e64 s4, v19, v19
	s_delay_alu instid0(VALU_DEP_2)
	v_cmp_u_f32_e64 s3, v18, v18
	s_and_saveexec_b32 s5, vcc_lo
	s_cbranch_execz .LBB152_16
; %bb.15:                               ;   in Loop: Header=BB152_4 Depth=1
	v_bfe_u32 v22, v19, 16, 1
	s_delay_alu instid0(VALU_DEP_1) | instskip(NEXT) | instid1(VALU_DEP_1)
	v_add3_u32 v19, v19, v22, 0x7fff
	v_lshrrev_b32_e32 v19, 16, v19
	s_delay_alu instid0(VALU_DEP_1)
	v_cndmask_b32_e64 v19, v19, 0x7fc0, s4
	global_store_b16 v[16:17], v19, off
.LBB152_16:                             ;   in Loop: Header=BB152_4 Depth=1
	s_wait_xcnt 0x0
	s_or_b32 exec_lo, exec_lo, s5
	s_and_saveexec_b32 s4, s2
	s_cbranch_execz .LBB152_3
; %bb.17:                               ;   in Loop: Header=BB152_4 Depth=1
	v_bfe_u32 v16, v18, 16, 1
	s_delay_alu instid0(VALU_DEP_1) | instskip(NEXT) | instid1(VALU_DEP_1)
	v_add3_u32 v16, v18, v16, 0x7fff
	v_lshrrev_b32_e32 v16, 16, v16
	s_delay_alu instid0(VALU_DEP_1)
	v_cndmask_b32_e64 v16, v16, 0x7fc0, s3
	global_store_b16 v[20:21], v16, off
	s_branch .LBB152_3
.LBB152_18:                             ;   in Loop: Header=BB152_4 Depth=1
	global_load_u16 v18, v[20:21], off
	s_wait_loadcnt 0x0
	v_lshlrev_b32_e32 v18, 16, v18
	s_wait_xcnt 0x0
	s_or_b32 exec_lo, exec_lo, s5
	s_and_saveexec_b32 s5, s4
	s_cbranch_execz .LBB152_12
.LBB152_19:                             ;   in Loop: Header=BB152_4 Depth=1
	v_mul_f32_e32 v24, 0x3fb8aa3b, v23
	s_delay_alu instid0(VALU_DEP_1) | instskip(NEXT) | instid1(VALU_DEP_1)
	v_rndne_f32_e32 v24, v24
	v_fmamk_f32 v25, v24, 0xbf317218, v23
	v_cvt_i32_f32_e32 v27, v24
	v_cmp_eq_f32_e64 s4, 0x43000000, v24
	s_delay_alu instid0(VALU_DEP_3) | instskip(NEXT) | instid1(VALU_DEP_3)
	v_fmac_f32_e32 v25, 0x3102e308, v24
	v_ldexp_f32 v27, 1.0, v27
	s_delay_alu instid0(VALU_DEP_2) | instskip(NEXT) | instid1(VALU_DEP_2)
	v_fmaak_f32 v26, s24, v25, 0x3ab69700
	v_cndmask_b32_e64 v24, v27, 0x7f000000, s4
	s_delay_alu instid0(VALU_DEP_2) | instskip(NEXT) | instid1(VALU_DEP_1)
	v_fmaak_f32 v26, v25, v26, 0x3c0887f9
	v_fmaak_f32 v26, v25, v26, 0x3d2aaa81
	s_delay_alu instid0(VALU_DEP_1) | instskip(NEXT) | instid1(VALU_DEP_1)
	v_fmaak_f32 v26, v25, v26, 0x3e2aaaab
	v_fma_f32 v26, v25, v26, 0.5
	s_delay_alu instid0(VALU_DEP_1) | instskip(NEXT) | instid1(VALU_DEP_1)
	v_mul_f32_e32 v26, v25, v26
	v_dual_fmac_f32 v25, v25, v26 :: v_dual_add_f32 v26, -1.0, v24
	s_delay_alu instid0(VALU_DEP_1) | instskip(NEXT) | instid1(VALU_DEP_1)
	v_fmac_f32_e32 v26, v24, v25
	v_add_f32_e32 v24, v26, v26
	s_delay_alu instid0(VALU_DEP_1) | instskip(SKIP_1) | instid1(VALU_DEP_1)
	v_cndmask_b32_e64 v24, v26, v24, s4
	v_cmp_nlt_f32_e64 s4, 0x42b17217, v23
	v_cndmask_b32_e64 v24, 0x7f800000, v24, s4
	v_cmp_ngt_f32_e64 s4, 0xc1880000, v23
	s_delay_alu instid0(VALU_DEP_1) | instskip(NEXT) | instid1(VALU_DEP_1)
	v_cndmask_b32_e64 v23, -1.0, v24, s4
	v_bfe_u32 v24, v23, 16, 1
	v_cmp_o_f32_e64 s4, v23, v23
	s_delay_alu instid0(VALU_DEP_2) | instskip(NEXT) | instid1(VALU_DEP_1)
	v_add3_u32 v24, v23, v24, 0x7fff
	v_lshrrev_b32_e32 v24, 16, v24
	s_delay_alu instid0(VALU_DEP_1)
	v_cndmask_b32_e64 v23, 0x7fc0, v24, s4
	global_store_b16 v[8:9], v23, off
	s_wait_xcnt 0x0
	s_or_b32 exec_lo, exec_lo, s5
	s_and_saveexec_b32 s4, s3
	s_cbranch_execnz .LBB152_13
	s_branch .LBB152_14
.LBB152_20:
	s_cbranch_execz .LBB152_22
	s_branch .LBB152_25
.LBB152_21:
.LBB152_22:
	v_min_i64 v[2:3], 0x10000, s[10:11]
	v_dual_mov_b32 v5, 0 :: v_dual_lshlrev_b32 v4, 2, v0
	s_mov_b32 s2, exec_lo
	s_delay_alu instid0(VALU_DEP_1)
	v_cmpx_lt_i64_e64 v[4:5], v[2:3]
	s_cbranch_execz .LBB152_25
; %bb.23:
	s_load_b32 s2, s[0:1], 0xd3c
	v_dual_mov_b32 v1, v5 :: v_dual_lshlrev_b32 v4, 3, v0
	s_wait_xcnt 0x0
	s_add_nc_u64 s[0:1], s[6:7], s[8:9]
	s_mov_b32 s5, 0
	s_mov_b32 s6, 0xbf317218
	;; [unrolled: 1-line block ×3, first 2 shown]
	v_add_nc_u64_e32 v[4:5], s[0:1], v[4:5]
	s_mov_b32 s10, 0x3ab69700
	s_mov_b32 s12, 0x395133b1
	;; [unrolled: 1-line block ×7, first 2 shown]
	s_wait_kmcnt 0x0
	s_and_b32 s4, s2, 0xffff
	s_delay_alu instid0(SALU_CYCLE_1)
	s_lshl_b32 s20, s4, 3
.LBB152_24:                             ; =>This Inner Loop Header: Depth=1
	global_load_b64 v[6:7], v[4:5], off
	v_add_nc_u64_e32 v[0:1], s[4:5], v[0:1]
	s_wait_loadcnt 0x0
	v_alignbit_b32 v10, v7, v6, 16
	v_and_b32_e32 v7, 0xffff0000, v7
	v_and_b32_e32 v9, 0xffff0000, v6
	v_lshlrev_b32_e32 v8, 16, v6
	s_delay_alu instid0(VALU_DEP_4) | instskip(NEXT) | instid1(VALU_DEP_3)
	v_and_b32_e32 v6, 0xffff0000, v10
	v_dual_mul_f32 v12, 0x3fb8aa3b, v7 :: v_dual_mul_f32 v11, 0x3fb8aa3b, v9
	s_delay_alu instid0(VALU_DEP_2) | instskip(NEXT) | instid1(VALU_DEP_2)
	v_mul_f32_e32 v14, 0x3fb8aa3b, v6
	v_rndne_f32_e32 v13, v12
	s_delay_alu instid0(VALU_DEP_3) | instskip(NEXT) | instid1(VALU_DEP_3)
	v_rndne_f32_e32 v11, v11
	v_rndne_f32_e32 v12, v14
	s_delay_alu instid0(VALU_DEP_3) | instskip(SKIP_1) | instid1(VALU_DEP_4)
	v_cmp_eq_f32_e32 vcc_lo, 0x43000000, v13
	v_mul_f32_e32 v10, 0x3fb8aa3b, v8
	v_cvt_i32_f32_e32 v23, v11
	v_cvt_i32_f32_e32 v24, v13
	v_pk_fma_f32 v[16:17], v[12:13], s[6:7], v[6:7] op_sel_hi:[1,0,1]
	v_cvt_i32_f32_e32 v25, v12
	v_rndne_f32_e32 v10, v10
	v_ldexp_f32 v23, 1.0, v23
	v_ldexp_f32 v24, 1.0, v24
	v_pk_fma_f32 v[16:17], v[12:13], s[8:9], v[16:17] op_sel_hi:[1,0,1]
	v_ldexp_f32 v25, 1.0, v25
	v_pk_fma_f32 v[14:15], v[10:11], s[6:7], v[8:9] op_sel_hi:[1,0,1]
	v_cvt_i32_f32_e32 v22, v10
	v_cmp_eq_f32_e64 s0, 0x43000000, v11
	v_pk_fma_f32 v[20:21], v[16:17], s[12:13], s[10:11] op_sel_hi:[1,0,0]
	v_cmp_eq_f32_e64 s1, 0x43000000, v10
	v_pk_fma_f32 v[14:15], v[10:11], s[8:9], v[14:15] op_sel_hi:[1,0,1]
	v_ldexp_f32 v22, 1.0, v22
	v_cmp_eq_f32_e64 s2, 0x43000000, v12
	v_pk_fma_f32 v[20:21], v[16:17], v[20:21], s[14:15] op_sel_hi:[1,1,0]
	v_cndmask_b32_e64 v13, v24, 0x7f000000, vcc_lo
	v_pk_fma_f32 v[18:19], v[14:15], s[12:13], s[10:11] op_sel_hi:[1,0,0]
	v_cndmask_b32_e64 v11, v23, 0x7f000000, s0
	v_cndmask_b32_e64 v10, v22, 0x7f000000, s1
	v_pk_fma_f32 v[20:21], v[16:17], v[20:21], s[16:17] op_sel_hi:[1,1,0]
	v_cndmask_b32_e64 v12, v25, 0x7f000000, s2
	v_pk_fma_f32 v[18:19], v[14:15], v[18:19], s[14:15] op_sel_hi:[1,1,0]
	s_delay_alu instid0(VALU_DEP_4) | instskip(NEXT) | instid1(VALU_DEP_4)
	v_pk_add_f32 v[22:23], v[10:11], -1.0 op_sel_hi:[1,0]
	v_pk_fma_f32 v[20:21], v[16:17], v[20:21], s[18:19] op_sel_hi:[1,1,0]
	s_delay_alu instid0(VALU_DEP_3) | instskip(NEXT) | instid1(VALU_DEP_2)
	v_pk_fma_f32 v[18:19], v[14:15], v[18:19], s[16:17] op_sel_hi:[1,1,0]
	v_pk_fma_f32 v[20:21], v[16:17], v[20:21], 0.5 op_sel_hi:[1,1,0]
	s_delay_alu instid0(VALU_DEP_2) | instskip(NEXT) | instid1(VALU_DEP_2)
	v_pk_fma_f32 v[18:19], v[14:15], v[18:19], s[18:19] op_sel_hi:[1,1,0]
	v_pk_mul_f32 v[20:21], v[16:17], v[20:21]
	s_delay_alu instid0(VALU_DEP_2) | instskip(NEXT) | instid1(VALU_DEP_2)
	v_pk_fma_f32 v[18:19], v[14:15], v[18:19], 0.5 op_sel_hi:[1,1,0]
	v_pk_fma_f32 v[16:17], v[16:17], v[20:21], v[16:17]
	s_delay_alu instid0(VALU_DEP_2) | instskip(NEXT) | instid1(VALU_DEP_1)
	v_pk_mul_f32 v[18:19], v[14:15], v[18:19]
	v_pk_fma_f32 v[14:15], v[14:15], v[18:19], v[14:15]
	v_pk_add_f32 v[18:19], v[12:13], -1.0 op_sel_hi:[1,0]
	s_delay_alu instid0(VALU_DEP_2) | instskip(NEXT) | instid1(VALU_DEP_2)
	v_pk_fma_f32 v[10:11], v[10:11], v[14:15], v[22:23]
	v_pk_fma_f32 v[12:13], v[12:13], v[16:17], v[18:19]
	s_delay_alu instid0(VALU_DEP_2) | instskip(NEXT) | instid1(VALU_DEP_2)
	v_pk_add_f32 v[14:15], v[10:11], v[10:11]
	v_pk_add_f32 v[16:17], v[12:13], v[12:13]
	s_delay_alu instid0(VALU_DEP_2) | instskip(NEXT) | instid1(VALU_DEP_2)
	v_dual_cndmask_b32 v11, v11, v15, s0 :: v_dual_cndmask_b32 v10, v10, v14, s1
	v_cndmask_b32_e32 v13, v13, v17, vcc_lo
	v_cmp_nlt_f32_e32 vcc_lo, 0x42b17217, v9
	s_delay_alu instid0(VALU_DEP_3)
	v_cndmask_b32_e32 v11, 0x7f800000, v11, vcc_lo
	v_cmp_nlt_f32_e32 vcc_lo, 0x42b17217, v8
	v_cndmask_b32_e32 v10, 0x7f800000, v10, vcc_lo
	v_cmp_nlt_f32_e32 vcc_lo, 0x42b17217, v7
	v_cndmask_b32_e64 v12, v12, v16, s2
	v_cndmask_b32_e32 v13, 0x7f800000, v13, vcc_lo
	v_cmp_nlt_f32_e32 vcc_lo, 0x42b17217, v6
	s_delay_alu instid0(VALU_DEP_3) | instskip(SKIP_3) | instid1(VALU_DEP_2)
	v_cndmask_b32_e32 v12, 0x7f800000, v12, vcc_lo
	v_cmp_ngt_f32_e32 vcc_lo, 0xc1880000, v8
	v_cndmask_b32_e32 v8, -1.0, v10, vcc_lo
	v_cmp_ngt_f32_e32 vcc_lo, 0xc1880000, v9
	v_dual_cndmask_b32 v9, -1.0, v11 :: v_dual_lshrrev_b32 v10, 16, v8
	v_cmp_ngt_f32_e32 vcc_lo, 0xc1880000, v6
	s_delay_alu instid0(VALU_DEP_2) | instskip(SKIP_1) | instid1(VALU_DEP_2)
	v_dual_cndmask_b32 v6, -1.0, v12, vcc_lo :: v_dual_lshrrev_b32 v12, 16, v9
	v_cmp_ngt_f32_e32 vcc_lo, 0xc1880000, v7
	v_dual_lshrrev_b32 v11, 16, v6 :: v_dual_bitop2_b32 v12, 1, v12 bitop3:0x40
	s_delay_alu instid0(VALU_DEP_1) | instskip(NEXT) | instid1(VALU_DEP_2)
	v_and_b32_e32 v11, 1, v11
	v_add3_u32 v12, v9, v12, 0x7fff
	s_delay_alu instid0(VALU_DEP_2) | instskip(SKIP_1) | instid1(VALU_DEP_3)
	v_add3_u32 v11, v6, v11, 0x7fff
	v_and_b32_e32 v10, 1, v10
	v_and_b32_e32 v12, 0xffff0000, v12
	s_delay_alu instid0(VALU_DEP_3) | instskip(NEXT) | instid1(VALU_DEP_3)
	v_lshrrev_b32_e32 v11, 16, v11
	v_add3_u32 v10, v8, v10, 0x7fff
	s_delay_alu instid0(VALU_DEP_1) | instskip(SKIP_1) | instid1(VALU_DEP_2)
	v_dual_cndmask_b32 v7, -1.0, v13 :: v_dual_lshrrev_b32 v10, 16, v10
	v_cmp_o_f32_e32 vcc_lo, v8, v8
	v_dual_cndmask_b32 v8, 0x7fc0, v10 :: v_dual_lshrrev_b32 v13, 16, v7
	v_cmp_o_f32_e32 vcc_lo, v9, v9
	v_and_b32_e32 v10, 0xffff, v11
	s_delay_alu instid0(VALU_DEP_3) | instskip(SKIP_2) | instid1(VALU_DEP_3)
	v_and_b32_e32 v13, 1, v13
	v_cndmask_b32_e32 v9, 0x7fc00000, v12, vcc_lo
	v_cmp_o_f32_e32 vcc_lo, v7, v7
	v_add3_u32 v13, v7, v13, 0x7fff
	s_delay_alu instid0(VALU_DEP_3) | instskip(NEXT) | instid1(VALU_DEP_2)
	v_or3_b32 v8, v8, 0, v9
	v_and_b32_e32 v13, 0xffff0000, v13
	s_delay_alu instid0(VALU_DEP_1) | instskip(SKIP_3) | instid1(VALU_DEP_2)
	v_cndmask_b32_e32 v11, 0x7fc00000, v13, vcc_lo
	v_cmp_o_f32_e32 vcc_lo, v6, v6
	v_lshlrev_b64_e32 v[6:7], 2, v[0:1]
	v_cndmask_b32_e32 v10, 0x7fc0, v10, vcc_lo
	v_cmp_ge_i64_e32 vcc_lo, v[6:7], v[2:3]
	s_delay_alu instid0(VALU_DEP_2) | instskip(SKIP_4) | instid1(SALU_CYCLE_1)
	v_or3_b32 v9, 0, v10, v11
	global_store_b64 v[4:5], v[8:9], off
	s_wait_xcnt 0x0
	v_add_nc_u64_e32 v[4:5], s[20:21], v[4:5]
	s_or_b32 s3, vcc_lo, s3
	s_and_not1_b32 exec_lo, exec_lo, s3
	s_cbranch_execnz .LBB152_24
.LBB152_25:
	s_endpgm
	.section	.rodata,"a",@progbits
	.p2align	6, 0x0
	.amdhsa_kernel _ZN2at6native12_GLOBAL__N_125multi_tensor_apply_kernelINS1_18TensorListMetadataILi1EEENS1_14UnaryOpFunctorIN3c108BFloat16ELi1ELi1ELi0EEEJNS0_5Expm1IfEEEEEvT_T0_DpT1_
		.amdhsa_group_segment_fixed_size 0
		.amdhsa_private_segment_fixed_size 0
		.amdhsa_kernarg_size 3632
		.amdhsa_user_sgpr_count 2
		.amdhsa_user_sgpr_dispatch_ptr 0
		.amdhsa_user_sgpr_queue_ptr 0
		.amdhsa_user_sgpr_kernarg_segment_ptr 1
		.amdhsa_user_sgpr_dispatch_id 0
		.amdhsa_user_sgpr_kernarg_preload_length 0
		.amdhsa_user_sgpr_kernarg_preload_offset 0
		.amdhsa_user_sgpr_private_segment_size 0
		.amdhsa_wavefront_size32 1
		.amdhsa_uses_dynamic_stack 0
		.amdhsa_enable_private_segment 0
		.amdhsa_system_sgpr_workgroup_id_x 1
		.amdhsa_system_sgpr_workgroup_id_y 0
		.amdhsa_system_sgpr_workgroup_id_z 0
		.amdhsa_system_sgpr_workgroup_info 0
		.amdhsa_system_vgpr_workitem_id 0
		.amdhsa_next_free_vgpr 30
		.amdhsa_next_free_sgpr 36
		.amdhsa_named_barrier_count 0
		.amdhsa_reserve_vcc 1
		.amdhsa_float_round_mode_32 0
		.amdhsa_float_round_mode_16_64 0
		.amdhsa_float_denorm_mode_32 3
		.amdhsa_float_denorm_mode_16_64 3
		.amdhsa_fp16_overflow 0
		.amdhsa_memory_ordered 1
		.amdhsa_forward_progress 1
		.amdhsa_inst_pref_size 22
		.amdhsa_round_robin_scheduling 0
		.amdhsa_exception_fp_ieee_invalid_op 0
		.amdhsa_exception_fp_denorm_src 0
		.amdhsa_exception_fp_ieee_div_zero 0
		.amdhsa_exception_fp_ieee_overflow 0
		.amdhsa_exception_fp_ieee_underflow 0
		.amdhsa_exception_fp_ieee_inexact 0
		.amdhsa_exception_int_div_zero 0
	.end_amdhsa_kernel
	.section	.text._ZN2at6native12_GLOBAL__N_125multi_tensor_apply_kernelINS1_18TensorListMetadataILi1EEENS1_14UnaryOpFunctorIN3c108BFloat16ELi1ELi1ELi0EEEJNS0_5Expm1IfEEEEEvT_T0_DpT1_,"axG",@progbits,_ZN2at6native12_GLOBAL__N_125multi_tensor_apply_kernelINS1_18TensorListMetadataILi1EEENS1_14UnaryOpFunctorIN3c108BFloat16ELi1ELi1ELi0EEEJNS0_5Expm1IfEEEEEvT_T0_DpT1_,comdat
.Lfunc_end152:
	.size	_ZN2at6native12_GLOBAL__N_125multi_tensor_apply_kernelINS1_18TensorListMetadataILi1EEENS1_14UnaryOpFunctorIN3c108BFloat16ELi1ELi1ELi0EEEJNS0_5Expm1IfEEEEEvT_T0_DpT1_, .Lfunc_end152-_ZN2at6native12_GLOBAL__N_125multi_tensor_apply_kernelINS1_18TensorListMetadataILi1EEENS1_14UnaryOpFunctorIN3c108BFloat16ELi1ELi1ELi0EEEJNS0_5Expm1IfEEEEEvT_T0_DpT1_
                                        ; -- End function
	.set _ZN2at6native12_GLOBAL__N_125multi_tensor_apply_kernelINS1_18TensorListMetadataILi1EEENS1_14UnaryOpFunctorIN3c108BFloat16ELi1ELi1ELi0EEEJNS0_5Expm1IfEEEEEvT_T0_DpT1_.num_vgpr, 30
	.set _ZN2at6native12_GLOBAL__N_125multi_tensor_apply_kernelINS1_18TensorListMetadataILi1EEENS1_14UnaryOpFunctorIN3c108BFloat16ELi1ELi1ELi0EEEJNS0_5Expm1IfEEEEEvT_T0_DpT1_.num_agpr, 0
	.set _ZN2at6native12_GLOBAL__N_125multi_tensor_apply_kernelINS1_18TensorListMetadataILi1EEENS1_14UnaryOpFunctorIN3c108BFloat16ELi1ELi1ELi0EEEJNS0_5Expm1IfEEEEEvT_T0_DpT1_.numbered_sgpr, 36
	.set _ZN2at6native12_GLOBAL__N_125multi_tensor_apply_kernelINS1_18TensorListMetadataILi1EEENS1_14UnaryOpFunctorIN3c108BFloat16ELi1ELi1ELi0EEEJNS0_5Expm1IfEEEEEvT_T0_DpT1_.num_named_barrier, 0
	.set _ZN2at6native12_GLOBAL__N_125multi_tensor_apply_kernelINS1_18TensorListMetadataILi1EEENS1_14UnaryOpFunctorIN3c108BFloat16ELi1ELi1ELi0EEEJNS0_5Expm1IfEEEEEvT_T0_DpT1_.private_seg_size, 0
	.set _ZN2at6native12_GLOBAL__N_125multi_tensor_apply_kernelINS1_18TensorListMetadataILi1EEENS1_14UnaryOpFunctorIN3c108BFloat16ELi1ELi1ELi0EEEJNS0_5Expm1IfEEEEEvT_T0_DpT1_.uses_vcc, 1
	.set _ZN2at6native12_GLOBAL__N_125multi_tensor_apply_kernelINS1_18TensorListMetadataILi1EEENS1_14UnaryOpFunctorIN3c108BFloat16ELi1ELi1ELi0EEEJNS0_5Expm1IfEEEEEvT_T0_DpT1_.uses_flat_scratch, 0
	.set _ZN2at6native12_GLOBAL__N_125multi_tensor_apply_kernelINS1_18TensorListMetadataILi1EEENS1_14UnaryOpFunctorIN3c108BFloat16ELi1ELi1ELi0EEEJNS0_5Expm1IfEEEEEvT_T0_DpT1_.has_dyn_sized_stack, 0
	.set _ZN2at6native12_GLOBAL__N_125multi_tensor_apply_kernelINS1_18TensorListMetadataILi1EEENS1_14UnaryOpFunctorIN3c108BFloat16ELi1ELi1ELi0EEEJNS0_5Expm1IfEEEEEvT_T0_DpT1_.has_recursion, 0
	.set _ZN2at6native12_GLOBAL__N_125multi_tensor_apply_kernelINS1_18TensorListMetadataILi1EEENS1_14UnaryOpFunctorIN3c108BFloat16ELi1ELi1ELi0EEEJNS0_5Expm1IfEEEEEvT_T0_DpT1_.has_indirect_call, 0
	.section	.AMDGPU.csdata,"",@progbits
; Kernel info:
; codeLenInByte = 2780
; TotalNumSgprs: 38
; NumVgprs: 30
; ScratchSize: 0
; MemoryBound: 0
; FloatMode: 240
; IeeeMode: 1
; LDSByteSize: 0 bytes/workgroup (compile time only)
; SGPRBlocks: 0
; VGPRBlocks: 1
; NumSGPRsForWavesPerEU: 38
; NumVGPRsForWavesPerEU: 30
; NamedBarCnt: 0
; Occupancy: 16
; WaveLimiterHint : 0
; COMPUTE_PGM_RSRC2:SCRATCH_EN: 0
; COMPUTE_PGM_RSRC2:USER_SGPR: 2
; COMPUTE_PGM_RSRC2:TRAP_HANDLER: 0
; COMPUTE_PGM_RSRC2:TGID_X_EN: 1
; COMPUTE_PGM_RSRC2:TGID_Y_EN: 0
; COMPUTE_PGM_RSRC2:TGID_Z_EN: 0
; COMPUTE_PGM_RSRC2:TIDIG_COMP_CNT: 0
	.section	.text._ZN2at6native12_GLOBAL__N_125multi_tensor_apply_kernelINS1_18TensorListMetadataILi2EEENS1_14UnaryOpFunctorIdLi2ELi1ELi1EEEJNS0_4TanhIdEEEEEvT_T0_DpT1_,"axG",@progbits,_ZN2at6native12_GLOBAL__N_125multi_tensor_apply_kernelINS1_18TensorListMetadataILi2EEENS1_14UnaryOpFunctorIdLi2ELi1ELi1EEEJNS0_4TanhIdEEEEEvT_T0_DpT1_,comdat
	.globl	_ZN2at6native12_GLOBAL__N_125multi_tensor_apply_kernelINS1_18TensorListMetadataILi2EEENS1_14UnaryOpFunctorIdLi2ELi1ELi1EEEJNS0_4TanhIdEEEEEvT_T0_DpT1_ ; -- Begin function _ZN2at6native12_GLOBAL__N_125multi_tensor_apply_kernelINS1_18TensorListMetadataILi2EEENS1_14UnaryOpFunctorIdLi2ELi1ELi1EEEJNS0_4TanhIdEEEEEvT_T0_DpT1_
	.p2align	8
	.type	_ZN2at6native12_GLOBAL__N_125multi_tensor_apply_kernelINS1_18TensorListMetadataILi2EEENS1_14UnaryOpFunctorIdLi2ELi1ELi1EEEJNS0_4TanhIdEEEEEvT_T0_DpT1_,@function
_ZN2at6native12_GLOBAL__N_125multi_tensor_apply_kernelINS1_18TensorListMetadataILi2EEENS1_14UnaryOpFunctorIdLi2ELi1ELi1EEEJNS0_4TanhIdEEEEEvT_T0_DpT1_: ; @_ZN2at6native12_GLOBAL__N_125multi_tensor_apply_kernelINS1_18TensorListMetadataILi2EEENS1_14UnaryOpFunctorIdLi2ELi1ELi1EEEJNS0_4TanhIdEEEEEvT_T0_DpT1_
; %bb.0:
	s_bfe_u32 s2, ttmp6, 0x4000c
	s_and_b32 s3, ttmp6, 15
	s_add_co_i32 s2, s2, 1
	s_getreg_b32 s4, hwreg(HW_REG_IB_STS2, 6, 4)
	s_mul_i32 s2, ttmp9, s2
	s_mov_b32 s9, 0
	s_add_co_i32 s3, s3, s2
	s_cmp_eq_u32 s4, 0
	s_mov_b32 s15, s9
	s_cselect_b32 s8, ttmp9, s3
	s_load_u8 s11, s[0:1], s8 offset:0x600
	s_add_nc_u64 s[2:3], s[0:1], s[8:9]
	s_mul_u64 s[4:5], s[8:9], 3
	s_delay_alu instid0(SALU_CYCLE_1)
	s_add_nc_u64 s[4:5], s[2:3], s[4:5]
	s_load_b32 s10, s[4:5], 0x740
	s_wait_kmcnt 0x0
	s_clause 0x2
	s_load_b64 s[2:3], s[0:1], s11 offset:0x0 scale_offset
	s_load_b64 s[6:7], s[0:1], s11 offset:0x200 scale_offset
	;; [unrolled: 1-line block ×3, first 2 shown]
	s_wait_xcnt 0x0
	s_ashr_i32 s11, s10, 31
	s_delay_alu instid0(SALU_CYCLE_1)
	s_lshl_b64 s[4:5], s[10:11], 19
	s_wait_kmcnt 0x0
	s_and_b64 s[18:19], s[6:7], 31
	s_add_nc_u64 s[16:17], s[2:3], s[4:5]
	s_and_b32 s14, s12, 3
	s_and_b32 s8, s16, 31
	s_or_b64 s[14:15], s[18:19], s[14:15]
	s_lshl_b64 s[10:11], s[10:11], 16
	s_or_b64 s[14:15], s[14:15], s[8:9]
	s_sub_nc_u64 s[8:9], s[12:13], s[10:11]
	s_cmp_eq_u64 s[14:15], 0
	s_mov_b32 s10, -1
	s_cbranch_scc0 .LBB153_5
; %bb.1:
	v_min_i64 v[10:11], 0x10000, s[8:9]
	v_dual_mov_b32 v3, 0 :: v_dual_lshlrev_b32 v2, 2, v0
	s_mov_b32 s18, exec_lo
	s_delay_alu instid0(VALU_DEP_1)
	v_cmpx_lt_i64_e64 v[2:3], v[10:11]
	s_cbranch_execz .LBB153_4
; %bb.2:
	s_load_b32 s10, s[0:1], 0xc5c
	v_dual_mov_b32 v1, v3 :: v_dual_lshlrev_b32 v2, 5, v0
	v_mov_b64_e32 v[12:13], 0x3e928af3fca7ab0c
	s_mov_b32 s11, 0
	s_mov_b64 s[12:13], 0x3ff71547652b82fe
	s_delay_alu instid0(VALU_DEP_2)
	v_mov_b64_e32 v[16:17], v[0:1]
	v_add_nc_u64_e32 v[14:15], s[4:5], v[2:3]
	s_mov_b64 s[14:15], 0xbfe62e42fefa3000
	s_mov_b32 s17, s11
	s_mov_b32 s19, s11
                                        ; implicit-def: $vgpr2_vgpr3
                                        ; implicit-def: $vgpr2_vgpr3
	;; [unrolled: 1-line block ×8, first 2 shown]
	s_wait_kmcnt 0x0
	s_and_b32 s10, s10, 0xffff
	s_delay_alu instid0(SALU_CYCLE_1)
	s_lshl_b32 s16, s10, 5
.LBB153_3:                              ; =>This Inner Loop Header: Depth=1
	v_add_nc_u64_e32 v[18:19], s[2:3], v[14:15]
	v_add_nc_u64_e32 v[16:17], s[10:11], v[16:17]
	s_clause 0x1
	global_load_b128 v[2:5], v[18:19], off offset:16
	global_load_b128 v[6:9], v[18:19], off
	s_wait_loadcnt 0x0
	s_wait_xcnt 0x0
	v_mul_f64_e64 v[18:19], |v[6:7]|, s[12:13]
	v_cmp_nlt_f64_e64 vcc_lo, 0x40331000, |v[6:7]|
	v_and_b32_e32 v1, 0x7fffffff, v7
	s_delay_alu instid0(VALU_DEP_3) | instskip(NEXT) | instid1(VALU_DEP_1)
	v_rndne_f64_e32 v[18:19], v[18:19]
	v_fma_f64 v[20:21], v[18:19], s[14:15], |v[6:7]|
	v_mul_f64_e32 v[24:25], 0x3d53de6af278e000, v[18:19]
	s_delay_alu instid0(VALU_DEP_2) | instskip(NEXT) | instid1(VALU_DEP_1)
	v_add_f64_e32 v[22:23], 0, v[20:21]
	v_add_f64_e64 v[26:27], v[22:23], -v[24:25]
	v_add_f64_e64 v[20:21], v[20:21], -v[22:23]
	s_delay_alu instid0(VALU_DEP_2) | instskip(NEXT) | instid1(VALU_DEP_2)
	v_add_f64_e64 v[22:23], v[22:23], -v[26:27]
	v_add_f64_e32 v[20:21], 0, v[20:21]
	s_delay_alu instid0(VALU_DEP_2) | instskip(NEXT) | instid1(VALU_DEP_1)
	v_add_f64_e64 v[22:23], v[22:23], -v[24:25]
	v_add_f64_e32 v[20:21], v[20:21], v[22:23]
	s_delay_alu instid0(VALU_DEP_1) | instskip(NEXT) | instid1(VALU_DEP_1)
	v_add_f64_e32 v[22:23], v[26:27], v[20:21]
	v_add_f64_e64 v[24:25], v[26:27], -v[22:23]
	s_delay_alu instid0(VALU_DEP_1) | instskip(SKIP_1) | instid1(VALU_DEP_1)
	v_add_f64_e32 v[20:21], v[20:21], v[24:25]
	v_mul_f64_e32 v[24:25], 0x3ac9cc01f97b57a0, v[18:19]
	v_add_f64_e64 v[26:27], v[22:23], -v[24:25]
	s_delay_alu instid0(VALU_DEP_1) | instskip(NEXT) | instid1(VALU_DEP_1)
	v_add_f64_e64 v[22:23], v[22:23], -v[26:27]
	v_add_f64_e64 v[22:23], v[22:23], -v[24:25]
	s_delay_alu instid0(VALU_DEP_1) | instskip(NEXT) | instid1(VALU_DEP_1)
	v_add_f64_e32 v[20:21], v[20:21], v[22:23]
	v_add_f64_e32 v[22:23], v[26:27], v[20:21]
	s_delay_alu instid0(VALU_DEP_1) | instskip(SKIP_1) | instid1(VALU_DEP_2)
	v_add_f64_e64 v[24:25], v[26:27], -v[22:23]
	v_mul_f64_e32 v[26:27], v[22:23], v[22:23]
	v_add_f64_e32 v[20:21], v[20:21], v[24:25]
	s_delay_alu instid0(VALU_DEP_2) | instskip(SKIP_1) | instid1(VALU_DEP_1)
	v_fma_f64 v[28:29], v[22:23], v[22:23], -v[26:27]
	v_fmamk_f64 v[24:25], v[22:23], 0x3e5ade156a5dcb37, v[12:13]
	v_fmaak_f64 v[24:25], v[22:23], v[24:25], 0x3ec71dee623fde64
	s_delay_alu instid0(VALU_DEP_1) | instskip(NEXT) | instid1(VALU_DEP_1)
	v_fmaak_f64 v[24:25], v[22:23], v[24:25], 0x3efa01997c89e6b0
	v_fmaak_f64 v[24:25], v[22:23], v[24:25], 0x3f2a01a014761f6e
	s_delay_alu instid0(VALU_DEP_1) | instskip(SKIP_1) | instid1(VALU_DEP_2)
	v_fmaak_f64 v[24:25], v[22:23], v[24:25], 0x3f56c16c1852b7b0
	v_add_f64_e32 v[30:31], v[20:21], v[20:21]
	v_fmaak_f64 v[24:25], v[22:23], v[24:25], 0x3f81111111122322
	s_delay_alu instid0(VALU_DEP_1) | instskip(NEXT) | instid1(VALU_DEP_1)
	v_fmaak_f64 v[24:25], v[22:23], v[24:25], 0x3fa55555555502a1
	v_fmaak_f64 v[24:25], v[22:23], v[24:25], 0x3fc5555555555511
	s_delay_alu instid0(VALU_DEP_1) | instskip(SKIP_1) | instid1(VALU_DEP_1)
	v_fmaak_f64 v[24:25], v[22:23], v[24:25], 0x3fe000000000000b
	v_fmac_f64_e32 v[28:29], v[22:23], v[30:31]
	v_add_f64_e32 v[30:31], v[26:27], v[28:29]
	s_delay_alu instid0(VALU_DEP_1) | instskip(NEXT) | instid1(VALU_DEP_1)
	v_add_f64_e64 v[26:27], v[30:31], -v[26:27]
	v_add_f64_e64 v[26:27], v[28:29], -v[26:27]
	v_mul_f64_e32 v[28:29], v[30:31], v[24:25]
	s_delay_alu instid0(VALU_DEP_1) | instskip(NEXT) | instid1(VALU_DEP_1)
	v_fma_f64 v[30:31], v[30:31], v[24:25], -v[28:29]
	v_fmac_f64_e32 v[30:31], v[26:27], v[24:25]
	s_delay_alu instid0(VALU_DEP_1) | instskip(NEXT) | instid1(VALU_DEP_1)
	v_add_f64_e32 v[24:25], v[28:29], v[30:31]
	v_add_f64_e64 v[26:27], v[24:25], -v[28:29]
	v_add_f64_e32 v[28:29], v[22:23], v[24:25]
	s_delay_alu instid0(VALU_DEP_2) | instskip(NEXT) | instid1(VALU_DEP_2)
	v_add_f64_e64 v[26:27], v[30:31], -v[26:27]
	v_add_f64_e64 v[22:23], v[28:29], -v[22:23]
	s_delay_alu instid0(VALU_DEP_2) | instskip(NEXT) | instid1(VALU_DEP_2)
	v_add_f64_e32 v[20:21], v[20:21], v[26:27]
	v_add_f64_e64 v[22:23], v[24:25], -v[22:23]
	s_delay_alu instid0(VALU_DEP_1) | instskip(NEXT) | instid1(VALU_DEP_1)
	v_add_f64_e32 v[20:21], v[20:21], v[22:23]
	v_add_f64_e32 v[22:23], v[28:29], v[20:21]
	s_delay_alu instid0(VALU_DEP_1) | instskip(NEXT) | instid1(VALU_DEP_1)
	v_add_f64_e64 v[24:25], v[22:23], -v[28:29]
	v_add_f64_e64 v[20:21], v[20:21], -v[24:25]
	v_add_f64_e32 v[24:25], 1.0, v[22:23]
	s_delay_alu instid0(VALU_DEP_1) | instskip(NEXT) | instid1(VALU_DEP_1)
	v_add_f64_e32 v[26:27], -1.0, v[24:25]
	v_add_f64_e64 v[22:23], v[22:23], -v[26:27]
	s_delay_alu instid0(VALU_DEP_1) | instskip(NEXT) | instid1(VALU_DEP_1)
	v_add_f64_e32 v[20:21], v[20:21], v[22:23]
	v_add_f64_e32 v[22:23], v[24:25], v[20:21]
	s_delay_alu instid0(VALU_DEP_1) | instskip(NEXT) | instid1(VALU_DEP_1)
	v_add_f64_e64 v[24:25], v[22:23], -v[24:25]
	v_add_f64_e64 v[20:21], v[20:21], -v[24:25]
	v_cvt_i32_f64_e32 v24, v[18:19]
	s_delay_alu instid0(VALU_DEP_1) | instskip(NEXT) | instid1(VALU_DEP_3)
	v_ldexp_f64 v[18:19], v[22:23], v24
	v_ldexp_f64 v[20:21], v[20:21], v24
	s_delay_alu instid0(VALU_DEP_2) | instskip(SKIP_1) | instid1(TRANS32_DEP_1)
	v_rcp_f64_e32 v[22:23], v[18:19]
	v_nop
	v_fma_f64 v[24:25], -v[18:19], v[22:23], 1.0
	s_delay_alu instid0(VALU_DEP_1) | instskip(NEXT) | instid1(VALU_DEP_1)
	v_fmac_f64_e32 v[22:23], v[24:25], v[22:23]
	v_fma_f64 v[24:25], -v[18:19], v[22:23], 1.0
	s_delay_alu instid0(VALU_DEP_1) | instskip(NEXT) | instid1(VALU_DEP_1)
	v_fmac_f64_e32 v[22:23], v[24:25], v[22:23]
	v_mul_f64_e32 v[24:25], v[18:19], v[22:23]
	s_delay_alu instid0(VALU_DEP_1) | instskip(NEXT) | instid1(VALU_DEP_1)
	v_fma_f64 v[26:27], v[22:23], v[18:19], -v[24:25]
	v_fmac_f64_e32 v[26:27], v[22:23], v[20:21]
	s_delay_alu instid0(VALU_DEP_1) | instskip(NEXT) | instid1(VALU_DEP_1)
	v_add_f64_e32 v[28:29], v[24:25], v[26:27]
	v_add_f64_e64 v[30:31], -v[28:29], 1.0
	v_add_f64_e64 v[24:25], v[28:29], -v[24:25]
	s_delay_alu instid0(VALU_DEP_2) | instskip(NEXT) | instid1(VALU_DEP_2)
	v_add_f64_e64 v[32:33], -v[30:31], 1.0
	v_add_f64_e64 v[24:25], v[24:25], -v[26:27]
	s_delay_alu instid0(VALU_DEP_2) | instskip(NEXT) | instid1(VALU_DEP_1)
	v_add_f64_e64 v[28:29], v[32:33], -v[28:29]
	v_add_f64_e32 v[24:25], v[24:25], v[28:29]
	s_delay_alu instid0(VALU_DEP_1) | instskip(NEXT) | instid1(VALU_DEP_1)
	v_add_f64_e32 v[26:27], v[30:31], v[24:25]
	v_add_f64_e64 v[28:29], v[30:31], -v[26:27]
	s_delay_alu instid0(VALU_DEP_1) | instskip(SKIP_1) | instid1(VALU_DEP_1)
	v_add_f64_e32 v[24:25], v[24:25], v[28:29]
	v_mul_f64_e32 v[28:29], v[22:23], v[26:27]
	v_mul_f64_e32 v[30:31], v[18:19], v[28:29]
	s_delay_alu instid0(VALU_DEP_1) | instskip(NEXT) | instid1(VALU_DEP_1)
	v_fma_f64 v[32:33], v[28:29], v[18:19], -v[30:31]
	v_fmac_f64_e32 v[32:33], v[28:29], v[20:21]
	s_delay_alu instid0(VALU_DEP_1) | instskip(NEXT) | instid1(VALU_DEP_1)
	v_add_f64_e32 v[34:35], v[30:31], v[32:33]
	v_add_f64_e64 v[36:37], v[26:27], -v[34:35]
	v_add_f64_e64 v[30:31], v[34:35], -v[30:31]
	s_delay_alu instid0(VALU_DEP_2) | instskip(NEXT) | instid1(VALU_DEP_1)
	v_add_f64_e64 v[26:27], v[26:27], -v[36:37]
	v_add_f64_e64 v[26:27], v[26:27], -v[34:35]
	s_delay_alu instid0(VALU_DEP_1) | instskip(NEXT) | instid1(VALU_DEP_4)
	v_add_f64_e32 v[24:25], v[24:25], v[26:27]
	v_add_f64_e64 v[26:27], v[30:31], -v[32:33]
	s_delay_alu instid0(VALU_DEP_1) | instskip(SKIP_1) | instid1(VALU_DEP_2)
	v_add_f64_e32 v[24:25], v[26:27], v[24:25]
	v_add_f64_e32 v[26:27], v[22:23], v[28:29]
	;; [unrolled: 1-line block ×3, first 2 shown]
	s_delay_alu instid0(VALU_DEP_1) | instskip(NEXT) | instid1(VALU_DEP_3)
	v_mul_f64_e32 v[24:25], v[22:23], v[24:25]
	v_add_f64_e64 v[22:23], v[26:27], -v[22:23]
	s_delay_alu instid0(VALU_DEP_1) | instskip(NEXT) | instid1(VALU_DEP_1)
	v_add_f64_e64 v[22:23], v[28:29], -v[22:23]
	v_add_f64_e32 v[22:23], v[22:23], v[24:25]
	s_delay_alu instid0(VALU_DEP_1) | instskip(NEXT) | instid1(VALU_DEP_1)
	v_add_f64_e32 v[24:25], v[26:27], v[22:23]
	v_add_f64_e64 v[26:27], v[24:25], -v[26:27]
	s_delay_alu instid0(VALU_DEP_1) | instskip(SKIP_1) | instid1(VALU_DEP_1)
	v_add_f64_e64 v[22:23], v[22:23], -v[26:27]
	v_add_f64_e64 v[26:27], v[18:19], -v[24:25]
	;; [unrolled: 1-line block ×3, first 2 shown]
	s_delay_alu instid0(VALU_DEP_1) | instskip(NEXT) | instid1(VALU_DEP_1)
	v_add_f64_e64 v[28:29], v[28:29], -v[24:25]
	v_add_f64_e32 v[28:29], v[20:21], v[28:29]
	v_add_f64_e32 v[20:21], v[20:21], v[22:23]
	s_delay_alu instid0(VALU_DEP_2) | instskip(NEXT) | instid1(VALU_DEP_1)
	v_add_f64_e64 v[28:29], v[28:29], -v[22:23]
	v_add_f64_e32 v[30:31], v[26:27], v[28:29]
	s_delay_alu instid0(VALU_DEP_1) | instskip(NEXT) | instid1(VALU_DEP_1)
	v_add_f64_e64 v[26:27], v[30:31], -v[26:27]
	v_add_f64_e64 v[26:27], v[28:29], -v[26:27]
	v_add_f64_e32 v[28:29], v[18:19], v[24:25]
	s_delay_alu instid0(VALU_DEP_1) | instskip(NEXT) | instid1(VALU_DEP_1)
	v_add_f64_e64 v[18:19], v[28:29], -v[18:19]
	v_add_f64_e64 v[18:19], v[24:25], -v[18:19]
	s_delay_alu instid0(VALU_DEP_1) | instskip(NEXT) | instid1(VALU_DEP_1)
	v_add_f64_e32 v[18:19], v[20:21], v[18:19]
	v_add_f64_e32 v[20:21], v[28:29], v[18:19]
	s_delay_alu instid0(VALU_DEP_1) | instskip(NEXT) | instid1(VALU_DEP_1)
	v_add_f64_e64 v[22:23], v[20:21], -v[28:29]
	v_add_f64_e64 v[18:19], v[18:19], -v[22:23]
	v_rcp_f64_e32 v[22:23], v[20:21]
	v_nop
	s_delay_alu instid0(TRANS32_DEP_1) | instskip(NEXT) | instid1(VALU_DEP_1)
	v_fma_f64 v[24:25], -v[20:21], v[22:23], 1.0
	v_fmac_f64_e32 v[22:23], v[24:25], v[22:23]
	s_delay_alu instid0(VALU_DEP_1) | instskip(NEXT) | instid1(VALU_DEP_1)
	v_fma_f64 v[24:25], -v[20:21], v[22:23], 1.0
	v_fmac_f64_e32 v[22:23], v[24:25], v[22:23]
	s_delay_alu instid0(VALU_DEP_1) | instskip(NEXT) | instid1(VALU_DEP_1)
	v_mul_f64_e32 v[24:25], v[30:31], v[22:23]
	v_mul_f64_e32 v[28:29], v[20:21], v[24:25]
	s_delay_alu instid0(VALU_DEP_1) | instskip(NEXT) | instid1(VALU_DEP_1)
	v_fma_f64 v[20:21], v[24:25], v[20:21], -v[28:29]
	v_fmac_f64_e32 v[20:21], v[24:25], v[18:19]
	s_delay_alu instid0(VALU_DEP_1) | instskip(NEXT) | instid1(VALU_DEP_1)
	v_add_f64_e32 v[18:19], v[28:29], v[20:21]
	v_add_f64_e64 v[28:29], v[18:19], -v[28:29]
	s_delay_alu instid0(VALU_DEP_1) | instskip(SKIP_1) | instid1(VALU_DEP_1)
	v_add_f64_e64 v[20:21], v[20:21], -v[28:29]
	v_add_f64_e64 v[28:29], v[30:31], -v[18:19]
	;; [unrolled: 1-line block ×3, first 2 shown]
	s_delay_alu instid0(VALU_DEP_1) | instskip(NEXT) | instid1(VALU_DEP_1)
	v_add_f64_e64 v[18:19], v[30:31], -v[18:19]
	v_add_f64_e64 v[18:19], v[18:19], -v[20:21]
	s_delay_alu instid0(VALU_DEP_1) | instskip(NEXT) | instid1(VALU_DEP_1)
	v_add_f64_e32 v[18:19], v[26:27], v[18:19]
	v_add_f64_e32 v[18:19], v[28:29], v[18:19]
	s_delay_alu instid0(VALU_DEP_1) | instskip(NEXT) | instid1(VALU_DEP_1)
	v_mul_f64_e32 v[18:19], v[22:23], v[18:19]
	v_add_f64_e32 v[18:19], v[24:25], v[18:19]
	s_delay_alu instid0(VALU_DEP_1) | instskip(NEXT) | instid1(VALU_DEP_2)
	v_cndmask_b32_e32 v19, 0x3ff00000, v19, vcc_lo
	v_cndmask_b32_e32 v18, 0, v18, vcc_lo
	v_cmp_gt_f64_e64 vcc_lo, 0x3e400000, |v[6:7]|
	s_delay_alu instid0(VALU_DEP_2) | instskip(SKIP_2) | instid1(VALU_DEP_3)
	v_dual_cndmask_b32 v6, v18, v6 :: v_dual_cndmask_b32 v1, v19, v1
	v_mul_f64_e64 v[18:19], |v[8:9]|, s[12:13]
	v_cmp_nlt_f64_e64 vcc_lo, 0x40331000, |v[8:9]|
	v_bfi_b32 v7, 0x7fffffff, v1, v7
	v_and_b32_e32 v1, 0x7fffffff, v9
	s_delay_alu instid0(VALU_DEP_4) | instskip(NEXT) | instid1(VALU_DEP_1)
	v_rndne_f64_e32 v[18:19], v[18:19]
	v_fma_f64 v[20:21], v[18:19], s[14:15], |v[8:9]|
	v_mul_f64_e32 v[24:25], 0x3d53de6af278e000, v[18:19]
	s_delay_alu instid0(VALU_DEP_2) | instskip(NEXT) | instid1(VALU_DEP_1)
	v_add_f64_e32 v[22:23], 0, v[20:21]
	v_add_f64_e64 v[26:27], v[22:23], -v[24:25]
	v_add_f64_e64 v[20:21], v[20:21], -v[22:23]
	s_delay_alu instid0(VALU_DEP_2) | instskip(NEXT) | instid1(VALU_DEP_2)
	v_add_f64_e64 v[22:23], v[22:23], -v[26:27]
	v_add_f64_e32 v[20:21], 0, v[20:21]
	s_delay_alu instid0(VALU_DEP_2) | instskip(NEXT) | instid1(VALU_DEP_1)
	v_add_f64_e64 v[22:23], v[22:23], -v[24:25]
	v_add_f64_e32 v[20:21], v[20:21], v[22:23]
	s_delay_alu instid0(VALU_DEP_1) | instskip(NEXT) | instid1(VALU_DEP_1)
	v_add_f64_e32 v[22:23], v[26:27], v[20:21]
	v_add_f64_e64 v[24:25], v[26:27], -v[22:23]
	s_delay_alu instid0(VALU_DEP_1) | instskip(SKIP_1) | instid1(VALU_DEP_1)
	v_add_f64_e32 v[20:21], v[20:21], v[24:25]
	v_mul_f64_e32 v[24:25], 0x3ac9cc01f97b57a0, v[18:19]
	v_add_f64_e64 v[26:27], v[22:23], -v[24:25]
	s_delay_alu instid0(VALU_DEP_1) | instskip(NEXT) | instid1(VALU_DEP_1)
	v_add_f64_e64 v[22:23], v[22:23], -v[26:27]
	v_add_f64_e64 v[22:23], v[22:23], -v[24:25]
	s_delay_alu instid0(VALU_DEP_1) | instskip(NEXT) | instid1(VALU_DEP_1)
	v_add_f64_e32 v[20:21], v[20:21], v[22:23]
	v_add_f64_e32 v[22:23], v[26:27], v[20:21]
	s_delay_alu instid0(VALU_DEP_1) | instskip(SKIP_1) | instid1(VALU_DEP_2)
	v_add_f64_e64 v[24:25], v[26:27], -v[22:23]
	v_mul_f64_e32 v[26:27], v[22:23], v[22:23]
	v_add_f64_e32 v[20:21], v[20:21], v[24:25]
	s_delay_alu instid0(VALU_DEP_2) | instskip(SKIP_1) | instid1(VALU_DEP_1)
	v_fma_f64 v[28:29], v[22:23], v[22:23], -v[26:27]
	v_fmamk_f64 v[24:25], v[22:23], 0x3e5ade156a5dcb37, v[12:13]
	v_fmaak_f64 v[24:25], v[22:23], v[24:25], 0x3ec71dee623fde64
	s_delay_alu instid0(VALU_DEP_1) | instskip(NEXT) | instid1(VALU_DEP_1)
	v_fmaak_f64 v[24:25], v[22:23], v[24:25], 0x3efa01997c89e6b0
	v_fmaak_f64 v[24:25], v[22:23], v[24:25], 0x3f2a01a014761f6e
	s_delay_alu instid0(VALU_DEP_1) | instskip(SKIP_1) | instid1(VALU_DEP_2)
	v_fmaak_f64 v[24:25], v[22:23], v[24:25], 0x3f56c16c1852b7b0
	v_add_f64_e32 v[30:31], v[20:21], v[20:21]
	v_fmaak_f64 v[24:25], v[22:23], v[24:25], 0x3f81111111122322
	s_delay_alu instid0(VALU_DEP_1) | instskip(NEXT) | instid1(VALU_DEP_1)
	v_fmaak_f64 v[24:25], v[22:23], v[24:25], 0x3fa55555555502a1
	v_fmaak_f64 v[24:25], v[22:23], v[24:25], 0x3fc5555555555511
	s_delay_alu instid0(VALU_DEP_1) | instskip(SKIP_1) | instid1(VALU_DEP_1)
	v_fmaak_f64 v[24:25], v[22:23], v[24:25], 0x3fe000000000000b
	v_fmac_f64_e32 v[28:29], v[22:23], v[30:31]
	v_add_f64_e32 v[30:31], v[26:27], v[28:29]
	s_delay_alu instid0(VALU_DEP_1) | instskip(NEXT) | instid1(VALU_DEP_1)
	v_add_f64_e64 v[26:27], v[30:31], -v[26:27]
	v_add_f64_e64 v[26:27], v[28:29], -v[26:27]
	v_mul_f64_e32 v[28:29], v[30:31], v[24:25]
	s_delay_alu instid0(VALU_DEP_1) | instskip(NEXT) | instid1(VALU_DEP_1)
	v_fma_f64 v[30:31], v[30:31], v[24:25], -v[28:29]
	v_fmac_f64_e32 v[30:31], v[26:27], v[24:25]
	s_delay_alu instid0(VALU_DEP_1) | instskip(NEXT) | instid1(VALU_DEP_1)
	v_add_f64_e32 v[24:25], v[28:29], v[30:31]
	v_add_f64_e64 v[26:27], v[24:25], -v[28:29]
	v_add_f64_e32 v[28:29], v[22:23], v[24:25]
	s_delay_alu instid0(VALU_DEP_2) | instskip(NEXT) | instid1(VALU_DEP_2)
	v_add_f64_e64 v[26:27], v[30:31], -v[26:27]
	v_add_f64_e64 v[22:23], v[28:29], -v[22:23]
	s_delay_alu instid0(VALU_DEP_2) | instskip(NEXT) | instid1(VALU_DEP_2)
	v_add_f64_e32 v[20:21], v[20:21], v[26:27]
	v_add_f64_e64 v[22:23], v[24:25], -v[22:23]
	s_delay_alu instid0(VALU_DEP_1) | instskip(NEXT) | instid1(VALU_DEP_1)
	v_add_f64_e32 v[20:21], v[20:21], v[22:23]
	v_add_f64_e32 v[22:23], v[28:29], v[20:21]
	s_delay_alu instid0(VALU_DEP_1) | instskip(NEXT) | instid1(VALU_DEP_1)
	v_add_f64_e64 v[24:25], v[22:23], -v[28:29]
	v_add_f64_e64 v[20:21], v[20:21], -v[24:25]
	v_add_f64_e32 v[24:25], 1.0, v[22:23]
	s_delay_alu instid0(VALU_DEP_1) | instskip(NEXT) | instid1(VALU_DEP_1)
	v_add_f64_e32 v[26:27], -1.0, v[24:25]
	v_add_f64_e64 v[22:23], v[22:23], -v[26:27]
	s_delay_alu instid0(VALU_DEP_1) | instskip(NEXT) | instid1(VALU_DEP_1)
	v_add_f64_e32 v[20:21], v[20:21], v[22:23]
	v_add_f64_e32 v[22:23], v[24:25], v[20:21]
	s_delay_alu instid0(VALU_DEP_1) | instskip(NEXT) | instid1(VALU_DEP_1)
	v_add_f64_e64 v[24:25], v[22:23], -v[24:25]
	v_add_f64_e64 v[20:21], v[20:21], -v[24:25]
	v_cvt_i32_f64_e32 v24, v[18:19]
	s_delay_alu instid0(VALU_DEP_1) | instskip(NEXT) | instid1(VALU_DEP_3)
	v_ldexp_f64 v[18:19], v[22:23], v24
	v_ldexp_f64 v[20:21], v[20:21], v24
	s_delay_alu instid0(VALU_DEP_2) | instskip(SKIP_1) | instid1(TRANS32_DEP_1)
	v_rcp_f64_e32 v[22:23], v[18:19]
	v_nop
	v_fma_f64 v[24:25], -v[18:19], v[22:23], 1.0
	s_delay_alu instid0(VALU_DEP_1) | instskip(NEXT) | instid1(VALU_DEP_1)
	v_fmac_f64_e32 v[22:23], v[24:25], v[22:23]
	v_fma_f64 v[24:25], -v[18:19], v[22:23], 1.0
	s_delay_alu instid0(VALU_DEP_1) | instskip(NEXT) | instid1(VALU_DEP_1)
	v_fmac_f64_e32 v[22:23], v[24:25], v[22:23]
	v_mul_f64_e32 v[24:25], v[18:19], v[22:23]
	s_delay_alu instid0(VALU_DEP_1) | instskip(NEXT) | instid1(VALU_DEP_1)
	v_fma_f64 v[26:27], v[22:23], v[18:19], -v[24:25]
	v_fmac_f64_e32 v[26:27], v[22:23], v[20:21]
	s_delay_alu instid0(VALU_DEP_1) | instskip(NEXT) | instid1(VALU_DEP_1)
	v_add_f64_e32 v[28:29], v[24:25], v[26:27]
	v_add_f64_e64 v[30:31], -v[28:29], 1.0
	v_add_f64_e64 v[24:25], v[28:29], -v[24:25]
	s_delay_alu instid0(VALU_DEP_2) | instskip(NEXT) | instid1(VALU_DEP_2)
	v_add_f64_e64 v[32:33], -v[30:31], 1.0
	v_add_f64_e64 v[24:25], v[24:25], -v[26:27]
	s_delay_alu instid0(VALU_DEP_2) | instskip(NEXT) | instid1(VALU_DEP_1)
	v_add_f64_e64 v[28:29], v[32:33], -v[28:29]
	v_add_f64_e32 v[24:25], v[24:25], v[28:29]
	s_delay_alu instid0(VALU_DEP_1) | instskip(NEXT) | instid1(VALU_DEP_1)
	v_add_f64_e32 v[26:27], v[30:31], v[24:25]
	v_add_f64_e64 v[28:29], v[30:31], -v[26:27]
	s_delay_alu instid0(VALU_DEP_1) | instskip(SKIP_1) | instid1(VALU_DEP_1)
	v_add_f64_e32 v[24:25], v[24:25], v[28:29]
	v_mul_f64_e32 v[28:29], v[22:23], v[26:27]
	v_mul_f64_e32 v[30:31], v[18:19], v[28:29]
	s_delay_alu instid0(VALU_DEP_1) | instskip(NEXT) | instid1(VALU_DEP_1)
	v_fma_f64 v[32:33], v[28:29], v[18:19], -v[30:31]
	v_fmac_f64_e32 v[32:33], v[28:29], v[20:21]
	s_delay_alu instid0(VALU_DEP_1) | instskip(NEXT) | instid1(VALU_DEP_1)
	v_add_f64_e32 v[34:35], v[30:31], v[32:33]
	v_add_f64_e64 v[36:37], v[26:27], -v[34:35]
	v_add_f64_e64 v[30:31], v[34:35], -v[30:31]
	s_delay_alu instid0(VALU_DEP_2) | instskip(NEXT) | instid1(VALU_DEP_1)
	v_add_f64_e64 v[26:27], v[26:27], -v[36:37]
	v_add_f64_e64 v[26:27], v[26:27], -v[34:35]
	s_delay_alu instid0(VALU_DEP_1) | instskip(NEXT) | instid1(VALU_DEP_4)
	v_add_f64_e32 v[24:25], v[24:25], v[26:27]
	v_add_f64_e64 v[26:27], v[30:31], -v[32:33]
	s_delay_alu instid0(VALU_DEP_1) | instskip(SKIP_1) | instid1(VALU_DEP_2)
	v_add_f64_e32 v[24:25], v[26:27], v[24:25]
	v_add_f64_e32 v[26:27], v[22:23], v[28:29]
	;; [unrolled: 1-line block ×3, first 2 shown]
	s_delay_alu instid0(VALU_DEP_1) | instskip(NEXT) | instid1(VALU_DEP_3)
	v_mul_f64_e32 v[24:25], v[22:23], v[24:25]
	v_add_f64_e64 v[22:23], v[26:27], -v[22:23]
	s_delay_alu instid0(VALU_DEP_1) | instskip(NEXT) | instid1(VALU_DEP_1)
	v_add_f64_e64 v[22:23], v[28:29], -v[22:23]
	v_add_f64_e32 v[22:23], v[22:23], v[24:25]
	s_delay_alu instid0(VALU_DEP_1) | instskip(NEXT) | instid1(VALU_DEP_1)
	v_add_f64_e32 v[24:25], v[26:27], v[22:23]
	v_add_f64_e64 v[26:27], v[24:25], -v[26:27]
	s_delay_alu instid0(VALU_DEP_1) | instskip(SKIP_1) | instid1(VALU_DEP_1)
	v_add_f64_e64 v[22:23], v[22:23], -v[26:27]
	v_add_f64_e64 v[26:27], v[18:19], -v[24:25]
	;; [unrolled: 1-line block ×3, first 2 shown]
	s_delay_alu instid0(VALU_DEP_1) | instskip(NEXT) | instid1(VALU_DEP_1)
	v_add_f64_e64 v[28:29], v[28:29], -v[24:25]
	v_add_f64_e32 v[28:29], v[20:21], v[28:29]
	v_add_f64_e32 v[20:21], v[20:21], v[22:23]
	s_delay_alu instid0(VALU_DEP_2) | instskip(NEXT) | instid1(VALU_DEP_1)
	v_add_f64_e64 v[28:29], v[28:29], -v[22:23]
	v_add_f64_e32 v[30:31], v[26:27], v[28:29]
	s_delay_alu instid0(VALU_DEP_1) | instskip(NEXT) | instid1(VALU_DEP_1)
	v_add_f64_e64 v[26:27], v[30:31], -v[26:27]
	v_add_f64_e64 v[26:27], v[28:29], -v[26:27]
	v_add_f64_e32 v[28:29], v[18:19], v[24:25]
	s_delay_alu instid0(VALU_DEP_1) | instskip(NEXT) | instid1(VALU_DEP_1)
	v_add_f64_e64 v[18:19], v[28:29], -v[18:19]
	v_add_f64_e64 v[18:19], v[24:25], -v[18:19]
	s_delay_alu instid0(VALU_DEP_1) | instskip(NEXT) | instid1(VALU_DEP_1)
	v_add_f64_e32 v[18:19], v[20:21], v[18:19]
	v_add_f64_e32 v[20:21], v[28:29], v[18:19]
	s_delay_alu instid0(VALU_DEP_1) | instskip(NEXT) | instid1(VALU_DEP_1)
	v_add_f64_e64 v[22:23], v[20:21], -v[28:29]
	v_add_f64_e64 v[18:19], v[18:19], -v[22:23]
	v_rcp_f64_e32 v[22:23], v[20:21]
	v_nop
	s_delay_alu instid0(TRANS32_DEP_1) | instskip(NEXT) | instid1(VALU_DEP_1)
	v_fma_f64 v[24:25], -v[20:21], v[22:23], 1.0
	v_fmac_f64_e32 v[22:23], v[24:25], v[22:23]
	s_delay_alu instid0(VALU_DEP_1) | instskip(NEXT) | instid1(VALU_DEP_1)
	v_fma_f64 v[24:25], -v[20:21], v[22:23], 1.0
	v_fmac_f64_e32 v[22:23], v[24:25], v[22:23]
	s_delay_alu instid0(VALU_DEP_1) | instskip(NEXT) | instid1(VALU_DEP_1)
	v_mul_f64_e32 v[24:25], v[30:31], v[22:23]
	v_mul_f64_e32 v[28:29], v[20:21], v[24:25]
	s_delay_alu instid0(VALU_DEP_1) | instskip(NEXT) | instid1(VALU_DEP_1)
	v_fma_f64 v[20:21], v[24:25], v[20:21], -v[28:29]
	v_fmac_f64_e32 v[20:21], v[24:25], v[18:19]
	s_delay_alu instid0(VALU_DEP_1) | instskip(NEXT) | instid1(VALU_DEP_1)
	v_add_f64_e32 v[18:19], v[28:29], v[20:21]
	v_add_f64_e64 v[28:29], v[18:19], -v[28:29]
	s_delay_alu instid0(VALU_DEP_1) | instskip(SKIP_1) | instid1(VALU_DEP_1)
	v_add_f64_e64 v[20:21], v[20:21], -v[28:29]
	v_add_f64_e64 v[28:29], v[30:31], -v[18:19]
	;; [unrolled: 1-line block ×3, first 2 shown]
	s_delay_alu instid0(VALU_DEP_1) | instskip(NEXT) | instid1(VALU_DEP_1)
	v_add_f64_e64 v[18:19], v[30:31], -v[18:19]
	v_add_f64_e64 v[18:19], v[18:19], -v[20:21]
	s_delay_alu instid0(VALU_DEP_1) | instskip(NEXT) | instid1(VALU_DEP_1)
	v_add_f64_e32 v[18:19], v[26:27], v[18:19]
	v_add_f64_e32 v[18:19], v[28:29], v[18:19]
	s_delay_alu instid0(VALU_DEP_1) | instskip(NEXT) | instid1(VALU_DEP_1)
	v_mul_f64_e32 v[18:19], v[22:23], v[18:19]
	v_add_f64_e32 v[18:19], v[24:25], v[18:19]
	s_delay_alu instid0(VALU_DEP_1) | instskip(NEXT) | instid1(VALU_DEP_2)
	v_cndmask_b32_e32 v19, 0x3ff00000, v19, vcc_lo
	v_cndmask_b32_e32 v18, 0, v18, vcc_lo
	v_cmp_gt_f64_e64 vcc_lo, 0x3e400000, |v[8:9]|
	s_delay_alu instid0(VALU_DEP_2) | instskip(SKIP_2) | instid1(VALU_DEP_3)
	v_dual_cndmask_b32 v8, v18, v8 :: v_dual_cndmask_b32 v1, v19, v1
	v_mul_f64_e64 v[18:19], |v[2:3]|, s[12:13]
	v_cmp_nlt_f64_e64 vcc_lo, 0x40331000, |v[2:3]|
	v_bfi_b32 v9, 0x7fffffff, v1, v9
	v_and_b32_e32 v1, 0x7fffffff, v3
	s_delay_alu instid0(VALU_DEP_4) | instskip(NEXT) | instid1(VALU_DEP_1)
	v_rndne_f64_e32 v[18:19], v[18:19]
	v_fma_f64 v[20:21], v[18:19], s[14:15], |v[2:3]|
	v_mul_f64_e32 v[24:25], 0x3d53de6af278e000, v[18:19]
	s_delay_alu instid0(VALU_DEP_2) | instskip(NEXT) | instid1(VALU_DEP_1)
	v_add_f64_e32 v[22:23], 0, v[20:21]
	v_add_f64_e64 v[26:27], v[22:23], -v[24:25]
	v_add_f64_e64 v[20:21], v[20:21], -v[22:23]
	s_delay_alu instid0(VALU_DEP_2) | instskip(NEXT) | instid1(VALU_DEP_2)
	v_add_f64_e64 v[22:23], v[22:23], -v[26:27]
	v_add_f64_e32 v[20:21], 0, v[20:21]
	s_delay_alu instid0(VALU_DEP_2) | instskip(NEXT) | instid1(VALU_DEP_1)
	v_add_f64_e64 v[22:23], v[22:23], -v[24:25]
	v_add_f64_e32 v[20:21], v[20:21], v[22:23]
	s_delay_alu instid0(VALU_DEP_1) | instskip(NEXT) | instid1(VALU_DEP_1)
	v_add_f64_e32 v[22:23], v[26:27], v[20:21]
	v_add_f64_e64 v[24:25], v[26:27], -v[22:23]
	s_delay_alu instid0(VALU_DEP_1) | instskip(SKIP_1) | instid1(VALU_DEP_1)
	v_add_f64_e32 v[20:21], v[20:21], v[24:25]
	v_mul_f64_e32 v[24:25], 0x3ac9cc01f97b57a0, v[18:19]
	v_add_f64_e64 v[26:27], v[22:23], -v[24:25]
	s_delay_alu instid0(VALU_DEP_1) | instskip(NEXT) | instid1(VALU_DEP_1)
	v_add_f64_e64 v[22:23], v[22:23], -v[26:27]
	v_add_f64_e64 v[22:23], v[22:23], -v[24:25]
	s_delay_alu instid0(VALU_DEP_1) | instskip(NEXT) | instid1(VALU_DEP_1)
	v_add_f64_e32 v[20:21], v[20:21], v[22:23]
	v_add_f64_e32 v[22:23], v[26:27], v[20:21]
	s_delay_alu instid0(VALU_DEP_1) | instskip(SKIP_1) | instid1(VALU_DEP_2)
	v_add_f64_e64 v[24:25], v[26:27], -v[22:23]
	v_mul_f64_e32 v[26:27], v[22:23], v[22:23]
	v_add_f64_e32 v[20:21], v[20:21], v[24:25]
	s_delay_alu instid0(VALU_DEP_2) | instskip(SKIP_1) | instid1(VALU_DEP_1)
	v_fma_f64 v[28:29], v[22:23], v[22:23], -v[26:27]
	v_fmamk_f64 v[24:25], v[22:23], 0x3e5ade156a5dcb37, v[12:13]
	v_fmaak_f64 v[24:25], v[22:23], v[24:25], 0x3ec71dee623fde64
	s_delay_alu instid0(VALU_DEP_1) | instskip(NEXT) | instid1(VALU_DEP_1)
	v_fmaak_f64 v[24:25], v[22:23], v[24:25], 0x3efa01997c89e6b0
	v_fmaak_f64 v[24:25], v[22:23], v[24:25], 0x3f2a01a014761f6e
	s_delay_alu instid0(VALU_DEP_1) | instskip(SKIP_1) | instid1(VALU_DEP_2)
	v_fmaak_f64 v[24:25], v[22:23], v[24:25], 0x3f56c16c1852b7b0
	v_add_f64_e32 v[30:31], v[20:21], v[20:21]
	v_fmaak_f64 v[24:25], v[22:23], v[24:25], 0x3f81111111122322
	s_delay_alu instid0(VALU_DEP_1) | instskip(NEXT) | instid1(VALU_DEP_1)
	v_fmaak_f64 v[24:25], v[22:23], v[24:25], 0x3fa55555555502a1
	v_fmaak_f64 v[24:25], v[22:23], v[24:25], 0x3fc5555555555511
	s_delay_alu instid0(VALU_DEP_1) | instskip(SKIP_1) | instid1(VALU_DEP_1)
	v_fmaak_f64 v[24:25], v[22:23], v[24:25], 0x3fe000000000000b
	v_fmac_f64_e32 v[28:29], v[22:23], v[30:31]
	v_add_f64_e32 v[30:31], v[26:27], v[28:29]
	s_delay_alu instid0(VALU_DEP_1) | instskip(NEXT) | instid1(VALU_DEP_1)
	v_add_f64_e64 v[26:27], v[30:31], -v[26:27]
	v_add_f64_e64 v[26:27], v[28:29], -v[26:27]
	v_mul_f64_e32 v[28:29], v[30:31], v[24:25]
	s_delay_alu instid0(VALU_DEP_1) | instskip(NEXT) | instid1(VALU_DEP_1)
	v_fma_f64 v[30:31], v[30:31], v[24:25], -v[28:29]
	v_fmac_f64_e32 v[30:31], v[26:27], v[24:25]
	s_delay_alu instid0(VALU_DEP_1) | instskip(NEXT) | instid1(VALU_DEP_1)
	v_add_f64_e32 v[24:25], v[28:29], v[30:31]
	v_add_f64_e64 v[26:27], v[24:25], -v[28:29]
	v_add_f64_e32 v[28:29], v[22:23], v[24:25]
	s_delay_alu instid0(VALU_DEP_2) | instskip(NEXT) | instid1(VALU_DEP_2)
	v_add_f64_e64 v[26:27], v[30:31], -v[26:27]
	v_add_f64_e64 v[22:23], v[28:29], -v[22:23]
	s_delay_alu instid0(VALU_DEP_2) | instskip(NEXT) | instid1(VALU_DEP_2)
	v_add_f64_e32 v[20:21], v[20:21], v[26:27]
	v_add_f64_e64 v[22:23], v[24:25], -v[22:23]
	s_delay_alu instid0(VALU_DEP_1) | instskip(NEXT) | instid1(VALU_DEP_1)
	v_add_f64_e32 v[20:21], v[20:21], v[22:23]
	v_add_f64_e32 v[22:23], v[28:29], v[20:21]
	s_delay_alu instid0(VALU_DEP_1) | instskip(NEXT) | instid1(VALU_DEP_1)
	v_add_f64_e64 v[24:25], v[22:23], -v[28:29]
	v_add_f64_e64 v[20:21], v[20:21], -v[24:25]
	v_add_f64_e32 v[24:25], 1.0, v[22:23]
	s_delay_alu instid0(VALU_DEP_1) | instskip(NEXT) | instid1(VALU_DEP_1)
	v_add_f64_e32 v[26:27], -1.0, v[24:25]
	v_add_f64_e64 v[22:23], v[22:23], -v[26:27]
	s_delay_alu instid0(VALU_DEP_1) | instskip(NEXT) | instid1(VALU_DEP_1)
	v_add_f64_e32 v[20:21], v[20:21], v[22:23]
	v_add_f64_e32 v[22:23], v[24:25], v[20:21]
	s_delay_alu instid0(VALU_DEP_1) | instskip(NEXT) | instid1(VALU_DEP_1)
	v_add_f64_e64 v[24:25], v[22:23], -v[24:25]
	v_add_f64_e64 v[20:21], v[20:21], -v[24:25]
	v_cvt_i32_f64_e32 v24, v[18:19]
	s_delay_alu instid0(VALU_DEP_1) | instskip(NEXT) | instid1(VALU_DEP_3)
	v_ldexp_f64 v[18:19], v[22:23], v24
	v_ldexp_f64 v[20:21], v[20:21], v24
	s_delay_alu instid0(VALU_DEP_2) | instskip(SKIP_1) | instid1(TRANS32_DEP_1)
	v_rcp_f64_e32 v[22:23], v[18:19]
	v_nop
	v_fma_f64 v[24:25], -v[18:19], v[22:23], 1.0
	s_delay_alu instid0(VALU_DEP_1) | instskip(NEXT) | instid1(VALU_DEP_1)
	v_fmac_f64_e32 v[22:23], v[24:25], v[22:23]
	v_fma_f64 v[24:25], -v[18:19], v[22:23], 1.0
	s_delay_alu instid0(VALU_DEP_1) | instskip(NEXT) | instid1(VALU_DEP_1)
	v_fmac_f64_e32 v[22:23], v[24:25], v[22:23]
	v_mul_f64_e32 v[24:25], v[18:19], v[22:23]
	s_delay_alu instid0(VALU_DEP_1) | instskip(NEXT) | instid1(VALU_DEP_1)
	v_fma_f64 v[26:27], v[22:23], v[18:19], -v[24:25]
	v_fmac_f64_e32 v[26:27], v[22:23], v[20:21]
	s_delay_alu instid0(VALU_DEP_1) | instskip(NEXT) | instid1(VALU_DEP_1)
	v_add_f64_e32 v[28:29], v[24:25], v[26:27]
	v_add_f64_e64 v[30:31], -v[28:29], 1.0
	v_add_f64_e64 v[24:25], v[28:29], -v[24:25]
	s_delay_alu instid0(VALU_DEP_2) | instskip(NEXT) | instid1(VALU_DEP_2)
	v_add_f64_e64 v[32:33], -v[30:31], 1.0
	v_add_f64_e64 v[24:25], v[24:25], -v[26:27]
	s_delay_alu instid0(VALU_DEP_2) | instskip(NEXT) | instid1(VALU_DEP_1)
	v_add_f64_e64 v[28:29], v[32:33], -v[28:29]
	v_add_f64_e32 v[24:25], v[24:25], v[28:29]
	s_delay_alu instid0(VALU_DEP_1) | instskip(NEXT) | instid1(VALU_DEP_1)
	v_add_f64_e32 v[26:27], v[30:31], v[24:25]
	v_add_f64_e64 v[28:29], v[30:31], -v[26:27]
	s_delay_alu instid0(VALU_DEP_1) | instskip(SKIP_1) | instid1(VALU_DEP_1)
	v_add_f64_e32 v[24:25], v[24:25], v[28:29]
	v_mul_f64_e32 v[28:29], v[22:23], v[26:27]
	v_mul_f64_e32 v[30:31], v[18:19], v[28:29]
	s_delay_alu instid0(VALU_DEP_1) | instskip(NEXT) | instid1(VALU_DEP_1)
	v_fma_f64 v[32:33], v[28:29], v[18:19], -v[30:31]
	v_fmac_f64_e32 v[32:33], v[28:29], v[20:21]
	s_delay_alu instid0(VALU_DEP_1) | instskip(NEXT) | instid1(VALU_DEP_1)
	v_add_f64_e32 v[34:35], v[30:31], v[32:33]
	v_add_f64_e64 v[36:37], v[26:27], -v[34:35]
	v_add_f64_e64 v[30:31], v[34:35], -v[30:31]
	s_delay_alu instid0(VALU_DEP_2) | instskip(NEXT) | instid1(VALU_DEP_1)
	v_add_f64_e64 v[26:27], v[26:27], -v[36:37]
	v_add_f64_e64 v[26:27], v[26:27], -v[34:35]
	s_delay_alu instid0(VALU_DEP_1) | instskip(NEXT) | instid1(VALU_DEP_4)
	v_add_f64_e32 v[24:25], v[24:25], v[26:27]
	v_add_f64_e64 v[26:27], v[30:31], -v[32:33]
	s_delay_alu instid0(VALU_DEP_1) | instskip(SKIP_1) | instid1(VALU_DEP_2)
	v_add_f64_e32 v[24:25], v[26:27], v[24:25]
	v_add_f64_e32 v[26:27], v[22:23], v[28:29]
	;; [unrolled: 1-line block ×3, first 2 shown]
	s_delay_alu instid0(VALU_DEP_1) | instskip(NEXT) | instid1(VALU_DEP_3)
	v_mul_f64_e32 v[24:25], v[22:23], v[24:25]
	v_add_f64_e64 v[22:23], v[26:27], -v[22:23]
	s_delay_alu instid0(VALU_DEP_1) | instskip(NEXT) | instid1(VALU_DEP_1)
	v_add_f64_e64 v[22:23], v[28:29], -v[22:23]
	v_add_f64_e32 v[22:23], v[22:23], v[24:25]
	s_delay_alu instid0(VALU_DEP_1) | instskip(NEXT) | instid1(VALU_DEP_1)
	v_add_f64_e32 v[24:25], v[26:27], v[22:23]
	v_add_f64_e64 v[26:27], v[24:25], -v[26:27]
	s_delay_alu instid0(VALU_DEP_1) | instskip(SKIP_1) | instid1(VALU_DEP_1)
	v_add_f64_e64 v[22:23], v[22:23], -v[26:27]
	v_add_f64_e64 v[26:27], v[18:19], -v[24:25]
	;; [unrolled: 1-line block ×3, first 2 shown]
	s_delay_alu instid0(VALU_DEP_1) | instskip(NEXT) | instid1(VALU_DEP_1)
	v_add_f64_e64 v[28:29], v[28:29], -v[24:25]
	v_add_f64_e32 v[28:29], v[20:21], v[28:29]
	v_add_f64_e32 v[20:21], v[20:21], v[22:23]
	s_delay_alu instid0(VALU_DEP_2) | instskip(NEXT) | instid1(VALU_DEP_1)
	v_add_f64_e64 v[28:29], v[28:29], -v[22:23]
	v_add_f64_e32 v[30:31], v[26:27], v[28:29]
	s_delay_alu instid0(VALU_DEP_1) | instskip(NEXT) | instid1(VALU_DEP_1)
	v_add_f64_e64 v[26:27], v[30:31], -v[26:27]
	v_add_f64_e64 v[26:27], v[28:29], -v[26:27]
	v_add_f64_e32 v[28:29], v[18:19], v[24:25]
	s_delay_alu instid0(VALU_DEP_1) | instskip(NEXT) | instid1(VALU_DEP_1)
	v_add_f64_e64 v[18:19], v[28:29], -v[18:19]
	v_add_f64_e64 v[18:19], v[24:25], -v[18:19]
	s_delay_alu instid0(VALU_DEP_1) | instskip(NEXT) | instid1(VALU_DEP_1)
	v_add_f64_e32 v[18:19], v[20:21], v[18:19]
	v_add_f64_e32 v[20:21], v[28:29], v[18:19]
	s_delay_alu instid0(VALU_DEP_1) | instskip(NEXT) | instid1(VALU_DEP_1)
	v_add_f64_e64 v[22:23], v[20:21], -v[28:29]
	v_add_f64_e64 v[18:19], v[18:19], -v[22:23]
	v_rcp_f64_e32 v[22:23], v[20:21]
	v_nop
	s_delay_alu instid0(TRANS32_DEP_1) | instskip(NEXT) | instid1(VALU_DEP_1)
	v_fma_f64 v[24:25], -v[20:21], v[22:23], 1.0
	v_fmac_f64_e32 v[22:23], v[24:25], v[22:23]
	s_delay_alu instid0(VALU_DEP_1) | instskip(NEXT) | instid1(VALU_DEP_1)
	v_fma_f64 v[24:25], -v[20:21], v[22:23], 1.0
	v_fmac_f64_e32 v[22:23], v[24:25], v[22:23]
	s_delay_alu instid0(VALU_DEP_1) | instskip(NEXT) | instid1(VALU_DEP_1)
	v_mul_f64_e32 v[24:25], v[30:31], v[22:23]
	v_mul_f64_e32 v[28:29], v[20:21], v[24:25]
	s_delay_alu instid0(VALU_DEP_1) | instskip(NEXT) | instid1(VALU_DEP_1)
	v_fma_f64 v[20:21], v[24:25], v[20:21], -v[28:29]
	v_fmac_f64_e32 v[20:21], v[24:25], v[18:19]
	s_delay_alu instid0(VALU_DEP_1) | instskip(NEXT) | instid1(VALU_DEP_1)
	v_add_f64_e32 v[18:19], v[28:29], v[20:21]
	v_add_f64_e64 v[28:29], v[18:19], -v[28:29]
	s_delay_alu instid0(VALU_DEP_1) | instskip(SKIP_1) | instid1(VALU_DEP_1)
	v_add_f64_e64 v[20:21], v[20:21], -v[28:29]
	v_add_f64_e64 v[28:29], v[30:31], -v[18:19]
	v_add_f64_e64 v[30:31], v[30:31], -v[28:29]
	s_delay_alu instid0(VALU_DEP_1) | instskip(NEXT) | instid1(VALU_DEP_1)
	v_add_f64_e64 v[18:19], v[30:31], -v[18:19]
	v_add_f64_e64 v[18:19], v[18:19], -v[20:21]
	s_delay_alu instid0(VALU_DEP_1) | instskip(NEXT) | instid1(VALU_DEP_1)
	v_add_f64_e32 v[18:19], v[26:27], v[18:19]
	v_add_f64_e32 v[18:19], v[28:29], v[18:19]
	s_delay_alu instid0(VALU_DEP_1) | instskip(NEXT) | instid1(VALU_DEP_1)
	v_mul_f64_e32 v[18:19], v[22:23], v[18:19]
	v_add_f64_e32 v[18:19], v[24:25], v[18:19]
	s_delay_alu instid0(VALU_DEP_1) | instskip(NEXT) | instid1(VALU_DEP_2)
	v_cndmask_b32_e32 v19, 0x3ff00000, v19, vcc_lo
	v_cndmask_b32_e32 v18, 0, v18, vcc_lo
	v_cmp_gt_f64_e64 vcc_lo, 0x3e400000, |v[2:3]|
	s_delay_alu instid0(VALU_DEP_2) | instskip(SKIP_2) | instid1(VALU_DEP_3)
	v_dual_cndmask_b32 v2, v18, v2 :: v_dual_cndmask_b32 v1, v19, v1
	v_mul_f64_e64 v[18:19], |v[4:5]|, s[12:13]
	v_cmp_nlt_f64_e64 vcc_lo, 0x40331000, |v[4:5]|
	v_bfi_b32 v3, 0x7fffffff, v1, v3
	v_and_b32_e32 v1, 0x7fffffff, v5
	s_delay_alu instid0(VALU_DEP_4) | instskip(NEXT) | instid1(VALU_DEP_1)
	v_rndne_f64_e32 v[22:23], v[18:19]
	v_fma_f64 v[18:19], v[22:23], s[14:15], |v[4:5]|
	v_mul_f64_e32 v[24:25], 0x3d53de6af278e000, v[22:23]
	s_delay_alu instid0(VALU_DEP_2) | instskip(NEXT) | instid1(VALU_DEP_1)
	v_add_f64_e32 v[20:21], 0, v[18:19]
	v_add_f64_e64 v[26:27], v[20:21], -v[24:25]
	v_add_f64_e64 v[18:19], v[18:19], -v[20:21]
	s_delay_alu instid0(VALU_DEP_2) | instskip(NEXT) | instid1(VALU_DEP_2)
	v_add_f64_e64 v[20:21], v[20:21], -v[26:27]
	v_add_f64_e32 v[18:19], 0, v[18:19]
	s_delay_alu instid0(VALU_DEP_2) | instskip(NEXT) | instid1(VALU_DEP_1)
	v_add_f64_e64 v[20:21], v[20:21], -v[24:25]
	v_add_f64_e32 v[18:19], v[18:19], v[20:21]
	s_delay_alu instid0(VALU_DEP_1) | instskip(NEXT) | instid1(VALU_DEP_1)
	v_add_f64_e32 v[20:21], v[26:27], v[18:19]
	v_add_f64_e64 v[24:25], v[26:27], -v[20:21]
	s_delay_alu instid0(VALU_DEP_1) | instskip(SKIP_2) | instid1(VALU_DEP_2)
	v_add_f64_e32 v[18:19], v[18:19], v[24:25]
	v_mul_f64_e32 v[24:25], 0x3ac9cc01f97b57a0, v[22:23]
	v_cvt_i32_f64_e32 v22, v[22:23]
	v_add_f64_e64 v[26:27], v[20:21], -v[24:25]
	s_delay_alu instid0(VALU_DEP_1) | instskip(NEXT) | instid1(VALU_DEP_1)
	v_add_f64_e64 v[20:21], v[20:21], -v[26:27]
	v_add_f64_e64 v[20:21], v[20:21], -v[24:25]
	s_delay_alu instid0(VALU_DEP_1) | instskip(NEXT) | instid1(VALU_DEP_1)
	v_add_f64_e32 v[18:19], v[18:19], v[20:21]
	v_add_f64_e32 v[20:21], v[26:27], v[18:19]
	s_delay_alu instid0(VALU_DEP_1) | instskip(SKIP_1) | instid1(VALU_DEP_2)
	v_add_f64_e64 v[24:25], v[26:27], -v[20:21]
	v_mul_f64_e32 v[26:27], v[20:21], v[20:21]
	v_add_f64_e32 v[18:19], v[18:19], v[24:25]
	s_delay_alu instid0(VALU_DEP_2) | instskip(SKIP_1) | instid1(VALU_DEP_1)
	v_fma_f64 v[28:29], v[20:21], v[20:21], -v[26:27]
	v_fmamk_f64 v[24:25], v[20:21], 0x3e5ade156a5dcb37, v[12:13]
	v_fmaak_f64 v[24:25], v[20:21], v[24:25], 0x3ec71dee623fde64
	s_delay_alu instid0(VALU_DEP_1) | instskip(NEXT) | instid1(VALU_DEP_1)
	v_fmaak_f64 v[24:25], v[20:21], v[24:25], 0x3efa01997c89e6b0
	v_fmaak_f64 v[24:25], v[20:21], v[24:25], 0x3f2a01a014761f6e
	s_delay_alu instid0(VALU_DEP_1) | instskip(SKIP_1) | instid1(VALU_DEP_2)
	v_fmaak_f64 v[24:25], v[20:21], v[24:25], 0x3f56c16c1852b7b0
	v_add_f64_e32 v[30:31], v[18:19], v[18:19]
	v_fmaak_f64 v[24:25], v[20:21], v[24:25], 0x3f81111111122322
	s_delay_alu instid0(VALU_DEP_1) | instskip(NEXT) | instid1(VALU_DEP_1)
	v_fmaak_f64 v[24:25], v[20:21], v[24:25], 0x3fa55555555502a1
	v_fmaak_f64 v[24:25], v[20:21], v[24:25], 0x3fc5555555555511
	s_delay_alu instid0(VALU_DEP_1) | instskip(SKIP_1) | instid1(VALU_DEP_1)
	v_fmaak_f64 v[24:25], v[20:21], v[24:25], 0x3fe000000000000b
	v_fmac_f64_e32 v[28:29], v[20:21], v[30:31]
	v_add_f64_e32 v[30:31], v[26:27], v[28:29]
	s_delay_alu instid0(VALU_DEP_1) | instskip(NEXT) | instid1(VALU_DEP_1)
	v_add_f64_e64 v[26:27], v[30:31], -v[26:27]
	v_add_f64_e64 v[26:27], v[28:29], -v[26:27]
	v_mul_f64_e32 v[28:29], v[30:31], v[24:25]
	s_delay_alu instid0(VALU_DEP_1) | instskip(NEXT) | instid1(VALU_DEP_1)
	v_fma_f64 v[30:31], v[30:31], v[24:25], -v[28:29]
	v_fmac_f64_e32 v[30:31], v[26:27], v[24:25]
	s_delay_alu instid0(VALU_DEP_1) | instskip(NEXT) | instid1(VALU_DEP_1)
	v_add_f64_e32 v[24:25], v[28:29], v[30:31]
	v_add_f64_e64 v[26:27], v[24:25], -v[28:29]
	v_add_f64_e32 v[28:29], v[20:21], v[24:25]
	s_delay_alu instid0(VALU_DEP_2) | instskip(NEXT) | instid1(VALU_DEP_2)
	v_add_f64_e64 v[26:27], v[30:31], -v[26:27]
	v_add_f64_e64 v[20:21], v[28:29], -v[20:21]
	s_delay_alu instid0(VALU_DEP_2) | instskip(NEXT) | instid1(VALU_DEP_2)
	v_add_f64_e32 v[18:19], v[18:19], v[26:27]
	v_add_f64_e64 v[20:21], v[24:25], -v[20:21]
	s_delay_alu instid0(VALU_DEP_1) | instskip(NEXT) | instid1(VALU_DEP_1)
	v_add_f64_e32 v[18:19], v[18:19], v[20:21]
	v_add_f64_e32 v[20:21], v[28:29], v[18:19]
	s_delay_alu instid0(VALU_DEP_1) | instskip(NEXT) | instid1(VALU_DEP_1)
	v_add_f64_e64 v[24:25], v[20:21], -v[28:29]
	v_add_f64_e64 v[18:19], v[18:19], -v[24:25]
	v_add_f64_e32 v[24:25], 1.0, v[20:21]
	s_delay_alu instid0(VALU_DEP_1) | instskip(NEXT) | instid1(VALU_DEP_1)
	v_add_f64_e32 v[26:27], -1.0, v[24:25]
	v_add_f64_e64 v[20:21], v[20:21], -v[26:27]
	s_delay_alu instid0(VALU_DEP_1) | instskip(NEXT) | instid1(VALU_DEP_1)
	v_add_f64_e32 v[20:21], v[18:19], v[20:21]
	v_add_f64_e32 v[18:19], v[24:25], v[20:21]
	s_delay_alu instid0(VALU_DEP_1) | instskip(SKIP_1) | instid1(VALU_DEP_2)
	v_add_f64_e64 v[24:25], v[18:19], -v[24:25]
	v_ldexp_f64 v[18:19], v[18:19], v22
	v_add_f64_e64 v[20:21], v[20:21], -v[24:25]
	s_delay_alu instid0(VALU_DEP_1) | instskip(NEXT) | instid1(VALU_DEP_3)
	v_ldexp_f64 v[20:21], v[20:21], v22
	v_rcp_f64_e32 v[22:23], v[18:19]
	v_nop
	s_delay_alu instid0(TRANS32_DEP_1) | instskip(NEXT) | instid1(VALU_DEP_1)
	v_fma_f64 v[24:25], -v[18:19], v[22:23], 1.0
	v_fmac_f64_e32 v[22:23], v[24:25], v[22:23]
	s_delay_alu instid0(VALU_DEP_1) | instskip(NEXT) | instid1(VALU_DEP_1)
	v_fma_f64 v[24:25], -v[18:19], v[22:23], 1.0
	v_fmac_f64_e32 v[22:23], v[24:25], v[22:23]
	s_delay_alu instid0(VALU_DEP_1) | instskip(NEXT) | instid1(VALU_DEP_1)
	v_mul_f64_e32 v[24:25], v[18:19], v[22:23]
	v_fma_f64 v[26:27], v[22:23], v[18:19], -v[24:25]
	s_delay_alu instid0(VALU_DEP_1) | instskip(NEXT) | instid1(VALU_DEP_1)
	v_fmac_f64_e32 v[26:27], v[22:23], v[20:21]
	v_add_f64_e32 v[28:29], v[24:25], v[26:27]
	s_delay_alu instid0(VALU_DEP_1) | instskip(SKIP_1) | instid1(VALU_DEP_2)
	v_add_f64_e64 v[30:31], -v[28:29], 1.0
	v_add_f64_e64 v[24:25], v[28:29], -v[24:25]
	v_add_f64_e64 v[32:33], -v[30:31], 1.0
	s_delay_alu instid0(VALU_DEP_2) | instskip(NEXT) | instid1(VALU_DEP_2)
	v_add_f64_e64 v[24:25], v[24:25], -v[26:27]
	v_add_f64_e64 v[28:29], v[32:33], -v[28:29]
	s_delay_alu instid0(VALU_DEP_1) | instskip(NEXT) | instid1(VALU_DEP_1)
	v_add_f64_e32 v[24:25], v[24:25], v[28:29]
	v_add_f64_e32 v[26:27], v[30:31], v[24:25]
	s_delay_alu instid0(VALU_DEP_1) | instskip(NEXT) | instid1(VALU_DEP_1)
	v_add_f64_e64 v[28:29], v[30:31], -v[26:27]
	v_add_f64_e32 v[24:25], v[24:25], v[28:29]
	v_mul_f64_e32 v[28:29], v[22:23], v[26:27]
	s_delay_alu instid0(VALU_DEP_1) | instskip(NEXT) | instid1(VALU_DEP_1)
	v_mul_f64_e32 v[30:31], v[18:19], v[28:29]
	v_fma_f64 v[32:33], v[28:29], v[18:19], -v[30:31]
	s_delay_alu instid0(VALU_DEP_1) | instskip(NEXT) | instid1(VALU_DEP_1)
	v_fmac_f64_e32 v[32:33], v[28:29], v[20:21]
	v_add_f64_e32 v[34:35], v[30:31], v[32:33]
	s_delay_alu instid0(VALU_DEP_1) | instskip(SKIP_1) | instid1(VALU_DEP_2)
	v_add_f64_e64 v[36:37], v[26:27], -v[34:35]
	v_add_f64_e64 v[30:31], v[34:35], -v[30:31]
	;; [unrolled: 1-line block ×3, first 2 shown]
	s_delay_alu instid0(VALU_DEP_1) | instskip(NEXT) | instid1(VALU_DEP_1)
	v_add_f64_e64 v[26:27], v[26:27], -v[34:35]
	v_add_f64_e32 v[24:25], v[24:25], v[26:27]
	s_delay_alu instid0(VALU_DEP_4) | instskip(NEXT) | instid1(VALU_DEP_1)
	v_add_f64_e64 v[26:27], v[30:31], -v[32:33]
	v_add_f64_e32 v[24:25], v[26:27], v[24:25]
	v_add_f64_e32 v[26:27], v[22:23], v[28:29]
	s_delay_alu instid0(VALU_DEP_2) | instskip(NEXT) | instid1(VALU_DEP_1)
	v_add_f64_e32 v[24:25], v[36:37], v[24:25]
	v_mul_f64_e32 v[24:25], v[22:23], v[24:25]
	s_delay_alu instid0(VALU_DEP_3) | instskip(NEXT) | instid1(VALU_DEP_1)
	v_add_f64_e64 v[22:23], v[26:27], -v[22:23]
	v_add_f64_e64 v[22:23], v[28:29], -v[22:23]
	s_delay_alu instid0(VALU_DEP_1) | instskip(NEXT) | instid1(VALU_DEP_1)
	v_add_f64_e32 v[22:23], v[22:23], v[24:25]
	v_add_f64_e32 v[24:25], v[26:27], v[22:23]
	s_delay_alu instid0(VALU_DEP_1) | instskip(NEXT) | instid1(VALU_DEP_1)
	v_add_f64_e64 v[26:27], v[24:25], -v[26:27]
	v_add_f64_e64 v[22:23], v[22:23], -v[26:27]
	;; [unrolled: 1-line block ×3, first 2 shown]
	s_delay_alu instid0(VALU_DEP_1) | instskip(NEXT) | instid1(VALU_DEP_1)
	v_add_f64_e64 v[28:29], v[18:19], -v[26:27]
	v_add_f64_e64 v[28:29], v[28:29], -v[24:25]
	s_delay_alu instid0(VALU_DEP_1) | instskip(SKIP_1) | instid1(VALU_DEP_2)
	v_add_f64_e32 v[28:29], v[20:21], v[28:29]
	v_add_f64_e32 v[20:21], v[20:21], v[22:23]
	v_add_f64_e64 v[28:29], v[28:29], -v[22:23]
	s_delay_alu instid0(VALU_DEP_1) | instskip(NEXT) | instid1(VALU_DEP_1)
	v_add_f64_e32 v[30:31], v[26:27], v[28:29]
	v_add_f64_e64 v[26:27], v[30:31], -v[26:27]
	s_delay_alu instid0(VALU_DEP_1) | instskip(SKIP_1) | instid1(VALU_DEP_1)
	v_add_f64_e64 v[26:27], v[28:29], -v[26:27]
	v_add_f64_e32 v[28:29], v[18:19], v[24:25]
	v_add_f64_e64 v[18:19], v[28:29], -v[18:19]
	s_delay_alu instid0(VALU_DEP_1) | instskip(NEXT) | instid1(VALU_DEP_1)
	v_add_f64_e64 v[18:19], v[24:25], -v[18:19]
	v_add_f64_e32 v[18:19], v[20:21], v[18:19]
	s_delay_alu instid0(VALU_DEP_1) | instskip(NEXT) | instid1(VALU_DEP_1)
	v_add_f64_e32 v[20:21], v[28:29], v[18:19]
	v_add_f64_e64 v[22:23], v[20:21], -v[28:29]
	s_delay_alu instid0(VALU_DEP_1) | instskip(SKIP_2) | instid1(TRANS32_DEP_1)
	v_add_f64_e64 v[18:19], v[18:19], -v[22:23]
	v_rcp_f64_e32 v[22:23], v[20:21]
	v_nop
	v_fma_f64 v[24:25], -v[20:21], v[22:23], 1.0
	s_delay_alu instid0(VALU_DEP_1) | instskip(NEXT) | instid1(VALU_DEP_1)
	v_fmac_f64_e32 v[22:23], v[24:25], v[22:23]
	v_fma_f64 v[24:25], -v[20:21], v[22:23], 1.0
	s_delay_alu instid0(VALU_DEP_1) | instskip(NEXT) | instid1(VALU_DEP_1)
	v_fmac_f64_e32 v[22:23], v[24:25], v[22:23]
	v_mul_f64_e32 v[24:25], v[30:31], v[22:23]
	s_delay_alu instid0(VALU_DEP_1) | instskip(NEXT) | instid1(VALU_DEP_1)
	v_mul_f64_e32 v[28:29], v[20:21], v[24:25]
	v_fma_f64 v[20:21], v[24:25], v[20:21], -v[28:29]
	s_delay_alu instid0(VALU_DEP_1) | instskip(NEXT) | instid1(VALU_DEP_1)
	v_fmac_f64_e32 v[20:21], v[24:25], v[18:19]
	v_add_f64_e32 v[18:19], v[28:29], v[20:21]
	s_delay_alu instid0(VALU_DEP_1) | instskip(NEXT) | instid1(VALU_DEP_1)
	v_add_f64_e64 v[28:29], v[18:19], -v[28:29]
	v_add_f64_e64 v[20:21], v[20:21], -v[28:29]
	;; [unrolled: 1-line block ×3, first 2 shown]
	s_delay_alu instid0(VALU_DEP_1) | instskip(NEXT) | instid1(VALU_DEP_1)
	v_add_f64_e64 v[30:31], v[30:31], -v[28:29]
	v_add_f64_e64 v[18:19], v[30:31], -v[18:19]
	s_delay_alu instid0(VALU_DEP_1) | instskip(NEXT) | instid1(VALU_DEP_1)
	v_add_f64_e64 v[18:19], v[18:19], -v[20:21]
	v_add_f64_e32 v[18:19], v[26:27], v[18:19]
	s_delay_alu instid0(VALU_DEP_1) | instskip(NEXT) | instid1(VALU_DEP_1)
	v_add_f64_e32 v[18:19], v[28:29], v[18:19]
	v_mul_f64_e32 v[18:19], v[22:23], v[18:19]
	s_delay_alu instid0(VALU_DEP_1) | instskip(NEXT) | instid1(VALU_DEP_1)
	v_add_f64_e32 v[18:19], v[24:25], v[18:19]
	v_cndmask_b32_e32 v19, 0x3ff00000, v19, vcc_lo
	s_delay_alu instid0(VALU_DEP_2) | instskip(SKIP_1) | instid1(VALU_DEP_2)
	v_cndmask_b32_e32 v18, 0, v18, vcc_lo
	v_cmp_gt_f64_e64 vcc_lo, 0x3e400000, |v[4:5]|
	v_dual_cndmask_b32 v1, v19, v1 :: v_dual_cndmask_b32 v4, v18, v4
	v_add_nc_u64_e32 v[18:19], s[6:7], v[14:15]
	v_add_nc_u64_e32 v[14:15], s[16:17], v[14:15]
	s_delay_alu instid0(VALU_DEP_3)
	v_bfi_b32 v5, 0x7fffffff, v1, v5
	s_clause 0x1
	global_store_b128 v[18:19], v[6:9], off
	global_store_b128 v[18:19], v[2:5], off offset:16
	s_wait_xcnt 0x0
	v_lshlrev_b64_e32 v[2:3], 2, v[16:17]
	s_delay_alu instid0(VALU_DEP_1) | instskip(SKIP_1) | instid1(SALU_CYCLE_1)
	v_cmp_ge_i64_e32 vcc_lo, v[2:3], v[10:11]
	s_or_b32 s19, vcc_lo, s19
	s_and_not1_b32 exec_lo, exec_lo, s19
	s_cbranch_execnz .LBB153_3
.LBB153_4:
	s_or_b32 exec_lo, exec_lo, s18
	s_mov_b32 s10, 0
.LBB153_5:
	s_delay_alu instid0(SALU_CYCLE_1)
	s_and_not1_b32 vcc_lo, exec_lo, s10
	s_cbranch_vccnz .LBB153_25
; %bb.6:
	v_cmp_lt_i64_e64 s10, s[8:9], 1
	s_and_b32 vcc_lo, exec_lo, s10
	s_cbranch_vccnz .LBB153_25
; %bb.7:
	s_load_b32 s0, s[0:1], 0xc5c
	v_min_i64 v[2:3], 0x10000, s[8:9]
	v_min_u64 v[4:5], 0x10000, s[8:9]
	v_dual_mov_b32 v1, 0 :: v_dual_lshlrev_b32 v10, 3, v0
	s_mov_b32 s13, 0
	v_mov_b64_e32 v[28:29], 0x3e928af3fca7ab0c
	s_mov_b32 s17, s13
	s_delay_alu instid0(VALU_DEP_2)
	v_dual_mov_b32 v11, v1 :: v_dual_mov_b32 v27, v1
	s_wait_xcnt 0x0
	s_mov_b32 s1, s13
	s_mov_b32 s15, s13
	s_mov_b64 s[8:9], 0x3ff71547652b82fe
	v_add_nc_u64_e32 v[6:7], s[2:3], v[10:11]
	s_mov_b64 s[10:11], 0xbfe62e42fefa3000
                                        ; implicit-def: $vgpr30_vgpr31
                                        ; implicit-def: $vgpr30_vgpr31
                                        ; implicit-def: $vgpr30_vgpr31
                                        ; implicit-def: $vgpr30_vgpr31
                                        ; implicit-def: $vgpr30_vgpr31
                                        ; implicit-def: $vgpr30_vgpr31
                                        ; implicit-def: $vgpr30_vgpr31
                                        ; implicit-def: $vgpr30_vgpr31
	s_wait_kmcnt 0x0
	s_and_b32 s12, s0, 0xffff
	s_delay_alu instid0(SALU_CYCLE_1)
	v_add_nc_u64_e32 v[8:9], s[12:13], v[0:1]
	v_mad_nc_u64_u32 v[22:23], s12, 24, v[10:11]
	s_lshl_b32 s16, s12, 4
	s_mul_i32 s14, s12, 3
	v_add_nc_u64_e32 v[18:19], s[16:17], v[10:11]
	s_lshl_b32 s0, s12, 1
	v_add_nc_u64_e32 v[10:11], s[6:7], v[10:11]
	v_lshlrev_b32_e32 v26, 3, v8
	v_add_nc_u64_e32 v[12:13], s[14:15], v[0:1]
	v_add_nc_u64_e32 v[14:15], s[0:1], v[0:1]
	s_mov_b64 s[14:15], 0
	v_add_nc_u64_e32 v[16:17], s[2:3], v[18:19]
	v_add_nc_u64_e32 v[18:19], s[6:7], v[18:19]
	;; [unrolled: 1-line block ×6, first 2 shown]
	s_lshl_b32 s6, s12, 2
	s_mov_b32 s7, s13
	s_lshl_b32 s12, s12, 5
	s_branch .LBB153_9
.LBB153_8:                              ;   in Loop: Header=BB153_9 Depth=1
	s_wait_xcnt 0x0
	s_or_b32 exec_lo, exec_lo, s0
	s_add_nc_u64 s[14:15], s[14:15], s[6:7]
	v_add_nc_u64_e32 v[6:7], s[12:13], v[6:7]
	v_cmp_ge_i64_e32 vcc_lo, s[14:15], v[2:3]
	v_add_nc_u64_e32 v[10:11], s[12:13], v[10:11]
	v_add_nc_u64_e32 v[20:21], s[12:13], v[20:21]
	;; [unrolled: 1-line block ×7, first 2 shown]
	s_cbranch_vccnz .LBB153_25
.LBB153_9:                              ; =>This Inner Loop Header: Depth=1
	s_wait_loadcnt 0x0
	v_add_nc_u64_e32 v[30:31], s[14:15], v[0:1]
	v_mov_b64_e32 v[34:35], 0
	v_mov_b64_e32 v[36:37], 0
	s_delay_alu instid0(VALU_DEP_3)
	v_cmp_lt_u64_e64 s2, v[30:31], v[4:5]
	s_and_saveexec_b32 s0, s2
	s_cbranch_execz .LBB153_11
; %bb.10:                               ;   in Loop: Header=BB153_9 Depth=1
	v_add_nc_u64_e32 v[30:31], s[4:5], v[6:7]
	global_load_b64 v[36:37], v[30:31], off
.LBB153_11:                             ;   in Loop: Header=BB153_9 Depth=1
	s_wait_xcnt 0x0
	s_or_b32 exec_lo, exec_lo, s0
	v_add_nc_u64_e32 v[30:31], s[14:15], v[8:9]
	s_delay_alu instid0(VALU_DEP_1)
	v_cmp_lt_u64_e64 s1, v[30:31], v[4:5]
	s_and_saveexec_b32 s0, s1
	s_cbranch_execz .LBB153_13
; %bb.12:                               ;   in Loop: Header=BB153_9 Depth=1
	v_add_nc_u64_e32 v[30:31], s[4:5], v[24:25]
	global_load_b64 v[34:35], v[30:31], off
.LBB153_13:                             ;   in Loop: Header=BB153_9 Depth=1
	s_wait_xcnt 0x0
	s_or_b32 exec_lo, exec_lo, s0
	v_add_nc_u64_e32 v[32:33], s[14:15], v[14:15]
	v_mov_b64_e32 v[30:31], 0
	s_delay_alu instid0(VALU_DEP_2)
	v_cmp_lt_u64_e64 s0, v[32:33], v[4:5]
	v_mov_b64_e32 v[32:33], 0
	s_and_saveexec_b32 s3, s0
	s_cbranch_execz .LBB153_15
; %bb.14:                               ;   in Loop: Header=BB153_9 Depth=1
	v_add_nc_u64_e32 v[32:33], s[4:5], v[16:17]
	global_load_b64 v[32:33], v[32:33], off
.LBB153_15:                             ;   in Loop: Header=BB153_9 Depth=1
	s_wait_xcnt 0x0
	s_or_b32 exec_lo, exec_lo, s3
	v_add_nc_u64_e32 v[38:39], s[14:15], v[12:13]
	s_delay_alu instid0(VALU_DEP_1)
	v_cmp_lt_u64_e32 vcc_lo, v[38:39], v[4:5]
	s_and_saveexec_b32 s3, vcc_lo
	s_cbranch_execnz .LBB153_20
; %bb.16:                               ;   in Loop: Header=BB153_9 Depth=1
	s_or_b32 exec_lo, exec_lo, s3
	s_and_saveexec_b32 s3, s2
	s_cbranch_execnz .LBB153_21
.LBB153_17:                             ;   in Loop: Header=BB153_9 Depth=1
	s_or_b32 exec_lo, exec_lo, s3
	s_and_saveexec_b32 s2, s1
	s_cbranch_execnz .LBB153_22
.LBB153_18:                             ;   in Loop: Header=BB153_9 Depth=1
	s_or_b32 exec_lo, exec_lo, s2
	s_and_saveexec_b32 s1, s0
	s_cbranch_execnz .LBB153_23
.LBB153_19:                             ;   in Loop: Header=BB153_9 Depth=1
	s_or_b32 exec_lo, exec_lo, s1
	s_and_saveexec_b32 s0, vcc_lo
	s_cbranch_execz .LBB153_8
	s_branch .LBB153_24
.LBB153_20:                             ;   in Loop: Header=BB153_9 Depth=1
	v_add_nc_u64_e32 v[30:31], s[4:5], v[20:21]
	global_load_b64 v[30:31], v[30:31], off
	s_wait_xcnt 0x0
	s_or_b32 exec_lo, exec_lo, s3
	s_and_saveexec_b32 s3, s2
	s_cbranch_execz .LBB153_17
.LBB153_21:                             ;   in Loop: Header=BB153_9 Depth=1
	s_wait_loadcnt 0x0
	v_mul_f64_e64 v[38:39], |v[36:37]|, s[8:9]
	v_cmp_nlt_f64_e64 s2, 0x40331000, |v[36:37]|
	s_delay_alu instid0(VALU_DEP_2) | instskip(NEXT) | instid1(VALU_DEP_1)
	v_rndne_f64_e32 v[38:39], v[38:39]
	v_fma_f64 v[40:41], v[38:39], s[10:11], |v[36:37]|
	v_mul_f64_e32 v[42:43], 0xbd53de6af278e000, v[38:39]
	s_delay_alu instid0(VALU_DEP_2) | instskip(NEXT) | instid1(VALU_DEP_1)
	v_add_f64_e32 v[44:45], 0, v[40:41]
	v_add_f64_e32 v[46:47], v[44:45], v[42:43]
	v_add_f64_e64 v[40:41], v[40:41], -v[44:45]
	s_delay_alu instid0(VALU_DEP_2) | instskip(NEXT) | instid1(VALU_DEP_2)
	v_add_f64_e64 v[44:45], v[44:45], -v[46:47]
	v_add_f64_e32 v[40:41], 0, v[40:41]
	s_delay_alu instid0(VALU_DEP_2) | instskip(NEXT) | instid1(VALU_DEP_1)
	v_add_f64_e32 v[42:43], v[44:45], v[42:43]
	v_add_f64_e32 v[40:41], v[40:41], v[42:43]
	v_mul_f64_e32 v[42:43], 0xbac9cc01f97b57a0, v[38:39]
	s_delay_alu instid0(VALU_DEP_2) | instskip(NEXT) | instid1(VALU_DEP_1)
	v_add_f64_e32 v[44:45], v[46:47], v[40:41]
	v_add_f64_e32 v[48:49], v[44:45], v[42:43]
	v_add_f64_e64 v[46:47], v[46:47], -v[44:45]
	s_delay_alu instid0(VALU_DEP_2) | instskip(NEXT) | instid1(VALU_DEP_2)
	v_add_f64_e64 v[44:45], v[44:45], -v[48:49]
	v_add_f64_e32 v[40:41], v[40:41], v[46:47]
	s_delay_alu instid0(VALU_DEP_2) | instskip(NEXT) | instid1(VALU_DEP_1)
	v_add_f64_e32 v[42:43], v[44:45], v[42:43]
	v_add_f64_e32 v[40:41], v[40:41], v[42:43]
	s_delay_alu instid0(VALU_DEP_1) | instskip(NEXT) | instid1(VALU_DEP_1)
	v_add_f64_e32 v[42:43], v[48:49], v[40:41]
	v_add_f64_e64 v[44:45], v[48:49], -v[42:43]
	v_mul_f64_e32 v[46:47], v[42:43], v[42:43]
	s_delay_alu instid0(VALU_DEP_2) | instskip(NEXT) | instid1(VALU_DEP_2)
	v_add_f64_e32 v[40:41], v[40:41], v[44:45]
	v_fma_f64 v[44:45], v[42:43], v[42:43], -v[46:47]
	s_delay_alu instid0(VALU_DEP_2) | instskip(NEXT) | instid1(VALU_DEP_1)
	v_add_f64_e32 v[48:49], v[40:41], v[40:41]
	v_fmac_f64_e32 v[44:45], v[42:43], v[48:49]
	v_fmamk_f64 v[48:49], v[42:43], 0x3e5ade156a5dcb37, v[28:29]
	s_delay_alu instid0(VALU_DEP_1) | instskip(NEXT) | instid1(VALU_DEP_1)
	v_fmaak_f64 v[48:49], v[42:43], v[48:49], 0x3ec71dee623fde64
	v_fmaak_f64 v[48:49], v[42:43], v[48:49], 0x3efa01997c89e6b0
	s_delay_alu instid0(VALU_DEP_1) | instskip(NEXT) | instid1(VALU_DEP_1)
	v_fmaak_f64 v[48:49], v[42:43], v[48:49], 0x3f2a01a014761f6e
	v_fmaak_f64 v[48:49], v[42:43], v[48:49], 0x3f56c16c1852b7b0
	v_add_f64_e32 v[50:51], v[46:47], v[44:45]
	s_delay_alu instid0(VALU_DEP_2) | instskip(NEXT) | instid1(VALU_DEP_1)
	v_fmaak_f64 v[48:49], v[42:43], v[48:49], 0x3f81111111122322
	v_fmaak_f64 v[48:49], v[42:43], v[48:49], 0x3fa55555555502a1
	s_delay_alu instid0(VALU_DEP_1) | instskip(NEXT) | instid1(VALU_DEP_1)
	v_fmaak_f64 v[48:49], v[42:43], v[48:49], 0x3fc5555555555511
	v_fmaak_f64 v[48:49], v[42:43], v[48:49], 0x3fe000000000000b
	v_add_f64_e64 v[46:47], v[50:51], -v[46:47]
	s_delay_alu instid0(VALU_DEP_2) | instskip(NEXT) | instid1(VALU_DEP_2)
	v_mul_f64_e32 v[52:53], v[50:51], v[48:49]
	v_add_f64_e64 v[44:45], v[44:45], -v[46:47]
	s_delay_alu instid0(VALU_DEP_2) | instskip(NEXT) | instid1(VALU_DEP_1)
	v_fma_f64 v[46:47], v[50:51], v[48:49], -v[52:53]
	v_fmac_f64_e32 v[46:47], v[44:45], v[48:49]
	s_delay_alu instid0(VALU_DEP_1) | instskip(NEXT) | instid1(VALU_DEP_1)
	v_add_f64_e32 v[44:45], v[52:53], v[46:47]
	v_add_f64_e64 v[48:49], v[44:45], -v[52:53]
	v_add_f64_e32 v[50:51], v[42:43], v[44:45]
	s_delay_alu instid0(VALU_DEP_2) | instskip(NEXT) | instid1(VALU_DEP_2)
	v_add_f64_e64 v[46:47], v[46:47], -v[48:49]
	v_add_f64_e64 v[42:43], v[50:51], -v[42:43]
	s_delay_alu instid0(VALU_DEP_2) | instskip(NEXT) | instid1(VALU_DEP_2)
	v_add_f64_e32 v[40:41], v[40:41], v[46:47]
	v_add_f64_e64 v[42:43], v[44:45], -v[42:43]
	s_delay_alu instid0(VALU_DEP_1) | instskip(NEXT) | instid1(VALU_DEP_1)
	v_add_f64_e32 v[40:41], v[40:41], v[42:43]
	v_add_f64_e32 v[42:43], v[50:51], v[40:41]
	s_delay_alu instid0(VALU_DEP_1) | instskip(SKIP_2) | instid1(VALU_DEP_3)
	v_add_f64_e32 v[44:45], 1.0, v[42:43]
	v_add_f64_e64 v[46:47], v[42:43], -v[50:51]
	v_cvt_i32_f64_e32 v50, v[38:39]
	v_add_f64_e32 v[48:49], -1.0, v[44:45]
	s_delay_alu instid0(VALU_DEP_3) | instskip(NEXT) | instid1(VALU_DEP_2)
	v_add_f64_e64 v[40:41], v[40:41], -v[46:47]
	v_add_f64_e64 v[42:43], v[42:43], -v[48:49]
	s_delay_alu instid0(VALU_DEP_1) | instskip(NEXT) | instid1(VALU_DEP_1)
	v_add_f64_e32 v[40:41], v[40:41], v[42:43]
	v_add_f64_e32 v[38:39], v[44:45], v[40:41]
	s_delay_alu instid0(VALU_DEP_1) | instskip(SKIP_1) | instid1(VALU_DEP_2)
	v_ldexp_f64 v[42:43], v[38:39], v50
	v_add_f64_e64 v[38:39], v[38:39], -v[44:45]
	v_rcp_f64_e32 v[46:47], v[42:43]
	s_delay_alu instid0(VALU_DEP_1) | instskip(NEXT) | instid1(VALU_DEP_1)
	v_add_f64_e64 v[38:39], v[40:41], -v[38:39]
	v_ldexp_f64 v[38:39], v[38:39], v50
	s_delay_alu instid0(TRANS32_DEP_1) | instskip(NEXT) | instid1(VALU_DEP_1)
	v_fma_f64 v[48:49], -v[42:43], v[46:47], 1.0
	v_fmac_f64_e32 v[46:47], v[48:49], v[46:47]
	s_delay_alu instid0(VALU_DEP_1) | instskip(NEXT) | instid1(VALU_DEP_1)
	v_fma_f64 v[48:49], -v[42:43], v[46:47], 1.0
	v_fmac_f64_e32 v[46:47], v[48:49], v[46:47]
	s_delay_alu instid0(VALU_DEP_1) | instskip(NEXT) | instid1(VALU_DEP_1)
	v_mul_f64_e32 v[40:41], v[42:43], v[46:47]
	v_fma_f64 v[44:45], v[46:47], v[42:43], -v[40:41]
	s_delay_alu instid0(VALU_DEP_1) | instskip(NEXT) | instid1(VALU_DEP_1)
	v_fmac_f64_e32 v[44:45], v[46:47], v[38:39]
	v_add_f64_e32 v[48:49], v[40:41], v[44:45]
	s_delay_alu instid0(VALU_DEP_1) | instskip(SKIP_1) | instid1(VALU_DEP_2)
	v_add_f64_e64 v[50:51], -v[48:49], 1.0
	v_add_f64_e64 v[40:41], v[48:49], -v[40:41]
	v_add_f64_e64 v[52:53], -v[50:51], 1.0
	s_delay_alu instid0(VALU_DEP_2) | instskip(NEXT) | instid1(VALU_DEP_2)
	v_add_f64_e64 v[40:41], v[40:41], -v[44:45]
	v_add_f64_e64 v[44:45], v[52:53], -v[48:49]
	s_delay_alu instid0(VALU_DEP_1) | instskip(NEXT) | instid1(VALU_DEP_1)
	v_add_f64_e32 v[40:41], v[40:41], v[44:45]
	v_add_f64_e32 v[44:45], v[50:51], v[40:41]
	s_delay_alu instid0(VALU_DEP_1) | instskip(SKIP_1) | instid1(VALU_DEP_2)
	v_mul_f64_e32 v[48:49], v[46:47], v[44:45]
	v_add_f64_e64 v[50:51], v[50:51], -v[44:45]
	v_mul_f64_e32 v[52:53], v[42:43], v[48:49]
	s_delay_alu instid0(VALU_DEP_2) | instskip(NEXT) | instid1(VALU_DEP_2)
	v_add_f64_e32 v[40:41], v[40:41], v[50:51]
	v_fma_f64 v[54:55], v[48:49], v[42:43], -v[52:53]
	s_delay_alu instid0(VALU_DEP_1) | instskip(NEXT) | instid1(VALU_DEP_1)
	v_fmac_f64_e32 v[54:55], v[48:49], v[38:39]
	v_add_f64_e32 v[56:57], v[52:53], v[54:55]
	s_delay_alu instid0(VALU_DEP_1) | instskip(SKIP_1) | instid1(VALU_DEP_2)
	v_add_f64_e64 v[58:59], v[44:45], -v[56:57]
	v_add_f64_e64 v[50:51], v[56:57], -v[52:53]
	;; [unrolled: 1-line block ×3, first 2 shown]
	s_delay_alu instid0(VALU_DEP_2) | instskip(NEXT) | instid1(VALU_DEP_2)
	v_add_f64_e64 v[50:51], v[50:51], -v[54:55]
	v_add_f64_e64 v[44:45], v[44:45], -v[56:57]
	s_delay_alu instid0(VALU_DEP_1) | instskip(SKIP_1) | instid1(VALU_DEP_2)
	v_add_f64_e32 v[40:41], v[40:41], v[44:45]
	v_add_f64_e32 v[44:45], v[46:47], v[48:49]
	;; [unrolled: 1-line block ×3, first 2 shown]
	s_delay_alu instid0(VALU_DEP_2) | instskip(NEXT) | instid1(VALU_DEP_2)
	v_add_f64_e64 v[50:51], v[44:45], -v[46:47]
	v_add_f64_e32 v[40:41], v[58:59], v[40:41]
	s_delay_alu instid0(VALU_DEP_2) | instskip(NEXT) | instid1(VALU_DEP_2)
	v_add_f64_e64 v[48:49], v[48:49], -v[50:51]
	v_mul_f64_e32 v[40:41], v[46:47], v[40:41]
	s_delay_alu instid0(VALU_DEP_1) | instskip(NEXT) | instid1(VALU_DEP_1)
	v_add_f64_e32 v[40:41], v[48:49], v[40:41]
	v_add_f64_e32 v[46:47], v[44:45], v[40:41]
	s_delay_alu instid0(VALU_DEP_1) | instskip(SKIP_2) | instid1(VALU_DEP_3)
	v_add_f64_e64 v[44:45], v[46:47], -v[44:45]
	v_add_f64_e32 v[48:49], v[42:43], v[46:47]
	v_add_f64_e64 v[52:53], v[42:43], -v[46:47]
	v_add_f64_e64 v[40:41], v[40:41], -v[44:45]
	s_delay_alu instid0(VALU_DEP_3) | instskip(NEXT) | instid1(VALU_DEP_3)
	v_add_f64_e64 v[44:45], v[48:49], -v[42:43]
	v_add_f64_e64 v[42:43], v[42:43], -v[52:53]
	s_delay_alu instid0(VALU_DEP_3) | instskip(NEXT) | instid1(VALU_DEP_3)
	v_add_f64_e32 v[50:51], v[38:39], v[40:41]
	v_add_f64_e64 v[44:45], v[46:47], -v[44:45]
	s_delay_alu instid0(VALU_DEP_3) | instskip(NEXT) | instid1(VALU_DEP_2)
	v_add_f64_e64 v[42:43], v[42:43], -v[46:47]
	v_add_f64_e32 v[44:45], v[50:51], v[44:45]
	s_delay_alu instid0(VALU_DEP_2) | instskip(NEXT) | instid1(VALU_DEP_2)
	v_add_f64_e32 v[38:39], v[38:39], v[42:43]
	v_add_f64_e32 v[50:51], v[48:49], v[44:45]
	s_delay_alu instid0(VALU_DEP_2) | instskip(NEXT) | instid1(VALU_DEP_2)
	v_add_f64_e64 v[38:39], v[38:39], -v[40:41]
	v_rcp_f64_e32 v[54:55], v[50:51]
	s_delay_alu instid0(VALU_DEP_1) | instskip(NEXT) | instid1(TRANS32_DEP_1)
	v_add_f64_e32 v[42:43], v[52:53], v[38:39]
	v_fma_f64 v[46:47], -v[50:51], v[54:55], 1.0
	s_delay_alu instid0(VALU_DEP_1) | instskip(SKIP_1) | instid1(VALU_DEP_2)
	v_fmac_f64_e32 v[54:55], v[46:47], v[54:55]
	v_add_f64_e64 v[46:47], v[50:51], -v[48:49]
	v_fma_f64 v[40:41], -v[50:51], v[54:55], 1.0
	s_delay_alu instid0(VALU_DEP_2) | instskip(NEXT) | instid1(VALU_DEP_2)
	v_add_f64_e64 v[44:45], v[44:45], -v[46:47]
	v_fmac_f64_e32 v[54:55], v[40:41], v[54:55]
	s_delay_alu instid0(VALU_DEP_1) | instskip(NEXT) | instid1(VALU_DEP_1)
	v_mul_f64_e32 v[40:41], v[42:43], v[54:55]
	v_mul_f64_e32 v[48:49], v[50:51], v[40:41]
	s_delay_alu instid0(VALU_DEP_1) | instskip(NEXT) | instid1(VALU_DEP_1)
	v_fma_f64 v[46:47], v[40:41], v[50:51], -v[48:49]
	v_fmac_f64_e32 v[46:47], v[40:41], v[44:45]
	s_delay_alu instid0(VALU_DEP_1) | instskip(NEXT) | instid1(VALU_DEP_1)
	v_add_f64_e32 v[44:45], v[48:49], v[46:47]
	v_add_f64_e64 v[50:51], v[42:43], -v[44:45]
	v_add_f64_e64 v[48:49], v[44:45], -v[48:49]
	s_delay_alu instid0(VALU_DEP_2) | instskip(SKIP_1) | instid1(VALU_DEP_3)
	v_add_f64_e64 v[56:57], v[42:43], -v[50:51]
	v_add_f64_e64 v[42:43], v[42:43], -v[52:53]
	;; [unrolled: 1-line block ×3, first 2 shown]
	s_delay_alu instid0(VALU_DEP_3) | instskip(NEXT) | instid1(VALU_DEP_3)
	v_add_f64_e64 v[44:45], v[56:57], -v[44:45]
	v_add_f64_e64 v[38:39], v[38:39], -v[42:43]
	s_delay_alu instid0(VALU_DEP_2) | instskip(NEXT) | instid1(VALU_DEP_1)
	v_add_f64_e64 v[42:43], v[44:45], -v[46:47]
	v_add_f64_e32 v[38:39], v[38:39], v[42:43]
	s_delay_alu instid0(VALU_DEP_1) | instskip(NEXT) | instid1(VALU_DEP_1)
	v_add_f64_e32 v[38:39], v[50:51], v[38:39]
	v_mul_f64_e32 v[38:39], v[54:55], v[38:39]
	s_delay_alu instid0(VALU_DEP_1) | instskip(SKIP_1) | instid1(VALU_DEP_2)
	v_add_f64_e32 v[38:39], v[40:41], v[38:39]
	v_and_b32_e32 v40, 0x7fffffff, v37
	v_cndmask_b32_e64 v39, 0x3ff00000, v39, s2
	s_delay_alu instid0(VALU_DEP_3) | instskip(SKIP_1) | instid1(VALU_DEP_1)
	v_cndmask_b32_e64 v38, 0, v38, s2
	v_cmp_gt_f64_e64 s2, 0x3e400000, |v[36:37]|
	v_cndmask_b32_e64 v40, v39, v40, s2
	s_delay_alu instid0(VALU_DEP_3) | instskip(SKIP_1) | instid1(VALU_DEP_3)
	v_cndmask_b32_e64 v36, v38, v36, s2
	v_add_nc_u64_e32 v[38:39], s[4:5], v[10:11]
	v_bfi_b32 v37, 0x7fffffff, v40, v37
	global_store_b64 v[38:39], v[36:37], off
	s_wait_xcnt 0x0
	s_or_b32 exec_lo, exec_lo, s3
	s_and_saveexec_b32 s2, s1
	s_cbranch_execz .LBB153_18
.LBB153_22:                             ;   in Loop: Header=BB153_9 Depth=1
	s_wait_loadcnt 0x0
	v_mul_f64_e64 v[36:37], |v[34:35]|, s[8:9]
	v_cmp_nlt_f64_e64 s1, 0x40331000, |v[34:35]|
	s_delay_alu instid0(VALU_DEP_2) | instskip(NEXT) | instid1(VALU_DEP_1)
	v_rndne_f64_e32 v[36:37], v[36:37]
	v_fma_f64 v[38:39], v[36:37], s[10:11], |v[34:35]|
	v_mul_f64_e32 v[40:41], 0xbd53de6af278e000, v[36:37]
	s_delay_alu instid0(VALU_DEP_2) | instskip(NEXT) | instid1(VALU_DEP_1)
	v_add_f64_e32 v[42:43], 0, v[38:39]
	v_add_f64_e32 v[44:45], v[42:43], v[40:41]
	v_add_f64_e64 v[38:39], v[38:39], -v[42:43]
	s_delay_alu instid0(VALU_DEP_2) | instskip(NEXT) | instid1(VALU_DEP_2)
	v_add_f64_e64 v[42:43], v[42:43], -v[44:45]
	v_add_f64_e32 v[38:39], 0, v[38:39]
	s_delay_alu instid0(VALU_DEP_2) | instskip(NEXT) | instid1(VALU_DEP_1)
	v_add_f64_e32 v[40:41], v[42:43], v[40:41]
	v_add_f64_e32 v[38:39], v[38:39], v[40:41]
	v_mul_f64_e32 v[40:41], 0xbac9cc01f97b57a0, v[36:37]
	s_delay_alu instid0(VALU_DEP_2) | instskip(NEXT) | instid1(VALU_DEP_1)
	v_add_f64_e32 v[42:43], v[44:45], v[38:39]
	v_add_f64_e32 v[46:47], v[42:43], v[40:41]
	v_add_f64_e64 v[44:45], v[44:45], -v[42:43]
	s_delay_alu instid0(VALU_DEP_2) | instskip(NEXT) | instid1(VALU_DEP_2)
	v_add_f64_e64 v[42:43], v[42:43], -v[46:47]
	v_add_f64_e32 v[38:39], v[38:39], v[44:45]
	s_delay_alu instid0(VALU_DEP_2) | instskip(NEXT) | instid1(VALU_DEP_1)
	v_add_f64_e32 v[40:41], v[42:43], v[40:41]
	v_add_f64_e32 v[38:39], v[38:39], v[40:41]
	s_delay_alu instid0(VALU_DEP_1) | instskip(NEXT) | instid1(VALU_DEP_1)
	v_add_f64_e32 v[40:41], v[46:47], v[38:39]
	v_add_f64_e64 v[42:43], v[46:47], -v[40:41]
	v_mul_f64_e32 v[44:45], v[40:41], v[40:41]
	s_delay_alu instid0(VALU_DEP_2) | instskip(NEXT) | instid1(VALU_DEP_2)
	v_add_f64_e32 v[38:39], v[38:39], v[42:43]
	v_fma_f64 v[42:43], v[40:41], v[40:41], -v[44:45]
	s_delay_alu instid0(VALU_DEP_2) | instskip(NEXT) | instid1(VALU_DEP_1)
	v_add_f64_e32 v[46:47], v[38:39], v[38:39]
	v_fmac_f64_e32 v[42:43], v[40:41], v[46:47]
	v_fmamk_f64 v[46:47], v[40:41], 0x3e5ade156a5dcb37, v[28:29]
	s_delay_alu instid0(VALU_DEP_1) | instskip(NEXT) | instid1(VALU_DEP_1)
	v_fmaak_f64 v[46:47], v[40:41], v[46:47], 0x3ec71dee623fde64
	v_fmaak_f64 v[46:47], v[40:41], v[46:47], 0x3efa01997c89e6b0
	s_delay_alu instid0(VALU_DEP_1) | instskip(NEXT) | instid1(VALU_DEP_1)
	v_fmaak_f64 v[46:47], v[40:41], v[46:47], 0x3f2a01a014761f6e
	v_fmaak_f64 v[46:47], v[40:41], v[46:47], 0x3f56c16c1852b7b0
	v_add_f64_e32 v[48:49], v[44:45], v[42:43]
	s_delay_alu instid0(VALU_DEP_2) | instskip(NEXT) | instid1(VALU_DEP_1)
	v_fmaak_f64 v[46:47], v[40:41], v[46:47], 0x3f81111111122322
	v_fmaak_f64 v[46:47], v[40:41], v[46:47], 0x3fa55555555502a1
	s_delay_alu instid0(VALU_DEP_1) | instskip(NEXT) | instid1(VALU_DEP_1)
	v_fmaak_f64 v[46:47], v[40:41], v[46:47], 0x3fc5555555555511
	v_fmaak_f64 v[46:47], v[40:41], v[46:47], 0x3fe000000000000b
	v_add_f64_e64 v[44:45], v[48:49], -v[44:45]
	s_delay_alu instid0(VALU_DEP_2) | instskip(NEXT) | instid1(VALU_DEP_2)
	v_mul_f64_e32 v[50:51], v[48:49], v[46:47]
	v_add_f64_e64 v[42:43], v[42:43], -v[44:45]
	s_delay_alu instid0(VALU_DEP_2) | instskip(NEXT) | instid1(VALU_DEP_1)
	v_fma_f64 v[44:45], v[48:49], v[46:47], -v[50:51]
	v_fmac_f64_e32 v[44:45], v[42:43], v[46:47]
	s_delay_alu instid0(VALU_DEP_1) | instskip(NEXT) | instid1(VALU_DEP_1)
	v_add_f64_e32 v[42:43], v[50:51], v[44:45]
	v_add_f64_e32 v[46:47], v[40:41], v[42:43]
	v_add_f64_e64 v[48:49], v[42:43], -v[50:51]
	s_delay_alu instid0(VALU_DEP_2) | instskip(NEXT) | instid1(VALU_DEP_2)
	v_add_f64_e64 v[40:41], v[46:47], -v[40:41]
	v_add_f64_e64 v[44:45], v[44:45], -v[48:49]
	v_cvt_i32_f64_e32 v48, v[36:37]
	s_delay_alu instid0(VALU_DEP_3) | instskip(NEXT) | instid1(VALU_DEP_3)
	v_add_f64_e64 v[40:41], v[42:43], -v[40:41]
	v_add_f64_e32 v[38:39], v[38:39], v[44:45]
	s_delay_alu instid0(VALU_DEP_1) | instskip(NEXT) | instid1(VALU_DEP_1)
	v_add_f64_e32 v[38:39], v[38:39], v[40:41]
	v_add_f64_e32 v[40:41], v[46:47], v[38:39]
	s_delay_alu instid0(VALU_DEP_1) | instskip(SKIP_1) | instid1(VALU_DEP_2)
	v_add_f64_e32 v[42:43], 1.0, v[40:41]
	v_add_f64_e64 v[44:45], v[40:41], -v[46:47]
	v_add_f64_e32 v[46:47], -1.0, v[42:43]
	s_delay_alu instid0(VALU_DEP_2) | instskip(NEXT) | instid1(VALU_DEP_2)
	v_add_f64_e64 v[38:39], v[38:39], -v[44:45]
	v_add_f64_e64 v[40:41], v[40:41], -v[46:47]
	s_delay_alu instid0(VALU_DEP_1) | instskip(NEXT) | instid1(VALU_DEP_1)
	v_add_f64_e32 v[38:39], v[38:39], v[40:41]
	v_add_f64_e32 v[36:37], v[42:43], v[38:39]
	s_delay_alu instid0(VALU_DEP_1) | instskip(SKIP_1) | instid1(VALU_DEP_2)
	v_ldexp_f64 v[40:41], v[36:37], v48
	v_add_f64_e64 v[36:37], v[36:37], -v[42:43]
	v_rcp_f64_e32 v[44:45], v[40:41]
	s_delay_alu instid0(VALU_DEP_1) | instskip(NEXT) | instid1(VALU_DEP_1)
	v_add_f64_e64 v[36:37], v[38:39], -v[36:37]
	v_ldexp_f64 v[36:37], v[36:37], v48
	s_delay_alu instid0(TRANS32_DEP_1) | instskip(NEXT) | instid1(VALU_DEP_1)
	v_fma_f64 v[46:47], -v[40:41], v[44:45], 1.0
	v_fmac_f64_e32 v[44:45], v[46:47], v[44:45]
	s_delay_alu instid0(VALU_DEP_1) | instskip(NEXT) | instid1(VALU_DEP_1)
	v_fma_f64 v[46:47], -v[40:41], v[44:45], 1.0
	v_fmac_f64_e32 v[44:45], v[46:47], v[44:45]
	s_delay_alu instid0(VALU_DEP_1) | instskip(NEXT) | instid1(VALU_DEP_1)
	v_mul_f64_e32 v[38:39], v[40:41], v[44:45]
	v_fma_f64 v[42:43], v[44:45], v[40:41], -v[38:39]
	s_delay_alu instid0(VALU_DEP_1) | instskip(NEXT) | instid1(VALU_DEP_1)
	v_fmac_f64_e32 v[42:43], v[44:45], v[36:37]
	v_add_f64_e32 v[46:47], v[38:39], v[42:43]
	s_delay_alu instid0(VALU_DEP_1) | instskip(SKIP_1) | instid1(VALU_DEP_2)
	v_add_f64_e64 v[48:49], -v[46:47], 1.0
	v_add_f64_e64 v[38:39], v[46:47], -v[38:39]
	v_add_f64_e64 v[50:51], -v[48:49], 1.0
	s_delay_alu instid0(VALU_DEP_2) | instskip(NEXT) | instid1(VALU_DEP_2)
	v_add_f64_e64 v[38:39], v[38:39], -v[42:43]
	v_add_f64_e64 v[42:43], v[50:51], -v[46:47]
	s_delay_alu instid0(VALU_DEP_1) | instskip(NEXT) | instid1(VALU_DEP_1)
	v_add_f64_e32 v[38:39], v[38:39], v[42:43]
	v_add_f64_e32 v[42:43], v[48:49], v[38:39]
	s_delay_alu instid0(VALU_DEP_1) | instskip(SKIP_1) | instid1(VALU_DEP_2)
	v_mul_f64_e32 v[46:47], v[44:45], v[42:43]
	v_add_f64_e64 v[48:49], v[48:49], -v[42:43]
	v_mul_f64_e32 v[50:51], v[40:41], v[46:47]
	s_delay_alu instid0(VALU_DEP_2) | instskip(NEXT) | instid1(VALU_DEP_2)
	v_add_f64_e32 v[38:39], v[38:39], v[48:49]
	v_fma_f64 v[52:53], v[46:47], v[40:41], -v[50:51]
	s_delay_alu instid0(VALU_DEP_1) | instskip(NEXT) | instid1(VALU_DEP_1)
	v_fmac_f64_e32 v[52:53], v[46:47], v[36:37]
	v_add_f64_e32 v[54:55], v[50:51], v[52:53]
	s_delay_alu instid0(VALU_DEP_1) | instskip(SKIP_1) | instid1(VALU_DEP_2)
	v_add_f64_e64 v[56:57], v[42:43], -v[54:55]
	v_add_f64_e64 v[48:49], v[54:55], -v[50:51]
	;; [unrolled: 1-line block ×3, first 2 shown]
	s_delay_alu instid0(VALU_DEP_2) | instskip(NEXT) | instid1(VALU_DEP_2)
	v_add_f64_e64 v[48:49], v[48:49], -v[52:53]
	v_add_f64_e64 v[42:43], v[42:43], -v[54:55]
	s_delay_alu instid0(VALU_DEP_1) | instskip(SKIP_1) | instid1(VALU_DEP_2)
	v_add_f64_e32 v[38:39], v[38:39], v[42:43]
	v_add_f64_e32 v[42:43], v[44:45], v[46:47]
	;; [unrolled: 1-line block ×3, first 2 shown]
	s_delay_alu instid0(VALU_DEP_2) | instskip(NEXT) | instid1(VALU_DEP_2)
	v_add_f64_e64 v[48:49], v[42:43], -v[44:45]
	v_add_f64_e32 v[38:39], v[56:57], v[38:39]
	s_delay_alu instid0(VALU_DEP_2) | instskip(NEXT) | instid1(VALU_DEP_2)
	v_add_f64_e64 v[46:47], v[46:47], -v[48:49]
	v_mul_f64_e32 v[38:39], v[44:45], v[38:39]
	s_delay_alu instid0(VALU_DEP_1) | instskip(NEXT) | instid1(VALU_DEP_1)
	v_add_f64_e32 v[38:39], v[46:47], v[38:39]
	v_add_f64_e32 v[44:45], v[42:43], v[38:39]
	s_delay_alu instid0(VALU_DEP_1) | instskip(SKIP_2) | instid1(VALU_DEP_3)
	v_add_f64_e32 v[46:47], v[40:41], v[44:45]
	v_add_f64_e64 v[42:43], v[44:45], -v[42:43]
	v_add_f64_e64 v[50:51], v[40:41], -v[44:45]
	;; [unrolled: 1-line block ×3, first 2 shown]
	s_delay_alu instid0(VALU_DEP_3) | instskip(NEXT) | instid1(VALU_DEP_3)
	v_add_f64_e64 v[38:39], v[38:39], -v[42:43]
	v_add_f64_e64 v[40:41], v[40:41], -v[50:51]
	s_delay_alu instid0(VALU_DEP_3) | instskip(NEXT) | instid1(VALU_DEP_3)
	v_add_f64_e64 v[42:43], v[44:45], -v[48:49]
	v_add_f64_e32 v[48:49], v[36:37], v[38:39]
	s_delay_alu instid0(VALU_DEP_3) | instskip(NEXT) | instid1(VALU_DEP_2)
	v_add_f64_e64 v[40:41], v[40:41], -v[44:45]
	v_add_f64_e32 v[42:43], v[48:49], v[42:43]
	s_delay_alu instid0(VALU_DEP_2) | instskip(NEXT) | instid1(VALU_DEP_2)
	v_add_f64_e32 v[36:37], v[36:37], v[40:41]
	v_add_f64_e32 v[48:49], v[46:47], v[42:43]
	s_delay_alu instid0(VALU_DEP_2) | instskip(NEXT) | instid1(VALU_DEP_2)
	v_add_f64_e64 v[36:37], v[36:37], -v[38:39]
	v_rcp_f64_e32 v[52:53], v[48:49]
	s_delay_alu instid0(VALU_DEP_1) | instskip(NEXT) | instid1(TRANS32_DEP_1)
	v_add_f64_e32 v[40:41], v[50:51], v[36:37]
	v_fma_f64 v[44:45], -v[48:49], v[52:53], 1.0
	s_delay_alu instid0(VALU_DEP_1) | instskip(SKIP_1) | instid1(VALU_DEP_2)
	v_fmac_f64_e32 v[52:53], v[44:45], v[52:53]
	v_add_f64_e64 v[44:45], v[48:49], -v[46:47]
	v_fma_f64 v[38:39], -v[48:49], v[52:53], 1.0
	s_delay_alu instid0(VALU_DEP_2) | instskip(NEXT) | instid1(VALU_DEP_2)
	v_add_f64_e64 v[42:43], v[42:43], -v[44:45]
	v_fmac_f64_e32 v[52:53], v[38:39], v[52:53]
	s_delay_alu instid0(VALU_DEP_1) | instskip(NEXT) | instid1(VALU_DEP_1)
	v_mul_f64_e32 v[38:39], v[40:41], v[52:53]
	v_mul_f64_e32 v[46:47], v[48:49], v[38:39]
	s_delay_alu instid0(VALU_DEP_1) | instskip(NEXT) | instid1(VALU_DEP_1)
	v_fma_f64 v[44:45], v[38:39], v[48:49], -v[46:47]
	v_fmac_f64_e32 v[44:45], v[38:39], v[42:43]
	s_delay_alu instid0(VALU_DEP_1) | instskip(NEXT) | instid1(VALU_DEP_1)
	v_add_f64_e32 v[42:43], v[46:47], v[44:45]
	v_add_f64_e64 v[48:49], v[40:41], -v[42:43]
	v_add_f64_e64 v[46:47], v[42:43], -v[46:47]
	s_delay_alu instid0(VALU_DEP_2) | instskip(SKIP_1) | instid1(VALU_DEP_3)
	v_add_f64_e64 v[54:55], v[40:41], -v[48:49]
	v_add_f64_e64 v[40:41], v[40:41], -v[50:51]
	v_add_f64_e64 v[44:45], v[44:45], -v[46:47]
	s_delay_alu instid0(VALU_DEP_3) | instskip(NEXT) | instid1(VALU_DEP_3)
	v_add_f64_e64 v[42:43], v[54:55], -v[42:43]
	v_add_f64_e64 v[36:37], v[36:37], -v[40:41]
	s_delay_alu instid0(VALU_DEP_2) | instskip(NEXT) | instid1(VALU_DEP_1)
	v_add_f64_e64 v[40:41], v[42:43], -v[44:45]
	v_add_f64_e32 v[36:37], v[36:37], v[40:41]
	s_delay_alu instid0(VALU_DEP_1) | instskip(NEXT) | instid1(VALU_DEP_1)
	v_add_f64_e32 v[36:37], v[48:49], v[36:37]
	v_mul_f64_e32 v[36:37], v[52:53], v[36:37]
	s_delay_alu instid0(VALU_DEP_1) | instskip(SKIP_1) | instid1(VALU_DEP_2)
	v_add_f64_e32 v[36:37], v[38:39], v[36:37]
	v_and_b32_e32 v38, 0x7fffffff, v35
	v_cndmask_b32_e64 v37, 0x3ff00000, v37, s1
	s_delay_alu instid0(VALU_DEP_3) | instskip(SKIP_1) | instid1(VALU_DEP_1)
	v_cndmask_b32_e64 v36, 0, v36, s1
	v_cmp_gt_f64_e64 s1, 0x3e400000, |v[34:35]|
	v_cndmask_b32_e64 v38, v37, v38, s1
	s_delay_alu instid0(VALU_DEP_3) | instskip(SKIP_1) | instid1(VALU_DEP_3)
	v_cndmask_b32_e64 v34, v36, v34, s1
	v_add_nc_u64_e32 v[36:37], s[4:5], v[26:27]
	v_bfi_b32 v35, 0x7fffffff, v38, v35
	global_store_b64 v[36:37], v[34:35], off
	s_wait_xcnt 0x0
	s_or_b32 exec_lo, exec_lo, s2
	s_and_saveexec_b32 s1, s0
	s_cbranch_execz .LBB153_19
.LBB153_23:                             ;   in Loop: Header=BB153_9 Depth=1
	s_wait_loadcnt 0x0
	v_mul_f64_e64 v[34:35], |v[32:33]|, s[8:9]
	v_cmp_nlt_f64_e64 s0, 0x40331000, |v[32:33]|
	s_delay_alu instid0(VALU_DEP_2) | instskip(NEXT) | instid1(VALU_DEP_1)
	v_rndne_f64_e32 v[34:35], v[34:35]
	v_fma_f64 v[36:37], v[34:35], s[10:11], |v[32:33]|
	v_mul_f64_e32 v[38:39], 0xbd53de6af278e000, v[34:35]
	s_delay_alu instid0(VALU_DEP_2) | instskip(NEXT) | instid1(VALU_DEP_1)
	v_add_f64_e32 v[40:41], 0, v[36:37]
	v_add_f64_e32 v[42:43], v[40:41], v[38:39]
	v_add_f64_e64 v[36:37], v[36:37], -v[40:41]
	s_delay_alu instid0(VALU_DEP_2) | instskip(NEXT) | instid1(VALU_DEP_2)
	v_add_f64_e64 v[40:41], v[40:41], -v[42:43]
	v_add_f64_e32 v[36:37], 0, v[36:37]
	s_delay_alu instid0(VALU_DEP_2) | instskip(NEXT) | instid1(VALU_DEP_1)
	v_add_f64_e32 v[38:39], v[40:41], v[38:39]
	v_add_f64_e32 v[36:37], v[36:37], v[38:39]
	v_mul_f64_e32 v[38:39], 0xbac9cc01f97b57a0, v[34:35]
	s_delay_alu instid0(VALU_DEP_2) | instskip(NEXT) | instid1(VALU_DEP_1)
	v_add_f64_e32 v[40:41], v[42:43], v[36:37]
	v_add_f64_e32 v[44:45], v[40:41], v[38:39]
	v_add_f64_e64 v[42:43], v[42:43], -v[40:41]
	s_delay_alu instid0(VALU_DEP_2) | instskip(NEXT) | instid1(VALU_DEP_2)
	v_add_f64_e64 v[40:41], v[40:41], -v[44:45]
	v_add_f64_e32 v[36:37], v[36:37], v[42:43]
	s_delay_alu instid0(VALU_DEP_2) | instskip(NEXT) | instid1(VALU_DEP_1)
	v_add_f64_e32 v[38:39], v[40:41], v[38:39]
	v_add_f64_e32 v[36:37], v[36:37], v[38:39]
	s_delay_alu instid0(VALU_DEP_1) | instskip(NEXT) | instid1(VALU_DEP_1)
	v_add_f64_e32 v[38:39], v[44:45], v[36:37]
	v_add_f64_e64 v[40:41], v[44:45], -v[38:39]
	v_mul_f64_e32 v[42:43], v[38:39], v[38:39]
	s_delay_alu instid0(VALU_DEP_2) | instskip(NEXT) | instid1(VALU_DEP_2)
	v_add_f64_e32 v[36:37], v[36:37], v[40:41]
	v_fma_f64 v[40:41], v[38:39], v[38:39], -v[42:43]
	s_delay_alu instid0(VALU_DEP_2) | instskip(NEXT) | instid1(VALU_DEP_1)
	v_add_f64_e32 v[44:45], v[36:37], v[36:37]
	v_fmac_f64_e32 v[40:41], v[38:39], v[44:45]
	v_fmamk_f64 v[44:45], v[38:39], 0x3e5ade156a5dcb37, v[28:29]
	s_delay_alu instid0(VALU_DEP_1) | instskip(NEXT) | instid1(VALU_DEP_1)
	v_fmaak_f64 v[44:45], v[38:39], v[44:45], 0x3ec71dee623fde64
	v_fmaak_f64 v[44:45], v[38:39], v[44:45], 0x3efa01997c89e6b0
	s_delay_alu instid0(VALU_DEP_1) | instskip(NEXT) | instid1(VALU_DEP_1)
	v_fmaak_f64 v[44:45], v[38:39], v[44:45], 0x3f2a01a014761f6e
	v_fmaak_f64 v[44:45], v[38:39], v[44:45], 0x3f56c16c1852b7b0
	v_add_f64_e32 v[46:47], v[42:43], v[40:41]
	s_delay_alu instid0(VALU_DEP_2) | instskip(NEXT) | instid1(VALU_DEP_1)
	v_fmaak_f64 v[44:45], v[38:39], v[44:45], 0x3f81111111122322
	v_fmaak_f64 v[44:45], v[38:39], v[44:45], 0x3fa55555555502a1
	s_delay_alu instid0(VALU_DEP_1) | instskip(NEXT) | instid1(VALU_DEP_1)
	v_fmaak_f64 v[44:45], v[38:39], v[44:45], 0x3fc5555555555511
	v_fmaak_f64 v[44:45], v[38:39], v[44:45], 0x3fe000000000000b
	v_add_f64_e64 v[42:43], v[46:47], -v[42:43]
	s_delay_alu instid0(VALU_DEP_2) | instskip(NEXT) | instid1(VALU_DEP_2)
	v_mul_f64_e32 v[48:49], v[46:47], v[44:45]
	v_add_f64_e64 v[40:41], v[40:41], -v[42:43]
	s_delay_alu instid0(VALU_DEP_2) | instskip(NEXT) | instid1(VALU_DEP_1)
	v_fma_f64 v[42:43], v[46:47], v[44:45], -v[48:49]
	v_fmac_f64_e32 v[42:43], v[40:41], v[44:45]
	s_delay_alu instid0(VALU_DEP_1) | instskip(NEXT) | instid1(VALU_DEP_1)
	v_add_f64_e32 v[40:41], v[48:49], v[42:43]
	v_add_f64_e32 v[44:45], v[38:39], v[40:41]
	v_add_f64_e64 v[46:47], v[40:41], -v[48:49]
	s_delay_alu instid0(VALU_DEP_2) | instskip(NEXT) | instid1(VALU_DEP_2)
	v_add_f64_e64 v[38:39], v[44:45], -v[38:39]
	v_add_f64_e64 v[42:43], v[42:43], -v[46:47]
	v_cvt_i32_f64_e32 v46, v[34:35]
	s_delay_alu instid0(VALU_DEP_3) | instskip(NEXT) | instid1(VALU_DEP_3)
	v_add_f64_e64 v[38:39], v[40:41], -v[38:39]
	v_add_f64_e32 v[36:37], v[36:37], v[42:43]
	s_delay_alu instid0(VALU_DEP_1) | instskip(NEXT) | instid1(VALU_DEP_1)
	v_add_f64_e32 v[36:37], v[36:37], v[38:39]
	v_add_f64_e32 v[38:39], v[44:45], v[36:37]
	s_delay_alu instid0(VALU_DEP_1) | instskip(SKIP_1) | instid1(VALU_DEP_2)
	v_add_f64_e32 v[40:41], 1.0, v[38:39]
	v_add_f64_e64 v[42:43], v[38:39], -v[44:45]
	v_add_f64_e32 v[44:45], -1.0, v[40:41]
	s_delay_alu instid0(VALU_DEP_2) | instskip(NEXT) | instid1(VALU_DEP_2)
	v_add_f64_e64 v[36:37], v[36:37], -v[42:43]
	v_add_f64_e64 v[38:39], v[38:39], -v[44:45]
	s_delay_alu instid0(VALU_DEP_1) | instskip(NEXT) | instid1(VALU_DEP_1)
	v_add_f64_e32 v[36:37], v[36:37], v[38:39]
	v_add_f64_e32 v[34:35], v[40:41], v[36:37]
	s_delay_alu instid0(VALU_DEP_1) | instskip(SKIP_1) | instid1(VALU_DEP_2)
	v_ldexp_f64 v[38:39], v[34:35], v46
	v_add_f64_e64 v[34:35], v[34:35], -v[40:41]
	v_rcp_f64_e32 v[42:43], v[38:39]
	s_delay_alu instid0(VALU_DEP_1) | instskip(NEXT) | instid1(VALU_DEP_1)
	v_add_f64_e64 v[34:35], v[36:37], -v[34:35]
	v_ldexp_f64 v[34:35], v[34:35], v46
	s_delay_alu instid0(TRANS32_DEP_1) | instskip(NEXT) | instid1(VALU_DEP_1)
	v_fma_f64 v[44:45], -v[38:39], v[42:43], 1.0
	v_fmac_f64_e32 v[42:43], v[44:45], v[42:43]
	s_delay_alu instid0(VALU_DEP_1) | instskip(NEXT) | instid1(VALU_DEP_1)
	v_fma_f64 v[44:45], -v[38:39], v[42:43], 1.0
	v_fmac_f64_e32 v[42:43], v[44:45], v[42:43]
	s_delay_alu instid0(VALU_DEP_1) | instskip(NEXT) | instid1(VALU_DEP_1)
	v_mul_f64_e32 v[36:37], v[38:39], v[42:43]
	v_fma_f64 v[40:41], v[42:43], v[38:39], -v[36:37]
	s_delay_alu instid0(VALU_DEP_1) | instskip(NEXT) | instid1(VALU_DEP_1)
	v_fmac_f64_e32 v[40:41], v[42:43], v[34:35]
	v_add_f64_e32 v[44:45], v[36:37], v[40:41]
	s_delay_alu instid0(VALU_DEP_1) | instskip(SKIP_1) | instid1(VALU_DEP_2)
	v_add_f64_e64 v[46:47], -v[44:45], 1.0
	v_add_f64_e64 v[36:37], v[44:45], -v[36:37]
	v_add_f64_e64 v[48:49], -v[46:47], 1.0
	s_delay_alu instid0(VALU_DEP_2) | instskip(NEXT) | instid1(VALU_DEP_2)
	v_add_f64_e64 v[36:37], v[36:37], -v[40:41]
	v_add_f64_e64 v[40:41], v[48:49], -v[44:45]
	s_delay_alu instid0(VALU_DEP_1) | instskip(NEXT) | instid1(VALU_DEP_1)
	v_add_f64_e32 v[36:37], v[36:37], v[40:41]
	v_add_f64_e32 v[40:41], v[46:47], v[36:37]
	s_delay_alu instid0(VALU_DEP_1) | instskip(SKIP_1) | instid1(VALU_DEP_2)
	v_mul_f64_e32 v[44:45], v[42:43], v[40:41]
	v_add_f64_e64 v[46:47], v[46:47], -v[40:41]
	v_mul_f64_e32 v[48:49], v[38:39], v[44:45]
	s_delay_alu instid0(VALU_DEP_2) | instskip(NEXT) | instid1(VALU_DEP_2)
	v_add_f64_e32 v[36:37], v[36:37], v[46:47]
	v_fma_f64 v[50:51], v[44:45], v[38:39], -v[48:49]
	s_delay_alu instid0(VALU_DEP_1) | instskip(NEXT) | instid1(VALU_DEP_1)
	v_fmac_f64_e32 v[50:51], v[44:45], v[34:35]
	v_add_f64_e32 v[52:53], v[48:49], v[50:51]
	s_delay_alu instid0(VALU_DEP_1) | instskip(SKIP_1) | instid1(VALU_DEP_2)
	v_add_f64_e64 v[54:55], v[40:41], -v[52:53]
	v_add_f64_e64 v[46:47], v[52:53], -v[48:49]
	v_add_f64_e64 v[40:41], v[40:41], -v[54:55]
	s_delay_alu instid0(VALU_DEP_2) | instskip(NEXT) | instid1(VALU_DEP_2)
	v_add_f64_e64 v[46:47], v[46:47], -v[50:51]
	v_add_f64_e64 v[40:41], v[40:41], -v[52:53]
	s_delay_alu instid0(VALU_DEP_1) | instskip(SKIP_1) | instid1(VALU_DEP_2)
	v_add_f64_e32 v[36:37], v[36:37], v[40:41]
	v_add_f64_e32 v[40:41], v[42:43], v[44:45]
	;; [unrolled: 1-line block ×3, first 2 shown]
	s_delay_alu instid0(VALU_DEP_2) | instskip(NEXT) | instid1(VALU_DEP_2)
	v_add_f64_e64 v[46:47], v[40:41], -v[42:43]
	v_add_f64_e32 v[36:37], v[54:55], v[36:37]
	s_delay_alu instid0(VALU_DEP_2) | instskip(NEXT) | instid1(VALU_DEP_2)
	v_add_f64_e64 v[44:45], v[44:45], -v[46:47]
	v_mul_f64_e32 v[36:37], v[42:43], v[36:37]
	s_delay_alu instid0(VALU_DEP_1) | instskip(NEXT) | instid1(VALU_DEP_1)
	v_add_f64_e32 v[36:37], v[44:45], v[36:37]
	v_add_f64_e32 v[42:43], v[40:41], v[36:37]
	s_delay_alu instid0(VALU_DEP_1) | instskip(SKIP_2) | instid1(VALU_DEP_3)
	v_add_f64_e32 v[44:45], v[38:39], v[42:43]
	v_add_f64_e64 v[40:41], v[42:43], -v[40:41]
	v_add_f64_e64 v[48:49], v[38:39], -v[42:43]
	;; [unrolled: 1-line block ×3, first 2 shown]
	s_delay_alu instid0(VALU_DEP_3) | instskip(NEXT) | instid1(VALU_DEP_3)
	v_add_f64_e64 v[36:37], v[36:37], -v[40:41]
	v_add_f64_e64 v[38:39], v[38:39], -v[48:49]
	s_delay_alu instid0(VALU_DEP_3) | instskip(NEXT) | instid1(VALU_DEP_3)
	v_add_f64_e64 v[40:41], v[42:43], -v[46:47]
	v_add_f64_e32 v[46:47], v[34:35], v[36:37]
	s_delay_alu instid0(VALU_DEP_3) | instskip(NEXT) | instid1(VALU_DEP_2)
	v_add_f64_e64 v[38:39], v[38:39], -v[42:43]
	v_add_f64_e32 v[40:41], v[46:47], v[40:41]
	s_delay_alu instid0(VALU_DEP_2) | instskip(NEXT) | instid1(VALU_DEP_2)
	v_add_f64_e32 v[34:35], v[34:35], v[38:39]
	v_add_f64_e32 v[46:47], v[44:45], v[40:41]
	s_delay_alu instid0(VALU_DEP_2) | instskip(NEXT) | instid1(VALU_DEP_2)
	v_add_f64_e64 v[34:35], v[34:35], -v[36:37]
	v_rcp_f64_e32 v[50:51], v[46:47]
	s_delay_alu instid0(VALU_DEP_1) | instskip(NEXT) | instid1(TRANS32_DEP_1)
	v_add_f64_e32 v[38:39], v[48:49], v[34:35]
	v_fma_f64 v[42:43], -v[46:47], v[50:51], 1.0
	s_delay_alu instid0(VALU_DEP_1) | instskip(SKIP_1) | instid1(VALU_DEP_2)
	v_fmac_f64_e32 v[50:51], v[42:43], v[50:51]
	v_add_f64_e64 v[42:43], v[46:47], -v[44:45]
	v_fma_f64 v[36:37], -v[46:47], v[50:51], 1.0
	s_delay_alu instid0(VALU_DEP_2) | instskip(NEXT) | instid1(VALU_DEP_2)
	v_add_f64_e64 v[40:41], v[40:41], -v[42:43]
	v_fmac_f64_e32 v[50:51], v[36:37], v[50:51]
	s_delay_alu instid0(VALU_DEP_1) | instskip(NEXT) | instid1(VALU_DEP_1)
	v_mul_f64_e32 v[36:37], v[38:39], v[50:51]
	v_mul_f64_e32 v[44:45], v[46:47], v[36:37]
	s_delay_alu instid0(VALU_DEP_1) | instskip(NEXT) | instid1(VALU_DEP_1)
	v_fma_f64 v[42:43], v[36:37], v[46:47], -v[44:45]
	v_fmac_f64_e32 v[42:43], v[36:37], v[40:41]
	s_delay_alu instid0(VALU_DEP_1) | instskip(NEXT) | instid1(VALU_DEP_1)
	v_add_f64_e32 v[40:41], v[44:45], v[42:43]
	v_add_f64_e64 v[46:47], v[38:39], -v[40:41]
	v_add_f64_e64 v[44:45], v[40:41], -v[44:45]
	s_delay_alu instid0(VALU_DEP_2) | instskip(SKIP_1) | instid1(VALU_DEP_3)
	v_add_f64_e64 v[52:53], v[38:39], -v[46:47]
	v_add_f64_e64 v[38:39], v[38:39], -v[48:49]
	;; [unrolled: 1-line block ×3, first 2 shown]
	s_delay_alu instid0(VALU_DEP_3) | instskip(NEXT) | instid1(VALU_DEP_3)
	v_add_f64_e64 v[40:41], v[52:53], -v[40:41]
	v_add_f64_e64 v[34:35], v[34:35], -v[38:39]
	s_delay_alu instid0(VALU_DEP_2) | instskip(NEXT) | instid1(VALU_DEP_1)
	v_add_f64_e64 v[38:39], v[40:41], -v[42:43]
	v_add_f64_e32 v[34:35], v[34:35], v[38:39]
	s_delay_alu instid0(VALU_DEP_1) | instskip(NEXT) | instid1(VALU_DEP_1)
	v_add_f64_e32 v[34:35], v[46:47], v[34:35]
	v_mul_f64_e32 v[34:35], v[50:51], v[34:35]
	s_delay_alu instid0(VALU_DEP_1) | instskip(SKIP_1) | instid1(VALU_DEP_2)
	v_add_f64_e32 v[34:35], v[36:37], v[34:35]
	v_and_b32_e32 v36, 0x7fffffff, v33
	v_cndmask_b32_e64 v35, 0x3ff00000, v35, s0
	s_delay_alu instid0(VALU_DEP_3) | instskip(SKIP_1) | instid1(VALU_DEP_1)
	v_cndmask_b32_e64 v34, 0, v34, s0
	v_cmp_gt_f64_e64 s0, 0x3e400000, |v[32:33]|
	v_cndmask_b32_e64 v36, v35, v36, s0
	s_delay_alu instid0(VALU_DEP_3) | instskip(SKIP_1) | instid1(VALU_DEP_3)
	v_cndmask_b32_e64 v32, v34, v32, s0
	v_add_nc_u64_e32 v[34:35], s[4:5], v[18:19]
	v_bfi_b32 v33, 0x7fffffff, v36, v33
	global_store_b64 v[34:35], v[32:33], off
	s_wait_xcnt 0x0
	s_or_b32 exec_lo, exec_lo, s1
	s_and_saveexec_b32 s0, vcc_lo
	s_cbranch_execz .LBB153_8
.LBB153_24:                             ;   in Loop: Header=BB153_9 Depth=1
	s_wait_loadcnt 0x0
	v_mul_f64_e64 v[32:33], |v[30:31]|, s[8:9]
	v_cmp_nlt_f64_e64 vcc_lo, 0x40331000, |v[30:31]|
	s_delay_alu instid0(VALU_DEP_2) | instskip(NEXT) | instid1(VALU_DEP_1)
	v_rndne_f64_e32 v[32:33], v[32:33]
	v_fma_f64 v[34:35], v[32:33], s[10:11], |v[30:31]|
	v_mul_f64_e32 v[36:37], 0xbd53de6af278e000, v[32:33]
	s_delay_alu instid0(VALU_DEP_2) | instskip(NEXT) | instid1(VALU_DEP_1)
	v_add_f64_e32 v[38:39], 0, v[34:35]
	v_add_f64_e32 v[40:41], v[38:39], v[36:37]
	v_add_f64_e64 v[34:35], v[34:35], -v[38:39]
	s_delay_alu instid0(VALU_DEP_2) | instskip(NEXT) | instid1(VALU_DEP_2)
	v_add_f64_e64 v[38:39], v[38:39], -v[40:41]
	v_add_f64_e32 v[34:35], 0, v[34:35]
	s_delay_alu instid0(VALU_DEP_2) | instskip(NEXT) | instid1(VALU_DEP_1)
	v_add_f64_e32 v[36:37], v[38:39], v[36:37]
	v_add_f64_e32 v[34:35], v[34:35], v[36:37]
	v_mul_f64_e32 v[36:37], 0xbac9cc01f97b57a0, v[32:33]
	s_delay_alu instid0(VALU_DEP_2) | instskip(NEXT) | instid1(VALU_DEP_1)
	v_add_f64_e32 v[38:39], v[40:41], v[34:35]
	v_add_f64_e32 v[42:43], v[38:39], v[36:37]
	v_add_f64_e64 v[40:41], v[40:41], -v[38:39]
	s_delay_alu instid0(VALU_DEP_2) | instskip(NEXT) | instid1(VALU_DEP_2)
	v_add_f64_e64 v[38:39], v[38:39], -v[42:43]
	v_add_f64_e32 v[34:35], v[34:35], v[40:41]
	s_delay_alu instid0(VALU_DEP_2) | instskip(NEXT) | instid1(VALU_DEP_1)
	v_add_f64_e32 v[36:37], v[38:39], v[36:37]
	v_add_f64_e32 v[34:35], v[34:35], v[36:37]
	s_delay_alu instid0(VALU_DEP_1) | instskip(NEXT) | instid1(VALU_DEP_1)
	v_add_f64_e32 v[36:37], v[42:43], v[34:35]
	v_add_f64_e64 v[38:39], v[42:43], -v[36:37]
	v_mul_f64_e32 v[40:41], v[36:37], v[36:37]
	s_delay_alu instid0(VALU_DEP_2) | instskip(NEXT) | instid1(VALU_DEP_2)
	v_add_f64_e32 v[34:35], v[34:35], v[38:39]
	v_fma_f64 v[38:39], v[36:37], v[36:37], -v[40:41]
	s_delay_alu instid0(VALU_DEP_2) | instskip(NEXT) | instid1(VALU_DEP_1)
	v_add_f64_e32 v[42:43], v[34:35], v[34:35]
	v_fmac_f64_e32 v[38:39], v[36:37], v[42:43]
	v_fmamk_f64 v[42:43], v[36:37], 0x3e5ade156a5dcb37, v[28:29]
	s_delay_alu instid0(VALU_DEP_1) | instskip(NEXT) | instid1(VALU_DEP_1)
	v_fmaak_f64 v[42:43], v[36:37], v[42:43], 0x3ec71dee623fde64
	v_fmaak_f64 v[42:43], v[36:37], v[42:43], 0x3efa01997c89e6b0
	s_delay_alu instid0(VALU_DEP_1) | instskip(NEXT) | instid1(VALU_DEP_1)
	v_fmaak_f64 v[42:43], v[36:37], v[42:43], 0x3f2a01a014761f6e
	v_fmaak_f64 v[42:43], v[36:37], v[42:43], 0x3f56c16c1852b7b0
	v_add_f64_e32 v[44:45], v[40:41], v[38:39]
	s_delay_alu instid0(VALU_DEP_2) | instskip(NEXT) | instid1(VALU_DEP_1)
	v_fmaak_f64 v[42:43], v[36:37], v[42:43], 0x3f81111111122322
	v_fmaak_f64 v[42:43], v[36:37], v[42:43], 0x3fa55555555502a1
	s_delay_alu instid0(VALU_DEP_1) | instskip(NEXT) | instid1(VALU_DEP_1)
	v_fmaak_f64 v[42:43], v[36:37], v[42:43], 0x3fc5555555555511
	v_fmaak_f64 v[42:43], v[36:37], v[42:43], 0x3fe000000000000b
	v_add_f64_e64 v[40:41], v[44:45], -v[40:41]
	s_delay_alu instid0(VALU_DEP_2) | instskip(NEXT) | instid1(VALU_DEP_2)
	v_mul_f64_e32 v[46:47], v[44:45], v[42:43]
	v_add_f64_e64 v[38:39], v[38:39], -v[40:41]
	s_delay_alu instid0(VALU_DEP_2) | instskip(NEXT) | instid1(VALU_DEP_1)
	v_fma_f64 v[40:41], v[44:45], v[42:43], -v[46:47]
	v_fmac_f64_e32 v[40:41], v[38:39], v[42:43]
	s_delay_alu instid0(VALU_DEP_1) | instskip(NEXT) | instid1(VALU_DEP_1)
	v_add_f64_e32 v[38:39], v[46:47], v[40:41]
	v_add_f64_e32 v[42:43], v[36:37], v[38:39]
	v_add_f64_e64 v[44:45], v[38:39], -v[46:47]
	s_delay_alu instid0(VALU_DEP_2) | instskip(NEXT) | instid1(VALU_DEP_2)
	v_add_f64_e64 v[36:37], v[42:43], -v[36:37]
	v_add_f64_e64 v[40:41], v[40:41], -v[44:45]
	v_cvt_i32_f64_e32 v44, v[32:33]
	s_delay_alu instid0(VALU_DEP_3) | instskip(NEXT) | instid1(VALU_DEP_3)
	v_add_f64_e64 v[36:37], v[38:39], -v[36:37]
	v_add_f64_e32 v[34:35], v[34:35], v[40:41]
	s_delay_alu instid0(VALU_DEP_1) | instskip(NEXT) | instid1(VALU_DEP_1)
	v_add_f64_e32 v[34:35], v[34:35], v[36:37]
	v_add_f64_e32 v[36:37], v[42:43], v[34:35]
	s_delay_alu instid0(VALU_DEP_1) | instskip(SKIP_1) | instid1(VALU_DEP_2)
	v_add_f64_e32 v[38:39], 1.0, v[36:37]
	v_add_f64_e64 v[40:41], v[36:37], -v[42:43]
	v_add_f64_e32 v[42:43], -1.0, v[38:39]
	s_delay_alu instid0(VALU_DEP_2) | instskip(NEXT) | instid1(VALU_DEP_2)
	v_add_f64_e64 v[34:35], v[34:35], -v[40:41]
	v_add_f64_e64 v[36:37], v[36:37], -v[42:43]
	s_delay_alu instid0(VALU_DEP_1) | instskip(NEXT) | instid1(VALU_DEP_1)
	v_add_f64_e32 v[34:35], v[34:35], v[36:37]
	v_add_f64_e32 v[32:33], v[38:39], v[34:35]
	s_delay_alu instid0(VALU_DEP_1) | instskip(SKIP_1) | instid1(VALU_DEP_2)
	v_ldexp_f64 v[36:37], v[32:33], v44
	v_add_f64_e64 v[32:33], v[32:33], -v[38:39]
	v_rcp_f64_e32 v[40:41], v[36:37]
	s_delay_alu instid0(VALU_DEP_1) | instskip(NEXT) | instid1(VALU_DEP_1)
	v_add_f64_e64 v[32:33], v[34:35], -v[32:33]
	v_ldexp_f64 v[32:33], v[32:33], v44
	s_delay_alu instid0(TRANS32_DEP_1) | instskip(NEXT) | instid1(VALU_DEP_1)
	v_fma_f64 v[42:43], -v[36:37], v[40:41], 1.0
	v_fmac_f64_e32 v[40:41], v[42:43], v[40:41]
	s_delay_alu instid0(VALU_DEP_1) | instskip(NEXT) | instid1(VALU_DEP_1)
	v_fma_f64 v[42:43], -v[36:37], v[40:41], 1.0
	v_fmac_f64_e32 v[40:41], v[42:43], v[40:41]
	s_delay_alu instid0(VALU_DEP_1) | instskip(NEXT) | instid1(VALU_DEP_1)
	v_mul_f64_e32 v[34:35], v[36:37], v[40:41]
	v_fma_f64 v[38:39], v[40:41], v[36:37], -v[34:35]
	s_delay_alu instid0(VALU_DEP_1) | instskip(NEXT) | instid1(VALU_DEP_1)
	v_fmac_f64_e32 v[38:39], v[40:41], v[32:33]
	v_add_f64_e32 v[42:43], v[34:35], v[38:39]
	s_delay_alu instid0(VALU_DEP_1) | instskip(SKIP_1) | instid1(VALU_DEP_2)
	v_add_f64_e64 v[44:45], -v[42:43], 1.0
	v_add_f64_e64 v[34:35], v[42:43], -v[34:35]
	v_add_f64_e64 v[46:47], -v[44:45], 1.0
	s_delay_alu instid0(VALU_DEP_2) | instskip(NEXT) | instid1(VALU_DEP_2)
	v_add_f64_e64 v[34:35], v[34:35], -v[38:39]
	v_add_f64_e64 v[38:39], v[46:47], -v[42:43]
	s_delay_alu instid0(VALU_DEP_1) | instskip(NEXT) | instid1(VALU_DEP_1)
	v_add_f64_e32 v[34:35], v[34:35], v[38:39]
	v_add_f64_e32 v[38:39], v[44:45], v[34:35]
	s_delay_alu instid0(VALU_DEP_1) | instskip(SKIP_1) | instid1(VALU_DEP_2)
	v_mul_f64_e32 v[42:43], v[40:41], v[38:39]
	v_add_f64_e64 v[44:45], v[44:45], -v[38:39]
	v_mul_f64_e32 v[46:47], v[36:37], v[42:43]
	s_delay_alu instid0(VALU_DEP_2) | instskip(NEXT) | instid1(VALU_DEP_2)
	v_add_f64_e32 v[34:35], v[34:35], v[44:45]
	v_fma_f64 v[48:49], v[42:43], v[36:37], -v[46:47]
	s_delay_alu instid0(VALU_DEP_1) | instskip(NEXT) | instid1(VALU_DEP_1)
	v_fmac_f64_e32 v[48:49], v[42:43], v[32:33]
	v_add_f64_e32 v[50:51], v[46:47], v[48:49]
	s_delay_alu instid0(VALU_DEP_1) | instskip(SKIP_1) | instid1(VALU_DEP_2)
	v_add_f64_e64 v[52:53], v[38:39], -v[50:51]
	v_add_f64_e64 v[44:45], v[50:51], -v[46:47]
	;; [unrolled: 1-line block ×3, first 2 shown]
	s_delay_alu instid0(VALU_DEP_2) | instskip(NEXT) | instid1(VALU_DEP_2)
	v_add_f64_e64 v[44:45], v[44:45], -v[48:49]
	v_add_f64_e64 v[38:39], v[38:39], -v[50:51]
	s_delay_alu instid0(VALU_DEP_1) | instskip(SKIP_1) | instid1(VALU_DEP_2)
	v_add_f64_e32 v[34:35], v[34:35], v[38:39]
	v_add_f64_e32 v[38:39], v[40:41], v[42:43]
	;; [unrolled: 1-line block ×3, first 2 shown]
	s_delay_alu instid0(VALU_DEP_2) | instskip(NEXT) | instid1(VALU_DEP_2)
	v_add_f64_e64 v[44:45], v[38:39], -v[40:41]
	v_add_f64_e32 v[34:35], v[52:53], v[34:35]
	s_delay_alu instid0(VALU_DEP_2) | instskip(NEXT) | instid1(VALU_DEP_2)
	v_add_f64_e64 v[42:43], v[42:43], -v[44:45]
	v_mul_f64_e32 v[34:35], v[40:41], v[34:35]
	s_delay_alu instid0(VALU_DEP_1) | instskip(NEXT) | instid1(VALU_DEP_1)
	v_add_f64_e32 v[34:35], v[42:43], v[34:35]
	v_add_f64_e32 v[40:41], v[38:39], v[34:35]
	s_delay_alu instid0(VALU_DEP_1) | instskip(SKIP_2) | instid1(VALU_DEP_3)
	v_add_f64_e32 v[42:43], v[36:37], v[40:41]
	v_add_f64_e64 v[38:39], v[40:41], -v[38:39]
	v_add_f64_e64 v[46:47], v[36:37], -v[40:41]
	;; [unrolled: 1-line block ×3, first 2 shown]
	s_delay_alu instid0(VALU_DEP_3) | instskip(NEXT) | instid1(VALU_DEP_3)
	v_add_f64_e64 v[34:35], v[34:35], -v[38:39]
	v_add_f64_e64 v[36:37], v[36:37], -v[46:47]
	s_delay_alu instid0(VALU_DEP_3) | instskip(NEXT) | instid1(VALU_DEP_3)
	v_add_f64_e64 v[38:39], v[40:41], -v[44:45]
	v_add_f64_e32 v[44:45], v[32:33], v[34:35]
	s_delay_alu instid0(VALU_DEP_3) | instskip(NEXT) | instid1(VALU_DEP_2)
	v_add_f64_e64 v[36:37], v[36:37], -v[40:41]
	v_add_f64_e32 v[38:39], v[44:45], v[38:39]
	s_delay_alu instid0(VALU_DEP_2) | instskip(NEXT) | instid1(VALU_DEP_2)
	v_add_f64_e32 v[32:33], v[32:33], v[36:37]
	v_add_f64_e32 v[44:45], v[42:43], v[38:39]
	s_delay_alu instid0(VALU_DEP_2) | instskip(NEXT) | instid1(VALU_DEP_2)
	v_add_f64_e64 v[32:33], v[32:33], -v[34:35]
	v_rcp_f64_e32 v[48:49], v[44:45]
	s_delay_alu instid0(VALU_DEP_1) | instskip(NEXT) | instid1(TRANS32_DEP_1)
	v_add_f64_e32 v[36:37], v[46:47], v[32:33]
	v_fma_f64 v[40:41], -v[44:45], v[48:49], 1.0
	s_delay_alu instid0(VALU_DEP_1) | instskip(SKIP_1) | instid1(VALU_DEP_2)
	v_fmac_f64_e32 v[48:49], v[40:41], v[48:49]
	v_add_f64_e64 v[40:41], v[44:45], -v[42:43]
	v_fma_f64 v[34:35], -v[44:45], v[48:49], 1.0
	s_delay_alu instid0(VALU_DEP_2) | instskip(NEXT) | instid1(VALU_DEP_2)
	v_add_f64_e64 v[38:39], v[38:39], -v[40:41]
	v_fmac_f64_e32 v[48:49], v[34:35], v[48:49]
	s_delay_alu instid0(VALU_DEP_1) | instskip(NEXT) | instid1(VALU_DEP_1)
	v_mul_f64_e32 v[34:35], v[36:37], v[48:49]
	v_mul_f64_e32 v[42:43], v[44:45], v[34:35]
	s_delay_alu instid0(VALU_DEP_1) | instskip(NEXT) | instid1(VALU_DEP_1)
	v_fma_f64 v[40:41], v[34:35], v[44:45], -v[42:43]
	v_fmac_f64_e32 v[40:41], v[34:35], v[38:39]
	s_delay_alu instid0(VALU_DEP_1) | instskip(NEXT) | instid1(VALU_DEP_1)
	v_add_f64_e32 v[38:39], v[42:43], v[40:41]
	v_add_f64_e64 v[44:45], v[36:37], -v[38:39]
	v_add_f64_e64 v[42:43], v[38:39], -v[42:43]
	s_delay_alu instid0(VALU_DEP_2) | instskip(SKIP_1) | instid1(VALU_DEP_3)
	v_add_f64_e64 v[50:51], v[36:37], -v[44:45]
	v_add_f64_e64 v[36:37], v[36:37], -v[46:47]
	;; [unrolled: 1-line block ×3, first 2 shown]
	s_delay_alu instid0(VALU_DEP_3) | instskip(NEXT) | instid1(VALU_DEP_3)
	v_add_f64_e64 v[38:39], v[50:51], -v[38:39]
	v_add_f64_e64 v[32:33], v[32:33], -v[36:37]
	s_delay_alu instid0(VALU_DEP_2) | instskip(NEXT) | instid1(VALU_DEP_1)
	v_add_f64_e64 v[36:37], v[38:39], -v[40:41]
	v_add_f64_e32 v[32:33], v[32:33], v[36:37]
	s_delay_alu instid0(VALU_DEP_1) | instskip(NEXT) | instid1(VALU_DEP_1)
	v_add_f64_e32 v[32:33], v[44:45], v[32:33]
	v_mul_f64_e32 v[32:33], v[48:49], v[32:33]
	s_delay_alu instid0(VALU_DEP_1) | instskip(SKIP_1) | instid1(VALU_DEP_2)
	v_add_f64_e32 v[32:33], v[34:35], v[32:33]
	v_and_b32_e32 v34, 0x7fffffff, v31
	v_cndmask_b32_e32 v33, 0x3ff00000, v33, vcc_lo
	s_delay_alu instid0(VALU_DEP_3) | instskip(SKIP_1) | instid1(VALU_DEP_3)
	v_cndmask_b32_e32 v32, 0, v32, vcc_lo
	v_cmp_gt_f64_e64 vcc_lo, 0x3e400000, |v[30:31]|
	v_cndmask_b32_e32 v34, v33, v34, vcc_lo
	s_delay_alu instid0(VALU_DEP_3) | instskip(SKIP_1) | instid1(VALU_DEP_3)
	v_cndmask_b32_e32 v30, v32, v30, vcc_lo
	v_add_nc_u64_e32 v[32:33], s[4:5], v[22:23]
	v_bfi_b32 v31, 0x7fffffff, v34, v31
	global_store_b64 v[32:33], v[30:31], off
	s_branch .LBB153_8
.LBB153_25:
	s_endpgm
	.section	.rodata,"a",@progbits
	.p2align	6, 0x0
	.amdhsa_kernel _ZN2at6native12_GLOBAL__N_125multi_tensor_apply_kernelINS1_18TensorListMetadataILi2EEENS1_14UnaryOpFunctorIdLi2ELi1ELi1EEEJNS0_4TanhIdEEEEEvT_T0_DpT1_
		.amdhsa_group_segment_fixed_size 0
		.amdhsa_private_segment_fixed_size 0
		.amdhsa_kernarg_size 3408
		.amdhsa_user_sgpr_count 2
		.amdhsa_user_sgpr_dispatch_ptr 0
		.amdhsa_user_sgpr_queue_ptr 0
		.amdhsa_user_sgpr_kernarg_segment_ptr 1
		.amdhsa_user_sgpr_dispatch_id 0
		.amdhsa_user_sgpr_kernarg_preload_length 0
		.amdhsa_user_sgpr_kernarg_preload_offset 0
		.amdhsa_user_sgpr_private_segment_size 0
		.amdhsa_wavefront_size32 1
		.amdhsa_uses_dynamic_stack 0
		.amdhsa_enable_private_segment 0
		.amdhsa_system_sgpr_workgroup_id_x 1
		.amdhsa_system_sgpr_workgroup_id_y 0
		.amdhsa_system_sgpr_workgroup_id_z 0
		.amdhsa_system_sgpr_workgroup_info 0
		.amdhsa_system_vgpr_workitem_id 0
		.amdhsa_next_free_vgpr 60
		.amdhsa_next_free_sgpr 20
		.amdhsa_named_barrier_count 0
		.amdhsa_reserve_vcc 1
		.amdhsa_float_round_mode_32 0
		.amdhsa_float_round_mode_16_64 0
		.amdhsa_float_denorm_mode_32 3
		.amdhsa_float_denorm_mode_16_64 3
		.amdhsa_fp16_overflow 0
		.amdhsa_memory_ordered 1
		.amdhsa_forward_progress 1
		.amdhsa_inst_pref_size 84
		.amdhsa_round_robin_scheduling 0
		.amdhsa_exception_fp_ieee_invalid_op 0
		.amdhsa_exception_fp_denorm_src 0
		.amdhsa_exception_fp_ieee_div_zero 0
		.amdhsa_exception_fp_ieee_overflow 0
		.amdhsa_exception_fp_ieee_underflow 0
		.amdhsa_exception_fp_ieee_inexact 0
		.amdhsa_exception_int_div_zero 0
	.end_amdhsa_kernel
	.section	.text._ZN2at6native12_GLOBAL__N_125multi_tensor_apply_kernelINS1_18TensorListMetadataILi2EEENS1_14UnaryOpFunctorIdLi2ELi1ELi1EEEJNS0_4TanhIdEEEEEvT_T0_DpT1_,"axG",@progbits,_ZN2at6native12_GLOBAL__N_125multi_tensor_apply_kernelINS1_18TensorListMetadataILi2EEENS1_14UnaryOpFunctorIdLi2ELi1ELi1EEEJNS0_4TanhIdEEEEEvT_T0_DpT1_,comdat
.Lfunc_end153:
	.size	_ZN2at6native12_GLOBAL__N_125multi_tensor_apply_kernelINS1_18TensorListMetadataILi2EEENS1_14UnaryOpFunctorIdLi2ELi1ELi1EEEJNS0_4TanhIdEEEEEvT_T0_DpT1_, .Lfunc_end153-_ZN2at6native12_GLOBAL__N_125multi_tensor_apply_kernelINS1_18TensorListMetadataILi2EEENS1_14UnaryOpFunctorIdLi2ELi1ELi1EEEJNS0_4TanhIdEEEEEvT_T0_DpT1_
                                        ; -- End function
	.set _ZN2at6native12_GLOBAL__N_125multi_tensor_apply_kernelINS1_18TensorListMetadataILi2EEENS1_14UnaryOpFunctorIdLi2ELi1ELi1EEEJNS0_4TanhIdEEEEEvT_T0_DpT1_.num_vgpr, 60
	.set _ZN2at6native12_GLOBAL__N_125multi_tensor_apply_kernelINS1_18TensorListMetadataILi2EEENS1_14UnaryOpFunctorIdLi2ELi1ELi1EEEJNS0_4TanhIdEEEEEvT_T0_DpT1_.num_agpr, 0
	.set _ZN2at6native12_GLOBAL__N_125multi_tensor_apply_kernelINS1_18TensorListMetadataILi2EEENS1_14UnaryOpFunctorIdLi2ELi1ELi1EEEJNS0_4TanhIdEEEEEvT_T0_DpT1_.numbered_sgpr, 20
	.set _ZN2at6native12_GLOBAL__N_125multi_tensor_apply_kernelINS1_18TensorListMetadataILi2EEENS1_14UnaryOpFunctorIdLi2ELi1ELi1EEEJNS0_4TanhIdEEEEEvT_T0_DpT1_.num_named_barrier, 0
	.set _ZN2at6native12_GLOBAL__N_125multi_tensor_apply_kernelINS1_18TensorListMetadataILi2EEENS1_14UnaryOpFunctorIdLi2ELi1ELi1EEEJNS0_4TanhIdEEEEEvT_T0_DpT1_.private_seg_size, 0
	.set _ZN2at6native12_GLOBAL__N_125multi_tensor_apply_kernelINS1_18TensorListMetadataILi2EEENS1_14UnaryOpFunctorIdLi2ELi1ELi1EEEJNS0_4TanhIdEEEEEvT_T0_DpT1_.uses_vcc, 1
	.set _ZN2at6native12_GLOBAL__N_125multi_tensor_apply_kernelINS1_18TensorListMetadataILi2EEENS1_14UnaryOpFunctorIdLi2ELi1ELi1EEEJNS0_4TanhIdEEEEEvT_T0_DpT1_.uses_flat_scratch, 0
	.set _ZN2at6native12_GLOBAL__N_125multi_tensor_apply_kernelINS1_18TensorListMetadataILi2EEENS1_14UnaryOpFunctorIdLi2ELi1ELi1EEEJNS0_4TanhIdEEEEEvT_T0_DpT1_.has_dyn_sized_stack, 0
	.set _ZN2at6native12_GLOBAL__N_125multi_tensor_apply_kernelINS1_18TensorListMetadataILi2EEENS1_14UnaryOpFunctorIdLi2ELi1ELi1EEEJNS0_4TanhIdEEEEEvT_T0_DpT1_.has_recursion, 0
	.set _ZN2at6native12_GLOBAL__N_125multi_tensor_apply_kernelINS1_18TensorListMetadataILi2EEENS1_14UnaryOpFunctorIdLi2ELi1ELi1EEEJNS0_4TanhIdEEEEEvT_T0_DpT1_.has_indirect_call, 0
	.section	.AMDGPU.csdata,"",@progbits
; Kernel info:
; codeLenInByte = 10712
; TotalNumSgprs: 22
; NumVgprs: 60
; ScratchSize: 0
; MemoryBound: 0
; FloatMode: 240
; IeeeMode: 1
; LDSByteSize: 0 bytes/workgroup (compile time only)
; SGPRBlocks: 0
; VGPRBlocks: 3
; NumSGPRsForWavesPerEU: 22
; NumVGPRsForWavesPerEU: 60
; NamedBarCnt: 0
; Occupancy: 16
; WaveLimiterHint : 0
; COMPUTE_PGM_RSRC2:SCRATCH_EN: 0
; COMPUTE_PGM_RSRC2:USER_SGPR: 2
; COMPUTE_PGM_RSRC2:TRAP_HANDLER: 0
; COMPUTE_PGM_RSRC2:TGID_X_EN: 1
; COMPUTE_PGM_RSRC2:TGID_Y_EN: 0
; COMPUTE_PGM_RSRC2:TGID_Z_EN: 0
; COMPUTE_PGM_RSRC2:TIDIG_COMP_CNT: 0
	.section	.text._ZN2at6native12_GLOBAL__N_125multi_tensor_apply_kernelINS1_18TensorListMetadataILi2EEENS1_14UnaryOpFunctorIfLi2ELi1ELi1EEEJNS0_4TanhIfEEEEEvT_T0_DpT1_,"axG",@progbits,_ZN2at6native12_GLOBAL__N_125multi_tensor_apply_kernelINS1_18TensorListMetadataILi2EEENS1_14UnaryOpFunctorIfLi2ELi1ELi1EEEJNS0_4TanhIfEEEEEvT_T0_DpT1_,comdat
	.globl	_ZN2at6native12_GLOBAL__N_125multi_tensor_apply_kernelINS1_18TensorListMetadataILi2EEENS1_14UnaryOpFunctorIfLi2ELi1ELi1EEEJNS0_4TanhIfEEEEEvT_T0_DpT1_ ; -- Begin function _ZN2at6native12_GLOBAL__N_125multi_tensor_apply_kernelINS1_18TensorListMetadataILi2EEENS1_14UnaryOpFunctorIfLi2ELi1ELi1EEEJNS0_4TanhIfEEEEEvT_T0_DpT1_
	.p2align	8
	.type	_ZN2at6native12_GLOBAL__N_125multi_tensor_apply_kernelINS1_18TensorListMetadataILi2EEENS1_14UnaryOpFunctorIfLi2ELi1ELi1EEEJNS0_4TanhIfEEEEEvT_T0_DpT1_,@function
_ZN2at6native12_GLOBAL__N_125multi_tensor_apply_kernelINS1_18TensorListMetadataILi2EEENS1_14UnaryOpFunctorIfLi2ELi1ELi1EEEJNS0_4TanhIfEEEEEvT_T0_DpT1_: ; @_ZN2at6native12_GLOBAL__N_125multi_tensor_apply_kernelINS1_18TensorListMetadataILi2EEENS1_14UnaryOpFunctorIfLi2ELi1ELi1EEEJNS0_4TanhIfEEEEEvT_T0_DpT1_
; %bb.0:
	s_bfe_u32 s2, ttmp6, 0x4000c
	s_and_b32 s3, ttmp6, 15
	s_add_co_i32 s2, s2, 1
	s_getreg_b32 s4, hwreg(HW_REG_IB_STS2, 6, 4)
	s_mul_i32 s2, ttmp9, s2
	s_mov_b32 s9, 0
	s_add_co_i32 s3, s3, s2
	s_cmp_eq_u32 s4, 0
	s_mov_b32 s15, s9
	s_cselect_b32 s8, ttmp9, s3
	s_load_u8 s11, s[0:1], s8 offset:0x600
	s_add_nc_u64 s[2:3], s[0:1], s[8:9]
	s_mul_u64 s[4:5], s[8:9], 3
	s_delay_alu instid0(SALU_CYCLE_1)
	s_add_nc_u64 s[4:5], s[2:3], s[4:5]
	s_load_b32 s10, s[4:5], 0x740
	s_wait_kmcnt 0x0
	s_clause 0x2
	s_load_b64 s[2:3], s[0:1], s11 offset:0x0 scale_offset
	s_load_b64 s[6:7], s[0:1], s11 offset:0x200 scale_offset
	;; [unrolled: 1-line block ×3, first 2 shown]
	s_wait_xcnt 0x0
	s_ashr_i32 s11, s10, 31
	s_delay_alu instid0(SALU_CYCLE_1)
	s_lshl_b64 s[4:5], s[10:11], 18
	s_wait_kmcnt 0x0
	s_and_b64 s[18:19], s[6:7], 15
	s_add_nc_u64 s[16:17], s[2:3], s[4:5]
	s_and_b32 s14, s12, 3
	s_and_b32 s8, s16, 15
	s_or_b64 s[14:15], s[18:19], s[14:15]
	s_lshl_b64 s[10:11], s[10:11], 16
	s_or_b64 s[14:15], s[14:15], s[8:9]
	s_sub_nc_u64 s[8:9], s[12:13], s[10:11]
	s_cmp_eq_u64 s[14:15], 0
	s_mov_b32 s10, -1
	s_cbranch_scc0 .LBB154_21
; %bb.1:
	v_min_i64 v[6:7], 0x10000, s[8:9]
	v_dual_mov_b32 v3, 0 :: v_dual_lshlrev_b32 v2, 2, v0
	s_mov_b32 s14, exec_lo
	s_delay_alu instid0(VALU_DEP_1)
	v_cmpx_lt_i64_e64 v[2:3], v[6:7]
	s_cbranch_execz .LBB154_20
; %bb.2:
	s_load_b32 s10, s[0:1], 0xc5c
	v_dual_mov_b32 v1, v3 :: v_dual_lshlrev_b32 v2, 4, v0
	s_mov_b32 s11, 0
	s_mov_b32 s15, 0xbbbac73d
	s_mov_b32 s13, s11
	s_delay_alu instid0(VALU_DEP_1) | instskip(SKIP_4) | instid1(SALU_CYCLE_1)
	v_add_nc_u64_e32 v[8:9], s[4:5], v[2:3]
	v_mov_b64_e32 v[10:11], v[0:1]
	s_mov_b32 s16, s11
	s_wait_kmcnt 0x0
	s_and_b32 s10, s10, 0xffff
	s_lshl_b32 s12, s10, 4
	s_branch .LBB154_4
.LBB154_3:                              ;   in Loop: Header=BB154_4 Depth=1
	s_or_b32 exec_lo, exec_lo, s17
	v_add_nc_u64_e32 v[10:11], s[10:11], v[10:11]
	v_bfi_b32 v4, 0x7fffffff, v13, v4
	v_bfi_b32 v3, 0x7fffffff, v12, v3
	v_add_nc_u64_e32 v[12:13], s[6:7], v[8:9]
	v_add_nc_u64_e32 v[8:9], s[12:13], v[8:9]
	v_bfi_b32 v2, 0x7fffffff, v1, v2
	v_bfi_b32 v5, 0x7fffffff, v14, v5
	v_lshlrev_b64_e32 v[16:17], 2, v[10:11]
	global_store_b128 v[12:13], v[2:5], off
	v_cmp_ge_i64_e32 vcc_lo, v[16:17], v[6:7]
	s_or_b32 s16, vcc_lo, s16
	s_wait_xcnt 0x0
	s_and_not1_b32 exec_lo, exec_lo, s16
	s_cbranch_execz .LBB154_20
.LBB154_4:                              ; =>This Inner Loop Header: Depth=1
	v_add_nc_u64_e32 v[2:3], s[2:3], v[8:9]
                                        ; implicit-def: $vgpr1
	global_load_b128 v[2:5], v[2:3], off
	s_wait_loadcnt 0x0
	v_cmp_ngt_f32_e64 s17, 0x3f200000, |v2|
	s_wait_xcnt 0x0
	s_and_saveexec_b32 s18, s17
	s_delay_alu instid0(SALU_CYCLE_1)
	s_xor_b32 s17, exec_lo, s18
	s_cbranch_execz .LBB154_6
; %bb.5:                                ;   in Loop: Header=BB154_4 Depth=1
	v_add_f32_e64 v1, |v2|, |v2|
	s_delay_alu instid0(VALU_DEP_1) | instskip(SKIP_1) | instid1(VALU_DEP_2)
	v_mul_f32_e32 v12, 0x3fb8aa3b, v1
	v_cmp_ngt_f32_e32 vcc_lo, 0xc2ce8ed0, v1
	v_rndne_f32_e32 v13, v12
	v_fma_f32 v14, 0x3fb8aa3b, v1, -v12
	s_delay_alu instid0(VALU_DEP_2) | instskip(NEXT) | instid1(VALU_DEP_2)
	v_sub_f32_e32 v12, v12, v13
	v_fmac_f32_e32 v14, 0x32a5705f, v1
	v_cvt_i32_f32_e32 v13, v13
	s_delay_alu instid0(VALU_DEP_2) | instskip(NEXT) | instid1(VALU_DEP_1)
	v_add_f32_e32 v12, v12, v14
	v_exp_f32_e32 v12, v12
	v_nop
	s_delay_alu instid0(TRANS32_DEP_1) | instskip(NEXT) | instid1(VALU_DEP_1)
	v_ldexp_f32 v12, v12, v13
	v_cndmask_b32_e32 v12, 0, v12, vcc_lo
	v_cmp_nlt_f32_e32 vcc_lo, 0x42b17218, v1
	s_delay_alu instid0(VALU_DEP_2) | instskip(NEXT) | instid1(VALU_DEP_1)
	v_cndmask_b32_e32 v1, 0x7f800000, v12, vcc_lo
	v_add_f32_e32 v1, 1.0, v1
	s_delay_alu instid0(VALU_DEP_1) | instskip(SKIP_1) | instid1(TRANS32_DEP_1)
	v_rcp_f32_e32 v1, v1
	v_nop
	v_fma_f32 v1, v1, -2.0, 1.0
.LBB154_6:                              ;   in Loop: Header=BB154_4 Depth=1
	s_and_not1_saveexec_b32 s17, s17
	s_cbranch_execz .LBB154_8
; %bb.7:                                ;   in Loop: Header=BB154_4 Depth=1
	v_mul_f32_e32 v1, v2, v2
	s_delay_alu instid0(VALU_DEP_1) | instskip(NEXT) | instid1(VALU_DEP_1)
	v_fmaak_f32 v12, s15, v1, 0x3ca908c9
	v_fmaak_f32 v12, v1, v12, 0xbd5c1c4e
	s_delay_alu instid0(VALU_DEP_1) | instskip(NEXT) | instid1(VALU_DEP_1)
	v_fmaak_f32 v12, v1, v12, 0x3e088382
	v_fmaak_f32 v12, v1, v12, 0xbeaaaa99
	s_delay_alu instid0(VALU_DEP_1) | instskip(NEXT) | instid1(VALU_DEP_1)
	v_mul_f32_e64 v12, |v2|, v12
	v_fma_f32 v1, v1, v12, |v2|
.LBB154_8:                              ;   in Loop: Header=BB154_4 Depth=1
	s_or_b32 exec_lo, exec_lo, s17
	v_cmp_ngt_f32_e64 s17, 0x3f200000, |v3|
                                        ; implicit-def: $vgpr12
	s_and_saveexec_b32 s18, s17
	s_delay_alu instid0(SALU_CYCLE_1)
	s_xor_b32 s17, exec_lo, s18
	s_cbranch_execz .LBB154_10
; %bb.9:                                ;   in Loop: Header=BB154_4 Depth=1
	v_add_f32_e64 v12, |v3|, |v3|
	s_delay_alu instid0(VALU_DEP_1) | instskip(SKIP_1) | instid1(VALU_DEP_2)
	v_mul_f32_e32 v13, 0x3fb8aa3b, v12
	v_cmp_ngt_f32_e32 vcc_lo, 0xc2ce8ed0, v12
	v_rndne_f32_e32 v14, v13
	v_fma_f32 v15, 0x3fb8aa3b, v12, -v13
	s_delay_alu instid0(VALU_DEP_2) | instskip(NEXT) | instid1(VALU_DEP_2)
	v_sub_f32_e32 v13, v13, v14
	v_fmac_f32_e32 v15, 0x32a5705f, v12
	v_cvt_i32_f32_e32 v14, v14
	s_delay_alu instid0(VALU_DEP_2) | instskip(NEXT) | instid1(VALU_DEP_1)
	v_add_f32_e32 v13, v13, v15
	v_exp_f32_e32 v13, v13
	v_nop
	s_delay_alu instid0(TRANS32_DEP_1) | instskip(NEXT) | instid1(VALU_DEP_1)
	v_ldexp_f32 v13, v13, v14
	v_cndmask_b32_e32 v13, 0, v13, vcc_lo
	v_cmp_nlt_f32_e32 vcc_lo, 0x42b17218, v12
	s_delay_alu instid0(VALU_DEP_2) | instskip(NEXT) | instid1(VALU_DEP_1)
	v_cndmask_b32_e32 v12, 0x7f800000, v13, vcc_lo
	v_add_f32_e32 v12, 1.0, v12
	s_delay_alu instid0(VALU_DEP_1) | instskip(SKIP_1) | instid1(TRANS32_DEP_1)
	v_rcp_f32_e32 v12, v12
	v_nop
	v_fma_f32 v12, v12, -2.0, 1.0
.LBB154_10:                             ;   in Loop: Header=BB154_4 Depth=1
	s_and_not1_saveexec_b32 s17, s17
	s_cbranch_execz .LBB154_12
; %bb.11:                               ;   in Loop: Header=BB154_4 Depth=1
	v_mul_f32_e32 v12, v3, v3
	s_delay_alu instid0(VALU_DEP_1) | instskip(NEXT) | instid1(VALU_DEP_1)
	v_fmaak_f32 v13, s15, v12, 0x3ca908c9
	v_fmaak_f32 v13, v12, v13, 0xbd5c1c4e
	s_delay_alu instid0(VALU_DEP_1) | instskip(NEXT) | instid1(VALU_DEP_1)
	v_fmaak_f32 v13, v12, v13, 0x3e088382
	v_fmaak_f32 v13, v12, v13, 0xbeaaaa99
	s_delay_alu instid0(VALU_DEP_1) | instskip(NEXT) | instid1(VALU_DEP_1)
	v_mul_f32_e64 v13, |v3|, v13
	v_fma_f32 v12, v12, v13, |v3|
.LBB154_12:                             ;   in Loop: Header=BB154_4 Depth=1
	s_or_b32 exec_lo, exec_lo, s17
	v_cmp_ngt_f32_e64 s17, 0x3f200000, |v4|
                                        ; implicit-def: $vgpr13
	s_and_saveexec_b32 s18, s17
	s_delay_alu instid0(SALU_CYCLE_1)
	s_xor_b32 s17, exec_lo, s18
	s_cbranch_execz .LBB154_14
; %bb.13:                               ;   in Loop: Header=BB154_4 Depth=1
	v_add_f32_e64 v13, |v4|, |v4|
	s_delay_alu instid0(VALU_DEP_1) | instskip(SKIP_1) | instid1(VALU_DEP_2)
	v_mul_f32_e32 v14, 0x3fb8aa3b, v13
	v_cmp_ngt_f32_e32 vcc_lo, 0xc2ce8ed0, v13
	v_rndne_f32_e32 v15, v14
	v_fma_f32 v16, 0x3fb8aa3b, v13, -v14
	s_delay_alu instid0(VALU_DEP_2) | instskip(NEXT) | instid1(VALU_DEP_2)
	v_sub_f32_e32 v14, v14, v15
	v_fmac_f32_e32 v16, 0x32a5705f, v13
	v_cvt_i32_f32_e32 v15, v15
	s_delay_alu instid0(VALU_DEP_2) | instskip(NEXT) | instid1(VALU_DEP_1)
	v_add_f32_e32 v14, v14, v16
	v_exp_f32_e32 v14, v14
	v_nop
	s_delay_alu instid0(TRANS32_DEP_1) | instskip(NEXT) | instid1(VALU_DEP_1)
	v_ldexp_f32 v14, v14, v15
	v_cndmask_b32_e32 v14, 0, v14, vcc_lo
	v_cmp_nlt_f32_e32 vcc_lo, 0x42b17218, v13
	s_delay_alu instid0(VALU_DEP_2) | instskip(NEXT) | instid1(VALU_DEP_1)
	v_cndmask_b32_e32 v13, 0x7f800000, v14, vcc_lo
	v_add_f32_e32 v13, 1.0, v13
	s_delay_alu instid0(VALU_DEP_1) | instskip(SKIP_1) | instid1(TRANS32_DEP_1)
	v_rcp_f32_e32 v13, v13
	v_nop
	v_fma_f32 v13, v13, -2.0, 1.0
.LBB154_14:                             ;   in Loop: Header=BB154_4 Depth=1
	s_and_not1_saveexec_b32 s17, s17
	s_cbranch_execz .LBB154_16
; %bb.15:                               ;   in Loop: Header=BB154_4 Depth=1
	v_mul_f32_e32 v13, v4, v4
	s_delay_alu instid0(VALU_DEP_1) | instskip(NEXT) | instid1(VALU_DEP_1)
	v_fmaak_f32 v14, s15, v13, 0x3ca908c9
	v_fmaak_f32 v14, v13, v14, 0xbd5c1c4e
	s_delay_alu instid0(VALU_DEP_1) | instskip(NEXT) | instid1(VALU_DEP_1)
	v_fmaak_f32 v14, v13, v14, 0x3e088382
	v_fmaak_f32 v14, v13, v14, 0xbeaaaa99
	s_delay_alu instid0(VALU_DEP_1) | instskip(NEXT) | instid1(VALU_DEP_1)
	v_mul_f32_e64 v14, |v4|, v14
	v_fma_f32 v13, v13, v14, |v4|
.LBB154_16:                             ;   in Loop: Header=BB154_4 Depth=1
	s_or_b32 exec_lo, exec_lo, s17
	v_cmp_ngt_f32_e64 s17, 0x3f200000, |v5|
                                        ; implicit-def: $vgpr14
	s_and_saveexec_b32 s18, s17
	s_delay_alu instid0(SALU_CYCLE_1)
	s_xor_b32 s17, exec_lo, s18
	s_cbranch_execz .LBB154_18
; %bb.17:                               ;   in Loop: Header=BB154_4 Depth=1
	v_add_f32_e64 v14, |v5|, |v5|
	s_delay_alu instid0(VALU_DEP_1) | instskip(SKIP_1) | instid1(VALU_DEP_2)
	v_mul_f32_e32 v15, 0x3fb8aa3b, v14
	v_cmp_ngt_f32_e32 vcc_lo, 0xc2ce8ed0, v14
	v_rndne_f32_e32 v16, v15
	v_fma_f32 v17, 0x3fb8aa3b, v14, -v15
	s_delay_alu instid0(VALU_DEP_2) | instskip(NEXT) | instid1(VALU_DEP_2)
	v_sub_f32_e32 v15, v15, v16
	v_fmac_f32_e32 v17, 0x32a5705f, v14
	v_cvt_i32_f32_e32 v16, v16
	s_delay_alu instid0(VALU_DEP_2) | instskip(NEXT) | instid1(VALU_DEP_1)
	v_add_f32_e32 v15, v15, v17
	v_exp_f32_e32 v15, v15
	v_nop
	s_delay_alu instid0(TRANS32_DEP_1) | instskip(NEXT) | instid1(VALU_DEP_1)
	v_ldexp_f32 v15, v15, v16
	v_cndmask_b32_e32 v15, 0, v15, vcc_lo
	v_cmp_nlt_f32_e32 vcc_lo, 0x42b17218, v14
	s_delay_alu instid0(VALU_DEP_2) | instskip(NEXT) | instid1(VALU_DEP_1)
	v_cndmask_b32_e32 v14, 0x7f800000, v15, vcc_lo
	v_add_f32_e32 v14, 1.0, v14
	s_delay_alu instid0(VALU_DEP_1) | instskip(SKIP_1) | instid1(TRANS32_DEP_1)
	v_rcp_f32_e32 v14, v14
	v_nop
	v_fma_f32 v14, v14, -2.0, 1.0
.LBB154_18:                             ;   in Loop: Header=BB154_4 Depth=1
	s_and_not1_saveexec_b32 s17, s17
	s_cbranch_execz .LBB154_3
; %bb.19:                               ;   in Loop: Header=BB154_4 Depth=1
	v_mul_f32_e32 v14, v5, v5
	s_delay_alu instid0(VALU_DEP_1) | instskip(NEXT) | instid1(VALU_DEP_1)
	v_fmaak_f32 v15, s15, v14, 0x3ca908c9
	v_fmaak_f32 v15, v14, v15, 0xbd5c1c4e
	s_delay_alu instid0(VALU_DEP_1) | instskip(NEXT) | instid1(VALU_DEP_1)
	v_fmaak_f32 v15, v14, v15, 0x3e088382
	v_fmaak_f32 v15, v14, v15, 0xbeaaaa99
	s_delay_alu instid0(VALU_DEP_1) | instskip(NEXT) | instid1(VALU_DEP_1)
	v_mul_f32_e64 v15, |v5|, v15
	v_fma_f32 v14, v14, v15, |v5|
	s_branch .LBB154_3
.LBB154_20:
	s_or_b32 exec_lo, exec_lo, s14
	s_mov_b32 s10, 0
.LBB154_21:
	s_delay_alu instid0(SALU_CYCLE_1)
	s_and_not1_b32 vcc_lo, exec_lo, s10
	s_cbranch_vccnz .LBB154_57
; %bb.22:
	v_cmp_lt_i64_e64 s10, s[8:9], 1
	s_and_b32 vcc_lo, exec_lo, s10
	s_cbranch_vccnz .LBB154_57
; %bb.23:
	s_load_b32 s0, s[0:1], 0xc5c
	v_min_i64 v[2:3], 0x10000, s[8:9]
	v_min_u64 v[4:5], 0x10000, s[8:9]
	v_dual_mov_b32 v1, 0 :: v_dual_lshlrev_b32 v12, 2, v0
	s_wait_xcnt 0x0
	s_mov_b32 s1, 0
	s_delay_alu instid0(SALU_CYCLE_1) | instskip(NEXT) | instid1(VALU_DEP_1)
	s_mov_b32 s9, s1
	v_dual_mov_b32 v13, v1 :: v_dual_mov_b32 v27, v1
	s_mov_b32 s11, s1
	s_mov_b32 s13, s1
	s_delay_alu instid0(VALU_DEP_1) | instskip(SKIP_3) | instid1(SALU_CYCLE_1)
	v_add_nc_u64_e32 v[6:7], s[2:3], v[12:13]
	v_add_nc_u64_e32 v[8:9], s[6:7], v[12:13]
	s_wait_kmcnt 0x0
	s_and_b32 s0, s0, 0xffff
	v_add_nc_u64_e32 v[10:11], s[0:1], v[0:1]
	v_mad_nc_u64_u32 v[22:23], s0, 12, v[12:13]
	s_lshl_b32 s8, s0, 3
	s_lshl_b32 s10, s0, 1
	v_add_nc_u64_e32 v[18:19], s[8:9], v[12:13]
	s_mul_i32 s12, s0, 3
	v_add_nc_u64_e32 v[14:15], s[10:11], v[0:1]
	v_lshlrev_b32_e32 v26, 2, v10
	v_add_nc_u64_e32 v[12:13], s[12:13], v[0:1]
	s_lshl_b32 s8, s0, 2
	s_mov_b64 s[10:11], 0
	v_add_nc_u64_e32 v[16:17], s[2:3], v[18:19]
	v_add_nc_u64_e32 v[18:19], s[6:7], v[18:19]
	;; [unrolled: 1-line block ×6, first 2 shown]
	s_lshl_b32 s6, s0, 4
	s_mov_b32 s7, s1
	s_mov_b32 s12, 0xbbbac73d
	s_branch .LBB154_25
.LBB154_24:                             ;   in Loop: Header=BB154_25 Depth=1
	s_wait_xcnt 0x0
	s_or_b32 exec_lo, exec_lo, s0
	s_add_nc_u64 s[10:11], s[10:11], s[8:9]
	v_add_nc_u64_e32 v[6:7], s[6:7], v[6:7]
	v_cmp_ge_i64_e32 vcc_lo, s[10:11], v[2:3]
	v_add_nc_u64_e32 v[8:9], s[6:7], v[8:9]
	v_add_nc_u64_e32 v[20:21], s[6:7], v[20:21]
	v_add_nc_u64_e32 v[22:23], s[6:7], v[22:23]
	v_add_nc_u64_e32 v[16:17], s[6:7], v[16:17]
	v_add_nc_u64_e32 v[18:19], s[6:7], v[18:19]
	v_add_nc_u64_e32 v[24:25], s[6:7], v[24:25]
	v_add_nc_u64_e32 v[26:27], s[6:7], v[26:27]
	s_cbranch_vccnz .LBB154_57
.LBB154_25:                             ; =>This Inner Loop Header: Depth=1
	v_add_nc_u64_e32 v[28:29], s[10:11], v[0:1]
	s_delay_alu instid0(VALU_DEP_1)
	v_cmp_lt_u64_e32 vcc_lo, v[28:29], v[4:5]
	v_mov_b32_e32 v29, 0
	s_and_saveexec_b32 s0, vcc_lo
	s_cbranch_execz .LBB154_27
; %bb.26:                               ;   in Loop: Header=BB154_25 Depth=1
	v_add_nc_u64_e32 v[28:29], s[4:5], v[6:7]
	global_load_b32 v29, v[28:29], off
.LBB154_27:                             ;   in Loop: Header=BB154_25 Depth=1
	s_wait_xcnt 0x0
	s_or_b32 exec_lo, exec_lo, s0
	v_add_nc_u64_e32 v[30:31], s[10:11], v[10:11]
	v_mov_b32_e32 v28, 0
	s_delay_alu instid0(VALU_DEP_2)
	v_cmp_lt_u64_e64 s0, v[30:31], v[4:5]
	v_mov_b32_e32 v30, 0
	s_and_saveexec_b32 s1, s0
	s_cbranch_execz .LBB154_29
; %bb.28:                               ;   in Loop: Header=BB154_25 Depth=1
	v_add_nc_u64_e32 v[30:31], s[4:5], v[24:25]
	global_load_b32 v30, v[30:31], off
.LBB154_29:                             ;   in Loop: Header=BB154_25 Depth=1
	s_wait_xcnt 0x0
	s_or_b32 exec_lo, exec_lo, s1
	v_add_nc_u64_e32 v[32:33], s[10:11], v[14:15]
	s_delay_alu instid0(VALU_DEP_1)
	v_cmp_lt_u64_e64 s1, v[32:33], v[4:5]
	s_and_saveexec_b32 s2, s1
	s_cbranch_execz .LBB154_31
; %bb.30:                               ;   in Loop: Header=BB154_25 Depth=1
	v_add_nc_u64_e32 v[32:33], s[4:5], v[16:17]
	global_load_b32 v28, v[32:33], off
.LBB154_31:                             ;   in Loop: Header=BB154_25 Depth=1
	s_wait_xcnt 0x0
	s_or_b32 exec_lo, exec_lo, s2
	v_add_nc_u64_e32 v[32:33], s[10:11], v[12:13]
	v_mov_b32_e32 v31, 0
	s_delay_alu instid0(VALU_DEP_2)
	v_cmp_lt_u64_e64 s2, v[32:33], v[4:5]
	s_and_saveexec_b32 s3, s2
	s_cbranch_execz .LBB154_33
; %bb.32:                               ;   in Loop: Header=BB154_25 Depth=1
	v_add_nc_u64_e32 v[32:33], s[4:5], v[20:21]
	global_load_b32 v31, v[32:33], off
.LBB154_33:                             ;   in Loop: Header=BB154_25 Depth=1
	s_wait_xcnt 0x0
	s_or_b32 exec_lo, exec_lo, s3
	s_delay_alu instid0(SALU_CYCLE_1)
	s_mov_b32 s13, exec_lo
                                        ; implicit-def: $vgpr32
	s_wait_loadcnt 0x0
	v_cmpx_ngt_f32_e64 0x3f200000, |v29|
	s_xor_b32 s13, exec_lo, s13
	s_cbranch_execz .LBB154_35
; %bb.34:                               ;   in Loop: Header=BB154_25 Depth=1
	v_add_f32_e64 v32, |v29|, |v29|
	s_delay_alu instid0(VALU_DEP_1) | instskip(SKIP_1) | instid1(VALU_DEP_2)
	v_mul_f32_e32 v33, 0x3fb8aa3b, v32
	v_cmp_ngt_f32_e64 s3, 0xc2ce8ed0, v32
	v_rndne_f32_e32 v34, v33
	v_fma_f32 v35, 0x3fb8aa3b, v32, -v33
	s_delay_alu instid0(VALU_DEP_2) | instskip(NEXT) | instid1(VALU_DEP_2)
	v_sub_f32_e32 v33, v33, v34
	v_fmac_f32_e32 v35, 0x32a5705f, v32
	v_cvt_i32_f32_e32 v34, v34
	s_delay_alu instid0(VALU_DEP_2) | instskip(NEXT) | instid1(VALU_DEP_1)
	v_add_f32_e32 v33, v33, v35
	v_exp_f32_e32 v33, v33
	v_nop
	s_delay_alu instid0(TRANS32_DEP_1) | instskip(NEXT) | instid1(VALU_DEP_1)
	v_ldexp_f32 v33, v33, v34
	v_cndmask_b32_e64 v33, 0, v33, s3
	v_cmp_nlt_f32_e64 s3, 0x42b17218, v32
	s_delay_alu instid0(VALU_DEP_1) | instskip(NEXT) | instid1(VALU_DEP_1)
	v_cndmask_b32_e64 v32, 0x7f800000, v33, s3
	v_add_f32_e32 v32, 1.0, v32
	s_delay_alu instid0(VALU_DEP_1) | instskip(SKIP_1) | instid1(TRANS32_DEP_1)
	v_rcp_f32_e32 v32, v32
	v_nop
	v_fma_f32 v32, v32, -2.0, 1.0
.LBB154_35:                             ;   in Loop: Header=BB154_25 Depth=1
	s_and_not1_saveexec_b32 s3, s13
	s_cbranch_execz .LBB154_37
; %bb.36:                               ;   in Loop: Header=BB154_25 Depth=1
	v_mul_f32_e32 v32, v29, v29
	s_delay_alu instid0(VALU_DEP_1) | instskip(NEXT) | instid1(VALU_DEP_1)
	v_fmaak_f32 v33, s12, v32, 0x3ca908c9
	v_fmaak_f32 v33, v32, v33, 0xbd5c1c4e
	s_delay_alu instid0(VALU_DEP_1) | instskip(NEXT) | instid1(VALU_DEP_1)
	v_fmaak_f32 v33, v32, v33, 0x3e088382
	v_fmaak_f32 v33, v32, v33, 0xbeaaaa99
	s_delay_alu instid0(VALU_DEP_1) | instskip(NEXT) | instid1(VALU_DEP_1)
	v_mul_f32_e64 v33, |v29|, v33
	v_fma_f32 v32, v32, v33, |v29|
.LBB154_37:                             ;   in Loop: Header=BB154_25 Depth=1
	s_or_b32 exec_lo, exec_lo, s3
	s_delay_alu instid0(SALU_CYCLE_1)
	s_mov_b32 s13, exec_lo
                                        ; implicit-def: $vgpr33
	v_cmpx_ngt_f32_e64 0x3f200000, |v30|
	s_xor_b32 s13, exec_lo, s13
	s_cbranch_execz .LBB154_39
; %bb.38:                               ;   in Loop: Header=BB154_25 Depth=1
	v_add_f32_e64 v33, |v30|, |v30|
	s_delay_alu instid0(VALU_DEP_1) | instskip(SKIP_1) | instid1(VALU_DEP_2)
	v_mul_f32_e32 v34, 0x3fb8aa3b, v33
	v_cmp_ngt_f32_e64 s3, 0xc2ce8ed0, v33
	v_rndne_f32_e32 v35, v34
	v_fma_f32 v36, 0x3fb8aa3b, v33, -v34
	s_delay_alu instid0(VALU_DEP_2) | instskip(NEXT) | instid1(VALU_DEP_2)
	v_sub_f32_e32 v34, v34, v35
	v_fmac_f32_e32 v36, 0x32a5705f, v33
	v_cvt_i32_f32_e32 v35, v35
	s_delay_alu instid0(VALU_DEP_2) | instskip(NEXT) | instid1(VALU_DEP_1)
	v_add_f32_e32 v34, v34, v36
	v_exp_f32_e32 v34, v34
	v_nop
	s_delay_alu instid0(TRANS32_DEP_1) | instskip(NEXT) | instid1(VALU_DEP_1)
	v_ldexp_f32 v34, v34, v35
	v_cndmask_b32_e64 v34, 0, v34, s3
	v_cmp_nlt_f32_e64 s3, 0x42b17218, v33
	s_delay_alu instid0(VALU_DEP_1) | instskip(NEXT) | instid1(VALU_DEP_1)
	v_cndmask_b32_e64 v33, 0x7f800000, v34, s3
	v_add_f32_e32 v33, 1.0, v33
	s_delay_alu instid0(VALU_DEP_1) | instskip(SKIP_1) | instid1(TRANS32_DEP_1)
	v_rcp_f32_e32 v33, v33
	v_nop
	v_fma_f32 v33, v33, -2.0, 1.0
.LBB154_39:                             ;   in Loop: Header=BB154_25 Depth=1
	s_and_not1_saveexec_b32 s3, s13
	s_cbranch_execz .LBB154_41
; %bb.40:                               ;   in Loop: Header=BB154_25 Depth=1
	v_mul_f32_e32 v33, v30, v30
	s_delay_alu instid0(VALU_DEP_1) | instskip(NEXT) | instid1(VALU_DEP_1)
	v_fmaak_f32 v34, s12, v33, 0x3ca908c9
	v_fmaak_f32 v34, v33, v34, 0xbd5c1c4e
	s_delay_alu instid0(VALU_DEP_1) | instskip(NEXT) | instid1(VALU_DEP_1)
	v_fmaak_f32 v34, v33, v34, 0x3e088382
	v_fmaak_f32 v34, v33, v34, 0xbeaaaa99
	s_delay_alu instid0(VALU_DEP_1) | instskip(NEXT) | instid1(VALU_DEP_1)
	v_mul_f32_e64 v34, |v30|, v34
	v_fma_f32 v33, v33, v34, |v30|
.LBB154_41:                             ;   in Loop: Header=BB154_25 Depth=1
	s_or_b32 exec_lo, exec_lo, s3
	s_delay_alu instid0(SALU_CYCLE_1)
	s_mov_b32 s13, exec_lo
                                        ; implicit-def: $vgpr34
	v_cmpx_ngt_f32_e64 0x3f200000, |v28|
	s_xor_b32 s13, exec_lo, s13
	s_cbranch_execz .LBB154_43
; %bb.42:                               ;   in Loop: Header=BB154_25 Depth=1
	v_add_f32_e64 v34, |v28|, |v28|
	s_delay_alu instid0(VALU_DEP_1) | instskip(SKIP_1) | instid1(VALU_DEP_2)
	v_mul_f32_e32 v35, 0x3fb8aa3b, v34
	v_cmp_ngt_f32_e64 s3, 0xc2ce8ed0, v34
	v_rndne_f32_e32 v36, v35
	v_fma_f32 v37, 0x3fb8aa3b, v34, -v35
	s_delay_alu instid0(VALU_DEP_2) | instskip(NEXT) | instid1(VALU_DEP_2)
	v_sub_f32_e32 v35, v35, v36
	v_fmac_f32_e32 v37, 0x32a5705f, v34
	v_cvt_i32_f32_e32 v36, v36
	s_delay_alu instid0(VALU_DEP_2) | instskip(NEXT) | instid1(VALU_DEP_1)
	v_add_f32_e32 v35, v35, v37
	v_exp_f32_e32 v35, v35
	v_nop
	s_delay_alu instid0(TRANS32_DEP_1) | instskip(NEXT) | instid1(VALU_DEP_1)
	v_ldexp_f32 v35, v35, v36
	v_cndmask_b32_e64 v35, 0, v35, s3
	v_cmp_nlt_f32_e64 s3, 0x42b17218, v34
	s_delay_alu instid0(VALU_DEP_1) | instskip(NEXT) | instid1(VALU_DEP_1)
	v_cndmask_b32_e64 v34, 0x7f800000, v35, s3
	v_add_f32_e32 v34, 1.0, v34
	s_delay_alu instid0(VALU_DEP_1) | instskip(SKIP_1) | instid1(TRANS32_DEP_1)
	v_rcp_f32_e32 v34, v34
	v_nop
	v_fma_f32 v34, v34, -2.0, 1.0
.LBB154_43:                             ;   in Loop: Header=BB154_25 Depth=1
	s_and_not1_saveexec_b32 s3, s13
	s_cbranch_execz .LBB154_45
; %bb.44:                               ;   in Loop: Header=BB154_25 Depth=1
	v_mul_f32_e32 v34, v28, v28
	s_delay_alu instid0(VALU_DEP_1) | instskip(NEXT) | instid1(VALU_DEP_1)
	v_fmaak_f32 v35, s12, v34, 0x3ca908c9
	v_fmaak_f32 v35, v34, v35, 0xbd5c1c4e
	s_delay_alu instid0(VALU_DEP_1) | instskip(NEXT) | instid1(VALU_DEP_1)
	v_fmaak_f32 v35, v34, v35, 0x3e088382
	v_fmaak_f32 v35, v34, v35, 0xbeaaaa99
	s_delay_alu instid0(VALU_DEP_1) | instskip(NEXT) | instid1(VALU_DEP_1)
	v_mul_f32_e64 v35, |v28|, v35
	v_fma_f32 v34, v34, v35, |v28|
.LBB154_45:                             ;   in Loop: Header=BB154_25 Depth=1
	s_or_b32 exec_lo, exec_lo, s3
	s_delay_alu instid0(SALU_CYCLE_1)
	s_mov_b32 s13, exec_lo
                                        ; implicit-def: $vgpr35
	v_cmpx_ngt_f32_e64 0x3f200000, |v31|
	s_xor_b32 s13, exec_lo, s13
	s_cbranch_execnz .LBB154_51
; %bb.46:                               ;   in Loop: Header=BB154_25 Depth=1
	s_and_not1_saveexec_b32 s3, s13
	s_cbranch_execnz .LBB154_52
.LBB154_47:                             ;   in Loop: Header=BB154_25 Depth=1
	s_or_b32 exec_lo, exec_lo, s3
	s_and_saveexec_b32 s3, vcc_lo
	s_delay_alu instid0(SALU_CYCLE_1)
	s_xor_b32 s3, exec_lo, s3
	s_cbranch_execnz .LBB154_53
.LBB154_48:                             ;   in Loop: Header=BB154_25 Depth=1
	s_or_b32 exec_lo, exec_lo, s3
	s_and_saveexec_b32 s3, s0
	s_cbranch_execnz .LBB154_54
.LBB154_49:                             ;   in Loop: Header=BB154_25 Depth=1
	s_or_b32 exec_lo, exec_lo, s3
	s_and_saveexec_b32 s0, s1
	s_cbranch_execnz .LBB154_55
.LBB154_50:                             ;   in Loop: Header=BB154_25 Depth=1
	s_or_b32 exec_lo, exec_lo, s0
	s_and_saveexec_b32 s0, s2
	s_cbranch_execz .LBB154_24
	s_branch .LBB154_56
.LBB154_51:                             ;   in Loop: Header=BB154_25 Depth=1
	v_add_f32_e64 v35, |v31|, |v31|
	s_delay_alu instid0(VALU_DEP_1) | instskip(SKIP_1) | instid1(VALU_DEP_2)
	v_mul_f32_e32 v36, 0x3fb8aa3b, v35
	v_cmp_ngt_f32_e64 s3, 0xc2ce8ed0, v35
	v_rndne_f32_e32 v37, v36
	v_fma_f32 v38, 0x3fb8aa3b, v35, -v36
	s_delay_alu instid0(VALU_DEP_2) | instskip(NEXT) | instid1(VALU_DEP_2)
	v_sub_f32_e32 v36, v36, v37
	v_fmac_f32_e32 v38, 0x32a5705f, v35
	v_cvt_i32_f32_e32 v37, v37
	s_delay_alu instid0(VALU_DEP_2) | instskip(NEXT) | instid1(VALU_DEP_1)
	v_add_f32_e32 v36, v36, v38
	v_exp_f32_e32 v36, v36
	v_nop
	s_delay_alu instid0(TRANS32_DEP_1) | instskip(NEXT) | instid1(VALU_DEP_1)
	v_ldexp_f32 v36, v36, v37
	v_cndmask_b32_e64 v36, 0, v36, s3
	v_cmp_nlt_f32_e64 s3, 0x42b17218, v35
	s_delay_alu instid0(VALU_DEP_1) | instskip(NEXT) | instid1(VALU_DEP_1)
	v_cndmask_b32_e64 v35, 0x7f800000, v36, s3
	v_add_f32_e32 v35, 1.0, v35
	s_delay_alu instid0(VALU_DEP_1) | instskip(SKIP_1) | instid1(TRANS32_DEP_1)
	v_rcp_f32_e32 v35, v35
	v_nop
	v_fma_f32 v35, v35, -2.0, 1.0
	s_and_not1_saveexec_b32 s3, s13
	s_cbranch_execz .LBB154_47
.LBB154_52:                             ;   in Loop: Header=BB154_25 Depth=1
	v_mul_f32_e32 v35, v31, v31
	s_delay_alu instid0(VALU_DEP_1) | instskip(NEXT) | instid1(VALU_DEP_1)
	v_fmaak_f32 v36, s12, v35, 0x3ca908c9
	v_fmaak_f32 v36, v35, v36, 0xbd5c1c4e
	s_delay_alu instid0(VALU_DEP_1) | instskip(NEXT) | instid1(VALU_DEP_1)
	v_fmaak_f32 v36, v35, v36, 0x3e088382
	v_fmaak_f32 v36, v35, v36, 0xbeaaaa99
	s_delay_alu instid0(VALU_DEP_1) | instskip(NEXT) | instid1(VALU_DEP_1)
	v_mul_f32_e64 v36, |v31|, v36
	v_fma_f32 v35, v35, v36, |v31|
	s_or_b32 exec_lo, exec_lo, s3
	s_and_saveexec_b32 s3, vcc_lo
	s_delay_alu instid0(SALU_CYCLE_1)
	s_xor_b32 s3, exec_lo, s3
	s_cbranch_execz .LBB154_48
.LBB154_53:                             ;   in Loop: Header=BB154_25 Depth=1
	v_add_nc_u64_e32 v[36:37], s[4:5], v[8:9]
	v_bfi_b32 v29, 0x7fffffff, v32, v29
	global_store_b32 v[36:37], v29, off
	s_wait_xcnt 0x0
	s_or_b32 exec_lo, exec_lo, s3
	s_and_saveexec_b32 s3, s0
	s_cbranch_execz .LBB154_49
.LBB154_54:                             ;   in Loop: Header=BB154_25 Depth=1
	v_add_nc_u64_e32 v[36:37], s[4:5], v[26:27]
	v_bfi_b32 v29, 0x7fffffff, v33, v30
	global_store_b32 v[36:37], v29, off
	s_wait_xcnt 0x0
	s_or_b32 exec_lo, exec_lo, s3
	s_and_saveexec_b32 s0, s1
	s_cbranch_execz .LBB154_50
.LBB154_55:                             ;   in Loop: Header=BB154_25 Depth=1
	v_add_nc_u64_e32 v[32:33], s[4:5], v[18:19]
	v_bfi_b32 v28, 0x7fffffff, v34, v28
	global_store_b32 v[32:33], v28, off
	s_wait_xcnt 0x0
	s_or_b32 exec_lo, exec_lo, s0
	s_and_saveexec_b32 s0, s2
	s_cbranch_execz .LBB154_24
.LBB154_56:                             ;   in Loop: Header=BB154_25 Depth=1
	v_add_nc_u64_e32 v[28:29], s[4:5], v[22:23]
	v_bfi_b32 v30, 0x7fffffff, v35, v31
	global_store_b32 v[28:29], v30, off
	s_branch .LBB154_24
.LBB154_57:
	s_endpgm
	.section	.rodata,"a",@progbits
	.p2align	6, 0x0
	.amdhsa_kernel _ZN2at6native12_GLOBAL__N_125multi_tensor_apply_kernelINS1_18TensorListMetadataILi2EEENS1_14UnaryOpFunctorIfLi2ELi1ELi1EEEJNS0_4TanhIfEEEEEvT_T0_DpT1_
		.amdhsa_group_segment_fixed_size 0
		.amdhsa_private_segment_fixed_size 0
		.amdhsa_kernarg_size 3408
		.amdhsa_user_sgpr_count 2
		.amdhsa_user_sgpr_dispatch_ptr 0
		.amdhsa_user_sgpr_queue_ptr 0
		.amdhsa_user_sgpr_kernarg_segment_ptr 1
		.amdhsa_user_sgpr_dispatch_id 0
		.amdhsa_user_sgpr_kernarg_preload_length 0
		.amdhsa_user_sgpr_kernarg_preload_offset 0
		.amdhsa_user_sgpr_private_segment_size 0
		.amdhsa_wavefront_size32 1
		.amdhsa_uses_dynamic_stack 0
		.amdhsa_enable_private_segment 0
		.amdhsa_system_sgpr_workgroup_id_x 1
		.amdhsa_system_sgpr_workgroup_id_y 0
		.amdhsa_system_sgpr_workgroup_id_z 0
		.amdhsa_system_sgpr_workgroup_info 0
		.amdhsa_system_vgpr_workitem_id 0
		.amdhsa_next_free_vgpr 39
		.amdhsa_next_free_sgpr 20
		.amdhsa_named_barrier_count 0
		.amdhsa_reserve_vcc 1
		.amdhsa_float_round_mode_32 0
		.amdhsa_float_round_mode_16_64 0
		.amdhsa_float_denorm_mode_32 3
		.amdhsa_float_denorm_mode_16_64 3
		.amdhsa_fp16_overflow 0
		.amdhsa_memory_ordered 1
		.amdhsa_forward_progress 1
		.amdhsa_inst_pref_size 25
		.amdhsa_round_robin_scheduling 0
		.amdhsa_exception_fp_ieee_invalid_op 0
		.amdhsa_exception_fp_denorm_src 0
		.amdhsa_exception_fp_ieee_div_zero 0
		.amdhsa_exception_fp_ieee_overflow 0
		.amdhsa_exception_fp_ieee_underflow 0
		.amdhsa_exception_fp_ieee_inexact 0
		.amdhsa_exception_int_div_zero 0
	.end_amdhsa_kernel
	.section	.text._ZN2at6native12_GLOBAL__N_125multi_tensor_apply_kernelINS1_18TensorListMetadataILi2EEENS1_14UnaryOpFunctorIfLi2ELi1ELi1EEEJNS0_4TanhIfEEEEEvT_T0_DpT1_,"axG",@progbits,_ZN2at6native12_GLOBAL__N_125multi_tensor_apply_kernelINS1_18TensorListMetadataILi2EEENS1_14UnaryOpFunctorIfLi2ELi1ELi1EEEJNS0_4TanhIfEEEEEvT_T0_DpT1_,comdat
.Lfunc_end154:
	.size	_ZN2at6native12_GLOBAL__N_125multi_tensor_apply_kernelINS1_18TensorListMetadataILi2EEENS1_14UnaryOpFunctorIfLi2ELi1ELi1EEEJNS0_4TanhIfEEEEEvT_T0_DpT1_, .Lfunc_end154-_ZN2at6native12_GLOBAL__N_125multi_tensor_apply_kernelINS1_18TensorListMetadataILi2EEENS1_14UnaryOpFunctorIfLi2ELi1ELi1EEEJNS0_4TanhIfEEEEEvT_T0_DpT1_
                                        ; -- End function
	.set _ZN2at6native12_GLOBAL__N_125multi_tensor_apply_kernelINS1_18TensorListMetadataILi2EEENS1_14UnaryOpFunctorIfLi2ELi1ELi1EEEJNS0_4TanhIfEEEEEvT_T0_DpT1_.num_vgpr, 39
	.set _ZN2at6native12_GLOBAL__N_125multi_tensor_apply_kernelINS1_18TensorListMetadataILi2EEENS1_14UnaryOpFunctorIfLi2ELi1ELi1EEEJNS0_4TanhIfEEEEEvT_T0_DpT1_.num_agpr, 0
	.set _ZN2at6native12_GLOBAL__N_125multi_tensor_apply_kernelINS1_18TensorListMetadataILi2EEENS1_14UnaryOpFunctorIfLi2ELi1ELi1EEEJNS0_4TanhIfEEEEEvT_T0_DpT1_.numbered_sgpr, 20
	.set _ZN2at6native12_GLOBAL__N_125multi_tensor_apply_kernelINS1_18TensorListMetadataILi2EEENS1_14UnaryOpFunctorIfLi2ELi1ELi1EEEJNS0_4TanhIfEEEEEvT_T0_DpT1_.num_named_barrier, 0
	.set _ZN2at6native12_GLOBAL__N_125multi_tensor_apply_kernelINS1_18TensorListMetadataILi2EEENS1_14UnaryOpFunctorIfLi2ELi1ELi1EEEJNS0_4TanhIfEEEEEvT_T0_DpT1_.private_seg_size, 0
	.set _ZN2at6native12_GLOBAL__N_125multi_tensor_apply_kernelINS1_18TensorListMetadataILi2EEENS1_14UnaryOpFunctorIfLi2ELi1ELi1EEEJNS0_4TanhIfEEEEEvT_T0_DpT1_.uses_vcc, 1
	.set _ZN2at6native12_GLOBAL__N_125multi_tensor_apply_kernelINS1_18TensorListMetadataILi2EEENS1_14UnaryOpFunctorIfLi2ELi1ELi1EEEJNS0_4TanhIfEEEEEvT_T0_DpT1_.uses_flat_scratch, 0
	.set _ZN2at6native12_GLOBAL__N_125multi_tensor_apply_kernelINS1_18TensorListMetadataILi2EEENS1_14UnaryOpFunctorIfLi2ELi1ELi1EEEJNS0_4TanhIfEEEEEvT_T0_DpT1_.has_dyn_sized_stack, 0
	.set _ZN2at6native12_GLOBAL__N_125multi_tensor_apply_kernelINS1_18TensorListMetadataILi2EEENS1_14UnaryOpFunctorIfLi2ELi1ELi1EEEJNS0_4TanhIfEEEEEvT_T0_DpT1_.has_recursion, 0
	.set _ZN2at6native12_GLOBAL__N_125multi_tensor_apply_kernelINS1_18TensorListMetadataILi2EEENS1_14UnaryOpFunctorIfLi2ELi1ELi1EEEJNS0_4TanhIfEEEEEvT_T0_DpT1_.has_indirect_call, 0
	.section	.AMDGPU.csdata,"",@progbits
; Kernel info:
; codeLenInByte = 3160
; TotalNumSgprs: 22
; NumVgprs: 39
; ScratchSize: 0
; MemoryBound: 0
; FloatMode: 240
; IeeeMode: 1
; LDSByteSize: 0 bytes/workgroup (compile time only)
; SGPRBlocks: 0
; VGPRBlocks: 2
; NumSGPRsForWavesPerEU: 22
; NumVGPRsForWavesPerEU: 39
; NamedBarCnt: 0
; Occupancy: 16
; WaveLimiterHint : 0
; COMPUTE_PGM_RSRC2:SCRATCH_EN: 0
; COMPUTE_PGM_RSRC2:USER_SGPR: 2
; COMPUTE_PGM_RSRC2:TRAP_HANDLER: 0
; COMPUTE_PGM_RSRC2:TGID_X_EN: 1
; COMPUTE_PGM_RSRC2:TGID_Y_EN: 0
; COMPUTE_PGM_RSRC2:TGID_Z_EN: 0
; COMPUTE_PGM_RSRC2:TIDIG_COMP_CNT: 0
	.section	.text._ZN2at6native12_GLOBAL__N_125multi_tensor_apply_kernelINS1_18TensorListMetadataILi2EEENS1_14UnaryOpFunctorIN3c107complexIdEELi2ELi1ELi1EEEJNS0_4TanhIS8_EEEEEvT_T0_DpT1_,"axG",@progbits,_ZN2at6native12_GLOBAL__N_125multi_tensor_apply_kernelINS1_18TensorListMetadataILi2EEENS1_14UnaryOpFunctorIN3c107complexIdEELi2ELi1ELi1EEEJNS0_4TanhIS8_EEEEEvT_T0_DpT1_,comdat
	.globl	_ZN2at6native12_GLOBAL__N_125multi_tensor_apply_kernelINS1_18TensorListMetadataILi2EEENS1_14UnaryOpFunctorIN3c107complexIdEELi2ELi1ELi1EEEJNS0_4TanhIS8_EEEEEvT_T0_DpT1_ ; -- Begin function _ZN2at6native12_GLOBAL__N_125multi_tensor_apply_kernelINS1_18TensorListMetadataILi2EEENS1_14UnaryOpFunctorIN3c107complexIdEELi2ELi1ELi1EEEJNS0_4TanhIS8_EEEEEvT_T0_DpT1_
	.p2align	8
	.type	_ZN2at6native12_GLOBAL__N_125multi_tensor_apply_kernelINS1_18TensorListMetadataILi2EEENS1_14UnaryOpFunctorIN3c107complexIdEELi2ELi1ELi1EEEJNS0_4TanhIS8_EEEEEvT_T0_DpT1_,@function
_ZN2at6native12_GLOBAL__N_125multi_tensor_apply_kernelINS1_18TensorListMetadataILi2EEENS1_14UnaryOpFunctorIN3c107complexIdEELi2ELi1ELi1EEEJNS0_4TanhIS8_EEEEEvT_T0_DpT1_: ; @_ZN2at6native12_GLOBAL__N_125multi_tensor_apply_kernelINS1_18TensorListMetadataILi2EEENS1_14UnaryOpFunctorIN3c107complexIdEELi2ELi1ELi1EEEJNS0_4TanhIS8_EEEEEvT_T0_DpT1_
; %bb.0:
	s_bfe_u32 s2, ttmp6, 0x4000c
	s_and_b32 s3, ttmp6, 15
	s_add_co_i32 s2, s2, 1
	s_getreg_b32 s4, hwreg(HW_REG_IB_STS2, 6, 4)
	s_mul_i32 s2, ttmp9, s2
	s_delay_alu instid0(SALU_CYCLE_1)
	s_add_co_i32 s3, s3, s2
	s_cmp_eq_u32 s4, 0
	s_cselect_b32 s2, ttmp9, s3
	s_mov_b32 s3, 0
	s_load_u8 s11, s[0:1], s2 offset:0x600
	s_add_nc_u64 s[4:5], s[0:1], s[2:3]
	s_mul_u64 s[6:7], s[2:3], 3
	s_delay_alu instid0(SALU_CYCLE_1)
	s_add_nc_u64 s[4:5], s[4:5], s[6:7]
	s_load_b32 s10, s[4:5], 0x740
	s_wait_kmcnt 0x0
	s_clause 0x2
	s_load_b64 s[6:7], s[0:1], s11 offset:0x0 scale_offset
	s_load_b64 s[8:9], s[0:1], s11 offset:0x200 scale_offset
	;; [unrolled: 1-line block ×3, first 2 shown]
	s_wait_xcnt 0x0
	s_ashr_i32 s11, s10, 31
	s_delay_alu instid0(SALU_CYCLE_1)
	s_lshl_b64 s[4:5], s[10:11], 20
	s_lshl_b64 s[10:11], s[10:11], 16
	s_wait_kmcnt 0x0
	s_add_nc_u64 s[8:9], s[8:9], s[4:5]
	s_add_nc_u64 s[6:7], s[6:7], s[4:5]
	s_and_b32 s4, s12, 3
	s_and_b64 s[14:15], s[8:9], 63
	s_mov_b32 s5, s3
	s_and_b32 s2, s6, 63
	s_or_b64 s[4:5], s[14:15], s[4:5]
	s_delay_alu instid0(SALU_CYCLE_1)
	s_or_b64 s[2:3], s[4:5], s[2:3]
	s_sub_nc_u64 s[4:5], s[12:13], s[10:11]
	s_cmp_eq_u64 s[2:3], 0
	s_mov_b32 s2, -1
	s_cbranch_scc0 .LBB155_157
; %bb.1:
	v_min_i64 v[18:19], 0x10000, s[4:5]
	v_dual_mov_b32 v20, 0 :: v_dual_lshlrev_b32 v2, 2, v0
	s_mov_b32 s30, exec_lo
	s_delay_alu instid0(VALU_DEP_1) | instskip(NEXT) | instid1(VALU_DEP_1)
	v_mov_b32_e32 v3, v20
	v_cmpx_lt_i64_e64 v[2:3], v[18:19]
	s_cbranch_execz .LBB155_156
; %bb.2:
	s_load_b32 s2, s[0:1], 0xc5c
	v_dual_mov_b32 v1, v20 :: v_dual_lshlrev_b32 v22, 6, v0
	v_mov_b64_e32 v[24:25], 0xbf078809a9a29f71
	v_mov_b64_e32 v[26:27], 0x3e928af3fca7ab0c
	;; [unrolled: 1-line block ×5, first 2 shown]
	v_mov_b32_e32 v23, v20
	s_mov_b32 s11, 0
	s_mov_b64 s[12:13], 0x3ff921fb54442d18
	s_mov_b64 s[14:15], 0x3fe45f306dc9c883
	;; [unrolled: 1-line block ×5, first 2 shown]
	s_mov_b32 s23, s11
	s_mov_b64 s[24:25], 0xbff71547652b82fe
	s_mov_b32 s31, 0x3ff00000
	s_mov_b32 s33, s11
	s_mov_b64 s[26:27], s[6:7]
	s_wait_kmcnt 0x0
	s_and_b32 s10, s2, 0xffff
	s_mov_b64 s[28:29], s[8:9]
	s_lshl_b32 s22, s10, 6
                                        ; implicit-def: $vgpr2_vgpr3
                                        ; implicit-def: $vgpr2_vgpr3
	;; [unrolled: 1-line block ×27, first 2 shown]
	s_branch .LBB155_7
.LBB155_3:                              ;   in Loop: Header=BB155_7 Depth=1
	s_or_b32 exec_lo, exec_lo, s2
	v_dual_mul_f64 v[38:39], v[34:35], v[34:35] :: v_dual_bitop2_b32 v21, 1, v1 bitop3:0x40
	v_mul_f64_e32 v[40:41], v[46:47], v[46:47]
	v_cmp_class_f64_e64 s2, v[4:5], 0x1f8
	v_and_b32_e32 v4, 1, v53
	v_mul_f64_e32 v[64:65], 0.5, v[48:49]
	v_cmp_eq_u32_e32 vcc_lo, 0, v21
	v_mul_f64_e32 v[56:57], 0.5, v[36:37]
	v_lshlrev_b32_e32 v1, 30, v1
	v_cmp_eq_u32_e64 s3, 0, v4
	v_lshlrev_b32_e32 v4, 30, v53
	s_delay_alu instid0(VALU_DEP_3) | instskip(SKIP_4) | instid1(VALU_DEP_3)
	v_dual_mul_f64 v[42:43], 0.5, v[38:39] :: v_dual_bitop2_b32 v1, v1, v5 bitop3:0x14
	v_mul_f64_e64 v[58:59], v[34:35], -v[38:39]
	v_fmamk_f64 v[62:63], v[38:39], 0x3de5e0b2f9a43bb8, v[30:31]
	v_mul_f64_e64 v[66:67], v[46:47], -v[40:41]
	v_fmamk_f64 v[68:69], v[40:41], 0x3de5e0b2f9a43bb8, v[30:31]
	v_fmaak_f64 v[62:63], v[38:39], v[62:63], 0x3ec71de3796cde01
	s_delay_alu instid0(VALU_DEP_2) | instskip(NEXT) | instid1(VALU_DEP_2)
	v_fmaak_f64 v[68:69], v[40:41], v[68:69], 0x3ec71de3796cde01
	v_fmaak_f64 v[62:63], v[38:39], v[62:63], 0xbf2a01a019e83e5c
	s_delay_alu instid0(VALU_DEP_1) | instskip(SKIP_1) | instid1(VALU_DEP_2)
	v_fmaak_f64 v[62:63], v[38:39], v[62:63], 0x3f81111111110bb3
	v_add_f64_e64 v[50:51], -v[42:43], 1.0
	v_fmac_f64_e32 v[56:57], v[58:59], v[62:63]
	v_mul_f64_e32 v[62:63], v[38:39], v[38:39]
	s_delay_alu instid0(VALU_DEP_3) | instskip(NEXT) | instid1(VALU_DEP_3)
	v_add_f64_e64 v[60:61], -v[50:51], 1.0
	v_fma_f64 v[56:57], v[38:39], v[56:57], -v[36:37]
	s_delay_alu instid0(VALU_DEP_2) | instskip(SKIP_1) | instid1(VALU_DEP_3)
	v_add_f64_e64 v[42:43], v[60:61], -v[42:43]
	v_fmaak_f64 v[60:61], v[40:41], v[68:69], 0xbf2a01a019e83e5c
	v_fmac_f64_e32 v[56:57], 0xbfc5555555555555, v[58:59]
	v_mul_f64_e32 v[68:69], v[40:41], v[40:41]
	s_delay_alu instid0(VALU_DEP_3) | instskip(NEXT) | instid1(VALU_DEP_1)
	v_fmaak_f64 v[60:61], v[40:41], v[60:61], 0x3f81111111110bb3
	v_fmac_f64_e32 v[64:65], v[66:67], v[60:61]
	v_fmamk_f64 v[60:61], v[38:39], 0xbda907db46cc5e42, v[28:29]
	v_fma_f64 v[36:37], v[34:35], -v[36:37], v[42:43]
	s_delay_alu instid0(VALU_DEP_2) | instskip(SKIP_1) | instid1(VALU_DEP_2)
	v_fmaak_f64 v[42:43], v[38:39], v[60:61], 0xbe927e4fa17f65f6
	v_add_f64_e64 v[34:35], v[34:35], -v[56:57]
	v_fmaak_f64 v[42:43], v[38:39], v[42:43], 0x3efa01a019f4ec90
	s_delay_alu instid0(VALU_DEP_1) | instskip(SKIP_2) | instid1(VALU_DEP_3)
	v_fmaak_f64 v[42:43], v[38:39], v[42:43], 0xbf56c16c16c16967
	v_fma_f64 v[60:61], v[40:41], v[64:65], -v[48:49]
	v_fmamk_f64 v[64:65], v[40:41], 0xbda907db46cc5e42, v[28:29]
	v_fmaak_f64 v[38:39], v[38:39], v[42:43], 0x3fa5555555555555
	s_delay_alu instid0(VALU_DEP_2) | instskip(NEXT) | instid1(VALU_DEP_2)
	v_fmaak_f64 v[42:43], v[40:41], v[64:65], 0xbe927e4fa17f65f6
	v_fmac_f64_e32 v[36:37], v[62:63], v[38:39]
	s_delay_alu instid0(VALU_DEP_2) | instskip(NEXT) | instid1(VALU_DEP_1)
	v_fmaak_f64 v[38:39], v[40:41], v[42:43], 0x3efa01a019f4ec90
	v_fmaak_f64 v[38:39], v[40:41], v[38:39], 0xbf56c16c16c16967
	s_delay_alu instid0(VALU_DEP_1) | instskip(SKIP_2) | instid1(VALU_DEP_1)
	v_fmaak_f64 v[38:39], v[40:41], v[38:39], 0x3fa5555555555555
	v_fmac_f64_e32 v[60:61], 0xbfc5555555555555, v[66:67]
	v_add_f64_e32 v[36:37], v[50:51], v[36:37]
	v_dual_mul_f64 v[44:45], 0.5, v[40:41] :: v_dual_cndmask_b32 v21, v36, v34, vcc_lo
	s_delay_alu instid0(VALU_DEP_1) | instskip(NEXT) | instid1(VALU_DEP_3)
	v_add_f64_e64 v[54:55], -v[44:45], 1.0
	v_cndmask_b32_e32 v5, v37, v35, vcc_lo
	s_delay_alu instid0(VALU_DEP_1) | instskip(NEXT) | instid1(VALU_DEP_1)
	v_bitop3_b32 v1, v5, v1, 0x80000000 bitop3:0x78
	v_cndmask_b32_e64 v5, 0x7ff80000, v1, s2
	s_delay_alu instid0(VALU_DEP_4) | instskip(NEXT) | instid1(VALU_DEP_1)
	v_add_f64_e64 v[70:71], -v[54:55], 1.0
	v_add_f64_e64 v[44:45], v[70:71], -v[44:45]
	s_delay_alu instid0(VALU_DEP_1) | instskip(NEXT) | instid1(VALU_DEP_1)
	v_fma_f64 v[44:45], v[46:47], -v[48:49], v[44:45]
	v_fmac_f64_e32 v[44:45], v[68:69], v[38:39]
	v_add_f64_e64 v[38:39], v[46:47], -v[60:61]
	s_delay_alu instid0(VALU_DEP_2) | instskip(NEXT) | instid1(VALU_DEP_2)
	v_add_f64_e32 v[40:41], v[54:55], v[44:45]
	v_xor_b32_e32 v34, 0x80000000, v39
	s_delay_alu instid0(VALU_DEP_1) | instskip(NEXT) | instid1(VALU_DEP_3)
	v_cndmask_b32_e64 v34, v34, v41, s3
	v_cndmask_b32_e64 v35, v38, v40, s3
	s_delay_alu instid0(VALU_DEP_2) | instskip(NEXT) | instid1(VALU_DEP_2)
	v_bitop3_b32 v36, v34, v4, 0x80000000 bitop3:0x78
	v_dual_cndmask_b32 v4, 0, v21, s2 :: v_dual_cndmask_b32 v34, 0, v35, s2
	s_delay_alu instid0(VALU_DEP_2) | instskip(NEXT) | instid1(VALU_DEP_1)
	v_cndmask_b32_e64 v35, 0x7ff80000, v36, s2
	v_mul_f64_e32 v[4:5], v[4:5], v[34:35]
.LBB155_4:                              ;   in Loop: Header=BB155_7 Depth=1
	s_or_b32 exec_lo, exec_lo, s36
	s_delay_alu instid0(VALU_DEP_1) | instskip(SKIP_1) | instid1(VALU_DEP_2)
	v_bfi_b32 v21, 0x7fffffff, 0, v5
	v_add_nc_u32_e32 v3, -2.0, v3
	v_mov_b64_e32 v[4:5], v[20:21]
.LBB155_5:                              ;   in Loop: Header=BB155_7 Depth=1
	s_or_b32 exec_lo, exec_lo, s35
.LBB155_6:                              ;   in Loop: Header=BB155_7 Depth=1
	s_delay_alu instid0(SALU_CYCLE_1)
	s_or_b32 exec_lo, exec_lo, s34
	v_add_nc_u64_e32 v[32:33], s[10:11], v[32:33]
	v_add_nc_u64_e32 v[36:37], s[28:29], v[22:23]
	s_add_nc_u64 s[28:29], s[28:29], s[22:23]
	s_add_nc_u64 s[26:27], s[26:27], s[22:23]
	s_clause 0x1
	global_store_b128 v[36:37], v[14:17], off
	global_store_b128 v[36:37], v[10:13], off offset:16
	v_lshlrev_b64_e32 v[34:35], 2, v[32:33]
	s_clause 0x1
	global_store_b128 v[36:37], v[6:9], off offset:32
	global_store_b128 v[36:37], v[2:5], off offset:48
	v_cmp_ge_i64_e32 vcc_lo, v[34:35], v[18:19]
	s_or_b32 s33, vcc_lo, s33
	s_wait_xcnt 0x0
	s_and_not1_b32 exec_lo, exec_lo, s33
	s_cbranch_execz .LBB155_156
.LBB155_7:                              ; =>This Inner Loop Header: Depth=1
	v_add_nc_u64_e32 v[34:35], s[26:27], v[22:23]
	s_mov_b32 s2, exec_lo
	s_clause 0x3
	global_load_b128 v[14:17], v[34:35], off
	global_load_b128 v[10:13], v[34:35], off offset:16
	global_load_b128 v[2:5], v[34:35], off offset:48
	global_load_b128 v[6:9], v[34:35], off offset:32
	s_wait_loadcnt 0x3
	v_and_b32_e32 v1, 0x7fffffff, v15
	s_wait_xcnt 0x0
	s_delay_alu instid0(VALU_DEP_1)
	v_cmpx_gt_u32_e32 0x7ff00000, v1
	s_xor_b32 s3, exec_lo, s2
	s_cbranch_execz .LBB155_29
; %bb.8:                                ;   in Loop: Header=BB155_7 Depth=1
	v_cmp_class_f64_e64 s2, v[16:17], 0x1f8
	s_and_saveexec_b32 s34, s2
	s_delay_alu instid0(SALU_CYCLE_1)
	s_xor_b32 s34, exec_lo, s34
	s_cbranch_execz .LBB155_26
; %bb.9:                                ;   in Loop: Header=BB155_7 Depth=1
	s_mov_b32 s2, exec_lo
	v_cmpx_gt_u32_e32 0x40360000, v1
	s_xor_b32 s35, exec_lo, s2
	s_cbranch_execz .LBB155_15
; %bb.10:                               ;   in Loop: Header=BB155_7 Depth=1
	v_cmp_ngt_f64_e64 s2, 0x41d00000, |v[16:17]|
                                        ; implicit-def: $vgpr1
                                        ; implicit-def: $vgpr34_vgpr35
                                        ; implicit-def: $vgpr36_vgpr37
	s_and_saveexec_b32 s36, s2
	s_delay_alu instid0(SALU_CYCLE_1)
	s_xor_b32 s2, exec_lo, s36
	s_cbranch_execz .LBB155_12
; %bb.11:                               ;   in Loop: Header=BB155_7 Depth=1
	v_ldexp_f64 v[34:35], |v[16:17]|, 0xffffff80
	v_cmp_le_f64_e64 vcc_lo, 0x7b000000, |v[16:17]|
	v_trig_preop_f64 v[36:37], |v[16:17]|, 0
	v_and_b32_e32 v1, 0x7fffffff, v17
	v_trig_preop_f64 v[38:39], |v[16:17]|, 1
	v_trig_preop_f64 v[48:49], |v[16:17]|, 2
	s_delay_alu instid0(VALU_DEP_3) | instskip(NEXT) | instid1(VALU_DEP_1)
	v_dual_cndmask_b32 v35, v1, v35 :: v_dual_cndmask_b32 v34, v16, v34
	v_mul_f64_e32 v[40:41], v[36:37], v[34:35]
	s_delay_alu instid0(VALU_DEP_4) | instskip(NEXT) | instid1(VALU_DEP_4)
	v_mul_f64_e32 v[42:43], v[38:39], v[34:35]
	v_mul_f64_e32 v[54:55], v[48:49], v[34:35]
	s_delay_alu instid0(VALU_DEP_3) | instskip(NEXT) | instid1(VALU_DEP_3)
	v_fma_f64 v[36:37], v[36:37], v[34:35], -v[40:41]
	v_fma_f64 v[38:39], v[38:39], v[34:35], -v[42:43]
	s_delay_alu instid0(VALU_DEP_3) | instskip(NEXT) | instid1(VALU_DEP_3)
	v_fma_f64 v[34:35], v[48:49], v[34:35], -v[54:55]
	v_add_f64_e32 v[44:45], v[42:43], v[36:37]
	s_delay_alu instid0(VALU_DEP_1) | instskip(SKIP_1) | instid1(VALU_DEP_2)
	v_add_f64_e64 v[46:47], v[44:45], -v[42:43]
	v_add_f64_e32 v[52:53], v[40:41], v[44:45]
	v_add_f64_e64 v[50:51], v[44:45], -v[46:47]
	v_add_f64_e64 v[36:37], v[36:37], -v[46:47]
	s_delay_alu instid0(VALU_DEP_3) | instskip(NEXT) | instid1(VALU_DEP_3)
	v_ldexp_f64 v[46:47], v[52:53], -2
	v_add_f64_e64 v[42:43], v[42:43], -v[50:51]
	v_add_f64_e32 v[50:51], v[54:55], v[38:39]
	s_delay_alu instid0(VALU_DEP_3) | instskip(NEXT) | instid1(VALU_DEP_3)
	v_cmp_neq_f64_e64 vcc_lo, 0x7ff00000, |v[46:47]|
	v_add_f64_e32 v[36:37], v[36:37], v[42:43]
	v_fract_f64_e32 v[42:43], v[46:47]
	s_delay_alu instid0(VALU_DEP_1) | instskip(NEXT) | instid1(VALU_DEP_1)
	v_ldexp_f64 v[42:43], v[42:43], 2
	v_dual_add_f64 v[40:41], v[52:53], -v[40:41] :: v_dual_cndmask_b32 v42, 0, v42, vcc_lo
	s_delay_alu instid0(VALU_DEP_1) | instskip(SKIP_1) | instid1(VALU_DEP_1)
	v_dual_add_f64 v[40:41], v[44:45], -v[40:41] :: v_dual_cndmask_b32 v43, 0, v43, vcc_lo
	v_add_f64_e32 v[44:45], v[50:51], v[36:37]
	v_add_f64_e32 v[46:47], v[40:41], v[44:45]
	v_add_f64_e64 v[56:57], v[44:45], -v[50:51]
	s_delay_alu instid0(VALU_DEP_2) | instskip(NEXT) | instid1(VALU_DEP_2)
	v_add_f64_e32 v[52:53], v[46:47], v[42:43]
	v_add_f64_e64 v[62:63], v[44:45], -v[56:57]
	v_add_f64_e64 v[36:37], v[36:37], -v[56:57]
	;; [unrolled: 1-line block ×3, first 2 shown]
	s_delay_alu instid0(VALU_DEP_4) | instskip(SKIP_1) | instid1(VALU_DEP_3)
	v_cmp_gt_f64_e32 vcc_lo, 0, v[52:53]
	v_add_f64_e64 v[52:53], v[50:51], -v[54:55]
	v_add_f64_e64 v[40:41], v[44:45], -v[40:41]
	v_cndmask_b32_e64 v21, 0, 0x40100000, vcc_lo
	s_delay_alu instid0(VALU_DEP_3) | instskip(SKIP_2) | instid1(VALU_DEP_4)
	v_add_f64_e64 v[60:61], v[50:51], -v[52:53]
	v_add_f64_e64 v[38:39], v[38:39], -v[52:53]
	;; [unrolled: 1-line block ×3, first 2 shown]
	v_add_f64_e32 v[42:43], v[42:43], v[20:21]
	s_delay_alu instid0(VALU_DEP_4) | instskip(NEXT) | instid1(VALU_DEP_3)
	v_add_f64_e64 v[52:53], v[54:55], -v[60:61]
	v_add_f64_e32 v[36:37], v[36:37], v[50:51]
	s_delay_alu instid0(VALU_DEP_3) | instskip(NEXT) | instid1(VALU_DEP_3)
	v_add_f64_e32 v[58:59], v[46:47], v[42:43]
	v_add_f64_e32 v[38:39], v[38:39], v[52:53]
	s_delay_alu instid0(VALU_DEP_2) | instskip(NEXT) | instid1(VALU_DEP_2)
	v_cvt_i32_f64_e32 v1, v[58:59]
	v_add_f64_e32 v[36:37], v[38:39], v[36:37]
	s_delay_alu instid0(VALU_DEP_2) | instskip(NEXT) | instid1(VALU_DEP_2)
	v_cvt_f64_i32_e32 v[56:57], v1
	v_add_f64_e32 v[34:35], v[34:35], v[36:37]
	s_delay_alu instid0(VALU_DEP_2) | instskip(NEXT) | instid1(VALU_DEP_2)
	v_add_f64_e64 v[42:43], v[42:43], -v[56:57]
	v_add_f64_e32 v[34:35], v[40:41], v[34:35]
	s_delay_alu instid0(VALU_DEP_2) | instskip(NEXT) | instid1(VALU_DEP_1)
	v_add_f64_e32 v[38:39], v[46:47], v[42:43]
	v_add_f64_e64 v[36:37], v[38:39], -v[42:43]
	v_cmp_le_f64_e32 vcc_lo, 0.5, v[38:39]
	s_delay_alu instid0(VALU_DEP_2) | instskip(SKIP_2) | instid1(VALU_DEP_3)
	v_add_f64_e64 v[36:37], v[46:47], -v[36:37]
	v_cndmask_b32_e64 v21, 0, 0x3ff00000, vcc_lo
	v_add_co_ci_u32_e64 v1, null, 0, v1, vcc_lo
	v_add_f64_e32 v[34:35], v[34:35], v[36:37]
	s_delay_alu instid0(VALU_DEP_3) | instskip(NEXT) | instid1(VALU_DEP_1)
	v_add_f64_e64 v[36:37], v[38:39], -v[20:21]
	v_add_f64_e32 v[38:39], v[36:37], v[34:35]
	s_delay_alu instid0(VALU_DEP_1) | instskip(SKIP_1) | instid1(VALU_DEP_2)
	v_mul_f64_e32 v[40:41], 0x3ff921fb54442d18, v[38:39]
	v_add_f64_e64 v[36:37], v[38:39], -v[36:37]
	v_fma_f64 v[42:43], v[38:39], s[12:13], -v[40:41]
	s_delay_alu instid0(VALU_DEP_2) | instskip(NEXT) | instid1(VALU_DEP_2)
	v_add_f64_e64 v[34:35], v[34:35], -v[36:37]
	v_fmac_f64_e32 v[42:43], 0x3c91a62633145c07, v[38:39]
	s_delay_alu instid0(VALU_DEP_1) | instskip(NEXT) | instid1(VALU_DEP_1)
	v_fmac_f64_e32 v[42:43], 0x3ff921fb54442d18, v[34:35]
	v_add_f64_e32 v[34:35], v[40:41], v[42:43]
	s_delay_alu instid0(VALU_DEP_1) | instskip(NEXT) | instid1(VALU_DEP_1)
	v_add_f64_e64 v[36:37], v[34:35], -v[40:41]
	v_add_f64_e64 v[36:37], v[42:43], -v[36:37]
.LBB155_12:                             ;   in Loop: Header=BB155_7 Depth=1
	s_and_not1_saveexec_b32 s2, s2
	s_cbranch_execz .LBB155_14
; %bb.13:                               ;   in Loop: Header=BB155_7 Depth=1
	v_mul_f64_e64 v[34:35], |v[16:17]|, s[14:15]
	s_delay_alu instid0(VALU_DEP_1) | instskip(NEXT) | instid1(VALU_DEP_1)
	v_rndne_f64_e32 v[38:39], v[34:35]
	v_fma_f64 v[34:35], v[38:39], s[16:17], |v[16:17]|
	v_mul_f64_e32 v[36:37], 0xbc91a62633145c00, v[38:39]
	v_cvt_i32_f64_e32 v1, v[38:39]
	s_delay_alu instid0(VALU_DEP_3) | instskip(NEXT) | instid1(VALU_DEP_3)
	v_fmamk_f64 v[44:45], v[38:39], 0xbc91a62633145c00, v[34:35]
	v_add_f64_e32 v[40:41], v[34:35], v[36:37]
	s_delay_alu instid0(VALU_DEP_1) | instskip(NEXT) | instid1(VALU_DEP_3)
	v_add_f64_e64 v[42:43], v[34:35], -v[40:41]
	v_add_f64_e64 v[34:35], v[40:41], -v[44:45]
	s_delay_alu instid0(VALU_DEP_2) | instskip(SKIP_1) | instid1(VALU_DEP_2)
	v_add_f64_e32 v[40:41], v[42:43], v[36:37]
	v_fmamk_f64 v[36:37], v[38:39], 0x3c91a62633145c00, v[36:37]
	v_add_f64_e32 v[34:35], v[34:35], v[40:41]
	s_delay_alu instid0(VALU_DEP_1) | instskip(NEXT) | instid1(VALU_DEP_1)
	v_add_f64_e64 v[36:37], v[34:35], -v[36:37]
	v_fmac_f64_e32 v[36:37], 0xb97b839a252049c0, v[38:39]
	s_delay_alu instid0(VALU_DEP_1) | instskip(NEXT) | instid1(VALU_DEP_1)
	v_add_f64_e32 v[34:35], v[44:45], v[36:37]
	v_add_f64_e64 v[40:41], v[34:35], -v[44:45]
	s_delay_alu instid0(VALU_DEP_1)
	v_add_f64_e64 v[36:37], v[36:37], -v[40:41]
.LBB155_14:                             ;   in Loop: Header=BB155_7 Depth=1
	s_or_b32 exec_lo, exec_lo, s2
	v_add_f64_e64 v[38:39], |v[14:15]|, s[18:19]
	v_cmp_nge_f64_e64 vcc_lo, |v[14:15]|, s[20:21]
	v_dual_mul_f64 v[56:57], v[34:35], v[34:35] :: v_dual_bitop2_b32 v1, 1, v1 bitop3:0x40
	s_delay_alu instid0(VALU_DEP_4) | instskip(NEXT) | instid1(VALU_DEP_2)
	v_add_f64_e32 v[58:59], v[36:37], v[36:37]
	v_cmp_eq_u32_e64 s2, 0, v1
	v_add_f64_e64 v[40:41], v[38:39], -|v[14:15]|
	s_delay_alu instid0(VALU_DEP_4) | instskip(NEXT) | instid1(VALU_DEP_2)
	v_fma_f64 v[60:61], v[34:35], v[34:35], -v[56:57]
	v_add_f64_e64 v[42:43], v[40:41], -v[38:39]
	v_add_f64_e32 v[40:41], 0x3fe62e42fefa39ef, v[40:41]
	s_delay_alu instid0(VALU_DEP_3) | instskip(NEXT) | instid1(VALU_DEP_3)
	v_fmac_f64_e32 v[60:61], v[34:35], v[58:59]
	v_add_f64_e64 v[42:43], |v[14:15]|, v[42:43]
	s_delay_alu instid0(VALU_DEP_2) | instskip(NEXT) | instid1(VALU_DEP_2)
	v_add_f64_e32 v[56:57], v[56:57], v[60:61]
	v_add_f64_e64 v[40:41], v[42:43], -v[40:41]
	s_delay_alu instid0(VALU_DEP_2) | instskip(NEXT) | instid1(VALU_DEP_1)
	v_fmamk_f64 v[60:61], v[56:57], 0x3ef5e089c751c08c, v[24:25]
	v_fmaak_f64 v[60:61], v[56:57], v[60:61], 0x3f17746f90a8aae0
	s_delay_alu instid0(VALU_DEP_1) | instskip(NEXT) | instid1(VALU_DEP_4)
	v_fmaak_f64 v[60:61], v[56:57], v[60:61], 0xbefbb44da6fbf144
	v_add_f64_e32 v[40:41], 0xbc7abc9e3b39803f, v[40:41]
	s_delay_alu instid0(VALU_DEP_1) | instskip(NEXT) | instid1(VALU_DEP_1)
	v_add_f64_e32 v[42:43], v[38:39], v[40:41]
	v_mul_f64_e32 v[44:45], 0x3ff71547652b82fe, v[42:43]
	v_add_f64_e64 v[38:39], v[38:39], -v[42:43]
	s_delay_alu instid0(VALU_DEP_2) | instskip(NEXT) | instid1(VALU_DEP_2)
	v_rndne_f64_e32 v[44:45], v[44:45]
	v_add_f64_e32 v[38:39], v[40:41], v[38:39]
	s_delay_alu instid0(VALU_DEP_2) | instskip(SKIP_2) | instid1(VALU_DEP_3)
	v_fmac_f64_e32 v[42:43], 0xbfe62e42fefa3000, v[44:45]
	v_mul_f64_e32 v[40:41], 0xbd53de6af278e000, v[44:45]
	v_cvt_i32_f64_e32 v16, v[44:45]
	v_add_f64_e32 v[46:47], v[38:39], v[42:43]
	s_delay_alu instid0(VALU_DEP_1) | instskip(SKIP_1) | instid1(VALU_DEP_2)
	v_add_f64_e32 v[48:49], v[46:47], v[40:41]
	v_add_f64_e64 v[42:43], v[42:43], -v[46:47]
	v_add_f64_e64 v[46:47], v[46:47], -v[48:49]
	s_delay_alu instid0(VALU_DEP_2) | instskip(NEXT) | instid1(VALU_DEP_2)
	v_add_f64_e32 v[38:39], v[38:39], v[42:43]
	v_add_f64_e32 v[40:41], v[46:47], v[40:41]
	s_delay_alu instid0(VALU_DEP_1) | instskip(SKIP_1) | instid1(VALU_DEP_2)
	v_add_f64_e32 v[38:39], v[38:39], v[40:41]
	v_mul_f64_e32 v[40:41], 0xbac9cc01f97b57a0, v[44:45]
	v_add_f64_e32 v[42:43], v[48:49], v[38:39]
	s_delay_alu instid0(VALU_DEP_1) | instskip(SKIP_1) | instid1(VALU_DEP_2)
	v_add_f64_e32 v[46:47], v[42:43], v[40:41]
	v_add_f64_e64 v[48:49], v[48:49], -v[42:43]
	v_add_f64_e64 v[42:43], v[42:43], -v[46:47]
	s_delay_alu instid0(VALU_DEP_2) | instskip(NEXT) | instid1(VALU_DEP_2)
	v_add_f64_e32 v[38:39], v[38:39], v[48:49]
	v_add_f64_e32 v[40:41], v[42:43], v[40:41]
	s_delay_alu instid0(VALU_DEP_1) | instskip(NEXT) | instid1(VALU_DEP_1)
	v_add_f64_e32 v[38:39], v[38:39], v[40:41]
	v_add_f64_e32 v[40:41], v[46:47], v[38:39]
	s_delay_alu instid0(VALU_DEP_1) | instskip(SKIP_1) | instid1(VALU_DEP_2)
	v_add_f64_e64 v[42:43], v[46:47], -v[40:41]
	v_mul_f64_e32 v[46:47], v[40:41], v[40:41]
	v_add_f64_e32 v[38:39], v[38:39], v[42:43]
	s_delay_alu instid0(VALU_DEP_2) | instskip(NEXT) | instid1(VALU_DEP_2)
	v_fma_f64 v[42:43], v[40:41], v[40:41], -v[46:47]
	v_add_f64_e32 v[48:49], v[38:39], v[38:39]
	s_delay_alu instid0(VALU_DEP_1) | instskip(SKIP_1) | instid1(VALU_DEP_1)
	v_fmac_f64_e32 v[42:43], v[40:41], v[48:49]
	v_fmamk_f64 v[48:49], v[40:41], 0x3e5ade156a5dcb37, v[26:27]
	v_fmaak_f64 v[48:49], v[40:41], v[48:49], 0x3ec71dee623fde64
	s_delay_alu instid0(VALU_DEP_1) | instskip(NEXT) | instid1(VALU_DEP_1)
	v_fmaak_f64 v[48:49], v[40:41], v[48:49], 0x3efa01997c89e6b0
	v_fmaak_f64 v[48:49], v[40:41], v[48:49], 0x3f2a01a014761f6e
	s_delay_alu instid0(VALU_DEP_1) | instskip(SKIP_1) | instid1(VALU_DEP_2)
	v_fmaak_f64 v[48:49], v[40:41], v[48:49], 0x3f56c16c1852b7b0
	v_add_f64_e32 v[50:51], v[46:47], v[42:43]
	v_fmaak_f64 v[48:49], v[40:41], v[48:49], 0x3f81111111122322
	s_delay_alu instid0(VALU_DEP_1) | instskip(NEXT) | instid1(VALU_DEP_1)
	v_fmaak_f64 v[48:49], v[40:41], v[48:49], 0x3fa55555555502a1
	v_fmaak_f64 v[48:49], v[40:41], v[48:49], 0x3fc5555555555511
	s_delay_alu instid0(VALU_DEP_1) | instskip(SKIP_1) | instid1(VALU_DEP_2)
	v_fmaak_f64 v[48:49], v[40:41], v[48:49], 0x3fe000000000000b
	v_add_f64_e64 v[46:47], v[50:51], -v[46:47]
	v_mul_f64_e32 v[52:53], v[50:51], v[48:49]
	s_delay_alu instid0(VALU_DEP_2) | instskip(NEXT) | instid1(VALU_DEP_2)
	v_add_f64_e64 v[42:43], v[42:43], -v[46:47]
	v_fma_f64 v[46:47], v[50:51], v[48:49], -v[52:53]
	s_delay_alu instid0(VALU_DEP_1) | instskip(NEXT) | instid1(VALU_DEP_1)
	v_fmac_f64_e32 v[46:47], v[42:43], v[48:49]
	v_add_f64_e32 v[42:43], v[52:53], v[46:47]
	s_delay_alu instid0(VALU_DEP_1) | instskip(SKIP_1) | instid1(VALU_DEP_2)
	v_add_f64_e32 v[48:49], v[40:41], v[42:43]
	v_add_f64_e64 v[50:51], v[42:43], -v[52:53]
	v_add_f64_e64 v[40:41], v[48:49], -v[40:41]
	s_delay_alu instid0(VALU_DEP_2) | instskip(NEXT) | instid1(VALU_DEP_2)
	v_add_f64_e64 v[46:47], v[46:47], -v[50:51]
	v_add_f64_e64 v[40:41], v[42:43], -v[40:41]
	s_delay_alu instid0(VALU_DEP_2) | instskip(NEXT) | instid1(VALU_DEP_1)
	v_add_f64_e32 v[38:39], v[38:39], v[46:47]
	v_add_f64_e32 v[38:39], v[38:39], v[40:41]
	s_delay_alu instid0(VALU_DEP_1) | instskip(NEXT) | instid1(VALU_DEP_1)
	v_add_f64_e32 v[40:41], v[48:49], v[38:39]
	v_add_f64_e32 v[42:43], 1.0, v[40:41]
	v_add_f64_e64 v[46:47], v[40:41], -v[48:49]
	s_delay_alu instid0(VALU_DEP_2) | instskip(NEXT) | instid1(VALU_DEP_2)
	v_add_f64_e32 v[48:49], -1.0, v[42:43]
	v_add_f64_e64 v[38:39], v[38:39], -v[46:47]
	s_delay_alu instid0(VALU_DEP_2) | instskip(NEXT) | instid1(VALU_DEP_1)
	v_add_f64_e64 v[40:41], v[40:41], -v[48:49]
	v_add_f64_e32 v[38:39], v[38:39], v[40:41]
	s_delay_alu instid0(VALU_DEP_1) | instskip(NEXT) | instid1(VALU_DEP_1)
	v_add_f64_e32 v[40:41], v[42:43], v[38:39]
	v_ldexp_f64 v[44:45], v[40:41], v16
	v_add_f64_e64 v[40:41], v[40:41], -v[42:43]
	s_delay_alu instid0(VALU_DEP_2) | instskip(NEXT) | instid1(VALU_DEP_1)
	v_rcp_f64_e32 v[46:47], v[44:45]
	v_add_f64_e64 v[38:39], v[38:39], -v[40:41]
	s_delay_alu instid0(VALU_DEP_1) | instskip(NEXT) | instid1(TRANS32_DEP_1)
	v_ldexp_f64 v[38:39], v[38:39], v16
	v_fma_f64 v[48:49], -v[44:45], v[46:47], 1.0
	s_delay_alu instid0(VALU_DEP_1) | instskip(NEXT) | instid1(VALU_DEP_1)
	v_fmac_f64_e32 v[46:47], v[48:49], v[46:47]
	v_fma_f64 v[48:49], -v[44:45], v[46:47], 1.0
	s_delay_alu instid0(VALU_DEP_1) | instskip(NEXT) | instid1(VALU_DEP_1)
	v_fmac_f64_e32 v[46:47], v[48:49], v[46:47]
	v_mul_f64_e32 v[40:41], v[44:45], v[46:47]
	s_delay_alu instid0(VALU_DEP_1) | instskip(NEXT) | instid1(VALU_DEP_1)
	v_fma_f64 v[42:43], v[46:47], v[44:45], -v[40:41]
	v_fmac_f64_e32 v[42:43], v[46:47], v[38:39]
	s_delay_alu instid0(VALU_DEP_1) | instskip(NEXT) | instid1(VALU_DEP_1)
	v_add_f64_e32 v[48:49], v[40:41], v[42:43]
	v_add_f64_e64 v[50:51], -v[48:49], 1.0
	v_add_f64_e64 v[40:41], v[48:49], -v[40:41]
	s_delay_alu instid0(VALU_DEP_2) | instskip(NEXT) | instid1(VALU_DEP_2)
	v_add_f64_e64 v[52:53], -v[50:51], 1.0
	v_add_f64_e64 v[40:41], v[40:41], -v[42:43]
	s_delay_alu instid0(VALU_DEP_2) | instskip(NEXT) | instid1(VALU_DEP_1)
	v_add_f64_e64 v[42:43], v[52:53], -v[48:49]
	v_add_f64_e32 v[40:41], v[40:41], v[42:43]
	s_delay_alu instid0(VALU_DEP_1) | instskip(NEXT) | instid1(VALU_DEP_1)
	v_add_f64_e32 v[42:43], v[50:51], v[40:41]
	v_mul_f64_e32 v[48:49], v[46:47], v[42:43]
	v_add_f64_e64 v[50:51], v[50:51], -v[42:43]
	s_delay_alu instid0(VALU_DEP_2) | instskip(NEXT) | instid1(VALU_DEP_2)
	v_mul_f64_e32 v[52:53], v[44:45], v[48:49]
	v_add_f64_e32 v[40:41], v[40:41], v[50:51]
	s_delay_alu instid0(VALU_DEP_2) | instskip(NEXT) | instid1(VALU_DEP_1)
	v_fma_f64 v[54:55], v[48:49], v[44:45], -v[52:53]
	v_fmac_f64_e32 v[54:55], v[48:49], v[38:39]
	s_delay_alu instid0(VALU_DEP_1) | instskip(NEXT) | instid1(VALU_DEP_1)
	v_add_f64_e32 v[62:63], v[52:53], v[54:55]
	v_add_f64_e64 v[58:59], v[42:43], -v[62:63]
	v_add_f64_e64 v[50:51], v[62:63], -v[52:53]
	v_fmaak_f64 v[52:53], v[56:57], v[60:61], 0x3f21e634a7943acf
	s_delay_alu instid0(VALU_DEP_1) | instskip(NEXT) | instid1(VALU_DEP_1)
	v_fmaak_f64 v[52:53], v[56:57], v[52:53], 0x3f2d250fdeb68feb
	v_fmaak_f64 v[52:53], v[56:57], v[52:53], 0x3f437fd9b58c4d95
	s_delay_alu instid0(VALU_DEP_1) | instskip(NEXT) | instid1(VALU_DEP_1)
	v_fmaak_f64 v[52:53], v[56:57], v[52:53], 0x3f57d5af15120e2c
	v_fmaak_f64 v[52:53], v[56:57], v[52:53], 0x3f6d6d93e09491df
	v_add_f64_e64 v[42:43], v[42:43], -v[58:59]
	v_add_f64_e64 v[50:51], v[50:51], -v[54:55]
	s_delay_alu instid0(VALU_DEP_2) | instskip(NEXT) | instid1(VALU_DEP_1)
	v_add_f64_e64 v[42:43], v[42:43], -v[62:63]
	v_add_f64_e32 v[40:41], v[40:41], v[42:43]
	v_fmaak_f64 v[42:43], v[56:57], v[52:53], 0x3f8226e12033784d
	v_add_f64_e32 v[52:53], v[46:47], v[48:49]
	s_delay_alu instid0(VALU_DEP_2) | instskip(NEXT) | instid1(VALU_DEP_1)
	v_fmaak_f64 v[42:43], v[56:57], v[42:43], 0x3f9664f49ac36ae2
	v_fmaak_f64 v[42:43], v[56:57], v[42:43], 0x3faba1ba1b451c21
	s_delay_alu instid0(VALU_DEP_1) | instskip(NEXT) | instid1(VALU_DEP_1)
	v_fmaak_f64 v[42:43], v[56:57], v[42:43], 0x3fc11111111185b7
	v_fmaak_f64 v[42:43], v[56:57], v[42:43], 0x3fd55555555554ee
	v_add_f64_e32 v[40:41], v[50:51], v[40:41]
	v_add_f64_e64 v[50:51], v[52:53], -v[46:47]
	s_delay_alu instid0(VALU_DEP_3) | instskip(NEXT) | instid1(VALU_DEP_3)
	v_mul_f64_e32 v[42:43], v[56:57], v[42:43]
	v_add_f64_e32 v[40:41], v[58:59], v[40:41]
	s_delay_alu instid0(VALU_DEP_3) | instskip(NEXT) | instid1(VALU_DEP_3)
	v_add_f64_e64 v[48:49], v[48:49], -v[50:51]
	v_mul_f64_e32 v[54:55], v[34:35], v[42:43]
	s_delay_alu instid0(VALU_DEP_3) | instskip(NEXT) | instid1(VALU_DEP_2)
	v_mul_f64_e32 v[40:41], v[46:47], v[40:41]
	v_add_f64_e32 v[46:47], v[34:35], v[54:55]
	v_fma_f64 v[42:43], v[34:35], v[42:43], -v[54:55]
	s_delay_alu instid0(VALU_DEP_3) | instskip(NEXT) | instid1(VALU_DEP_3)
	v_add_f64_e32 v[40:41], v[48:49], v[40:41]
	v_add_f64_e64 v[34:35], v[46:47], -v[34:35]
	s_delay_alu instid0(VALU_DEP_3) | instskip(NEXT) | instid1(VALU_DEP_3)
	v_add_f64_e32 v[36:37], v[36:37], v[42:43]
	v_add_f64_e32 v[48:49], v[52:53], v[40:41]
	s_delay_alu instid0(VALU_DEP_3) | instskip(NEXT) | instid1(VALU_DEP_2)
	v_add_f64_e64 v[34:35], v[54:55], -v[34:35]
	v_ldexp_f64 v[42:43], v[48:49], -2
	v_add_f64_e64 v[48:49], v[48:49], -v[52:53]
	s_delay_alu instid0(VALU_DEP_3) | instskip(NEXT) | instid1(VALU_DEP_3)
	v_add_f64_e32 v[34:35], v[36:37], v[34:35]
	v_add_f64_e64 v[36:37], v[44:45], -v[42:43]
	s_delay_alu instid0(VALU_DEP_3) | instskip(NEXT) | instid1(VALU_DEP_3)
	v_add_f64_e64 v[40:41], v[40:41], -v[48:49]
	v_add_f64_e32 v[50:51], v[46:47], v[34:35]
	s_delay_alu instid0(VALU_DEP_3) | instskip(NEXT) | instid1(VALU_DEP_3)
	v_add_f64_e64 v[44:45], v[44:45], -v[36:37]
	v_ldexp_f64 v[40:41], v[40:41], -2
	s_delay_alu instid0(VALU_DEP_3) | instskip(NEXT) | instid1(VALU_DEP_2)
	v_rcp_f64_e32 v[52:53], v[50:51]
	v_add_f64_e64 v[42:43], v[44:45], -v[42:43]
	s_delay_alu instid0(TRANS32_DEP_1) | instskip(NEXT) | instid1(VALU_DEP_2)
	v_fma_f64 v[44:45], -v[50:51], v[52:53], 1.0
	v_add_f64_e32 v[38:39], v[38:39], v[42:43]
	s_delay_alu instid0(VALU_DEP_2) | instskip(NEXT) | instid1(VALU_DEP_2)
	v_fmac_f64_e32 v[52:53], v[44:45], v[52:53]
	v_add_f64_e64 v[38:39], v[38:39], -v[40:41]
	s_delay_alu instid0(VALU_DEP_2) | instskip(NEXT) | instid1(VALU_DEP_2)
	v_fma_f64 v[40:41], -v[50:51], v[52:53], 1.0
	v_add_f64_e32 v[36:37], v[36:37], v[38:39]
	s_delay_alu instid0(VALU_DEP_2) | instskip(SKIP_1) | instid1(VALU_DEP_3)
	v_fmac_f64_e32 v[52:53], v[40:41], v[52:53]
	v_and_b32_e32 v40, 0x7fffffff, v15
	v_cndmask_b32_e32 v16, 0x7ff00000, v37, vcc_lo
	s_delay_alu instid0(VALU_DEP_4) | instskip(SKIP_3) | instid1(VALU_DEP_3)
	v_cndmask_b32_e32 v21, 0, v36, vcc_lo
	v_cmp_gt_f64_e64 vcc_lo, 0x3e400000, |v[14:15]|
	v_add_f64_e64 v[36:37], v[50:51], -v[46:47]
	v_mul_f64_e32 v[38:39], v[50:51], v[52:53]
	v_dual_cndmask_b32 v16, v16, v40, vcc_lo :: v_dual_cndmask_b32 v14, v21, v14, vcc_lo
	s_delay_alu instid0(VALU_DEP_3) | instskip(NEXT) | instid1(VALU_DEP_2)
	v_add_f64_e64 v[34:35], v[34:35], -v[36:37]
	v_bfi_b32 v15, 0x7fffffff, v16, v15
	s_delay_alu instid0(VALU_DEP_4) | instskip(NEXT) | instid1(VALU_DEP_2)
	v_fma_f64 v[36:37], v[52:53], v[50:51], -v[38:39]
	v_fma_f64 v[40:41], v[14:15], v[14:15], 1.0
	s_delay_alu instid0(VALU_DEP_2) | instskip(NEXT) | instid1(VALU_DEP_2)
	v_fmac_f64_e32 v[36:37], v[52:53], v[34:35]
	v_cmp_gt_f64_e32 vcc_lo, 0x10000000, v[40:41]
	v_cndmask_b32_e64 v16, 0, 0x100, vcc_lo
	s_delay_alu instid0(VALU_DEP_1) | instskip(NEXT) | instid1(VALU_DEP_4)
	v_ldexp_f64 v[34:35], v[40:41], v16
	v_add_f64_e32 v[40:41], v[38:39], v[36:37]
	s_delay_alu instid0(VALU_DEP_2) | instskip(NEXT) | instid1(VALU_DEP_1)
	v_rsq_f64_e32 v[42:43], v[34:35]
	v_add_f64_e64 v[44:45], -v[40:41], 1.0
	v_add_f64_e64 v[38:39], v[40:41], -v[38:39]
	s_delay_alu instid0(VALU_DEP_2) | instskip(NEXT) | instid1(VALU_DEP_2)
	v_add_f64_e64 v[48:49], -v[44:45], 1.0
	v_add_f64_e64 v[36:37], v[38:39], -v[36:37]
	s_delay_alu instid0(TRANS32_DEP_1) | instskip(SKIP_1) | instid1(VALU_DEP_4)
	v_mul_f64_e32 v[46:47], v[34:35], v[42:43]
	v_mul_f64_e32 v[42:43], 0.5, v[42:43]
	v_add_f64_e64 v[38:39], v[48:49], -v[40:41]
	s_delay_alu instid0(VALU_DEP_2) | instskip(NEXT) | instid1(VALU_DEP_2)
	v_fma_f64 v[54:55], -v[42:43], v[46:47], 0.5
	v_add_f64_e32 v[36:37], v[36:37], v[38:39]
	s_delay_alu instid0(VALU_DEP_2) | instskip(SKIP_1) | instid1(VALU_DEP_3)
	v_fmac_f64_e32 v[46:47], v[46:47], v[54:55]
	v_fmac_f64_e32 v[42:43], v[42:43], v[54:55]
	v_add_f64_e32 v[36:37], v[44:45], v[36:37]
	s_delay_alu instid0(VALU_DEP_3) | instskip(NEXT) | instid1(VALU_DEP_2)
	v_fma_f64 v[38:39], -v[46:47], v[46:47], v[34:35]
	v_mul_f64_e32 v[36:37], v[52:53], v[36:37]
	s_delay_alu instid0(VALU_DEP_2) | instskip(NEXT) | instid1(VALU_DEP_2)
	v_fmac_f64_e32 v[46:47], v[38:39], v[42:43]
	v_add_f64_e32 v[36:37], v[52:53], v[36:37]
	s_delay_alu instid0(VALU_DEP_2) | instskip(NEXT) | instid1(VALU_DEP_2)
	v_fma_f64 v[38:39], -v[46:47], v[46:47], v[34:35]
	v_xor_b32_e32 v21, 0x80000000, v37
	s_delay_alu instid0(VALU_DEP_1) | instskip(NEXT) | instid1(VALU_DEP_3)
	v_dual_cndmask_b32 v16, v36, v50, s2 :: v_dual_cndmask_b32 v1, v21, v51, s2
	v_fmac_f64_e32 v[46:47], v[38:39], v[42:43]
	v_cndmask_b32_e64 v21, 0, 0xffffff80, vcc_lo
	v_cmp_class_f64_e64 vcc_lo, v[34:35], 0x260
	s_delay_alu instid0(VALU_DEP_4) | instskip(NEXT) | instid1(VALU_DEP_1)
	v_bitop3_b32 v17, v1, v17, 0x80000000 bitop3:0x78
	v_fma_f64 v[38:39], v[16:17], v[16:17], 1.0
	s_delay_alu instid0(VALU_DEP_4) | instskip(NEXT) | instid1(VALU_DEP_1)
	v_ldexp_f64 v[36:37], v[46:47], v21
	v_dual_cndmask_b32 v35, v37, v35 :: v_dual_cndmask_b32 v34, v36, v34
	s_delay_alu instid0(VALU_DEP_3) | instskip(NEXT) | instid1(VALU_DEP_2)
	v_mul_f64_e32 v[36:37], v[14:15], v[38:39]
	v_mul_f64_e32 v[34:35], v[34:35], v[38:39]
	s_delay_alu instid0(VALU_DEP_2) | instskip(NEXT) | instid1(VALU_DEP_2)
	v_fma_f64 v[36:37], v[14:15], v[36:37], 1.0
	v_mul_f64_e32 v[14:15], v[14:15], v[34:35]
	s_delay_alu instid0(VALU_DEP_2) | instskip(NEXT) | instid1(VALU_DEP_2)
	v_div_scale_f64 v[38:39], null, v[36:37], v[36:37], v[16:17]
	v_div_scale_f64 v[34:35], null, v[36:37], v[36:37], v[14:15]
	v_div_scale_f64 v[48:49], vcc_lo, v[14:15], v[36:37], v[14:15]
	s_delay_alu instid0(VALU_DEP_3) | instskip(NEXT) | instid1(VALU_DEP_2)
	v_rcp_f64_e32 v[42:43], v[38:39]
	v_rcp_f64_e32 v[40:41], v[34:35]
	s_delay_alu instid0(TRANS32_DEP_2) | instskip(NEXT) | instid1(TRANS32_DEP_1)
	v_fma_f64 v[46:47], -v[38:39], v[42:43], 1.0
	v_fma_f64 v[44:45], -v[34:35], v[40:41], 1.0
	s_delay_alu instid0(VALU_DEP_2) | instskip(NEXT) | instid1(VALU_DEP_2)
	v_fmac_f64_e32 v[42:43], v[42:43], v[46:47]
	v_fmac_f64_e32 v[40:41], v[40:41], v[44:45]
	s_delay_alu instid0(VALU_DEP_2) | instskip(NEXT) | instid1(VALU_DEP_2)
	v_fma_f64 v[46:47], -v[38:39], v[42:43], 1.0
	v_fma_f64 v[44:45], -v[34:35], v[40:41], 1.0
	s_delay_alu instid0(VALU_DEP_2) | instskip(NEXT) | instid1(VALU_DEP_2)
	v_fmac_f64_e32 v[42:43], v[42:43], v[46:47]
	v_fmac_f64_e32 v[40:41], v[40:41], v[44:45]
	v_div_scale_f64 v[44:45], s2, v[16:17], v[36:37], v[16:17]
	s_delay_alu instid0(VALU_DEP_2) | instskip(NEXT) | instid1(VALU_DEP_2)
	v_mul_f64_e32 v[46:47], v[48:49], v[40:41]
	v_mul_f64_e32 v[50:51], v[44:45], v[42:43]
	s_delay_alu instid0(VALU_DEP_2) | instskip(NEXT) | instid1(VALU_DEP_2)
	v_fma_f64 v[34:35], -v[34:35], v[46:47], v[48:49]
	v_fma_f64 v[38:39], -v[38:39], v[50:51], v[44:45]
	s_delay_alu instid0(VALU_DEP_2) | instskip(SKIP_1) | instid1(VALU_DEP_2)
	v_div_fmas_f64 v[34:35], v[34:35], v[40:41], v[46:47]
	s_mov_b32 vcc_lo, s2
	v_div_fmas_f64 v[38:39], v[38:39], v[42:43], v[50:51]
	s_delay_alu instid0(VALU_DEP_2) | instskip(NEXT) | instid1(VALU_DEP_2)
	v_div_fixup_f64 v[14:15], v[34:35], v[36:37], v[14:15]
	v_div_fixup_f64 v[16:17], v[38:39], v[36:37], v[16:17]
.LBB155_15:                             ;   in Loop: Header=BB155_7 Depth=1
	s_and_not1_saveexec_b32 s2, s35
	s_cbranch_execz .LBB155_18
; %bb.16:                               ;   in Loop: Header=BB155_7 Depth=1
	s_delay_alu instid0(VALU_DEP_1) | instskip(SKIP_1) | instid1(SALU_CYCLE_1)
	v_cmp_ngt_f64_e64 s35, 0x41d00000, |v[16:17]|
                                        ; implicit-def: $vgpr1
                                        ; implicit-def: $vgpr34_vgpr35
                                        ; implicit-def: $vgpr36_vgpr37
	s_and_saveexec_b32 s36, s35
	s_xor_b32 s36, exec_lo, s36
	s_cbranch_execz .LBB155_19
; %bb.17:                               ;   in Loop: Header=BB155_7 Depth=1
	v_ldexp_f64 v[34:35], |v[16:17]|, 0xffffff80
	v_cmp_le_f64_e64 vcc_lo, 0x7b000000, |v[16:17]|
	v_trig_preop_f64 v[36:37], |v[16:17]|, 0
	v_and_b32_e32 v1, 0x7fffffff, v17
	v_trig_preop_f64 v[38:39], |v[16:17]|, 1
	v_trig_preop_f64 v[48:49], |v[16:17]|, 2
	s_delay_alu instid0(VALU_DEP_3) | instskip(NEXT) | instid1(VALU_DEP_1)
	v_dual_cndmask_b32 v35, v1, v35 :: v_dual_cndmask_b32 v34, v16, v34
	v_mul_f64_e32 v[40:41], v[36:37], v[34:35]
	s_delay_alu instid0(VALU_DEP_4) | instskip(NEXT) | instid1(VALU_DEP_4)
	v_mul_f64_e32 v[42:43], v[38:39], v[34:35]
	v_mul_f64_e32 v[54:55], v[48:49], v[34:35]
	s_delay_alu instid0(VALU_DEP_3) | instskip(NEXT) | instid1(VALU_DEP_3)
	v_fma_f64 v[36:37], v[36:37], v[34:35], -v[40:41]
	v_fma_f64 v[38:39], v[38:39], v[34:35], -v[42:43]
	s_delay_alu instid0(VALU_DEP_3) | instskip(NEXT) | instid1(VALU_DEP_3)
	v_fma_f64 v[34:35], v[48:49], v[34:35], -v[54:55]
	v_add_f64_e32 v[44:45], v[42:43], v[36:37]
	s_delay_alu instid0(VALU_DEP_1) | instskip(SKIP_1) | instid1(VALU_DEP_2)
	v_add_f64_e64 v[46:47], v[44:45], -v[42:43]
	v_add_f64_e32 v[52:53], v[40:41], v[44:45]
	v_add_f64_e64 v[50:51], v[44:45], -v[46:47]
	v_add_f64_e64 v[36:37], v[36:37], -v[46:47]
	s_delay_alu instid0(VALU_DEP_3) | instskip(NEXT) | instid1(VALU_DEP_3)
	v_ldexp_f64 v[46:47], v[52:53], -2
	v_add_f64_e64 v[42:43], v[42:43], -v[50:51]
	v_add_f64_e32 v[50:51], v[54:55], v[38:39]
	s_delay_alu instid0(VALU_DEP_3) | instskip(NEXT) | instid1(VALU_DEP_3)
	v_cmp_neq_f64_e64 vcc_lo, 0x7ff00000, |v[46:47]|
	v_add_f64_e32 v[36:37], v[36:37], v[42:43]
	v_fract_f64_e32 v[42:43], v[46:47]
	s_delay_alu instid0(VALU_DEP_1) | instskip(NEXT) | instid1(VALU_DEP_1)
	v_ldexp_f64 v[42:43], v[42:43], 2
	v_dual_add_f64 v[40:41], v[52:53], -v[40:41] :: v_dual_cndmask_b32 v42, 0, v42, vcc_lo
	s_delay_alu instid0(VALU_DEP_1) | instskip(SKIP_1) | instid1(VALU_DEP_1)
	v_dual_add_f64 v[40:41], v[44:45], -v[40:41] :: v_dual_cndmask_b32 v43, 0, v43, vcc_lo
	v_add_f64_e32 v[44:45], v[50:51], v[36:37]
	v_add_f64_e32 v[46:47], v[40:41], v[44:45]
	v_add_f64_e64 v[56:57], v[44:45], -v[50:51]
	s_delay_alu instid0(VALU_DEP_2) | instskip(NEXT) | instid1(VALU_DEP_2)
	v_add_f64_e32 v[52:53], v[46:47], v[42:43]
	v_add_f64_e64 v[62:63], v[44:45], -v[56:57]
	v_add_f64_e64 v[36:37], v[36:37], -v[56:57]
	;; [unrolled: 1-line block ×3, first 2 shown]
	s_delay_alu instid0(VALU_DEP_4) | instskip(SKIP_1) | instid1(VALU_DEP_3)
	v_cmp_gt_f64_e32 vcc_lo, 0, v[52:53]
	v_add_f64_e64 v[52:53], v[50:51], -v[54:55]
	v_add_f64_e64 v[40:41], v[44:45], -v[40:41]
	v_cndmask_b32_e64 v21, 0, 0x40100000, vcc_lo
	s_delay_alu instid0(VALU_DEP_3) | instskip(SKIP_2) | instid1(VALU_DEP_4)
	v_add_f64_e64 v[60:61], v[50:51], -v[52:53]
	v_add_f64_e64 v[38:39], v[38:39], -v[52:53]
	;; [unrolled: 1-line block ×3, first 2 shown]
	v_add_f64_e32 v[42:43], v[42:43], v[20:21]
	s_delay_alu instid0(VALU_DEP_4) | instskip(NEXT) | instid1(VALU_DEP_3)
	v_add_f64_e64 v[52:53], v[54:55], -v[60:61]
	v_add_f64_e32 v[36:37], v[36:37], v[50:51]
	s_delay_alu instid0(VALU_DEP_3) | instskip(NEXT) | instid1(VALU_DEP_3)
	v_add_f64_e32 v[58:59], v[46:47], v[42:43]
	v_add_f64_e32 v[38:39], v[38:39], v[52:53]
	s_delay_alu instid0(VALU_DEP_2) | instskip(NEXT) | instid1(VALU_DEP_2)
	v_cvt_i32_f64_e32 v1, v[58:59]
	v_add_f64_e32 v[36:37], v[38:39], v[36:37]
	s_delay_alu instid0(VALU_DEP_2) | instskip(NEXT) | instid1(VALU_DEP_2)
	v_cvt_f64_i32_e32 v[56:57], v1
	v_add_f64_e32 v[34:35], v[34:35], v[36:37]
	s_delay_alu instid0(VALU_DEP_2) | instskip(NEXT) | instid1(VALU_DEP_2)
	v_add_f64_e64 v[42:43], v[42:43], -v[56:57]
	v_add_f64_e32 v[34:35], v[40:41], v[34:35]
	s_delay_alu instid0(VALU_DEP_2) | instskip(NEXT) | instid1(VALU_DEP_1)
	v_add_f64_e32 v[38:39], v[46:47], v[42:43]
	v_add_f64_e64 v[36:37], v[38:39], -v[42:43]
	v_cmp_le_f64_e32 vcc_lo, 0.5, v[38:39]
	s_delay_alu instid0(VALU_DEP_2) | instskip(SKIP_2) | instid1(VALU_DEP_3)
	v_add_f64_e64 v[36:37], v[46:47], -v[36:37]
	v_cndmask_b32_e64 v21, 0, 0x3ff00000, vcc_lo
	v_add_co_ci_u32_e64 v1, null, 0, v1, vcc_lo
	v_add_f64_e32 v[34:35], v[34:35], v[36:37]
	s_delay_alu instid0(VALU_DEP_3) | instskip(NEXT) | instid1(VALU_DEP_1)
	v_add_f64_e64 v[36:37], v[38:39], -v[20:21]
	v_add_f64_e32 v[38:39], v[36:37], v[34:35]
	s_delay_alu instid0(VALU_DEP_1) | instskip(SKIP_1) | instid1(VALU_DEP_2)
	v_mul_f64_e32 v[40:41], 0x3ff921fb54442d18, v[38:39]
	v_add_f64_e64 v[36:37], v[38:39], -v[36:37]
	v_fma_f64 v[42:43], v[38:39], s[12:13], -v[40:41]
	s_delay_alu instid0(VALU_DEP_2) | instskip(NEXT) | instid1(VALU_DEP_2)
	v_add_f64_e64 v[34:35], v[34:35], -v[36:37]
	v_fmac_f64_e32 v[42:43], 0x3c91a62633145c07, v[38:39]
	s_delay_alu instid0(VALU_DEP_1) | instskip(NEXT) | instid1(VALU_DEP_1)
	v_fmac_f64_e32 v[42:43], 0x3ff921fb54442d18, v[34:35]
	v_add_f64_e32 v[34:35], v[40:41], v[42:43]
	s_delay_alu instid0(VALU_DEP_1) | instskip(NEXT) | instid1(VALU_DEP_1)
	v_add_f64_e64 v[36:37], v[34:35], -v[40:41]
	v_add_f64_e64 v[36:37], v[42:43], -v[36:37]
	s_and_not1_saveexec_b32 s36, s36
	s_cbranch_execz .LBB155_21
	s_branch .LBB155_20
.LBB155_18:                             ;   in Loop: Header=BB155_7 Depth=1
	s_or_b32 exec_lo, exec_lo, s2
	s_and_not1_saveexec_b32 s2, s34
	s_cbranch_execnz .LBB155_27
	s_branch .LBB155_28
.LBB155_19:                             ;   in Loop: Header=BB155_7 Depth=1
	s_and_not1_saveexec_b32 s36, s36
	s_cbranch_execz .LBB155_21
.LBB155_20:                             ;   in Loop: Header=BB155_7 Depth=1
	v_mul_f64_e64 v[34:35], |v[16:17]|, s[14:15]
	s_delay_alu instid0(VALU_DEP_1) | instskip(NEXT) | instid1(VALU_DEP_1)
	v_rndne_f64_e32 v[38:39], v[34:35]
	v_fma_f64 v[34:35], v[38:39], s[16:17], |v[16:17]|
	v_mul_f64_e32 v[36:37], 0xbc91a62633145c00, v[38:39]
	v_cvt_i32_f64_e32 v1, v[38:39]
	s_delay_alu instid0(VALU_DEP_3) | instskip(NEXT) | instid1(VALU_DEP_3)
	v_fmamk_f64 v[44:45], v[38:39], 0xbc91a62633145c00, v[34:35]
	v_add_f64_e32 v[40:41], v[34:35], v[36:37]
	s_delay_alu instid0(VALU_DEP_1) | instskip(NEXT) | instid1(VALU_DEP_3)
	v_add_f64_e64 v[42:43], v[34:35], -v[40:41]
	v_add_f64_e64 v[34:35], v[40:41], -v[44:45]
	s_delay_alu instid0(VALU_DEP_2) | instskip(SKIP_1) | instid1(VALU_DEP_2)
	v_add_f64_e32 v[40:41], v[42:43], v[36:37]
	v_fmamk_f64 v[36:37], v[38:39], 0x3c91a62633145c00, v[36:37]
	v_add_f64_e32 v[34:35], v[34:35], v[40:41]
	s_delay_alu instid0(VALU_DEP_1) | instskip(NEXT) | instid1(VALU_DEP_1)
	v_add_f64_e64 v[36:37], v[34:35], -v[36:37]
	v_fmac_f64_e32 v[36:37], 0xb97b839a252049c0, v[38:39]
	s_delay_alu instid0(VALU_DEP_1) | instskip(NEXT) | instid1(VALU_DEP_1)
	v_add_f64_e32 v[34:35], v[44:45], v[36:37]
	v_add_f64_e64 v[40:41], v[34:35], -v[44:45]
	s_delay_alu instid0(VALU_DEP_1)
	v_add_f64_e64 v[36:37], v[36:37], -v[40:41]
.LBB155_21:                             ;   in Loop: Header=BB155_7 Depth=1
	s_or_b32 exec_lo, exec_lo, s36
                                        ; implicit-def: $vgpr42
                                        ; implicit-def: $vgpr38_vgpr39
                                        ; implicit-def: $vgpr40_vgpr41
	s_and_saveexec_b32 s36, s35
	s_delay_alu instid0(SALU_CYCLE_1)
	s_xor_b32 s35, exec_lo, s36
	s_cbranch_execz .LBB155_23
; %bb.22:                               ;   in Loop: Header=BB155_7 Depth=1
	v_ldexp_f64 v[38:39], |v[16:17]|, 0xffffff80
	v_cmp_le_f64_e64 vcc_lo, 0x7b000000, |v[16:17]|
	v_trig_preop_f64 v[40:41], |v[16:17]|, 0
	v_and_b32_e32 v21, 0x7fffffff, v17
	v_trig_preop_f64 v[42:43], |v[16:17]|, 1
	v_trig_preop_f64 v[52:53], |v[16:17]|, 2
	s_delay_alu instid0(VALU_DEP_3) | instskip(NEXT) | instid1(VALU_DEP_1)
	v_dual_cndmask_b32 v39, v21, v39 :: v_dual_cndmask_b32 v38, v16, v38
	v_mul_f64_e32 v[44:45], v[40:41], v[38:39]
	s_delay_alu instid0(VALU_DEP_4) | instskip(NEXT) | instid1(VALU_DEP_4)
	v_mul_f64_e32 v[46:47], v[42:43], v[38:39]
	v_mul_f64_e32 v[58:59], v[52:53], v[38:39]
	s_delay_alu instid0(VALU_DEP_3) | instskip(NEXT) | instid1(VALU_DEP_3)
	v_fma_f64 v[40:41], v[40:41], v[38:39], -v[44:45]
	v_fma_f64 v[42:43], v[42:43], v[38:39], -v[46:47]
	s_delay_alu instid0(VALU_DEP_3) | instskip(NEXT) | instid1(VALU_DEP_3)
	v_fma_f64 v[38:39], v[52:53], v[38:39], -v[58:59]
	v_add_f64_e32 v[48:49], v[46:47], v[40:41]
	s_delay_alu instid0(VALU_DEP_1) | instskip(SKIP_1) | instid1(VALU_DEP_2)
	v_add_f64_e64 v[50:51], v[48:49], -v[46:47]
	v_add_f64_e32 v[56:57], v[44:45], v[48:49]
	v_add_f64_e64 v[54:55], v[48:49], -v[50:51]
	v_add_f64_e64 v[40:41], v[40:41], -v[50:51]
	s_delay_alu instid0(VALU_DEP_3) | instskip(NEXT) | instid1(VALU_DEP_3)
	v_ldexp_f64 v[50:51], v[56:57], -2
	v_add_f64_e64 v[46:47], v[46:47], -v[54:55]
	v_add_f64_e32 v[54:55], v[58:59], v[42:43]
	s_delay_alu instid0(VALU_DEP_3) | instskip(NEXT) | instid1(VALU_DEP_3)
	v_cmp_neq_f64_e64 vcc_lo, 0x7ff00000, |v[50:51]|
	v_add_f64_e32 v[40:41], v[40:41], v[46:47]
	v_fract_f64_e32 v[46:47], v[50:51]
	s_delay_alu instid0(VALU_DEP_1) | instskip(NEXT) | instid1(VALU_DEP_1)
	v_ldexp_f64 v[46:47], v[46:47], 2
	v_dual_add_f64 v[44:45], v[56:57], -v[44:45] :: v_dual_cndmask_b32 v46, 0, v46, vcc_lo
	s_delay_alu instid0(VALU_DEP_1) | instskip(SKIP_1) | instid1(VALU_DEP_1)
	v_dual_add_f64 v[44:45], v[48:49], -v[44:45] :: v_dual_cndmask_b32 v47, 0, v47, vcc_lo
	v_add_f64_e32 v[48:49], v[54:55], v[40:41]
	v_add_f64_e32 v[50:51], v[44:45], v[48:49]
	v_add_f64_e64 v[60:61], v[48:49], -v[54:55]
	s_delay_alu instid0(VALU_DEP_2) | instskip(NEXT) | instid1(VALU_DEP_2)
	v_add_f64_e32 v[56:57], v[50:51], v[46:47]
	v_add_f64_e64 v[66:67], v[48:49], -v[60:61]
	v_add_f64_e64 v[40:41], v[40:41], -v[60:61]
	;; [unrolled: 1-line block ×3, first 2 shown]
	s_delay_alu instid0(VALU_DEP_4) | instskip(SKIP_2) | instid1(VALU_DEP_2)
	v_cmp_gt_f64_e32 vcc_lo, 0, v[56:57]
	v_add_f64_e64 v[56:57], v[54:55], -v[58:59]
	v_cndmask_b32_e64 v21, 0, 0x40100000, vcc_lo
	v_add_f64_e64 v[64:65], v[54:55], -v[56:57]
	v_add_f64_e64 v[42:43], v[42:43], -v[56:57]
	;; [unrolled: 1-line block ×3, first 2 shown]
	s_delay_alu instid0(VALU_DEP_4) | instskip(NEXT) | instid1(VALU_DEP_4)
	v_add_f64_e32 v[46:47], v[46:47], v[20:21]
	v_add_f64_e64 v[56:57], v[58:59], -v[64:65]
	s_delay_alu instid0(VALU_DEP_3) | instskip(NEXT) | instid1(VALU_DEP_3)
	v_add_f64_e32 v[40:41], v[40:41], v[54:55]
	v_add_f64_e32 v[62:63], v[50:51], v[46:47]
	s_delay_alu instid0(VALU_DEP_3) | instskip(NEXT) | instid1(VALU_DEP_2)
	v_add_f64_e32 v[42:43], v[42:43], v[56:57]
	v_cvt_i32_f64_e32 v21, v[62:63]
	s_delay_alu instid0(VALU_DEP_2) | instskip(SKIP_1) | instid1(VALU_DEP_3)
	v_add_f64_e32 v[40:41], v[42:43], v[40:41]
	v_add_f64_e64 v[42:43], v[48:49], -v[44:45]
	v_cvt_f64_i32_e32 v[60:61], v21
	s_delay_alu instid0(VALU_DEP_3) | instskip(NEXT) | instid1(VALU_DEP_2)
	v_add_f64_e32 v[38:39], v[38:39], v[40:41]
	v_add_f64_e64 v[46:47], v[46:47], -v[60:61]
	s_delay_alu instid0(VALU_DEP_2) | instskip(NEXT) | instid1(VALU_DEP_2)
	v_add_f64_e32 v[38:39], v[42:43], v[38:39]
	v_add_f64_e32 v[52:53], v[50:51], v[46:47]
	s_delay_alu instid0(VALU_DEP_1) | instskip(SKIP_1) | instid1(VALU_DEP_2)
	v_add_f64_e64 v[40:41], v[52:53], -v[46:47]
	v_cmp_le_f64_e32 vcc_lo, 0.5, v[52:53]
	v_add_f64_e64 v[40:41], v[50:51], -v[40:41]
	v_add_co_ci_u32_e64 v42, null, 0, v21, vcc_lo
	v_cndmask_b32_e64 v21, 0, 0x3ff00000, vcc_lo
	s_delay_alu instid0(VALU_DEP_3) | instskip(NEXT) | instid1(VALU_DEP_2)
	v_add_f64_e32 v[38:39], v[38:39], v[40:41]
	v_add_f64_e64 v[40:41], v[52:53], -v[20:21]
	s_delay_alu instid0(VALU_DEP_1) | instskip(NEXT) | instid1(VALU_DEP_1)
	v_add_f64_e32 v[44:45], v[40:41], v[38:39]
	v_mul_f64_e32 v[46:47], 0x3ff921fb54442d18, v[44:45]
	v_add_f64_e64 v[40:41], v[44:45], -v[40:41]
	s_delay_alu instid0(VALU_DEP_2) | instskip(NEXT) | instid1(VALU_DEP_2)
	v_fma_f64 v[48:49], v[44:45], s[12:13], -v[46:47]
	v_add_f64_e64 v[38:39], v[38:39], -v[40:41]
	s_delay_alu instid0(VALU_DEP_2) | instskip(NEXT) | instid1(VALU_DEP_1)
	v_fmac_f64_e32 v[48:49], 0x3c91a62633145c07, v[44:45]
	v_fmac_f64_e32 v[48:49], 0x3ff921fb54442d18, v[38:39]
	s_delay_alu instid0(VALU_DEP_1) | instskip(NEXT) | instid1(VALU_DEP_1)
	v_add_f64_e32 v[38:39], v[46:47], v[48:49]
	v_add_f64_e64 v[40:41], v[38:39], -v[46:47]
	s_delay_alu instid0(VALU_DEP_1)
	v_add_f64_e64 v[40:41], v[48:49], -v[40:41]
	s_and_not1_saveexec_b32 s35, s35
	s_cbranch_execnz .LBB155_24
	s_branch .LBB155_25
.LBB155_23:                             ;   in Loop: Header=BB155_7 Depth=1
	s_and_not1_saveexec_b32 s35, s35
	s_cbranch_execz .LBB155_25
.LBB155_24:                             ;   in Loop: Header=BB155_7 Depth=1
	v_mul_f64_e64 v[38:39], |v[16:17]|, s[14:15]
	s_delay_alu instid0(VALU_DEP_1) | instskip(NEXT) | instid1(VALU_DEP_1)
	v_rndne_f64_e32 v[42:43], v[38:39]
	v_fma_f64 v[38:39], v[42:43], s[16:17], |v[16:17]|
	v_mul_f64_e32 v[40:41], 0xbc91a62633145c00, v[42:43]
	s_delay_alu instid0(VALU_DEP_2) | instskip(NEXT) | instid1(VALU_DEP_2)
	v_fmamk_f64 v[48:49], v[42:43], 0xbc91a62633145c00, v[38:39]
	v_add_f64_e32 v[44:45], v[38:39], v[40:41]
	s_delay_alu instid0(VALU_DEP_1) | instskip(NEXT) | instid1(VALU_DEP_3)
	v_add_f64_e64 v[46:47], v[38:39], -v[44:45]
	v_add_f64_e64 v[38:39], v[44:45], -v[48:49]
	s_delay_alu instid0(VALU_DEP_2) | instskip(SKIP_1) | instid1(VALU_DEP_2)
	v_add_f64_e32 v[44:45], v[46:47], v[40:41]
	v_fmamk_f64 v[40:41], v[42:43], 0x3c91a62633145c00, v[40:41]
	v_add_f64_e32 v[38:39], v[38:39], v[44:45]
	s_delay_alu instid0(VALU_DEP_1) | instskip(NEXT) | instid1(VALU_DEP_1)
	v_add_f64_e64 v[40:41], v[38:39], -v[40:41]
	v_fmac_f64_e32 v[40:41], 0xb97b839a252049c0, v[42:43]
	v_cvt_i32_f64_e32 v42, v[42:43]
	s_delay_alu instid0(VALU_DEP_2) | instskip(NEXT) | instid1(VALU_DEP_1)
	v_add_f64_e32 v[38:39], v[48:49], v[40:41]
	v_add_f64_e64 v[44:45], v[38:39], -v[48:49]
	s_delay_alu instid0(VALU_DEP_1)
	v_add_f64_e64 v[40:41], v[40:41], -v[44:45]
.LBB155_25:                             ;   in Loop: Header=BB155_7 Depth=1
	s_or_b32 exec_lo, exec_lo, s35
	v_dual_mul_f64 v[44:45], v[34:35], v[34:35] :: v_dual_bitop2_b32 v16, 1, v1 bitop3:0x40
	v_dual_mul_f64 v[46:47], v[38:39], v[38:39] :: v_dual_lshlrev_b32 v1, 30, v1
	v_mul_f64_e64 v[50:51], |v[14:15]|, s[24:25]
	s_delay_alu instid0(VALU_DEP_4) | instskip(NEXT) | instid1(VALU_DEP_4)
	v_mul_f64_e32 v[68:69], 0.5, v[40:41]
	v_cmp_eq_u32_e32 vcc_lo, 0, v16
	v_mul_f64_e32 v[56:57], 0.5, v[36:37]
	v_xor_b32_e32 v1, v1, v17
	v_mul_f64_e32 v[48:49], 0.5, v[44:45]
	v_mul_f64_e64 v[58:59], v[34:35], -v[44:45]
	v_mul_f64_e32 v[52:53], 0.5, v[46:47]
	v_fmamk_f64 v[64:65], v[44:45], 0x3de5e0b2f9a43bb8, v[30:31]
	v_rndne_f64_e32 v[50:51], v[50:51]
	v_mul_f64_e64 v[70:71], v[38:39], -v[46:47]
	v_fmamk_f64 v[72:73], v[46:47], 0x3de5e0b2f9a43bb8, v[30:31]
	s_delay_alu instid0(VALU_DEP_4) | instskip(NEXT) | instid1(VALU_DEP_1)
	v_fmaak_f64 v[64:65], v[44:45], v[64:65], 0x3ec71de3796cde01
	v_fmaak_f64 v[64:65], v[44:45], v[64:65], 0xbf2a01a019e83e5c
	s_delay_alu instid0(VALU_DEP_1) | instskip(SKIP_1) | instid1(VALU_DEP_2)
	v_fmaak_f64 v[64:65], v[44:45], v[64:65], 0x3f81111111110bb3
	v_add_f64_e64 v[54:55], -v[48:49], 1.0
	v_fmac_f64_e32 v[56:57], v[58:59], v[64:65]
	v_add_f64_e64 v[60:61], -v[52:53], 1.0
	v_fma_f64 v[66:67], v[50:51], s[18:19], -|v[14:15]|
	s_delay_alu instid0(VALU_DEP_4) | instskip(NEXT) | instid1(VALU_DEP_4)
	v_add_f64_e64 v[62:63], -v[54:55], 1.0
	v_fma_f64 v[56:57], v[44:45], v[56:57], -v[36:37]
	s_delay_alu instid0(VALU_DEP_4) | instskip(NEXT) | instid1(VALU_DEP_4)
	v_add_f64_e64 v[64:65], -v[60:61], 1.0
	v_fmac_f64_e32 v[66:67], 0xbc7abc9e3b39803f, v[50:51]
	s_delay_alu instid0(VALU_DEP_4)
	v_add_f64_e64 v[48:49], v[62:63], -v[48:49]
	v_fmaak_f64 v[62:63], v[46:47], v[72:73], 0x3ec71de3796cde01
	v_fmamk_f64 v[72:73], v[44:45], 0xbda907db46cc5e42, v[28:29]
	v_add_f64_e64 v[52:53], v[64:65], -v[52:53]
	v_fmamk_f64 v[64:65], v[66:67], 0x3e5ade156a5dcb37, v[26:27]
	v_fmac_f64_e32 v[56:57], 0xbfc5555555555555, v[58:59]
	v_fmaak_f64 v[62:63], v[46:47], v[62:63], 0xbf2a01a019e83e5c
	s_delay_alu instid0(VALU_DEP_3) | instskip(NEXT) | instid1(VALU_DEP_2)
	v_fmaak_f64 v[64:65], v[66:67], v[64:65], 0x3ec71dee623fde64
	v_fmaak_f64 v[62:63], v[46:47], v[62:63], 0x3f81111111110bb3
	s_delay_alu instid0(VALU_DEP_2) | instskip(NEXT) | instid1(VALU_DEP_2)
	v_fmaak_f64 v[64:65], v[66:67], v[64:65], 0x3efa01997c89e6b0
	v_fmac_f64_e32 v[68:69], v[70:71], v[62:63]
	v_mul_f64_e32 v[62:63], v[44:45], v[44:45]
	v_fma_f64 v[36:37], v[34:35], -v[36:37], v[48:49]
	v_fmaak_f64 v[48:49], v[44:45], v[72:73], 0xbe927e4fa17f65f6
	v_mul_f64_e32 v[72:73], v[46:47], v[46:47]
	v_add_f64_e64 v[34:35], v[34:35], -v[56:57]
	s_delay_alu instid0(VALU_DEP_3) | instskip(NEXT) | instid1(VALU_DEP_1)
	v_fmaak_f64 v[48:49], v[44:45], v[48:49], 0x3efa01a019f4ec90
	v_fmaak_f64 v[48:49], v[44:45], v[48:49], 0xbf56c16c16c16967
	s_delay_alu instid0(VALU_DEP_1)
	v_fmaak_f64 v[44:45], v[44:45], v[48:49], 0x3fa5555555555555
	v_fmaak_f64 v[48:49], v[66:67], v[64:65], 0x3f2a01a014761f6e
	v_fma_f64 v[64:65], v[46:47], v[68:69], -v[40:41]
	v_fmamk_f64 v[68:69], v[46:47], 0xbda907db46cc5e42, v[28:29]
	v_fma_f64 v[40:41], v[38:39], -v[40:41], v[52:53]
	v_fmac_f64_e32 v[36:37], v[62:63], v[44:45]
	v_fmaak_f64 v[44:45], v[66:67], v[48:49], 0x3f56c16c1852b7b0
	s_delay_alu instid0(VALU_DEP_4) | instskip(NEXT) | instid1(VALU_DEP_2)
	v_fmaak_f64 v[48:49], v[46:47], v[68:69], 0xbe927e4fa17f65f6
	v_fmaak_f64 v[44:45], v[66:67], v[44:45], 0x3f81111111122322
	s_delay_alu instid0(VALU_DEP_2) | instskip(NEXT) | instid1(VALU_DEP_2)
	v_fmaak_f64 v[48:49], v[46:47], v[48:49], 0x3efa01a019f4ec90
	v_fmaak_f64 v[44:45], v[66:67], v[44:45], 0x3fa55555555502a1
	s_delay_alu instid0(VALU_DEP_2) | instskip(NEXT) | instid1(VALU_DEP_2)
	v_fmaak_f64 v[48:49], v[46:47], v[48:49], 0xbf56c16c16c16967
	v_fmaak_f64 v[44:45], v[66:67], v[44:45], 0x3fc5555555555511
	s_delay_alu instid0(VALU_DEP_2) | instskip(SKIP_1) | instid1(VALU_DEP_3)
	v_fmaak_f64 v[46:47], v[46:47], v[48:49], 0x3fa5555555555555
	v_fmac_f64_e32 v[64:65], 0xbfc5555555555555, v[70:71]
	v_fmaak_f64 v[44:45], v[66:67], v[44:45], 0x3fe000000000000b
	s_delay_alu instid0(VALU_DEP_3) | instskip(SKIP_1) | instid1(VALU_DEP_3)
	v_fmac_f64_e32 v[40:41], v[72:73], v[46:47]
	v_add_f64_e32 v[36:37], v[54:55], v[36:37]
	v_fma_f64 v[44:45], v[66:67], v[44:45], 1.0
	v_add_f64_e64 v[38:39], v[38:39], -v[64:65]
	s_delay_alu instid0(VALU_DEP_4) | instskip(NEXT) | instid1(VALU_DEP_4)
	v_add_f64_e32 v[40:41], v[60:61], v[40:41]
	v_dual_cndmask_b32 v21, v37, v35 :: v_dual_cndmask_b32 v16, v36, v34
	v_cvt_i32_f64_e32 v37, v[50:51]
	v_fma_f64 v[34:35], v[66:67], v[44:45], 1.0
	s_delay_alu instid0(VALU_DEP_3) | instskip(NEXT) | instid1(VALU_DEP_1)
	v_bitop3_b32 v17, v21, v1, 0x80000000 bitop3:0x78
	v_dual_mul_f64 v[16:17], 4.0, v[16:17] :: v_dual_bitop2_b32 v1, 1, v42 bitop3:0x40
	s_delay_alu instid0(VALU_DEP_1) | instskip(SKIP_1) | instid1(VALU_DEP_1)
	v_cmp_eq_u32_e32 vcc_lo, 0, v1
	v_xor_b32_e32 v21, 0x80000000, v39
	v_dual_cndmask_b32 v1, v21, v41, vcc_lo :: v_dual_lshlrev_b32 v21, 30, v42
	v_cndmask_b32_e32 v36, v38, v40, vcc_lo
	v_cmp_nlt_f64_e64 vcc_lo, 0x4090cc00, |v[14:15]|
	v_ldexp_f64 v[34:35], v[34:35], v37
	s_delay_alu instid0(VALU_DEP_4) | instskip(SKIP_1) | instid1(VALU_DEP_2)
	v_bitop3_b32 v37, v1, v21, 0x80000000 bitop3:0x78
	v_bfi_b32 v21, 0x7fffffff, s31, v15
	v_mul_f64_e32 v[16:17], v[16:17], v[36:37]
	s_delay_alu instid0(VALU_DEP_2) | instskip(SKIP_1) | instid1(VALU_DEP_1)
	v_mov_b64_e32 v[14:15], v[20:21]
	v_dual_cndmask_b32 v35, 0, v35 :: v_dual_cndmask_b32 v34, 0, v34
	v_mul_f64_e32 v[16:17], v[34:35], v[16:17]
	s_delay_alu instid0(VALU_DEP_1)
	v_mul_f64_e32 v[16:17], v[34:35], v[16:17]
	s_or_b32 exec_lo, exec_lo, s2
.LBB155_26:                             ;   in Loop: Header=BB155_7 Depth=1
	s_and_not1_saveexec_b32 s2, s34
	s_cbranch_execz .LBB155_28
.LBB155_27:                             ;   in Loop: Header=BB155_7 Depth=1
	s_delay_alu instid0(VALU_DEP_1) | instskip(NEXT) | instid1(VALU_DEP_1)
	v_add_f64_e64 v[16:17], v[16:17], -v[16:17]
	v_mov_b64_e32 v[14:15], v[16:17]
.LBB155_28:                             ;   in Loop: Header=BB155_7 Depth=1
	s_or_b32 exec_lo, exec_lo, s2
.LBB155_29:                             ;   in Loop: Header=BB155_7 Depth=1
	s_and_not1_saveexec_b32 s34, s3
	s_cbranch_execz .LBB155_45
; %bb.30:                               ;   in Loop: Header=BB155_7 Depth=1
	s_delay_alu instid0(VALU_DEP_1) | instskip(SKIP_1) | instid1(VALU_DEP_1)
	v_and_or_b32 v1, 0xfffff, v15, v14
	s_mov_b32 s2, exec_lo
	v_cmpx_ne_u32_e32 0, v1
	s_xor_b32 s2, exec_lo, s2
	s_cbranch_execz .LBB155_32
; %bb.31:                               ;   in Loop: Header=BB155_7 Depth=1
	s_delay_alu instid0(VALU_DEP_3) | instskip(SKIP_1) | instid1(VALU_DEP_2)
	v_mul_f64_e32 v[34:35], v[14:15], v[16:17]
	v_cmp_eq_f64_e32 vcc_lo, 0, v[16:17]
	v_dual_cndmask_b32 v17, v35, v17 :: v_dual_cndmask_b32 v16, v34, v16
.LBB155_32:                             ;   in Loop: Header=BB155_7 Depth=1
	s_and_not1_saveexec_b32 s35, s2
	s_cbranch_execz .LBB155_44
; %bb.33:                               ;   in Loop: Header=BB155_7 Depth=1
	s_mov_b32 s36, exec_lo
	s_delay_alu instid0(VALU_DEP_1)
	v_cmpx_neq_f64_e64 0x7ff00000, |v[16:17]|
	s_cbranch_execz .LBB155_43
; %bb.34:                               ;   in Loop: Header=BB155_7 Depth=1
	v_cmp_ngt_f64_e64 s2, 0x41d00000, |v[16:17]|
	v_trig_preop_f64 v[42:43], |v[16:17]|, 0
	v_trig_preop_f64 v[40:41], |v[16:17]|, 1
	v_ldexp_f64 v[44:45], |v[16:17]|, 0xffffff80
	v_trig_preop_f64 v[38:39], |v[16:17]|, 2
	v_and_b32_e32 v52, 0x7fffffff, v17
                                        ; implicit-def: $vgpr1
                                        ; implicit-def: $vgpr34_vgpr35
                                        ; implicit-def: $vgpr36_vgpr37
	s_and_saveexec_b32 s3, s2
	s_delay_alu instid0(SALU_CYCLE_1)
	s_xor_b32 s3, exec_lo, s3
	s_cbranch_execz .LBB155_36
; %bb.35:                               ;   in Loop: Header=BB155_7 Depth=1
	v_cmp_le_f64_e64 vcc_lo, 0x7b000000, |v[16:17]|
	s_delay_alu instid0(VALU_DEP_4) | instskip(SKIP_1) | instid1(VALU_DEP_1)
	v_cndmask_b32_e32 v35, v52, v45, vcc_lo
	v_cndmask_b32_e32 v34, v16, v44, vcc_lo
	v_mul_f64_e32 v[36:37], v[42:43], v[34:35]
	v_mul_f64_e32 v[46:47], v[40:41], v[34:35]
	s_delay_alu instid0(VALU_DEP_2) | instskip(NEXT) | instid1(VALU_DEP_1)
	v_fma_f64 v[48:49], v[42:43], v[34:35], -v[36:37]
	v_add_f64_e32 v[50:51], v[46:47], v[48:49]
	s_delay_alu instid0(VALU_DEP_1) | instskip(SKIP_1) | instid1(VALU_DEP_2)
	v_add_f64_e64 v[54:55], v[50:51], -v[46:47]
	v_add_f64_e32 v[58:59], v[36:37], v[50:51]
	v_add_f64_e64 v[56:57], v[50:51], -v[54:55]
	v_fma_f64 v[62:63], v[40:41], v[34:35], -v[46:47]
	v_add_f64_e64 v[48:49], v[48:49], -v[54:55]
	s_delay_alu instid0(VALU_DEP_4) | instskip(SKIP_2) | instid1(VALU_DEP_3)
	v_ldexp_f64 v[54:55], v[58:59], -2
	v_mul_f64_e32 v[60:61], v[38:39], v[34:35]
	v_add_f64_e64 v[46:47], v[46:47], -v[56:57]
	v_cmp_neq_f64_e64 vcc_lo, 0x7ff00000, |v[54:55]|
	s_delay_alu instid0(VALU_DEP_3) | instskip(SKIP_1) | instid1(VALU_DEP_4)
	v_add_f64_e32 v[56:57], v[60:61], v[62:63]
	v_fma_f64 v[34:35], v[38:39], v[34:35], -v[60:61]
	v_add_f64_e32 v[46:47], v[48:49], v[46:47]
	v_fract_f64_e32 v[48:49], v[54:55]
	s_delay_alu instid0(VALU_DEP_1) | instskip(NEXT) | instid1(VALU_DEP_1)
	v_ldexp_f64 v[48:49], v[48:49], 2
	v_cndmask_b32_e32 v49, 0, v49, vcc_lo
	v_add_f64_e64 v[36:37], v[58:59], -v[36:37]
	s_delay_alu instid0(VALU_DEP_3) | instskip(NEXT) | instid1(VALU_DEP_2)
	v_cndmask_b32_e32 v48, 0, v48, vcc_lo
	v_add_f64_e64 v[36:37], v[50:51], -v[36:37]
	v_add_f64_e32 v[50:51], v[56:57], v[46:47]
	s_delay_alu instid0(VALU_DEP_1) | instskip(SKIP_1) | instid1(VALU_DEP_2)
	v_add_f64_e32 v[54:55], v[36:37], v[50:51]
	v_add_f64_e64 v[64:65], v[50:51], -v[56:57]
	v_add_f64_e32 v[58:59], v[54:55], v[48:49]
	s_delay_alu instid0(VALU_DEP_2) | instskip(SKIP_2) | instid1(VALU_DEP_4)
	v_add_f64_e64 v[70:71], v[50:51], -v[64:65]
	v_add_f64_e64 v[46:47], v[46:47], -v[64:65]
	v_add_f64_e64 v[36:37], v[54:55], -v[36:37]
	v_cmp_gt_f64_e32 vcc_lo, 0, v[58:59]
	v_add_f64_e64 v[58:59], v[56:57], -v[60:61]
	s_delay_alu instid0(VALU_DEP_3) | instskip(SKIP_1) | instid1(VALU_DEP_3)
	v_add_f64_e64 v[36:37], v[50:51], -v[36:37]
	v_cndmask_b32_e64 v21, 0, 0x40100000, vcc_lo
	v_add_f64_e64 v[68:69], v[56:57], -v[58:59]
	v_add_f64_e64 v[58:59], v[62:63], -v[58:59]
	;; [unrolled: 1-line block ×3, first 2 shown]
	s_delay_alu instid0(VALU_DEP_4) | instskip(NEXT) | instid1(VALU_DEP_4)
	v_add_f64_e32 v[48:49], v[48:49], v[20:21]
	v_add_f64_e64 v[62:63], v[60:61], -v[68:69]
	s_delay_alu instid0(VALU_DEP_3) | instskip(NEXT) | instid1(VALU_DEP_3)
	v_add_f64_e32 v[46:47], v[46:47], v[56:57]
	v_add_f64_e32 v[66:67], v[54:55], v[48:49]
	s_delay_alu instid0(VALU_DEP_3) | instskip(NEXT) | instid1(VALU_DEP_2)
	v_add_f64_e32 v[58:59], v[58:59], v[62:63]
	v_cvt_i32_f64_e32 v1, v[66:67]
	s_delay_alu instid0(VALU_DEP_2) | instskip(NEXT) | instid1(VALU_DEP_2)
	v_add_f64_e32 v[46:47], v[58:59], v[46:47]
	v_cvt_f64_i32_e32 v[64:65], v1
	s_delay_alu instid0(VALU_DEP_2) | instskip(NEXT) | instid1(VALU_DEP_2)
	v_add_f64_e32 v[34:35], v[34:35], v[46:47]
	v_add_f64_e64 v[48:49], v[48:49], -v[64:65]
	s_delay_alu instid0(VALU_DEP_2) | instskip(NEXT) | instid1(VALU_DEP_2)
	v_add_f64_e32 v[34:35], v[36:37], v[34:35]
	v_add_f64_e32 v[56:57], v[54:55], v[48:49]
	s_delay_alu instid0(VALU_DEP_1) | instskip(SKIP_1) | instid1(VALU_DEP_2)
	v_add_f64_e64 v[46:47], v[56:57], -v[48:49]
	v_cmp_le_f64_e32 vcc_lo, 0.5, v[56:57]
	v_add_f64_e64 v[36:37], v[54:55], -v[46:47]
	v_cndmask_b32_e64 v21, 0, 0x3ff00000, vcc_lo
	v_add_co_ci_u32_e64 v1, null, 0, v1, vcc_lo
	s_delay_alu instid0(VALU_DEP_3) | instskip(NEXT) | instid1(VALU_DEP_3)
	v_add_f64_e32 v[34:35], v[34:35], v[36:37]
	v_add_f64_e64 v[36:37], v[56:57], -v[20:21]
	s_delay_alu instid0(VALU_DEP_1) | instskip(NEXT) | instid1(VALU_DEP_1)
	v_add_f64_e32 v[46:47], v[36:37], v[34:35]
	v_mul_f64_e32 v[48:49], 0x3ff921fb54442d18, v[46:47]
	v_add_f64_e64 v[36:37], v[46:47], -v[36:37]
	s_delay_alu instid0(VALU_DEP_2) | instskip(NEXT) | instid1(VALU_DEP_2)
	v_fma_f64 v[50:51], v[46:47], s[12:13], -v[48:49]
	v_add_f64_e64 v[34:35], v[34:35], -v[36:37]
	s_delay_alu instid0(VALU_DEP_2) | instskip(NEXT) | instid1(VALU_DEP_1)
	v_fmac_f64_e32 v[50:51], 0x3c91a62633145c07, v[46:47]
	v_fmac_f64_e32 v[50:51], 0x3ff921fb54442d18, v[34:35]
	s_delay_alu instid0(VALU_DEP_1) | instskip(NEXT) | instid1(VALU_DEP_1)
	v_add_f64_e32 v[34:35], v[48:49], v[50:51]
	v_add_f64_e64 v[36:37], v[34:35], -v[48:49]
	s_delay_alu instid0(VALU_DEP_1)
	v_add_f64_e64 v[36:37], v[50:51], -v[36:37]
.LBB155_36:                             ;   in Loop: Header=BB155_7 Depth=1
	s_or_saveexec_b32 s3, s3
	v_mul_f64_e64 v[46:47], |v[16:17]|, s[14:15]
	s_delay_alu instid0(VALU_DEP_1)
	v_rndne_f64_e32 v[50:51], v[46:47]
	s_xor_b32 exec_lo, exec_lo, s3
	s_cbranch_execz .LBB155_38
; %bb.37:                               ;   in Loop: Header=BB155_7 Depth=1
	s_delay_alu instid0(VALU_DEP_1) | instskip(SKIP_2) | instid1(VALU_DEP_3)
	v_fma_f64 v[34:35], v[50:51], s[16:17], |v[16:17]|
	v_mul_f64_e32 v[36:37], 0xbc91a62633145c00, v[50:51]
	v_cvt_i32_f64_e32 v1, v[50:51]
	v_fmamk_f64 v[54:55], v[50:51], 0xbc91a62633145c00, v[34:35]
	s_delay_alu instid0(VALU_DEP_3) | instskip(NEXT) | instid1(VALU_DEP_1)
	v_add_f64_e32 v[46:47], v[34:35], v[36:37]
	v_add_f64_e64 v[48:49], v[34:35], -v[46:47]
	s_delay_alu instid0(VALU_DEP_3) | instskip(NEXT) | instid1(VALU_DEP_2)
	v_add_f64_e64 v[34:35], v[46:47], -v[54:55]
	v_add_f64_e32 v[46:47], v[48:49], v[36:37]
	v_fmamk_f64 v[36:37], v[50:51], 0x3c91a62633145c00, v[36:37]
	s_delay_alu instid0(VALU_DEP_2) | instskip(NEXT) | instid1(VALU_DEP_1)
	v_add_f64_e32 v[34:35], v[34:35], v[46:47]
	v_add_f64_e64 v[36:37], v[34:35], -v[36:37]
	s_delay_alu instid0(VALU_DEP_1) | instskip(NEXT) | instid1(VALU_DEP_1)
	v_fmac_f64_e32 v[36:37], 0xb97b839a252049c0, v[50:51]
	v_add_f64_e32 v[34:35], v[54:55], v[36:37]
	s_delay_alu instid0(VALU_DEP_1) | instskip(NEXT) | instid1(VALU_DEP_1)
	v_add_f64_e64 v[46:47], v[34:35], -v[54:55]
	v_add_f64_e64 v[36:37], v[36:37], -v[46:47]
.LBB155_38:                             ;   in Loop: Header=BB155_7 Depth=1
	s_or_b32 exec_lo, exec_lo, s3
                                        ; implicit-def: $vgpr53
                                        ; implicit-def: $vgpr46_vgpr47
                                        ; implicit-def: $vgpr48_vgpr49
	s_and_saveexec_b32 s3, s2
	s_delay_alu instid0(SALU_CYCLE_1)
	s_xor_b32 s2, exec_lo, s3
	s_cbranch_execz .LBB155_40
; %bb.39:                               ;   in Loop: Header=BB155_7 Depth=1
	v_cmp_le_f64_e64 vcc_lo, 0x7b000000, |v[16:17]|
	v_cndmask_b32_e32 v45, v52, v45, vcc_lo
	v_cndmask_b32_e32 v44, v16, v44, vcc_lo
	s_delay_alu instid0(VALU_DEP_1) | instskip(SKIP_1) | instid1(VALU_DEP_2)
	v_mul_f64_e32 v[46:47], v[42:43], v[44:45]
	v_mul_f64_e32 v[48:49], v[40:41], v[44:45]
	v_fma_f64 v[42:43], v[42:43], v[44:45], -v[46:47]
	s_delay_alu instid0(VALU_DEP_1) | instskip(NEXT) | instid1(VALU_DEP_1)
	v_add_f64_e32 v[50:51], v[48:49], v[42:43]
	v_add_f64_e64 v[52:53], v[50:51], -v[48:49]
	v_add_f64_e32 v[56:57], v[46:47], v[50:51]
	s_delay_alu instid0(VALU_DEP_2) | instskip(SKIP_1) | instid1(VALU_DEP_3)
	v_add_f64_e64 v[54:55], v[50:51], -v[52:53]
	v_add_f64_e64 v[42:43], v[42:43], -v[52:53]
	v_ldexp_f64 v[52:53], v[56:57], -2
	s_delay_alu instid0(VALU_DEP_1) | instskip(SKIP_1) | instid1(VALU_DEP_1)
	v_cmp_neq_f64_e64 vcc_lo, 0x7ff00000, |v[52:53]|
	v_add_f64_e64 v[46:47], v[56:57], -v[46:47]
	v_add_f64_e64 v[46:47], v[50:51], -v[46:47]
	v_mul_f64_e32 v[58:59], v[38:39], v[44:45]
	v_fma_f64 v[40:41], v[40:41], v[44:45], -v[48:49]
	v_add_f64_e64 v[48:49], v[48:49], -v[54:55]
	s_delay_alu instid0(VALU_DEP_3) | instskip(NEXT) | instid1(VALU_DEP_3)
	v_fma_f64 v[38:39], v[38:39], v[44:45], -v[58:59]
	v_add_f64_e32 v[54:55], v[58:59], v[40:41]
	s_delay_alu instid0(VALU_DEP_3) | instskip(SKIP_1) | instid1(VALU_DEP_2)
	v_add_f64_e32 v[42:43], v[42:43], v[48:49]
	v_fract_f64_e32 v[48:49], v[52:53]
	v_add_f64_e32 v[50:51], v[54:55], v[42:43]
	s_delay_alu instid0(VALU_DEP_2) | instskip(NEXT) | instid1(VALU_DEP_1)
	v_ldexp_f64 v[48:49], v[48:49], 2
	v_dual_add_f64 v[52:53], v[46:47], v[50:51] :: v_dual_cndmask_b32 v49, 0, v49, vcc_lo
	s_delay_alu instid0(VALU_DEP_2) | instskip(NEXT) | instid1(VALU_DEP_1)
	v_dual_add_f64 v[60:61], v[50:51], -v[54:55] :: v_dual_cndmask_b32 v48, 0, v48, vcc_lo
	v_add_f64_e32 v[56:57], v[52:53], v[48:49]
	v_add_f64_e64 v[44:45], v[52:53], -v[46:47]
	s_delay_alu instid0(VALU_DEP_3) | instskip(SKIP_1) | instid1(VALU_DEP_4)
	v_add_f64_e64 v[66:67], v[50:51], -v[60:61]
	v_add_f64_e64 v[42:43], v[42:43], -v[60:61]
	v_cmp_gt_f64_e32 vcc_lo, 0, v[56:57]
	v_add_f64_e64 v[56:57], v[54:55], -v[58:59]
	v_add_f64_e64 v[44:45], v[50:51], -v[44:45]
                                        ; implicit-def: $vgpr50_vgpr51
	v_cndmask_b32_e64 v21, 0, 0x40100000, vcc_lo
	s_delay_alu instid0(VALU_DEP_3) | instskip(SKIP_2) | instid1(VALU_DEP_4)
	v_add_f64_e64 v[64:65], v[54:55], -v[56:57]
	v_add_f64_e64 v[40:41], v[40:41], -v[56:57]
	;; [unrolled: 1-line block ×3, first 2 shown]
	v_add_f64_e32 v[48:49], v[48:49], v[20:21]
	s_delay_alu instid0(VALU_DEP_4) | instskip(NEXT) | instid1(VALU_DEP_3)
	v_add_f64_e64 v[56:57], v[58:59], -v[64:65]
	v_add_f64_e32 v[42:43], v[42:43], v[54:55]
	s_delay_alu instid0(VALU_DEP_3) | instskip(NEXT) | instid1(VALU_DEP_3)
	v_add_f64_e32 v[62:63], v[52:53], v[48:49]
	v_add_f64_e32 v[40:41], v[40:41], v[56:57]
	s_delay_alu instid0(VALU_DEP_2) | instskip(NEXT) | instid1(VALU_DEP_2)
	v_cvt_i32_f64_e32 v21, v[62:63]
	v_add_f64_e32 v[40:41], v[40:41], v[42:43]
	s_delay_alu instid0(VALU_DEP_2) | instskip(NEXT) | instid1(VALU_DEP_2)
	v_cvt_f64_i32_e32 v[60:61], v21
	v_add_f64_e32 v[38:39], v[38:39], v[40:41]
	s_delay_alu instid0(VALU_DEP_2) | instskip(NEXT) | instid1(VALU_DEP_2)
	v_add_f64_e64 v[48:49], v[48:49], -v[60:61]
	v_add_f64_e32 v[38:39], v[44:45], v[38:39]
	s_delay_alu instid0(VALU_DEP_2) | instskip(NEXT) | instid1(VALU_DEP_1)
	v_add_f64_e32 v[42:43], v[52:53], v[48:49]
	v_add_f64_e64 v[40:41], v[42:43], -v[48:49]
	v_cmp_le_f64_e32 vcc_lo, 0.5, v[42:43]
	s_delay_alu instid0(VALU_DEP_2) | instskip(SKIP_2) | instid1(VALU_DEP_3)
	v_add_f64_e64 v[40:41], v[52:53], -v[40:41]
	v_add_co_ci_u32_e64 v53, null, 0, v21, vcc_lo
	v_cndmask_b32_e64 v21, 0, 0x3ff00000, vcc_lo
	v_add_f64_e32 v[38:39], v[38:39], v[40:41]
	s_delay_alu instid0(VALU_DEP_2) | instskip(NEXT) | instid1(VALU_DEP_1)
	v_add_f64_e64 v[40:41], v[42:43], -v[20:21]
	v_add_f64_e32 v[42:43], v[40:41], v[38:39]
	s_delay_alu instid0(VALU_DEP_1) | instskip(SKIP_1) | instid1(VALU_DEP_2)
	v_mul_f64_e32 v[44:45], 0x3ff921fb54442d18, v[42:43]
	v_add_f64_e64 v[40:41], v[42:43], -v[40:41]
	v_fma_f64 v[48:49], v[42:43], s[12:13], -v[44:45]
	s_delay_alu instid0(VALU_DEP_2) | instskip(NEXT) | instid1(VALU_DEP_2)
	v_add_f64_e64 v[38:39], v[38:39], -v[40:41]
	v_fmac_f64_e32 v[48:49], 0x3c91a62633145c07, v[42:43]
	s_delay_alu instid0(VALU_DEP_1) | instskip(NEXT) | instid1(VALU_DEP_1)
	v_fmac_f64_e32 v[48:49], 0x3ff921fb54442d18, v[38:39]
	v_add_f64_e32 v[46:47], v[44:45], v[48:49]
	s_delay_alu instid0(VALU_DEP_1) | instskip(NEXT) | instid1(VALU_DEP_1)
	v_add_f64_e64 v[38:39], v[46:47], -v[44:45]
	v_add_f64_e64 v[48:49], v[48:49], -v[38:39]
	s_and_not1_saveexec_b32 s2, s2
	s_cbranch_execnz .LBB155_41
	s_branch .LBB155_42
.LBB155_40:                             ;   in Loop: Header=BB155_7 Depth=1
	s_and_not1_saveexec_b32 s2, s2
	s_cbranch_execz .LBB155_42
.LBB155_41:                             ;   in Loop: Header=BB155_7 Depth=1
	s_delay_alu instid0(VALU_DEP_1) | instskip(SKIP_2) | instid1(VALU_DEP_2)
	v_fma_f64 v[38:39], v[50:51], s[16:17], |v[16:17]|
	v_mul_f64_e32 v[40:41], 0xbc91a62633145c00, v[50:51]
	v_cvt_i32_f64_e32 v53, v[50:51]
	v_add_f64_e32 v[42:43], v[38:39], v[40:41]
	s_delay_alu instid0(VALU_DEP_1) | instskip(SKIP_1) | instid1(VALU_DEP_1)
	v_add_f64_e64 v[44:45], v[38:39], -v[42:43]
	v_fmamk_f64 v[38:39], v[50:51], 0xbc91a62633145c00, v[38:39]
	v_add_f64_e64 v[42:43], v[42:43], -v[38:39]
	s_delay_alu instid0(VALU_DEP_3) | instskip(SKIP_1) | instid1(VALU_DEP_2)
	v_add_f64_e32 v[44:45], v[44:45], v[40:41]
	v_fmamk_f64 v[40:41], v[50:51], 0x3c91a62633145c00, v[40:41]
	v_add_f64_e32 v[42:43], v[42:43], v[44:45]
	s_delay_alu instid0(VALU_DEP_1) | instskip(NEXT) | instid1(VALU_DEP_1)
	v_add_f64_e64 v[40:41], v[42:43], -v[40:41]
	v_fmac_f64_e32 v[40:41], 0xb97b839a252049c0, v[50:51]
	s_delay_alu instid0(VALU_DEP_1) | instskip(NEXT) | instid1(VALU_DEP_1)
	v_add_f64_e32 v[46:47], v[38:39], v[40:41]
	v_add_f64_e64 v[38:39], v[46:47], -v[38:39]
	s_delay_alu instid0(VALU_DEP_1)
	v_add_f64_e64 v[48:49], v[40:41], -v[38:39]
.LBB155_42:                             ;   in Loop: Header=BB155_7 Depth=1
	s_or_b32 exec_lo, exec_lo, s2
	v_dual_mul_f64 v[38:39], v[34:35], v[34:35] :: v_dual_bitop2_b32 v21, 1, v1 bitop3:0x40
	v_mul_f64_e32 v[40:41], v[46:47], v[46:47]
	v_cmp_class_f64_e64 s2, v[16:17], 0x1f8
	v_and_b32_e32 v16, 1, v53
	v_mul_f64_e32 v[64:65], 0.5, v[48:49]
	v_cmp_eq_u32_e32 vcc_lo, 0, v21
	v_mul_f64_e32 v[56:57], 0.5, v[36:37]
	v_lshlrev_b32_e32 v1, 30, v1
	v_cmp_eq_u32_e64 s3, 0, v16
	v_lshlrev_b32_e32 v16, 30, v53
	s_delay_alu instid0(VALU_DEP_3) | instskip(SKIP_4) | instid1(VALU_DEP_3)
	v_dual_mul_f64 v[42:43], 0.5, v[38:39] :: v_dual_bitop2_b32 v1, v1, v17 bitop3:0x14
	v_mul_f64_e64 v[58:59], v[34:35], -v[38:39]
	v_fmamk_f64 v[62:63], v[38:39], 0x3de5e0b2f9a43bb8, v[30:31]
	v_mul_f64_e64 v[66:67], v[46:47], -v[40:41]
	v_fmamk_f64 v[68:69], v[40:41], 0x3de5e0b2f9a43bb8, v[30:31]
	v_fmaak_f64 v[62:63], v[38:39], v[62:63], 0x3ec71de3796cde01
	s_delay_alu instid0(VALU_DEP_2) | instskip(NEXT) | instid1(VALU_DEP_2)
	v_fmaak_f64 v[68:69], v[40:41], v[68:69], 0x3ec71de3796cde01
	v_fmaak_f64 v[62:63], v[38:39], v[62:63], 0xbf2a01a019e83e5c
	s_delay_alu instid0(VALU_DEP_1) | instskip(SKIP_1) | instid1(VALU_DEP_2)
	v_fmaak_f64 v[62:63], v[38:39], v[62:63], 0x3f81111111110bb3
	v_add_f64_e64 v[50:51], -v[42:43], 1.0
	v_fmac_f64_e32 v[56:57], v[58:59], v[62:63]
	v_mul_f64_e32 v[62:63], v[38:39], v[38:39]
	s_delay_alu instid0(VALU_DEP_3) | instskip(NEXT) | instid1(VALU_DEP_3)
	v_add_f64_e64 v[60:61], -v[50:51], 1.0
	v_fma_f64 v[56:57], v[38:39], v[56:57], -v[36:37]
	s_delay_alu instid0(VALU_DEP_2) | instskip(SKIP_1) | instid1(VALU_DEP_3)
	v_add_f64_e64 v[42:43], v[60:61], -v[42:43]
	v_fmaak_f64 v[60:61], v[40:41], v[68:69], 0xbf2a01a019e83e5c
	v_fmac_f64_e32 v[56:57], 0xbfc5555555555555, v[58:59]
	v_mul_f64_e32 v[68:69], v[40:41], v[40:41]
	s_delay_alu instid0(VALU_DEP_3) | instskip(NEXT) | instid1(VALU_DEP_1)
	v_fmaak_f64 v[60:61], v[40:41], v[60:61], 0x3f81111111110bb3
	v_fmac_f64_e32 v[64:65], v[66:67], v[60:61]
	v_fmamk_f64 v[60:61], v[38:39], 0xbda907db46cc5e42, v[28:29]
	v_fma_f64 v[36:37], v[34:35], -v[36:37], v[42:43]
	s_delay_alu instid0(VALU_DEP_2) | instskip(SKIP_1) | instid1(VALU_DEP_2)
	v_fmaak_f64 v[42:43], v[38:39], v[60:61], 0xbe927e4fa17f65f6
	v_add_f64_e64 v[34:35], v[34:35], -v[56:57]
	v_fmaak_f64 v[42:43], v[38:39], v[42:43], 0x3efa01a019f4ec90
	s_delay_alu instid0(VALU_DEP_1) | instskip(SKIP_2) | instid1(VALU_DEP_3)
	v_fmaak_f64 v[42:43], v[38:39], v[42:43], 0xbf56c16c16c16967
	v_fma_f64 v[60:61], v[40:41], v[64:65], -v[48:49]
	v_fmamk_f64 v[64:65], v[40:41], 0xbda907db46cc5e42, v[28:29]
	v_fmaak_f64 v[38:39], v[38:39], v[42:43], 0x3fa5555555555555
	s_delay_alu instid0(VALU_DEP_2) | instskip(NEXT) | instid1(VALU_DEP_2)
	v_fmaak_f64 v[42:43], v[40:41], v[64:65], 0xbe927e4fa17f65f6
	v_fmac_f64_e32 v[36:37], v[62:63], v[38:39]
	s_delay_alu instid0(VALU_DEP_2) | instskip(NEXT) | instid1(VALU_DEP_1)
	v_fmaak_f64 v[38:39], v[40:41], v[42:43], 0x3efa01a019f4ec90
	v_fmaak_f64 v[38:39], v[40:41], v[38:39], 0xbf56c16c16c16967
	s_delay_alu instid0(VALU_DEP_1) | instskip(SKIP_2) | instid1(VALU_DEP_1)
	v_fmaak_f64 v[38:39], v[40:41], v[38:39], 0x3fa5555555555555
	v_fmac_f64_e32 v[60:61], 0xbfc5555555555555, v[66:67]
	v_add_f64_e32 v[36:37], v[50:51], v[36:37]
	v_dual_mul_f64 v[44:45], 0.5, v[40:41] :: v_dual_cndmask_b32 v21, v36, v34, vcc_lo
	s_delay_alu instid0(VALU_DEP_1) | instskip(NEXT) | instid1(VALU_DEP_3)
	v_add_f64_e64 v[54:55], -v[44:45], 1.0
	v_cndmask_b32_e32 v17, v37, v35, vcc_lo
	s_delay_alu instid0(VALU_DEP_1) | instskip(NEXT) | instid1(VALU_DEP_1)
	v_bitop3_b32 v1, v17, v1, 0x80000000 bitop3:0x78
	v_cndmask_b32_e64 v17, 0x7ff80000, v1, s2
	s_delay_alu instid0(VALU_DEP_4) | instskip(NEXT) | instid1(VALU_DEP_1)
	v_add_f64_e64 v[70:71], -v[54:55], 1.0
	v_add_f64_e64 v[44:45], v[70:71], -v[44:45]
	s_delay_alu instid0(VALU_DEP_1) | instskip(NEXT) | instid1(VALU_DEP_1)
	v_fma_f64 v[44:45], v[46:47], -v[48:49], v[44:45]
	v_fmac_f64_e32 v[44:45], v[68:69], v[38:39]
	v_add_f64_e64 v[38:39], v[46:47], -v[60:61]
	s_delay_alu instid0(VALU_DEP_2) | instskip(NEXT) | instid1(VALU_DEP_2)
	v_add_f64_e32 v[40:41], v[54:55], v[44:45]
	v_xor_b32_e32 v34, 0x80000000, v39
	s_delay_alu instid0(VALU_DEP_1) | instskip(NEXT) | instid1(VALU_DEP_3)
	v_cndmask_b32_e64 v34, v34, v41, s3
	v_cndmask_b32_e64 v35, v38, v40, s3
	s_delay_alu instid0(VALU_DEP_2) | instskip(NEXT) | instid1(VALU_DEP_2)
	v_bitop3_b32 v36, v34, v16, 0x80000000 bitop3:0x78
	v_dual_cndmask_b32 v16, 0, v21, s2 :: v_dual_cndmask_b32 v34, 0, v35, s2
	s_delay_alu instid0(VALU_DEP_2) | instskip(NEXT) | instid1(VALU_DEP_1)
	v_cndmask_b32_e64 v35, 0x7ff80000, v36, s2
	v_mul_f64_e32 v[16:17], v[16:17], v[34:35]
.LBB155_43:                             ;   in Loop: Header=BB155_7 Depth=1
	s_or_b32 exec_lo, exec_lo, s36
	s_delay_alu instid0(VALU_DEP_1) | instskip(SKIP_1) | instid1(VALU_DEP_2)
	v_bfi_b32 v21, 0x7fffffff, 0, v17
	v_add_nc_u32_e32 v15, -2.0, v15
	v_mov_b64_e32 v[16:17], v[20:21]
.LBB155_44:                             ;   in Loop: Header=BB155_7 Depth=1
	s_or_b32 exec_lo, exec_lo, s35
.LBB155_45:                             ;   in Loop: Header=BB155_7 Depth=1
	s_delay_alu instid0(SALU_CYCLE_1) | instskip(SKIP_3) | instid1(VALU_DEP_1)
	s_or_b32 exec_lo, exec_lo, s34
	s_wait_loadcnt 0x2
	v_and_b32_e32 v1, 0x7fffffff, v11
	s_mov_b32 s2, exec_lo
	v_cmpx_gt_u32_e32 0x7ff00000, v1
	s_xor_b32 s3, exec_lo, s2
	s_cbranch_execz .LBB155_67
; %bb.46:                               ;   in Loop: Header=BB155_7 Depth=1
	v_cmp_class_f64_e64 s2, v[12:13], 0x1f8
	s_and_saveexec_b32 s34, s2
	s_delay_alu instid0(SALU_CYCLE_1)
	s_xor_b32 s34, exec_lo, s34
	s_cbranch_execz .LBB155_64
; %bb.47:                               ;   in Loop: Header=BB155_7 Depth=1
	s_mov_b32 s2, exec_lo
	v_cmpx_gt_u32_e32 0x40360000, v1
	s_xor_b32 s35, exec_lo, s2
	s_cbranch_execz .LBB155_53
; %bb.48:                               ;   in Loop: Header=BB155_7 Depth=1
	v_cmp_ngt_f64_e64 s2, 0x41d00000, |v[12:13]|
                                        ; implicit-def: $vgpr1
                                        ; implicit-def: $vgpr34_vgpr35
                                        ; implicit-def: $vgpr36_vgpr37
	s_and_saveexec_b32 s36, s2
	s_delay_alu instid0(SALU_CYCLE_1)
	s_xor_b32 s2, exec_lo, s36
	s_cbranch_execz .LBB155_50
; %bb.49:                               ;   in Loop: Header=BB155_7 Depth=1
	v_ldexp_f64 v[34:35], |v[12:13]|, 0xffffff80
	v_cmp_le_f64_e64 vcc_lo, 0x7b000000, |v[12:13]|
	v_trig_preop_f64 v[36:37], |v[12:13]|, 0
	v_and_b32_e32 v1, 0x7fffffff, v13
	v_trig_preop_f64 v[38:39], |v[12:13]|, 1
	v_trig_preop_f64 v[48:49], |v[12:13]|, 2
	s_delay_alu instid0(VALU_DEP_3) | instskip(NEXT) | instid1(VALU_DEP_1)
	v_dual_cndmask_b32 v35, v1, v35 :: v_dual_cndmask_b32 v34, v12, v34
	v_mul_f64_e32 v[40:41], v[36:37], v[34:35]
	s_delay_alu instid0(VALU_DEP_4) | instskip(NEXT) | instid1(VALU_DEP_4)
	v_mul_f64_e32 v[42:43], v[38:39], v[34:35]
	v_mul_f64_e32 v[54:55], v[48:49], v[34:35]
	s_delay_alu instid0(VALU_DEP_3) | instskip(NEXT) | instid1(VALU_DEP_3)
	v_fma_f64 v[36:37], v[36:37], v[34:35], -v[40:41]
	v_fma_f64 v[38:39], v[38:39], v[34:35], -v[42:43]
	s_delay_alu instid0(VALU_DEP_3) | instskip(NEXT) | instid1(VALU_DEP_3)
	v_fma_f64 v[34:35], v[48:49], v[34:35], -v[54:55]
	v_add_f64_e32 v[44:45], v[42:43], v[36:37]
	s_delay_alu instid0(VALU_DEP_1) | instskip(SKIP_1) | instid1(VALU_DEP_2)
	v_add_f64_e64 v[46:47], v[44:45], -v[42:43]
	v_add_f64_e32 v[52:53], v[40:41], v[44:45]
	v_add_f64_e64 v[50:51], v[44:45], -v[46:47]
	v_add_f64_e64 v[36:37], v[36:37], -v[46:47]
	s_delay_alu instid0(VALU_DEP_3) | instskip(NEXT) | instid1(VALU_DEP_3)
	v_ldexp_f64 v[46:47], v[52:53], -2
	v_add_f64_e64 v[42:43], v[42:43], -v[50:51]
	v_add_f64_e32 v[50:51], v[54:55], v[38:39]
	s_delay_alu instid0(VALU_DEP_3) | instskip(NEXT) | instid1(VALU_DEP_3)
	v_cmp_neq_f64_e64 vcc_lo, 0x7ff00000, |v[46:47]|
	v_add_f64_e32 v[36:37], v[36:37], v[42:43]
	v_fract_f64_e32 v[42:43], v[46:47]
	s_delay_alu instid0(VALU_DEP_1) | instskip(NEXT) | instid1(VALU_DEP_1)
	v_ldexp_f64 v[42:43], v[42:43], 2
	v_dual_add_f64 v[40:41], v[52:53], -v[40:41] :: v_dual_cndmask_b32 v42, 0, v42, vcc_lo
	s_delay_alu instid0(VALU_DEP_1) | instskip(SKIP_1) | instid1(VALU_DEP_1)
	v_dual_add_f64 v[40:41], v[44:45], -v[40:41] :: v_dual_cndmask_b32 v43, 0, v43, vcc_lo
	v_add_f64_e32 v[44:45], v[50:51], v[36:37]
	v_add_f64_e32 v[46:47], v[40:41], v[44:45]
	v_add_f64_e64 v[56:57], v[44:45], -v[50:51]
	s_delay_alu instid0(VALU_DEP_2) | instskip(NEXT) | instid1(VALU_DEP_2)
	v_add_f64_e32 v[52:53], v[46:47], v[42:43]
	v_add_f64_e64 v[62:63], v[44:45], -v[56:57]
	v_add_f64_e64 v[36:37], v[36:37], -v[56:57]
	;; [unrolled: 1-line block ×3, first 2 shown]
	s_delay_alu instid0(VALU_DEP_4) | instskip(SKIP_1) | instid1(VALU_DEP_3)
	v_cmp_gt_f64_e32 vcc_lo, 0, v[52:53]
	v_add_f64_e64 v[52:53], v[50:51], -v[54:55]
	v_add_f64_e64 v[40:41], v[44:45], -v[40:41]
	v_cndmask_b32_e64 v21, 0, 0x40100000, vcc_lo
	s_delay_alu instid0(VALU_DEP_3) | instskip(SKIP_2) | instid1(VALU_DEP_4)
	v_add_f64_e64 v[60:61], v[50:51], -v[52:53]
	v_add_f64_e64 v[38:39], v[38:39], -v[52:53]
	;; [unrolled: 1-line block ×3, first 2 shown]
	v_add_f64_e32 v[42:43], v[42:43], v[20:21]
	s_delay_alu instid0(VALU_DEP_4) | instskip(NEXT) | instid1(VALU_DEP_3)
	v_add_f64_e64 v[52:53], v[54:55], -v[60:61]
	v_add_f64_e32 v[36:37], v[36:37], v[50:51]
	s_delay_alu instid0(VALU_DEP_3) | instskip(NEXT) | instid1(VALU_DEP_3)
	v_add_f64_e32 v[58:59], v[46:47], v[42:43]
	v_add_f64_e32 v[38:39], v[38:39], v[52:53]
	s_delay_alu instid0(VALU_DEP_2) | instskip(NEXT) | instid1(VALU_DEP_2)
	v_cvt_i32_f64_e32 v1, v[58:59]
	v_add_f64_e32 v[36:37], v[38:39], v[36:37]
	s_delay_alu instid0(VALU_DEP_2) | instskip(NEXT) | instid1(VALU_DEP_2)
	v_cvt_f64_i32_e32 v[56:57], v1
	v_add_f64_e32 v[34:35], v[34:35], v[36:37]
	s_delay_alu instid0(VALU_DEP_2) | instskip(NEXT) | instid1(VALU_DEP_2)
	v_add_f64_e64 v[42:43], v[42:43], -v[56:57]
	v_add_f64_e32 v[34:35], v[40:41], v[34:35]
	s_delay_alu instid0(VALU_DEP_2) | instskip(NEXT) | instid1(VALU_DEP_1)
	v_add_f64_e32 v[38:39], v[46:47], v[42:43]
	v_add_f64_e64 v[36:37], v[38:39], -v[42:43]
	v_cmp_le_f64_e32 vcc_lo, 0.5, v[38:39]
	s_delay_alu instid0(VALU_DEP_2) | instskip(SKIP_2) | instid1(VALU_DEP_3)
	v_add_f64_e64 v[36:37], v[46:47], -v[36:37]
	v_cndmask_b32_e64 v21, 0, 0x3ff00000, vcc_lo
	v_add_co_ci_u32_e64 v1, null, 0, v1, vcc_lo
	v_add_f64_e32 v[34:35], v[34:35], v[36:37]
	s_delay_alu instid0(VALU_DEP_3) | instskip(NEXT) | instid1(VALU_DEP_1)
	v_add_f64_e64 v[36:37], v[38:39], -v[20:21]
	v_add_f64_e32 v[38:39], v[36:37], v[34:35]
	s_delay_alu instid0(VALU_DEP_1) | instskip(SKIP_1) | instid1(VALU_DEP_2)
	v_mul_f64_e32 v[40:41], 0x3ff921fb54442d18, v[38:39]
	v_add_f64_e64 v[36:37], v[38:39], -v[36:37]
	v_fma_f64 v[42:43], v[38:39], s[12:13], -v[40:41]
	s_delay_alu instid0(VALU_DEP_2) | instskip(NEXT) | instid1(VALU_DEP_2)
	v_add_f64_e64 v[34:35], v[34:35], -v[36:37]
	v_fmac_f64_e32 v[42:43], 0x3c91a62633145c07, v[38:39]
	s_delay_alu instid0(VALU_DEP_1) | instskip(NEXT) | instid1(VALU_DEP_1)
	v_fmac_f64_e32 v[42:43], 0x3ff921fb54442d18, v[34:35]
	v_add_f64_e32 v[34:35], v[40:41], v[42:43]
	s_delay_alu instid0(VALU_DEP_1) | instskip(NEXT) | instid1(VALU_DEP_1)
	v_add_f64_e64 v[36:37], v[34:35], -v[40:41]
	v_add_f64_e64 v[36:37], v[42:43], -v[36:37]
.LBB155_50:                             ;   in Loop: Header=BB155_7 Depth=1
	s_and_not1_saveexec_b32 s2, s2
	s_cbranch_execz .LBB155_52
; %bb.51:                               ;   in Loop: Header=BB155_7 Depth=1
	v_mul_f64_e64 v[34:35], |v[12:13]|, s[14:15]
	s_delay_alu instid0(VALU_DEP_1) | instskip(NEXT) | instid1(VALU_DEP_1)
	v_rndne_f64_e32 v[38:39], v[34:35]
	v_fma_f64 v[34:35], v[38:39], s[16:17], |v[12:13]|
	v_mul_f64_e32 v[36:37], 0xbc91a62633145c00, v[38:39]
	v_cvt_i32_f64_e32 v1, v[38:39]
	s_delay_alu instid0(VALU_DEP_3) | instskip(NEXT) | instid1(VALU_DEP_3)
	v_fmamk_f64 v[44:45], v[38:39], 0xbc91a62633145c00, v[34:35]
	v_add_f64_e32 v[40:41], v[34:35], v[36:37]
	s_delay_alu instid0(VALU_DEP_1) | instskip(NEXT) | instid1(VALU_DEP_3)
	v_add_f64_e64 v[42:43], v[34:35], -v[40:41]
	v_add_f64_e64 v[34:35], v[40:41], -v[44:45]
	s_delay_alu instid0(VALU_DEP_2) | instskip(SKIP_1) | instid1(VALU_DEP_2)
	v_add_f64_e32 v[40:41], v[42:43], v[36:37]
	v_fmamk_f64 v[36:37], v[38:39], 0x3c91a62633145c00, v[36:37]
	v_add_f64_e32 v[34:35], v[34:35], v[40:41]
	s_delay_alu instid0(VALU_DEP_1) | instskip(NEXT) | instid1(VALU_DEP_1)
	v_add_f64_e64 v[36:37], v[34:35], -v[36:37]
	v_fmac_f64_e32 v[36:37], 0xb97b839a252049c0, v[38:39]
	s_delay_alu instid0(VALU_DEP_1) | instskip(NEXT) | instid1(VALU_DEP_1)
	v_add_f64_e32 v[34:35], v[44:45], v[36:37]
	v_add_f64_e64 v[40:41], v[34:35], -v[44:45]
	s_delay_alu instid0(VALU_DEP_1)
	v_add_f64_e64 v[36:37], v[36:37], -v[40:41]
.LBB155_52:                             ;   in Loop: Header=BB155_7 Depth=1
	s_or_b32 exec_lo, exec_lo, s2
	v_add_f64_e64 v[38:39], |v[10:11]|, s[18:19]
	v_cmp_nge_f64_e64 vcc_lo, |v[10:11]|, s[20:21]
	v_dual_mul_f64 v[56:57], v[34:35], v[34:35] :: v_dual_bitop2_b32 v1, 1, v1 bitop3:0x40
	s_delay_alu instid0(VALU_DEP_4) | instskip(NEXT) | instid1(VALU_DEP_2)
	v_add_f64_e32 v[58:59], v[36:37], v[36:37]
	v_cmp_eq_u32_e64 s2, 0, v1
	v_add_f64_e64 v[40:41], v[38:39], -|v[10:11]|
	s_delay_alu instid0(VALU_DEP_4) | instskip(NEXT) | instid1(VALU_DEP_2)
	v_fma_f64 v[60:61], v[34:35], v[34:35], -v[56:57]
	v_add_f64_e64 v[42:43], v[40:41], -v[38:39]
	v_add_f64_e32 v[40:41], 0x3fe62e42fefa39ef, v[40:41]
	s_delay_alu instid0(VALU_DEP_3) | instskip(NEXT) | instid1(VALU_DEP_3)
	v_fmac_f64_e32 v[60:61], v[34:35], v[58:59]
	v_add_f64_e64 v[42:43], |v[10:11]|, v[42:43]
	s_delay_alu instid0(VALU_DEP_2) | instskip(NEXT) | instid1(VALU_DEP_2)
	v_add_f64_e32 v[56:57], v[56:57], v[60:61]
	v_add_f64_e64 v[40:41], v[42:43], -v[40:41]
	s_delay_alu instid0(VALU_DEP_2) | instskip(NEXT) | instid1(VALU_DEP_1)
	v_fmamk_f64 v[60:61], v[56:57], 0x3ef5e089c751c08c, v[24:25]
	v_fmaak_f64 v[60:61], v[56:57], v[60:61], 0x3f17746f90a8aae0
	s_delay_alu instid0(VALU_DEP_1) | instskip(NEXT) | instid1(VALU_DEP_4)
	v_fmaak_f64 v[60:61], v[56:57], v[60:61], 0xbefbb44da6fbf144
	v_add_f64_e32 v[40:41], 0xbc7abc9e3b39803f, v[40:41]
	s_delay_alu instid0(VALU_DEP_1) | instskip(NEXT) | instid1(VALU_DEP_1)
	v_add_f64_e32 v[42:43], v[38:39], v[40:41]
	v_mul_f64_e32 v[44:45], 0x3ff71547652b82fe, v[42:43]
	v_add_f64_e64 v[38:39], v[38:39], -v[42:43]
	s_delay_alu instid0(VALU_DEP_2) | instskip(NEXT) | instid1(VALU_DEP_2)
	v_rndne_f64_e32 v[44:45], v[44:45]
	v_add_f64_e32 v[38:39], v[40:41], v[38:39]
	s_delay_alu instid0(VALU_DEP_2) | instskip(SKIP_2) | instid1(VALU_DEP_3)
	v_fmac_f64_e32 v[42:43], 0xbfe62e42fefa3000, v[44:45]
	v_mul_f64_e32 v[40:41], 0xbd53de6af278e000, v[44:45]
	v_cvt_i32_f64_e32 v12, v[44:45]
	v_add_f64_e32 v[46:47], v[38:39], v[42:43]
	s_delay_alu instid0(VALU_DEP_1) | instskip(SKIP_1) | instid1(VALU_DEP_2)
	v_add_f64_e32 v[48:49], v[46:47], v[40:41]
	v_add_f64_e64 v[42:43], v[42:43], -v[46:47]
	v_add_f64_e64 v[46:47], v[46:47], -v[48:49]
	s_delay_alu instid0(VALU_DEP_2) | instskip(NEXT) | instid1(VALU_DEP_2)
	v_add_f64_e32 v[38:39], v[38:39], v[42:43]
	v_add_f64_e32 v[40:41], v[46:47], v[40:41]
	s_delay_alu instid0(VALU_DEP_1) | instskip(SKIP_1) | instid1(VALU_DEP_2)
	v_add_f64_e32 v[38:39], v[38:39], v[40:41]
	v_mul_f64_e32 v[40:41], 0xbac9cc01f97b57a0, v[44:45]
	v_add_f64_e32 v[42:43], v[48:49], v[38:39]
	s_delay_alu instid0(VALU_DEP_1) | instskip(SKIP_1) | instid1(VALU_DEP_2)
	v_add_f64_e32 v[46:47], v[42:43], v[40:41]
	v_add_f64_e64 v[48:49], v[48:49], -v[42:43]
	v_add_f64_e64 v[42:43], v[42:43], -v[46:47]
	s_delay_alu instid0(VALU_DEP_2) | instskip(NEXT) | instid1(VALU_DEP_2)
	v_add_f64_e32 v[38:39], v[38:39], v[48:49]
	v_add_f64_e32 v[40:41], v[42:43], v[40:41]
	s_delay_alu instid0(VALU_DEP_1) | instskip(NEXT) | instid1(VALU_DEP_1)
	v_add_f64_e32 v[38:39], v[38:39], v[40:41]
	v_add_f64_e32 v[40:41], v[46:47], v[38:39]
	s_delay_alu instid0(VALU_DEP_1) | instskip(SKIP_1) | instid1(VALU_DEP_2)
	v_add_f64_e64 v[42:43], v[46:47], -v[40:41]
	v_mul_f64_e32 v[46:47], v[40:41], v[40:41]
	v_add_f64_e32 v[38:39], v[38:39], v[42:43]
	s_delay_alu instid0(VALU_DEP_2) | instskip(NEXT) | instid1(VALU_DEP_2)
	v_fma_f64 v[42:43], v[40:41], v[40:41], -v[46:47]
	v_add_f64_e32 v[48:49], v[38:39], v[38:39]
	s_delay_alu instid0(VALU_DEP_1) | instskip(SKIP_1) | instid1(VALU_DEP_1)
	v_fmac_f64_e32 v[42:43], v[40:41], v[48:49]
	v_fmamk_f64 v[48:49], v[40:41], 0x3e5ade156a5dcb37, v[26:27]
	v_fmaak_f64 v[48:49], v[40:41], v[48:49], 0x3ec71dee623fde64
	s_delay_alu instid0(VALU_DEP_1) | instskip(NEXT) | instid1(VALU_DEP_1)
	v_fmaak_f64 v[48:49], v[40:41], v[48:49], 0x3efa01997c89e6b0
	v_fmaak_f64 v[48:49], v[40:41], v[48:49], 0x3f2a01a014761f6e
	s_delay_alu instid0(VALU_DEP_1) | instskip(SKIP_1) | instid1(VALU_DEP_2)
	v_fmaak_f64 v[48:49], v[40:41], v[48:49], 0x3f56c16c1852b7b0
	v_add_f64_e32 v[50:51], v[46:47], v[42:43]
	v_fmaak_f64 v[48:49], v[40:41], v[48:49], 0x3f81111111122322
	s_delay_alu instid0(VALU_DEP_1) | instskip(NEXT) | instid1(VALU_DEP_1)
	v_fmaak_f64 v[48:49], v[40:41], v[48:49], 0x3fa55555555502a1
	v_fmaak_f64 v[48:49], v[40:41], v[48:49], 0x3fc5555555555511
	s_delay_alu instid0(VALU_DEP_1) | instskip(SKIP_1) | instid1(VALU_DEP_2)
	v_fmaak_f64 v[48:49], v[40:41], v[48:49], 0x3fe000000000000b
	v_add_f64_e64 v[46:47], v[50:51], -v[46:47]
	v_mul_f64_e32 v[52:53], v[50:51], v[48:49]
	s_delay_alu instid0(VALU_DEP_2) | instskip(NEXT) | instid1(VALU_DEP_2)
	v_add_f64_e64 v[42:43], v[42:43], -v[46:47]
	v_fma_f64 v[46:47], v[50:51], v[48:49], -v[52:53]
	s_delay_alu instid0(VALU_DEP_1) | instskip(NEXT) | instid1(VALU_DEP_1)
	v_fmac_f64_e32 v[46:47], v[42:43], v[48:49]
	v_add_f64_e32 v[42:43], v[52:53], v[46:47]
	s_delay_alu instid0(VALU_DEP_1) | instskip(SKIP_1) | instid1(VALU_DEP_2)
	v_add_f64_e32 v[48:49], v[40:41], v[42:43]
	v_add_f64_e64 v[50:51], v[42:43], -v[52:53]
	v_add_f64_e64 v[40:41], v[48:49], -v[40:41]
	s_delay_alu instid0(VALU_DEP_2) | instskip(NEXT) | instid1(VALU_DEP_2)
	v_add_f64_e64 v[46:47], v[46:47], -v[50:51]
	v_add_f64_e64 v[40:41], v[42:43], -v[40:41]
	s_delay_alu instid0(VALU_DEP_2) | instskip(NEXT) | instid1(VALU_DEP_1)
	v_add_f64_e32 v[38:39], v[38:39], v[46:47]
	v_add_f64_e32 v[38:39], v[38:39], v[40:41]
	s_delay_alu instid0(VALU_DEP_1) | instskip(NEXT) | instid1(VALU_DEP_1)
	v_add_f64_e32 v[40:41], v[48:49], v[38:39]
	v_add_f64_e32 v[42:43], 1.0, v[40:41]
	v_add_f64_e64 v[46:47], v[40:41], -v[48:49]
	s_delay_alu instid0(VALU_DEP_2) | instskip(NEXT) | instid1(VALU_DEP_2)
	v_add_f64_e32 v[48:49], -1.0, v[42:43]
	v_add_f64_e64 v[38:39], v[38:39], -v[46:47]
	s_delay_alu instid0(VALU_DEP_2) | instskip(NEXT) | instid1(VALU_DEP_1)
	v_add_f64_e64 v[40:41], v[40:41], -v[48:49]
	v_add_f64_e32 v[38:39], v[38:39], v[40:41]
	s_delay_alu instid0(VALU_DEP_1) | instskip(NEXT) | instid1(VALU_DEP_1)
	v_add_f64_e32 v[40:41], v[42:43], v[38:39]
	v_ldexp_f64 v[44:45], v[40:41], v12
	v_add_f64_e64 v[40:41], v[40:41], -v[42:43]
	s_delay_alu instid0(VALU_DEP_2) | instskip(NEXT) | instid1(VALU_DEP_1)
	v_rcp_f64_e32 v[46:47], v[44:45]
	v_add_f64_e64 v[38:39], v[38:39], -v[40:41]
	s_delay_alu instid0(VALU_DEP_1) | instskip(NEXT) | instid1(TRANS32_DEP_1)
	v_ldexp_f64 v[38:39], v[38:39], v12
	v_fma_f64 v[48:49], -v[44:45], v[46:47], 1.0
	s_delay_alu instid0(VALU_DEP_1) | instskip(NEXT) | instid1(VALU_DEP_1)
	v_fmac_f64_e32 v[46:47], v[48:49], v[46:47]
	v_fma_f64 v[48:49], -v[44:45], v[46:47], 1.0
	s_delay_alu instid0(VALU_DEP_1) | instskip(NEXT) | instid1(VALU_DEP_1)
	v_fmac_f64_e32 v[46:47], v[48:49], v[46:47]
	v_mul_f64_e32 v[40:41], v[44:45], v[46:47]
	s_delay_alu instid0(VALU_DEP_1) | instskip(NEXT) | instid1(VALU_DEP_1)
	v_fma_f64 v[42:43], v[46:47], v[44:45], -v[40:41]
	v_fmac_f64_e32 v[42:43], v[46:47], v[38:39]
	s_delay_alu instid0(VALU_DEP_1) | instskip(NEXT) | instid1(VALU_DEP_1)
	v_add_f64_e32 v[48:49], v[40:41], v[42:43]
	v_add_f64_e64 v[50:51], -v[48:49], 1.0
	v_add_f64_e64 v[40:41], v[48:49], -v[40:41]
	s_delay_alu instid0(VALU_DEP_2) | instskip(NEXT) | instid1(VALU_DEP_2)
	v_add_f64_e64 v[52:53], -v[50:51], 1.0
	v_add_f64_e64 v[40:41], v[40:41], -v[42:43]
	s_delay_alu instid0(VALU_DEP_2) | instskip(NEXT) | instid1(VALU_DEP_1)
	v_add_f64_e64 v[42:43], v[52:53], -v[48:49]
	v_add_f64_e32 v[40:41], v[40:41], v[42:43]
	s_delay_alu instid0(VALU_DEP_1) | instskip(NEXT) | instid1(VALU_DEP_1)
	v_add_f64_e32 v[42:43], v[50:51], v[40:41]
	v_mul_f64_e32 v[48:49], v[46:47], v[42:43]
	v_add_f64_e64 v[50:51], v[50:51], -v[42:43]
	s_delay_alu instid0(VALU_DEP_2) | instskip(NEXT) | instid1(VALU_DEP_2)
	v_mul_f64_e32 v[52:53], v[44:45], v[48:49]
	v_add_f64_e32 v[40:41], v[40:41], v[50:51]
	s_delay_alu instid0(VALU_DEP_2) | instskip(NEXT) | instid1(VALU_DEP_1)
	v_fma_f64 v[54:55], v[48:49], v[44:45], -v[52:53]
	v_fmac_f64_e32 v[54:55], v[48:49], v[38:39]
	s_delay_alu instid0(VALU_DEP_1) | instskip(NEXT) | instid1(VALU_DEP_1)
	v_add_f64_e32 v[62:63], v[52:53], v[54:55]
	v_add_f64_e64 v[58:59], v[42:43], -v[62:63]
	v_add_f64_e64 v[50:51], v[62:63], -v[52:53]
	v_fmaak_f64 v[52:53], v[56:57], v[60:61], 0x3f21e634a7943acf
	s_delay_alu instid0(VALU_DEP_1) | instskip(NEXT) | instid1(VALU_DEP_1)
	v_fmaak_f64 v[52:53], v[56:57], v[52:53], 0x3f2d250fdeb68feb
	v_fmaak_f64 v[52:53], v[56:57], v[52:53], 0x3f437fd9b58c4d95
	s_delay_alu instid0(VALU_DEP_1) | instskip(NEXT) | instid1(VALU_DEP_1)
	v_fmaak_f64 v[52:53], v[56:57], v[52:53], 0x3f57d5af15120e2c
	v_fmaak_f64 v[52:53], v[56:57], v[52:53], 0x3f6d6d93e09491df
	v_add_f64_e64 v[42:43], v[42:43], -v[58:59]
	v_add_f64_e64 v[50:51], v[50:51], -v[54:55]
	s_delay_alu instid0(VALU_DEP_2) | instskip(NEXT) | instid1(VALU_DEP_1)
	v_add_f64_e64 v[42:43], v[42:43], -v[62:63]
	v_add_f64_e32 v[40:41], v[40:41], v[42:43]
	v_fmaak_f64 v[42:43], v[56:57], v[52:53], 0x3f8226e12033784d
	v_add_f64_e32 v[52:53], v[46:47], v[48:49]
	s_delay_alu instid0(VALU_DEP_2) | instskip(NEXT) | instid1(VALU_DEP_1)
	v_fmaak_f64 v[42:43], v[56:57], v[42:43], 0x3f9664f49ac36ae2
	v_fmaak_f64 v[42:43], v[56:57], v[42:43], 0x3faba1ba1b451c21
	s_delay_alu instid0(VALU_DEP_1) | instskip(NEXT) | instid1(VALU_DEP_1)
	v_fmaak_f64 v[42:43], v[56:57], v[42:43], 0x3fc11111111185b7
	v_fmaak_f64 v[42:43], v[56:57], v[42:43], 0x3fd55555555554ee
	v_add_f64_e32 v[40:41], v[50:51], v[40:41]
	v_add_f64_e64 v[50:51], v[52:53], -v[46:47]
	s_delay_alu instid0(VALU_DEP_3) | instskip(NEXT) | instid1(VALU_DEP_3)
	v_mul_f64_e32 v[42:43], v[56:57], v[42:43]
	v_add_f64_e32 v[40:41], v[58:59], v[40:41]
	s_delay_alu instid0(VALU_DEP_3) | instskip(NEXT) | instid1(VALU_DEP_3)
	v_add_f64_e64 v[48:49], v[48:49], -v[50:51]
	v_mul_f64_e32 v[54:55], v[34:35], v[42:43]
	s_delay_alu instid0(VALU_DEP_3) | instskip(NEXT) | instid1(VALU_DEP_2)
	v_mul_f64_e32 v[40:41], v[46:47], v[40:41]
	v_add_f64_e32 v[46:47], v[34:35], v[54:55]
	v_fma_f64 v[42:43], v[34:35], v[42:43], -v[54:55]
	s_delay_alu instid0(VALU_DEP_3) | instskip(NEXT) | instid1(VALU_DEP_3)
	v_add_f64_e32 v[40:41], v[48:49], v[40:41]
	v_add_f64_e64 v[34:35], v[46:47], -v[34:35]
	s_delay_alu instid0(VALU_DEP_3) | instskip(NEXT) | instid1(VALU_DEP_3)
	v_add_f64_e32 v[36:37], v[36:37], v[42:43]
	v_add_f64_e32 v[48:49], v[52:53], v[40:41]
	s_delay_alu instid0(VALU_DEP_3) | instskip(NEXT) | instid1(VALU_DEP_2)
	v_add_f64_e64 v[34:35], v[54:55], -v[34:35]
	v_ldexp_f64 v[42:43], v[48:49], -2
	v_add_f64_e64 v[48:49], v[48:49], -v[52:53]
	s_delay_alu instid0(VALU_DEP_3) | instskip(NEXT) | instid1(VALU_DEP_3)
	v_add_f64_e32 v[34:35], v[36:37], v[34:35]
	v_add_f64_e64 v[36:37], v[44:45], -v[42:43]
	s_delay_alu instid0(VALU_DEP_3) | instskip(NEXT) | instid1(VALU_DEP_3)
	v_add_f64_e64 v[40:41], v[40:41], -v[48:49]
	v_add_f64_e32 v[50:51], v[46:47], v[34:35]
	s_delay_alu instid0(VALU_DEP_3) | instskip(NEXT) | instid1(VALU_DEP_3)
	v_add_f64_e64 v[44:45], v[44:45], -v[36:37]
	v_ldexp_f64 v[40:41], v[40:41], -2
	s_delay_alu instid0(VALU_DEP_3) | instskip(NEXT) | instid1(VALU_DEP_2)
	v_rcp_f64_e32 v[52:53], v[50:51]
	v_add_f64_e64 v[42:43], v[44:45], -v[42:43]
	s_delay_alu instid0(TRANS32_DEP_1) | instskip(NEXT) | instid1(VALU_DEP_2)
	v_fma_f64 v[44:45], -v[50:51], v[52:53], 1.0
	v_add_f64_e32 v[38:39], v[38:39], v[42:43]
	s_delay_alu instid0(VALU_DEP_2) | instskip(NEXT) | instid1(VALU_DEP_2)
	v_fmac_f64_e32 v[52:53], v[44:45], v[52:53]
	v_add_f64_e64 v[38:39], v[38:39], -v[40:41]
	s_delay_alu instid0(VALU_DEP_2) | instskip(NEXT) | instid1(VALU_DEP_2)
	v_fma_f64 v[40:41], -v[50:51], v[52:53], 1.0
	v_add_f64_e32 v[36:37], v[36:37], v[38:39]
	s_delay_alu instid0(VALU_DEP_2) | instskip(SKIP_1) | instid1(VALU_DEP_3)
	v_fmac_f64_e32 v[52:53], v[40:41], v[52:53]
	v_and_b32_e32 v40, 0x7fffffff, v11
	v_cndmask_b32_e32 v12, 0x7ff00000, v37, vcc_lo
	s_delay_alu instid0(VALU_DEP_4) | instskip(SKIP_3) | instid1(VALU_DEP_3)
	v_cndmask_b32_e32 v21, 0, v36, vcc_lo
	v_cmp_gt_f64_e64 vcc_lo, 0x3e400000, |v[10:11]|
	v_add_f64_e64 v[36:37], v[50:51], -v[46:47]
	v_mul_f64_e32 v[38:39], v[50:51], v[52:53]
	v_dual_cndmask_b32 v12, v12, v40, vcc_lo :: v_dual_cndmask_b32 v10, v21, v10, vcc_lo
	s_delay_alu instid0(VALU_DEP_3) | instskip(NEXT) | instid1(VALU_DEP_2)
	v_add_f64_e64 v[34:35], v[34:35], -v[36:37]
	v_bfi_b32 v11, 0x7fffffff, v12, v11
	s_delay_alu instid0(VALU_DEP_4) | instskip(NEXT) | instid1(VALU_DEP_2)
	v_fma_f64 v[36:37], v[52:53], v[50:51], -v[38:39]
	v_fma_f64 v[40:41], v[10:11], v[10:11], 1.0
	s_delay_alu instid0(VALU_DEP_2) | instskip(NEXT) | instid1(VALU_DEP_2)
	v_fmac_f64_e32 v[36:37], v[52:53], v[34:35]
	v_cmp_gt_f64_e32 vcc_lo, 0x10000000, v[40:41]
	v_cndmask_b32_e64 v12, 0, 0x100, vcc_lo
	s_delay_alu instid0(VALU_DEP_1) | instskip(NEXT) | instid1(VALU_DEP_4)
	v_ldexp_f64 v[34:35], v[40:41], v12
	v_add_f64_e32 v[40:41], v[38:39], v[36:37]
	s_delay_alu instid0(VALU_DEP_2) | instskip(NEXT) | instid1(VALU_DEP_1)
	v_rsq_f64_e32 v[42:43], v[34:35]
	v_add_f64_e64 v[44:45], -v[40:41], 1.0
	v_add_f64_e64 v[38:39], v[40:41], -v[38:39]
	s_delay_alu instid0(VALU_DEP_2) | instskip(NEXT) | instid1(VALU_DEP_2)
	v_add_f64_e64 v[48:49], -v[44:45], 1.0
	v_add_f64_e64 v[36:37], v[38:39], -v[36:37]
	s_delay_alu instid0(TRANS32_DEP_1) | instskip(SKIP_1) | instid1(VALU_DEP_4)
	v_mul_f64_e32 v[46:47], v[34:35], v[42:43]
	v_mul_f64_e32 v[42:43], 0.5, v[42:43]
	v_add_f64_e64 v[38:39], v[48:49], -v[40:41]
	s_delay_alu instid0(VALU_DEP_2) | instskip(NEXT) | instid1(VALU_DEP_2)
	v_fma_f64 v[54:55], -v[42:43], v[46:47], 0.5
	v_add_f64_e32 v[36:37], v[36:37], v[38:39]
	s_delay_alu instid0(VALU_DEP_2) | instskip(SKIP_1) | instid1(VALU_DEP_3)
	v_fmac_f64_e32 v[46:47], v[46:47], v[54:55]
	v_fmac_f64_e32 v[42:43], v[42:43], v[54:55]
	v_add_f64_e32 v[36:37], v[44:45], v[36:37]
	s_delay_alu instid0(VALU_DEP_3) | instskip(NEXT) | instid1(VALU_DEP_2)
	v_fma_f64 v[38:39], -v[46:47], v[46:47], v[34:35]
	v_mul_f64_e32 v[36:37], v[52:53], v[36:37]
	s_delay_alu instid0(VALU_DEP_2) | instskip(NEXT) | instid1(VALU_DEP_2)
	v_fmac_f64_e32 v[46:47], v[38:39], v[42:43]
	v_add_f64_e32 v[36:37], v[52:53], v[36:37]
	s_delay_alu instid0(VALU_DEP_2) | instskip(NEXT) | instid1(VALU_DEP_2)
	v_fma_f64 v[38:39], -v[46:47], v[46:47], v[34:35]
	v_xor_b32_e32 v21, 0x80000000, v37
	s_delay_alu instid0(VALU_DEP_1) | instskip(NEXT) | instid1(VALU_DEP_3)
	v_dual_cndmask_b32 v12, v36, v50, s2 :: v_dual_cndmask_b32 v1, v21, v51, s2
	v_fmac_f64_e32 v[46:47], v[38:39], v[42:43]
	v_cndmask_b32_e64 v21, 0, 0xffffff80, vcc_lo
	v_cmp_class_f64_e64 vcc_lo, v[34:35], 0x260
	s_delay_alu instid0(VALU_DEP_4) | instskip(NEXT) | instid1(VALU_DEP_1)
	v_bitop3_b32 v13, v1, v13, 0x80000000 bitop3:0x78
	v_fma_f64 v[38:39], v[12:13], v[12:13], 1.0
	s_delay_alu instid0(VALU_DEP_4) | instskip(NEXT) | instid1(VALU_DEP_1)
	v_ldexp_f64 v[36:37], v[46:47], v21
	v_dual_cndmask_b32 v35, v37, v35 :: v_dual_cndmask_b32 v34, v36, v34
	s_delay_alu instid0(VALU_DEP_3) | instskip(NEXT) | instid1(VALU_DEP_2)
	v_mul_f64_e32 v[36:37], v[10:11], v[38:39]
	v_mul_f64_e32 v[34:35], v[34:35], v[38:39]
	s_delay_alu instid0(VALU_DEP_2) | instskip(NEXT) | instid1(VALU_DEP_2)
	v_fma_f64 v[36:37], v[10:11], v[36:37], 1.0
	v_mul_f64_e32 v[10:11], v[10:11], v[34:35]
	s_delay_alu instid0(VALU_DEP_2) | instskip(NEXT) | instid1(VALU_DEP_2)
	v_div_scale_f64 v[38:39], null, v[36:37], v[36:37], v[12:13]
	v_div_scale_f64 v[34:35], null, v[36:37], v[36:37], v[10:11]
	v_div_scale_f64 v[48:49], vcc_lo, v[10:11], v[36:37], v[10:11]
	s_delay_alu instid0(VALU_DEP_3) | instskip(NEXT) | instid1(VALU_DEP_2)
	v_rcp_f64_e32 v[42:43], v[38:39]
	v_rcp_f64_e32 v[40:41], v[34:35]
	s_delay_alu instid0(TRANS32_DEP_2) | instskip(NEXT) | instid1(TRANS32_DEP_1)
	v_fma_f64 v[46:47], -v[38:39], v[42:43], 1.0
	v_fma_f64 v[44:45], -v[34:35], v[40:41], 1.0
	s_delay_alu instid0(VALU_DEP_2) | instskip(NEXT) | instid1(VALU_DEP_2)
	v_fmac_f64_e32 v[42:43], v[42:43], v[46:47]
	v_fmac_f64_e32 v[40:41], v[40:41], v[44:45]
	s_delay_alu instid0(VALU_DEP_2) | instskip(NEXT) | instid1(VALU_DEP_2)
	v_fma_f64 v[46:47], -v[38:39], v[42:43], 1.0
	v_fma_f64 v[44:45], -v[34:35], v[40:41], 1.0
	s_delay_alu instid0(VALU_DEP_2) | instskip(NEXT) | instid1(VALU_DEP_2)
	v_fmac_f64_e32 v[42:43], v[42:43], v[46:47]
	v_fmac_f64_e32 v[40:41], v[40:41], v[44:45]
	v_div_scale_f64 v[44:45], s2, v[12:13], v[36:37], v[12:13]
	s_delay_alu instid0(VALU_DEP_2) | instskip(NEXT) | instid1(VALU_DEP_2)
	v_mul_f64_e32 v[46:47], v[48:49], v[40:41]
	v_mul_f64_e32 v[50:51], v[44:45], v[42:43]
	s_delay_alu instid0(VALU_DEP_2) | instskip(NEXT) | instid1(VALU_DEP_2)
	v_fma_f64 v[34:35], -v[34:35], v[46:47], v[48:49]
	v_fma_f64 v[38:39], -v[38:39], v[50:51], v[44:45]
	s_delay_alu instid0(VALU_DEP_2) | instskip(SKIP_1) | instid1(VALU_DEP_2)
	v_div_fmas_f64 v[34:35], v[34:35], v[40:41], v[46:47]
	s_mov_b32 vcc_lo, s2
	v_div_fmas_f64 v[38:39], v[38:39], v[42:43], v[50:51]
	s_delay_alu instid0(VALU_DEP_2) | instskip(NEXT) | instid1(VALU_DEP_2)
	v_div_fixup_f64 v[10:11], v[34:35], v[36:37], v[10:11]
	v_div_fixup_f64 v[12:13], v[38:39], v[36:37], v[12:13]
.LBB155_53:                             ;   in Loop: Header=BB155_7 Depth=1
	s_and_not1_saveexec_b32 s2, s35
	s_cbranch_execz .LBB155_63
; %bb.54:                               ;   in Loop: Header=BB155_7 Depth=1
	s_delay_alu instid0(VALU_DEP_1) | instskip(SKIP_1) | instid1(SALU_CYCLE_1)
	v_cmp_ngt_f64_e64 s35, 0x41d00000, |v[12:13]|
                                        ; implicit-def: $vgpr1
                                        ; implicit-def: $vgpr34_vgpr35
                                        ; implicit-def: $vgpr36_vgpr37
	s_and_saveexec_b32 s36, s35
	s_xor_b32 s36, exec_lo, s36
	s_cbranch_execz .LBB155_56
; %bb.55:                               ;   in Loop: Header=BB155_7 Depth=1
	v_ldexp_f64 v[34:35], |v[12:13]|, 0xffffff80
	v_cmp_le_f64_e64 vcc_lo, 0x7b000000, |v[12:13]|
	v_trig_preop_f64 v[36:37], |v[12:13]|, 0
	v_and_b32_e32 v1, 0x7fffffff, v13
	v_trig_preop_f64 v[38:39], |v[12:13]|, 1
	v_trig_preop_f64 v[48:49], |v[12:13]|, 2
	s_delay_alu instid0(VALU_DEP_3) | instskip(NEXT) | instid1(VALU_DEP_1)
	v_dual_cndmask_b32 v35, v1, v35 :: v_dual_cndmask_b32 v34, v12, v34
	v_mul_f64_e32 v[40:41], v[36:37], v[34:35]
	s_delay_alu instid0(VALU_DEP_4) | instskip(NEXT) | instid1(VALU_DEP_4)
	v_mul_f64_e32 v[42:43], v[38:39], v[34:35]
	v_mul_f64_e32 v[54:55], v[48:49], v[34:35]
	s_delay_alu instid0(VALU_DEP_3) | instskip(NEXT) | instid1(VALU_DEP_3)
	v_fma_f64 v[36:37], v[36:37], v[34:35], -v[40:41]
	v_fma_f64 v[38:39], v[38:39], v[34:35], -v[42:43]
	s_delay_alu instid0(VALU_DEP_3) | instskip(NEXT) | instid1(VALU_DEP_3)
	v_fma_f64 v[34:35], v[48:49], v[34:35], -v[54:55]
	v_add_f64_e32 v[44:45], v[42:43], v[36:37]
	s_delay_alu instid0(VALU_DEP_1) | instskip(SKIP_1) | instid1(VALU_DEP_2)
	v_add_f64_e64 v[46:47], v[44:45], -v[42:43]
	v_add_f64_e32 v[52:53], v[40:41], v[44:45]
	v_add_f64_e64 v[50:51], v[44:45], -v[46:47]
	v_add_f64_e64 v[36:37], v[36:37], -v[46:47]
	s_delay_alu instid0(VALU_DEP_3) | instskip(NEXT) | instid1(VALU_DEP_3)
	v_ldexp_f64 v[46:47], v[52:53], -2
	v_add_f64_e64 v[42:43], v[42:43], -v[50:51]
	v_add_f64_e32 v[50:51], v[54:55], v[38:39]
	s_delay_alu instid0(VALU_DEP_3) | instskip(NEXT) | instid1(VALU_DEP_3)
	v_cmp_neq_f64_e64 vcc_lo, 0x7ff00000, |v[46:47]|
	v_add_f64_e32 v[36:37], v[36:37], v[42:43]
	v_fract_f64_e32 v[42:43], v[46:47]
	s_delay_alu instid0(VALU_DEP_1) | instskip(NEXT) | instid1(VALU_DEP_1)
	v_ldexp_f64 v[42:43], v[42:43], 2
	v_dual_add_f64 v[40:41], v[52:53], -v[40:41] :: v_dual_cndmask_b32 v42, 0, v42, vcc_lo
	s_delay_alu instid0(VALU_DEP_1) | instskip(SKIP_1) | instid1(VALU_DEP_1)
	v_dual_add_f64 v[40:41], v[44:45], -v[40:41] :: v_dual_cndmask_b32 v43, 0, v43, vcc_lo
	v_add_f64_e32 v[44:45], v[50:51], v[36:37]
	v_add_f64_e32 v[46:47], v[40:41], v[44:45]
	v_add_f64_e64 v[56:57], v[44:45], -v[50:51]
	s_delay_alu instid0(VALU_DEP_2) | instskip(NEXT) | instid1(VALU_DEP_2)
	v_add_f64_e32 v[52:53], v[46:47], v[42:43]
	v_add_f64_e64 v[62:63], v[44:45], -v[56:57]
	v_add_f64_e64 v[36:37], v[36:37], -v[56:57]
	;; [unrolled: 1-line block ×3, first 2 shown]
	s_delay_alu instid0(VALU_DEP_4) | instskip(SKIP_1) | instid1(VALU_DEP_3)
	v_cmp_gt_f64_e32 vcc_lo, 0, v[52:53]
	v_add_f64_e64 v[52:53], v[50:51], -v[54:55]
	v_add_f64_e64 v[40:41], v[44:45], -v[40:41]
	v_cndmask_b32_e64 v21, 0, 0x40100000, vcc_lo
	s_delay_alu instid0(VALU_DEP_3) | instskip(SKIP_2) | instid1(VALU_DEP_4)
	v_add_f64_e64 v[60:61], v[50:51], -v[52:53]
	v_add_f64_e64 v[38:39], v[38:39], -v[52:53]
	v_add_f64_e64 v[50:51], v[50:51], -v[62:63]
	v_add_f64_e32 v[42:43], v[42:43], v[20:21]
	s_delay_alu instid0(VALU_DEP_4) | instskip(NEXT) | instid1(VALU_DEP_3)
	v_add_f64_e64 v[52:53], v[54:55], -v[60:61]
	v_add_f64_e32 v[36:37], v[36:37], v[50:51]
	s_delay_alu instid0(VALU_DEP_3) | instskip(NEXT) | instid1(VALU_DEP_3)
	v_add_f64_e32 v[58:59], v[46:47], v[42:43]
	v_add_f64_e32 v[38:39], v[38:39], v[52:53]
	s_delay_alu instid0(VALU_DEP_2) | instskip(NEXT) | instid1(VALU_DEP_2)
	v_cvt_i32_f64_e32 v1, v[58:59]
	v_add_f64_e32 v[36:37], v[38:39], v[36:37]
	s_delay_alu instid0(VALU_DEP_2) | instskip(NEXT) | instid1(VALU_DEP_2)
	v_cvt_f64_i32_e32 v[56:57], v1
	v_add_f64_e32 v[34:35], v[34:35], v[36:37]
	s_delay_alu instid0(VALU_DEP_2) | instskip(NEXT) | instid1(VALU_DEP_2)
	v_add_f64_e64 v[42:43], v[42:43], -v[56:57]
	v_add_f64_e32 v[34:35], v[40:41], v[34:35]
	s_delay_alu instid0(VALU_DEP_2) | instskip(NEXT) | instid1(VALU_DEP_1)
	v_add_f64_e32 v[38:39], v[46:47], v[42:43]
	v_add_f64_e64 v[36:37], v[38:39], -v[42:43]
	v_cmp_le_f64_e32 vcc_lo, 0.5, v[38:39]
	s_delay_alu instid0(VALU_DEP_2) | instskip(SKIP_2) | instid1(VALU_DEP_3)
	v_add_f64_e64 v[36:37], v[46:47], -v[36:37]
	v_cndmask_b32_e64 v21, 0, 0x3ff00000, vcc_lo
	v_add_co_ci_u32_e64 v1, null, 0, v1, vcc_lo
	v_add_f64_e32 v[34:35], v[34:35], v[36:37]
	s_delay_alu instid0(VALU_DEP_3) | instskip(NEXT) | instid1(VALU_DEP_1)
	v_add_f64_e64 v[36:37], v[38:39], -v[20:21]
	v_add_f64_e32 v[38:39], v[36:37], v[34:35]
	s_delay_alu instid0(VALU_DEP_1) | instskip(SKIP_1) | instid1(VALU_DEP_2)
	v_mul_f64_e32 v[40:41], 0x3ff921fb54442d18, v[38:39]
	v_add_f64_e64 v[36:37], v[38:39], -v[36:37]
	v_fma_f64 v[42:43], v[38:39], s[12:13], -v[40:41]
	s_delay_alu instid0(VALU_DEP_2) | instskip(NEXT) | instid1(VALU_DEP_2)
	v_add_f64_e64 v[34:35], v[34:35], -v[36:37]
	v_fmac_f64_e32 v[42:43], 0x3c91a62633145c07, v[38:39]
	s_delay_alu instid0(VALU_DEP_1) | instskip(NEXT) | instid1(VALU_DEP_1)
	v_fmac_f64_e32 v[42:43], 0x3ff921fb54442d18, v[34:35]
	v_add_f64_e32 v[34:35], v[40:41], v[42:43]
	s_delay_alu instid0(VALU_DEP_1) | instskip(NEXT) | instid1(VALU_DEP_1)
	v_add_f64_e64 v[36:37], v[34:35], -v[40:41]
	v_add_f64_e64 v[36:37], v[42:43], -v[36:37]
	s_and_not1_saveexec_b32 s36, s36
	s_cbranch_execz .LBB155_58
	s_branch .LBB155_57
.LBB155_56:                             ;   in Loop: Header=BB155_7 Depth=1
	s_and_not1_saveexec_b32 s36, s36
	s_cbranch_execz .LBB155_58
.LBB155_57:                             ;   in Loop: Header=BB155_7 Depth=1
	v_mul_f64_e64 v[34:35], |v[12:13]|, s[14:15]
	s_delay_alu instid0(VALU_DEP_1) | instskip(NEXT) | instid1(VALU_DEP_1)
	v_rndne_f64_e32 v[38:39], v[34:35]
	v_fma_f64 v[34:35], v[38:39], s[16:17], |v[12:13]|
	v_mul_f64_e32 v[36:37], 0xbc91a62633145c00, v[38:39]
	v_cvt_i32_f64_e32 v1, v[38:39]
	s_delay_alu instid0(VALU_DEP_3) | instskip(NEXT) | instid1(VALU_DEP_3)
	v_fmamk_f64 v[44:45], v[38:39], 0xbc91a62633145c00, v[34:35]
	v_add_f64_e32 v[40:41], v[34:35], v[36:37]
	s_delay_alu instid0(VALU_DEP_1) | instskip(NEXT) | instid1(VALU_DEP_3)
	v_add_f64_e64 v[42:43], v[34:35], -v[40:41]
	v_add_f64_e64 v[34:35], v[40:41], -v[44:45]
	s_delay_alu instid0(VALU_DEP_2) | instskip(SKIP_1) | instid1(VALU_DEP_2)
	v_add_f64_e32 v[40:41], v[42:43], v[36:37]
	v_fmamk_f64 v[36:37], v[38:39], 0x3c91a62633145c00, v[36:37]
	v_add_f64_e32 v[34:35], v[34:35], v[40:41]
	s_delay_alu instid0(VALU_DEP_1) | instskip(NEXT) | instid1(VALU_DEP_1)
	v_add_f64_e64 v[36:37], v[34:35], -v[36:37]
	v_fmac_f64_e32 v[36:37], 0xb97b839a252049c0, v[38:39]
	s_delay_alu instid0(VALU_DEP_1) | instskip(NEXT) | instid1(VALU_DEP_1)
	v_add_f64_e32 v[34:35], v[44:45], v[36:37]
	v_add_f64_e64 v[40:41], v[34:35], -v[44:45]
	s_delay_alu instid0(VALU_DEP_1)
	v_add_f64_e64 v[36:37], v[36:37], -v[40:41]
.LBB155_58:                             ;   in Loop: Header=BB155_7 Depth=1
	s_or_b32 exec_lo, exec_lo, s36
                                        ; implicit-def: $vgpr42
                                        ; implicit-def: $vgpr38_vgpr39
                                        ; implicit-def: $vgpr40_vgpr41
	s_and_saveexec_b32 s36, s35
	s_delay_alu instid0(SALU_CYCLE_1)
	s_xor_b32 s35, exec_lo, s36
	s_cbranch_execz .LBB155_60
; %bb.59:                               ;   in Loop: Header=BB155_7 Depth=1
	v_ldexp_f64 v[38:39], |v[12:13]|, 0xffffff80
	v_cmp_le_f64_e64 vcc_lo, 0x7b000000, |v[12:13]|
	v_trig_preop_f64 v[40:41], |v[12:13]|, 0
	v_and_b32_e32 v21, 0x7fffffff, v13
	v_trig_preop_f64 v[42:43], |v[12:13]|, 1
	v_trig_preop_f64 v[52:53], |v[12:13]|, 2
	s_delay_alu instid0(VALU_DEP_3) | instskip(NEXT) | instid1(VALU_DEP_1)
	v_dual_cndmask_b32 v39, v21, v39 :: v_dual_cndmask_b32 v38, v12, v38
	v_mul_f64_e32 v[44:45], v[40:41], v[38:39]
	s_delay_alu instid0(VALU_DEP_4) | instskip(NEXT) | instid1(VALU_DEP_4)
	v_mul_f64_e32 v[46:47], v[42:43], v[38:39]
	v_mul_f64_e32 v[58:59], v[52:53], v[38:39]
	s_delay_alu instid0(VALU_DEP_3) | instskip(NEXT) | instid1(VALU_DEP_3)
	v_fma_f64 v[40:41], v[40:41], v[38:39], -v[44:45]
	v_fma_f64 v[42:43], v[42:43], v[38:39], -v[46:47]
	s_delay_alu instid0(VALU_DEP_3) | instskip(NEXT) | instid1(VALU_DEP_3)
	v_fma_f64 v[38:39], v[52:53], v[38:39], -v[58:59]
	v_add_f64_e32 v[48:49], v[46:47], v[40:41]
	s_delay_alu instid0(VALU_DEP_1) | instskip(SKIP_1) | instid1(VALU_DEP_2)
	v_add_f64_e64 v[50:51], v[48:49], -v[46:47]
	v_add_f64_e32 v[56:57], v[44:45], v[48:49]
	v_add_f64_e64 v[54:55], v[48:49], -v[50:51]
	v_add_f64_e64 v[40:41], v[40:41], -v[50:51]
	s_delay_alu instid0(VALU_DEP_3) | instskip(NEXT) | instid1(VALU_DEP_3)
	v_ldexp_f64 v[50:51], v[56:57], -2
	v_add_f64_e64 v[46:47], v[46:47], -v[54:55]
	v_add_f64_e32 v[54:55], v[58:59], v[42:43]
	s_delay_alu instid0(VALU_DEP_3) | instskip(NEXT) | instid1(VALU_DEP_3)
	v_cmp_neq_f64_e64 vcc_lo, 0x7ff00000, |v[50:51]|
	v_add_f64_e32 v[40:41], v[40:41], v[46:47]
	v_fract_f64_e32 v[46:47], v[50:51]
	s_delay_alu instid0(VALU_DEP_1) | instskip(NEXT) | instid1(VALU_DEP_1)
	v_ldexp_f64 v[46:47], v[46:47], 2
	v_dual_add_f64 v[44:45], v[56:57], -v[44:45] :: v_dual_cndmask_b32 v46, 0, v46, vcc_lo
	s_delay_alu instid0(VALU_DEP_1) | instskip(SKIP_1) | instid1(VALU_DEP_1)
	v_dual_add_f64 v[44:45], v[48:49], -v[44:45] :: v_dual_cndmask_b32 v47, 0, v47, vcc_lo
	v_add_f64_e32 v[48:49], v[54:55], v[40:41]
	v_add_f64_e32 v[50:51], v[44:45], v[48:49]
	v_add_f64_e64 v[60:61], v[48:49], -v[54:55]
	s_delay_alu instid0(VALU_DEP_2) | instskip(NEXT) | instid1(VALU_DEP_2)
	v_add_f64_e32 v[56:57], v[50:51], v[46:47]
	v_add_f64_e64 v[66:67], v[48:49], -v[60:61]
	v_add_f64_e64 v[40:41], v[40:41], -v[60:61]
	;; [unrolled: 1-line block ×3, first 2 shown]
	s_delay_alu instid0(VALU_DEP_4) | instskip(SKIP_2) | instid1(VALU_DEP_2)
	v_cmp_gt_f64_e32 vcc_lo, 0, v[56:57]
	v_add_f64_e64 v[56:57], v[54:55], -v[58:59]
	v_cndmask_b32_e64 v21, 0, 0x40100000, vcc_lo
	v_add_f64_e64 v[64:65], v[54:55], -v[56:57]
	v_add_f64_e64 v[42:43], v[42:43], -v[56:57]
	;; [unrolled: 1-line block ×3, first 2 shown]
	s_delay_alu instid0(VALU_DEP_4) | instskip(NEXT) | instid1(VALU_DEP_4)
	v_add_f64_e32 v[46:47], v[46:47], v[20:21]
	v_add_f64_e64 v[56:57], v[58:59], -v[64:65]
	s_delay_alu instid0(VALU_DEP_3) | instskip(NEXT) | instid1(VALU_DEP_3)
	v_add_f64_e32 v[40:41], v[40:41], v[54:55]
	v_add_f64_e32 v[62:63], v[50:51], v[46:47]
	s_delay_alu instid0(VALU_DEP_3) | instskip(NEXT) | instid1(VALU_DEP_2)
	v_add_f64_e32 v[42:43], v[42:43], v[56:57]
	v_cvt_i32_f64_e32 v21, v[62:63]
	s_delay_alu instid0(VALU_DEP_2) | instskip(SKIP_1) | instid1(VALU_DEP_3)
	v_add_f64_e32 v[40:41], v[42:43], v[40:41]
	v_add_f64_e64 v[42:43], v[48:49], -v[44:45]
	v_cvt_f64_i32_e32 v[60:61], v21
	s_delay_alu instid0(VALU_DEP_3) | instskip(NEXT) | instid1(VALU_DEP_2)
	v_add_f64_e32 v[38:39], v[38:39], v[40:41]
	v_add_f64_e64 v[46:47], v[46:47], -v[60:61]
	s_delay_alu instid0(VALU_DEP_2) | instskip(NEXT) | instid1(VALU_DEP_2)
	v_add_f64_e32 v[38:39], v[42:43], v[38:39]
	v_add_f64_e32 v[52:53], v[50:51], v[46:47]
	s_delay_alu instid0(VALU_DEP_1) | instskip(SKIP_1) | instid1(VALU_DEP_2)
	v_add_f64_e64 v[40:41], v[52:53], -v[46:47]
	v_cmp_le_f64_e32 vcc_lo, 0.5, v[52:53]
	v_add_f64_e64 v[40:41], v[50:51], -v[40:41]
	v_add_co_ci_u32_e64 v42, null, 0, v21, vcc_lo
	v_cndmask_b32_e64 v21, 0, 0x3ff00000, vcc_lo
	s_delay_alu instid0(VALU_DEP_3) | instskip(NEXT) | instid1(VALU_DEP_2)
	v_add_f64_e32 v[38:39], v[38:39], v[40:41]
	v_add_f64_e64 v[40:41], v[52:53], -v[20:21]
	s_delay_alu instid0(VALU_DEP_1) | instskip(NEXT) | instid1(VALU_DEP_1)
	v_add_f64_e32 v[44:45], v[40:41], v[38:39]
	v_mul_f64_e32 v[46:47], 0x3ff921fb54442d18, v[44:45]
	v_add_f64_e64 v[40:41], v[44:45], -v[40:41]
	s_delay_alu instid0(VALU_DEP_2) | instskip(NEXT) | instid1(VALU_DEP_2)
	v_fma_f64 v[48:49], v[44:45], s[12:13], -v[46:47]
	v_add_f64_e64 v[38:39], v[38:39], -v[40:41]
	s_delay_alu instid0(VALU_DEP_2) | instskip(NEXT) | instid1(VALU_DEP_1)
	v_fmac_f64_e32 v[48:49], 0x3c91a62633145c07, v[44:45]
	v_fmac_f64_e32 v[48:49], 0x3ff921fb54442d18, v[38:39]
	s_delay_alu instid0(VALU_DEP_1) | instskip(NEXT) | instid1(VALU_DEP_1)
	v_add_f64_e32 v[38:39], v[46:47], v[48:49]
	v_add_f64_e64 v[40:41], v[38:39], -v[46:47]
	s_delay_alu instid0(VALU_DEP_1)
	v_add_f64_e64 v[40:41], v[48:49], -v[40:41]
	s_and_not1_saveexec_b32 s35, s35
	s_cbranch_execnz .LBB155_61
	s_branch .LBB155_62
.LBB155_60:                             ;   in Loop: Header=BB155_7 Depth=1
	s_and_not1_saveexec_b32 s35, s35
	s_cbranch_execz .LBB155_62
.LBB155_61:                             ;   in Loop: Header=BB155_7 Depth=1
	v_mul_f64_e64 v[38:39], |v[12:13]|, s[14:15]
	s_delay_alu instid0(VALU_DEP_1) | instskip(NEXT) | instid1(VALU_DEP_1)
	v_rndne_f64_e32 v[42:43], v[38:39]
	v_fma_f64 v[38:39], v[42:43], s[16:17], |v[12:13]|
	v_mul_f64_e32 v[40:41], 0xbc91a62633145c00, v[42:43]
	s_delay_alu instid0(VALU_DEP_2) | instskip(NEXT) | instid1(VALU_DEP_2)
	v_fmamk_f64 v[48:49], v[42:43], 0xbc91a62633145c00, v[38:39]
	v_add_f64_e32 v[44:45], v[38:39], v[40:41]
	s_delay_alu instid0(VALU_DEP_1) | instskip(NEXT) | instid1(VALU_DEP_3)
	v_add_f64_e64 v[46:47], v[38:39], -v[44:45]
	v_add_f64_e64 v[38:39], v[44:45], -v[48:49]
	s_delay_alu instid0(VALU_DEP_2) | instskip(SKIP_1) | instid1(VALU_DEP_2)
	v_add_f64_e32 v[44:45], v[46:47], v[40:41]
	v_fmamk_f64 v[40:41], v[42:43], 0x3c91a62633145c00, v[40:41]
	v_add_f64_e32 v[38:39], v[38:39], v[44:45]
	s_delay_alu instid0(VALU_DEP_1) | instskip(NEXT) | instid1(VALU_DEP_1)
	v_add_f64_e64 v[40:41], v[38:39], -v[40:41]
	v_fmac_f64_e32 v[40:41], 0xb97b839a252049c0, v[42:43]
	v_cvt_i32_f64_e32 v42, v[42:43]
	s_delay_alu instid0(VALU_DEP_2) | instskip(NEXT) | instid1(VALU_DEP_1)
	v_add_f64_e32 v[38:39], v[48:49], v[40:41]
	v_add_f64_e64 v[44:45], v[38:39], -v[48:49]
	s_delay_alu instid0(VALU_DEP_1)
	v_add_f64_e64 v[40:41], v[40:41], -v[44:45]
.LBB155_62:                             ;   in Loop: Header=BB155_7 Depth=1
	s_or_b32 exec_lo, exec_lo, s35
	v_dual_mul_f64 v[44:45], v[34:35], v[34:35] :: v_dual_bitop2_b32 v12, 1, v1 bitop3:0x40
	v_dual_mul_f64 v[46:47], v[38:39], v[38:39] :: v_dual_lshlrev_b32 v1, 30, v1
	v_mul_f64_e64 v[50:51], |v[10:11]|, s[24:25]
	s_delay_alu instid0(VALU_DEP_4) | instskip(NEXT) | instid1(VALU_DEP_4)
	v_mul_f64_e32 v[68:69], 0.5, v[40:41]
	v_cmp_eq_u32_e32 vcc_lo, 0, v12
	v_mul_f64_e32 v[56:57], 0.5, v[36:37]
	v_xor_b32_e32 v1, v1, v13
	v_mul_f64_e32 v[48:49], 0.5, v[44:45]
	v_mul_f64_e64 v[58:59], v[34:35], -v[44:45]
	v_mul_f64_e32 v[52:53], 0.5, v[46:47]
	v_fmamk_f64 v[64:65], v[44:45], 0x3de5e0b2f9a43bb8, v[30:31]
	v_rndne_f64_e32 v[50:51], v[50:51]
	v_mul_f64_e64 v[70:71], v[38:39], -v[46:47]
	v_fmamk_f64 v[72:73], v[46:47], 0x3de5e0b2f9a43bb8, v[30:31]
	s_delay_alu instid0(VALU_DEP_4) | instskip(NEXT) | instid1(VALU_DEP_1)
	v_fmaak_f64 v[64:65], v[44:45], v[64:65], 0x3ec71de3796cde01
	v_fmaak_f64 v[64:65], v[44:45], v[64:65], 0xbf2a01a019e83e5c
	s_delay_alu instid0(VALU_DEP_1) | instskip(SKIP_1) | instid1(VALU_DEP_2)
	v_fmaak_f64 v[64:65], v[44:45], v[64:65], 0x3f81111111110bb3
	v_add_f64_e64 v[54:55], -v[48:49], 1.0
	v_fmac_f64_e32 v[56:57], v[58:59], v[64:65]
	v_add_f64_e64 v[60:61], -v[52:53], 1.0
	v_fma_f64 v[66:67], v[50:51], s[18:19], -|v[10:11]|
	s_delay_alu instid0(VALU_DEP_4) | instskip(NEXT) | instid1(VALU_DEP_4)
	v_add_f64_e64 v[62:63], -v[54:55], 1.0
	v_fma_f64 v[56:57], v[44:45], v[56:57], -v[36:37]
	s_delay_alu instid0(VALU_DEP_4) | instskip(NEXT) | instid1(VALU_DEP_4)
	v_add_f64_e64 v[64:65], -v[60:61], 1.0
	v_fmac_f64_e32 v[66:67], 0xbc7abc9e3b39803f, v[50:51]
	s_delay_alu instid0(VALU_DEP_4)
	v_add_f64_e64 v[48:49], v[62:63], -v[48:49]
	v_fmaak_f64 v[62:63], v[46:47], v[72:73], 0x3ec71de3796cde01
	v_fmamk_f64 v[72:73], v[44:45], 0xbda907db46cc5e42, v[28:29]
	v_add_f64_e64 v[52:53], v[64:65], -v[52:53]
	v_fmamk_f64 v[64:65], v[66:67], 0x3e5ade156a5dcb37, v[26:27]
	v_fmac_f64_e32 v[56:57], 0xbfc5555555555555, v[58:59]
	v_fmaak_f64 v[62:63], v[46:47], v[62:63], 0xbf2a01a019e83e5c
	s_delay_alu instid0(VALU_DEP_3) | instskip(NEXT) | instid1(VALU_DEP_2)
	v_fmaak_f64 v[64:65], v[66:67], v[64:65], 0x3ec71dee623fde64
	v_fmaak_f64 v[62:63], v[46:47], v[62:63], 0x3f81111111110bb3
	s_delay_alu instid0(VALU_DEP_2) | instskip(NEXT) | instid1(VALU_DEP_2)
	v_fmaak_f64 v[64:65], v[66:67], v[64:65], 0x3efa01997c89e6b0
	v_fmac_f64_e32 v[68:69], v[70:71], v[62:63]
	v_mul_f64_e32 v[62:63], v[44:45], v[44:45]
	v_fma_f64 v[36:37], v[34:35], -v[36:37], v[48:49]
	v_fmaak_f64 v[48:49], v[44:45], v[72:73], 0xbe927e4fa17f65f6
	v_mul_f64_e32 v[72:73], v[46:47], v[46:47]
	v_add_f64_e64 v[34:35], v[34:35], -v[56:57]
	s_delay_alu instid0(VALU_DEP_3) | instskip(NEXT) | instid1(VALU_DEP_1)
	v_fmaak_f64 v[48:49], v[44:45], v[48:49], 0x3efa01a019f4ec90
	v_fmaak_f64 v[48:49], v[44:45], v[48:49], 0xbf56c16c16c16967
	s_delay_alu instid0(VALU_DEP_1)
	v_fmaak_f64 v[44:45], v[44:45], v[48:49], 0x3fa5555555555555
	v_fmaak_f64 v[48:49], v[66:67], v[64:65], 0x3f2a01a014761f6e
	v_fma_f64 v[64:65], v[46:47], v[68:69], -v[40:41]
	v_fmamk_f64 v[68:69], v[46:47], 0xbda907db46cc5e42, v[28:29]
	v_fma_f64 v[40:41], v[38:39], -v[40:41], v[52:53]
	v_fmac_f64_e32 v[36:37], v[62:63], v[44:45]
	v_fmaak_f64 v[44:45], v[66:67], v[48:49], 0x3f56c16c1852b7b0
	s_delay_alu instid0(VALU_DEP_4) | instskip(NEXT) | instid1(VALU_DEP_2)
	v_fmaak_f64 v[48:49], v[46:47], v[68:69], 0xbe927e4fa17f65f6
	v_fmaak_f64 v[44:45], v[66:67], v[44:45], 0x3f81111111122322
	s_delay_alu instid0(VALU_DEP_2) | instskip(NEXT) | instid1(VALU_DEP_2)
	v_fmaak_f64 v[48:49], v[46:47], v[48:49], 0x3efa01a019f4ec90
	v_fmaak_f64 v[44:45], v[66:67], v[44:45], 0x3fa55555555502a1
	s_delay_alu instid0(VALU_DEP_2) | instskip(NEXT) | instid1(VALU_DEP_2)
	v_fmaak_f64 v[48:49], v[46:47], v[48:49], 0xbf56c16c16c16967
	v_fmaak_f64 v[44:45], v[66:67], v[44:45], 0x3fc5555555555511
	s_delay_alu instid0(VALU_DEP_2) | instskip(SKIP_1) | instid1(VALU_DEP_3)
	v_fmaak_f64 v[46:47], v[46:47], v[48:49], 0x3fa5555555555555
	v_fmac_f64_e32 v[64:65], 0xbfc5555555555555, v[70:71]
	v_fmaak_f64 v[44:45], v[66:67], v[44:45], 0x3fe000000000000b
	s_delay_alu instid0(VALU_DEP_3) | instskip(SKIP_1) | instid1(VALU_DEP_3)
	v_fmac_f64_e32 v[40:41], v[72:73], v[46:47]
	v_add_f64_e32 v[36:37], v[54:55], v[36:37]
	v_fma_f64 v[44:45], v[66:67], v[44:45], 1.0
	v_add_f64_e64 v[38:39], v[38:39], -v[64:65]
	s_delay_alu instid0(VALU_DEP_4) | instskip(NEXT) | instid1(VALU_DEP_4)
	v_add_f64_e32 v[40:41], v[60:61], v[40:41]
	v_dual_cndmask_b32 v21, v37, v35 :: v_dual_cndmask_b32 v12, v36, v34
	v_cvt_i32_f64_e32 v37, v[50:51]
	v_fma_f64 v[34:35], v[66:67], v[44:45], 1.0
	s_delay_alu instid0(VALU_DEP_3) | instskip(NEXT) | instid1(VALU_DEP_1)
	v_bitop3_b32 v13, v21, v1, 0x80000000 bitop3:0x78
	v_dual_mul_f64 v[12:13], 4.0, v[12:13] :: v_dual_bitop2_b32 v1, 1, v42 bitop3:0x40
	s_delay_alu instid0(VALU_DEP_1) | instskip(SKIP_1) | instid1(VALU_DEP_1)
	v_cmp_eq_u32_e32 vcc_lo, 0, v1
	v_xor_b32_e32 v21, 0x80000000, v39
	v_dual_cndmask_b32 v1, v21, v41, vcc_lo :: v_dual_lshlrev_b32 v21, 30, v42
	v_cndmask_b32_e32 v36, v38, v40, vcc_lo
	v_cmp_nlt_f64_e64 vcc_lo, 0x4090cc00, |v[10:11]|
	v_ldexp_f64 v[34:35], v[34:35], v37
	s_delay_alu instid0(VALU_DEP_4) | instskip(SKIP_1) | instid1(VALU_DEP_2)
	v_bitop3_b32 v37, v1, v21, 0x80000000 bitop3:0x78
	v_bfi_b32 v21, 0x7fffffff, s31, v11
	v_mul_f64_e32 v[12:13], v[12:13], v[36:37]
	s_delay_alu instid0(VALU_DEP_2) | instskip(SKIP_1) | instid1(VALU_DEP_1)
	v_mov_b64_e32 v[10:11], v[20:21]
	v_dual_cndmask_b32 v35, 0, v35 :: v_dual_cndmask_b32 v34, 0, v34
	v_mul_f64_e32 v[12:13], v[34:35], v[12:13]
	s_delay_alu instid0(VALU_DEP_1)
	v_mul_f64_e32 v[12:13], v[34:35], v[12:13]
.LBB155_63:                             ;   in Loop: Header=BB155_7 Depth=1
	s_or_b32 exec_lo, exec_lo, s2
.LBB155_64:                             ;   in Loop: Header=BB155_7 Depth=1
	s_and_not1_saveexec_b32 s2, s34
	s_cbranch_execz .LBB155_66
; %bb.65:                               ;   in Loop: Header=BB155_7 Depth=1
	s_delay_alu instid0(VALU_DEP_1) | instskip(NEXT) | instid1(VALU_DEP_1)
	v_add_f64_e64 v[12:13], v[12:13], -v[12:13]
	v_mov_b64_e32 v[10:11], v[12:13]
.LBB155_66:                             ;   in Loop: Header=BB155_7 Depth=1
	s_or_b32 exec_lo, exec_lo, s2
.LBB155_67:                             ;   in Loop: Header=BB155_7 Depth=1
	s_and_not1_saveexec_b32 s34, s3
	s_cbranch_execz .LBB155_83
; %bb.68:                               ;   in Loop: Header=BB155_7 Depth=1
	s_delay_alu instid0(VALU_DEP_1) | instskip(SKIP_1) | instid1(VALU_DEP_1)
	v_and_or_b32 v1, 0xfffff, v11, v10
	s_mov_b32 s2, exec_lo
	v_cmpx_ne_u32_e32 0, v1
	s_xor_b32 s2, exec_lo, s2
	s_cbranch_execz .LBB155_70
; %bb.69:                               ;   in Loop: Header=BB155_7 Depth=1
	s_delay_alu instid0(VALU_DEP_3) | instskip(SKIP_1) | instid1(VALU_DEP_2)
	v_mul_f64_e32 v[34:35], v[10:11], v[12:13]
	v_cmp_eq_f64_e32 vcc_lo, 0, v[12:13]
	v_dual_cndmask_b32 v13, v35, v13 :: v_dual_cndmask_b32 v12, v34, v12
.LBB155_70:                             ;   in Loop: Header=BB155_7 Depth=1
	s_and_not1_saveexec_b32 s35, s2
	s_cbranch_execz .LBB155_82
; %bb.71:                               ;   in Loop: Header=BB155_7 Depth=1
	s_mov_b32 s36, exec_lo
	s_delay_alu instid0(VALU_DEP_1)
	v_cmpx_neq_f64_e64 0x7ff00000, |v[12:13]|
	s_cbranch_execz .LBB155_81
; %bb.72:                               ;   in Loop: Header=BB155_7 Depth=1
	v_cmp_ngt_f64_e64 s2, 0x41d00000, |v[12:13]|
	v_trig_preop_f64 v[42:43], |v[12:13]|, 0
	v_trig_preop_f64 v[40:41], |v[12:13]|, 1
	v_ldexp_f64 v[44:45], |v[12:13]|, 0xffffff80
	v_trig_preop_f64 v[38:39], |v[12:13]|, 2
	v_and_b32_e32 v52, 0x7fffffff, v13
                                        ; implicit-def: $vgpr1
                                        ; implicit-def: $vgpr34_vgpr35
                                        ; implicit-def: $vgpr36_vgpr37
	s_and_saveexec_b32 s3, s2
	s_delay_alu instid0(SALU_CYCLE_1)
	s_xor_b32 s3, exec_lo, s3
	s_cbranch_execz .LBB155_74
; %bb.73:                               ;   in Loop: Header=BB155_7 Depth=1
	v_cmp_le_f64_e64 vcc_lo, 0x7b000000, |v[12:13]|
	s_delay_alu instid0(VALU_DEP_4) | instskip(SKIP_1) | instid1(VALU_DEP_1)
	v_cndmask_b32_e32 v35, v52, v45, vcc_lo
	v_cndmask_b32_e32 v34, v12, v44, vcc_lo
	v_mul_f64_e32 v[36:37], v[42:43], v[34:35]
	v_mul_f64_e32 v[46:47], v[40:41], v[34:35]
	s_delay_alu instid0(VALU_DEP_2) | instskip(NEXT) | instid1(VALU_DEP_1)
	v_fma_f64 v[48:49], v[42:43], v[34:35], -v[36:37]
	v_add_f64_e32 v[50:51], v[46:47], v[48:49]
	s_delay_alu instid0(VALU_DEP_1) | instskip(SKIP_1) | instid1(VALU_DEP_2)
	v_add_f64_e64 v[54:55], v[50:51], -v[46:47]
	v_add_f64_e32 v[58:59], v[36:37], v[50:51]
	v_add_f64_e64 v[56:57], v[50:51], -v[54:55]
	v_fma_f64 v[62:63], v[40:41], v[34:35], -v[46:47]
	v_add_f64_e64 v[48:49], v[48:49], -v[54:55]
	s_delay_alu instid0(VALU_DEP_4) | instskip(SKIP_2) | instid1(VALU_DEP_3)
	v_ldexp_f64 v[54:55], v[58:59], -2
	v_mul_f64_e32 v[60:61], v[38:39], v[34:35]
	v_add_f64_e64 v[46:47], v[46:47], -v[56:57]
	v_cmp_neq_f64_e64 vcc_lo, 0x7ff00000, |v[54:55]|
	s_delay_alu instid0(VALU_DEP_3) | instskip(SKIP_1) | instid1(VALU_DEP_4)
	v_add_f64_e32 v[56:57], v[60:61], v[62:63]
	v_fma_f64 v[34:35], v[38:39], v[34:35], -v[60:61]
	v_add_f64_e32 v[46:47], v[48:49], v[46:47]
	v_fract_f64_e32 v[48:49], v[54:55]
	s_delay_alu instid0(VALU_DEP_1) | instskip(NEXT) | instid1(VALU_DEP_1)
	v_ldexp_f64 v[48:49], v[48:49], 2
	v_cndmask_b32_e32 v49, 0, v49, vcc_lo
	v_add_f64_e64 v[36:37], v[58:59], -v[36:37]
	s_delay_alu instid0(VALU_DEP_3) | instskip(NEXT) | instid1(VALU_DEP_2)
	v_cndmask_b32_e32 v48, 0, v48, vcc_lo
	v_add_f64_e64 v[36:37], v[50:51], -v[36:37]
	v_add_f64_e32 v[50:51], v[56:57], v[46:47]
	s_delay_alu instid0(VALU_DEP_1) | instskip(SKIP_1) | instid1(VALU_DEP_2)
	v_add_f64_e32 v[54:55], v[36:37], v[50:51]
	v_add_f64_e64 v[64:65], v[50:51], -v[56:57]
	v_add_f64_e32 v[58:59], v[54:55], v[48:49]
	s_delay_alu instid0(VALU_DEP_2) | instskip(SKIP_2) | instid1(VALU_DEP_4)
	v_add_f64_e64 v[70:71], v[50:51], -v[64:65]
	v_add_f64_e64 v[46:47], v[46:47], -v[64:65]
	;; [unrolled: 1-line block ×3, first 2 shown]
	v_cmp_gt_f64_e32 vcc_lo, 0, v[58:59]
	v_add_f64_e64 v[58:59], v[56:57], -v[60:61]
	s_delay_alu instid0(VALU_DEP_3) | instskip(SKIP_1) | instid1(VALU_DEP_3)
	v_add_f64_e64 v[36:37], v[50:51], -v[36:37]
	v_cndmask_b32_e64 v21, 0, 0x40100000, vcc_lo
	v_add_f64_e64 v[68:69], v[56:57], -v[58:59]
	v_add_f64_e64 v[58:59], v[62:63], -v[58:59]
	;; [unrolled: 1-line block ×3, first 2 shown]
	s_delay_alu instid0(VALU_DEP_4) | instskip(NEXT) | instid1(VALU_DEP_4)
	v_add_f64_e32 v[48:49], v[48:49], v[20:21]
	v_add_f64_e64 v[62:63], v[60:61], -v[68:69]
	s_delay_alu instid0(VALU_DEP_3) | instskip(NEXT) | instid1(VALU_DEP_3)
	v_add_f64_e32 v[46:47], v[46:47], v[56:57]
	v_add_f64_e32 v[66:67], v[54:55], v[48:49]
	s_delay_alu instid0(VALU_DEP_3) | instskip(NEXT) | instid1(VALU_DEP_2)
	v_add_f64_e32 v[58:59], v[58:59], v[62:63]
	v_cvt_i32_f64_e32 v1, v[66:67]
	s_delay_alu instid0(VALU_DEP_2) | instskip(NEXT) | instid1(VALU_DEP_2)
	v_add_f64_e32 v[46:47], v[58:59], v[46:47]
	v_cvt_f64_i32_e32 v[64:65], v1
	s_delay_alu instid0(VALU_DEP_2) | instskip(NEXT) | instid1(VALU_DEP_2)
	v_add_f64_e32 v[34:35], v[34:35], v[46:47]
	v_add_f64_e64 v[48:49], v[48:49], -v[64:65]
	s_delay_alu instid0(VALU_DEP_2) | instskip(NEXT) | instid1(VALU_DEP_2)
	v_add_f64_e32 v[34:35], v[36:37], v[34:35]
	v_add_f64_e32 v[56:57], v[54:55], v[48:49]
	s_delay_alu instid0(VALU_DEP_1) | instskip(SKIP_1) | instid1(VALU_DEP_2)
	v_add_f64_e64 v[46:47], v[56:57], -v[48:49]
	v_cmp_le_f64_e32 vcc_lo, 0.5, v[56:57]
	v_add_f64_e64 v[36:37], v[54:55], -v[46:47]
	v_cndmask_b32_e64 v21, 0, 0x3ff00000, vcc_lo
	v_add_co_ci_u32_e64 v1, null, 0, v1, vcc_lo
	s_delay_alu instid0(VALU_DEP_3) | instskip(NEXT) | instid1(VALU_DEP_3)
	v_add_f64_e32 v[34:35], v[34:35], v[36:37]
	v_add_f64_e64 v[36:37], v[56:57], -v[20:21]
	s_delay_alu instid0(VALU_DEP_1) | instskip(NEXT) | instid1(VALU_DEP_1)
	v_add_f64_e32 v[46:47], v[36:37], v[34:35]
	v_mul_f64_e32 v[48:49], 0x3ff921fb54442d18, v[46:47]
	v_add_f64_e64 v[36:37], v[46:47], -v[36:37]
	s_delay_alu instid0(VALU_DEP_2) | instskip(NEXT) | instid1(VALU_DEP_2)
	v_fma_f64 v[50:51], v[46:47], s[12:13], -v[48:49]
	v_add_f64_e64 v[34:35], v[34:35], -v[36:37]
	s_delay_alu instid0(VALU_DEP_2) | instskip(NEXT) | instid1(VALU_DEP_1)
	v_fmac_f64_e32 v[50:51], 0x3c91a62633145c07, v[46:47]
	v_fmac_f64_e32 v[50:51], 0x3ff921fb54442d18, v[34:35]
	s_delay_alu instid0(VALU_DEP_1) | instskip(NEXT) | instid1(VALU_DEP_1)
	v_add_f64_e32 v[34:35], v[48:49], v[50:51]
	v_add_f64_e64 v[36:37], v[34:35], -v[48:49]
	s_delay_alu instid0(VALU_DEP_1)
	v_add_f64_e64 v[36:37], v[50:51], -v[36:37]
.LBB155_74:                             ;   in Loop: Header=BB155_7 Depth=1
	s_or_saveexec_b32 s3, s3
	v_mul_f64_e64 v[46:47], |v[12:13]|, s[14:15]
	s_delay_alu instid0(VALU_DEP_1)
	v_rndne_f64_e32 v[50:51], v[46:47]
	s_xor_b32 exec_lo, exec_lo, s3
	s_cbranch_execz .LBB155_76
; %bb.75:                               ;   in Loop: Header=BB155_7 Depth=1
	s_delay_alu instid0(VALU_DEP_1) | instskip(SKIP_2) | instid1(VALU_DEP_3)
	v_fma_f64 v[34:35], v[50:51], s[16:17], |v[12:13]|
	v_mul_f64_e32 v[36:37], 0xbc91a62633145c00, v[50:51]
	v_cvt_i32_f64_e32 v1, v[50:51]
	v_fmamk_f64 v[54:55], v[50:51], 0xbc91a62633145c00, v[34:35]
	s_delay_alu instid0(VALU_DEP_3) | instskip(NEXT) | instid1(VALU_DEP_1)
	v_add_f64_e32 v[46:47], v[34:35], v[36:37]
	v_add_f64_e64 v[48:49], v[34:35], -v[46:47]
	s_delay_alu instid0(VALU_DEP_3) | instskip(NEXT) | instid1(VALU_DEP_2)
	v_add_f64_e64 v[34:35], v[46:47], -v[54:55]
	v_add_f64_e32 v[46:47], v[48:49], v[36:37]
	v_fmamk_f64 v[36:37], v[50:51], 0x3c91a62633145c00, v[36:37]
	s_delay_alu instid0(VALU_DEP_2) | instskip(NEXT) | instid1(VALU_DEP_1)
	v_add_f64_e32 v[34:35], v[34:35], v[46:47]
	v_add_f64_e64 v[36:37], v[34:35], -v[36:37]
	s_delay_alu instid0(VALU_DEP_1) | instskip(NEXT) | instid1(VALU_DEP_1)
	v_fmac_f64_e32 v[36:37], 0xb97b839a252049c0, v[50:51]
	v_add_f64_e32 v[34:35], v[54:55], v[36:37]
	s_delay_alu instid0(VALU_DEP_1) | instskip(NEXT) | instid1(VALU_DEP_1)
	v_add_f64_e64 v[46:47], v[34:35], -v[54:55]
	v_add_f64_e64 v[36:37], v[36:37], -v[46:47]
.LBB155_76:                             ;   in Loop: Header=BB155_7 Depth=1
	s_or_b32 exec_lo, exec_lo, s3
                                        ; implicit-def: $vgpr53
                                        ; implicit-def: $vgpr46_vgpr47
                                        ; implicit-def: $vgpr48_vgpr49
	s_and_saveexec_b32 s3, s2
	s_delay_alu instid0(SALU_CYCLE_1)
	s_xor_b32 s2, exec_lo, s3
	s_cbranch_execz .LBB155_78
; %bb.77:                               ;   in Loop: Header=BB155_7 Depth=1
	v_cmp_le_f64_e64 vcc_lo, 0x7b000000, |v[12:13]|
	v_cndmask_b32_e32 v45, v52, v45, vcc_lo
	v_cndmask_b32_e32 v44, v12, v44, vcc_lo
	s_delay_alu instid0(VALU_DEP_1) | instskip(SKIP_1) | instid1(VALU_DEP_2)
	v_mul_f64_e32 v[46:47], v[42:43], v[44:45]
	v_mul_f64_e32 v[48:49], v[40:41], v[44:45]
	v_fma_f64 v[42:43], v[42:43], v[44:45], -v[46:47]
	s_delay_alu instid0(VALU_DEP_1) | instskip(NEXT) | instid1(VALU_DEP_1)
	v_add_f64_e32 v[50:51], v[48:49], v[42:43]
	v_add_f64_e64 v[52:53], v[50:51], -v[48:49]
	v_add_f64_e32 v[56:57], v[46:47], v[50:51]
	s_delay_alu instid0(VALU_DEP_2) | instskip(SKIP_1) | instid1(VALU_DEP_3)
	v_add_f64_e64 v[54:55], v[50:51], -v[52:53]
	v_add_f64_e64 v[42:43], v[42:43], -v[52:53]
	v_ldexp_f64 v[52:53], v[56:57], -2
	s_delay_alu instid0(VALU_DEP_1) | instskip(SKIP_1) | instid1(VALU_DEP_1)
	v_cmp_neq_f64_e64 vcc_lo, 0x7ff00000, |v[52:53]|
	v_add_f64_e64 v[46:47], v[56:57], -v[46:47]
	v_add_f64_e64 v[46:47], v[50:51], -v[46:47]
	v_mul_f64_e32 v[58:59], v[38:39], v[44:45]
	v_fma_f64 v[40:41], v[40:41], v[44:45], -v[48:49]
	v_add_f64_e64 v[48:49], v[48:49], -v[54:55]
	s_delay_alu instid0(VALU_DEP_3) | instskip(NEXT) | instid1(VALU_DEP_3)
	v_fma_f64 v[38:39], v[38:39], v[44:45], -v[58:59]
	v_add_f64_e32 v[54:55], v[58:59], v[40:41]
	s_delay_alu instid0(VALU_DEP_3) | instskip(SKIP_1) | instid1(VALU_DEP_2)
	v_add_f64_e32 v[42:43], v[42:43], v[48:49]
	v_fract_f64_e32 v[48:49], v[52:53]
	v_add_f64_e32 v[50:51], v[54:55], v[42:43]
	s_delay_alu instid0(VALU_DEP_2) | instskip(NEXT) | instid1(VALU_DEP_1)
	v_ldexp_f64 v[48:49], v[48:49], 2
	v_dual_add_f64 v[52:53], v[46:47], v[50:51] :: v_dual_cndmask_b32 v49, 0, v49, vcc_lo
	s_delay_alu instid0(VALU_DEP_2) | instskip(NEXT) | instid1(VALU_DEP_1)
	v_dual_add_f64 v[60:61], v[50:51], -v[54:55] :: v_dual_cndmask_b32 v48, 0, v48, vcc_lo
	v_add_f64_e32 v[56:57], v[52:53], v[48:49]
	v_add_f64_e64 v[44:45], v[52:53], -v[46:47]
	s_delay_alu instid0(VALU_DEP_3) | instskip(SKIP_1) | instid1(VALU_DEP_4)
	v_add_f64_e64 v[66:67], v[50:51], -v[60:61]
	v_add_f64_e64 v[42:43], v[42:43], -v[60:61]
	v_cmp_gt_f64_e32 vcc_lo, 0, v[56:57]
	v_add_f64_e64 v[56:57], v[54:55], -v[58:59]
	v_add_f64_e64 v[44:45], v[50:51], -v[44:45]
                                        ; implicit-def: $vgpr50_vgpr51
	v_cndmask_b32_e64 v21, 0, 0x40100000, vcc_lo
	s_delay_alu instid0(VALU_DEP_3) | instskip(SKIP_2) | instid1(VALU_DEP_4)
	v_add_f64_e64 v[64:65], v[54:55], -v[56:57]
	v_add_f64_e64 v[40:41], v[40:41], -v[56:57]
	;; [unrolled: 1-line block ×3, first 2 shown]
	v_add_f64_e32 v[48:49], v[48:49], v[20:21]
	s_delay_alu instid0(VALU_DEP_4) | instskip(NEXT) | instid1(VALU_DEP_3)
	v_add_f64_e64 v[56:57], v[58:59], -v[64:65]
	v_add_f64_e32 v[42:43], v[42:43], v[54:55]
	s_delay_alu instid0(VALU_DEP_3) | instskip(NEXT) | instid1(VALU_DEP_3)
	v_add_f64_e32 v[62:63], v[52:53], v[48:49]
	v_add_f64_e32 v[40:41], v[40:41], v[56:57]
	s_delay_alu instid0(VALU_DEP_2) | instskip(NEXT) | instid1(VALU_DEP_2)
	v_cvt_i32_f64_e32 v21, v[62:63]
	v_add_f64_e32 v[40:41], v[40:41], v[42:43]
	s_delay_alu instid0(VALU_DEP_2) | instskip(NEXT) | instid1(VALU_DEP_2)
	v_cvt_f64_i32_e32 v[60:61], v21
	v_add_f64_e32 v[38:39], v[38:39], v[40:41]
	s_delay_alu instid0(VALU_DEP_2) | instskip(NEXT) | instid1(VALU_DEP_2)
	v_add_f64_e64 v[48:49], v[48:49], -v[60:61]
	v_add_f64_e32 v[38:39], v[44:45], v[38:39]
	s_delay_alu instid0(VALU_DEP_2) | instskip(NEXT) | instid1(VALU_DEP_1)
	v_add_f64_e32 v[42:43], v[52:53], v[48:49]
	v_add_f64_e64 v[40:41], v[42:43], -v[48:49]
	v_cmp_le_f64_e32 vcc_lo, 0.5, v[42:43]
	s_delay_alu instid0(VALU_DEP_2) | instskip(SKIP_2) | instid1(VALU_DEP_3)
	v_add_f64_e64 v[40:41], v[52:53], -v[40:41]
	v_add_co_ci_u32_e64 v53, null, 0, v21, vcc_lo
	v_cndmask_b32_e64 v21, 0, 0x3ff00000, vcc_lo
	v_add_f64_e32 v[38:39], v[38:39], v[40:41]
	s_delay_alu instid0(VALU_DEP_2) | instskip(NEXT) | instid1(VALU_DEP_1)
	v_add_f64_e64 v[40:41], v[42:43], -v[20:21]
	v_add_f64_e32 v[42:43], v[40:41], v[38:39]
	s_delay_alu instid0(VALU_DEP_1) | instskip(SKIP_1) | instid1(VALU_DEP_2)
	v_mul_f64_e32 v[44:45], 0x3ff921fb54442d18, v[42:43]
	v_add_f64_e64 v[40:41], v[42:43], -v[40:41]
	v_fma_f64 v[48:49], v[42:43], s[12:13], -v[44:45]
	s_delay_alu instid0(VALU_DEP_2) | instskip(NEXT) | instid1(VALU_DEP_2)
	v_add_f64_e64 v[38:39], v[38:39], -v[40:41]
	v_fmac_f64_e32 v[48:49], 0x3c91a62633145c07, v[42:43]
	s_delay_alu instid0(VALU_DEP_1) | instskip(NEXT) | instid1(VALU_DEP_1)
	v_fmac_f64_e32 v[48:49], 0x3ff921fb54442d18, v[38:39]
	v_add_f64_e32 v[46:47], v[44:45], v[48:49]
	s_delay_alu instid0(VALU_DEP_1) | instskip(NEXT) | instid1(VALU_DEP_1)
	v_add_f64_e64 v[38:39], v[46:47], -v[44:45]
	v_add_f64_e64 v[48:49], v[48:49], -v[38:39]
	s_and_not1_saveexec_b32 s2, s2
	s_cbranch_execnz .LBB155_79
	s_branch .LBB155_80
.LBB155_78:                             ;   in Loop: Header=BB155_7 Depth=1
	s_and_not1_saveexec_b32 s2, s2
	s_cbranch_execz .LBB155_80
.LBB155_79:                             ;   in Loop: Header=BB155_7 Depth=1
	s_delay_alu instid0(VALU_DEP_1) | instskip(SKIP_2) | instid1(VALU_DEP_2)
	v_fma_f64 v[38:39], v[50:51], s[16:17], |v[12:13]|
	v_mul_f64_e32 v[40:41], 0xbc91a62633145c00, v[50:51]
	v_cvt_i32_f64_e32 v53, v[50:51]
	v_add_f64_e32 v[42:43], v[38:39], v[40:41]
	s_delay_alu instid0(VALU_DEP_1) | instskip(SKIP_1) | instid1(VALU_DEP_1)
	v_add_f64_e64 v[44:45], v[38:39], -v[42:43]
	v_fmamk_f64 v[38:39], v[50:51], 0xbc91a62633145c00, v[38:39]
	v_add_f64_e64 v[42:43], v[42:43], -v[38:39]
	s_delay_alu instid0(VALU_DEP_3) | instskip(SKIP_1) | instid1(VALU_DEP_2)
	v_add_f64_e32 v[44:45], v[44:45], v[40:41]
	v_fmamk_f64 v[40:41], v[50:51], 0x3c91a62633145c00, v[40:41]
	v_add_f64_e32 v[42:43], v[42:43], v[44:45]
	s_delay_alu instid0(VALU_DEP_1) | instskip(NEXT) | instid1(VALU_DEP_1)
	v_add_f64_e64 v[40:41], v[42:43], -v[40:41]
	v_fmac_f64_e32 v[40:41], 0xb97b839a252049c0, v[50:51]
	s_delay_alu instid0(VALU_DEP_1) | instskip(NEXT) | instid1(VALU_DEP_1)
	v_add_f64_e32 v[46:47], v[38:39], v[40:41]
	v_add_f64_e64 v[38:39], v[46:47], -v[38:39]
	s_delay_alu instid0(VALU_DEP_1)
	v_add_f64_e64 v[48:49], v[40:41], -v[38:39]
.LBB155_80:                             ;   in Loop: Header=BB155_7 Depth=1
	s_or_b32 exec_lo, exec_lo, s2
	v_dual_mul_f64 v[38:39], v[34:35], v[34:35] :: v_dual_bitop2_b32 v21, 1, v1 bitop3:0x40
	v_mul_f64_e32 v[40:41], v[46:47], v[46:47]
	v_cmp_class_f64_e64 s2, v[12:13], 0x1f8
	v_and_b32_e32 v12, 1, v53
	v_mul_f64_e32 v[64:65], 0.5, v[48:49]
	v_cmp_eq_u32_e32 vcc_lo, 0, v21
	v_mul_f64_e32 v[56:57], 0.5, v[36:37]
	v_lshlrev_b32_e32 v1, 30, v1
	v_cmp_eq_u32_e64 s3, 0, v12
	v_lshlrev_b32_e32 v12, 30, v53
	s_delay_alu instid0(VALU_DEP_3) | instskip(SKIP_4) | instid1(VALU_DEP_3)
	v_dual_mul_f64 v[42:43], 0.5, v[38:39] :: v_dual_bitop2_b32 v1, v1, v13 bitop3:0x14
	v_mul_f64_e64 v[58:59], v[34:35], -v[38:39]
	v_fmamk_f64 v[62:63], v[38:39], 0x3de5e0b2f9a43bb8, v[30:31]
	v_mul_f64_e64 v[66:67], v[46:47], -v[40:41]
	v_fmamk_f64 v[68:69], v[40:41], 0x3de5e0b2f9a43bb8, v[30:31]
	v_fmaak_f64 v[62:63], v[38:39], v[62:63], 0x3ec71de3796cde01
	s_delay_alu instid0(VALU_DEP_2) | instskip(NEXT) | instid1(VALU_DEP_2)
	v_fmaak_f64 v[68:69], v[40:41], v[68:69], 0x3ec71de3796cde01
	v_fmaak_f64 v[62:63], v[38:39], v[62:63], 0xbf2a01a019e83e5c
	s_delay_alu instid0(VALU_DEP_1) | instskip(SKIP_1) | instid1(VALU_DEP_2)
	v_fmaak_f64 v[62:63], v[38:39], v[62:63], 0x3f81111111110bb3
	v_add_f64_e64 v[50:51], -v[42:43], 1.0
	v_fmac_f64_e32 v[56:57], v[58:59], v[62:63]
	v_mul_f64_e32 v[62:63], v[38:39], v[38:39]
	s_delay_alu instid0(VALU_DEP_3) | instskip(NEXT) | instid1(VALU_DEP_3)
	v_add_f64_e64 v[60:61], -v[50:51], 1.0
	v_fma_f64 v[56:57], v[38:39], v[56:57], -v[36:37]
	s_delay_alu instid0(VALU_DEP_2) | instskip(SKIP_1) | instid1(VALU_DEP_3)
	v_add_f64_e64 v[42:43], v[60:61], -v[42:43]
	v_fmaak_f64 v[60:61], v[40:41], v[68:69], 0xbf2a01a019e83e5c
	v_fmac_f64_e32 v[56:57], 0xbfc5555555555555, v[58:59]
	v_mul_f64_e32 v[68:69], v[40:41], v[40:41]
	s_delay_alu instid0(VALU_DEP_3) | instskip(NEXT) | instid1(VALU_DEP_1)
	v_fmaak_f64 v[60:61], v[40:41], v[60:61], 0x3f81111111110bb3
	v_fmac_f64_e32 v[64:65], v[66:67], v[60:61]
	v_fmamk_f64 v[60:61], v[38:39], 0xbda907db46cc5e42, v[28:29]
	v_fma_f64 v[36:37], v[34:35], -v[36:37], v[42:43]
	s_delay_alu instid0(VALU_DEP_2) | instskip(SKIP_1) | instid1(VALU_DEP_2)
	v_fmaak_f64 v[42:43], v[38:39], v[60:61], 0xbe927e4fa17f65f6
	v_add_f64_e64 v[34:35], v[34:35], -v[56:57]
	v_fmaak_f64 v[42:43], v[38:39], v[42:43], 0x3efa01a019f4ec90
	s_delay_alu instid0(VALU_DEP_1) | instskip(SKIP_2) | instid1(VALU_DEP_3)
	v_fmaak_f64 v[42:43], v[38:39], v[42:43], 0xbf56c16c16c16967
	v_fma_f64 v[60:61], v[40:41], v[64:65], -v[48:49]
	v_fmamk_f64 v[64:65], v[40:41], 0xbda907db46cc5e42, v[28:29]
	v_fmaak_f64 v[38:39], v[38:39], v[42:43], 0x3fa5555555555555
	s_delay_alu instid0(VALU_DEP_2) | instskip(NEXT) | instid1(VALU_DEP_2)
	v_fmaak_f64 v[42:43], v[40:41], v[64:65], 0xbe927e4fa17f65f6
	v_fmac_f64_e32 v[36:37], v[62:63], v[38:39]
	s_delay_alu instid0(VALU_DEP_2) | instskip(NEXT) | instid1(VALU_DEP_1)
	v_fmaak_f64 v[38:39], v[40:41], v[42:43], 0x3efa01a019f4ec90
	v_fmaak_f64 v[38:39], v[40:41], v[38:39], 0xbf56c16c16c16967
	s_delay_alu instid0(VALU_DEP_1) | instskip(SKIP_2) | instid1(VALU_DEP_1)
	v_fmaak_f64 v[38:39], v[40:41], v[38:39], 0x3fa5555555555555
	v_fmac_f64_e32 v[60:61], 0xbfc5555555555555, v[66:67]
	v_add_f64_e32 v[36:37], v[50:51], v[36:37]
	v_dual_mul_f64 v[44:45], 0.5, v[40:41] :: v_dual_cndmask_b32 v21, v36, v34, vcc_lo
	s_delay_alu instid0(VALU_DEP_1) | instskip(NEXT) | instid1(VALU_DEP_3)
	v_add_f64_e64 v[54:55], -v[44:45], 1.0
	v_cndmask_b32_e32 v13, v37, v35, vcc_lo
	s_delay_alu instid0(VALU_DEP_1) | instskip(NEXT) | instid1(VALU_DEP_1)
	v_bitop3_b32 v1, v13, v1, 0x80000000 bitop3:0x78
	v_cndmask_b32_e64 v13, 0x7ff80000, v1, s2
	s_delay_alu instid0(VALU_DEP_4) | instskip(NEXT) | instid1(VALU_DEP_1)
	v_add_f64_e64 v[70:71], -v[54:55], 1.0
	v_add_f64_e64 v[44:45], v[70:71], -v[44:45]
	s_delay_alu instid0(VALU_DEP_1) | instskip(NEXT) | instid1(VALU_DEP_1)
	v_fma_f64 v[44:45], v[46:47], -v[48:49], v[44:45]
	v_fmac_f64_e32 v[44:45], v[68:69], v[38:39]
	v_add_f64_e64 v[38:39], v[46:47], -v[60:61]
	s_delay_alu instid0(VALU_DEP_2) | instskip(NEXT) | instid1(VALU_DEP_2)
	v_add_f64_e32 v[40:41], v[54:55], v[44:45]
	v_xor_b32_e32 v34, 0x80000000, v39
	s_delay_alu instid0(VALU_DEP_1) | instskip(NEXT) | instid1(VALU_DEP_3)
	v_cndmask_b32_e64 v34, v34, v41, s3
	v_cndmask_b32_e64 v35, v38, v40, s3
	s_delay_alu instid0(VALU_DEP_2) | instskip(NEXT) | instid1(VALU_DEP_2)
	v_bitop3_b32 v36, v34, v12, 0x80000000 bitop3:0x78
	v_dual_cndmask_b32 v12, 0, v21, s2 :: v_dual_cndmask_b32 v34, 0, v35, s2
	s_delay_alu instid0(VALU_DEP_2) | instskip(NEXT) | instid1(VALU_DEP_1)
	v_cndmask_b32_e64 v35, 0x7ff80000, v36, s2
	v_mul_f64_e32 v[12:13], v[12:13], v[34:35]
.LBB155_81:                             ;   in Loop: Header=BB155_7 Depth=1
	s_or_b32 exec_lo, exec_lo, s36
	s_delay_alu instid0(VALU_DEP_1) | instskip(SKIP_1) | instid1(VALU_DEP_2)
	v_bfi_b32 v21, 0x7fffffff, 0, v13
	v_add_nc_u32_e32 v11, -2.0, v11
	v_mov_b64_e32 v[12:13], v[20:21]
.LBB155_82:                             ;   in Loop: Header=BB155_7 Depth=1
	s_or_b32 exec_lo, exec_lo, s35
.LBB155_83:                             ;   in Loop: Header=BB155_7 Depth=1
	s_delay_alu instid0(SALU_CYCLE_1) | instskip(SKIP_3) | instid1(VALU_DEP_1)
	s_or_b32 exec_lo, exec_lo, s34
	s_wait_loadcnt 0x0
	v_and_b32_e32 v1, 0x7fffffff, v7
	s_mov_b32 s2, exec_lo
	v_cmpx_gt_u32_e32 0x7ff00000, v1
	s_xor_b32 s3, exec_lo, s2
	s_cbranch_execz .LBB155_105
; %bb.84:                               ;   in Loop: Header=BB155_7 Depth=1
	v_cmp_class_f64_e64 s2, v[8:9], 0x1f8
	s_and_saveexec_b32 s34, s2
	s_delay_alu instid0(SALU_CYCLE_1)
	s_xor_b32 s34, exec_lo, s34
	s_cbranch_execz .LBB155_102
; %bb.85:                               ;   in Loop: Header=BB155_7 Depth=1
	s_mov_b32 s2, exec_lo
	v_cmpx_gt_u32_e32 0x40360000, v1
	s_xor_b32 s35, exec_lo, s2
	s_cbranch_execz .LBB155_91
; %bb.86:                               ;   in Loop: Header=BB155_7 Depth=1
	v_cmp_ngt_f64_e64 s2, 0x41d00000, |v[8:9]|
                                        ; implicit-def: $vgpr1
                                        ; implicit-def: $vgpr34_vgpr35
                                        ; implicit-def: $vgpr36_vgpr37
	s_and_saveexec_b32 s36, s2
	s_delay_alu instid0(SALU_CYCLE_1)
	s_xor_b32 s2, exec_lo, s36
	s_cbranch_execz .LBB155_88
; %bb.87:                               ;   in Loop: Header=BB155_7 Depth=1
	v_ldexp_f64 v[34:35], |v[8:9]|, 0xffffff80
	v_cmp_le_f64_e64 vcc_lo, 0x7b000000, |v[8:9]|
	v_trig_preop_f64 v[36:37], |v[8:9]|, 0
	v_and_b32_e32 v1, 0x7fffffff, v9
	v_trig_preop_f64 v[38:39], |v[8:9]|, 1
	v_trig_preop_f64 v[48:49], |v[8:9]|, 2
	s_delay_alu instid0(VALU_DEP_3) | instskip(NEXT) | instid1(VALU_DEP_1)
	v_dual_cndmask_b32 v35, v1, v35 :: v_dual_cndmask_b32 v34, v8, v34
	v_mul_f64_e32 v[40:41], v[36:37], v[34:35]
	s_delay_alu instid0(VALU_DEP_4) | instskip(NEXT) | instid1(VALU_DEP_4)
	v_mul_f64_e32 v[42:43], v[38:39], v[34:35]
	v_mul_f64_e32 v[54:55], v[48:49], v[34:35]
	s_delay_alu instid0(VALU_DEP_3) | instskip(NEXT) | instid1(VALU_DEP_3)
	v_fma_f64 v[36:37], v[36:37], v[34:35], -v[40:41]
	v_fma_f64 v[38:39], v[38:39], v[34:35], -v[42:43]
	s_delay_alu instid0(VALU_DEP_3) | instskip(NEXT) | instid1(VALU_DEP_3)
	v_fma_f64 v[34:35], v[48:49], v[34:35], -v[54:55]
	v_add_f64_e32 v[44:45], v[42:43], v[36:37]
	s_delay_alu instid0(VALU_DEP_1) | instskip(SKIP_1) | instid1(VALU_DEP_2)
	v_add_f64_e64 v[46:47], v[44:45], -v[42:43]
	v_add_f64_e32 v[52:53], v[40:41], v[44:45]
	v_add_f64_e64 v[50:51], v[44:45], -v[46:47]
	v_add_f64_e64 v[36:37], v[36:37], -v[46:47]
	s_delay_alu instid0(VALU_DEP_3) | instskip(NEXT) | instid1(VALU_DEP_3)
	v_ldexp_f64 v[46:47], v[52:53], -2
	v_add_f64_e64 v[42:43], v[42:43], -v[50:51]
	v_add_f64_e32 v[50:51], v[54:55], v[38:39]
	s_delay_alu instid0(VALU_DEP_3) | instskip(NEXT) | instid1(VALU_DEP_3)
	v_cmp_neq_f64_e64 vcc_lo, 0x7ff00000, |v[46:47]|
	v_add_f64_e32 v[36:37], v[36:37], v[42:43]
	v_fract_f64_e32 v[42:43], v[46:47]
	s_delay_alu instid0(VALU_DEP_1) | instskip(NEXT) | instid1(VALU_DEP_1)
	v_ldexp_f64 v[42:43], v[42:43], 2
	v_dual_add_f64 v[40:41], v[52:53], -v[40:41] :: v_dual_cndmask_b32 v42, 0, v42, vcc_lo
	s_delay_alu instid0(VALU_DEP_1) | instskip(SKIP_1) | instid1(VALU_DEP_1)
	v_dual_add_f64 v[40:41], v[44:45], -v[40:41] :: v_dual_cndmask_b32 v43, 0, v43, vcc_lo
	v_add_f64_e32 v[44:45], v[50:51], v[36:37]
	v_add_f64_e32 v[46:47], v[40:41], v[44:45]
	v_add_f64_e64 v[56:57], v[44:45], -v[50:51]
	s_delay_alu instid0(VALU_DEP_2) | instskip(NEXT) | instid1(VALU_DEP_2)
	v_add_f64_e32 v[52:53], v[46:47], v[42:43]
	v_add_f64_e64 v[62:63], v[44:45], -v[56:57]
	v_add_f64_e64 v[36:37], v[36:37], -v[56:57]
	;; [unrolled: 1-line block ×3, first 2 shown]
	s_delay_alu instid0(VALU_DEP_4) | instskip(SKIP_1) | instid1(VALU_DEP_3)
	v_cmp_gt_f64_e32 vcc_lo, 0, v[52:53]
	v_add_f64_e64 v[52:53], v[50:51], -v[54:55]
	v_add_f64_e64 v[40:41], v[44:45], -v[40:41]
	v_cndmask_b32_e64 v21, 0, 0x40100000, vcc_lo
	s_delay_alu instid0(VALU_DEP_3) | instskip(SKIP_2) | instid1(VALU_DEP_4)
	v_add_f64_e64 v[60:61], v[50:51], -v[52:53]
	v_add_f64_e64 v[38:39], v[38:39], -v[52:53]
	;; [unrolled: 1-line block ×3, first 2 shown]
	v_add_f64_e32 v[42:43], v[42:43], v[20:21]
	s_delay_alu instid0(VALU_DEP_4) | instskip(NEXT) | instid1(VALU_DEP_3)
	v_add_f64_e64 v[52:53], v[54:55], -v[60:61]
	v_add_f64_e32 v[36:37], v[36:37], v[50:51]
	s_delay_alu instid0(VALU_DEP_3) | instskip(NEXT) | instid1(VALU_DEP_3)
	v_add_f64_e32 v[58:59], v[46:47], v[42:43]
	v_add_f64_e32 v[38:39], v[38:39], v[52:53]
	s_delay_alu instid0(VALU_DEP_2) | instskip(NEXT) | instid1(VALU_DEP_2)
	v_cvt_i32_f64_e32 v1, v[58:59]
	v_add_f64_e32 v[36:37], v[38:39], v[36:37]
	s_delay_alu instid0(VALU_DEP_2) | instskip(NEXT) | instid1(VALU_DEP_2)
	v_cvt_f64_i32_e32 v[56:57], v1
	v_add_f64_e32 v[34:35], v[34:35], v[36:37]
	s_delay_alu instid0(VALU_DEP_2) | instskip(NEXT) | instid1(VALU_DEP_2)
	v_add_f64_e64 v[42:43], v[42:43], -v[56:57]
	v_add_f64_e32 v[34:35], v[40:41], v[34:35]
	s_delay_alu instid0(VALU_DEP_2) | instskip(NEXT) | instid1(VALU_DEP_1)
	v_add_f64_e32 v[38:39], v[46:47], v[42:43]
	v_add_f64_e64 v[36:37], v[38:39], -v[42:43]
	v_cmp_le_f64_e32 vcc_lo, 0.5, v[38:39]
	s_delay_alu instid0(VALU_DEP_2) | instskip(SKIP_2) | instid1(VALU_DEP_3)
	v_add_f64_e64 v[36:37], v[46:47], -v[36:37]
	v_cndmask_b32_e64 v21, 0, 0x3ff00000, vcc_lo
	v_add_co_ci_u32_e64 v1, null, 0, v1, vcc_lo
	v_add_f64_e32 v[34:35], v[34:35], v[36:37]
	s_delay_alu instid0(VALU_DEP_3) | instskip(NEXT) | instid1(VALU_DEP_1)
	v_add_f64_e64 v[36:37], v[38:39], -v[20:21]
	v_add_f64_e32 v[38:39], v[36:37], v[34:35]
	s_delay_alu instid0(VALU_DEP_1) | instskip(SKIP_1) | instid1(VALU_DEP_2)
	v_mul_f64_e32 v[40:41], 0x3ff921fb54442d18, v[38:39]
	v_add_f64_e64 v[36:37], v[38:39], -v[36:37]
	v_fma_f64 v[42:43], v[38:39], s[12:13], -v[40:41]
	s_delay_alu instid0(VALU_DEP_2) | instskip(NEXT) | instid1(VALU_DEP_2)
	v_add_f64_e64 v[34:35], v[34:35], -v[36:37]
	v_fmac_f64_e32 v[42:43], 0x3c91a62633145c07, v[38:39]
	s_delay_alu instid0(VALU_DEP_1) | instskip(NEXT) | instid1(VALU_DEP_1)
	v_fmac_f64_e32 v[42:43], 0x3ff921fb54442d18, v[34:35]
	v_add_f64_e32 v[34:35], v[40:41], v[42:43]
	s_delay_alu instid0(VALU_DEP_1) | instskip(NEXT) | instid1(VALU_DEP_1)
	v_add_f64_e64 v[36:37], v[34:35], -v[40:41]
	v_add_f64_e64 v[36:37], v[42:43], -v[36:37]
.LBB155_88:                             ;   in Loop: Header=BB155_7 Depth=1
	s_and_not1_saveexec_b32 s2, s2
	s_cbranch_execz .LBB155_90
; %bb.89:                               ;   in Loop: Header=BB155_7 Depth=1
	v_mul_f64_e64 v[34:35], |v[8:9]|, s[14:15]
	s_delay_alu instid0(VALU_DEP_1) | instskip(NEXT) | instid1(VALU_DEP_1)
	v_rndne_f64_e32 v[38:39], v[34:35]
	v_fma_f64 v[34:35], v[38:39], s[16:17], |v[8:9]|
	v_mul_f64_e32 v[36:37], 0xbc91a62633145c00, v[38:39]
	v_cvt_i32_f64_e32 v1, v[38:39]
	s_delay_alu instid0(VALU_DEP_3) | instskip(NEXT) | instid1(VALU_DEP_3)
	v_fmamk_f64 v[44:45], v[38:39], 0xbc91a62633145c00, v[34:35]
	v_add_f64_e32 v[40:41], v[34:35], v[36:37]
	s_delay_alu instid0(VALU_DEP_1) | instskip(NEXT) | instid1(VALU_DEP_3)
	v_add_f64_e64 v[42:43], v[34:35], -v[40:41]
	v_add_f64_e64 v[34:35], v[40:41], -v[44:45]
	s_delay_alu instid0(VALU_DEP_2) | instskip(SKIP_1) | instid1(VALU_DEP_2)
	v_add_f64_e32 v[40:41], v[42:43], v[36:37]
	v_fmamk_f64 v[36:37], v[38:39], 0x3c91a62633145c00, v[36:37]
	v_add_f64_e32 v[34:35], v[34:35], v[40:41]
	s_delay_alu instid0(VALU_DEP_1) | instskip(NEXT) | instid1(VALU_DEP_1)
	v_add_f64_e64 v[36:37], v[34:35], -v[36:37]
	v_fmac_f64_e32 v[36:37], 0xb97b839a252049c0, v[38:39]
	s_delay_alu instid0(VALU_DEP_1) | instskip(NEXT) | instid1(VALU_DEP_1)
	v_add_f64_e32 v[34:35], v[44:45], v[36:37]
	v_add_f64_e64 v[40:41], v[34:35], -v[44:45]
	s_delay_alu instid0(VALU_DEP_1)
	v_add_f64_e64 v[36:37], v[36:37], -v[40:41]
.LBB155_90:                             ;   in Loop: Header=BB155_7 Depth=1
	s_or_b32 exec_lo, exec_lo, s2
	v_add_f64_e64 v[38:39], |v[6:7]|, s[18:19]
	v_cmp_nge_f64_e64 vcc_lo, |v[6:7]|, s[20:21]
	v_dual_mul_f64 v[56:57], v[34:35], v[34:35] :: v_dual_bitop2_b32 v1, 1, v1 bitop3:0x40
	s_delay_alu instid0(VALU_DEP_4) | instskip(NEXT) | instid1(VALU_DEP_2)
	v_add_f64_e32 v[58:59], v[36:37], v[36:37]
	v_cmp_eq_u32_e64 s2, 0, v1
	v_add_f64_e64 v[40:41], v[38:39], -|v[6:7]|
	s_delay_alu instid0(VALU_DEP_4) | instskip(NEXT) | instid1(VALU_DEP_2)
	v_fma_f64 v[60:61], v[34:35], v[34:35], -v[56:57]
	v_add_f64_e64 v[42:43], v[40:41], -v[38:39]
	v_add_f64_e32 v[40:41], 0x3fe62e42fefa39ef, v[40:41]
	s_delay_alu instid0(VALU_DEP_3) | instskip(NEXT) | instid1(VALU_DEP_3)
	v_fmac_f64_e32 v[60:61], v[34:35], v[58:59]
	v_add_f64_e64 v[42:43], |v[6:7]|, v[42:43]
	s_delay_alu instid0(VALU_DEP_2) | instskip(NEXT) | instid1(VALU_DEP_2)
	v_add_f64_e32 v[56:57], v[56:57], v[60:61]
	v_add_f64_e64 v[40:41], v[42:43], -v[40:41]
	s_delay_alu instid0(VALU_DEP_2) | instskip(NEXT) | instid1(VALU_DEP_1)
	v_fmamk_f64 v[60:61], v[56:57], 0x3ef5e089c751c08c, v[24:25]
	v_fmaak_f64 v[60:61], v[56:57], v[60:61], 0x3f17746f90a8aae0
	s_delay_alu instid0(VALU_DEP_1) | instskip(NEXT) | instid1(VALU_DEP_4)
	v_fmaak_f64 v[60:61], v[56:57], v[60:61], 0xbefbb44da6fbf144
	v_add_f64_e32 v[40:41], 0xbc7abc9e3b39803f, v[40:41]
	s_delay_alu instid0(VALU_DEP_1) | instskip(NEXT) | instid1(VALU_DEP_1)
	v_add_f64_e32 v[42:43], v[38:39], v[40:41]
	v_mul_f64_e32 v[44:45], 0x3ff71547652b82fe, v[42:43]
	v_add_f64_e64 v[38:39], v[38:39], -v[42:43]
	s_delay_alu instid0(VALU_DEP_2) | instskip(NEXT) | instid1(VALU_DEP_2)
	v_rndne_f64_e32 v[44:45], v[44:45]
	v_add_f64_e32 v[38:39], v[40:41], v[38:39]
	s_delay_alu instid0(VALU_DEP_2) | instskip(SKIP_2) | instid1(VALU_DEP_3)
	v_fmac_f64_e32 v[42:43], 0xbfe62e42fefa3000, v[44:45]
	v_mul_f64_e32 v[40:41], 0xbd53de6af278e000, v[44:45]
	v_cvt_i32_f64_e32 v8, v[44:45]
	v_add_f64_e32 v[46:47], v[38:39], v[42:43]
	s_delay_alu instid0(VALU_DEP_1) | instskip(SKIP_1) | instid1(VALU_DEP_2)
	v_add_f64_e32 v[48:49], v[46:47], v[40:41]
	v_add_f64_e64 v[42:43], v[42:43], -v[46:47]
	v_add_f64_e64 v[46:47], v[46:47], -v[48:49]
	s_delay_alu instid0(VALU_DEP_2) | instskip(NEXT) | instid1(VALU_DEP_2)
	v_add_f64_e32 v[38:39], v[38:39], v[42:43]
	v_add_f64_e32 v[40:41], v[46:47], v[40:41]
	s_delay_alu instid0(VALU_DEP_1) | instskip(SKIP_1) | instid1(VALU_DEP_2)
	v_add_f64_e32 v[38:39], v[38:39], v[40:41]
	v_mul_f64_e32 v[40:41], 0xbac9cc01f97b57a0, v[44:45]
	v_add_f64_e32 v[42:43], v[48:49], v[38:39]
	s_delay_alu instid0(VALU_DEP_1) | instskip(SKIP_1) | instid1(VALU_DEP_2)
	v_add_f64_e32 v[46:47], v[42:43], v[40:41]
	v_add_f64_e64 v[48:49], v[48:49], -v[42:43]
	v_add_f64_e64 v[42:43], v[42:43], -v[46:47]
	s_delay_alu instid0(VALU_DEP_2) | instskip(NEXT) | instid1(VALU_DEP_2)
	v_add_f64_e32 v[38:39], v[38:39], v[48:49]
	v_add_f64_e32 v[40:41], v[42:43], v[40:41]
	s_delay_alu instid0(VALU_DEP_1) | instskip(NEXT) | instid1(VALU_DEP_1)
	v_add_f64_e32 v[38:39], v[38:39], v[40:41]
	v_add_f64_e32 v[40:41], v[46:47], v[38:39]
	s_delay_alu instid0(VALU_DEP_1) | instskip(SKIP_1) | instid1(VALU_DEP_2)
	v_add_f64_e64 v[42:43], v[46:47], -v[40:41]
	v_mul_f64_e32 v[46:47], v[40:41], v[40:41]
	v_add_f64_e32 v[38:39], v[38:39], v[42:43]
	s_delay_alu instid0(VALU_DEP_2) | instskip(NEXT) | instid1(VALU_DEP_2)
	v_fma_f64 v[42:43], v[40:41], v[40:41], -v[46:47]
	v_add_f64_e32 v[48:49], v[38:39], v[38:39]
	s_delay_alu instid0(VALU_DEP_1) | instskip(SKIP_1) | instid1(VALU_DEP_1)
	v_fmac_f64_e32 v[42:43], v[40:41], v[48:49]
	v_fmamk_f64 v[48:49], v[40:41], 0x3e5ade156a5dcb37, v[26:27]
	v_fmaak_f64 v[48:49], v[40:41], v[48:49], 0x3ec71dee623fde64
	s_delay_alu instid0(VALU_DEP_1) | instskip(NEXT) | instid1(VALU_DEP_1)
	v_fmaak_f64 v[48:49], v[40:41], v[48:49], 0x3efa01997c89e6b0
	v_fmaak_f64 v[48:49], v[40:41], v[48:49], 0x3f2a01a014761f6e
	s_delay_alu instid0(VALU_DEP_1) | instskip(SKIP_1) | instid1(VALU_DEP_2)
	v_fmaak_f64 v[48:49], v[40:41], v[48:49], 0x3f56c16c1852b7b0
	v_add_f64_e32 v[50:51], v[46:47], v[42:43]
	v_fmaak_f64 v[48:49], v[40:41], v[48:49], 0x3f81111111122322
	s_delay_alu instid0(VALU_DEP_1) | instskip(NEXT) | instid1(VALU_DEP_1)
	v_fmaak_f64 v[48:49], v[40:41], v[48:49], 0x3fa55555555502a1
	v_fmaak_f64 v[48:49], v[40:41], v[48:49], 0x3fc5555555555511
	s_delay_alu instid0(VALU_DEP_1) | instskip(SKIP_1) | instid1(VALU_DEP_2)
	v_fmaak_f64 v[48:49], v[40:41], v[48:49], 0x3fe000000000000b
	v_add_f64_e64 v[46:47], v[50:51], -v[46:47]
	v_mul_f64_e32 v[52:53], v[50:51], v[48:49]
	s_delay_alu instid0(VALU_DEP_2) | instskip(NEXT) | instid1(VALU_DEP_2)
	v_add_f64_e64 v[42:43], v[42:43], -v[46:47]
	v_fma_f64 v[46:47], v[50:51], v[48:49], -v[52:53]
	s_delay_alu instid0(VALU_DEP_1) | instskip(NEXT) | instid1(VALU_DEP_1)
	v_fmac_f64_e32 v[46:47], v[42:43], v[48:49]
	v_add_f64_e32 v[42:43], v[52:53], v[46:47]
	s_delay_alu instid0(VALU_DEP_1) | instskip(SKIP_1) | instid1(VALU_DEP_2)
	v_add_f64_e32 v[48:49], v[40:41], v[42:43]
	v_add_f64_e64 v[50:51], v[42:43], -v[52:53]
	v_add_f64_e64 v[40:41], v[48:49], -v[40:41]
	s_delay_alu instid0(VALU_DEP_2) | instskip(NEXT) | instid1(VALU_DEP_2)
	v_add_f64_e64 v[46:47], v[46:47], -v[50:51]
	v_add_f64_e64 v[40:41], v[42:43], -v[40:41]
	s_delay_alu instid0(VALU_DEP_2) | instskip(NEXT) | instid1(VALU_DEP_1)
	v_add_f64_e32 v[38:39], v[38:39], v[46:47]
	v_add_f64_e32 v[38:39], v[38:39], v[40:41]
	s_delay_alu instid0(VALU_DEP_1) | instskip(NEXT) | instid1(VALU_DEP_1)
	v_add_f64_e32 v[40:41], v[48:49], v[38:39]
	v_add_f64_e32 v[42:43], 1.0, v[40:41]
	v_add_f64_e64 v[46:47], v[40:41], -v[48:49]
	s_delay_alu instid0(VALU_DEP_2) | instskip(NEXT) | instid1(VALU_DEP_2)
	v_add_f64_e32 v[48:49], -1.0, v[42:43]
	v_add_f64_e64 v[38:39], v[38:39], -v[46:47]
	s_delay_alu instid0(VALU_DEP_2) | instskip(NEXT) | instid1(VALU_DEP_1)
	v_add_f64_e64 v[40:41], v[40:41], -v[48:49]
	v_add_f64_e32 v[38:39], v[38:39], v[40:41]
	s_delay_alu instid0(VALU_DEP_1) | instskip(NEXT) | instid1(VALU_DEP_1)
	v_add_f64_e32 v[40:41], v[42:43], v[38:39]
	v_ldexp_f64 v[44:45], v[40:41], v8
	v_add_f64_e64 v[40:41], v[40:41], -v[42:43]
	s_delay_alu instid0(VALU_DEP_2) | instskip(NEXT) | instid1(VALU_DEP_1)
	v_rcp_f64_e32 v[46:47], v[44:45]
	v_add_f64_e64 v[38:39], v[38:39], -v[40:41]
	s_delay_alu instid0(VALU_DEP_1) | instskip(NEXT) | instid1(TRANS32_DEP_1)
	v_ldexp_f64 v[38:39], v[38:39], v8
	v_fma_f64 v[48:49], -v[44:45], v[46:47], 1.0
	s_delay_alu instid0(VALU_DEP_1) | instskip(NEXT) | instid1(VALU_DEP_1)
	v_fmac_f64_e32 v[46:47], v[48:49], v[46:47]
	v_fma_f64 v[48:49], -v[44:45], v[46:47], 1.0
	s_delay_alu instid0(VALU_DEP_1) | instskip(NEXT) | instid1(VALU_DEP_1)
	v_fmac_f64_e32 v[46:47], v[48:49], v[46:47]
	v_mul_f64_e32 v[40:41], v[44:45], v[46:47]
	s_delay_alu instid0(VALU_DEP_1) | instskip(NEXT) | instid1(VALU_DEP_1)
	v_fma_f64 v[42:43], v[46:47], v[44:45], -v[40:41]
	v_fmac_f64_e32 v[42:43], v[46:47], v[38:39]
	s_delay_alu instid0(VALU_DEP_1) | instskip(NEXT) | instid1(VALU_DEP_1)
	v_add_f64_e32 v[48:49], v[40:41], v[42:43]
	v_add_f64_e64 v[50:51], -v[48:49], 1.0
	v_add_f64_e64 v[40:41], v[48:49], -v[40:41]
	s_delay_alu instid0(VALU_DEP_2) | instskip(NEXT) | instid1(VALU_DEP_2)
	v_add_f64_e64 v[52:53], -v[50:51], 1.0
	v_add_f64_e64 v[40:41], v[40:41], -v[42:43]
	s_delay_alu instid0(VALU_DEP_2) | instskip(NEXT) | instid1(VALU_DEP_1)
	v_add_f64_e64 v[42:43], v[52:53], -v[48:49]
	v_add_f64_e32 v[40:41], v[40:41], v[42:43]
	s_delay_alu instid0(VALU_DEP_1) | instskip(NEXT) | instid1(VALU_DEP_1)
	v_add_f64_e32 v[42:43], v[50:51], v[40:41]
	v_mul_f64_e32 v[48:49], v[46:47], v[42:43]
	v_add_f64_e64 v[50:51], v[50:51], -v[42:43]
	s_delay_alu instid0(VALU_DEP_2) | instskip(NEXT) | instid1(VALU_DEP_2)
	v_mul_f64_e32 v[52:53], v[44:45], v[48:49]
	v_add_f64_e32 v[40:41], v[40:41], v[50:51]
	s_delay_alu instid0(VALU_DEP_2) | instskip(NEXT) | instid1(VALU_DEP_1)
	v_fma_f64 v[54:55], v[48:49], v[44:45], -v[52:53]
	v_fmac_f64_e32 v[54:55], v[48:49], v[38:39]
	s_delay_alu instid0(VALU_DEP_1) | instskip(NEXT) | instid1(VALU_DEP_1)
	v_add_f64_e32 v[62:63], v[52:53], v[54:55]
	v_add_f64_e64 v[58:59], v[42:43], -v[62:63]
	v_add_f64_e64 v[50:51], v[62:63], -v[52:53]
	v_fmaak_f64 v[52:53], v[56:57], v[60:61], 0x3f21e634a7943acf
	s_delay_alu instid0(VALU_DEP_1) | instskip(NEXT) | instid1(VALU_DEP_1)
	v_fmaak_f64 v[52:53], v[56:57], v[52:53], 0x3f2d250fdeb68feb
	v_fmaak_f64 v[52:53], v[56:57], v[52:53], 0x3f437fd9b58c4d95
	s_delay_alu instid0(VALU_DEP_1) | instskip(NEXT) | instid1(VALU_DEP_1)
	v_fmaak_f64 v[52:53], v[56:57], v[52:53], 0x3f57d5af15120e2c
	v_fmaak_f64 v[52:53], v[56:57], v[52:53], 0x3f6d6d93e09491df
	v_add_f64_e64 v[42:43], v[42:43], -v[58:59]
	v_add_f64_e64 v[50:51], v[50:51], -v[54:55]
	s_delay_alu instid0(VALU_DEP_2) | instskip(NEXT) | instid1(VALU_DEP_1)
	v_add_f64_e64 v[42:43], v[42:43], -v[62:63]
	v_add_f64_e32 v[40:41], v[40:41], v[42:43]
	v_fmaak_f64 v[42:43], v[56:57], v[52:53], 0x3f8226e12033784d
	v_add_f64_e32 v[52:53], v[46:47], v[48:49]
	s_delay_alu instid0(VALU_DEP_2) | instskip(NEXT) | instid1(VALU_DEP_1)
	v_fmaak_f64 v[42:43], v[56:57], v[42:43], 0x3f9664f49ac36ae2
	v_fmaak_f64 v[42:43], v[56:57], v[42:43], 0x3faba1ba1b451c21
	s_delay_alu instid0(VALU_DEP_1) | instskip(NEXT) | instid1(VALU_DEP_1)
	v_fmaak_f64 v[42:43], v[56:57], v[42:43], 0x3fc11111111185b7
	v_fmaak_f64 v[42:43], v[56:57], v[42:43], 0x3fd55555555554ee
	v_add_f64_e32 v[40:41], v[50:51], v[40:41]
	v_add_f64_e64 v[50:51], v[52:53], -v[46:47]
	s_delay_alu instid0(VALU_DEP_3) | instskip(NEXT) | instid1(VALU_DEP_3)
	v_mul_f64_e32 v[42:43], v[56:57], v[42:43]
	v_add_f64_e32 v[40:41], v[58:59], v[40:41]
	s_delay_alu instid0(VALU_DEP_3) | instskip(NEXT) | instid1(VALU_DEP_3)
	v_add_f64_e64 v[48:49], v[48:49], -v[50:51]
	v_mul_f64_e32 v[54:55], v[34:35], v[42:43]
	s_delay_alu instid0(VALU_DEP_3) | instskip(NEXT) | instid1(VALU_DEP_2)
	v_mul_f64_e32 v[40:41], v[46:47], v[40:41]
	v_add_f64_e32 v[46:47], v[34:35], v[54:55]
	v_fma_f64 v[42:43], v[34:35], v[42:43], -v[54:55]
	s_delay_alu instid0(VALU_DEP_3) | instskip(NEXT) | instid1(VALU_DEP_3)
	v_add_f64_e32 v[40:41], v[48:49], v[40:41]
	v_add_f64_e64 v[34:35], v[46:47], -v[34:35]
	s_delay_alu instid0(VALU_DEP_3) | instskip(NEXT) | instid1(VALU_DEP_3)
	v_add_f64_e32 v[36:37], v[36:37], v[42:43]
	v_add_f64_e32 v[48:49], v[52:53], v[40:41]
	s_delay_alu instid0(VALU_DEP_3) | instskip(NEXT) | instid1(VALU_DEP_2)
	v_add_f64_e64 v[34:35], v[54:55], -v[34:35]
	v_ldexp_f64 v[42:43], v[48:49], -2
	v_add_f64_e64 v[48:49], v[48:49], -v[52:53]
	s_delay_alu instid0(VALU_DEP_3) | instskip(NEXT) | instid1(VALU_DEP_3)
	v_add_f64_e32 v[34:35], v[36:37], v[34:35]
	v_add_f64_e64 v[36:37], v[44:45], -v[42:43]
	s_delay_alu instid0(VALU_DEP_3) | instskip(NEXT) | instid1(VALU_DEP_3)
	v_add_f64_e64 v[40:41], v[40:41], -v[48:49]
	v_add_f64_e32 v[50:51], v[46:47], v[34:35]
	s_delay_alu instid0(VALU_DEP_3) | instskip(NEXT) | instid1(VALU_DEP_3)
	v_add_f64_e64 v[44:45], v[44:45], -v[36:37]
	v_ldexp_f64 v[40:41], v[40:41], -2
	s_delay_alu instid0(VALU_DEP_3) | instskip(NEXT) | instid1(VALU_DEP_2)
	v_rcp_f64_e32 v[52:53], v[50:51]
	v_add_f64_e64 v[42:43], v[44:45], -v[42:43]
	s_delay_alu instid0(TRANS32_DEP_1) | instskip(NEXT) | instid1(VALU_DEP_2)
	v_fma_f64 v[44:45], -v[50:51], v[52:53], 1.0
	v_add_f64_e32 v[38:39], v[38:39], v[42:43]
	s_delay_alu instid0(VALU_DEP_2) | instskip(NEXT) | instid1(VALU_DEP_2)
	v_fmac_f64_e32 v[52:53], v[44:45], v[52:53]
	v_add_f64_e64 v[38:39], v[38:39], -v[40:41]
	s_delay_alu instid0(VALU_DEP_2) | instskip(NEXT) | instid1(VALU_DEP_2)
	v_fma_f64 v[40:41], -v[50:51], v[52:53], 1.0
	v_add_f64_e32 v[36:37], v[36:37], v[38:39]
	s_delay_alu instid0(VALU_DEP_2) | instskip(SKIP_1) | instid1(VALU_DEP_3)
	v_fmac_f64_e32 v[52:53], v[40:41], v[52:53]
	v_and_b32_e32 v40, 0x7fffffff, v7
	v_cndmask_b32_e32 v8, 0x7ff00000, v37, vcc_lo
	s_delay_alu instid0(VALU_DEP_4) | instskip(SKIP_3) | instid1(VALU_DEP_3)
	v_cndmask_b32_e32 v21, 0, v36, vcc_lo
	v_cmp_gt_f64_e64 vcc_lo, 0x3e400000, |v[6:7]|
	v_add_f64_e64 v[36:37], v[50:51], -v[46:47]
	v_mul_f64_e32 v[38:39], v[50:51], v[52:53]
	v_dual_cndmask_b32 v8, v8, v40, vcc_lo :: v_dual_cndmask_b32 v6, v21, v6, vcc_lo
	s_delay_alu instid0(VALU_DEP_3) | instskip(NEXT) | instid1(VALU_DEP_2)
	v_add_f64_e64 v[34:35], v[34:35], -v[36:37]
	v_bfi_b32 v7, 0x7fffffff, v8, v7
	s_delay_alu instid0(VALU_DEP_4) | instskip(NEXT) | instid1(VALU_DEP_2)
	v_fma_f64 v[36:37], v[52:53], v[50:51], -v[38:39]
	v_fma_f64 v[40:41], v[6:7], v[6:7], 1.0
	s_delay_alu instid0(VALU_DEP_2) | instskip(NEXT) | instid1(VALU_DEP_2)
	v_fmac_f64_e32 v[36:37], v[52:53], v[34:35]
	v_cmp_gt_f64_e32 vcc_lo, 0x10000000, v[40:41]
	v_cndmask_b32_e64 v8, 0, 0x100, vcc_lo
	s_delay_alu instid0(VALU_DEP_1) | instskip(NEXT) | instid1(VALU_DEP_4)
	v_ldexp_f64 v[34:35], v[40:41], v8
	v_add_f64_e32 v[40:41], v[38:39], v[36:37]
	s_delay_alu instid0(VALU_DEP_2) | instskip(NEXT) | instid1(VALU_DEP_1)
	v_rsq_f64_e32 v[42:43], v[34:35]
	v_add_f64_e64 v[44:45], -v[40:41], 1.0
	v_add_f64_e64 v[38:39], v[40:41], -v[38:39]
	s_delay_alu instid0(VALU_DEP_2) | instskip(NEXT) | instid1(VALU_DEP_2)
	v_add_f64_e64 v[48:49], -v[44:45], 1.0
	v_add_f64_e64 v[36:37], v[38:39], -v[36:37]
	s_delay_alu instid0(TRANS32_DEP_1) | instskip(SKIP_1) | instid1(VALU_DEP_4)
	v_mul_f64_e32 v[46:47], v[34:35], v[42:43]
	v_mul_f64_e32 v[42:43], 0.5, v[42:43]
	v_add_f64_e64 v[38:39], v[48:49], -v[40:41]
	s_delay_alu instid0(VALU_DEP_2) | instskip(NEXT) | instid1(VALU_DEP_2)
	v_fma_f64 v[54:55], -v[42:43], v[46:47], 0.5
	v_add_f64_e32 v[36:37], v[36:37], v[38:39]
	s_delay_alu instid0(VALU_DEP_2) | instskip(SKIP_1) | instid1(VALU_DEP_3)
	v_fmac_f64_e32 v[46:47], v[46:47], v[54:55]
	v_fmac_f64_e32 v[42:43], v[42:43], v[54:55]
	v_add_f64_e32 v[36:37], v[44:45], v[36:37]
	s_delay_alu instid0(VALU_DEP_3) | instskip(NEXT) | instid1(VALU_DEP_2)
	v_fma_f64 v[38:39], -v[46:47], v[46:47], v[34:35]
	v_mul_f64_e32 v[36:37], v[52:53], v[36:37]
	s_delay_alu instid0(VALU_DEP_2) | instskip(NEXT) | instid1(VALU_DEP_2)
	v_fmac_f64_e32 v[46:47], v[38:39], v[42:43]
	v_add_f64_e32 v[36:37], v[52:53], v[36:37]
	s_delay_alu instid0(VALU_DEP_2) | instskip(NEXT) | instid1(VALU_DEP_2)
	v_fma_f64 v[38:39], -v[46:47], v[46:47], v[34:35]
	v_xor_b32_e32 v21, 0x80000000, v37
	s_delay_alu instid0(VALU_DEP_1) | instskip(NEXT) | instid1(VALU_DEP_3)
	v_dual_cndmask_b32 v8, v36, v50, s2 :: v_dual_cndmask_b32 v1, v21, v51, s2
	v_fmac_f64_e32 v[46:47], v[38:39], v[42:43]
	v_cndmask_b32_e64 v21, 0, 0xffffff80, vcc_lo
	v_cmp_class_f64_e64 vcc_lo, v[34:35], 0x260
	s_delay_alu instid0(VALU_DEP_4) | instskip(NEXT) | instid1(VALU_DEP_1)
	v_bitop3_b32 v9, v1, v9, 0x80000000 bitop3:0x78
	v_fma_f64 v[38:39], v[8:9], v[8:9], 1.0
	s_delay_alu instid0(VALU_DEP_4) | instskip(NEXT) | instid1(VALU_DEP_1)
	v_ldexp_f64 v[36:37], v[46:47], v21
	v_dual_cndmask_b32 v35, v37, v35 :: v_dual_cndmask_b32 v34, v36, v34
	s_delay_alu instid0(VALU_DEP_3) | instskip(NEXT) | instid1(VALU_DEP_2)
	v_mul_f64_e32 v[36:37], v[6:7], v[38:39]
	v_mul_f64_e32 v[34:35], v[34:35], v[38:39]
	s_delay_alu instid0(VALU_DEP_2) | instskip(NEXT) | instid1(VALU_DEP_2)
	v_fma_f64 v[36:37], v[6:7], v[36:37], 1.0
	v_mul_f64_e32 v[6:7], v[6:7], v[34:35]
	s_delay_alu instid0(VALU_DEP_2) | instskip(NEXT) | instid1(VALU_DEP_2)
	v_div_scale_f64 v[38:39], null, v[36:37], v[36:37], v[8:9]
	v_div_scale_f64 v[34:35], null, v[36:37], v[36:37], v[6:7]
	v_div_scale_f64 v[48:49], vcc_lo, v[6:7], v[36:37], v[6:7]
	s_delay_alu instid0(VALU_DEP_3) | instskip(NEXT) | instid1(VALU_DEP_2)
	v_rcp_f64_e32 v[42:43], v[38:39]
	v_rcp_f64_e32 v[40:41], v[34:35]
	s_delay_alu instid0(TRANS32_DEP_2) | instskip(NEXT) | instid1(TRANS32_DEP_1)
	v_fma_f64 v[46:47], -v[38:39], v[42:43], 1.0
	v_fma_f64 v[44:45], -v[34:35], v[40:41], 1.0
	s_delay_alu instid0(VALU_DEP_2) | instskip(NEXT) | instid1(VALU_DEP_2)
	v_fmac_f64_e32 v[42:43], v[42:43], v[46:47]
	v_fmac_f64_e32 v[40:41], v[40:41], v[44:45]
	s_delay_alu instid0(VALU_DEP_2) | instskip(NEXT) | instid1(VALU_DEP_2)
	v_fma_f64 v[46:47], -v[38:39], v[42:43], 1.0
	v_fma_f64 v[44:45], -v[34:35], v[40:41], 1.0
	s_delay_alu instid0(VALU_DEP_2) | instskip(NEXT) | instid1(VALU_DEP_2)
	v_fmac_f64_e32 v[42:43], v[42:43], v[46:47]
	v_fmac_f64_e32 v[40:41], v[40:41], v[44:45]
	v_div_scale_f64 v[44:45], s2, v[8:9], v[36:37], v[8:9]
	s_delay_alu instid0(VALU_DEP_2) | instskip(NEXT) | instid1(VALU_DEP_2)
	v_mul_f64_e32 v[46:47], v[48:49], v[40:41]
	v_mul_f64_e32 v[50:51], v[44:45], v[42:43]
	s_delay_alu instid0(VALU_DEP_2) | instskip(NEXT) | instid1(VALU_DEP_2)
	v_fma_f64 v[34:35], -v[34:35], v[46:47], v[48:49]
	v_fma_f64 v[38:39], -v[38:39], v[50:51], v[44:45]
	s_delay_alu instid0(VALU_DEP_2) | instskip(SKIP_1) | instid1(VALU_DEP_2)
	v_div_fmas_f64 v[34:35], v[34:35], v[40:41], v[46:47]
	s_mov_b32 vcc_lo, s2
	v_div_fmas_f64 v[38:39], v[38:39], v[42:43], v[50:51]
	s_delay_alu instid0(VALU_DEP_2) | instskip(NEXT) | instid1(VALU_DEP_2)
	v_div_fixup_f64 v[6:7], v[34:35], v[36:37], v[6:7]
	v_div_fixup_f64 v[8:9], v[38:39], v[36:37], v[8:9]
.LBB155_91:                             ;   in Loop: Header=BB155_7 Depth=1
	s_and_not1_saveexec_b32 s2, s35
	s_cbranch_execz .LBB155_101
; %bb.92:                               ;   in Loop: Header=BB155_7 Depth=1
	s_delay_alu instid0(VALU_DEP_1) | instskip(SKIP_1) | instid1(SALU_CYCLE_1)
	v_cmp_ngt_f64_e64 s35, 0x41d00000, |v[8:9]|
                                        ; implicit-def: $vgpr1
                                        ; implicit-def: $vgpr34_vgpr35
                                        ; implicit-def: $vgpr36_vgpr37
	s_and_saveexec_b32 s36, s35
	s_xor_b32 s36, exec_lo, s36
	s_cbranch_execz .LBB155_94
; %bb.93:                               ;   in Loop: Header=BB155_7 Depth=1
	v_ldexp_f64 v[34:35], |v[8:9]|, 0xffffff80
	v_cmp_le_f64_e64 vcc_lo, 0x7b000000, |v[8:9]|
	v_trig_preop_f64 v[36:37], |v[8:9]|, 0
	v_and_b32_e32 v1, 0x7fffffff, v9
	v_trig_preop_f64 v[38:39], |v[8:9]|, 1
	v_trig_preop_f64 v[48:49], |v[8:9]|, 2
	s_delay_alu instid0(VALU_DEP_3) | instskip(NEXT) | instid1(VALU_DEP_1)
	v_dual_cndmask_b32 v35, v1, v35 :: v_dual_cndmask_b32 v34, v8, v34
	v_mul_f64_e32 v[40:41], v[36:37], v[34:35]
	s_delay_alu instid0(VALU_DEP_4) | instskip(NEXT) | instid1(VALU_DEP_4)
	v_mul_f64_e32 v[42:43], v[38:39], v[34:35]
	v_mul_f64_e32 v[54:55], v[48:49], v[34:35]
	s_delay_alu instid0(VALU_DEP_3) | instskip(NEXT) | instid1(VALU_DEP_3)
	v_fma_f64 v[36:37], v[36:37], v[34:35], -v[40:41]
	v_fma_f64 v[38:39], v[38:39], v[34:35], -v[42:43]
	s_delay_alu instid0(VALU_DEP_3) | instskip(NEXT) | instid1(VALU_DEP_3)
	v_fma_f64 v[34:35], v[48:49], v[34:35], -v[54:55]
	v_add_f64_e32 v[44:45], v[42:43], v[36:37]
	s_delay_alu instid0(VALU_DEP_1) | instskip(SKIP_1) | instid1(VALU_DEP_2)
	v_add_f64_e64 v[46:47], v[44:45], -v[42:43]
	v_add_f64_e32 v[52:53], v[40:41], v[44:45]
	v_add_f64_e64 v[50:51], v[44:45], -v[46:47]
	v_add_f64_e64 v[36:37], v[36:37], -v[46:47]
	s_delay_alu instid0(VALU_DEP_3) | instskip(NEXT) | instid1(VALU_DEP_3)
	v_ldexp_f64 v[46:47], v[52:53], -2
	v_add_f64_e64 v[42:43], v[42:43], -v[50:51]
	v_add_f64_e32 v[50:51], v[54:55], v[38:39]
	s_delay_alu instid0(VALU_DEP_3) | instskip(NEXT) | instid1(VALU_DEP_3)
	v_cmp_neq_f64_e64 vcc_lo, 0x7ff00000, |v[46:47]|
	v_add_f64_e32 v[36:37], v[36:37], v[42:43]
	v_fract_f64_e32 v[42:43], v[46:47]
	s_delay_alu instid0(VALU_DEP_1) | instskip(NEXT) | instid1(VALU_DEP_1)
	v_ldexp_f64 v[42:43], v[42:43], 2
	v_dual_add_f64 v[40:41], v[52:53], -v[40:41] :: v_dual_cndmask_b32 v42, 0, v42, vcc_lo
	s_delay_alu instid0(VALU_DEP_1) | instskip(SKIP_1) | instid1(VALU_DEP_1)
	v_dual_add_f64 v[40:41], v[44:45], -v[40:41] :: v_dual_cndmask_b32 v43, 0, v43, vcc_lo
	v_add_f64_e32 v[44:45], v[50:51], v[36:37]
	v_add_f64_e32 v[46:47], v[40:41], v[44:45]
	v_add_f64_e64 v[56:57], v[44:45], -v[50:51]
	s_delay_alu instid0(VALU_DEP_2) | instskip(NEXT) | instid1(VALU_DEP_2)
	v_add_f64_e32 v[52:53], v[46:47], v[42:43]
	v_add_f64_e64 v[62:63], v[44:45], -v[56:57]
	v_add_f64_e64 v[36:37], v[36:37], -v[56:57]
	;; [unrolled: 1-line block ×3, first 2 shown]
	s_delay_alu instid0(VALU_DEP_4) | instskip(SKIP_1) | instid1(VALU_DEP_3)
	v_cmp_gt_f64_e32 vcc_lo, 0, v[52:53]
	v_add_f64_e64 v[52:53], v[50:51], -v[54:55]
	v_add_f64_e64 v[40:41], v[44:45], -v[40:41]
	v_cndmask_b32_e64 v21, 0, 0x40100000, vcc_lo
	s_delay_alu instid0(VALU_DEP_3) | instskip(SKIP_2) | instid1(VALU_DEP_4)
	v_add_f64_e64 v[60:61], v[50:51], -v[52:53]
	v_add_f64_e64 v[38:39], v[38:39], -v[52:53]
	;; [unrolled: 1-line block ×3, first 2 shown]
	v_add_f64_e32 v[42:43], v[42:43], v[20:21]
	s_delay_alu instid0(VALU_DEP_4) | instskip(NEXT) | instid1(VALU_DEP_3)
	v_add_f64_e64 v[52:53], v[54:55], -v[60:61]
	v_add_f64_e32 v[36:37], v[36:37], v[50:51]
	s_delay_alu instid0(VALU_DEP_3) | instskip(NEXT) | instid1(VALU_DEP_3)
	v_add_f64_e32 v[58:59], v[46:47], v[42:43]
	v_add_f64_e32 v[38:39], v[38:39], v[52:53]
	s_delay_alu instid0(VALU_DEP_2) | instskip(NEXT) | instid1(VALU_DEP_2)
	v_cvt_i32_f64_e32 v1, v[58:59]
	v_add_f64_e32 v[36:37], v[38:39], v[36:37]
	s_delay_alu instid0(VALU_DEP_2) | instskip(NEXT) | instid1(VALU_DEP_2)
	v_cvt_f64_i32_e32 v[56:57], v1
	v_add_f64_e32 v[34:35], v[34:35], v[36:37]
	s_delay_alu instid0(VALU_DEP_2) | instskip(NEXT) | instid1(VALU_DEP_2)
	v_add_f64_e64 v[42:43], v[42:43], -v[56:57]
	v_add_f64_e32 v[34:35], v[40:41], v[34:35]
	s_delay_alu instid0(VALU_DEP_2) | instskip(NEXT) | instid1(VALU_DEP_1)
	v_add_f64_e32 v[38:39], v[46:47], v[42:43]
	v_add_f64_e64 v[36:37], v[38:39], -v[42:43]
	v_cmp_le_f64_e32 vcc_lo, 0.5, v[38:39]
	s_delay_alu instid0(VALU_DEP_2) | instskip(SKIP_2) | instid1(VALU_DEP_3)
	v_add_f64_e64 v[36:37], v[46:47], -v[36:37]
	v_cndmask_b32_e64 v21, 0, 0x3ff00000, vcc_lo
	v_add_co_ci_u32_e64 v1, null, 0, v1, vcc_lo
	v_add_f64_e32 v[34:35], v[34:35], v[36:37]
	s_delay_alu instid0(VALU_DEP_3) | instskip(NEXT) | instid1(VALU_DEP_1)
	v_add_f64_e64 v[36:37], v[38:39], -v[20:21]
	v_add_f64_e32 v[38:39], v[36:37], v[34:35]
	s_delay_alu instid0(VALU_DEP_1) | instskip(SKIP_1) | instid1(VALU_DEP_2)
	v_mul_f64_e32 v[40:41], 0x3ff921fb54442d18, v[38:39]
	v_add_f64_e64 v[36:37], v[38:39], -v[36:37]
	v_fma_f64 v[42:43], v[38:39], s[12:13], -v[40:41]
	s_delay_alu instid0(VALU_DEP_2) | instskip(NEXT) | instid1(VALU_DEP_2)
	v_add_f64_e64 v[34:35], v[34:35], -v[36:37]
	v_fmac_f64_e32 v[42:43], 0x3c91a62633145c07, v[38:39]
	s_delay_alu instid0(VALU_DEP_1) | instskip(NEXT) | instid1(VALU_DEP_1)
	v_fmac_f64_e32 v[42:43], 0x3ff921fb54442d18, v[34:35]
	v_add_f64_e32 v[34:35], v[40:41], v[42:43]
	s_delay_alu instid0(VALU_DEP_1) | instskip(NEXT) | instid1(VALU_DEP_1)
	v_add_f64_e64 v[36:37], v[34:35], -v[40:41]
	v_add_f64_e64 v[36:37], v[42:43], -v[36:37]
	s_and_not1_saveexec_b32 s36, s36
	s_cbranch_execz .LBB155_96
	s_branch .LBB155_95
.LBB155_94:                             ;   in Loop: Header=BB155_7 Depth=1
	s_and_not1_saveexec_b32 s36, s36
	s_cbranch_execz .LBB155_96
.LBB155_95:                             ;   in Loop: Header=BB155_7 Depth=1
	v_mul_f64_e64 v[34:35], |v[8:9]|, s[14:15]
	s_delay_alu instid0(VALU_DEP_1) | instskip(NEXT) | instid1(VALU_DEP_1)
	v_rndne_f64_e32 v[38:39], v[34:35]
	v_fma_f64 v[34:35], v[38:39], s[16:17], |v[8:9]|
	v_mul_f64_e32 v[36:37], 0xbc91a62633145c00, v[38:39]
	v_cvt_i32_f64_e32 v1, v[38:39]
	s_delay_alu instid0(VALU_DEP_3) | instskip(NEXT) | instid1(VALU_DEP_3)
	v_fmamk_f64 v[44:45], v[38:39], 0xbc91a62633145c00, v[34:35]
	v_add_f64_e32 v[40:41], v[34:35], v[36:37]
	s_delay_alu instid0(VALU_DEP_1) | instskip(NEXT) | instid1(VALU_DEP_3)
	v_add_f64_e64 v[42:43], v[34:35], -v[40:41]
	v_add_f64_e64 v[34:35], v[40:41], -v[44:45]
	s_delay_alu instid0(VALU_DEP_2) | instskip(SKIP_1) | instid1(VALU_DEP_2)
	v_add_f64_e32 v[40:41], v[42:43], v[36:37]
	v_fmamk_f64 v[36:37], v[38:39], 0x3c91a62633145c00, v[36:37]
	v_add_f64_e32 v[34:35], v[34:35], v[40:41]
	s_delay_alu instid0(VALU_DEP_1) | instskip(NEXT) | instid1(VALU_DEP_1)
	v_add_f64_e64 v[36:37], v[34:35], -v[36:37]
	v_fmac_f64_e32 v[36:37], 0xb97b839a252049c0, v[38:39]
	s_delay_alu instid0(VALU_DEP_1) | instskip(NEXT) | instid1(VALU_DEP_1)
	v_add_f64_e32 v[34:35], v[44:45], v[36:37]
	v_add_f64_e64 v[40:41], v[34:35], -v[44:45]
	s_delay_alu instid0(VALU_DEP_1)
	v_add_f64_e64 v[36:37], v[36:37], -v[40:41]
.LBB155_96:                             ;   in Loop: Header=BB155_7 Depth=1
	s_or_b32 exec_lo, exec_lo, s36
                                        ; implicit-def: $vgpr42
                                        ; implicit-def: $vgpr38_vgpr39
                                        ; implicit-def: $vgpr40_vgpr41
	s_and_saveexec_b32 s36, s35
	s_delay_alu instid0(SALU_CYCLE_1)
	s_xor_b32 s35, exec_lo, s36
	s_cbranch_execz .LBB155_98
; %bb.97:                               ;   in Loop: Header=BB155_7 Depth=1
	v_ldexp_f64 v[38:39], |v[8:9]|, 0xffffff80
	v_cmp_le_f64_e64 vcc_lo, 0x7b000000, |v[8:9]|
	v_trig_preop_f64 v[40:41], |v[8:9]|, 0
	v_and_b32_e32 v21, 0x7fffffff, v9
	v_trig_preop_f64 v[42:43], |v[8:9]|, 1
	v_trig_preop_f64 v[52:53], |v[8:9]|, 2
	s_delay_alu instid0(VALU_DEP_3) | instskip(NEXT) | instid1(VALU_DEP_1)
	v_dual_cndmask_b32 v39, v21, v39 :: v_dual_cndmask_b32 v38, v8, v38
	v_mul_f64_e32 v[44:45], v[40:41], v[38:39]
	s_delay_alu instid0(VALU_DEP_4) | instskip(NEXT) | instid1(VALU_DEP_4)
	v_mul_f64_e32 v[46:47], v[42:43], v[38:39]
	v_mul_f64_e32 v[58:59], v[52:53], v[38:39]
	s_delay_alu instid0(VALU_DEP_3) | instskip(NEXT) | instid1(VALU_DEP_3)
	v_fma_f64 v[40:41], v[40:41], v[38:39], -v[44:45]
	v_fma_f64 v[42:43], v[42:43], v[38:39], -v[46:47]
	s_delay_alu instid0(VALU_DEP_3) | instskip(NEXT) | instid1(VALU_DEP_3)
	v_fma_f64 v[38:39], v[52:53], v[38:39], -v[58:59]
	v_add_f64_e32 v[48:49], v[46:47], v[40:41]
	s_delay_alu instid0(VALU_DEP_1) | instskip(SKIP_1) | instid1(VALU_DEP_2)
	v_add_f64_e64 v[50:51], v[48:49], -v[46:47]
	v_add_f64_e32 v[56:57], v[44:45], v[48:49]
	v_add_f64_e64 v[54:55], v[48:49], -v[50:51]
	v_add_f64_e64 v[40:41], v[40:41], -v[50:51]
	s_delay_alu instid0(VALU_DEP_3) | instskip(NEXT) | instid1(VALU_DEP_3)
	v_ldexp_f64 v[50:51], v[56:57], -2
	v_add_f64_e64 v[46:47], v[46:47], -v[54:55]
	v_add_f64_e32 v[54:55], v[58:59], v[42:43]
	s_delay_alu instid0(VALU_DEP_3) | instskip(NEXT) | instid1(VALU_DEP_3)
	v_cmp_neq_f64_e64 vcc_lo, 0x7ff00000, |v[50:51]|
	v_add_f64_e32 v[40:41], v[40:41], v[46:47]
	v_fract_f64_e32 v[46:47], v[50:51]
	s_delay_alu instid0(VALU_DEP_1) | instskip(NEXT) | instid1(VALU_DEP_1)
	v_ldexp_f64 v[46:47], v[46:47], 2
	v_dual_add_f64 v[44:45], v[56:57], -v[44:45] :: v_dual_cndmask_b32 v46, 0, v46, vcc_lo
	s_delay_alu instid0(VALU_DEP_1) | instskip(SKIP_1) | instid1(VALU_DEP_1)
	v_dual_add_f64 v[44:45], v[48:49], -v[44:45] :: v_dual_cndmask_b32 v47, 0, v47, vcc_lo
	v_add_f64_e32 v[48:49], v[54:55], v[40:41]
	v_add_f64_e32 v[50:51], v[44:45], v[48:49]
	v_add_f64_e64 v[60:61], v[48:49], -v[54:55]
	s_delay_alu instid0(VALU_DEP_2) | instskip(NEXT) | instid1(VALU_DEP_2)
	v_add_f64_e32 v[56:57], v[50:51], v[46:47]
	v_add_f64_e64 v[66:67], v[48:49], -v[60:61]
	v_add_f64_e64 v[40:41], v[40:41], -v[60:61]
	;; [unrolled: 1-line block ×3, first 2 shown]
	s_delay_alu instid0(VALU_DEP_4) | instskip(SKIP_2) | instid1(VALU_DEP_2)
	v_cmp_gt_f64_e32 vcc_lo, 0, v[56:57]
	v_add_f64_e64 v[56:57], v[54:55], -v[58:59]
	v_cndmask_b32_e64 v21, 0, 0x40100000, vcc_lo
	v_add_f64_e64 v[64:65], v[54:55], -v[56:57]
	v_add_f64_e64 v[42:43], v[42:43], -v[56:57]
	;; [unrolled: 1-line block ×3, first 2 shown]
	s_delay_alu instid0(VALU_DEP_4) | instskip(NEXT) | instid1(VALU_DEP_4)
	v_add_f64_e32 v[46:47], v[46:47], v[20:21]
	v_add_f64_e64 v[56:57], v[58:59], -v[64:65]
	s_delay_alu instid0(VALU_DEP_3) | instskip(NEXT) | instid1(VALU_DEP_3)
	v_add_f64_e32 v[40:41], v[40:41], v[54:55]
	v_add_f64_e32 v[62:63], v[50:51], v[46:47]
	s_delay_alu instid0(VALU_DEP_3) | instskip(NEXT) | instid1(VALU_DEP_2)
	v_add_f64_e32 v[42:43], v[42:43], v[56:57]
	v_cvt_i32_f64_e32 v21, v[62:63]
	s_delay_alu instid0(VALU_DEP_2) | instskip(SKIP_1) | instid1(VALU_DEP_3)
	v_add_f64_e32 v[40:41], v[42:43], v[40:41]
	v_add_f64_e64 v[42:43], v[48:49], -v[44:45]
	v_cvt_f64_i32_e32 v[60:61], v21
	s_delay_alu instid0(VALU_DEP_3) | instskip(NEXT) | instid1(VALU_DEP_2)
	v_add_f64_e32 v[38:39], v[38:39], v[40:41]
	v_add_f64_e64 v[46:47], v[46:47], -v[60:61]
	s_delay_alu instid0(VALU_DEP_2) | instskip(NEXT) | instid1(VALU_DEP_2)
	v_add_f64_e32 v[38:39], v[42:43], v[38:39]
	v_add_f64_e32 v[52:53], v[50:51], v[46:47]
	s_delay_alu instid0(VALU_DEP_1) | instskip(SKIP_1) | instid1(VALU_DEP_2)
	v_add_f64_e64 v[40:41], v[52:53], -v[46:47]
	v_cmp_le_f64_e32 vcc_lo, 0.5, v[52:53]
	v_add_f64_e64 v[40:41], v[50:51], -v[40:41]
	v_add_co_ci_u32_e64 v42, null, 0, v21, vcc_lo
	v_cndmask_b32_e64 v21, 0, 0x3ff00000, vcc_lo
	s_delay_alu instid0(VALU_DEP_3) | instskip(NEXT) | instid1(VALU_DEP_2)
	v_add_f64_e32 v[38:39], v[38:39], v[40:41]
	v_add_f64_e64 v[40:41], v[52:53], -v[20:21]
	s_delay_alu instid0(VALU_DEP_1) | instskip(NEXT) | instid1(VALU_DEP_1)
	v_add_f64_e32 v[44:45], v[40:41], v[38:39]
	v_mul_f64_e32 v[46:47], 0x3ff921fb54442d18, v[44:45]
	v_add_f64_e64 v[40:41], v[44:45], -v[40:41]
	s_delay_alu instid0(VALU_DEP_2) | instskip(NEXT) | instid1(VALU_DEP_2)
	v_fma_f64 v[48:49], v[44:45], s[12:13], -v[46:47]
	v_add_f64_e64 v[38:39], v[38:39], -v[40:41]
	s_delay_alu instid0(VALU_DEP_2) | instskip(NEXT) | instid1(VALU_DEP_1)
	v_fmac_f64_e32 v[48:49], 0x3c91a62633145c07, v[44:45]
	v_fmac_f64_e32 v[48:49], 0x3ff921fb54442d18, v[38:39]
	s_delay_alu instid0(VALU_DEP_1) | instskip(NEXT) | instid1(VALU_DEP_1)
	v_add_f64_e32 v[38:39], v[46:47], v[48:49]
	v_add_f64_e64 v[40:41], v[38:39], -v[46:47]
	s_delay_alu instid0(VALU_DEP_1)
	v_add_f64_e64 v[40:41], v[48:49], -v[40:41]
	s_and_not1_saveexec_b32 s35, s35
	s_cbranch_execnz .LBB155_99
	s_branch .LBB155_100
.LBB155_98:                             ;   in Loop: Header=BB155_7 Depth=1
	s_and_not1_saveexec_b32 s35, s35
	s_cbranch_execz .LBB155_100
.LBB155_99:                             ;   in Loop: Header=BB155_7 Depth=1
	v_mul_f64_e64 v[38:39], |v[8:9]|, s[14:15]
	s_delay_alu instid0(VALU_DEP_1) | instskip(NEXT) | instid1(VALU_DEP_1)
	v_rndne_f64_e32 v[42:43], v[38:39]
	v_fma_f64 v[38:39], v[42:43], s[16:17], |v[8:9]|
	v_mul_f64_e32 v[40:41], 0xbc91a62633145c00, v[42:43]
	s_delay_alu instid0(VALU_DEP_2) | instskip(NEXT) | instid1(VALU_DEP_2)
	v_fmamk_f64 v[48:49], v[42:43], 0xbc91a62633145c00, v[38:39]
	v_add_f64_e32 v[44:45], v[38:39], v[40:41]
	s_delay_alu instid0(VALU_DEP_1) | instskip(NEXT) | instid1(VALU_DEP_3)
	v_add_f64_e64 v[46:47], v[38:39], -v[44:45]
	v_add_f64_e64 v[38:39], v[44:45], -v[48:49]
	s_delay_alu instid0(VALU_DEP_2) | instskip(SKIP_1) | instid1(VALU_DEP_2)
	v_add_f64_e32 v[44:45], v[46:47], v[40:41]
	v_fmamk_f64 v[40:41], v[42:43], 0x3c91a62633145c00, v[40:41]
	v_add_f64_e32 v[38:39], v[38:39], v[44:45]
	s_delay_alu instid0(VALU_DEP_1) | instskip(NEXT) | instid1(VALU_DEP_1)
	v_add_f64_e64 v[40:41], v[38:39], -v[40:41]
	v_fmac_f64_e32 v[40:41], 0xb97b839a252049c0, v[42:43]
	v_cvt_i32_f64_e32 v42, v[42:43]
	s_delay_alu instid0(VALU_DEP_2) | instskip(NEXT) | instid1(VALU_DEP_1)
	v_add_f64_e32 v[38:39], v[48:49], v[40:41]
	v_add_f64_e64 v[44:45], v[38:39], -v[48:49]
	s_delay_alu instid0(VALU_DEP_1)
	v_add_f64_e64 v[40:41], v[40:41], -v[44:45]
.LBB155_100:                            ;   in Loop: Header=BB155_7 Depth=1
	s_or_b32 exec_lo, exec_lo, s35
	v_dual_mul_f64 v[44:45], v[34:35], v[34:35] :: v_dual_bitop2_b32 v8, 1, v1 bitop3:0x40
	v_dual_mul_f64 v[46:47], v[38:39], v[38:39] :: v_dual_lshlrev_b32 v1, 30, v1
	v_mul_f64_e64 v[50:51], |v[6:7]|, s[24:25]
	s_delay_alu instid0(VALU_DEP_4) | instskip(NEXT) | instid1(VALU_DEP_4)
	v_mul_f64_e32 v[68:69], 0.5, v[40:41]
	v_cmp_eq_u32_e32 vcc_lo, 0, v8
	v_mul_f64_e32 v[56:57], 0.5, v[36:37]
	v_xor_b32_e32 v1, v1, v9
	v_mul_f64_e32 v[48:49], 0.5, v[44:45]
	v_mul_f64_e64 v[58:59], v[34:35], -v[44:45]
	v_mul_f64_e32 v[52:53], 0.5, v[46:47]
	v_fmamk_f64 v[64:65], v[44:45], 0x3de5e0b2f9a43bb8, v[30:31]
	v_rndne_f64_e32 v[50:51], v[50:51]
	v_mul_f64_e64 v[70:71], v[38:39], -v[46:47]
	v_fmamk_f64 v[72:73], v[46:47], 0x3de5e0b2f9a43bb8, v[30:31]
	s_delay_alu instid0(VALU_DEP_4) | instskip(NEXT) | instid1(VALU_DEP_1)
	v_fmaak_f64 v[64:65], v[44:45], v[64:65], 0x3ec71de3796cde01
	v_fmaak_f64 v[64:65], v[44:45], v[64:65], 0xbf2a01a019e83e5c
	s_delay_alu instid0(VALU_DEP_1) | instskip(SKIP_1) | instid1(VALU_DEP_2)
	v_fmaak_f64 v[64:65], v[44:45], v[64:65], 0x3f81111111110bb3
	v_add_f64_e64 v[54:55], -v[48:49], 1.0
	v_fmac_f64_e32 v[56:57], v[58:59], v[64:65]
	v_add_f64_e64 v[60:61], -v[52:53], 1.0
	v_fma_f64 v[66:67], v[50:51], s[18:19], -|v[6:7]|
	s_delay_alu instid0(VALU_DEP_4) | instskip(NEXT) | instid1(VALU_DEP_4)
	v_add_f64_e64 v[62:63], -v[54:55], 1.0
	v_fma_f64 v[56:57], v[44:45], v[56:57], -v[36:37]
	s_delay_alu instid0(VALU_DEP_4) | instskip(NEXT) | instid1(VALU_DEP_4)
	v_add_f64_e64 v[64:65], -v[60:61], 1.0
	v_fmac_f64_e32 v[66:67], 0xbc7abc9e3b39803f, v[50:51]
	s_delay_alu instid0(VALU_DEP_4)
	v_add_f64_e64 v[48:49], v[62:63], -v[48:49]
	v_fmaak_f64 v[62:63], v[46:47], v[72:73], 0x3ec71de3796cde01
	v_fmamk_f64 v[72:73], v[44:45], 0xbda907db46cc5e42, v[28:29]
	v_add_f64_e64 v[52:53], v[64:65], -v[52:53]
	v_fmamk_f64 v[64:65], v[66:67], 0x3e5ade156a5dcb37, v[26:27]
	v_fmac_f64_e32 v[56:57], 0xbfc5555555555555, v[58:59]
	v_fmaak_f64 v[62:63], v[46:47], v[62:63], 0xbf2a01a019e83e5c
	s_delay_alu instid0(VALU_DEP_3) | instskip(NEXT) | instid1(VALU_DEP_2)
	v_fmaak_f64 v[64:65], v[66:67], v[64:65], 0x3ec71dee623fde64
	v_fmaak_f64 v[62:63], v[46:47], v[62:63], 0x3f81111111110bb3
	s_delay_alu instid0(VALU_DEP_2) | instskip(NEXT) | instid1(VALU_DEP_2)
	v_fmaak_f64 v[64:65], v[66:67], v[64:65], 0x3efa01997c89e6b0
	v_fmac_f64_e32 v[68:69], v[70:71], v[62:63]
	v_mul_f64_e32 v[62:63], v[44:45], v[44:45]
	v_fma_f64 v[36:37], v[34:35], -v[36:37], v[48:49]
	v_fmaak_f64 v[48:49], v[44:45], v[72:73], 0xbe927e4fa17f65f6
	v_mul_f64_e32 v[72:73], v[46:47], v[46:47]
	v_add_f64_e64 v[34:35], v[34:35], -v[56:57]
	s_delay_alu instid0(VALU_DEP_3) | instskip(NEXT) | instid1(VALU_DEP_1)
	v_fmaak_f64 v[48:49], v[44:45], v[48:49], 0x3efa01a019f4ec90
	v_fmaak_f64 v[48:49], v[44:45], v[48:49], 0xbf56c16c16c16967
	s_delay_alu instid0(VALU_DEP_1)
	v_fmaak_f64 v[44:45], v[44:45], v[48:49], 0x3fa5555555555555
	v_fmaak_f64 v[48:49], v[66:67], v[64:65], 0x3f2a01a014761f6e
	v_fma_f64 v[64:65], v[46:47], v[68:69], -v[40:41]
	v_fmamk_f64 v[68:69], v[46:47], 0xbda907db46cc5e42, v[28:29]
	v_fma_f64 v[40:41], v[38:39], -v[40:41], v[52:53]
	v_fmac_f64_e32 v[36:37], v[62:63], v[44:45]
	v_fmaak_f64 v[44:45], v[66:67], v[48:49], 0x3f56c16c1852b7b0
	s_delay_alu instid0(VALU_DEP_4) | instskip(NEXT) | instid1(VALU_DEP_2)
	v_fmaak_f64 v[48:49], v[46:47], v[68:69], 0xbe927e4fa17f65f6
	v_fmaak_f64 v[44:45], v[66:67], v[44:45], 0x3f81111111122322
	s_delay_alu instid0(VALU_DEP_2) | instskip(NEXT) | instid1(VALU_DEP_2)
	v_fmaak_f64 v[48:49], v[46:47], v[48:49], 0x3efa01a019f4ec90
	v_fmaak_f64 v[44:45], v[66:67], v[44:45], 0x3fa55555555502a1
	s_delay_alu instid0(VALU_DEP_2) | instskip(NEXT) | instid1(VALU_DEP_2)
	v_fmaak_f64 v[48:49], v[46:47], v[48:49], 0xbf56c16c16c16967
	v_fmaak_f64 v[44:45], v[66:67], v[44:45], 0x3fc5555555555511
	s_delay_alu instid0(VALU_DEP_2) | instskip(SKIP_1) | instid1(VALU_DEP_3)
	v_fmaak_f64 v[46:47], v[46:47], v[48:49], 0x3fa5555555555555
	v_fmac_f64_e32 v[64:65], 0xbfc5555555555555, v[70:71]
	v_fmaak_f64 v[44:45], v[66:67], v[44:45], 0x3fe000000000000b
	s_delay_alu instid0(VALU_DEP_3) | instskip(SKIP_1) | instid1(VALU_DEP_3)
	v_fmac_f64_e32 v[40:41], v[72:73], v[46:47]
	v_add_f64_e32 v[36:37], v[54:55], v[36:37]
	v_fma_f64 v[44:45], v[66:67], v[44:45], 1.0
	v_add_f64_e64 v[38:39], v[38:39], -v[64:65]
	s_delay_alu instid0(VALU_DEP_4) | instskip(NEXT) | instid1(VALU_DEP_4)
	v_add_f64_e32 v[40:41], v[60:61], v[40:41]
	v_dual_cndmask_b32 v21, v37, v35 :: v_dual_cndmask_b32 v8, v36, v34
	v_cvt_i32_f64_e32 v37, v[50:51]
	v_fma_f64 v[34:35], v[66:67], v[44:45], 1.0
	s_delay_alu instid0(VALU_DEP_3) | instskip(NEXT) | instid1(VALU_DEP_1)
	v_bitop3_b32 v9, v21, v1, 0x80000000 bitop3:0x78
	v_dual_mul_f64 v[8:9], 4.0, v[8:9] :: v_dual_bitop2_b32 v1, 1, v42 bitop3:0x40
	s_delay_alu instid0(VALU_DEP_1) | instskip(SKIP_1) | instid1(VALU_DEP_1)
	v_cmp_eq_u32_e32 vcc_lo, 0, v1
	v_xor_b32_e32 v21, 0x80000000, v39
	v_dual_cndmask_b32 v1, v21, v41, vcc_lo :: v_dual_lshlrev_b32 v21, 30, v42
	v_cndmask_b32_e32 v36, v38, v40, vcc_lo
	v_cmp_nlt_f64_e64 vcc_lo, 0x4090cc00, |v[6:7]|
	v_ldexp_f64 v[34:35], v[34:35], v37
	s_delay_alu instid0(VALU_DEP_4) | instskip(SKIP_1) | instid1(VALU_DEP_2)
	v_bitop3_b32 v37, v1, v21, 0x80000000 bitop3:0x78
	v_bfi_b32 v21, 0x7fffffff, s31, v7
	v_mul_f64_e32 v[8:9], v[8:9], v[36:37]
	s_delay_alu instid0(VALU_DEP_2) | instskip(SKIP_1) | instid1(VALU_DEP_1)
	v_mov_b64_e32 v[6:7], v[20:21]
	v_dual_cndmask_b32 v35, 0, v35 :: v_dual_cndmask_b32 v34, 0, v34
	v_mul_f64_e32 v[8:9], v[34:35], v[8:9]
	s_delay_alu instid0(VALU_DEP_1)
	v_mul_f64_e32 v[8:9], v[34:35], v[8:9]
.LBB155_101:                            ;   in Loop: Header=BB155_7 Depth=1
	s_or_b32 exec_lo, exec_lo, s2
.LBB155_102:                            ;   in Loop: Header=BB155_7 Depth=1
	s_and_not1_saveexec_b32 s2, s34
	s_cbranch_execz .LBB155_104
; %bb.103:                              ;   in Loop: Header=BB155_7 Depth=1
	s_delay_alu instid0(VALU_DEP_1) | instskip(NEXT) | instid1(VALU_DEP_1)
	v_add_f64_e64 v[8:9], v[8:9], -v[8:9]
	v_mov_b64_e32 v[6:7], v[8:9]
.LBB155_104:                            ;   in Loop: Header=BB155_7 Depth=1
	s_or_b32 exec_lo, exec_lo, s2
.LBB155_105:                            ;   in Loop: Header=BB155_7 Depth=1
	s_and_not1_saveexec_b32 s34, s3
	s_cbranch_execz .LBB155_121
; %bb.106:                              ;   in Loop: Header=BB155_7 Depth=1
	s_delay_alu instid0(VALU_DEP_1) | instskip(SKIP_1) | instid1(VALU_DEP_1)
	v_and_or_b32 v1, 0xfffff, v7, v6
	s_mov_b32 s2, exec_lo
	v_cmpx_ne_u32_e32 0, v1
	s_xor_b32 s2, exec_lo, s2
	s_cbranch_execz .LBB155_108
; %bb.107:                              ;   in Loop: Header=BB155_7 Depth=1
	s_delay_alu instid0(VALU_DEP_3) | instskip(SKIP_1) | instid1(VALU_DEP_2)
	v_mul_f64_e32 v[34:35], v[6:7], v[8:9]
	v_cmp_eq_f64_e32 vcc_lo, 0, v[8:9]
	v_dual_cndmask_b32 v9, v35, v9 :: v_dual_cndmask_b32 v8, v34, v8
.LBB155_108:                            ;   in Loop: Header=BB155_7 Depth=1
	s_and_not1_saveexec_b32 s35, s2
	s_cbranch_execz .LBB155_120
; %bb.109:                              ;   in Loop: Header=BB155_7 Depth=1
	s_mov_b32 s36, exec_lo
	s_delay_alu instid0(VALU_DEP_1)
	v_cmpx_neq_f64_e64 0x7ff00000, |v[8:9]|
	s_cbranch_execz .LBB155_119
; %bb.110:                              ;   in Loop: Header=BB155_7 Depth=1
	v_cmp_ngt_f64_e64 s2, 0x41d00000, |v[8:9]|
	v_trig_preop_f64 v[42:43], |v[8:9]|, 0
	v_trig_preop_f64 v[40:41], |v[8:9]|, 1
	v_ldexp_f64 v[44:45], |v[8:9]|, 0xffffff80
	v_trig_preop_f64 v[38:39], |v[8:9]|, 2
	v_and_b32_e32 v52, 0x7fffffff, v9
                                        ; implicit-def: $vgpr1
                                        ; implicit-def: $vgpr34_vgpr35
                                        ; implicit-def: $vgpr36_vgpr37
	s_and_saveexec_b32 s3, s2
	s_delay_alu instid0(SALU_CYCLE_1)
	s_xor_b32 s3, exec_lo, s3
	s_cbranch_execz .LBB155_112
; %bb.111:                              ;   in Loop: Header=BB155_7 Depth=1
	v_cmp_le_f64_e64 vcc_lo, 0x7b000000, |v[8:9]|
	s_delay_alu instid0(VALU_DEP_4) | instskip(SKIP_1) | instid1(VALU_DEP_1)
	v_cndmask_b32_e32 v35, v52, v45, vcc_lo
	v_cndmask_b32_e32 v34, v8, v44, vcc_lo
	v_mul_f64_e32 v[36:37], v[42:43], v[34:35]
	v_mul_f64_e32 v[46:47], v[40:41], v[34:35]
	s_delay_alu instid0(VALU_DEP_2) | instskip(NEXT) | instid1(VALU_DEP_1)
	v_fma_f64 v[48:49], v[42:43], v[34:35], -v[36:37]
	v_add_f64_e32 v[50:51], v[46:47], v[48:49]
	s_delay_alu instid0(VALU_DEP_1) | instskip(SKIP_1) | instid1(VALU_DEP_2)
	v_add_f64_e64 v[54:55], v[50:51], -v[46:47]
	v_add_f64_e32 v[58:59], v[36:37], v[50:51]
	v_add_f64_e64 v[56:57], v[50:51], -v[54:55]
	v_fma_f64 v[62:63], v[40:41], v[34:35], -v[46:47]
	v_add_f64_e64 v[48:49], v[48:49], -v[54:55]
	s_delay_alu instid0(VALU_DEP_4) | instskip(SKIP_2) | instid1(VALU_DEP_3)
	v_ldexp_f64 v[54:55], v[58:59], -2
	v_mul_f64_e32 v[60:61], v[38:39], v[34:35]
	v_add_f64_e64 v[46:47], v[46:47], -v[56:57]
	v_cmp_neq_f64_e64 vcc_lo, 0x7ff00000, |v[54:55]|
	s_delay_alu instid0(VALU_DEP_3) | instskip(SKIP_1) | instid1(VALU_DEP_4)
	v_add_f64_e32 v[56:57], v[60:61], v[62:63]
	v_fma_f64 v[34:35], v[38:39], v[34:35], -v[60:61]
	v_add_f64_e32 v[46:47], v[48:49], v[46:47]
	v_fract_f64_e32 v[48:49], v[54:55]
	s_delay_alu instid0(VALU_DEP_1) | instskip(NEXT) | instid1(VALU_DEP_1)
	v_ldexp_f64 v[48:49], v[48:49], 2
	v_cndmask_b32_e32 v49, 0, v49, vcc_lo
	v_add_f64_e64 v[36:37], v[58:59], -v[36:37]
	s_delay_alu instid0(VALU_DEP_3) | instskip(NEXT) | instid1(VALU_DEP_2)
	v_cndmask_b32_e32 v48, 0, v48, vcc_lo
	v_add_f64_e64 v[36:37], v[50:51], -v[36:37]
	v_add_f64_e32 v[50:51], v[56:57], v[46:47]
	s_delay_alu instid0(VALU_DEP_1) | instskip(SKIP_1) | instid1(VALU_DEP_2)
	v_add_f64_e32 v[54:55], v[36:37], v[50:51]
	v_add_f64_e64 v[64:65], v[50:51], -v[56:57]
	v_add_f64_e32 v[58:59], v[54:55], v[48:49]
	s_delay_alu instid0(VALU_DEP_2) | instskip(SKIP_2) | instid1(VALU_DEP_4)
	v_add_f64_e64 v[70:71], v[50:51], -v[64:65]
	v_add_f64_e64 v[46:47], v[46:47], -v[64:65]
	;; [unrolled: 1-line block ×3, first 2 shown]
	v_cmp_gt_f64_e32 vcc_lo, 0, v[58:59]
	v_add_f64_e64 v[58:59], v[56:57], -v[60:61]
	s_delay_alu instid0(VALU_DEP_3) | instskip(SKIP_1) | instid1(VALU_DEP_3)
	v_add_f64_e64 v[36:37], v[50:51], -v[36:37]
	v_cndmask_b32_e64 v21, 0, 0x40100000, vcc_lo
	v_add_f64_e64 v[68:69], v[56:57], -v[58:59]
	v_add_f64_e64 v[58:59], v[62:63], -v[58:59]
	;; [unrolled: 1-line block ×3, first 2 shown]
	s_delay_alu instid0(VALU_DEP_4) | instskip(NEXT) | instid1(VALU_DEP_4)
	v_add_f64_e32 v[48:49], v[48:49], v[20:21]
	v_add_f64_e64 v[62:63], v[60:61], -v[68:69]
	s_delay_alu instid0(VALU_DEP_3) | instskip(NEXT) | instid1(VALU_DEP_3)
	v_add_f64_e32 v[46:47], v[46:47], v[56:57]
	v_add_f64_e32 v[66:67], v[54:55], v[48:49]
	s_delay_alu instid0(VALU_DEP_3) | instskip(NEXT) | instid1(VALU_DEP_2)
	v_add_f64_e32 v[58:59], v[58:59], v[62:63]
	v_cvt_i32_f64_e32 v1, v[66:67]
	s_delay_alu instid0(VALU_DEP_2) | instskip(NEXT) | instid1(VALU_DEP_2)
	v_add_f64_e32 v[46:47], v[58:59], v[46:47]
	v_cvt_f64_i32_e32 v[64:65], v1
	s_delay_alu instid0(VALU_DEP_2) | instskip(NEXT) | instid1(VALU_DEP_2)
	v_add_f64_e32 v[34:35], v[34:35], v[46:47]
	v_add_f64_e64 v[48:49], v[48:49], -v[64:65]
	s_delay_alu instid0(VALU_DEP_2) | instskip(NEXT) | instid1(VALU_DEP_2)
	v_add_f64_e32 v[34:35], v[36:37], v[34:35]
	v_add_f64_e32 v[56:57], v[54:55], v[48:49]
	s_delay_alu instid0(VALU_DEP_1) | instskip(SKIP_1) | instid1(VALU_DEP_2)
	v_add_f64_e64 v[46:47], v[56:57], -v[48:49]
	v_cmp_le_f64_e32 vcc_lo, 0.5, v[56:57]
	v_add_f64_e64 v[36:37], v[54:55], -v[46:47]
	v_cndmask_b32_e64 v21, 0, 0x3ff00000, vcc_lo
	v_add_co_ci_u32_e64 v1, null, 0, v1, vcc_lo
	s_delay_alu instid0(VALU_DEP_3) | instskip(NEXT) | instid1(VALU_DEP_3)
	v_add_f64_e32 v[34:35], v[34:35], v[36:37]
	v_add_f64_e64 v[36:37], v[56:57], -v[20:21]
	s_delay_alu instid0(VALU_DEP_1) | instskip(NEXT) | instid1(VALU_DEP_1)
	v_add_f64_e32 v[46:47], v[36:37], v[34:35]
	v_mul_f64_e32 v[48:49], 0x3ff921fb54442d18, v[46:47]
	v_add_f64_e64 v[36:37], v[46:47], -v[36:37]
	s_delay_alu instid0(VALU_DEP_2) | instskip(NEXT) | instid1(VALU_DEP_2)
	v_fma_f64 v[50:51], v[46:47], s[12:13], -v[48:49]
	v_add_f64_e64 v[34:35], v[34:35], -v[36:37]
	s_delay_alu instid0(VALU_DEP_2) | instskip(NEXT) | instid1(VALU_DEP_1)
	v_fmac_f64_e32 v[50:51], 0x3c91a62633145c07, v[46:47]
	v_fmac_f64_e32 v[50:51], 0x3ff921fb54442d18, v[34:35]
	s_delay_alu instid0(VALU_DEP_1) | instskip(NEXT) | instid1(VALU_DEP_1)
	v_add_f64_e32 v[34:35], v[48:49], v[50:51]
	v_add_f64_e64 v[36:37], v[34:35], -v[48:49]
	s_delay_alu instid0(VALU_DEP_1)
	v_add_f64_e64 v[36:37], v[50:51], -v[36:37]
.LBB155_112:                            ;   in Loop: Header=BB155_7 Depth=1
	s_or_saveexec_b32 s3, s3
	v_mul_f64_e64 v[46:47], |v[8:9]|, s[14:15]
	s_delay_alu instid0(VALU_DEP_1)
	v_rndne_f64_e32 v[50:51], v[46:47]
	s_xor_b32 exec_lo, exec_lo, s3
	s_cbranch_execz .LBB155_114
; %bb.113:                              ;   in Loop: Header=BB155_7 Depth=1
	s_delay_alu instid0(VALU_DEP_1) | instskip(SKIP_2) | instid1(VALU_DEP_3)
	v_fma_f64 v[34:35], v[50:51], s[16:17], |v[8:9]|
	v_mul_f64_e32 v[36:37], 0xbc91a62633145c00, v[50:51]
	v_cvt_i32_f64_e32 v1, v[50:51]
	v_fmamk_f64 v[54:55], v[50:51], 0xbc91a62633145c00, v[34:35]
	s_delay_alu instid0(VALU_DEP_3) | instskip(NEXT) | instid1(VALU_DEP_1)
	v_add_f64_e32 v[46:47], v[34:35], v[36:37]
	v_add_f64_e64 v[48:49], v[34:35], -v[46:47]
	s_delay_alu instid0(VALU_DEP_3) | instskip(NEXT) | instid1(VALU_DEP_2)
	v_add_f64_e64 v[34:35], v[46:47], -v[54:55]
	v_add_f64_e32 v[46:47], v[48:49], v[36:37]
	v_fmamk_f64 v[36:37], v[50:51], 0x3c91a62633145c00, v[36:37]
	s_delay_alu instid0(VALU_DEP_2) | instskip(NEXT) | instid1(VALU_DEP_1)
	v_add_f64_e32 v[34:35], v[34:35], v[46:47]
	v_add_f64_e64 v[36:37], v[34:35], -v[36:37]
	s_delay_alu instid0(VALU_DEP_1) | instskip(NEXT) | instid1(VALU_DEP_1)
	v_fmac_f64_e32 v[36:37], 0xb97b839a252049c0, v[50:51]
	v_add_f64_e32 v[34:35], v[54:55], v[36:37]
	s_delay_alu instid0(VALU_DEP_1) | instskip(NEXT) | instid1(VALU_DEP_1)
	v_add_f64_e64 v[46:47], v[34:35], -v[54:55]
	v_add_f64_e64 v[36:37], v[36:37], -v[46:47]
.LBB155_114:                            ;   in Loop: Header=BB155_7 Depth=1
	s_or_b32 exec_lo, exec_lo, s3
                                        ; implicit-def: $vgpr53
                                        ; implicit-def: $vgpr46_vgpr47
                                        ; implicit-def: $vgpr48_vgpr49
	s_and_saveexec_b32 s3, s2
	s_delay_alu instid0(SALU_CYCLE_1)
	s_xor_b32 s2, exec_lo, s3
	s_cbranch_execz .LBB155_116
; %bb.115:                              ;   in Loop: Header=BB155_7 Depth=1
	v_cmp_le_f64_e64 vcc_lo, 0x7b000000, |v[8:9]|
	v_cndmask_b32_e32 v45, v52, v45, vcc_lo
	v_cndmask_b32_e32 v44, v8, v44, vcc_lo
	s_delay_alu instid0(VALU_DEP_1) | instskip(SKIP_1) | instid1(VALU_DEP_2)
	v_mul_f64_e32 v[46:47], v[42:43], v[44:45]
	v_mul_f64_e32 v[48:49], v[40:41], v[44:45]
	v_fma_f64 v[42:43], v[42:43], v[44:45], -v[46:47]
	s_delay_alu instid0(VALU_DEP_1) | instskip(NEXT) | instid1(VALU_DEP_1)
	v_add_f64_e32 v[50:51], v[48:49], v[42:43]
	v_add_f64_e64 v[52:53], v[50:51], -v[48:49]
	v_add_f64_e32 v[56:57], v[46:47], v[50:51]
	s_delay_alu instid0(VALU_DEP_2) | instskip(SKIP_1) | instid1(VALU_DEP_3)
	v_add_f64_e64 v[54:55], v[50:51], -v[52:53]
	v_add_f64_e64 v[42:43], v[42:43], -v[52:53]
	v_ldexp_f64 v[52:53], v[56:57], -2
	s_delay_alu instid0(VALU_DEP_1) | instskip(SKIP_1) | instid1(VALU_DEP_1)
	v_cmp_neq_f64_e64 vcc_lo, 0x7ff00000, |v[52:53]|
	v_add_f64_e64 v[46:47], v[56:57], -v[46:47]
	v_add_f64_e64 v[46:47], v[50:51], -v[46:47]
	v_mul_f64_e32 v[58:59], v[38:39], v[44:45]
	v_fma_f64 v[40:41], v[40:41], v[44:45], -v[48:49]
	v_add_f64_e64 v[48:49], v[48:49], -v[54:55]
	s_delay_alu instid0(VALU_DEP_3) | instskip(NEXT) | instid1(VALU_DEP_3)
	v_fma_f64 v[38:39], v[38:39], v[44:45], -v[58:59]
	v_add_f64_e32 v[54:55], v[58:59], v[40:41]
	s_delay_alu instid0(VALU_DEP_3) | instskip(SKIP_1) | instid1(VALU_DEP_2)
	v_add_f64_e32 v[42:43], v[42:43], v[48:49]
	v_fract_f64_e32 v[48:49], v[52:53]
	v_add_f64_e32 v[50:51], v[54:55], v[42:43]
	s_delay_alu instid0(VALU_DEP_2) | instskip(NEXT) | instid1(VALU_DEP_1)
	v_ldexp_f64 v[48:49], v[48:49], 2
	v_dual_add_f64 v[52:53], v[46:47], v[50:51] :: v_dual_cndmask_b32 v49, 0, v49, vcc_lo
	s_delay_alu instid0(VALU_DEP_2) | instskip(NEXT) | instid1(VALU_DEP_1)
	v_dual_add_f64 v[60:61], v[50:51], -v[54:55] :: v_dual_cndmask_b32 v48, 0, v48, vcc_lo
	v_add_f64_e32 v[56:57], v[52:53], v[48:49]
	v_add_f64_e64 v[44:45], v[52:53], -v[46:47]
	s_delay_alu instid0(VALU_DEP_3) | instskip(SKIP_1) | instid1(VALU_DEP_4)
	v_add_f64_e64 v[66:67], v[50:51], -v[60:61]
	v_add_f64_e64 v[42:43], v[42:43], -v[60:61]
	v_cmp_gt_f64_e32 vcc_lo, 0, v[56:57]
	v_add_f64_e64 v[56:57], v[54:55], -v[58:59]
	v_add_f64_e64 v[44:45], v[50:51], -v[44:45]
                                        ; implicit-def: $vgpr50_vgpr51
	v_cndmask_b32_e64 v21, 0, 0x40100000, vcc_lo
	s_delay_alu instid0(VALU_DEP_3) | instskip(SKIP_2) | instid1(VALU_DEP_4)
	v_add_f64_e64 v[64:65], v[54:55], -v[56:57]
	v_add_f64_e64 v[40:41], v[40:41], -v[56:57]
	v_add_f64_e64 v[54:55], v[54:55], -v[66:67]
	v_add_f64_e32 v[48:49], v[48:49], v[20:21]
	s_delay_alu instid0(VALU_DEP_4) | instskip(NEXT) | instid1(VALU_DEP_3)
	v_add_f64_e64 v[56:57], v[58:59], -v[64:65]
	v_add_f64_e32 v[42:43], v[42:43], v[54:55]
	s_delay_alu instid0(VALU_DEP_3) | instskip(NEXT) | instid1(VALU_DEP_3)
	v_add_f64_e32 v[62:63], v[52:53], v[48:49]
	v_add_f64_e32 v[40:41], v[40:41], v[56:57]
	s_delay_alu instid0(VALU_DEP_2) | instskip(NEXT) | instid1(VALU_DEP_2)
	v_cvt_i32_f64_e32 v21, v[62:63]
	v_add_f64_e32 v[40:41], v[40:41], v[42:43]
	s_delay_alu instid0(VALU_DEP_2) | instskip(NEXT) | instid1(VALU_DEP_2)
	v_cvt_f64_i32_e32 v[60:61], v21
	v_add_f64_e32 v[38:39], v[38:39], v[40:41]
	s_delay_alu instid0(VALU_DEP_2) | instskip(NEXT) | instid1(VALU_DEP_2)
	v_add_f64_e64 v[48:49], v[48:49], -v[60:61]
	v_add_f64_e32 v[38:39], v[44:45], v[38:39]
	s_delay_alu instid0(VALU_DEP_2) | instskip(NEXT) | instid1(VALU_DEP_1)
	v_add_f64_e32 v[42:43], v[52:53], v[48:49]
	v_add_f64_e64 v[40:41], v[42:43], -v[48:49]
	v_cmp_le_f64_e32 vcc_lo, 0.5, v[42:43]
	s_delay_alu instid0(VALU_DEP_2) | instskip(SKIP_2) | instid1(VALU_DEP_3)
	v_add_f64_e64 v[40:41], v[52:53], -v[40:41]
	v_add_co_ci_u32_e64 v53, null, 0, v21, vcc_lo
	v_cndmask_b32_e64 v21, 0, 0x3ff00000, vcc_lo
	v_add_f64_e32 v[38:39], v[38:39], v[40:41]
	s_delay_alu instid0(VALU_DEP_2) | instskip(NEXT) | instid1(VALU_DEP_1)
	v_add_f64_e64 v[40:41], v[42:43], -v[20:21]
	v_add_f64_e32 v[42:43], v[40:41], v[38:39]
	s_delay_alu instid0(VALU_DEP_1) | instskip(SKIP_1) | instid1(VALU_DEP_2)
	v_mul_f64_e32 v[44:45], 0x3ff921fb54442d18, v[42:43]
	v_add_f64_e64 v[40:41], v[42:43], -v[40:41]
	v_fma_f64 v[48:49], v[42:43], s[12:13], -v[44:45]
	s_delay_alu instid0(VALU_DEP_2) | instskip(NEXT) | instid1(VALU_DEP_2)
	v_add_f64_e64 v[38:39], v[38:39], -v[40:41]
	v_fmac_f64_e32 v[48:49], 0x3c91a62633145c07, v[42:43]
	s_delay_alu instid0(VALU_DEP_1) | instskip(NEXT) | instid1(VALU_DEP_1)
	v_fmac_f64_e32 v[48:49], 0x3ff921fb54442d18, v[38:39]
	v_add_f64_e32 v[46:47], v[44:45], v[48:49]
	s_delay_alu instid0(VALU_DEP_1) | instskip(NEXT) | instid1(VALU_DEP_1)
	v_add_f64_e64 v[38:39], v[46:47], -v[44:45]
	v_add_f64_e64 v[48:49], v[48:49], -v[38:39]
	s_and_not1_saveexec_b32 s2, s2
	s_cbranch_execnz .LBB155_117
	s_branch .LBB155_118
.LBB155_116:                            ;   in Loop: Header=BB155_7 Depth=1
	s_and_not1_saveexec_b32 s2, s2
	s_cbranch_execz .LBB155_118
.LBB155_117:                            ;   in Loop: Header=BB155_7 Depth=1
	s_delay_alu instid0(VALU_DEP_1) | instskip(SKIP_2) | instid1(VALU_DEP_2)
	v_fma_f64 v[38:39], v[50:51], s[16:17], |v[8:9]|
	v_mul_f64_e32 v[40:41], 0xbc91a62633145c00, v[50:51]
	v_cvt_i32_f64_e32 v53, v[50:51]
	v_add_f64_e32 v[42:43], v[38:39], v[40:41]
	s_delay_alu instid0(VALU_DEP_1) | instskip(SKIP_1) | instid1(VALU_DEP_1)
	v_add_f64_e64 v[44:45], v[38:39], -v[42:43]
	v_fmamk_f64 v[38:39], v[50:51], 0xbc91a62633145c00, v[38:39]
	v_add_f64_e64 v[42:43], v[42:43], -v[38:39]
	s_delay_alu instid0(VALU_DEP_3) | instskip(SKIP_1) | instid1(VALU_DEP_2)
	v_add_f64_e32 v[44:45], v[44:45], v[40:41]
	v_fmamk_f64 v[40:41], v[50:51], 0x3c91a62633145c00, v[40:41]
	v_add_f64_e32 v[42:43], v[42:43], v[44:45]
	s_delay_alu instid0(VALU_DEP_1) | instskip(NEXT) | instid1(VALU_DEP_1)
	v_add_f64_e64 v[40:41], v[42:43], -v[40:41]
	v_fmac_f64_e32 v[40:41], 0xb97b839a252049c0, v[50:51]
	s_delay_alu instid0(VALU_DEP_1) | instskip(NEXT) | instid1(VALU_DEP_1)
	v_add_f64_e32 v[46:47], v[38:39], v[40:41]
	v_add_f64_e64 v[38:39], v[46:47], -v[38:39]
	s_delay_alu instid0(VALU_DEP_1)
	v_add_f64_e64 v[48:49], v[40:41], -v[38:39]
.LBB155_118:                            ;   in Loop: Header=BB155_7 Depth=1
	s_or_b32 exec_lo, exec_lo, s2
	v_dual_mul_f64 v[38:39], v[34:35], v[34:35] :: v_dual_bitop2_b32 v21, 1, v1 bitop3:0x40
	v_mul_f64_e32 v[40:41], v[46:47], v[46:47]
	v_cmp_class_f64_e64 s2, v[8:9], 0x1f8
	v_and_b32_e32 v8, 1, v53
	v_mul_f64_e32 v[64:65], 0.5, v[48:49]
	v_cmp_eq_u32_e32 vcc_lo, 0, v21
	v_mul_f64_e32 v[56:57], 0.5, v[36:37]
	v_lshlrev_b32_e32 v1, 30, v1
	v_cmp_eq_u32_e64 s3, 0, v8
	v_lshlrev_b32_e32 v8, 30, v53
	s_delay_alu instid0(VALU_DEP_3) | instskip(SKIP_4) | instid1(VALU_DEP_3)
	v_dual_mul_f64 v[42:43], 0.5, v[38:39] :: v_dual_bitop2_b32 v1, v1, v9 bitop3:0x14
	v_mul_f64_e64 v[58:59], v[34:35], -v[38:39]
	v_fmamk_f64 v[62:63], v[38:39], 0x3de5e0b2f9a43bb8, v[30:31]
	v_mul_f64_e64 v[66:67], v[46:47], -v[40:41]
	v_fmamk_f64 v[68:69], v[40:41], 0x3de5e0b2f9a43bb8, v[30:31]
	v_fmaak_f64 v[62:63], v[38:39], v[62:63], 0x3ec71de3796cde01
	s_delay_alu instid0(VALU_DEP_2) | instskip(NEXT) | instid1(VALU_DEP_2)
	v_fmaak_f64 v[68:69], v[40:41], v[68:69], 0x3ec71de3796cde01
	v_fmaak_f64 v[62:63], v[38:39], v[62:63], 0xbf2a01a019e83e5c
	s_delay_alu instid0(VALU_DEP_1) | instskip(SKIP_1) | instid1(VALU_DEP_2)
	v_fmaak_f64 v[62:63], v[38:39], v[62:63], 0x3f81111111110bb3
	v_add_f64_e64 v[50:51], -v[42:43], 1.0
	v_fmac_f64_e32 v[56:57], v[58:59], v[62:63]
	v_mul_f64_e32 v[62:63], v[38:39], v[38:39]
	s_delay_alu instid0(VALU_DEP_3) | instskip(NEXT) | instid1(VALU_DEP_3)
	v_add_f64_e64 v[60:61], -v[50:51], 1.0
	v_fma_f64 v[56:57], v[38:39], v[56:57], -v[36:37]
	s_delay_alu instid0(VALU_DEP_2) | instskip(SKIP_1) | instid1(VALU_DEP_3)
	v_add_f64_e64 v[42:43], v[60:61], -v[42:43]
	v_fmaak_f64 v[60:61], v[40:41], v[68:69], 0xbf2a01a019e83e5c
	v_fmac_f64_e32 v[56:57], 0xbfc5555555555555, v[58:59]
	v_mul_f64_e32 v[68:69], v[40:41], v[40:41]
	s_delay_alu instid0(VALU_DEP_3) | instskip(NEXT) | instid1(VALU_DEP_1)
	v_fmaak_f64 v[60:61], v[40:41], v[60:61], 0x3f81111111110bb3
	v_fmac_f64_e32 v[64:65], v[66:67], v[60:61]
	v_fmamk_f64 v[60:61], v[38:39], 0xbda907db46cc5e42, v[28:29]
	v_fma_f64 v[36:37], v[34:35], -v[36:37], v[42:43]
	s_delay_alu instid0(VALU_DEP_2) | instskip(SKIP_1) | instid1(VALU_DEP_2)
	v_fmaak_f64 v[42:43], v[38:39], v[60:61], 0xbe927e4fa17f65f6
	v_add_f64_e64 v[34:35], v[34:35], -v[56:57]
	v_fmaak_f64 v[42:43], v[38:39], v[42:43], 0x3efa01a019f4ec90
	s_delay_alu instid0(VALU_DEP_1) | instskip(SKIP_2) | instid1(VALU_DEP_3)
	v_fmaak_f64 v[42:43], v[38:39], v[42:43], 0xbf56c16c16c16967
	v_fma_f64 v[60:61], v[40:41], v[64:65], -v[48:49]
	v_fmamk_f64 v[64:65], v[40:41], 0xbda907db46cc5e42, v[28:29]
	v_fmaak_f64 v[38:39], v[38:39], v[42:43], 0x3fa5555555555555
	s_delay_alu instid0(VALU_DEP_2) | instskip(NEXT) | instid1(VALU_DEP_2)
	v_fmaak_f64 v[42:43], v[40:41], v[64:65], 0xbe927e4fa17f65f6
	v_fmac_f64_e32 v[36:37], v[62:63], v[38:39]
	s_delay_alu instid0(VALU_DEP_2) | instskip(NEXT) | instid1(VALU_DEP_1)
	v_fmaak_f64 v[38:39], v[40:41], v[42:43], 0x3efa01a019f4ec90
	v_fmaak_f64 v[38:39], v[40:41], v[38:39], 0xbf56c16c16c16967
	s_delay_alu instid0(VALU_DEP_1) | instskip(SKIP_2) | instid1(VALU_DEP_1)
	v_fmaak_f64 v[38:39], v[40:41], v[38:39], 0x3fa5555555555555
	v_fmac_f64_e32 v[60:61], 0xbfc5555555555555, v[66:67]
	v_add_f64_e32 v[36:37], v[50:51], v[36:37]
	v_dual_mul_f64 v[44:45], 0.5, v[40:41] :: v_dual_cndmask_b32 v21, v36, v34, vcc_lo
	s_delay_alu instid0(VALU_DEP_1) | instskip(NEXT) | instid1(VALU_DEP_3)
	v_add_f64_e64 v[54:55], -v[44:45], 1.0
	v_cndmask_b32_e32 v9, v37, v35, vcc_lo
	s_delay_alu instid0(VALU_DEP_1) | instskip(NEXT) | instid1(VALU_DEP_1)
	v_bitop3_b32 v1, v9, v1, 0x80000000 bitop3:0x78
	v_cndmask_b32_e64 v9, 0x7ff80000, v1, s2
	s_delay_alu instid0(VALU_DEP_4) | instskip(NEXT) | instid1(VALU_DEP_1)
	v_add_f64_e64 v[70:71], -v[54:55], 1.0
	v_add_f64_e64 v[44:45], v[70:71], -v[44:45]
	s_delay_alu instid0(VALU_DEP_1) | instskip(NEXT) | instid1(VALU_DEP_1)
	v_fma_f64 v[44:45], v[46:47], -v[48:49], v[44:45]
	v_fmac_f64_e32 v[44:45], v[68:69], v[38:39]
	v_add_f64_e64 v[38:39], v[46:47], -v[60:61]
	s_delay_alu instid0(VALU_DEP_2) | instskip(NEXT) | instid1(VALU_DEP_2)
	v_add_f64_e32 v[40:41], v[54:55], v[44:45]
	v_xor_b32_e32 v34, 0x80000000, v39
	s_delay_alu instid0(VALU_DEP_1) | instskip(NEXT) | instid1(VALU_DEP_3)
	v_cndmask_b32_e64 v34, v34, v41, s3
	v_cndmask_b32_e64 v35, v38, v40, s3
	s_delay_alu instid0(VALU_DEP_2) | instskip(NEXT) | instid1(VALU_DEP_2)
	v_bitop3_b32 v36, v34, v8, 0x80000000 bitop3:0x78
	v_dual_cndmask_b32 v8, 0, v21, s2 :: v_dual_cndmask_b32 v34, 0, v35, s2
	s_delay_alu instid0(VALU_DEP_2) | instskip(NEXT) | instid1(VALU_DEP_1)
	v_cndmask_b32_e64 v35, 0x7ff80000, v36, s2
	v_mul_f64_e32 v[8:9], v[8:9], v[34:35]
.LBB155_119:                            ;   in Loop: Header=BB155_7 Depth=1
	s_or_b32 exec_lo, exec_lo, s36
	s_delay_alu instid0(VALU_DEP_1) | instskip(SKIP_1) | instid1(VALU_DEP_2)
	v_bfi_b32 v21, 0x7fffffff, 0, v9
	v_add_nc_u32_e32 v7, -2.0, v7
	v_mov_b64_e32 v[8:9], v[20:21]
.LBB155_120:                            ;   in Loop: Header=BB155_7 Depth=1
	s_or_b32 exec_lo, exec_lo, s35
.LBB155_121:                            ;   in Loop: Header=BB155_7 Depth=1
	s_delay_alu instid0(SALU_CYCLE_1) | instskip(SKIP_2) | instid1(VALU_DEP_1)
	s_or_b32 exec_lo, exec_lo, s34
	v_and_b32_e32 v1, 0x7fffffff, v3
	s_mov_b32 s2, exec_lo
	v_cmpx_gt_u32_e32 0x7ff00000, v1
	s_xor_b32 s3, exec_lo, s2
	s_cbranch_execz .LBB155_143
; %bb.122:                              ;   in Loop: Header=BB155_7 Depth=1
	v_cmp_class_f64_e64 s2, v[4:5], 0x1f8
	s_and_saveexec_b32 s34, s2
	s_delay_alu instid0(SALU_CYCLE_1)
	s_xor_b32 s34, exec_lo, s34
	s_cbranch_execz .LBB155_140
; %bb.123:                              ;   in Loop: Header=BB155_7 Depth=1
	s_mov_b32 s2, exec_lo
	v_cmpx_gt_u32_e32 0x40360000, v1
	s_xor_b32 s35, exec_lo, s2
	s_cbranch_execz .LBB155_129
; %bb.124:                              ;   in Loop: Header=BB155_7 Depth=1
	v_cmp_ngt_f64_e64 s2, 0x41d00000, |v[4:5]|
                                        ; implicit-def: $vgpr1
                                        ; implicit-def: $vgpr34_vgpr35
                                        ; implicit-def: $vgpr36_vgpr37
	s_and_saveexec_b32 s36, s2
	s_delay_alu instid0(SALU_CYCLE_1)
	s_xor_b32 s2, exec_lo, s36
	s_cbranch_execz .LBB155_126
; %bb.125:                              ;   in Loop: Header=BB155_7 Depth=1
	v_ldexp_f64 v[34:35], |v[4:5]|, 0xffffff80
	v_cmp_le_f64_e64 vcc_lo, 0x7b000000, |v[4:5]|
	v_trig_preop_f64 v[36:37], |v[4:5]|, 0
	v_and_b32_e32 v1, 0x7fffffff, v5
	v_trig_preop_f64 v[38:39], |v[4:5]|, 1
	v_trig_preop_f64 v[48:49], |v[4:5]|, 2
	s_delay_alu instid0(VALU_DEP_3) | instskip(NEXT) | instid1(VALU_DEP_1)
	v_dual_cndmask_b32 v35, v1, v35 :: v_dual_cndmask_b32 v34, v4, v34
	v_mul_f64_e32 v[40:41], v[36:37], v[34:35]
	s_delay_alu instid0(VALU_DEP_4) | instskip(NEXT) | instid1(VALU_DEP_4)
	v_mul_f64_e32 v[42:43], v[38:39], v[34:35]
	v_mul_f64_e32 v[54:55], v[48:49], v[34:35]
	s_delay_alu instid0(VALU_DEP_3) | instskip(NEXT) | instid1(VALU_DEP_3)
	v_fma_f64 v[36:37], v[36:37], v[34:35], -v[40:41]
	v_fma_f64 v[38:39], v[38:39], v[34:35], -v[42:43]
	s_delay_alu instid0(VALU_DEP_3) | instskip(NEXT) | instid1(VALU_DEP_3)
	v_fma_f64 v[34:35], v[48:49], v[34:35], -v[54:55]
	v_add_f64_e32 v[44:45], v[42:43], v[36:37]
	s_delay_alu instid0(VALU_DEP_1) | instskip(SKIP_1) | instid1(VALU_DEP_2)
	v_add_f64_e64 v[46:47], v[44:45], -v[42:43]
	v_add_f64_e32 v[52:53], v[40:41], v[44:45]
	v_add_f64_e64 v[50:51], v[44:45], -v[46:47]
	v_add_f64_e64 v[36:37], v[36:37], -v[46:47]
	s_delay_alu instid0(VALU_DEP_3) | instskip(NEXT) | instid1(VALU_DEP_3)
	v_ldexp_f64 v[46:47], v[52:53], -2
	v_add_f64_e64 v[42:43], v[42:43], -v[50:51]
	v_add_f64_e32 v[50:51], v[54:55], v[38:39]
	s_delay_alu instid0(VALU_DEP_3) | instskip(NEXT) | instid1(VALU_DEP_3)
	v_cmp_neq_f64_e64 vcc_lo, 0x7ff00000, |v[46:47]|
	v_add_f64_e32 v[36:37], v[36:37], v[42:43]
	v_fract_f64_e32 v[42:43], v[46:47]
	s_delay_alu instid0(VALU_DEP_1) | instskip(NEXT) | instid1(VALU_DEP_1)
	v_ldexp_f64 v[42:43], v[42:43], 2
	v_dual_add_f64 v[40:41], v[52:53], -v[40:41] :: v_dual_cndmask_b32 v42, 0, v42, vcc_lo
	s_delay_alu instid0(VALU_DEP_1) | instskip(SKIP_1) | instid1(VALU_DEP_1)
	v_dual_add_f64 v[40:41], v[44:45], -v[40:41] :: v_dual_cndmask_b32 v43, 0, v43, vcc_lo
	v_add_f64_e32 v[44:45], v[50:51], v[36:37]
	v_add_f64_e32 v[46:47], v[40:41], v[44:45]
	v_add_f64_e64 v[56:57], v[44:45], -v[50:51]
	s_delay_alu instid0(VALU_DEP_2) | instskip(NEXT) | instid1(VALU_DEP_2)
	v_add_f64_e32 v[52:53], v[46:47], v[42:43]
	v_add_f64_e64 v[62:63], v[44:45], -v[56:57]
	v_add_f64_e64 v[36:37], v[36:37], -v[56:57]
	;; [unrolled: 1-line block ×3, first 2 shown]
	s_delay_alu instid0(VALU_DEP_4) | instskip(SKIP_1) | instid1(VALU_DEP_3)
	v_cmp_gt_f64_e32 vcc_lo, 0, v[52:53]
	v_add_f64_e64 v[52:53], v[50:51], -v[54:55]
	v_add_f64_e64 v[40:41], v[44:45], -v[40:41]
	v_cndmask_b32_e64 v21, 0, 0x40100000, vcc_lo
	s_delay_alu instid0(VALU_DEP_3) | instskip(SKIP_2) | instid1(VALU_DEP_4)
	v_add_f64_e64 v[60:61], v[50:51], -v[52:53]
	v_add_f64_e64 v[38:39], v[38:39], -v[52:53]
	;; [unrolled: 1-line block ×3, first 2 shown]
	v_add_f64_e32 v[42:43], v[42:43], v[20:21]
	s_delay_alu instid0(VALU_DEP_4) | instskip(NEXT) | instid1(VALU_DEP_3)
	v_add_f64_e64 v[52:53], v[54:55], -v[60:61]
	v_add_f64_e32 v[36:37], v[36:37], v[50:51]
	s_delay_alu instid0(VALU_DEP_3) | instskip(NEXT) | instid1(VALU_DEP_3)
	v_add_f64_e32 v[58:59], v[46:47], v[42:43]
	v_add_f64_e32 v[38:39], v[38:39], v[52:53]
	s_delay_alu instid0(VALU_DEP_2) | instskip(NEXT) | instid1(VALU_DEP_2)
	v_cvt_i32_f64_e32 v1, v[58:59]
	v_add_f64_e32 v[36:37], v[38:39], v[36:37]
	s_delay_alu instid0(VALU_DEP_2) | instskip(NEXT) | instid1(VALU_DEP_2)
	v_cvt_f64_i32_e32 v[56:57], v1
	v_add_f64_e32 v[34:35], v[34:35], v[36:37]
	s_delay_alu instid0(VALU_DEP_2) | instskip(NEXT) | instid1(VALU_DEP_2)
	v_add_f64_e64 v[42:43], v[42:43], -v[56:57]
	v_add_f64_e32 v[34:35], v[40:41], v[34:35]
	s_delay_alu instid0(VALU_DEP_2) | instskip(NEXT) | instid1(VALU_DEP_1)
	v_add_f64_e32 v[38:39], v[46:47], v[42:43]
	v_add_f64_e64 v[36:37], v[38:39], -v[42:43]
	v_cmp_le_f64_e32 vcc_lo, 0.5, v[38:39]
	s_delay_alu instid0(VALU_DEP_2) | instskip(SKIP_2) | instid1(VALU_DEP_3)
	v_add_f64_e64 v[36:37], v[46:47], -v[36:37]
	v_cndmask_b32_e64 v21, 0, 0x3ff00000, vcc_lo
	v_add_co_ci_u32_e64 v1, null, 0, v1, vcc_lo
	v_add_f64_e32 v[34:35], v[34:35], v[36:37]
	s_delay_alu instid0(VALU_DEP_3) | instskip(NEXT) | instid1(VALU_DEP_1)
	v_add_f64_e64 v[36:37], v[38:39], -v[20:21]
	v_add_f64_e32 v[38:39], v[36:37], v[34:35]
	s_delay_alu instid0(VALU_DEP_1) | instskip(SKIP_1) | instid1(VALU_DEP_2)
	v_mul_f64_e32 v[40:41], 0x3ff921fb54442d18, v[38:39]
	v_add_f64_e64 v[36:37], v[38:39], -v[36:37]
	v_fma_f64 v[42:43], v[38:39], s[12:13], -v[40:41]
	s_delay_alu instid0(VALU_DEP_2) | instskip(NEXT) | instid1(VALU_DEP_2)
	v_add_f64_e64 v[34:35], v[34:35], -v[36:37]
	v_fmac_f64_e32 v[42:43], 0x3c91a62633145c07, v[38:39]
	s_delay_alu instid0(VALU_DEP_1) | instskip(NEXT) | instid1(VALU_DEP_1)
	v_fmac_f64_e32 v[42:43], 0x3ff921fb54442d18, v[34:35]
	v_add_f64_e32 v[34:35], v[40:41], v[42:43]
	s_delay_alu instid0(VALU_DEP_1) | instskip(NEXT) | instid1(VALU_DEP_1)
	v_add_f64_e64 v[36:37], v[34:35], -v[40:41]
	v_add_f64_e64 v[36:37], v[42:43], -v[36:37]
.LBB155_126:                            ;   in Loop: Header=BB155_7 Depth=1
	s_and_not1_saveexec_b32 s2, s2
	s_cbranch_execz .LBB155_128
; %bb.127:                              ;   in Loop: Header=BB155_7 Depth=1
	v_mul_f64_e64 v[34:35], |v[4:5]|, s[14:15]
	s_delay_alu instid0(VALU_DEP_1) | instskip(NEXT) | instid1(VALU_DEP_1)
	v_rndne_f64_e32 v[38:39], v[34:35]
	v_fma_f64 v[34:35], v[38:39], s[16:17], |v[4:5]|
	v_mul_f64_e32 v[36:37], 0xbc91a62633145c00, v[38:39]
	v_cvt_i32_f64_e32 v1, v[38:39]
	s_delay_alu instid0(VALU_DEP_3) | instskip(NEXT) | instid1(VALU_DEP_3)
	v_fmamk_f64 v[44:45], v[38:39], 0xbc91a62633145c00, v[34:35]
	v_add_f64_e32 v[40:41], v[34:35], v[36:37]
	s_delay_alu instid0(VALU_DEP_1) | instskip(NEXT) | instid1(VALU_DEP_3)
	v_add_f64_e64 v[42:43], v[34:35], -v[40:41]
	v_add_f64_e64 v[34:35], v[40:41], -v[44:45]
	s_delay_alu instid0(VALU_DEP_2) | instskip(SKIP_1) | instid1(VALU_DEP_2)
	v_add_f64_e32 v[40:41], v[42:43], v[36:37]
	v_fmamk_f64 v[36:37], v[38:39], 0x3c91a62633145c00, v[36:37]
	v_add_f64_e32 v[34:35], v[34:35], v[40:41]
	s_delay_alu instid0(VALU_DEP_1) | instskip(NEXT) | instid1(VALU_DEP_1)
	v_add_f64_e64 v[36:37], v[34:35], -v[36:37]
	v_fmac_f64_e32 v[36:37], 0xb97b839a252049c0, v[38:39]
	s_delay_alu instid0(VALU_DEP_1) | instskip(NEXT) | instid1(VALU_DEP_1)
	v_add_f64_e32 v[34:35], v[44:45], v[36:37]
	v_add_f64_e64 v[40:41], v[34:35], -v[44:45]
	s_delay_alu instid0(VALU_DEP_1)
	v_add_f64_e64 v[36:37], v[36:37], -v[40:41]
.LBB155_128:                            ;   in Loop: Header=BB155_7 Depth=1
	s_or_b32 exec_lo, exec_lo, s2
	v_add_f64_e64 v[38:39], |v[2:3]|, s[18:19]
	v_cmp_nge_f64_e64 vcc_lo, |v[2:3]|, s[20:21]
	v_dual_mul_f64 v[56:57], v[34:35], v[34:35] :: v_dual_bitop2_b32 v1, 1, v1 bitop3:0x40
	s_delay_alu instid0(VALU_DEP_4) | instskip(NEXT) | instid1(VALU_DEP_2)
	v_add_f64_e32 v[58:59], v[36:37], v[36:37]
	v_cmp_eq_u32_e64 s2, 0, v1
	v_add_f64_e64 v[40:41], v[38:39], -|v[2:3]|
	s_delay_alu instid0(VALU_DEP_4) | instskip(NEXT) | instid1(VALU_DEP_2)
	v_fma_f64 v[60:61], v[34:35], v[34:35], -v[56:57]
	v_add_f64_e64 v[42:43], v[40:41], -v[38:39]
	v_add_f64_e32 v[40:41], 0x3fe62e42fefa39ef, v[40:41]
	s_delay_alu instid0(VALU_DEP_3) | instskip(NEXT) | instid1(VALU_DEP_3)
	v_fmac_f64_e32 v[60:61], v[34:35], v[58:59]
	v_add_f64_e64 v[42:43], |v[2:3]|, v[42:43]
	s_delay_alu instid0(VALU_DEP_2) | instskip(NEXT) | instid1(VALU_DEP_2)
	v_add_f64_e32 v[56:57], v[56:57], v[60:61]
	v_add_f64_e64 v[40:41], v[42:43], -v[40:41]
	s_delay_alu instid0(VALU_DEP_2) | instskip(NEXT) | instid1(VALU_DEP_1)
	v_fmamk_f64 v[60:61], v[56:57], 0x3ef5e089c751c08c, v[24:25]
	v_fmaak_f64 v[60:61], v[56:57], v[60:61], 0x3f17746f90a8aae0
	s_delay_alu instid0(VALU_DEP_1) | instskip(NEXT) | instid1(VALU_DEP_4)
	v_fmaak_f64 v[60:61], v[56:57], v[60:61], 0xbefbb44da6fbf144
	v_add_f64_e32 v[40:41], 0xbc7abc9e3b39803f, v[40:41]
	s_delay_alu instid0(VALU_DEP_1) | instskip(NEXT) | instid1(VALU_DEP_1)
	v_add_f64_e32 v[42:43], v[38:39], v[40:41]
	v_mul_f64_e32 v[44:45], 0x3ff71547652b82fe, v[42:43]
	v_add_f64_e64 v[38:39], v[38:39], -v[42:43]
	s_delay_alu instid0(VALU_DEP_2) | instskip(NEXT) | instid1(VALU_DEP_2)
	v_rndne_f64_e32 v[44:45], v[44:45]
	v_add_f64_e32 v[38:39], v[40:41], v[38:39]
	s_delay_alu instid0(VALU_DEP_2) | instskip(SKIP_2) | instid1(VALU_DEP_3)
	v_fmac_f64_e32 v[42:43], 0xbfe62e42fefa3000, v[44:45]
	v_mul_f64_e32 v[40:41], 0xbd53de6af278e000, v[44:45]
	v_cvt_i32_f64_e32 v4, v[44:45]
	v_add_f64_e32 v[46:47], v[38:39], v[42:43]
	s_delay_alu instid0(VALU_DEP_1) | instskip(SKIP_1) | instid1(VALU_DEP_2)
	v_add_f64_e32 v[48:49], v[46:47], v[40:41]
	v_add_f64_e64 v[42:43], v[42:43], -v[46:47]
	v_add_f64_e64 v[46:47], v[46:47], -v[48:49]
	s_delay_alu instid0(VALU_DEP_2) | instskip(NEXT) | instid1(VALU_DEP_2)
	v_add_f64_e32 v[38:39], v[38:39], v[42:43]
	v_add_f64_e32 v[40:41], v[46:47], v[40:41]
	s_delay_alu instid0(VALU_DEP_1) | instskip(SKIP_1) | instid1(VALU_DEP_2)
	v_add_f64_e32 v[38:39], v[38:39], v[40:41]
	v_mul_f64_e32 v[40:41], 0xbac9cc01f97b57a0, v[44:45]
	v_add_f64_e32 v[42:43], v[48:49], v[38:39]
	s_delay_alu instid0(VALU_DEP_1) | instskip(SKIP_1) | instid1(VALU_DEP_2)
	v_add_f64_e32 v[46:47], v[42:43], v[40:41]
	v_add_f64_e64 v[48:49], v[48:49], -v[42:43]
	v_add_f64_e64 v[42:43], v[42:43], -v[46:47]
	s_delay_alu instid0(VALU_DEP_2) | instskip(NEXT) | instid1(VALU_DEP_2)
	v_add_f64_e32 v[38:39], v[38:39], v[48:49]
	v_add_f64_e32 v[40:41], v[42:43], v[40:41]
	s_delay_alu instid0(VALU_DEP_1) | instskip(NEXT) | instid1(VALU_DEP_1)
	v_add_f64_e32 v[38:39], v[38:39], v[40:41]
	v_add_f64_e32 v[40:41], v[46:47], v[38:39]
	s_delay_alu instid0(VALU_DEP_1) | instskip(SKIP_1) | instid1(VALU_DEP_2)
	v_add_f64_e64 v[42:43], v[46:47], -v[40:41]
	v_mul_f64_e32 v[46:47], v[40:41], v[40:41]
	v_add_f64_e32 v[38:39], v[38:39], v[42:43]
	s_delay_alu instid0(VALU_DEP_2) | instskip(NEXT) | instid1(VALU_DEP_2)
	v_fma_f64 v[42:43], v[40:41], v[40:41], -v[46:47]
	v_add_f64_e32 v[48:49], v[38:39], v[38:39]
	s_delay_alu instid0(VALU_DEP_1) | instskip(SKIP_1) | instid1(VALU_DEP_1)
	v_fmac_f64_e32 v[42:43], v[40:41], v[48:49]
	v_fmamk_f64 v[48:49], v[40:41], 0x3e5ade156a5dcb37, v[26:27]
	v_fmaak_f64 v[48:49], v[40:41], v[48:49], 0x3ec71dee623fde64
	s_delay_alu instid0(VALU_DEP_1) | instskip(NEXT) | instid1(VALU_DEP_1)
	v_fmaak_f64 v[48:49], v[40:41], v[48:49], 0x3efa01997c89e6b0
	v_fmaak_f64 v[48:49], v[40:41], v[48:49], 0x3f2a01a014761f6e
	s_delay_alu instid0(VALU_DEP_1) | instskip(SKIP_1) | instid1(VALU_DEP_2)
	v_fmaak_f64 v[48:49], v[40:41], v[48:49], 0x3f56c16c1852b7b0
	v_add_f64_e32 v[50:51], v[46:47], v[42:43]
	v_fmaak_f64 v[48:49], v[40:41], v[48:49], 0x3f81111111122322
	s_delay_alu instid0(VALU_DEP_1) | instskip(NEXT) | instid1(VALU_DEP_1)
	v_fmaak_f64 v[48:49], v[40:41], v[48:49], 0x3fa55555555502a1
	v_fmaak_f64 v[48:49], v[40:41], v[48:49], 0x3fc5555555555511
	s_delay_alu instid0(VALU_DEP_1) | instskip(SKIP_1) | instid1(VALU_DEP_2)
	v_fmaak_f64 v[48:49], v[40:41], v[48:49], 0x3fe000000000000b
	v_add_f64_e64 v[46:47], v[50:51], -v[46:47]
	v_mul_f64_e32 v[52:53], v[50:51], v[48:49]
	s_delay_alu instid0(VALU_DEP_2) | instskip(NEXT) | instid1(VALU_DEP_2)
	v_add_f64_e64 v[42:43], v[42:43], -v[46:47]
	v_fma_f64 v[46:47], v[50:51], v[48:49], -v[52:53]
	s_delay_alu instid0(VALU_DEP_1) | instskip(NEXT) | instid1(VALU_DEP_1)
	v_fmac_f64_e32 v[46:47], v[42:43], v[48:49]
	v_add_f64_e32 v[42:43], v[52:53], v[46:47]
	s_delay_alu instid0(VALU_DEP_1) | instskip(SKIP_1) | instid1(VALU_DEP_2)
	v_add_f64_e32 v[48:49], v[40:41], v[42:43]
	v_add_f64_e64 v[50:51], v[42:43], -v[52:53]
	v_add_f64_e64 v[40:41], v[48:49], -v[40:41]
	s_delay_alu instid0(VALU_DEP_2) | instskip(NEXT) | instid1(VALU_DEP_2)
	v_add_f64_e64 v[46:47], v[46:47], -v[50:51]
	v_add_f64_e64 v[40:41], v[42:43], -v[40:41]
	s_delay_alu instid0(VALU_DEP_2) | instskip(NEXT) | instid1(VALU_DEP_1)
	v_add_f64_e32 v[38:39], v[38:39], v[46:47]
	v_add_f64_e32 v[38:39], v[38:39], v[40:41]
	s_delay_alu instid0(VALU_DEP_1) | instskip(NEXT) | instid1(VALU_DEP_1)
	v_add_f64_e32 v[40:41], v[48:49], v[38:39]
	v_add_f64_e32 v[42:43], 1.0, v[40:41]
	v_add_f64_e64 v[46:47], v[40:41], -v[48:49]
	s_delay_alu instid0(VALU_DEP_2) | instskip(NEXT) | instid1(VALU_DEP_2)
	v_add_f64_e32 v[48:49], -1.0, v[42:43]
	v_add_f64_e64 v[38:39], v[38:39], -v[46:47]
	s_delay_alu instid0(VALU_DEP_2) | instskip(NEXT) | instid1(VALU_DEP_1)
	v_add_f64_e64 v[40:41], v[40:41], -v[48:49]
	v_add_f64_e32 v[38:39], v[38:39], v[40:41]
	s_delay_alu instid0(VALU_DEP_1) | instskip(NEXT) | instid1(VALU_DEP_1)
	v_add_f64_e32 v[40:41], v[42:43], v[38:39]
	v_ldexp_f64 v[44:45], v[40:41], v4
	v_add_f64_e64 v[40:41], v[40:41], -v[42:43]
	s_delay_alu instid0(VALU_DEP_2) | instskip(NEXT) | instid1(VALU_DEP_1)
	v_rcp_f64_e32 v[46:47], v[44:45]
	v_add_f64_e64 v[38:39], v[38:39], -v[40:41]
	s_delay_alu instid0(VALU_DEP_1) | instskip(NEXT) | instid1(TRANS32_DEP_1)
	v_ldexp_f64 v[38:39], v[38:39], v4
	v_fma_f64 v[48:49], -v[44:45], v[46:47], 1.0
	s_delay_alu instid0(VALU_DEP_1) | instskip(NEXT) | instid1(VALU_DEP_1)
	v_fmac_f64_e32 v[46:47], v[48:49], v[46:47]
	v_fma_f64 v[48:49], -v[44:45], v[46:47], 1.0
	s_delay_alu instid0(VALU_DEP_1) | instskip(NEXT) | instid1(VALU_DEP_1)
	v_fmac_f64_e32 v[46:47], v[48:49], v[46:47]
	v_mul_f64_e32 v[40:41], v[44:45], v[46:47]
	s_delay_alu instid0(VALU_DEP_1) | instskip(NEXT) | instid1(VALU_DEP_1)
	v_fma_f64 v[42:43], v[46:47], v[44:45], -v[40:41]
	v_fmac_f64_e32 v[42:43], v[46:47], v[38:39]
	s_delay_alu instid0(VALU_DEP_1) | instskip(NEXT) | instid1(VALU_DEP_1)
	v_add_f64_e32 v[48:49], v[40:41], v[42:43]
	v_add_f64_e64 v[50:51], -v[48:49], 1.0
	v_add_f64_e64 v[40:41], v[48:49], -v[40:41]
	s_delay_alu instid0(VALU_DEP_2) | instskip(NEXT) | instid1(VALU_DEP_2)
	v_add_f64_e64 v[52:53], -v[50:51], 1.0
	v_add_f64_e64 v[40:41], v[40:41], -v[42:43]
	s_delay_alu instid0(VALU_DEP_2) | instskip(NEXT) | instid1(VALU_DEP_1)
	v_add_f64_e64 v[42:43], v[52:53], -v[48:49]
	v_add_f64_e32 v[40:41], v[40:41], v[42:43]
	s_delay_alu instid0(VALU_DEP_1) | instskip(NEXT) | instid1(VALU_DEP_1)
	v_add_f64_e32 v[42:43], v[50:51], v[40:41]
	v_mul_f64_e32 v[48:49], v[46:47], v[42:43]
	v_add_f64_e64 v[50:51], v[50:51], -v[42:43]
	s_delay_alu instid0(VALU_DEP_2) | instskip(NEXT) | instid1(VALU_DEP_2)
	v_mul_f64_e32 v[52:53], v[44:45], v[48:49]
	v_add_f64_e32 v[40:41], v[40:41], v[50:51]
	s_delay_alu instid0(VALU_DEP_2) | instskip(NEXT) | instid1(VALU_DEP_1)
	v_fma_f64 v[54:55], v[48:49], v[44:45], -v[52:53]
	v_fmac_f64_e32 v[54:55], v[48:49], v[38:39]
	s_delay_alu instid0(VALU_DEP_1) | instskip(NEXT) | instid1(VALU_DEP_1)
	v_add_f64_e32 v[62:63], v[52:53], v[54:55]
	v_add_f64_e64 v[58:59], v[42:43], -v[62:63]
	v_add_f64_e64 v[50:51], v[62:63], -v[52:53]
	v_fmaak_f64 v[52:53], v[56:57], v[60:61], 0x3f21e634a7943acf
	s_delay_alu instid0(VALU_DEP_1) | instskip(NEXT) | instid1(VALU_DEP_1)
	v_fmaak_f64 v[52:53], v[56:57], v[52:53], 0x3f2d250fdeb68feb
	v_fmaak_f64 v[52:53], v[56:57], v[52:53], 0x3f437fd9b58c4d95
	s_delay_alu instid0(VALU_DEP_1) | instskip(NEXT) | instid1(VALU_DEP_1)
	v_fmaak_f64 v[52:53], v[56:57], v[52:53], 0x3f57d5af15120e2c
	v_fmaak_f64 v[52:53], v[56:57], v[52:53], 0x3f6d6d93e09491df
	v_add_f64_e64 v[42:43], v[42:43], -v[58:59]
	v_add_f64_e64 v[50:51], v[50:51], -v[54:55]
	s_delay_alu instid0(VALU_DEP_2) | instskip(NEXT) | instid1(VALU_DEP_1)
	v_add_f64_e64 v[42:43], v[42:43], -v[62:63]
	v_add_f64_e32 v[40:41], v[40:41], v[42:43]
	v_fmaak_f64 v[42:43], v[56:57], v[52:53], 0x3f8226e12033784d
	v_add_f64_e32 v[52:53], v[46:47], v[48:49]
	s_delay_alu instid0(VALU_DEP_2) | instskip(NEXT) | instid1(VALU_DEP_1)
	v_fmaak_f64 v[42:43], v[56:57], v[42:43], 0x3f9664f49ac36ae2
	v_fmaak_f64 v[42:43], v[56:57], v[42:43], 0x3faba1ba1b451c21
	s_delay_alu instid0(VALU_DEP_1) | instskip(NEXT) | instid1(VALU_DEP_1)
	v_fmaak_f64 v[42:43], v[56:57], v[42:43], 0x3fc11111111185b7
	v_fmaak_f64 v[42:43], v[56:57], v[42:43], 0x3fd55555555554ee
	v_add_f64_e32 v[40:41], v[50:51], v[40:41]
	v_add_f64_e64 v[50:51], v[52:53], -v[46:47]
	s_delay_alu instid0(VALU_DEP_3) | instskip(NEXT) | instid1(VALU_DEP_3)
	v_mul_f64_e32 v[42:43], v[56:57], v[42:43]
	v_add_f64_e32 v[40:41], v[58:59], v[40:41]
	s_delay_alu instid0(VALU_DEP_3) | instskip(NEXT) | instid1(VALU_DEP_3)
	v_add_f64_e64 v[48:49], v[48:49], -v[50:51]
	v_mul_f64_e32 v[54:55], v[34:35], v[42:43]
	s_delay_alu instid0(VALU_DEP_3) | instskip(NEXT) | instid1(VALU_DEP_2)
	v_mul_f64_e32 v[40:41], v[46:47], v[40:41]
	v_add_f64_e32 v[46:47], v[34:35], v[54:55]
	v_fma_f64 v[42:43], v[34:35], v[42:43], -v[54:55]
	s_delay_alu instid0(VALU_DEP_3) | instskip(NEXT) | instid1(VALU_DEP_3)
	v_add_f64_e32 v[40:41], v[48:49], v[40:41]
	v_add_f64_e64 v[34:35], v[46:47], -v[34:35]
	s_delay_alu instid0(VALU_DEP_3) | instskip(NEXT) | instid1(VALU_DEP_3)
	v_add_f64_e32 v[36:37], v[36:37], v[42:43]
	v_add_f64_e32 v[48:49], v[52:53], v[40:41]
	s_delay_alu instid0(VALU_DEP_3) | instskip(NEXT) | instid1(VALU_DEP_2)
	v_add_f64_e64 v[34:35], v[54:55], -v[34:35]
	v_ldexp_f64 v[42:43], v[48:49], -2
	v_add_f64_e64 v[48:49], v[48:49], -v[52:53]
	s_delay_alu instid0(VALU_DEP_3) | instskip(NEXT) | instid1(VALU_DEP_3)
	v_add_f64_e32 v[34:35], v[36:37], v[34:35]
	v_add_f64_e64 v[36:37], v[44:45], -v[42:43]
	s_delay_alu instid0(VALU_DEP_3) | instskip(NEXT) | instid1(VALU_DEP_3)
	v_add_f64_e64 v[40:41], v[40:41], -v[48:49]
	v_add_f64_e32 v[50:51], v[46:47], v[34:35]
	s_delay_alu instid0(VALU_DEP_3) | instskip(NEXT) | instid1(VALU_DEP_3)
	v_add_f64_e64 v[44:45], v[44:45], -v[36:37]
	v_ldexp_f64 v[40:41], v[40:41], -2
	s_delay_alu instid0(VALU_DEP_3) | instskip(NEXT) | instid1(VALU_DEP_2)
	v_rcp_f64_e32 v[52:53], v[50:51]
	v_add_f64_e64 v[42:43], v[44:45], -v[42:43]
	s_delay_alu instid0(TRANS32_DEP_1) | instskip(NEXT) | instid1(VALU_DEP_2)
	v_fma_f64 v[44:45], -v[50:51], v[52:53], 1.0
	v_add_f64_e32 v[38:39], v[38:39], v[42:43]
	s_delay_alu instid0(VALU_DEP_2) | instskip(NEXT) | instid1(VALU_DEP_2)
	v_fmac_f64_e32 v[52:53], v[44:45], v[52:53]
	v_add_f64_e64 v[38:39], v[38:39], -v[40:41]
	s_delay_alu instid0(VALU_DEP_2) | instskip(NEXT) | instid1(VALU_DEP_2)
	v_fma_f64 v[40:41], -v[50:51], v[52:53], 1.0
	v_add_f64_e32 v[36:37], v[36:37], v[38:39]
	s_delay_alu instid0(VALU_DEP_2) | instskip(SKIP_1) | instid1(VALU_DEP_3)
	v_fmac_f64_e32 v[52:53], v[40:41], v[52:53]
	v_and_b32_e32 v40, 0x7fffffff, v3
	v_cndmask_b32_e32 v4, 0x7ff00000, v37, vcc_lo
	s_delay_alu instid0(VALU_DEP_4) | instskip(SKIP_3) | instid1(VALU_DEP_3)
	v_cndmask_b32_e32 v21, 0, v36, vcc_lo
	v_cmp_gt_f64_e64 vcc_lo, 0x3e400000, |v[2:3]|
	v_add_f64_e64 v[36:37], v[50:51], -v[46:47]
	v_mul_f64_e32 v[38:39], v[50:51], v[52:53]
	v_dual_cndmask_b32 v4, v4, v40, vcc_lo :: v_dual_cndmask_b32 v2, v21, v2, vcc_lo
	s_delay_alu instid0(VALU_DEP_3) | instskip(NEXT) | instid1(VALU_DEP_2)
	v_add_f64_e64 v[34:35], v[34:35], -v[36:37]
	v_bfi_b32 v3, 0x7fffffff, v4, v3
	s_delay_alu instid0(VALU_DEP_4) | instskip(NEXT) | instid1(VALU_DEP_2)
	v_fma_f64 v[36:37], v[52:53], v[50:51], -v[38:39]
	v_fma_f64 v[40:41], v[2:3], v[2:3], 1.0
	s_delay_alu instid0(VALU_DEP_2) | instskip(NEXT) | instid1(VALU_DEP_2)
	v_fmac_f64_e32 v[36:37], v[52:53], v[34:35]
	v_cmp_gt_f64_e32 vcc_lo, 0x10000000, v[40:41]
	v_cndmask_b32_e64 v4, 0, 0x100, vcc_lo
	s_delay_alu instid0(VALU_DEP_1) | instskip(NEXT) | instid1(VALU_DEP_4)
	v_ldexp_f64 v[34:35], v[40:41], v4
	v_add_f64_e32 v[40:41], v[38:39], v[36:37]
	s_delay_alu instid0(VALU_DEP_2) | instskip(NEXT) | instid1(VALU_DEP_1)
	v_rsq_f64_e32 v[42:43], v[34:35]
	v_add_f64_e64 v[44:45], -v[40:41], 1.0
	v_add_f64_e64 v[38:39], v[40:41], -v[38:39]
	s_delay_alu instid0(VALU_DEP_2) | instskip(NEXT) | instid1(VALU_DEP_2)
	v_add_f64_e64 v[48:49], -v[44:45], 1.0
	v_add_f64_e64 v[36:37], v[38:39], -v[36:37]
	s_delay_alu instid0(TRANS32_DEP_1) | instskip(SKIP_1) | instid1(VALU_DEP_4)
	v_mul_f64_e32 v[46:47], v[34:35], v[42:43]
	v_mul_f64_e32 v[42:43], 0.5, v[42:43]
	v_add_f64_e64 v[38:39], v[48:49], -v[40:41]
	s_delay_alu instid0(VALU_DEP_2) | instskip(NEXT) | instid1(VALU_DEP_2)
	v_fma_f64 v[54:55], -v[42:43], v[46:47], 0.5
	v_add_f64_e32 v[36:37], v[36:37], v[38:39]
	s_delay_alu instid0(VALU_DEP_2) | instskip(SKIP_1) | instid1(VALU_DEP_3)
	v_fmac_f64_e32 v[46:47], v[46:47], v[54:55]
	v_fmac_f64_e32 v[42:43], v[42:43], v[54:55]
	v_add_f64_e32 v[36:37], v[44:45], v[36:37]
	s_delay_alu instid0(VALU_DEP_3) | instskip(NEXT) | instid1(VALU_DEP_2)
	v_fma_f64 v[38:39], -v[46:47], v[46:47], v[34:35]
	v_mul_f64_e32 v[36:37], v[52:53], v[36:37]
	s_delay_alu instid0(VALU_DEP_2) | instskip(NEXT) | instid1(VALU_DEP_2)
	v_fmac_f64_e32 v[46:47], v[38:39], v[42:43]
	v_add_f64_e32 v[36:37], v[52:53], v[36:37]
	s_delay_alu instid0(VALU_DEP_2) | instskip(NEXT) | instid1(VALU_DEP_2)
	v_fma_f64 v[38:39], -v[46:47], v[46:47], v[34:35]
	v_xor_b32_e32 v21, 0x80000000, v37
	s_delay_alu instid0(VALU_DEP_1) | instskip(NEXT) | instid1(VALU_DEP_3)
	v_dual_cndmask_b32 v4, v36, v50, s2 :: v_dual_cndmask_b32 v1, v21, v51, s2
	v_fmac_f64_e32 v[46:47], v[38:39], v[42:43]
	v_cndmask_b32_e64 v21, 0, 0xffffff80, vcc_lo
	v_cmp_class_f64_e64 vcc_lo, v[34:35], 0x260
	s_delay_alu instid0(VALU_DEP_4) | instskip(NEXT) | instid1(VALU_DEP_1)
	v_bitop3_b32 v5, v1, v5, 0x80000000 bitop3:0x78
	v_fma_f64 v[38:39], v[4:5], v[4:5], 1.0
	s_delay_alu instid0(VALU_DEP_4) | instskip(NEXT) | instid1(VALU_DEP_1)
	v_ldexp_f64 v[36:37], v[46:47], v21
	v_dual_cndmask_b32 v35, v37, v35 :: v_dual_cndmask_b32 v34, v36, v34
	s_delay_alu instid0(VALU_DEP_3) | instskip(NEXT) | instid1(VALU_DEP_2)
	v_mul_f64_e32 v[36:37], v[2:3], v[38:39]
	v_mul_f64_e32 v[34:35], v[34:35], v[38:39]
	s_delay_alu instid0(VALU_DEP_2) | instskip(NEXT) | instid1(VALU_DEP_2)
	v_fma_f64 v[36:37], v[2:3], v[36:37], 1.0
	v_mul_f64_e32 v[2:3], v[2:3], v[34:35]
	s_delay_alu instid0(VALU_DEP_2) | instskip(NEXT) | instid1(VALU_DEP_2)
	v_div_scale_f64 v[38:39], null, v[36:37], v[36:37], v[4:5]
	v_div_scale_f64 v[34:35], null, v[36:37], v[36:37], v[2:3]
	v_div_scale_f64 v[48:49], vcc_lo, v[2:3], v[36:37], v[2:3]
	s_delay_alu instid0(VALU_DEP_3) | instskip(NEXT) | instid1(VALU_DEP_2)
	v_rcp_f64_e32 v[42:43], v[38:39]
	v_rcp_f64_e32 v[40:41], v[34:35]
	s_delay_alu instid0(TRANS32_DEP_2) | instskip(NEXT) | instid1(TRANS32_DEP_1)
	v_fma_f64 v[46:47], -v[38:39], v[42:43], 1.0
	v_fma_f64 v[44:45], -v[34:35], v[40:41], 1.0
	s_delay_alu instid0(VALU_DEP_2) | instskip(NEXT) | instid1(VALU_DEP_2)
	v_fmac_f64_e32 v[42:43], v[42:43], v[46:47]
	v_fmac_f64_e32 v[40:41], v[40:41], v[44:45]
	s_delay_alu instid0(VALU_DEP_2) | instskip(NEXT) | instid1(VALU_DEP_2)
	v_fma_f64 v[46:47], -v[38:39], v[42:43], 1.0
	v_fma_f64 v[44:45], -v[34:35], v[40:41], 1.0
	s_delay_alu instid0(VALU_DEP_2) | instskip(NEXT) | instid1(VALU_DEP_2)
	v_fmac_f64_e32 v[42:43], v[42:43], v[46:47]
	v_fmac_f64_e32 v[40:41], v[40:41], v[44:45]
	v_div_scale_f64 v[44:45], s2, v[4:5], v[36:37], v[4:5]
	s_delay_alu instid0(VALU_DEP_2) | instskip(NEXT) | instid1(VALU_DEP_2)
	v_mul_f64_e32 v[46:47], v[48:49], v[40:41]
	v_mul_f64_e32 v[50:51], v[44:45], v[42:43]
	s_delay_alu instid0(VALU_DEP_2) | instskip(NEXT) | instid1(VALU_DEP_2)
	v_fma_f64 v[34:35], -v[34:35], v[46:47], v[48:49]
	v_fma_f64 v[38:39], -v[38:39], v[50:51], v[44:45]
	s_delay_alu instid0(VALU_DEP_2) | instskip(SKIP_1) | instid1(VALU_DEP_2)
	v_div_fmas_f64 v[34:35], v[34:35], v[40:41], v[46:47]
	s_mov_b32 vcc_lo, s2
	v_div_fmas_f64 v[38:39], v[38:39], v[42:43], v[50:51]
	s_delay_alu instid0(VALU_DEP_2) | instskip(NEXT) | instid1(VALU_DEP_2)
	v_div_fixup_f64 v[2:3], v[34:35], v[36:37], v[2:3]
	v_div_fixup_f64 v[4:5], v[38:39], v[36:37], v[4:5]
.LBB155_129:                            ;   in Loop: Header=BB155_7 Depth=1
	s_and_not1_saveexec_b32 s2, s35
	s_cbranch_execz .LBB155_139
; %bb.130:                              ;   in Loop: Header=BB155_7 Depth=1
	s_delay_alu instid0(VALU_DEP_1) | instskip(SKIP_1) | instid1(SALU_CYCLE_1)
	v_cmp_ngt_f64_e64 s35, 0x41d00000, |v[4:5]|
                                        ; implicit-def: $vgpr1
                                        ; implicit-def: $vgpr34_vgpr35
                                        ; implicit-def: $vgpr36_vgpr37
	s_and_saveexec_b32 s36, s35
	s_xor_b32 s36, exec_lo, s36
	s_cbranch_execz .LBB155_132
; %bb.131:                              ;   in Loop: Header=BB155_7 Depth=1
	v_ldexp_f64 v[34:35], |v[4:5]|, 0xffffff80
	v_cmp_le_f64_e64 vcc_lo, 0x7b000000, |v[4:5]|
	v_trig_preop_f64 v[36:37], |v[4:5]|, 0
	v_and_b32_e32 v1, 0x7fffffff, v5
	v_trig_preop_f64 v[38:39], |v[4:5]|, 1
	v_trig_preop_f64 v[48:49], |v[4:5]|, 2
	s_delay_alu instid0(VALU_DEP_3) | instskip(NEXT) | instid1(VALU_DEP_1)
	v_dual_cndmask_b32 v35, v1, v35 :: v_dual_cndmask_b32 v34, v4, v34
	v_mul_f64_e32 v[40:41], v[36:37], v[34:35]
	s_delay_alu instid0(VALU_DEP_4) | instskip(NEXT) | instid1(VALU_DEP_4)
	v_mul_f64_e32 v[42:43], v[38:39], v[34:35]
	v_mul_f64_e32 v[54:55], v[48:49], v[34:35]
	s_delay_alu instid0(VALU_DEP_3) | instskip(NEXT) | instid1(VALU_DEP_3)
	v_fma_f64 v[36:37], v[36:37], v[34:35], -v[40:41]
	v_fma_f64 v[38:39], v[38:39], v[34:35], -v[42:43]
	s_delay_alu instid0(VALU_DEP_3) | instskip(NEXT) | instid1(VALU_DEP_3)
	v_fma_f64 v[34:35], v[48:49], v[34:35], -v[54:55]
	v_add_f64_e32 v[44:45], v[42:43], v[36:37]
	s_delay_alu instid0(VALU_DEP_1) | instskip(SKIP_1) | instid1(VALU_DEP_2)
	v_add_f64_e64 v[46:47], v[44:45], -v[42:43]
	v_add_f64_e32 v[52:53], v[40:41], v[44:45]
	v_add_f64_e64 v[50:51], v[44:45], -v[46:47]
	v_add_f64_e64 v[36:37], v[36:37], -v[46:47]
	s_delay_alu instid0(VALU_DEP_3) | instskip(NEXT) | instid1(VALU_DEP_3)
	v_ldexp_f64 v[46:47], v[52:53], -2
	v_add_f64_e64 v[42:43], v[42:43], -v[50:51]
	v_add_f64_e32 v[50:51], v[54:55], v[38:39]
	s_delay_alu instid0(VALU_DEP_3) | instskip(NEXT) | instid1(VALU_DEP_3)
	v_cmp_neq_f64_e64 vcc_lo, 0x7ff00000, |v[46:47]|
	v_add_f64_e32 v[36:37], v[36:37], v[42:43]
	v_fract_f64_e32 v[42:43], v[46:47]
	s_delay_alu instid0(VALU_DEP_1) | instskip(NEXT) | instid1(VALU_DEP_1)
	v_ldexp_f64 v[42:43], v[42:43], 2
	v_dual_add_f64 v[40:41], v[52:53], -v[40:41] :: v_dual_cndmask_b32 v42, 0, v42, vcc_lo
	s_delay_alu instid0(VALU_DEP_1) | instskip(SKIP_1) | instid1(VALU_DEP_1)
	v_dual_add_f64 v[40:41], v[44:45], -v[40:41] :: v_dual_cndmask_b32 v43, 0, v43, vcc_lo
	v_add_f64_e32 v[44:45], v[50:51], v[36:37]
	v_add_f64_e32 v[46:47], v[40:41], v[44:45]
	v_add_f64_e64 v[56:57], v[44:45], -v[50:51]
	s_delay_alu instid0(VALU_DEP_2) | instskip(NEXT) | instid1(VALU_DEP_2)
	v_add_f64_e32 v[52:53], v[46:47], v[42:43]
	v_add_f64_e64 v[62:63], v[44:45], -v[56:57]
	v_add_f64_e64 v[36:37], v[36:37], -v[56:57]
	v_add_f64_e64 v[40:41], v[46:47], -v[40:41]
	s_delay_alu instid0(VALU_DEP_4) | instskip(SKIP_1) | instid1(VALU_DEP_3)
	v_cmp_gt_f64_e32 vcc_lo, 0, v[52:53]
	v_add_f64_e64 v[52:53], v[50:51], -v[54:55]
	v_add_f64_e64 v[40:41], v[44:45], -v[40:41]
	v_cndmask_b32_e64 v21, 0, 0x40100000, vcc_lo
	s_delay_alu instid0(VALU_DEP_3) | instskip(SKIP_2) | instid1(VALU_DEP_4)
	v_add_f64_e64 v[60:61], v[50:51], -v[52:53]
	v_add_f64_e64 v[38:39], v[38:39], -v[52:53]
	;; [unrolled: 1-line block ×3, first 2 shown]
	v_add_f64_e32 v[42:43], v[42:43], v[20:21]
	s_delay_alu instid0(VALU_DEP_4) | instskip(NEXT) | instid1(VALU_DEP_3)
	v_add_f64_e64 v[52:53], v[54:55], -v[60:61]
	v_add_f64_e32 v[36:37], v[36:37], v[50:51]
	s_delay_alu instid0(VALU_DEP_3) | instskip(NEXT) | instid1(VALU_DEP_3)
	v_add_f64_e32 v[58:59], v[46:47], v[42:43]
	v_add_f64_e32 v[38:39], v[38:39], v[52:53]
	s_delay_alu instid0(VALU_DEP_2) | instskip(NEXT) | instid1(VALU_DEP_2)
	v_cvt_i32_f64_e32 v1, v[58:59]
	v_add_f64_e32 v[36:37], v[38:39], v[36:37]
	s_delay_alu instid0(VALU_DEP_2) | instskip(NEXT) | instid1(VALU_DEP_2)
	v_cvt_f64_i32_e32 v[56:57], v1
	v_add_f64_e32 v[34:35], v[34:35], v[36:37]
	s_delay_alu instid0(VALU_DEP_2) | instskip(NEXT) | instid1(VALU_DEP_2)
	v_add_f64_e64 v[42:43], v[42:43], -v[56:57]
	v_add_f64_e32 v[34:35], v[40:41], v[34:35]
	s_delay_alu instid0(VALU_DEP_2) | instskip(NEXT) | instid1(VALU_DEP_1)
	v_add_f64_e32 v[38:39], v[46:47], v[42:43]
	v_add_f64_e64 v[36:37], v[38:39], -v[42:43]
	v_cmp_le_f64_e32 vcc_lo, 0.5, v[38:39]
	s_delay_alu instid0(VALU_DEP_2) | instskip(SKIP_2) | instid1(VALU_DEP_3)
	v_add_f64_e64 v[36:37], v[46:47], -v[36:37]
	v_cndmask_b32_e64 v21, 0, 0x3ff00000, vcc_lo
	v_add_co_ci_u32_e64 v1, null, 0, v1, vcc_lo
	v_add_f64_e32 v[34:35], v[34:35], v[36:37]
	s_delay_alu instid0(VALU_DEP_3) | instskip(NEXT) | instid1(VALU_DEP_1)
	v_add_f64_e64 v[36:37], v[38:39], -v[20:21]
	v_add_f64_e32 v[38:39], v[36:37], v[34:35]
	s_delay_alu instid0(VALU_DEP_1) | instskip(SKIP_1) | instid1(VALU_DEP_2)
	v_mul_f64_e32 v[40:41], 0x3ff921fb54442d18, v[38:39]
	v_add_f64_e64 v[36:37], v[38:39], -v[36:37]
	v_fma_f64 v[42:43], v[38:39], s[12:13], -v[40:41]
	s_delay_alu instid0(VALU_DEP_2) | instskip(NEXT) | instid1(VALU_DEP_2)
	v_add_f64_e64 v[34:35], v[34:35], -v[36:37]
	v_fmac_f64_e32 v[42:43], 0x3c91a62633145c07, v[38:39]
	s_delay_alu instid0(VALU_DEP_1) | instskip(NEXT) | instid1(VALU_DEP_1)
	v_fmac_f64_e32 v[42:43], 0x3ff921fb54442d18, v[34:35]
	v_add_f64_e32 v[34:35], v[40:41], v[42:43]
	s_delay_alu instid0(VALU_DEP_1) | instskip(NEXT) | instid1(VALU_DEP_1)
	v_add_f64_e64 v[36:37], v[34:35], -v[40:41]
	v_add_f64_e64 v[36:37], v[42:43], -v[36:37]
	s_and_not1_saveexec_b32 s36, s36
	s_cbranch_execz .LBB155_134
	s_branch .LBB155_133
.LBB155_132:                            ;   in Loop: Header=BB155_7 Depth=1
	s_and_not1_saveexec_b32 s36, s36
	s_cbranch_execz .LBB155_134
.LBB155_133:                            ;   in Loop: Header=BB155_7 Depth=1
	v_mul_f64_e64 v[34:35], |v[4:5]|, s[14:15]
	s_delay_alu instid0(VALU_DEP_1) | instskip(NEXT) | instid1(VALU_DEP_1)
	v_rndne_f64_e32 v[38:39], v[34:35]
	v_fma_f64 v[34:35], v[38:39], s[16:17], |v[4:5]|
	v_mul_f64_e32 v[36:37], 0xbc91a62633145c00, v[38:39]
	v_cvt_i32_f64_e32 v1, v[38:39]
	s_delay_alu instid0(VALU_DEP_3) | instskip(NEXT) | instid1(VALU_DEP_3)
	v_fmamk_f64 v[44:45], v[38:39], 0xbc91a62633145c00, v[34:35]
	v_add_f64_e32 v[40:41], v[34:35], v[36:37]
	s_delay_alu instid0(VALU_DEP_1) | instskip(NEXT) | instid1(VALU_DEP_3)
	v_add_f64_e64 v[42:43], v[34:35], -v[40:41]
	v_add_f64_e64 v[34:35], v[40:41], -v[44:45]
	s_delay_alu instid0(VALU_DEP_2) | instskip(SKIP_1) | instid1(VALU_DEP_2)
	v_add_f64_e32 v[40:41], v[42:43], v[36:37]
	v_fmamk_f64 v[36:37], v[38:39], 0x3c91a62633145c00, v[36:37]
	v_add_f64_e32 v[34:35], v[34:35], v[40:41]
	s_delay_alu instid0(VALU_DEP_1) | instskip(NEXT) | instid1(VALU_DEP_1)
	v_add_f64_e64 v[36:37], v[34:35], -v[36:37]
	v_fmac_f64_e32 v[36:37], 0xb97b839a252049c0, v[38:39]
	s_delay_alu instid0(VALU_DEP_1) | instskip(NEXT) | instid1(VALU_DEP_1)
	v_add_f64_e32 v[34:35], v[44:45], v[36:37]
	v_add_f64_e64 v[40:41], v[34:35], -v[44:45]
	s_delay_alu instid0(VALU_DEP_1)
	v_add_f64_e64 v[36:37], v[36:37], -v[40:41]
.LBB155_134:                            ;   in Loop: Header=BB155_7 Depth=1
	s_or_b32 exec_lo, exec_lo, s36
                                        ; implicit-def: $vgpr42
                                        ; implicit-def: $vgpr38_vgpr39
                                        ; implicit-def: $vgpr40_vgpr41
	s_and_saveexec_b32 s36, s35
	s_delay_alu instid0(SALU_CYCLE_1)
	s_xor_b32 s35, exec_lo, s36
	s_cbranch_execz .LBB155_136
; %bb.135:                              ;   in Loop: Header=BB155_7 Depth=1
	v_ldexp_f64 v[38:39], |v[4:5]|, 0xffffff80
	v_cmp_le_f64_e64 vcc_lo, 0x7b000000, |v[4:5]|
	v_trig_preop_f64 v[40:41], |v[4:5]|, 0
	v_and_b32_e32 v21, 0x7fffffff, v5
	v_trig_preop_f64 v[42:43], |v[4:5]|, 1
	v_trig_preop_f64 v[52:53], |v[4:5]|, 2
	s_delay_alu instid0(VALU_DEP_3) | instskip(NEXT) | instid1(VALU_DEP_1)
	v_dual_cndmask_b32 v39, v21, v39 :: v_dual_cndmask_b32 v38, v4, v38
	v_mul_f64_e32 v[44:45], v[40:41], v[38:39]
	s_delay_alu instid0(VALU_DEP_4) | instskip(NEXT) | instid1(VALU_DEP_4)
	v_mul_f64_e32 v[46:47], v[42:43], v[38:39]
	v_mul_f64_e32 v[58:59], v[52:53], v[38:39]
	s_delay_alu instid0(VALU_DEP_3) | instskip(NEXT) | instid1(VALU_DEP_3)
	v_fma_f64 v[40:41], v[40:41], v[38:39], -v[44:45]
	v_fma_f64 v[42:43], v[42:43], v[38:39], -v[46:47]
	s_delay_alu instid0(VALU_DEP_3) | instskip(NEXT) | instid1(VALU_DEP_3)
	v_fma_f64 v[38:39], v[52:53], v[38:39], -v[58:59]
	v_add_f64_e32 v[48:49], v[46:47], v[40:41]
	s_delay_alu instid0(VALU_DEP_1) | instskip(SKIP_1) | instid1(VALU_DEP_2)
	v_add_f64_e64 v[50:51], v[48:49], -v[46:47]
	v_add_f64_e32 v[56:57], v[44:45], v[48:49]
	v_add_f64_e64 v[54:55], v[48:49], -v[50:51]
	v_add_f64_e64 v[40:41], v[40:41], -v[50:51]
	s_delay_alu instid0(VALU_DEP_3) | instskip(NEXT) | instid1(VALU_DEP_3)
	v_ldexp_f64 v[50:51], v[56:57], -2
	v_add_f64_e64 v[46:47], v[46:47], -v[54:55]
	v_add_f64_e32 v[54:55], v[58:59], v[42:43]
	s_delay_alu instid0(VALU_DEP_3) | instskip(NEXT) | instid1(VALU_DEP_3)
	v_cmp_neq_f64_e64 vcc_lo, 0x7ff00000, |v[50:51]|
	v_add_f64_e32 v[40:41], v[40:41], v[46:47]
	v_fract_f64_e32 v[46:47], v[50:51]
	s_delay_alu instid0(VALU_DEP_1) | instskip(NEXT) | instid1(VALU_DEP_1)
	v_ldexp_f64 v[46:47], v[46:47], 2
	v_dual_add_f64 v[44:45], v[56:57], -v[44:45] :: v_dual_cndmask_b32 v46, 0, v46, vcc_lo
	s_delay_alu instid0(VALU_DEP_1) | instskip(SKIP_1) | instid1(VALU_DEP_1)
	v_dual_add_f64 v[44:45], v[48:49], -v[44:45] :: v_dual_cndmask_b32 v47, 0, v47, vcc_lo
	v_add_f64_e32 v[48:49], v[54:55], v[40:41]
	v_add_f64_e32 v[50:51], v[44:45], v[48:49]
	v_add_f64_e64 v[60:61], v[48:49], -v[54:55]
	s_delay_alu instid0(VALU_DEP_2) | instskip(NEXT) | instid1(VALU_DEP_2)
	v_add_f64_e32 v[56:57], v[50:51], v[46:47]
	v_add_f64_e64 v[66:67], v[48:49], -v[60:61]
	v_add_f64_e64 v[40:41], v[40:41], -v[60:61]
	;; [unrolled: 1-line block ×3, first 2 shown]
	s_delay_alu instid0(VALU_DEP_4) | instskip(SKIP_2) | instid1(VALU_DEP_2)
	v_cmp_gt_f64_e32 vcc_lo, 0, v[56:57]
	v_add_f64_e64 v[56:57], v[54:55], -v[58:59]
	v_cndmask_b32_e64 v21, 0, 0x40100000, vcc_lo
	v_add_f64_e64 v[64:65], v[54:55], -v[56:57]
	v_add_f64_e64 v[42:43], v[42:43], -v[56:57]
	v_add_f64_e64 v[54:55], v[54:55], -v[66:67]
	s_delay_alu instid0(VALU_DEP_4) | instskip(NEXT) | instid1(VALU_DEP_4)
	v_add_f64_e32 v[46:47], v[46:47], v[20:21]
	v_add_f64_e64 v[56:57], v[58:59], -v[64:65]
	s_delay_alu instid0(VALU_DEP_3) | instskip(NEXT) | instid1(VALU_DEP_3)
	v_add_f64_e32 v[40:41], v[40:41], v[54:55]
	v_add_f64_e32 v[62:63], v[50:51], v[46:47]
	s_delay_alu instid0(VALU_DEP_3) | instskip(NEXT) | instid1(VALU_DEP_2)
	v_add_f64_e32 v[42:43], v[42:43], v[56:57]
	v_cvt_i32_f64_e32 v21, v[62:63]
	s_delay_alu instid0(VALU_DEP_2) | instskip(SKIP_1) | instid1(VALU_DEP_3)
	v_add_f64_e32 v[40:41], v[42:43], v[40:41]
	v_add_f64_e64 v[42:43], v[48:49], -v[44:45]
	v_cvt_f64_i32_e32 v[60:61], v21
	s_delay_alu instid0(VALU_DEP_3) | instskip(NEXT) | instid1(VALU_DEP_2)
	v_add_f64_e32 v[38:39], v[38:39], v[40:41]
	v_add_f64_e64 v[46:47], v[46:47], -v[60:61]
	s_delay_alu instid0(VALU_DEP_2) | instskip(NEXT) | instid1(VALU_DEP_2)
	v_add_f64_e32 v[38:39], v[42:43], v[38:39]
	v_add_f64_e32 v[52:53], v[50:51], v[46:47]
	s_delay_alu instid0(VALU_DEP_1) | instskip(SKIP_1) | instid1(VALU_DEP_2)
	v_add_f64_e64 v[40:41], v[52:53], -v[46:47]
	v_cmp_le_f64_e32 vcc_lo, 0.5, v[52:53]
	v_add_f64_e64 v[40:41], v[50:51], -v[40:41]
	v_add_co_ci_u32_e64 v42, null, 0, v21, vcc_lo
	v_cndmask_b32_e64 v21, 0, 0x3ff00000, vcc_lo
	s_delay_alu instid0(VALU_DEP_3) | instskip(NEXT) | instid1(VALU_DEP_2)
	v_add_f64_e32 v[38:39], v[38:39], v[40:41]
	v_add_f64_e64 v[40:41], v[52:53], -v[20:21]
	s_delay_alu instid0(VALU_DEP_1) | instskip(NEXT) | instid1(VALU_DEP_1)
	v_add_f64_e32 v[44:45], v[40:41], v[38:39]
	v_mul_f64_e32 v[46:47], 0x3ff921fb54442d18, v[44:45]
	v_add_f64_e64 v[40:41], v[44:45], -v[40:41]
	s_delay_alu instid0(VALU_DEP_2) | instskip(NEXT) | instid1(VALU_DEP_2)
	v_fma_f64 v[48:49], v[44:45], s[12:13], -v[46:47]
	v_add_f64_e64 v[38:39], v[38:39], -v[40:41]
	s_delay_alu instid0(VALU_DEP_2) | instskip(NEXT) | instid1(VALU_DEP_1)
	v_fmac_f64_e32 v[48:49], 0x3c91a62633145c07, v[44:45]
	v_fmac_f64_e32 v[48:49], 0x3ff921fb54442d18, v[38:39]
	s_delay_alu instid0(VALU_DEP_1) | instskip(NEXT) | instid1(VALU_DEP_1)
	v_add_f64_e32 v[38:39], v[46:47], v[48:49]
	v_add_f64_e64 v[40:41], v[38:39], -v[46:47]
	s_delay_alu instid0(VALU_DEP_1)
	v_add_f64_e64 v[40:41], v[48:49], -v[40:41]
	s_and_not1_saveexec_b32 s35, s35
	s_cbranch_execnz .LBB155_137
	s_branch .LBB155_138
.LBB155_136:                            ;   in Loop: Header=BB155_7 Depth=1
	s_and_not1_saveexec_b32 s35, s35
	s_cbranch_execz .LBB155_138
.LBB155_137:                            ;   in Loop: Header=BB155_7 Depth=1
	v_mul_f64_e64 v[38:39], |v[4:5]|, s[14:15]
	s_delay_alu instid0(VALU_DEP_1) | instskip(NEXT) | instid1(VALU_DEP_1)
	v_rndne_f64_e32 v[42:43], v[38:39]
	v_fma_f64 v[38:39], v[42:43], s[16:17], |v[4:5]|
	v_mul_f64_e32 v[40:41], 0xbc91a62633145c00, v[42:43]
	s_delay_alu instid0(VALU_DEP_2) | instskip(NEXT) | instid1(VALU_DEP_2)
	v_fmamk_f64 v[48:49], v[42:43], 0xbc91a62633145c00, v[38:39]
	v_add_f64_e32 v[44:45], v[38:39], v[40:41]
	s_delay_alu instid0(VALU_DEP_1) | instskip(NEXT) | instid1(VALU_DEP_3)
	v_add_f64_e64 v[46:47], v[38:39], -v[44:45]
	v_add_f64_e64 v[38:39], v[44:45], -v[48:49]
	s_delay_alu instid0(VALU_DEP_2) | instskip(SKIP_1) | instid1(VALU_DEP_2)
	v_add_f64_e32 v[44:45], v[46:47], v[40:41]
	v_fmamk_f64 v[40:41], v[42:43], 0x3c91a62633145c00, v[40:41]
	v_add_f64_e32 v[38:39], v[38:39], v[44:45]
	s_delay_alu instid0(VALU_DEP_1) | instskip(NEXT) | instid1(VALU_DEP_1)
	v_add_f64_e64 v[40:41], v[38:39], -v[40:41]
	v_fmac_f64_e32 v[40:41], 0xb97b839a252049c0, v[42:43]
	v_cvt_i32_f64_e32 v42, v[42:43]
	s_delay_alu instid0(VALU_DEP_2) | instskip(NEXT) | instid1(VALU_DEP_1)
	v_add_f64_e32 v[38:39], v[48:49], v[40:41]
	v_add_f64_e64 v[44:45], v[38:39], -v[48:49]
	s_delay_alu instid0(VALU_DEP_1)
	v_add_f64_e64 v[40:41], v[40:41], -v[44:45]
.LBB155_138:                            ;   in Loop: Header=BB155_7 Depth=1
	s_or_b32 exec_lo, exec_lo, s35
	v_dual_mul_f64 v[44:45], v[34:35], v[34:35] :: v_dual_bitop2_b32 v4, 1, v1 bitop3:0x40
	v_dual_mul_f64 v[46:47], v[38:39], v[38:39] :: v_dual_lshlrev_b32 v1, 30, v1
	v_mul_f64_e64 v[50:51], |v[2:3]|, s[24:25]
	s_delay_alu instid0(VALU_DEP_4) | instskip(NEXT) | instid1(VALU_DEP_4)
	v_mul_f64_e32 v[68:69], 0.5, v[40:41]
	v_cmp_eq_u32_e32 vcc_lo, 0, v4
	v_mul_f64_e32 v[56:57], 0.5, v[36:37]
	v_xor_b32_e32 v1, v1, v5
	v_mul_f64_e32 v[48:49], 0.5, v[44:45]
	v_mul_f64_e64 v[58:59], v[34:35], -v[44:45]
	v_mul_f64_e32 v[52:53], 0.5, v[46:47]
	v_fmamk_f64 v[64:65], v[44:45], 0x3de5e0b2f9a43bb8, v[30:31]
	v_rndne_f64_e32 v[50:51], v[50:51]
	v_mul_f64_e64 v[70:71], v[38:39], -v[46:47]
	v_fmamk_f64 v[72:73], v[46:47], 0x3de5e0b2f9a43bb8, v[30:31]
	s_delay_alu instid0(VALU_DEP_4) | instskip(NEXT) | instid1(VALU_DEP_1)
	v_fmaak_f64 v[64:65], v[44:45], v[64:65], 0x3ec71de3796cde01
	v_fmaak_f64 v[64:65], v[44:45], v[64:65], 0xbf2a01a019e83e5c
	s_delay_alu instid0(VALU_DEP_1) | instskip(SKIP_1) | instid1(VALU_DEP_2)
	v_fmaak_f64 v[64:65], v[44:45], v[64:65], 0x3f81111111110bb3
	v_add_f64_e64 v[54:55], -v[48:49], 1.0
	v_fmac_f64_e32 v[56:57], v[58:59], v[64:65]
	v_add_f64_e64 v[60:61], -v[52:53], 1.0
	v_fma_f64 v[66:67], v[50:51], s[18:19], -|v[2:3]|
	s_delay_alu instid0(VALU_DEP_4) | instskip(NEXT) | instid1(VALU_DEP_4)
	v_add_f64_e64 v[62:63], -v[54:55], 1.0
	v_fma_f64 v[56:57], v[44:45], v[56:57], -v[36:37]
	s_delay_alu instid0(VALU_DEP_4) | instskip(NEXT) | instid1(VALU_DEP_4)
	v_add_f64_e64 v[64:65], -v[60:61], 1.0
	v_fmac_f64_e32 v[66:67], 0xbc7abc9e3b39803f, v[50:51]
	s_delay_alu instid0(VALU_DEP_4)
	v_add_f64_e64 v[48:49], v[62:63], -v[48:49]
	v_fmaak_f64 v[62:63], v[46:47], v[72:73], 0x3ec71de3796cde01
	v_fmamk_f64 v[72:73], v[44:45], 0xbda907db46cc5e42, v[28:29]
	v_add_f64_e64 v[52:53], v[64:65], -v[52:53]
	v_fmamk_f64 v[64:65], v[66:67], 0x3e5ade156a5dcb37, v[26:27]
	v_fmac_f64_e32 v[56:57], 0xbfc5555555555555, v[58:59]
	v_fmaak_f64 v[62:63], v[46:47], v[62:63], 0xbf2a01a019e83e5c
	s_delay_alu instid0(VALU_DEP_3) | instskip(NEXT) | instid1(VALU_DEP_2)
	v_fmaak_f64 v[64:65], v[66:67], v[64:65], 0x3ec71dee623fde64
	v_fmaak_f64 v[62:63], v[46:47], v[62:63], 0x3f81111111110bb3
	s_delay_alu instid0(VALU_DEP_2) | instskip(NEXT) | instid1(VALU_DEP_2)
	v_fmaak_f64 v[64:65], v[66:67], v[64:65], 0x3efa01997c89e6b0
	v_fmac_f64_e32 v[68:69], v[70:71], v[62:63]
	v_mul_f64_e32 v[62:63], v[44:45], v[44:45]
	v_fma_f64 v[36:37], v[34:35], -v[36:37], v[48:49]
	v_fmaak_f64 v[48:49], v[44:45], v[72:73], 0xbe927e4fa17f65f6
	v_mul_f64_e32 v[72:73], v[46:47], v[46:47]
	v_add_f64_e64 v[34:35], v[34:35], -v[56:57]
	s_delay_alu instid0(VALU_DEP_3) | instskip(NEXT) | instid1(VALU_DEP_1)
	v_fmaak_f64 v[48:49], v[44:45], v[48:49], 0x3efa01a019f4ec90
	v_fmaak_f64 v[48:49], v[44:45], v[48:49], 0xbf56c16c16c16967
	s_delay_alu instid0(VALU_DEP_1)
	v_fmaak_f64 v[44:45], v[44:45], v[48:49], 0x3fa5555555555555
	v_fmaak_f64 v[48:49], v[66:67], v[64:65], 0x3f2a01a014761f6e
	v_fma_f64 v[64:65], v[46:47], v[68:69], -v[40:41]
	v_fmamk_f64 v[68:69], v[46:47], 0xbda907db46cc5e42, v[28:29]
	v_fma_f64 v[40:41], v[38:39], -v[40:41], v[52:53]
	v_fmac_f64_e32 v[36:37], v[62:63], v[44:45]
	v_fmaak_f64 v[44:45], v[66:67], v[48:49], 0x3f56c16c1852b7b0
	s_delay_alu instid0(VALU_DEP_4) | instskip(NEXT) | instid1(VALU_DEP_2)
	v_fmaak_f64 v[48:49], v[46:47], v[68:69], 0xbe927e4fa17f65f6
	v_fmaak_f64 v[44:45], v[66:67], v[44:45], 0x3f81111111122322
	s_delay_alu instid0(VALU_DEP_2) | instskip(NEXT) | instid1(VALU_DEP_2)
	v_fmaak_f64 v[48:49], v[46:47], v[48:49], 0x3efa01a019f4ec90
	v_fmaak_f64 v[44:45], v[66:67], v[44:45], 0x3fa55555555502a1
	s_delay_alu instid0(VALU_DEP_2) | instskip(NEXT) | instid1(VALU_DEP_2)
	v_fmaak_f64 v[48:49], v[46:47], v[48:49], 0xbf56c16c16c16967
	v_fmaak_f64 v[44:45], v[66:67], v[44:45], 0x3fc5555555555511
	s_delay_alu instid0(VALU_DEP_2) | instskip(SKIP_1) | instid1(VALU_DEP_3)
	v_fmaak_f64 v[46:47], v[46:47], v[48:49], 0x3fa5555555555555
	v_fmac_f64_e32 v[64:65], 0xbfc5555555555555, v[70:71]
	v_fmaak_f64 v[44:45], v[66:67], v[44:45], 0x3fe000000000000b
	s_delay_alu instid0(VALU_DEP_3) | instskip(SKIP_1) | instid1(VALU_DEP_3)
	v_fmac_f64_e32 v[40:41], v[72:73], v[46:47]
	v_add_f64_e32 v[36:37], v[54:55], v[36:37]
	v_fma_f64 v[44:45], v[66:67], v[44:45], 1.0
	v_add_f64_e64 v[38:39], v[38:39], -v[64:65]
	s_delay_alu instid0(VALU_DEP_4) | instskip(NEXT) | instid1(VALU_DEP_4)
	v_add_f64_e32 v[40:41], v[60:61], v[40:41]
	v_dual_cndmask_b32 v21, v37, v35 :: v_dual_cndmask_b32 v4, v36, v34
	v_cvt_i32_f64_e32 v37, v[50:51]
	v_fma_f64 v[34:35], v[66:67], v[44:45], 1.0
	s_delay_alu instid0(VALU_DEP_3) | instskip(NEXT) | instid1(VALU_DEP_1)
	v_bitop3_b32 v5, v21, v1, 0x80000000 bitop3:0x78
	v_dual_mul_f64 v[4:5], 4.0, v[4:5] :: v_dual_bitop2_b32 v1, 1, v42 bitop3:0x40
	s_delay_alu instid0(VALU_DEP_1) | instskip(SKIP_1) | instid1(VALU_DEP_1)
	v_cmp_eq_u32_e32 vcc_lo, 0, v1
	v_xor_b32_e32 v21, 0x80000000, v39
	v_dual_cndmask_b32 v1, v21, v41, vcc_lo :: v_dual_lshlrev_b32 v21, 30, v42
	v_cndmask_b32_e32 v36, v38, v40, vcc_lo
	v_cmp_nlt_f64_e64 vcc_lo, 0x4090cc00, |v[2:3]|
	v_ldexp_f64 v[34:35], v[34:35], v37
	s_delay_alu instid0(VALU_DEP_4) | instskip(SKIP_1) | instid1(VALU_DEP_2)
	v_bitop3_b32 v37, v1, v21, 0x80000000 bitop3:0x78
	v_bfi_b32 v21, 0x7fffffff, s31, v3
	v_mul_f64_e32 v[4:5], v[4:5], v[36:37]
	s_delay_alu instid0(VALU_DEP_2) | instskip(SKIP_1) | instid1(VALU_DEP_1)
	v_mov_b64_e32 v[2:3], v[20:21]
	v_dual_cndmask_b32 v35, 0, v35 :: v_dual_cndmask_b32 v34, 0, v34
	v_mul_f64_e32 v[4:5], v[34:35], v[4:5]
	s_delay_alu instid0(VALU_DEP_1)
	v_mul_f64_e32 v[4:5], v[34:35], v[4:5]
.LBB155_139:                            ;   in Loop: Header=BB155_7 Depth=1
	s_or_b32 exec_lo, exec_lo, s2
.LBB155_140:                            ;   in Loop: Header=BB155_7 Depth=1
	s_and_not1_saveexec_b32 s2, s34
	s_cbranch_execz .LBB155_142
; %bb.141:                              ;   in Loop: Header=BB155_7 Depth=1
	s_delay_alu instid0(VALU_DEP_1) | instskip(NEXT) | instid1(VALU_DEP_1)
	v_add_f64_e64 v[4:5], v[4:5], -v[4:5]
	v_mov_b64_e32 v[2:3], v[4:5]
.LBB155_142:                            ;   in Loop: Header=BB155_7 Depth=1
	s_or_b32 exec_lo, exec_lo, s2
.LBB155_143:                            ;   in Loop: Header=BB155_7 Depth=1
	s_and_not1_saveexec_b32 s34, s3
	s_cbranch_execz .LBB155_6
; %bb.144:                              ;   in Loop: Header=BB155_7 Depth=1
	s_delay_alu instid0(VALU_DEP_1) | instskip(SKIP_1) | instid1(VALU_DEP_1)
	v_and_or_b32 v1, 0xfffff, v3, v2
	s_mov_b32 s2, exec_lo
	v_cmpx_ne_u32_e32 0, v1
	s_xor_b32 s2, exec_lo, s2
	s_cbranch_execz .LBB155_146
; %bb.145:                              ;   in Loop: Header=BB155_7 Depth=1
	s_delay_alu instid0(VALU_DEP_3) | instskip(SKIP_1) | instid1(VALU_DEP_2)
	v_mul_f64_e32 v[34:35], v[2:3], v[4:5]
	v_cmp_eq_f64_e32 vcc_lo, 0, v[4:5]
	v_dual_cndmask_b32 v5, v35, v5 :: v_dual_cndmask_b32 v4, v34, v4
.LBB155_146:                            ;   in Loop: Header=BB155_7 Depth=1
	s_and_not1_saveexec_b32 s35, s2
	s_cbranch_execz .LBB155_5
; %bb.147:                              ;   in Loop: Header=BB155_7 Depth=1
	s_mov_b32 s36, exec_lo
	s_delay_alu instid0(VALU_DEP_1)
	v_cmpx_neq_f64_e64 0x7ff00000, |v[4:5]|
	s_cbranch_execz .LBB155_4
; %bb.148:                              ;   in Loop: Header=BB155_7 Depth=1
	v_cmp_ngt_f64_e64 s2, 0x41d00000, |v[4:5]|
	v_trig_preop_f64 v[42:43], |v[4:5]|, 0
	v_trig_preop_f64 v[40:41], |v[4:5]|, 1
	v_ldexp_f64 v[44:45], |v[4:5]|, 0xffffff80
	v_trig_preop_f64 v[38:39], |v[4:5]|, 2
	v_and_b32_e32 v52, 0x7fffffff, v5
                                        ; implicit-def: $vgpr1
                                        ; implicit-def: $vgpr34_vgpr35
                                        ; implicit-def: $vgpr36_vgpr37
	s_and_saveexec_b32 s3, s2
	s_delay_alu instid0(SALU_CYCLE_1)
	s_xor_b32 s3, exec_lo, s3
	s_cbranch_execz .LBB155_150
; %bb.149:                              ;   in Loop: Header=BB155_7 Depth=1
	v_cmp_le_f64_e64 vcc_lo, 0x7b000000, |v[4:5]|
	s_delay_alu instid0(VALU_DEP_4) | instskip(SKIP_1) | instid1(VALU_DEP_1)
	v_cndmask_b32_e32 v35, v52, v45, vcc_lo
	v_cndmask_b32_e32 v34, v4, v44, vcc_lo
	v_mul_f64_e32 v[36:37], v[42:43], v[34:35]
	v_mul_f64_e32 v[46:47], v[40:41], v[34:35]
	s_delay_alu instid0(VALU_DEP_2) | instskip(NEXT) | instid1(VALU_DEP_1)
	v_fma_f64 v[48:49], v[42:43], v[34:35], -v[36:37]
	v_add_f64_e32 v[50:51], v[46:47], v[48:49]
	s_delay_alu instid0(VALU_DEP_1) | instskip(SKIP_1) | instid1(VALU_DEP_2)
	v_add_f64_e64 v[54:55], v[50:51], -v[46:47]
	v_add_f64_e32 v[58:59], v[36:37], v[50:51]
	v_add_f64_e64 v[56:57], v[50:51], -v[54:55]
	v_fma_f64 v[62:63], v[40:41], v[34:35], -v[46:47]
	v_add_f64_e64 v[48:49], v[48:49], -v[54:55]
	s_delay_alu instid0(VALU_DEP_4) | instskip(SKIP_2) | instid1(VALU_DEP_3)
	v_ldexp_f64 v[54:55], v[58:59], -2
	v_mul_f64_e32 v[60:61], v[38:39], v[34:35]
	v_add_f64_e64 v[46:47], v[46:47], -v[56:57]
	v_cmp_neq_f64_e64 vcc_lo, 0x7ff00000, |v[54:55]|
	s_delay_alu instid0(VALU_DEP_3) | instskip(SKIP_1) | instid1(VALU_DEP_4)
	v_add_f64_e32 v[56:57], v[60:61], v[62:63]
	v_fma_f64 v[34:35], v[38:39], v[34:35], -v[60:61]
	v_add_f64_e32 v[46:47], v[48:49], v[46:47]
	v_fract_f64_e32 v[48:49], v[54:55]
	s_delay_alu instid0(VALU_DEP_1) | instskip(NEXT) | instid1(VALU_DEP_1)
	v_ldexp_f64 v[48:49], v[48:49], 2
	v_cndmask_b32_e32 v49, 0, v49, vcc_lo
	v_add_f64_e64 v[36:37], v[58:59], -v[36:37]
	s_delay_alu instid0(VALU_DEP_3) | instskip(NEXT) | instid1(VALU_DEP_2)
	v_cndmask_b32_e32 v48, 0, v48, vcc_lo
	v_add_f64_e64 v[36:37], v[50:51], -v[36:37]
	v_add_f64_e32 v[50:51], v[56:57], v[46:47]
	s_delay_alu instid0(VALU_DEP_1) | instskip(SKIP_1) | instid1(VALU_DEP_2)
	v_add_f64_e32 v[54:55], v[36:37], v[50:51]
	v_add_f64_e64 v[64:65], v[50:51], -v[56:57]
	v_add_f64_e32 v[58:59], v[54:55], v[48:49]
	s_delay_alu instid0(VALU_DEP_2) | instskip(SKIP_2) | instid1(VALU_DEP_4)
	v_add_f64_e64 v[70:71], v[50:51], -v[64:65]
	v_add_f64_e64 v[46:47], v[46:47], -v[64:65]
	;; [unrolled: 1-line block ×3, first 2 shown]
	v_cmp_gt_f64_e32 vcc_lo, 0, v[58:59]
	v_add_f64_e64 v[58:59], v[56:57], -v[60:61]
	s_delay_alu instid0(VALU_DEP_3) | instskip(SKIP_1) | instid1(VALU_DEP_3)
	v_add_f64_e64 v[36:37], v[50:51], -v[36:37]
	v_cndmask_b32_e64 v21, 0, 0x40100000, vcc_lo
	v_add_f64_e64 v[68:69], v[56:57], -v[58:59]
	v_add_f64_e64 v[58:59], v[62:63], -v[58:59]
	;; [unrolled: 1-line block ×3, first 2 shown]
	s_delay_alu instid0(VALU_DEP_4) | instskip(NEXT) | instid1(VALU_DEP_4)
	v_add_f64_e32 v[48:49], v[48:49], v[20:21]
	v_add_f64_e64 v[62:63], v[60:61], -v[68:69]
	s_delay_alu instid0(VALU_DEP_3) | instskip(NEXT) | instid1(VALU_DEP_3)
	v_add_f64_e32 v[46:47], v[46:47], v[56:57]
	v_add_f64_e32 v[66:67], v[54:55], v[48:49]
	s_delay_alu instid0(VALU_DEP_3) | instskip(NEXT) | instid1(VALU_DEP_2)
	v_add_f64_e32 v[58:59], v[58:59], v[62:63]
	v_cvt_i32_f64_e32 v1, v[66:67]
	s_delay_alu instid0(VALU_DEP_2) | instskip(NEXT) | instid1(VALU_DEP_2)
	v_add_f64_e32 v[46:47], v[58:59], v[46:47]
	v_cvt_f64_i32_e32 v[64:65], v1
	s_delay_alu instid0(VALU_DEP_2) | instskip(NEXT) | instid1(VALU_DEP_2)
	v_add_f64_e32 v[34:35], v[34:35], v[46:47]
	v_add_f64_e64 v[48:49], v[48:49], -v[64:65]
	s_delay_alu instid0(VALU_DEP_2) | instskip(NEXT) | instid1(VALU_DEP_2)
	v_add_f64_e32 v[34:35], v[36:37], v[34:35]
	v_add_f64_e32 v[56:57], v[54:55], v[48:49]
	s_delay_alu instid0(VALU_DEP_1) | instskip(SKIP_1) | instid1(VALU_DEP_2)
	v_add_f64_e64 v[46:47], v[56:57], -v[48:49]
	v_cmp_le_f64_e32 vcc_lo, 0.5, v[56:57]
	v_add_f64_e64 v[36:37], v[54:55], -v[46:47]
	v_cndmask_b32_e64 v21, 0, 0x3ff00000, vcc_lo
	v_add_co_ci_u32_e64 v1, null, 0, v1, vcc_lo
	s_delay_alu instid0(VALU_DEP_3) | instskip(NEXT) | instid1(VALU_DEP_3)
	v_add_f64_e32 v[34:35], v[34:35], v[36:37]
	v_add_f64_e64 v[36:37], v[56:57], -v[20:21]
	s_delay_alu instid0(VALU_DEP_1) | instskip(NEXT) | instid1(VALU_DEP_1)
	v_add_f64_e32 v[46:47], v[36:37], v[34:35]
	v_mul_f64_e32 v[48:49], 0x3ff921fb54442d18, v[46:47]
	v_add_f64_e64 v[36:37], v[46:47], -v[36:37]
	s_delay_alu instid0(VALU_DEP_2) | instskip(NEXT) | instid1(VALU_DEP_2)
	v_fma_f64 v[50:51], v[46:47], s[12:13], -v[48:49]
	v_add_f64_e64 v[34:35], v[34:35], -v[36:37]
	s_delay_alu instid0(VALU_DEP_2) | instskip(NEXT) | instid1(VALU_DEP_1)
	v_fmac_f64_e32 v[50:51], 0x3c91a62633145c07, v[46:47]
	v_fmac_f64_e32 v[50:51], 0x3ff921fb54442d18, v[34:35]
	s_delay_alu instid0(VALU_DEP_1) | instskip(NEXT) | instid1(VALU_DEP_1)
	v_add_f64_e32 v[34:35], v[48:49], v[50:51]
	v_add_f64_e64 v[36:37], v[34:35], -v[48:49]
	s_delay_alu instid0(VALU_DEP_1)
	v_add_f64_e64 v[36:37], v[50:51], -v[36:37]
.LBB155_150:                            ;   in Loop: Header=BB155_7 Depth=1
	s_or_saveexec_b32 s3, s3
	v_mul_f64_e64 v[46:47], |v[4:5]|, s[14:15]
	s_delay_alu instid0(VALU_DEP_1)
	v_rndne_f64_e32 v[50:51], v[46:47]
	s_xor_b32 exec_lo, exec_lo, s3
	s_cbranch_execz .LBB155_152
; %bb.151:                              ;   in Loop: Header=BB155_7 Depth=1
	s_delay_alu instid0(VALU_DEP_1) | instskip(SKIP_2) | instid1(VALU_DEP_3)
	v_fma_f64 v[34:35], v[50:51], s[16:17], |v[4:5]|
	v_mul_f64_e32 v[36:37], 0xbc91a62633145c00, v[50:51]
	v_cvt_i32_f64_e32 v1, v[50:51]
	v_fmamk_f64 v[54:55], v[50:51], 0xbc91a62633145c00, v[34:35]
	s_delay_alu instid0(VALU_DEP_3) | instskip(NEXT) | instid1(VALU_DEP_1)
	v_add_f64_e32 v[46:47], v[34:35], v[36:37]
	v_add_f64_e64 v[48:49], v[34:35], -v[46:47]
	s_delay_alu instid0(VALU_DEP_3) | instskip(NEXT) | instid1(VALU_DEP_2)
	v_add_f64_e64 v[34:35], v[46:47], -v[54:55]
	v_add_f64_e32 v[46:47], v[48:49], v[36:37]
	v_fmamk_f64 v[36:37], v[50:51], 0x3c91a62633145c00, v[36:37]
	s_delay_alu instid0(VALU_DEP_2) | instskip(NEXT) | instid1(VALU_DEP_1)
	v_add_f64_e32 v[34:35], v[34:35], v[46:47]
	v_add_f64_e64 v[36:37], v[34:35], -v[36:37]
	s_delay_alu instid0(VALU_DEP_1) | instskip(NEXT) | instid1(VALU_DEP_1)
	v_fmac_f64_e32 v[36:37], 0xb97b839a252049c0, v[50:51]
	v_add_f64_e32 v[34:35], v[54:55], v[36:37]
	s_delay_alu instid0(VALU_DEP_1) | instskip(NEXT) | instid1(VALU_DEP_1)
	v_add_f64_e64 v[46:47], v[34:35], -v[54:55]
	v_add_f64_e64 v[36:37], v[36:37], -v[46:47]
.LBB155_152:                            ;   in Loop: Header=BB155_7 Depth=1
	s_or_b32 exec_lo, exec_lo, s3
                                        ; implicit-def: $vgpr53
                                        ; implicit-def: $vgpr46_vgpr47
                                        ; implicit-def: $vgpr48_vgpr49
	s_and_saveexec_b32 s3, s2
	s_delay_alu instid0(SALU_CYCLE_1)
	s_xor_b32 s2, exec_lo, s3
	s_cbranch_execz .LBB155_154
; %bb.153:                              ;   in Loop: Header=BB155_7 Depth=1
	v_cmp_le_f64_e64 vcc_lo, 0x7b000000, |v[4:5]|
	v_cndmask_b32_e32 v45, v52, v45, vcc_lo
	v_cndmask_b32_e32 v44, v4, v44, vcc_lo
	s_delay_alu instid0(VALU_DEP_1) | instskip(SKIP_1) | instid1(VALU_DEP_2)
	v_mul_f64_e32 v[46:47], v[42:43], v[44:45]
	v_mul_f64_e32 v[48:49], v[40:41], v[44:45]
	v_fma_f64 v[42:43], v[42:43], v[44:45], -v[46:47]
	s_delay_alu instid0(VALU_DEP_1) | instskip(NEXT) | instid1(VALU_DEP_1)
	v_add_f64_e32 v[50:51], v[48:49], v[42:43]
	v_add_f64_e64 v[52:53], v[50:51], -v[48:49]
	v_add_f64_e32 v[56:57], v[46:47], v[50:51]
	s_delay_alu instid0(VALU_DEP_2) | instskip(SKIP_1) | instid1(VALU_DEP_3)
	v_add_f64_e64 v[54:55], v[50:51], -v[52:53]
	v_add_f64_e64 v[42:43], v[42:43], -v[52:53]
	v_ldexp_f64 v[52:53], v[56:57], -2
	s_delay_alu instid0(VALU_DEP_1) | instskip(SKIP_1) | instid1(VALU_DEP_1)
	v_cmp_neq_f64_e64 vcc_lo, 0x7ff00000, |v[52:53]|
	v_add_f64_e64 v[46:47], v[56:57], -v[46:47]
	v_add_f64_e64 v[46:47], v[50:51], -v[46:47]
	v_mul_f64_e32 v[58:59], v[38:39], v[44:45]
	v_fma_f64 v[40:41], v[40:41], v[44:45], -v[48:49]
	v_add_f64_e64 v[48:49], v[48:49], -v[54:55]
	s_delay_alu instid0(VALU_DEP_3) | instskip(NEXT) | instid1(VALU_DEP_3)
	v_fma_f64 v[38:39], v[38:39], v[44:45], -v[58:59]
	v_add_f64_e32 v[54:55], v[58:59], v[40:41]
	s_delay_alu instid0(VALU_DEP_3) | instskip(SKIP_1) | instid1(VALU_DEP_2)
	v_add_f64_e32 v[42:43], v[42:43], v[48:49]
	v_fract_f64_e32 v[48:49], v[52:53]
	v_add_f64_e32 v[50:51], v[54:55], v[42:43]
	s_delay_alu instid0(VALU_DEP_2) | instskip(NEXT) | instid1(VALU_DEP_1)
	v_ldexp_f64 v[48:49], v[48:49], 2
	v_dual_add_f64 v[52:53], v[46:47], v[50:51] :: v_dual_cndmask_b32 v49, 0, v49, vcc_lo
	s_delay_alu instid0(VALU_DEP_2) | instskip(NEXT) | instid1(VALU_DEP_1)
	v_dual_add_f64 v[60:61], v[50:51], -v[54:55] :: v_dual_cndmask_b32 v48, 0, v48, vcc_lo
	v_add_f64_e32 v[56:57], v[52:53], v[48:49]
	v_add_f64_e64 v[44:45], v[52:53], -v[46:47]
	s_delay_alu instid0(VALU_DEP_3) | instskip(SKIP_1) | instid1(VALU_DEP_4)
	v_add_f64_e64 v[66:67], v[50:51], -v[60:61]
	v_add_f64_e64 v[42:43], v[42:43], -v[60:61]
	v_cmp_gt_f64_e32 vcc_lo, 0, v[56:57]
	v_add_f64_e64 v[56:57], v[54:55], -v[58:59]
	v_add_f64_e64 v[44:45], v[50:51], -v[44:45]
                                        ; implicit-def: $vgpr50_vgpr51
	v_cndmask_b32_e64 v21, 0, 0x40100000, vcc_lo
	s_delay_alu instid0(VALU_DEP_3) | instskip(SKIP_2) | instid1(VALU_DEP_4)
	v_add_f64_e64 v[64:65], v[54:55], -v[56:57]
	v_add_f64_e64 v[40:41], v[40:41], -v[56:57]
	;; [unrolled: 1-line block ×3, first 2 shown]
	v_add_f64_e32 v[48:49], v[48:49], v[20:21]
	s_delay_alu instid0(VALU_DEP_4) | instskip(NEXT) | instid1(VALU_DEP_3)
	v_add_f64_e64 v[56:57], v[58:59], -v[64:65]
	v_add_f64_e32 v[42:43], v[42:43], v[54:55]
	s_delay_alu instid0(VALU_DEP_3) | instskip(NEXT) | instid1(VALU_DEP_3)
	v_add_f64_e32 v[62:63], v[52:53], v[48:49]
	v_add_f64_e32 v[40:41], v[40:41], v[56:57]
	s_delay_alu instid0(VALU_DEP_2) | instskip(NEXT) | instid1(VALU_DEP_2)
	v_cvt_i32_f64_e32 v21, v[62:63]
	v_add_f64_e32 v[40:41], v[40:41], v[42:43]
	s_delay_alu instid0(VALU_DEP_2) | instskip(NEXT) | instid1(VALU_DEP_2)
	v_cvt_f64_i32_e32 v[60:61], v21
	v_add_f64_e32 v[38:39], v[38:39], v[40:41]
	s_delay_alu instid0(VALU_DEP_2) | instskip(NEXT) | instid1(VALU_DEP_2)
	v_add_f64_e64 v[48:49], v[48:49], -v[60:61]
	v_add_f64_e32 v[38:39], v[44:45], v[38:39]
	s_delay_alu instid0(VALU_DEP_2) | instskip(NEXT) | instid1(VALU_DEP_1)
	v_add_f64_e32 v[42:43], v[52:53], v[48:49]
	v_add_f64_e64 v[40:41], v[42:43], -v[48:49]
	v_cmp_le_f64_e32 vcc_lo, 0.5, v[42:43]
	s_delay_alu instid0(VALU_DEP_2) | instskip(SKIP_2) | instid1(VALU_DEP_3)
	v_add_f64_e64 v[40:41], v[52:53], -v[40:41]
	v_add_co_ci_u32_e64 v53, null, 0, v21, vcc_lo
	v_cndmask_b32_e64 v21, 0, 0x3ff00000, vcc_lo
	v_add_f64_e32 v[38:39], v[38:39], v[40:41]
	s_delay_alu instid0(VALU_DEP_2) | instskip(NEXT) | instid1(VALU_DEP_1)
	v_add_f64_e64 v[40:41], v[42:43], -v[20:21]
	v_add_f64_e32 v[42:43], v[40:41], v[38:39]
	s_delay_alu instid0(VALU_DEP_1) | instskip(SKIP_1) | instid1(VALU_DEP_2)
	v_mul_f64_e32 v[44:45], 0x3ff921fb54442d18, v[42:43]
	v_add_f64_e64 v[40:41], v[42:43], -v[40:41]
	v_fma_f64 v[48:49], v[42:43], s[12:13], -v[44:45]
	s_delay_alu instid0(VALU_DEP_2) | instskip(NEXT) | instid1(VALU_DEP_2)
	v_add_f64_e64 v[38:39], v[38:39], -v[40:41]
	v_fmac_f64_e32 v[48:49], 0x3c91a62633145c07, v[42:43]
	s_delay_alu instid0(VALU_DEP_1) | instskip(NEXT) | instid1(VALU_DEP_1)
	v_fmac_f64_e32 v[48:49], 0x3ff921fb54442d18, v[38:39]
	v_add_f64_e32 v[46:47], v[44:45], v[48:49]
	s_delay_alu instid0(VALU_DEP_1) | instskip(NEXT) | instid1(VALU_DEP_1)
	v_add_f64_e64 v[38:39], v[46:47], -v[44:45]
	v_add_f64_e64 v[48:49], v[48:49], -v[38:39]
	s_and_not1_saveexec_b32 s2, s2
	s_cbranch_execz .LBB155_3
	s_branch .LBB155_155
.LBB155_154:                            ;   in Loop: Header=BB155_7 Depth=1
	s_and_not1_saveexec_b32 s2, s2
	s_cbranch_execz .LBB155_3
.LBB155_155:                            ;   in Loop: Header=BB155_7 Depth=1
	s_delay_alu instid0(VALU_DEP_1) | instskip(SKIP_2) | instid1(VALU_DEP_2)
	v_fma_f64 v[38:39], v[50:51], s[16:17], |v[4:5]|
	v_mul_f64_e32 v[40:41], 0xbc91a62633145c00, v[50:51]
	v_cvt_i32_f64_e32 v53, v[50:51]
	v_add_f64_e32 v[42:43], v[38:39], v[40:41]
	s_delay_alu instid0(VALU_DEP_1) | instskip(SKIP_1) | instid1(VALU_DEP_1)
	v_add_f64_e64 v[44:45], v[38:39], -v[42:43]
	v_fmamk_f64 v[38:39], v[50:51], 0xbc91a62633145c00, v[38:39]
	v_add_f64_e64 v[42:43], v[42:43], -v[38:39]
	s_delay_alu instid0(VALU_DEP_3) | instskip(SKIP_1) | instid1(VALU_DEP_2)
	v_add_f64_e32 v[44:45], v[44:45], v[40:41]
	v_fmamk_f64 v[40:41], v[50:51], 0x3c91a62633145c00, v[40:41]
	v_add_f64_e32 v[42:43], v[42:43], v[44:45]
	s_delay_alu instid0(VALU_DEP_1) | instskip(NEXT) | instid1(VALU_DEP_1)
	v_add_f64_e64 v[40:41], v[42:43], -v[40:41]
	v_fmac_f64_e32 v[40:41], 0xb97b839a252049c0, v[50:51]
	s_delay_alu instid0(VALU_DEP_1) | instskip(NEXT) | instid1(VALU_DEP_1)
	v_add_f64_e32 v[46:47], v[38:39], v[40:41]
	v_add_f64_e64 v[38:39], v[46:47], -v[38:39]
	s_delay_alu instid0(VALU_DEP_1)
	v_add_f64_e64 v[48:49], v[40:41], -v[38:39]
	s_branch .LBB155_3
.LBB155_156:
	s_or_b32 exec_lo, exec_lo, s30
	s_mov_b32 s2, 0
.LBB155_157:
	s_delay_alu instid0(SALU_CYCLE_1)
	s_and_not1_b32 vcc_lo, exec_lo, s2
	s_cbranch_vccnz .LBB155_329
; %bb.158:
	v_cmp_lt_i64_e64 s2, s[4:5], 1
	s_and_b32 vcc_lo, exec_lo, s2
	s_cbranch_vccnz .LBB155_329
; %bb.159:
	v_min_i64 v[18:19], 0x10000, s[4:5]
	v_min_u64 v[20:21], 0x10000, s[4:5]
	s_load_b32 s0, s[0:1], 0xc5c
	v_mov_b32_e32 v22, 0
	v_mov_b64_e32 v[24:25], 0xbf078809a9a29f71
	v_mov_b64_e32 v[26:27], 0x3e928af3fca7ab0c
	;; [unrolled: 1-line block ×4, first 2 shown]
	v_mov_b32_e32 v1, v22
	s_mov_b32 s11, 0
	s_mov_b64 s[12:13], 0x3ff921fb54442d18
	s_mov_b64 s[14:15], 0x3fe45f306dc9c883
	;; [unrolled: 1-line block ×5, first 2 shown]
	s_mov_b32 s23, s11
	s_mov_b64 s[26:27], 0xbff71547652b82fe
	s_mov_b32 s25, s11
	s_mov_b32 s29, s11
	s_mov_b64 s[30:31], 0
	s_mov_b32 s33, 0x3ff00000
                                        ; implicit-def: $vgpr2_vgpr3
                                        ; implicit-def: $vgpr2_vgpr3
	;; [unrolled: 1-line block ×27, first 2 shown]
	s_wait_kmcnt 0x0
	s_and_b32 s10, s0, 0xffff
	s_delay_alu instid0(SALU_CYCLE_1)
	s_lshl_b32 s22, s10, 1
	s_mul_i32 s24, s10, 3
	s_lshl_b32 s28, s10, 2
	s_branch .LBB155_161
.LBB155_160:                            ;   in Loop: Header=BB155_161 Depth=1
	s_wait_xcnt 0x0
	s_or_b32 exec_lo, exec_lo, s0
	s_add_nc_u64 s[30:31], s[30:31], s[28:29]
	s_delay_alu instid0(SALU_CYCLE_1)
	v_cmp_ge_i64_e32 vcc_lo, s[30:31], v[18:19]
	s_cbranch_vccnz .LBB155_329
.LBB155_161:                            ; =>This Inner Loop Header: Depth=1
	v_add_nc_u64_e32 v[32:33], s[30:31], v[0:1]
	v_mov_b64_e32 v[4:5], 0
	v_mov_b64_e32 v[8:9], 0
	v_mov_b64_e32 v[6:7], 0
	s_delay_alu instid0(VALU_DEP_4)
	v_cmp_lt_u64_e64 s0, v[32:33], v[20:21]
	s_and_saveexec_b32 s1, s0
	s_cbranch_execz .LBB155_163
; %bb.162:                              ;   in Loop: Header=BB155_161 Depth=1
	v_lshl_add_u64 v[2:3], v[32:33], 4, s[6:7]
	global_load_b128 v[6:9], v[2:3], off
.LBB155_163:                            ;   in Loop: Header=BB155_161 Depth=1
	s_wait_xcnt 0x0
	s_or_b32 exec_lo, exec_lo, s1
	v_add_nc_u64_e32 v[34:35], s[10:11], v[32:33]
	v_mov_b64_e32 v[2:3], 0
	s_delay_alu instid0(VALU_DEP_2)
	v_cmp_lt_u64_e64 s1, v[34:35], v[20:21]
	s_and_saveexec_b32 s2, s1
	s_cbranch_execz .LBB155_165
; %bb.164:                              ;   in Loop: Header=BB155_161 Depth=1
	v_lshl_add_u64 v[2:3], v[34:35], 4, s[6:7]
	global_load_b128 v[2:5], v[2:3], off
.LBB155_165:                            ;   in Loop: Header=BB155_161 Depth=1
	s_wait_xcnt 0x0
	s_or_b32 exec_lo, exec_lo, s2
	v_add_nc_u64_e32 v[36:37], s[22:23], v[32:33]
	v_mov_b64_e32 v[12:13], 0
	v_mov_b64_e32 v[16:17], 0
	;; [unrolled: 1-line block ×3, first 2 shown]
	s_delay_alu instid0(VALU_DEP_4)
	v_cmp_lt_u64_e64 s2, v[36:37], v[20:21]
	s_and_saveexec_b32 s3, s2
	s_cbranch_execz .LBB155_167
; %bb.166:                              ;   in Loop: Header=BB155_161 Depth=1
	v_lshl_add_u64 v[10:11], v[36:37], 4, s[6:7]
	global_load_b128 v[14:17], v[10:11], off
.LBB155_167:                            ;   in Loop: Header=BB155_161 Depth=1
	s_wait_xcnt 0x0
	s_or_b32 exec_lo, exec_lo, s3
	v_add_nc_u64_e32 v[38:39], s[24:25], v[32:33]
	v_mov_b64_e32 v[10:11], 0
	s_delay_alu instid0(VALU_DEP_2)
	v_cmp_lt_u64_e64 s3, v[38:39], v[20:21]
	s_and_saveexec_b32 s4, s3
	s_cbranch_execz .LBB155_169
; %bb.168:                              ;   in Loop: Header=BB155_161 Depth=1
	v_lshl_add_u64 v[10:11], v[38:39], 4, s[6:7]
	global_load_b128 v[10:13], v[10:11], off
.LBB155_169:                            ;   in Loop: Header=BB155_161 Depth=1
	s_wait_xcnt 0x0
	s_or_b32 exec_lo, exec_lo, s4
	s_wait_loadcnt 0x0
	v_and_b32_e32 v44, 0x7fffffff, v7
	s_mov_b32 s4, exec_lo
	s_delay_alu instid0(VALU_DEP_1)
	v_cmpx_gt_u32_e32 0x7ff00000, v44
	s_xor_b32 s5, exec_lo, s4
	s_cbranch_execz .LBB155_190
; %bb.170:                              ;   in Loop: Header=BB155_161 Depth=1
	v_cmp_class_f64_e64 s4, v[8:9], 0x1f8
	s_and_saveexec_b32 s34, s4
	s_delay_alu instid0(SALU_CYCLE_1)
	s_xor_b32 s34, exec_lo, s34
	s_cbranch_execz .LBB155_187
; %bb.171:                              ;   in Loop: Header=BB155_161 Depth=1
	s_mov_b32 s4, exec_lo
	v_cmpx_gt_u32_e32 0x40360000, v44
	s_xor_b32 s35, exec_lo, s4
	s_cbranch_execz .LBB155_177
; %bb.172:                              ;   in Loop: Header=BB155_161 Depth=1
	v_cmp_ngt_f64_e64 s4, 0x41d00000, |v[8:9]|
                                        ; implicit-def: $vgpr45
                                        ; implicit-def: $vgpr40_vgpr41
                                        ; implicit-def: $vgpr42_vgpr43
	s_and_saveexec_b32 s36, s4
	s_delay_alu instid0(SALU_CYCLE_1)
	s_xor_b32 s4, exec_lo, s36
	s_cbranch_execz .LBB155_174
; %bb.173:                              ;   in Loop: Header=BB155_161 Depth=1
	v_ldexp_f64 v[40:41], |v[8:9]|, 0xffffff80
	v_cmp_le_f64_e64 vcc_lo, 0x7b000000, |v[8:9]|
	v_trig_preop_f64 v[42:43], |v[8:9]|, 0
	v_and_b32_e32 v23, 0x7fffffff, v9
	v_trig_preop_f64 v[46:47], |v[8:9]|, 1
	v_trig_preop_f64 v[56:57], |v[8:9]|, 2
	s_delay_alu instid0(VALU_DEP_3) | instskip(NEXT) | instid1(VALU_DEP_1)
	v_dual_cndmask_b32 v41, v23, v41 :: v_dual_cndmask_b32 v40, v8, v40
	v_mul_f64_e32 v[48:49], v[42:43], v[40:41]
	s_delay_alu instid0(VALU_DEP_4) | instskip(NEXT) | instid1(VALU_DEP_4)
	v_mul_f64_e32 v[50:51], v[46:47], v[40:41]
	v_mul_f64_e32 v[62:63], v[56:57], v[40:41]
	s_delay_alu instid0(VALU_DEP_3) | instskip(NEXT) | instid1(VALU_DEP_3)
	v_fma_f64 v[42:43], v[42:43], v[40:41], -v[48:49]
	v_fma_f64 v[46:47], v[46:47], v[40:41], -v[50:51]
	s_delay_alu instid0(VALU_DEP_3) | instskip(NEXT) | instid1(VALU_DEP_3)
	v_fma_f64 v[40:41], v[56:57], v[40:41], -v[62:63]
	v_add_f64_e32 v[52:53], v[50:51], v[42:43]
	s_delay_alu instid0(VALU_DEP_1) | instskip(SKIP_1) | instid1(VALU_DEP_2)
	v_add_f64_e64 v[54:55], v[52:53], -v[50:51]
	v_add_f64_e32 v[60:61], v[48:49], v[52:53]
	v_add_f64_e64 v[58:59], v[52:53], -v[54:55]
	v_add_f64_e64 v[42:43], v[42:43], -v[54:55]
	s_delay_alu instid0(VALU_DEP_3) | instskip(NEXT) | instid1(VALU_DEP_3)
	v_ldexp_f64 v[54:55], v[60:61], -2
	v_add_f64_e64 v[50:51], v[50:51], -v[58:59]
	v_add_f64_e32 v[58:59], v[62:63], v[46:47]
	s_delay_alu instid0(VALU_DEP_3) | instskip(NEXT) | instid1(VALU_DEP_3)
	v_cmp_neq_f64_e64 vcc_lo, 0x7ff00000, |v[54:55]|
	v_add_f64_e32 v[42:43], v[42:43], v[50:51]
	v_fract_f64_e32 v[50:51], v[54:55]
	s_delay_alu instid0(VALU_DEP_1) | instskip(NEXT) | instid1(VALU_DEP_1)
	v_ldexp_f64 v[50:51], v[50:51], 2
	v_dual_add_f64 v[48:49], v[60:61], -v[48:49] :: v_dual_cndmask_b32 v51, 0, v51, vcc_lo
	s_delay_alu instid0(VALU_DEP_1) | instskip(SKIP_1) | instid1(VALU_DEP_1)
	v_dual_add_f64 v[48:49], v[52:53], -v[48:49] :: v_dual_cndmask_b32 v50, 0, v50, vcc_lo
	v_add_f64_e32 v[52:53], v[58:59], v[42:43]
	v_add_f64_e32 v[54:55], v[48:49], v[52:53]
	v_add_f64_e64 v[64:65], v[52:53], -v[58:59]
	s_delay_alu instid0(VALU_DEP_2) | instskip(NEXT) | instid1(VALU_DEP_2)
	v_add_f64_e32 v[60:61], v[54:55], v[50:51]
	v_add_f64_e64 v[70:71], v[52:53], -v[64:65]
	v_add_f64_e64 v[42:43], v[42:43], -v[64:65]
	v_add_f64_e64 v[48:49], v[54:55], -v[48:49]
	s_delay_alu instid0(VALU_DEP_4) | instskip(SKIP_1) | instid1(VALU_DEP_3)
	v_cmp_gt_f64_e32 vcc_lo, 0, v[60:61]
	v_add_f64_e64 v[60:61], v[58:59], -v[62:63]
	v_add_f64_e64 v[48:49], v[52:53], -v[48:49]
	v_cndmask_b32_e64 v23, 0, 0x40100000, vcc_lo
	s_delay_alu instid0(VALU_DEP_3) | instskip(SKIP_2) | instid1(VALU_DEP_4)
	v_add_f64_e64 v[68:69], v[58:59], -v[60:61]
	v_add_f64_e64 v[46:47], v[46:47], -v[60:61]
	;; [unrolled: 1-line block ×3, first 2 shown]
	v_add_f64_e32 v[50:51], v[50:51], v[22:23]
	s_delay_alu instid0(VALU_DEP_4) | instskip(NEXT) | instid1(VALU_DEP_3)
	v_add_f64_e64 v[60:61], v[62:63], -v[68:69]
	v_add_f64_e32 v[42:43], v[42:43], v[58:59]
	s_delay_alu instid0(VALU_DEP_3) | instskip(NEXT) | instid1(VALU_DEP_3)
	v_add_f64_e32 v[66:67], v[54:55], v[50:51]
	v_add_f64_e32 v[46:47], v[46:47], v[60:61]
	s_delay_alu instid0(VALU_DEP_2) | instskip(NEXT) | instid1(VALU_DEP_2)
	v_cvt_i32_f64_e32 v23, v[66:67]
	v_add_f64_e32 v[42:43], v[46:47], v[42:43]
	s_delay_alu instid0(VALU_DEP_2) | instskip(NEXT) | instid1(VALU_DEP_2)
	v_cvt_f64_i32_e32 v[64:65], v23
	v_add_f64_e32 v[40:41], v[40:41], v[42:43]
	s_delay_alu instid0(VALU_DEP_2) | instskip(NEXT) | instid1(VALU_DEP_2)
	v_add_f64_e64 v[50:51], v[50:51], -v[64:65]
	v_add_f64_e32 v[40:41], v[48:49], v[40:41]
	s_delay_alu instid0(VALU_DEP_2) | instskip(NEXT) | instid1(VALU_DEP_1)
	v_add_f64_e32 v[46:47], v[54:55], v[50:51]
	v_add_f64_e64 v[42:43], v[46:47], -v[50:51]
	v_cmp_le_f64_e32 vcc_lo, 0.5, v[46:47]
	s_delay_alu instid0(VALU_DEP_2) | instskip(SKIP_2) | instid1(VALU_DEP_3)
	v_add_f64_e64 v[42:43], v[54:55], -v[42:43]
	v_add_co_ci_u32_e64 v45, null, 0, v23, vcc_lo
	v_cndmask_b32_e64 v23, 0, 0x3ff00000, vcc_lo
	v_add_f64_e32 v[40:41], v[40:41], v[42:43]
	s_delay_alu instid0(VALU_DEP_2) | instskip(NEXT) | instid1(VALU_DEP_1)
	v_add_f64_e64 v[42:43], v[46:47], -v[22:23]
	v_add_f64_e32 v[46:47], v[42:43], v[40:41]
	s_delay_alu instid0(VALU_DEP_1) | instskip(SKIP_1) | instid1(VALU_DEP_2)
	v_mul_f64_e32 v[48:49], 0x3ff921fb54442d18, v[46:47]
	v_add_f64_e64 v[42:43], v[46:47], -v[42:43]
	v_fma_f64 v[50:51], v[46:47], s[12:13], -v[48:49]
	s_delay_alu instid0(VALU_DEP_2) | instskip(NEXT) | instid1(VALU_DEP_2)
	v_add_f64_e64 v[40:41], v[40:41], -v[42:43]
	v_fmac_f64_e32 v[50:51], 0x3c91a62633145c07, v[46:47]
	s_delay_alu instid0(VALU_DEP_1) | instskip(NEXT) | instid1(VALU_DEP_1)
	v_fmac_f64_e32 v[50:51], 0x3ff921fb54442d18, v[40:41]
	v_add_f64_e32 v[40:41], v[48:49], v[50:51]
	s_delay_alu instid0(VALU_DEP_1) | instskip(NEXT) | instid1(VALU_DEP_1)
	v_add_f64_e64 v[42:43], v[40:41], -v[48:49]
	v_add_f64_e64 v[42:43], v[50:51], -v[42:43]
.LBB155_174:                            ;   in Loop: Header=BB155_161 Depth=1
	s_and_not1_saveexec_b32 s4, s4
	s_cbranch_execz .LBB155_176
; %bb.175:                              ;   in Loop: Header=BB155_161 Depth=1
	v_mul_f64_e64 v[40:41], |v[8:9]|, s[14:15]
	s_delay_alu instid0(VALU_DEP_1) | instskip(NEXT) | instid1(VALU_DEP_1)
	v_rndne_f64_e32 v[46:47], v[40:41]
	v_fma_f64 v[40:41], v[46:47], s[16:17], |v[8:9]|
	v_mul_f64_e32 v[42:43], 0xbc91a62633145c00, v[46:47]
	v_cvt_i32_f64_e32 v45, v[46:47]
	s_delay_alu instid0(VALU_DEP_3) | instskip(NEXT) | instid1(VALU_DEP_3)
	v_fmamk_f64 v[52:53], v[46:47], 0xbc91a62633145c00, v[40:41]
	v_add_f64_e32 v[48:49], v[40:41], v[42:43]
	s_delay_alu instid0(VALU_DEP_1) | instskip(NEXT) | instid1(VALU_DEP_3)
	v_add_f64_e64 v[50:51], v[40:41], -v[48:49]
	v_add_f64_e64 v[40:41], v[48:49], -v[52:53]
	s_delay_alu instid0(VALU_DEP_2) | instskip(SKIP_1) | instid1(VALU_DEP_2)
	v_add_f64_e32 v[48:49], v[50:51], v[42:43]
	v_fmamk_f64 v[42:43], v[46:47], 0x3c91a62633145c00, v[42:43]
	v_add_f64_e32 v[40:41], v[40:41], v[48:49]
	s_delay_alu instid0(VALU_DEP_1) | instskip(NEXT) | instid1(VALU_DEP_1)
	v_add_f64_e64 v[42:43], v[40:41], -v[42:43]
	v_fmac_f64_e32 v[42:43], 0xb97b839a252049c0, v[46:47]
	s_delay_alu instid0(VALU_DEP_1) | instskip(NEXT) | instid1(VALU_DEP_1)
	v_add_f64_e32 v[40:41], v[52:53], v[42:43]
	v_add_f64_e64 v[48:49], v[40:41], -v[52:53]
	s_delay_alu instid0(VALU_DEP_1)
	v_add_f64_e64 v[42:43], v[42:43], -v[48:49]
.LBB155_176:                            ;   in Loop: Header=BB155_161 Depth=1
	s_or_b32 exec_lo, exec_lo, s4
	v_add_f64_e64 v[46:47], |v[6:7]|, s[18:19]
	v_cmp_nge_f64_e64 vcc_lo, |v[6:7]|, s[20:21]
	v_mul_f64_e32 v[64:65], v[40:41], v[40:41]
	s_delay_alu instid0(VALU_DEP_4) | instskip(NEXT) | instid1(VALU_DEP_4)
	v_add_f64_e32 v[66:67], v[42:43], v[42:43]
	v_add_f64_e64 v[48:49], v[46:47], -|v[6:7]|
	s_delay_alu instid0(VALU_DEP_3) | instskip(NEXT) | instid1(VALU_DEP_2)
	v_fma_f64 v[68:69], v[40:41], v[40:41], -v[64:65]
	v_add_f64_e64 v[50:51], v[48:49], -v[46:47]
	v_add_f64_e32 v[48:49], 0x3fe62e42fefa39ef, v[48:49]
	s_delay_alu instid0(VALU_DEP_3) | instskip(NEXT) | instid1(VALU_DEP_3)
	v_fmac_f64_e32 v[68:69], v[40:41], v[66:67]
	v_add_f64_e64 v[50:51], |v[6:7]|, v[50:51]
	s_delay_alu instid0(VALU_DEP_2) | instskip(NEXT) | instid1(VALU_DEP_2)
	v_add_f64_e32 v[64:65], v[64:65], v[68:69]
	v_add_f64_e64 v[48:49], v[50:51], -v[48:49]
	s_delay_alu instid0(VALU_DEP_2) | instskip(NEXT) | instid1(VALU_DEP_1)
	v_fmamk_f64 v[68:69], v[64:65], 0x3ef5e089c751c08c, v[24:25]
	v_fmaak_f64 v[68:69], v[64:65], v[68:69], 0x3f17746f90a8aae0
	s_delay_alu instid0(VALU_DEP_1) | instskip(NEXT) | instid1(VALU_DEP_4)
	v_fmaak_f64 v[68:69], v[64:65], v[68:69], 0xbefbb44da6fbf144
	v_add_f64_e32 v[48:49], 0xbc7abc9e3b39803f, v[48:49]
	s_delay_alu instid0(VALU_DEP_1) | instskip(NEXT) | instid1(VALU_DEP_1)
	v_add_f64_e32 v[50:51], v[46:47], v[48:49]
	v_mul_f64_e32 v[52:53], 0x3ff71547652b82fe, v[50:51]
	v_add_f64_e64 v[46:47], v[46:47], -v[50:51]
	s_delay_alu instid0(VALU_DEP_2) | instskip(NEXT) | instid1(VALU_DEP_2)
	v_rndne_f64_e32 v[52:53], v[52:53]
	v_add_f64_e32 v[46:47], v[48:49], v[46:47]
	s_delay_alu instid0(VALU_DEP_2) | instskip(SKIP_2) | instid1(VALU_DEP_3)
	v_fmac_f64_e32 v[50:51], 0xbfe62e42fefa3000, v[52:53]
	v_mul_f64_e32 v[48:49], 0xbd53de6af278e000, v[52:53]
	v_cvt_i32_f64_e32 v8, v[52:53]
	v_add_f64_e32 v[54:55], v[46:47], v[50:51]
	s_delay_alu instid0(VALU_DEP_1) | instskip(SKIP_1) | instid1(VALU_DEP_2)
	v_add_f64_e32 v[56:57], v[54:55], v[48:49]
	v_add_f64_e64 v[50:51], v[50:51], -v[54:55]
	v_add_f64_e64 v[54:55], v[54:55], -v[56:57]
	s_delay_alu instid0(VALU_DEP_2) | instskip(NEXT) | instid1(VALU_DEP_2)
	v_add_f64_e32 v[46:47], v[46:47], v[50:51]
	v_add_f64_e32 v[48:49], v[54:55], v[48:49]
	s_delay_alu instid0(VALU_DEP_1) | instskip(SKIP_1) | instid1(VALU_DEP_2)
	v_add_f64_e32 v[46:47], v[46:47], v[48:49]
	v_mul_f64_e32 v[48:49], 0xbac9cc01f97b57a0, v[52:53]
	v_add_f64_e32 v[50:51], v[56:57], v[46:47]
	s_delay_alu instid0(VALU_DEP_1) | instskip(SKIP_1) | instid1(VALU_DEP_2)
	v_add_f64_e32 v[54:55], v[50:51], v[48:49]
	v_add_f64_e64 v[56:57], v[56:57], -v[50:51]
	v_add_f64_e64 v[50:51], v[50:51], -v[54:55]
	s_delay_alu instid0(VALU_DEP_2) | instskip(NEXT) | instid1(VALU_DEP_2)
	v_add_f64_e32 v[46:47], v[46:47], v[56:57]
	v_add_f64_e32 v[48:49], v[50:51], v[48:49]
	s_delay_alu instid0(VALU_DEP_1) | instskip(NEXT) | instid1(VALU_DEP_1)
	v_add_f64_e32 v[46:47], v[46:47], v[48:49]
	v_add_f64_e32 v[48:49], v[54:55], v[46:47]
	s_delay_alu instid0(VALU_DEP_1) | instskip(SKIP_1) | instid1(VALU_DEP_2)
	v_add_f64_e64 v[50:51], v[54:55], -v[48:49]
	v_mul_f64_e32 v[54:55], v[48:49], v[48:49]
	v_add_f64_e32 v[46:47], v[46:47], v[50:51]
	s_delay_alu instid0(VALU_DEP_2) | instskip(NEXT) | instid1(VALU_DEP_2)
	v_fma_f64 v[50:51], v[48:49], v[48:49], -v[54:55]
	v_add_f64_e32 v[56:57], v[46:47], v[46:47]
	s_delay_alu instid0(VALU_DEP_1) | instskip(SKIP_1) | instid1(VALU_DEP_1)
	v_fmac_f64_e32 v[50:51], v[48:49], v[56:57]
	v_fmamk_f64 v[56:57], v[48:49], 0x3e5ade156a5dcb37, v[26:27]
	v_fmaak_f64 v[56:57], v[48:49], v[56:57], 0x3ec71dee623fde64
	s_delay_alu instid0(VALU_DEP_1) | instskip(NEXT) | instid1(VALU_DEP_1)
	v_fmaak_f64 v[56:57], v[48:49], v[56:57], 0x3efa01997c89e6b0
	v_fmaak_f64 v[56:57], v[48:49], v[56:57], 0x3f2a01a014761f6e
	s_delay_alu instid0(VALU_DEP_1) | instskip(SKIP_1) | instid1(VALU_DEP_2)
	v_fmaak_f64 v[56:57], v[48:49], v[56:57], 0x3f56c16c1852b7b0
	v_add_f64_e32 v[58:59], v[54:55], v[50:51]
	v_fmaak_f64 v[56:57], v[48:49], v[56:57], 0x3f81111111122322
	s_delay_alu instid0(VALU_DEP_1) | instskip(NEXT) | instid1(VALU_DEP_1)
	v_fmaak_f64 v[56:57], v[48:49], v[56:57], 0x3fa55555555502a1
	v_fmaak_f64 v[56:57], v[48:49], v[56:57], 0x3fc5555555555511
	s_delay_alu instid0(VALU_DEP_1) | instskip(SKIP_1) | instid1(VALU_DEP_2)
	v_fmaak_f64 v[56:57], v[48:49], v[56:57], 0x3fe000000000000b
	v_add_f64_e64 v[54:55], v[58:59], -v[54:55]
	v_mul_f64_e32 v[60:61], v[58:59], v[56:57]
	s_delay_alu instid0(VALU_DEP_2) | instskip(NEXT) | instid1(VALU_DEP_2)
	v_add_f64_e64 v[50:51], v[50:51], -v[54:55]
	v_fma_f64 v[54:55], v[58:59], v[56:57], -v[60:61]
	s_delay_alu instid0(VALU_DEP_1) | instskip(NEXT) | instid1(VALU_DEP_1)
	v_fmac_f64_e32 v[54:55], v[50:51], v[56:57]
	v_add_f64_e32 v[50:51], v[60:61], v[54:55]
	s_delay_alu instid0(VALU_DEP_1) | instskip(SKIP_1) | instid1(VALU_DEP_2)
	v_add_f64_e32 v[56:57], v[48:49], v[50:51]
	v_add_f64_e64 v[58:59], v[50:51], -v[60:61]
	v_add_f64_e64 v[48:49], v[56:57], -v[48:49]
	s_delay_alu instid0(VALU_DEP_2) | instskip(NEXT) | instid1(VALU_DEP_2)
	v_add_f64_e64 v[54:55], v[54:55], -v[58:59]
	v_add_f64_e64 v[48:49], v[50:51], -v[48:49]
	s_delay_alu instid0(VALU_DEP_2) | instskip(NEXT) | instid1(VALU_DEP_1)
	v_add_f64_e32 v[46:47], v[46:47], v[54:55]
	v_add_f64_e32 v[46:47], v[46:47], v[48:49]
	s_delay_alu instid0(VALU_DEP_1) | instskip(NEXT) | instid1(VALU_DEP_1)
	v_add_f64_e32 v[48:49], v[56:57], v[46:47]
	v_add_f64_e32 v[50:51], 1.0, v[48:49]
	v_add_f64_e64 v[54:55], v[48:49], -v[56:57]
	s_delay_alu instid0(VALU_DEP_2) | instskip(NEXT) | instid1(VALU_DEP_2)
	v_add_f64_e32 v[56:57], -1.0, v[50:51]
	v_add_f64_e64 v[46:47], v[46:47], -v[54:55]
	s_delay_alu instid0(VALU_DEP_2) | instskip(NEXT) | instid1(VALU_DEP_1)
	v_add_f64_e64 v[48:49], v[48:49], -v[56:57]
	v_add_f64_e32 v[46:47], v[46:47], v[48:49]
	s_delay_alu instid0(VALU_DEP_1) | instskip(NEXT) | instid1(VALU_DEP_1)
	v_add_f64_e32 v[48:49], v[50:51], v[46:47]
	v_ldexp_f64 v[52:53], v[48:49], v8
	v_add_f64_e64 v[48:49], v[48:49], -v[50:51]
	s_delay_alu instid0(VALU_DEP_2) | instskip(NEXT) | instid1(VALU_DEP_1)
	v_rcp_f64_e32 v[54:55], v[52:53]
	v_add_f64_e64 v[46:47], v[46:47], -v[48:49]
	s_delay_alu instid0(VALU_DEP_1) | instskip(NEXT) | instid1(TRANS32_DEP_1)
	v_ldexp_f64 v[46:47], v[46:47], v8
	v_fma_f64 v[56:57], -v[52:53], v[54:55], 1.0
	s_delay_alu instid0(VALU_DEP_1) | instskip(NEXT) | instid1(VALU_DEP_1)
	v_fmac_f64_e32 v[54:55], v[56:57], v[54:55]
	v_fma_f64 v[56:57], -v[52:53], v[54:55], 1.0
	s_delay_alu instid0(VALU_DEP_1) | instskip(NEXT) | instid1(VALU_DEP_1)
	v_fmac_f64_e32 v[54:55], v[56:57], v[54:55]
	v_mul_f64_e32 v[48:49], v[52:53], v[54:55]
	s_delay_alu instid0(VALU_DEP_1) | instskip(NEXT) | instid1(VALU_DEP_1)
	v_fma_f64 v[50:51], v[54:55], v[52:53], -v[48:49]
	v_fmac_f64_e32 v[50:51], v[54:55], v[46:47]
	s_delay_alu instid0(VALU_DEP_1) | instskip(NEXT) | instid1(VALU_DEP_1)
	v_add_f64_e32 v[56:57], v[48:49], v[50:51]
	v_add_f64_e64 v[58:59], -v[56:57], 1.0
	v_add_f64_e64 v[48:49], v[56:57], -v[48:49]
	s_delay_alu instid0(VALU_DEP_2) | instskip(NEXT) | instid1(VALU_DEP_2)
	v_add_f64_e64 v[60:61], -v[58:59], 1.0
	v_add_f64_e64 v[48:49], v[48:49], -v[50:51]
	s_delay_alu instid0(VALU_DEP_2) | instskip(NEXT) | instid1(VALU_DEP_1)
	v_add_f64_e64 v[50:51], v[60:61], -v[56:57]
	v_add_f64_e32 v[48:49], v[48:49], v[50:51]
	s_delay_alu instid0(VALU_DEP_1) | instskip(NEXT) | instid1(VALU_DEP_1)
	v_add_f64_e32 v[50:51], v[58:59], v[48:49]
	v_mul_f64_e32 v[56:57], v[54:55], v[50:51]
	v_add_f64_e64 v[58:59], v[58:59], -v[50:51]
	s_delay_alu instid0(VALU_DEP_2) | instskip(NEXT) | instid1(VALU_DEP_2)
	v_mul_f64_e32 v[60:61], v[52:53], v[56:57]
	v_add_f64_e32 v[48:49], v[48:49], v[58:59]
	s_delay_alu instid0(VALU_DEP_2) | instskip(NEXT) | instid1(VALU_DEP_1)
	v_fma_f64 v[62:63], v[56:57], v[52:53], -v[60:61]
	v_fmac_f64_e32 v[62:63], v[56:57], v[46:47]
	s_delay_alu instid0(VALU_DEP_1) | instskip(NEXT) | instid1(VALU_DEP_1)
	v_add_f64_e32 v[70:71], v[60:61], v[62:63]
	v_add_f64_e64 v[66:67], v[50:51], -v[70:71]
	v_add_f64_e64 v[58:59], v[70:71], -v[60:61]
	v_fmaak_f64 v[60:61], v[64:65], v[68:69], 0x3f21e634a7943acf
	s_delay_alu instid0(VALU_DEP_1) | instskip(NEXT) | instid1(VALU_DEP_1)
	v_fmaak_f64 v[60:61], v[64:65], v[60:61], 0x3f2d250fdeb68feb
	v_fmaak_f64 v[60:61], v[64:65], v[60:61], 0x3f437fd9b58c4d95
	s_delay_alu instid0(VALU_DEP_1) | instskip(NEXT) | instid1(VALU_DEP_1)
	v_fmaak_f64 v[60:61], v[64:65], v[60:61], 0x3f57d5af15120e2c
	v_fmaak_f64 v[60:61], v[64:65], v[60:61], 0x3f6d6d93e09491df
	v_add_f64_e64 v[50:51], v[50:51], -v[66:67]
	v_add_f64_e64 v[58:59], v[58:59], -v[62:63]
	s_delay_alu instid0(VALU_DEP_2) | instskip(NEXT) | instid1(VALU_DEP_1)
	v_add_f64_e64 v[50:51], v[50:51], -v[70:71]
	v_add_f64_e32 v[48:49], v[48:49], v[50:51]
	v_fmaak_f64 v[50:51], v[64:65], v[60:61], 0x3f8226e12033784d
	v_add_f64_e32 v[60:61], v[54:55], v[56:57]
	s_delay_alu instid0(VALU_DEP_2) | instskip(NEXT) | instid1(VALU_DEP_1)
	v_fmaak_f64 v[50:51], v[64:65], v[50:51], 0x3f9664f49ac36ae2
	v_fmaak_f64 v[50:51], v[64:65], v[50:51], 0x3faba1ba1b451c21
	s_delay_alu instid0(VALU_DEP_1) | instskip(NEXT) | instid1(VALU_DEP_1)
	v_fmaak_f64 v[50:51], v[64:65], v[50:51], 0x3fc11111111185b7
	v_fmaak_f64 v[50:51], v[64:65], v[50:51], 0x3fd55555555554ee
	v_add_f64_e32 v[48:49], v[58:59], v[48:49]
	v_add_f64_e64 v[58:59], v[60:61], -v[54:55]
	s_delay_alu instid0(VALU_DEP_3) | instskip(NEXT) | instid1(VALU_DEP_3)
	v_mul_f64_e32 v[50:51], v[64:65], v[50:51]
	v_add_f64_e32 v[48:49], v[66:67], v[48:49]
	s_delay_alu instid0(VALU_DEP_3) | instskip(NEXT) | instid1(VALU_DEP_3)
	v_add_f64_e64 v[56:57], v[56:57], -v[58:59]
	v_mul_f64_e32 v[62:63], v[40:41], v[50:51]
	s_delay_alu instid0(VALU_DEP_3) | instskip(NEXT) | instid1(VALU_DEP_2)
	v_mul_f64_e32 v[48:49], v[54:55], v[48:49]
	v_add_f64_e32 v[54:55], v[40:41], v[62:63]
	v_fma_f64 v[50:51], v[40:41], v[50:51], -v[62:63]
	s_delay_alu instid0(VALU_DEP_3) | instskip(NEXT) | instid1(VALU_DEP_3)
	v_add_f64_e32 v[48:49], v[56:57], v[48:49]
	v_add_f64_e64 v[40:41], v[54:55], -v[40:41]
	s_delay_alu instid0(VALU_DEP_3) | instskip(NEXT) | instid1(VALU_DEP_3)
	v_add_f64_e32 v[42:43], v[42:43], v[50:51]
	v_add_f64_e32 v[56:57], v[60:61], v[48:49]
	s_delay_alu instid0(VALU_DEP_3) | instskip(NEXT) | instid1(VALU_DEP_2)
	v_add_f64_e64 v[40:41], v[62:63], -v[40:41]
	v_ldexp_f64 v[50:51], v[56:57], -2
	v_add_f64_e64 v[56:57], v[56:57], -v[60:61]
	s_delay_alu instid0(VALU_DEP_3) | instskip(NEXT) | instid1(VALU_DEP_3)
	v_add_f64_e32 v[40:41], v[42:43], v[40:41]
	v_add_f64_e64 v[42:43], v[52:53], -v[50:51]
	s_delay_alu instid0(VALU_DEP_3) | instskip(NEXT) | instid1(VALU_DEP_3)
	v_add_f64_e64 v[48:49], v[48:49], -v[56:57]
	v_add_f64_e32 v[58:59], v[54:55], v[40:41]
	s_delay_alu instid0(VALU_DEP_3) | instskip(NEXT) | instid1(VALU_DEP_3)
	v_add_f64_e64 v[52:53], v[52:53], -v[42:43]
	v_ldexp_f64 v[48:49], v[48:49], -2
	s_delay_alu instid0(VALU_DEP_3) | instskip(NEXT) | instid1(VALU_DEP_2)
	v_rcp_f64_e32 v[60:61], v[58:59]
	v_add_f64_e64 v[50:51], v[52:53], -v[50:51]
	s_delay_alu instid0(TRANS32_DEP_1) | instskip(NEXT) | instid1(VALU_DEP_2)
	v_fma_f64 v[52:53], -v[58:59], v[60:61], 1.0
	v_add_f64_e32 v[46:47], v[46:47], v[50:51]
	s_delay_alu instid0(VALU_DEP_2) | instskip(NEXT) | instid1(VALU_DEP_2)
	v_fmac_f64_e32 v[60:61], v[52:53], v[60:61]
	v_add_f64_e64 v[46:47], v[46:47], -v[48:49]
	s_delay_alu instid0(VALU_DEP_2) | instskip(NEXT) | instid1(VALU_DEP_2)
	v_fma_f64 v[48:49], -v[58:59], v[60:61], 1.0
	v_add_f64_e32 v[42:43], v[42:43], v[46:47]
	s_delay_alu instid0(VALU_DEP_2) | instskip(NEXT) | instid1(VALU_DEP_2)
	v_fmac_f64_e32 v[60:61], v[48:49], v[60:61]
	v_cndmask_b32_e32 v8, 0x7ff00000, v43, vcc_lo
	s_delay_alu instid0(VALU_DEP_3) | instskip(SKIP_3) | instid1(VALU_DEP_3)
	v_cndmask_b32_e32 v23, 0, v42, vcc_lo
	v_cmp_gt_f64_e64 vcc_lo, 0x3e400000, |v[6:7]|
	v_add_f64_e64 v[42:43], v[58:59], -v[54:55]
	v_mul_f64_e32 v[46:47], v[58:59], v[60:61]
	v_dual_cndmask_b32 v8, v8, v44, vcc_lo :: v_dual_cndmask_b32 v6, v23, v6, vcc_lo
	s_delay_alu instid0(VALU_DEP_3) | instskip(NEXT) | instid1(VALU_DEP_2)
	v_add_f64_e64 v[40:41], v[40:41], -v[42:43]
	v_bfi_b32 v7, 0x7fffffff, v8, v7
	s_delay_alu instid0(VALU_DEP_4) | instskip(NEXT) | instid1(VALU_DEP_2)
	v_fma_f64 v[42:43], v[60:61], v[58:59], -v[46:47]
	v_fma_f64 v[48:49], v[6:7], v[6:7], 1.0
	s_delay_alu instid0(VALU_DEP_2) | instskip(NEXT) | instid1(VALU_DEP_2)
	v_fmac_f64_e32 v[42:43], v[60:61], v[40:41]
	v_cmp_gt_f64_e32 vcc_lo, 0x10000000, v[48:49]
	v_cndmask_b32_e64 v8, 0, 0x100, vcc_lo
	s_delay_alu instid0(VALU_DEP_1) | instskip(NEXT) | instid1(VALU_DEP_4)
	v_ldexp_f64 v[40:41], v[48:49], v8
	v_dual_add_f64 v[48:49], v[46:47], v[42:43] :: v_dual_bitop2_b32 v8, 1, v45 bitop3:0x40
	s_delay_alu instid0(VALU_DEP_1) | instskip(NEXT) | instid1(VALU_DEP_3)
	v_cmp_eq_u32_e64 s4, 0, v8
	v_rsq_f64_e32 v[50:51], v[40:41]
	s_delay_alu instid0(VALU_DEP_2) | instskip(SKIP_1) | instid1(VALU_DEP_2)
	v_add_f64_e64 v[52:53], -v[48:49], 1.0
	v_add_f64_e64 v[46:47], v[48:49], -v[46:47]
	v_add_f64_e64 v[56:57], -v[52:53], 1.0
	s_delay_alu instid0(VALU_DEP_2) | instskip(NEXT) | instid1(TRANS32_DEP_1)
	v_add_f64_e64 v[42:43], v[46:47], -v[42:43]
	v_mul_f64_e32 v[54:55], v[40:41], v[50:51]
	v_mul_f64_e32 v[50:51], 0.5, v[50:51]
	s_delay_alu instid0(VALU_DEP_4) | instskip(NEXT) | instid1(VALU_DEP_2)
	v_add_f64_e64 v[46:47], v[56:57], -v[48:49]
	v_fma_f64 v[62:63], -v[50:51], v[54:55], 0.5
	s_delay_alu instid0(VALU_DEP_2) | instskip(NEXT) | instid1(VALU_DEP_2)
	v_add_f64_e32 v[42:43], v[42:43], v[46:47]
	v_fmac_f64_e32 v[54:55], v[54:55], v[62:63]
	v_fmac_f64_e32 v[50:51], v[50:51], v[62:63]
	s_delay_alu instid0(VALU_DEP_3) | instskip(NEXT) | instid1(VALU_DEP_3)
	v_add_f64_e32 v[42:43], v[52:53], v[42:43]
	v_fma_f64 v[46:47], -v[54:55], v[54:55], v[40:41]
	s_delay_alu instid0(VALU_DEP_2) | instskip(NEXT) | instid1(VALU_DEP_2)
	v_mul_f64_e32 v[42:43], v[60:61], v[42:43]
	v_fmac_f64_e32 v[54:55], v[46:47], v[50:51]
	s_delay_alu instid0(VALU_DEP_2) | instskip(NEXT) | instid1(VALU_DEP_2)
	v_add_f64_e32 v[42:43], v[60:61], v[42:43]
	v_fma_f64 v[46:47], -v[54:55], v[54:55], v[40:41]
	s_delay_alu instid0(VALU_DEP_2) | instskip(NEXT) | instid1(VALU_DEP_3)
	v_xor_b32_e32 v23, 0x80000000, v43
	v_cndmask_b32_e64 v8, v42, v58, s4
	v_cndmask_b32_e64 v42, 0, 0xffffff80, vcc_lo
	v_cmp_class_f64_e64 vcc_lo, v[40:41], 0x260
	s_delay_alu instid0(VALU_DEP_4) | instskip(SKIP_1) | instid1(VALU_DEP_2)
	v_cndmask_b32_e64 v23, v23, v59, s4
	v_fmac_f64_e32 v[54:55], v[46:47], v[50:51]
	v_bitop3_b32 v9, v23, v9, 0x80000000 bitop3:0x78
	s_delay_alu instid0(VALU_DEP_1) | instskip(NEXT) | instid1(VALU_DEP_3)
	v_fma_f64 v[44:45], v[8:9], v[8:9], 1.0
	v_ldexp_f64 v[42:43], v[54:55], v42
	s_delay_alu instid0(VALU_DEP_1) | instskip(NEXT) | instid1(VALU_DEP_3)
	v_dual_cndmask_b32 v41, v43, v41 :: v_dual_cndmask_b32 v40, v42, v40
	v_mul_f64_e32 v[42:43], v[6:7], v[44:45]
	s_delay_alu instid0(VALU_DEP_2) | instskip(NEXT) | instid1(VALU_DEP_2)
	v_mul_f64_e32 v[40:41], v[40:41], v[44:45]
	v_fma_f64 v[42:43], v[6:7], v[42:43], 1.0
	s_delay_alu instid0(VALU_DEP_2) | instskip(NEXT) | instid1(VALU_DEP_2)
	v_mul_f64_e32 v[6:7], v[6:7], v[40:41]
	v_div_scale_f64 v[44:45], null, v[42:43], v[42:43], v[8:9]
	s_delay_alu instid0(VALU_DEP_2) | instskip(SKIP_1) | instid1(VALU_DEP_3)
	v_div_scale_f64 v[40:41], null, v[42:43], v[42:43], v[6:7]
	v_div_scale_f64 v[54:55], vcc_lo, v[6:7], v[42:43], v[6:7]
	v_rcp_f64_e32 v[48:49], v[44:45]
	s_delay_alu instid0(VALU_DEP_2) | instskip(NEXT) | instid1(TRANS32_DEP_2)
	v_rcp_f64_e32 v[46:47], v[40:41]
	v_fma_f64 v[52:53], -v[44:45], v[48:49], 1.0
	s_delay_alu instid0(TRANS32_DEP_1) | instskip(NEXT) | instid1(VALU_DEP_2)
	v_fma_f64 v[50:51], -v[40:41], v[46:47], 1.0
	v_fmac_f64_e32 v[48:49], v[48:49], v[52:53]
	s_delay_alu instid0(VALU_DEP_2) | instskip(NEXT) | instid1(VALU_DEP_2)
	v_fmac_f64_e32 v[46:47], v[46:47], v[50:51]
	v_fma_f64 v[52:53], -v[44:45], v[48:49], 1.0
	s_delay_alu instid0(VALU_DEP_2) | instskip(NEXT) | instid1(VALU_DEP_2)
	v_fma_f64 v[50:51], -v[40:41], v[46:47], 1.0
	v_fmac_f64_e32 v[48:49], v[48:49], v[52:53]
	s_delay_alu instid0(VALU_DEP_2) | instskip(SKIP_1) | instid1(VALU_DEP_2)
	v_fmac_f64_e32 v[46:47], v[46:47], v[50:51]
	v_div_scale_f64 v[50:51], s4, v[8:9], v[42:43], v[8:9]
	v_mul_f64_e32 v[52:53], v[54:55], v[46:47]
	s_delay_alu instid0(VALU_DEP_2) | instskip(NEXT) | instid1(VALU_DEP_2)
	v_mul_f64_e32 v[56:57], v[50:51], v[48:49]
	v_fma_f64 v[40:41], -v[40:41], v[52:53], v[54:55]
	s_delay_alu instid0(VALU_DEP_2) | instskip(NEXT) | instid1(VALU_DEP_2)
	v_fma_f64 v[44:45], -v[44:45], v[56:57], v[50:51]
	v_div_fmas_f64 v[40:41], v[40:41], v[46:47], v[52:53]
	s_mov_b32 vcc_lo, s4
	s_delay_alu instid0(VALU_DEP_2) | instskip(NEXT) | instid1(VALU_DEP_2)
	v_div_fmas_f64 v[44:45], v[44:45], v[48:49], v[56:57]
	v_div_fixup_f64 v[6:7], v[40:41], v[42:43], v[6:7]
	s_delay_alu instid0(VALU_DEP_2)
	v_div_fixup_f64 v[8:9], v[44:45], v[42:43], v[8:9]
.LBB155_177:                            ;   in Loop: Header=BB155_161 Depth=1
	s_and_not1_saveexec_b32 s4, s35
	s_cbranch_execz .LBB155_197
; %bb.178:                              ;   in Loop: Header=BB155_161 Depth=1
	s_delay_alu instid0(VALU_DEP_1) | instskip(SKIP_1) | instid1(SALU_CYCLE_1)
	v_cmp_ngt_f64_e64 s35, 0x41d00000, |v[8:9]|
                                        ; implicit-def: $vgpr48
                                        ; implicit-def: $vgpr40_vgpr41
                                        ; implicit-def: $vgpr42_vgpr43
	s_and_saveexec_b32 s36, s35
	s_xor_b32 s36, exec_lo, s36
	s_cbranch_execz .LBB155_180
; %bb.179:                              ;   in Loop: Header=BB155_161 Depth=1
	v_ldexp_f64 v[40:41], |v[8:9]|, 0xffffff80
	v_cmp_le_f64_e64 vcc_lo, 0x7b000000, |v[8:9]|
	v_trig_preop_f64 v[42:43], |v[8:9]|, 0
	v_and_b32_e32 v23, 0x7fffffff, v9
	v_trig_preop_f64 v[44:45], |v[8:9]|, 1
	v_trig_preop_f64 v[54:55], |v[8:9]|, 2
	s_delay_alu instid0(VALU_DEP_3) | instskip(NEXT) | instid1(VALU_DEP_1)
	v_dual_cndmask_b32 v41, v23, v41 :: v_dual_cndmask_b32 v40, v8, v40
	v_mul_f64_e32 v[46:47], v[42:43], v[40:41]
	s_delay_alu instid0(VALU_DEP_4) | instskip(NEXT) | instid1(VALU_DEP_4)
	v_mul_f64_e32 v[48:49], v[44:45], v[40:41]
	v_mul_f64_e32 v[60:61], v[54:55], v[40:41]
	s_delay_alu instid0(VALU_DEP_3) | instskip(NEXT) | instid1(VALU_DEP_3)
	v_fma_f64 v[42:43], v[42:43], v[40:41], -v[46:47]
	v_fma_f64 v[44:45], v[44:45], v[40:41], -v[48:49]
	s_delay_alu instid0(VALU_DEP_3) | instskip(NEXT) | instid1(VALU_DEP_3)
	v_fma_f64 v[40:41], v[54:55], v[40:41], -v[60:61]
	v_add_f64_e32 v[50:51], v[48:49], v[42:43]
	s_delay_alu instid0(VALU_DEP_1) | instskip(SKIP_1) | instid1(VALU_DEP_2)
	v_add_f64_e64 v[52:53], v[50:51], -v[48:49]
	v_add_f64_e32 v[58:59], v[46:47], v[50:51]
	v_add_f64_e64 v[56:57], v[50:51], -v[52:53]
	v_add_f64_e64 v[42:43], v[42:43], -v[52:53]
	s_delay_alu instid0(VALU_DEP_3) | instskip(NEXT) | instid1(VALU_DEP_3)
	v_ldexp_f64 v[52:53], v[58:59], -2
	v_add_f64_e64 v[48:49], v[48:49], -v[56:57]
	v_add_f64_e32 v[56:57], v[60:61], v[44:45]
	s_delay_alu instid0(VALU_DEP_3) | instskip(NEXT) | instid1(VALU_DEP_3)
	v_cmp_neq_f64_e64 vcc_lo, 0x7ff00000, |v[52:53]|
	v_add_f64_e32 v[42:43], v[42:43], v[48:49]
	v_fract_f64_e32 v[48:49], v[52:53]
	s_delay_alu instid0(VALU_DEP_1) | instskip(NEXT) | instid1(VALU_DEP_1)
	v_ldexp_f64 v[48:49], v[48:49], 2
	v_dual_add_f64 v[46:47], v[58:59], -v[46:47] :: v_dual_cndmask_b32 v48, 0, v48, vcc_lo
	s_delay_alu instid0(VALU_DEP_1) | instskip(SKIP_1) | instid1(VALU_DEP_1)
	v_dual_add_f64 v[46:47], v[50:51], -v[46:47] :: v_dual_cndmask_b32 v49, 0, v49, vcc_lo
	v_add_f64_e32 v[50:51], v[56:57], v[42:43]
	v_add_f64_e32 v[52:53], v[46:47], v[50:51]
	v_add_f64_e64 v[62:63], v[50:51], -v[56:57]
	s_delay_alu instid0(VALU_DEP_2) | instskip(NEXT) | instid1(VALU_DEP_2)
	v_add_f64_e32 v[58:59], v[52:53], v[48:49]
	v_add_f64_e64 v[68:69], v[50:51], -v[62:63]
	v_add_f64_e64 v[42:43], v[42:43], -v[62:63]
	v_add_f64_e64 v[46:47], v[52:53], -v[46:47]
	s_delay_alu instid0(VALU_DEP_4) | instskip(SKIP_1) | instid1(VALU_DEP_3)
	v_cmp_gt_f64_e32 vcc_lo, 0, v[58:59]
	v_add_f64_e64 v[58:59], v[56:57], -v[60:61]
	v_add_f64_e64 v[46:47], v[50:51], -v[46:47]
	v_cndmask_b32_e64 v23, 0, 0x40100000, vcc_lo
	s_delay_alu instid0(VALU_DEP_3) | instskip(SKIP_2) | instid1(VALU_DEP_4)
	v_add_f64_e64 v[66:67], v[56:57], -v[58:59]
	v_add_f64_e64 v[44:45], v[44:45], -v[58:59]
	;; [unrolled: 1-line block ×3, first 2 shown]
	v_add_f64_e32 v[48:49], v[48:49], v[22:23]
	s_delay_alu instid0(VALU_DEP_4) | instskip(NEXT) | instid1(VALU_DEP_3)
	v_add_f64_e64 v[58:59], v[60:61], -v[66:67]
	v_add_f64_e32 v[42:43], v[42:43], v[56:57]
	s_delay_alu instid0(VALU_DEP_3) | instskip(NEXT) | instid1(VALU_DEP_3)
	v_add_f64_e32 v[64:65], v[52:53], v[48:49]
	v_add_f64_e32 v[44:45], v[44:45], v[58:59]
	s_delay_alu instid0(VALU_DEP_2) | instskip(NEXT) | instid1(VALU_DEP_2)
	v_cvt_i32_f64_e32 v23, v[64:65]
	v_add_f64_e32 v[42:43], v[44:45], v[42:43]
	s_delay_alu instid0(VALU_DEP_2) | instskip(NEXT) | instid1(VALU_DEP_2)
	v_cvt_f64_i32_e32 v[62:63], v23
	v_add_f64_e32 v[40:41], v[40:41], v[42:43]
	s_delay_alu instid0(VALU_DEP_2) | instskip(NEXT) | instid1(VALU_DEP_2)
	v_add_f64_e64 v[48:49], v[48:49], -v[62:63]
	v_add_f64_e32 v[40:41], v[46:47], v[40:41]
	s_delay_alu instid0(VALU_DEP_2) | instskip(NEXT) | instid1(VALU_DEP_1)
	v_add_f64_e32 v[44:45], v[52:53], v[48:49]
	v_add_f64_e64 v[42:43], v[44:45], -v[48:49]
	v_cmp_le_f64_e32 vcc_lo, 0.5, v[44:45]
	s_delay_alu instid0(VALU_DEP_2) | instskip(SKIP_2) | instid1(VALU_DEP_3)
	v_add_f64_e64 v[42:43], v[52:53], -v[42:43]
	v_add_co_ci_u32_e64 v48, null, 0, v23, vcc_lo
	v_cndmask_b32_e64 v23, 0, 0x3ff00000, vcc_lo
	v_add_f64_e32 v[40:41], v[40:41], v[42:43]
	s_delay_alu instid0(VALU_DEP_2) | instskip(NEXT) | instid1(VALU_DEP_1)
	v_add_f64_e64 v[42:43], v[44:45], -v[22:23]
	v_add_f64_e32 v[44:45], v[42:43], v[40:41]
	s_delay_alu instid0(VALU_DEP_1) | instskip(SKIP_1) | instid1(VALU_DEP_2)
	v_mul_f64_e32 v[46:47], 0x3ff921fb54442d18, v[44:45]
	v_add_f64_e64 v[42:43], v[44:45], -v[42:43]
	v_fma_f64 v[50:51], v[44:45], s[12:13], -v[46:47]
	s_delay_alu instid0(VALU_DEP_2) | instskip(NEXT) | instid1(VALU_DEP_2)
	v_add_f64_e64 v[40:41], v[40:41], -v[42:43]
	v_fmac_f64_e32 v[50:51], 0x3c91a62633145c07, v[44:45]
	s_delay_alu instid0(VALU_DEP_1) | instskip(NEXT) | instid1(VALU_DEP_1)
	v_fmac_f64_e32 v[50:51], 0x3ff921fb54442d18, v[40:41]
	v_add_f64_e32 v[40:41], v[46:47], v[50:51]
	s_delay_alu instid0(VALU_DEP_1) | instskip(NEXT) | instid1(VALU_DEP_1)
	v_add_f64_e64 v[42:43], v[40:41], -v[46:47]
	v_add_f64_e64 v[42:43], v[50:51], -v[42:43]
	s_and_not1_saveexec_b32 s36, s36
	s_cbranch_execz .LBB155_182
	s_branch .LBB155_181
.LBB155_180:                            ;   in Loop: Header=BB155_161 Depth=1
	s_and_not1_saveexec_b32 s36, s36
	s_cbranch_execz .LBB155_182
.LBB155_181:                            ;   in Loop: Header=BB155_161 Depth=1
	v_mul_f64_e64 v[40:41], |v[8:9]|, s[14:15]
	s_delay_alu instid0(VALU_DEP_1) | instskip(NEXT) | instid1(VALU_DEP_1)
	v_rndne_f64_e32 v[44:45], v[40:41]
	v_fma_f64 v[40:41], v[44:45], s[16:17], |v[8:9]|
	v_mul_f64_e32 v[42:43], 0xbc91a62633145c00, v[44:45]
	s_delay_alu instid0(VALU_DEP_2) | instskip(NEXT) | instid1(VALU_DEP_2)
	v_fmamk_f64 v[50:51], v[44:45], 0xbc91a62633145c00, v[40:41]
	v_add_f64_e32 v[46:47], v[40:41], v[42:43]
	s_delay_alu instid0(VALU_DEP_1) | instskip(NEXT) | instid1(VALU_DEP_3)
	v_add_f64_e64 v[48:49], v[40:41], -v[46:47]
	v_add_f64_e64 v[40:41], v[46:47], -v[50:51]
	s_delay_alu instid0(VALU_DEP_2) | instskip(SKIP_2) | instid1(VALU_DEP_3)
	v_add_f64_e32 v[46:47], v[48:49], v[42:43]
	v_fmamk_f64 v[42:43], v[44:45], 0x3c91a62633145c00, v[42:43]
	v_cvt_i32_f64_e32 v48, v[44:45]
	v_add_f64_e32 v[40:41], v[40:41], v[46:47]
	s_delay_alu instid0(VALU_DEP_1) | instskip(NEXT) | instid1(VALU_DEP_1)
	v_add_f64_e64 v[42:43], v[40:41], -v[42:43]
	v_fmac_f64_e32 v[42:43], 0xb97b839a252049c0, v[44:45]
	s_delay_alu instid0(VALU_DEP_1) | instskip(NEXT) | instid1(VALU_DEP_1)
	v_add_f64_e32 v[40:41], v[50:51], v[42:43]
	v_add_f64_e64 v[46:47], v[40:41], -v[50:51]
	s_delay_alu instid0(VALU_DEP_1)
	v_add_f64_e64 v[42:43], v[42:43], -v[46:47]
.LBB155_182:                            ;   in Loop: Header=BB155_161 Depth=1
	s_or_b32 exec_lo, exec_lo, s36
                                        ; implicit-def: $vgpr49
                                        ; implicit-def: $vgpr44_vgpr45
                                        ; implicit-def: $vgpr46_vgpr47
	s_and_saveexec_b32 s36, s35
	s_delay_alu instid0(SALU_CYCLE_1)
	s_xor_b32 s35, exec_lo, s36
	s_cbranch_execz .LBB155_184
; %bb.183:                              ;   in Loop: Header=BB155_161 Depth=1
	v_ldexp_f64 v[44:45], |v[8:9]|, 0xffffff80
	v_cmp_le_f64_e64 vcc_lo, 0x7b000000, |v[8:9]|
	v_trig_preop_f64 v[46:47], |v[8:9]|, 0
	v_and_b32_e32 v23, 0x7fffffff, v9
	v_trig_preop_f64 v[50:51], |v[8:9]|, 1
	v_trig_preop_f64 v[60:61], |v[8:9]|, 2
	s_delay_alu instid0(VALU_DEP_3) | instskip(NEXT) | instid1(VALU_DEP_1)
	v_dual_cndmask_b32 v45, v23, v45 :: v_dual_cndmask_b32 v44, v8, v44
	v_mul_f64_e32 v[52:53], v[46:47], v[44:45]
	s_delay_alu instid0(VALU_DEP_4) | instskip(NEXT) | instid1(VALU_DEP_4)
	v_mul_f64_e32 v[54:55], v[50:51], v[44:45]
	v_mul_f64_e32 v[66:67], v[60:61], v[44:45]
	s_delay_alu instid0(VALU_DEP_3) | instskip(NEXT) | instid1(VALU_DEP_3)
	v_fma_f64 v[46:47], v[46:47], v[44:45], -v[52:53]
	v_fma_f64 v[50:51], v[50:51], v[44:45], -v[54:55]
	s_delay_alu instid0(VALU_DEP_3) | instskip(NEXT) | instid1(VALU_DEP_3)
	v_fma_f64 v[44:45], v[60:61], v[44:45], -v[66:67]
	v_add_f64_e32 v[56:57], v[54:55], v[46:47]
	s_delay_alu instid0(VALU_DEP_1) | instskip(SKIP_1) | instid1(VALU_DEP_2)
	v_add_f64_e64 v[58:59], v[56:57], -v[54:55]
	v_add_f64_e32 v[64:65], v[52:53], v[56:57]
	v_add_f64_e64 v[62:63], v[56:57], -v[58:59]
	v_add_f64_e64 v[46:47], v[46:47], -v[58:59]
	s_delay_alu instid0(VALU_DEP_3) | instskip(NEXT) | instid1(VALU_DEP_3)
	v_ldexp_f64 v[58:59], v[64:65], -2
	v_add_f64_e64 v[54:55], v[54:55], -v[62:63]
	v_add_f64_e32 v[62:63], v[66:67], v[50:51]
	s_delay_alu instid0(VALU_DEP_3) | instskip(NEXT) | instid1(VALU_DEP_3)
	v_cmp_neq_f64_e64 vcc_lo, 0x7ff00000, |v[58:59]|
	v_add_f64_e32 v[46:47], v[46:47], v[54:55]
	v_fract_f64_e32 v[54:55], v[58:59]
	s_delay_alu instid0(VALU_DEP_1) | instskip(NEXT) | instid1(VALU_DEP_1)
	v_ldexp_f64 v[54:55], v[54:55], 2
	v_dual_add_f64 v[52:53], v[64:65], -v[52:53] :: v_dual_cndmask_b32 v55, 0, v55, vcc_lo
	s_delay_alu instid0(VALU_DEP_1) | instskip(SKIP_1) | instid1(VALU_DEP_1)
	v_dual_add_f64 v[52:53], v[56:57], -v[52:53] :: v_dual_cndmask_b32 v54, 0, v54, vcc_lo
	v_add_f64_e32 v[56:57], v[62:63], v[46:47]
	v_add_f64_e32 v[58:59], v[52:53], v[56:57]
	v_add_f64_e64 v[68:69], v[56:57], -v[62:63]
	s_delay_alu instid0(VALU_DEP_2) | instskip(NEXT) | instid1(VALU_DEP_2)
	v_add_f64_e32 v[64:65], v[58:59], v[54:55]
	v_add_f64_e64 v[74:75], v[56:57], -v[68:69]
	v_add_f64_e64 v[46:47], v[46:47], -v[68:69]
	;; [unrolled: 1-line block ×3, first 2 shown]
	s_delay_alu instid0(VALU_DEP_4) | instskip(SKIP_1) | instid1(VALU_DEP_3)
	v_cmp_gt_f64_e32 vcc_lo, 0, v[64:65]
	v_add_f64_e64 v[64:65], v[62:63], -v[66:67]
	v_add_f64_e64 v[52:53], v[56:57], -v[52:53]
	v_cndmask_b32_e64 v23, 0, 0x40100000, vcc_lo
	s_delay_alu instid0(VALU_DEP_3) | instskip(SKIP_2) | instid1(VALU_DEP_4)
	v_add_f64_e64 v[72:73], v[62:63], -v[64:65]
	v_add_f64_e64 v[50:51], v[50:51], -v[64:65]
	;; [unrolled: 1-line block ×3, first 2 shown]
	v_add_f64_e32 v[54:55], v[54:55], v[22:23]
	s_delay_alu instid0(VALU_DEP_4) | instskip(NEXT) | instid1(VALU_DEP_3)
	v_add_f64_e64 v[64:65], v[66:67], -v[72:73]
	v_add_f64_e32 v[46:47], v[46:47], v[62:63]
	s_delay_alu instid0(VALU_DEP_3) | instskip(NEXT) | instid1(VALU_DEP_3)
	v_add_f64_e32 v[70:71], v[58:59], v[54:55]
	v_add_f64_e32 v[50:51], v[50:51], v[64:65]
	s_delay_alu instid0(VALU_DEP_2) | instskip(NEXT) | instid1(VALU_DEP_2)
	v_cvt_i32_f64_e32 v23, v[70:71]
	v_add_f64_e32 v[46:47], v[50:51], v[46:47]
	s_delay_alu instid0(VALU_DEP_2) | instskip(NEXT) | instid1(VALU_DEP_2)
	v_cvt_f64_i32_e32 v[68:69], v23
	v_add_f64_e32 v[44:45], v[44:45], v[46:47]
	s_delay_alu instid0(VALU_DEP_2) | instskip(NEXT) | instid1(VALU_DEP_2)
	v_add_f64_e64 v[54:55], v[54:55], -v[68:69]
	v_add_f64_e32 v[44:45], v[52:53], v[44:45]
	s_delay_alu instid0(VALU_DEP_2) | instskip(NEXT) | instid1(VALU_DEP_1)
	v_add_f64_e32 v[50:51], v[58:59], v[54:55]
	v_add_f64_e64 v[46:47], v[50:51], -v[54:55]
	v_cmp_le_f64_e32 vcc_lo, 0.5, v[50:51]
	s_delay_alu instid0(VALU_DEP_2) | instskip(SKIP_2) | instid1(VALU_DEP_3)
	v_add_f64_e64 v[46:47], v[58:59], -v[46:47]
	v_add_co_ci_u32_e64 v49, null, 0, v23, vcc_lo
	v_cndmask_b32_e64 v23, 0, 0x3ff00000, vcc_lo
	v_add_f64_e32 v[44:45], v[44:45], v[46:47]
	s_delay_alu instid0(VALU_DEP_2) | instskip(NEXT) | instid1(VALU_DEP_1)
	v_add_f64_e64 v[46:47], v[50:51], -v[22:23]
	v_add_f64_e32 v[50:51], v[46:47], v[44:45]
	s_delay_alu instid0(VALU_DEP_1) | instskip(SKIP_1) | instid1(VALU_DEP_2)
	v_mul_f64_e32 v[52:53], 0x3ff921fb54442d18, v[50:51]
	v_add_f64_e64 v[46:47], v[50:51], -v[46:47]
	v_fma_f64 v[54:55], v[50:51], s[12:13], -v[52:53]
	s_delay_alu instid0(VALU_DEP_2) | instskip(NEXT) | instid1(VALU_DEP_2)
	v_add_f64_e64 v[44:45], v[44:45], -v[46:47]
	v_fmac_f64_e32 v[54:55], 0x3c91a62633145c07, v[50:51]
	s_delay_alu instid0(VALU_DEP_1) | instskip(NEXT) | instid1(VALU_DEP_1)
	v_fmac_f64_e32 v[54:55], 0x3ff921fb54442d18, v[44:45]
	v_add_f64_e32 v[44:45], v[52:53], v[54:55]
	s_delay_alu instid0(VALU_DEP_1) | instskip(NEXT) | instid1(VALU_DEP_1)
	v_add_f64_e64 v[46:47], v[44:45], -v[52:53]
	v_add_f64_e64 v[46:47], v[54:55], -v[46:47]
	s_and_not1_saveexec_b32 s35, s35
	s_cbranch_execnz .LBB155_185
	s_branch .LBB155_186
.LBB155_184:                            ;   in Loop: Header=BB155_161 Depth=1
	s_and_not1_saveexec_b32 s35, s35
	s_cbranch_execz .LBB155_186
.LBB155_185:                            ;   in Loop: Header=BB155_161 Depth=1
	v_mul_f64_e64 v[44:45], |v[8:9]|, s[14:15]
	s_delay_alu instid0(VALU_DEP_1) | instskip(NEXT) | instid1(VALU_DEP_1)
	v_rndne_f64_e32 v[50:51], v[44:45]
	v_fma_f64 v[44:45], v[50:51], s[16:17], |v[8:9]|
	v_mul_f64_e32 v[46:47], 0xbc91a62633145c00, v[50:51]
	v_cvt_i32_f64_e32 v49, v[50:51]
	s_delay_alu instid0(VALU_DEP_3) | instskip(NEXT) | instid1(VALU_DEP_3)
	v_fmamk_f64 v[56:57], v[50:51], 0xbc91a62633145c00, v[44:45]
	v_add_f64_e32 v[52:53], v[44:45], v[46:47]
	s_delay_alu instid0(VALU_DEP_1) | instskip(NEXT) | instid1(VALU_DEP_3)
	v_add_f64_e64 v[54:55], v[44:45], -v[52:53]
	v_add_f64_e64 v[44:45], v[52:53], -v[56:57]
	s_delay_alu instid0(VALU_DEP_2) | instskip(SKIP_1) | instid1(VALU_DEP_2)
	v_add_f64_e32 v[52:53], v[54:55], v[46:47]
	v_fmamk_f64 v[46:47], v[50:51], 0x3c91a62633145c00, v[46:47]
	v_add_f64_e32 v[44:45], v[44:45], v[52:53]
	s_delay_alu instid0(VALU_DEP_1) | instskip(NEXT) | instid1(VALU_DEP_1)
	v_add_f64_e64 v[46:47], v[44:45], -v[46:47]
	v_fmac_f64_e32 v[46:47], 0xb97b839a252049c0, v[50:51]
	s_delay_alu instid0(VALU_DEP_1) | instskip(NEXT) | instid1(VALU_DEP_1)
	v_add_f64_e32 v[44:45], v[56:57], v[46:47]
	v_add_f64_e64 v[52:53], v[44:45], -v[56:57]
	s_delay_alu instid0(VALU_DEP_1)
	v_add_f64_e64 v[46:47], v[46:47], -v[52:53]
.LBB155_186:                            ;   in Loop: Header=BB155_161 Depth=1
	s_or_b32 exec_lo, exec_lo, s35
	v_mul_f64_e32 v[50:51], v[40:41], v[40:41]
	s_delay_alu instid0(VALU_DEP_2) | instskip(SKIP_3) | instid1(VALU_DEP_4)
	v_dual_mul_f64 v[62:63], 0.5, v[42:43] :: v_dual_lshlrev_b32 v23, 30, v48
	v_mul_f64_e32 v[52:53], v[44:45], v[44:45]
	v_mul_f64_e64 v[56:57], |v[6:7]|, s[26:27]
	v_and_b32_e32 v8, 1, v48
	v_xor_b32_e32 v9, v23, v9
	s_delay_alu instid0(VALU_DEP_2)
	v_cmp_eq_u32_e32 vcc_lo, 0, v8
	v_mul_f64_e32 v[54:55], 0.5, v[50:51]
	v_mul_f64_e64 v[64:65], v[40:41], -v[50:51]
	v_fmamk_f64 v[70:71], v[50:51], 0x3de5e0b2f9a43bb8, v[30:31]
	v_mul_f64_e64 v[76:77], v[44:45], -v[52:53]
	v_fmamk_f64 v[78:79], v[52:53], 0x3de5e0b2f9a43bb8, v[30:31]
	v_rndne_f64_e32 v[56:57], v[56:57]
	s_delay_alu instid0(VALU_DEP_4) | instskip(NEXT) | instid1(VALU_DEP_1)
	v_fmaak_f64 v[70:71], v[50:51], v[70:71], 0x3ec71de3796cde01
	v_fmaak_f64 v[70:71], v[50:51], v[70:71], 0xbf2a01a019e83e5c
	s_delay_alu instid0(VALU_DEP_1) | instskip(SKIP_1) | instid1(VALU_DEP_2)
	v_fmaak_f64 v[70:71], v[50:51], v[70:71], 0x3f81111111110bb3
	v_add_f64_e64 v[60:61], -v[54:55], 1.0
	v_fmac_f64_e32 v[62:63], v[64:65], v[70:71]
	v_fma_f64 v[72:73], v[56:57], s[18:19], -|v[6:7]|
	v_cvt_i32_f64_e32 v23, v[56:57]
	s_delay_alu instid0(VALU_DEP_4) | instskip(NEXT) | instid1(VALU_DEP_4)
	v_add_f64_e64 v[68:69], -v[60:61], 1.0
	v_fma_f64 v[62:63], v[50:51], v[62:63], -v[42:43]
	s_delay_alu instid0(VALU_DEP_4) | instskip(NEXT) | instid1(VALU_DEP_3)
	v_fmac_f64_e32 v[72:73], 0xbc7abc9e3b39803f, v[56:57]
	v_add_f64_e64 v[54:55], v[68:69], -v[54:55]
	v_fmaak_f64 v[68:69], v[52:53], v[78:79], 0x3ec71de3796cde01
	v_fmamk_f64 v[78:79], v[50:51], 0xbda907db46cc5e42, v[28:29]
	v_fmac_f64_e32 v[62:63], 0xbfc5555555555555, v[64:65]
	s_delay_alu instid0(VALU_DEP_3) | instskip(NEXT) | instid1(VALU_DEP_1)
	v_fmaak_f64 v[68:69], v[52:53], v[68:69], 0xbf2a01a019e83e5c
	v_fmaak_f64 v[68:69], v[52:53], v[68:69], 0x3f81111111110bb3
	v_fma_f64 v[42:43], v[40:41], -v[42:43], v[54:55]
	v_fmaak_f64 v[54:55], v[50:51], v[78:79], 0xbe927e4fa17f65f6
	v_mul_f64_e32 v[78:79], v[52:53], v[52:53]
	v_add_f64_e64 v[40:41], v[40:41], -v[62:63]
	v_mul_f64_e32 v[74:75], 0.5, v[46:47]
	s_delay_alu instid0(VALU_DEP_4) | instskip(NEXT) | instid1(VALU_DEP_1)
	v_fmaak_f64 v[54:55], v[50:51], v[54:55], 0x3efa01a019f4ec90
	v_fmaak_f64 v[54:55], v[50:51], v[54:55], 0xbf56c16c16c16967
	s_delay_alu instid0(VALU_DEP_3) | instskip(SKIP_1) | instid1(VALU_DEP_3)
	v_fmac_f64_e32 v[74:75], v[76:77], v[68:69]
	v_mul_f64_e32 v[68:69], v[50:51], v[50:51]
	v_fmaak_f64 v[50:51], v[50:51], v[54:55], 0x3fa5555555555555
	s_delay_alu instid0(VALU_DEP_1) | instskip(NEXT) | instid1(VALU_DEP_1)
	v_fmac_f64_e32 v[42:43], v[68:69], v[50:51]
	v_add_f64_e32 v[42:43], v[60:61], v[42:43]
	s_delay_alu instid0(VALU_DEP_1) | instskip(NEXT) | instid1(VALU_DEP_1)
	v_dual_cndmask_b32 v8, v42, v40, vcc_lo :: v_dual_cndmask_b32 v42, v43, v41, vcc_lo
	v_bitop3_b32 v9, v42, v9, 0x80000000 bitop3:0x78
	v_and_b32_e32 v42, 1, v49
	s_delay_alu instid0(VALU_DEP_2) | instskip(NEXT) | instid1(VALU_DEP_2)
	v_mul_f64_e32 v[8:9], 4.0, v[8:9]
	v_cmp_eq_u32_e32 vcc_lo, 0, v42
	v_mul_f64_e32 v[58:59], 0.5, v[52:53]
	s_delay_alu instid0(VALU_DEP_1) | instskip(NEXT) | instid1(VALU_DEP_1)
	v_add_f64_e64 v[66:67], -v[58:59], 1.0
	v_add_f64_e64 v[70:71], -v[66:67], 1.0
	s_delay_alu instid0(VALU_DEP_1) | instskip(SKIP_1) | instid1(VALU_DEP_1)
	v_add_f64_e64 v[58:59], v[70:71], -v[58:59]
	v_fmamk_f64 v[70:71], v[72:73], 0x3e5ade156a5dcb37, v[26:27]
	v_fmaak_f64 v[70:71], v[72:73], v[70:71], 0x3ec71dee623fde64
	s_delay_alu instid0(VALU_DEP_1) | instskip(NEXT) | instid1(VALU_DEP_1)
	v_fmaak_f64 v[70:71], v[72:73], v[70:71], 0x3efa01997c89e6b0
	v_fmaak_f64 v[54:55], v[72:73], v[70:71], 0x3f2a01a014761f6e
	v_fma_f64 v[70:71], v[52:53], v[74:75], -v[46:47]
	v_fmamk_f64 v[74:75], v[52:53], 0xbda907db46cc5e42, v[28:29]
	s_delay_alu instid0(VALU_DEP_3) | instskip(NEXT) | instid1(VALU_DEP_2)
	v_fmaak_f64 v[50:51], v[72:73], v[54:55], 0x3f56c16c1852b7b0
	v_fmaak_f64 v[54:55], v[52:53], v[74:75], 0xbe927e4fa17f65f6
	v_fma_f64 v[46:47], v[44:45], -v[46:47], v[58:59]
	s_delay_alu instid0(VALU_DEP_3) | instskip(NEXT) | instid1(VALU_DEP_3)
	v_fmaak_f64 v[50:51], v[72:73], v[50:51], 0x3f81111111122322
	v_fmaak_f64 v[54:55], v[52:53], v[54:55], 0x3efa01a019f4ec90
	s_delay_alu instid0(VALU_DEP_2) | instskip(NEXT) | instid1(VALU_DEP_2)
	v_fmaak_f64 v[50:51], v[72:73], v[50:51], 0x3fa55555555502a1
	v_fmaak_f64 v[54:55], v[52:53], v[54:55], 0xbf56c16c16c16967
	s_delay_alu instid0(VALU_DEP_2) | instskip(NEXT) | instid1(VALU_DEP_2)
	v_fmaak_f64 v[50:51], v[72:73], v[50:51], 0x3fc5555555555511
	v_fmaak_f64 v[52:53], v[52:53], v[54:55], 0x3fa5555555555555
	v_fmac_f64_e32 v[70:71], 0xbfc5555555555555, v[76:77]
	s_delay_alu instid0(VALU_DEP_3) | instskip(NEXT) | instid1(VALU_DEP_1)
	v_fmaak_f64 v[50:51], v[72:73], v[50:51], 0x3fe000000000000b
	v_fma_f64 v[50:51], v[72:73], v[50:51], 1.0
	s_delay_alu instid0(VALU_DEP_4) | instskip(NEXT) | instid1(VALU_DEP_4)
	v_fmac_f64_e32 v[46:47], v[78:79], v[52:53]
	v_add_f64_e64 v[44:45], v[44:45], -v[70:71]
	s_delay_alu instid0(VALU_DEP_3) | instskip(NEXT) | instid1(VALU_DEP_3)
	v_fma_f64 v[40:41], v[72:73], v[50:51], 1.0
	v_add_f64_e32 v[46:47], v[66:67], v[46:47]
	s_delay_alu instid0(VALU_DEP_3) | instskip(NEXT) | instid1(VALU_DEP_3)
	v_xor_b32_e32 v43, 0x80000000, v45
	v_ldexp_f64 v[40:41], v[40:41], v23
	s_delay_alu instid0(VALU_DEP_2) | instskip(SKIP_3) | instid1(VALU_DEP_3)
	v_dual_cndmask_b32 v42, v44, v46 :: v_dual_cndmask_b32 v43, v43, v47
	v_lshlrev_b32_e32 v44, 30, v49
	v_cmp_nlt_f64_e64 vcc_lo, 0x4090cc00, |v[6:7]|
	v_bfi_b32 v23, 0x7fffffff, s33, v7
	v_bitop3_b32 v43, v43, v44, 0x80000000 bitop3:0x78
	s_delay_alu instid0(VALU_DEP_2) | instskip(NEXT) | instid1(VALU_DEP_2)
	v_mov_b64_e32 v[6:7], v[22:23]
	v_dual_mul_f64 v[8:9], v[8:9], v[42:43] :: v_dual_cndmask_b32 v41, 0, v41, vcc_lo
	v_cndmask_b32_e32 v40, 0, v40, vcc_lo
	s_delay_alu instid0(VALU_DEP_1) | instskip(NEXT) | instid1(VALU_DEP_1)
	v_mul_f64_e32 v[8:9], v[40:41], v[8:9]
	v_mul_f64_e32 v[8:9], v[40:41], v[8:9]
	s_or_b32 exec_lo, exec_lo, s4
.LBB155_187:                            ;   in Loop: Header=BB155_161 Depth=1
	s_and_not1_saveexec_b32 s4, s34
	s_cbranch_execz .LBB155_189
.LBB155_188:                            ;   in Loop: Header=BB155_161 Depth=1
	s_delay_alu instid0(VALU_DEP_1) | instskip(NEXT) | instid1(VALU_DEP_1)
	v_add_f64_e64 v[8:9], v[8:9], -v[8:9]
	v_mov_b64_e32 v[6:7], v[8:9]
.LBB155_189:                            ;   in Loop: Header=BB155_161 Depth=1
	s_or_b32 exec_lo, exec_lo, s4
.LBB155_190:                            ;   in Loop: Header=BB155_161 Depth=1
	s_and_not1_saveexec_b32 s34, s5
	s_cbranch_execz .LBB155_207
; %bb.191:                              ;   in Loop: Header=BB155_161 Depth=1
	s_delay_alu instid0(VALU_DEP_1) | instskip(SKIP_1) | instid1(VALU_DEP_1)
	v_and_or_b32 v23, 0xfffff, v7, v6
	s_mov_b32 s4, exec_lo
	v_cmpx_ne_u32_e32 0, v23
	s_xor_b32 s4, exec_lo, s4
	s_cbranch_execz .LBB155_193
; %bb.192:                              ;   in Loop: Header=BB155_161 Depth=1
	s_delay_alu instid0(VALU_DEP_3) | instskip(SKIP_1) | instid1(VALU_DEP_2)
	v_mul_f64_e32 v[40:41], v[8:9], v[6:7]
	v_cmp_eq_f64_e32 vcc_lo, 0, v[8:9]
	v_dual_cndmask_b32 v9, v41, v9 :: v_dual_cndmask_b32 v8, v40, v8
.LBB155_193:                            ;   in Loop: Header=BB155_161 Depth=1
	s_and_not1_saveexec_b32 s35, s4
	s_cbranch_execz .LBB155_206
; %bb.194:                              ;   in Loop: Header=BB155_161 Depth=1
	s_mov_b32 s36, exec_lo
	s_delay_alu instid0(VALU_DEP_1)
	v_cmpx_neq_f64_e64 0x7ff00000, |v[8:9]|
	s_cbranch_execz .LBB155_205
; %bb.195:                              ;   in Loop: Header=BB155_161 Depth=1
	v_cmp_ngt_f64_e64 s4, 0x41d00000, |v[8:9]|
                                        ; implicit-def: $vgpr48
                                        ; implicit-def: $vgpr40_vgpr41
                                        ; implicit-def: $vgpr42_vgpr43
	s_and_saveexec_b32 s5, s4
	s_delay_alu instid0(SALU_CYCLE_1)
	s_xor_b32 s5, exec_lo, s5
	s_cbranch_execz .LBB155_198
; %bb.196:                              ;   in Loop: Header=BB155_161 Depth=1
	v_ldexp_f64 v[40:41], |v[8:9]|, 0xffffff80
	v_cmp_le_f64_e64 vcc_lo, 0x7b000000, |v[8:9]|
	v_trig_preop_f64 v[42:43], |v[8:9]|, 0
	v_and_b32_e32 v23, 0x7fffffff, v9
	v_trig_preop_f64 v[44:45], |v[8:9]|, 1
	v_trig_preop_f64 v[54:55], |v[8:9]|, 2
	s_delay_alu instid0(VALU_DEP_3) | instskip(NEXT) | instid1(VALU_DEP_1)
	v_dual_cndmask_b32 v41, v23, v41 :: v_dual_cndmask_b32 v40, v8, v40
	v_mul_f64_e32 v[46:47], v[42:43], v[40:41]
	s_delay_alu instid0(VALU_DEP_4) | instskip(NEXT) | instid1(VALU_DEP_4)
	v_mul_f64_e32 v[48:49], v[44:45], v[40:41]
	v_mul_f64_e32 v[60:61], v[54:55], v[40:41]
	s_delay_alu instid0(VALU_DEP_3) | instskip(NEXT) | instid1(VALU_DEP_3)
	v_fma_f64 v[42:43], v[42:43], v[40:41], -v[46:47]
	v_fma_f64 v[44:45], v[44:45], v[40:41], -v[48:49]
	s_delay_alu instid0(VALU_DEP_3) | instskip(NEXT) | instid1(VALU_DEP_3)
	v_fma_f64 v[40:41], v[54:55], v[40:41], -v[60:61]
	v_add_f64_e32 v[50:51], v[48:49], v[42:43]
	s_delay_alu instid0(VALU_DEP_1) | instskip(SKIP_1) | instid1(VALU_DEP_2)
	v_add_f64_e64 v[52:53], v[50:51], -v[48:49]
	v_add_f64_e32 v[58:59], v[46:47], v[50:51]
	v_add_f64_e64 v[56:57], v[50:51], -v[52:53]
	v_add_f64_e64 v[42:43], v[42:43], -v[52:53]
	s_delay_alu instid0(VALU_DEP_3) | instskip(NEXT) | instid1(VALU_DEP_3)
	v_ldexp_f64 v[52:53], v[58:59], -2
	v_add_f64_e64 v[48:49], v[48:49], -v[56:57]
	v_add_f64_e32 v[56:57], v[60:61], v[44:45]
	s_delay_alu instid0(VALU_DEP_3) | instskip(NEXT) | instid1(VALU_DEP_3)
	v_cmp_neq_f64_e64 vcc_lo, 0x7ff00000, |v[52:53]|
	v_add_f64_e32 v[42:43], v[42:43], v[48:49]
	v_fract_f64_e32 v[48:49], v[52:53]
	s_delay_alu instid0(VALU_DEP_1) | instskip(NEXT) | instid1(VALU_DEP_1)
	v_ldexp_f64 v[48:49], v[48:49], 2
	v_dual_add_f64 v[46:47], v[58:59], -v[46:47] :: v_dual_cndmask_b32 v48, 0, v48, vcc_lo
	s_delay_alu instid0(VALU_DEP_1) | instskip(SKIP_1) | instid1(VALU_DEP_1)
	v_dual_add_f64 v[46:47], v[50:51], -v[46:47] :: v_dual_cndmask_b32 v49, 0, v49, vcc_lo
	v_add_f64_e32 v[50:51], v[56:57], v[42:43]
	v_add_f64_e32 v[52:53], v[46:47], v[50:51]
	v_add_f64_e64 v[62:63], v[50:51], -v[56:57]
	s_delay_alu instid0(VALU_DEP_2) | instskip(NEXT) | instid1(VALU_DEP_2)
	v_add_f64_e32 v[58:59], v[52:53], v[48:49]
	v_add_f64_e64 v[68:69], v[50:51], -v[62:63]
	v_add_f64_e64 v[42:43], v[42:43], -v[62:63]
	;; [unrolled: 1-line block ×3, first 2 shown]
	s_delay_alu instid0(VALU_DEP_4) | instskip(SKIP_1) | instid1(VALU_DEP_3)
	v_cmp_gt_f64_e32 vcc_lo, 0, v[58:59]
	v_add_f64_e64 v[58:59], v[56:57], -v[60:61]
	v_add_f64_e64 v[46:47], v[50:51], -v[46:47]
	v_cndmask_b32_e64 v23, 0, 0x40100000, vcc_lo
	s_delay_alu instid0(VALU_DEP_3) | instskip(SKIP_2) | instid1(VALU_DEP_4)
	v_add_f64_e64 v[66:67], v[56:57], -v[58:59]
	v_add_f64_e64 v[44:45], v[44:45], -v[58:59]
	;; [unrolled: 1-line block ×3, first 2 shown]
	v_add_f64_e32 v[48:49], v[48:49], v[22:23]
	s_delay_alu instid0(VALU_DEP_4) | instskip(NEXT) | instid1(VALU_DEP_3)
	v_add_f64_e64 v[58:59], v[60:61], -v[66:67]
	v_add_f64_e32 v[42:43], v[42:43], v[56:57]
	s_delay_alu instid0(VALU_DEP_3) | instskip(NEXT) | instid1(VALU_DEP_3)
	v_add_f64_e32 v[64:65], v[52:53], v[48:49]
	v_add_f64_e32 v[44:45], v[44:45], v[58:59]
	s_delay_alu instid0(VALU_DEP_2) | instskip(NEXT) | instid1(VALU_DEP_2)
	v_cvt_i32_f64_e32 v23, v[64:65]
	v_add_f64_e32 v[42:43], v[44:45], v[42:43]
	s_delay_alu instid0(VALU_DEP_2) | instskip(NEXT) | instid1(VALU_DEP_2)
	v_cvt_f64_i32_e32 v[62:63], v23
	v_add_f64_e32 v[40:41], v[40:41], v[42:43]
	s_delay_alu instid0(VALU_DEP_2) | instskip(NEXT) | instid1(VALU_DEP_2)
	v_add_f64_e64 v[48:49], v[48:49], -v[62:63]
	v_add_f64_e32 v[40:41], v[46:47], v[40:41]
	s_delay_alu instid0(VALU_DEP_2) | instskip(NEXT) | instid1(VALU_DEP_1)
	v_add_f64_e32 v[44:45], v[52:53], v[48:49]
	v_add_f64_e64 v[42:43], v[44:45], -v[48:49]
	v_cmp_le_f64_e32 vcc_lo, 0.5, v[44:45]
	s_delay_alu instid0(VALU_DEP_2) | instskip(SKIP_2) | instid1(VALU_DEP_3)
	v_add_f64_e64 v[42:43], v[52:53], -v[42:43]
	v_add_co_ci_u32_e64 v48, null, 0, v23, vcc_lo
	v_cndmask_b32_e64 v23, 0, 0x3ff00000, vcc_lo
	v_add_f64_e32 v[40:41], v[40:41], v[42:43]
	s_delay_alu instid0(VALU_DEP_2) | instskip(NEXT) | instid1(VALU_DEP_1)
	v_add_f64_e64 v[42:43], v[44:45], -v[22:23]
	v_add_f64_e32 v[44:45], v[42:43], v[40:41]
	s_delay_alu instid0(VALU_DEP_1) | instskip(SKIP_1) | instid1(VALU_DEP_2)
	v_mul_f64_e32 v[46:47], 0x3ff921fb54442d18, v[44:45]
	v_add_f64_e64 v[42:43], v[44:45], -v[42:43]
	v_fma_f64 v[50:51], v[44:45], s[12:13], -v[46:47]
	s_delay_alu instid0(VALU_DEP_2) | instskip(NEXT) | instid1(VALU_DEP_2)
	v_add_f64_e64 v[40:41], v[40:41], -v[42:43]
	v_fmac_f64_e32 v[50:51], 0x3c91a62633145c07, v[44:45]
	s_delay_alu instid0(VALU_DEP_1) | instskip(NEXT) | instid1(VALU_DEP_1)
	v_fmac_f64_e32 v[50:51], 0x3ff921fb54442d18, v[40:41]
	v_add_f64_e32 v[40:41], v[46:47], v[50:51]
	s_delay_alu instid0(VALU_DEP_1) | instskip(NEXT) | instid1(VALU_DEP_1)
	v_add_f64_e64 v[42:43], v[40:41], -v[46:47]
	v_add_f64_e64 v[42:43], v[50:51], -v[42:43]
	s_and_not1_saveexec_b32 s5, s5
	s_cbranch_execz .LBB155_200
	s_branch .LBB155_199
.LBB155_197:                            ;   in Loop: Header=BB155_161 Depth=1
	s_or_b32 exec_lo, exec_lo, s4
	s_and_not1_saveexec_b32 s4, s34
	s_cbranch_execnz .LBB155_188
	s_branch .LBB155_189
.LBB155_198:                            ;   in Loop: Header=BB155_161 Depth=1
	s_and_not1_saveexec_b32 s5, s5
	s_cbranch_execz .LBB155_200
.LBB155_199:                            ;   in Loop: Header=BB155_161 Depth=1
	v_mul_f64_e64 v[40:41], |v[8:9]|, s[14:15]
	s_delay_alu instid0(VALU_DEP_1) | instskip(NEXT) | instid1(VALU_DEP_1)
	v_rndne_f64_e32 v[44:45], v[40:41]
	v_fma_f64 v[40:41], v[44:45], s[16:17], |v[8:9]|
	v_mul_f64_e32 v[42:43], 0xbc91a62633145c00, v[44:45]
	s_delay_alu instid0(VALU_DEP_2) | instskip(NEXT) | instid1(VALU_DEP_2)
	v_fmamk_f64 v[50:51], v[44:45], 0xbc91a62633145c00, v[40:41]
	v_add_f64_e32 v[46:47], v[40:41], v[42:43]
	s_delay_alu instid0(VALU_DEP_1) | instskip(NEXT) | instid1(VALU_DEP_3)
	v_add_f64_e64 v[48:49], v[40:41], -v[46:47]
	v_add_f64_e64 v[40:41], v[46:47], -v[50:51]
	s_delay_alu instid0(VALU_DEP_2) | instskip(SKIP_2) | instid1(VALU_DEP_3)
	v_add_f64_e32 v[46:47], v[48:49], v[42:43]
	v_fmamk_f64 v[42:43], v[44:45], 0x3c91a62633145c00, v[42:43]
	v_cvt_i32_f64_e32 v48, v[44:45]
	v_add_f64_e32 v[40:41], v[40:41], v[46:47]
	s_delay_alu instid0(VALU_DEP_1) | instskip(NEXT) | instid1(VALU_DEP_1)
	v_add_f64_e64 v[42:43], v[40:41], -v[42:43]
	v_fmac_f64_e32 v[42:43], 0xb97b839a252049c0, v[44:45]
	s_delay_alu instid0(VALU_DEP_1) | instskip(NEXT) | instid1(VALU_DEP_1)
	v_add_f64_e32 v[40:41], v[50:51], v[42:43]
	v_add_f64_e64 v[46:47], v[40:41], -v[50:51]
	s_delay_alu instid0(VALU_DEP_1)
	v_add_f64_e64 v[42:43], v[42:43], -v[46:47]
.LBB155_200:                            ;   in Loop: Header=BB155_161 Depth=1
	s_or_b32 exec_lo, exec_lo, s5
                                        ; implicit-def: $vgpr49
                                        ; implicit-def: $vgpr44_vgpr45
                                        ; implicit-def: $vgpr46_vgpr47
	s_and_saveexec_b32 s5, s4
	s_delay_alu instid0(SALU_CYCLE_1)
	s_xor_b32 s4, exec_lo, s5
	s_cbranch_execz .LBB155_202
; %bb.201:                              ;   in Loop: Header=BB155_161 Depth=1
	v_ldexp_f64 v[44:45], |v[8:9]|, 0xffffff80
	v_cmp_le_f64_e64 vcc_lo, 0x7b000000, |v[8:9]|
	v_trig_preop_f64 v[46:47], |v[8:9]|, 0
	v_and_b32_e32 v23, 0x7fffffff, v9
	v_trig_preop_f64 v[50:51], |v[8:9]|, 1
	v_trig_preop_f64 v[60:61], |v[8:9]|, 2
	s_delay_alu instid0(VALU_DEP_3) | instskip(NEXT) | instid1(VALU_DEP_1)
	v_dual_cndmask_b32 v45, v23, v45 :: v_dual_cndmask_b32 v44, v8, v44
	v_mul_f64_e32 v[52:53], v[46:47], v[44:45]
	s_delay_alu instid0(VALU_DEP_4) | instskip(NEXT) | instid1(VALU_DEP_4)
	v_mul_f64_e32 v[54:55], v[50:51], v[44:45]
	v_mul_f64_e32 v[66:67], v[60:61], v[44:45]
	s_delay_alu instid0(VALU_DEP_3) | instskip(NEXT) | instid1(VALU_DEP_3)
	v_fma_f64 v[46:47], v[46:47], v[44:45], -v[52:53]
	v_fma_f64 v[50:51], v[50:51], v[44:45], -v[54:55]
	s_delay_alu instid0(VALU_DEP_3) | instskip(NEXT) | instid1(VALU_DEP_3)
	v_fma_f64 v[44:45], v[60:61], v[44:45], -v[66:67]
	v_add_f64_e32 v[56:57], v[54:55], v[46:47]
	s_delay_alu instid0(VALU_DEP_1) | instskip(SKIP_1) | instid1(VALU_DEP_2)
	v_add_f64_e64 v[58:59], v[56:57], -v[54:55]
	v_add_f64_e32 v[64:65], v[52:53], v[56:57]
	v_add_f64_e64 v[62:63], v[56:57], -v[58:59]
	v_add_f64_e64 v[46:47], v[46:47], -v[58:59]
	s_delay_alu instid0(VALU_DEP_3) | instskip(NEXT) | instid1(VALU_DEP_3)
	v_ldexp_f64 v[58:59], v[64:65], -2
	v_add_f64_e64 v[54:55], v[54:55], -v[62:63]
	v_add_f64_e32 v[62:63], v[66:67], v[50:51]
	s_delay_alu instid0(VALU_DEP_3) | instskip(NEXT) | instid1(VALU_DEP_3)
	v_cmp_neq_f64_e64 vcc_lo, 0x7ff00000, |v[58:59]|
	v_add_f64_e32 v[46:47], v[46:47], v[54:55]
	v_fract_f64_e32 v[54:55], v[58:59]
	s_delay_alu instid0(VALU_DEP_1) | instskip(NEXT) | instid1(VALU_DEP_1)
	v_ldexp_f64 v[54:55], v[54:55], 2
	v_dual_add_f64 v[52:53], v[64:65], -v[52:53] :: v_dual_cndmask_b32 v55, 0, v55, vcc_lo
	s_delay_alu instid0(VALU_DEP_1) | instskip(SKIP_1) | instid1(VALU_DEP_1)
	v_dual_add_f64 v[52:53], v[56:57], -v[52:53] :: v_dual_cndmask_b32 v54, 0, v54, vcc_lo
	v_add_f64_e32 v[56:57], v[62:63], v[46:47]
	v_add_f64_e32 v[58:59], v[52:53], v[56:57]
	v_add_f64_e64 v[68:69], v[56:57], -v[62:63]
	s_delay_alu instid0(VALU_DEP_2) | instskip(NEXT) | instid1(VALU_DEP_2)
	v_add_f64_e32 v[64:65], v[58:59], v[54:55]
	v_add_f64_e64 v[74:75], v[56:57], -v[68:69]
	v_add_f64_e64 v[46:47], v[46:47], -v[68:69]
	;; [unrolled: 1-line block ×3, first 2 shown]
	s_delay_alu instid0(VALU_DEP_4) | instskip(SKIP_1) | instid1(VALU_DEP_3)
	v_cmp_gt_f64_e32 vcc_lo, 0, v[64:65]
	v_add_f64_e64 v[64:65], v[62:63], -v[66:67]
	v_add_f64_e64 v[52:53], v[56:57], -v[52:53]
	v_cndmask_b32_e64 v23, 0, 0x40100000, vcc_lo
	s_delay_alu instid0(VALU_DEP_3) | instskip(SKIP_2) | instid1(VALU_DEP_4)
	v_add_f64_e64 v[72:73], v[62:63], -v[64:65]
	v_add_f64_e64 v[50:51], v[50:51], -v[64:65]
	;; [unrolled: 1-line block ×3, first 2 shown]
	v_add_f64_e32 v[54:55], v[54:55], v[22:23]
	s_delay_alu instid0(VALU_DEP_4) | instskip(NEXT) | instid1(VALU_DEP_3)
	v_add_f64_e64 v[64:65], v[66:67], -v[72:73]
	v_add_f64_e32 v[46:47], v[46:47], v[62:63]
	s_delay_alu instid0(VALU_DEP_3) | instskip(NEXT) | instid1(VALU_DEP_3)
	v_add_f64_e32 v[70:71], v[58:59], v[54:55]
	v_add_f64_e32 v[50:51], v[50:51], v[64:65]
	s_delay_alu instid0(VALU_DEP_2) | instskip(NEXT) | instid1(VALU_DEP_2)
	v_cvt_i32_f64_e32 v23, v[70:71]
	v_add_f64_e32 v[46:47], v[50:51], v[46:47]
	s_delay_alu instid0(VALU_DEP_2) | instskip(NEXT) | instid1(VALU_DEP_2)
	v_cvt_f64_i32_e32 v[68:69], v23
	v_add_f64_e32 v[44:45], v[44:45], v[46:47]
	s_delay_alu instid0(VALU_DEP_2) | instskip(NEXT) | instid1(VALU_DEP_2)
	v_add_f64_e64 v[54:55], v[54:55], -v[68:69]
	v_add_f64_e32 v[44:45], v[52:53], v[44:45]
	s_delay_alu instid0(VALU_DEP_2) | instskip(NEXT) | instid1(VALU_DEP_1)
	v_add_f64_e32 v[50:51], v[58:59], v[54:55]
	v_add_f64_e64 v[46:47], v[50:51], -v[54:55]
	v_cmp_le_f64_e32 vcc_lo, 0.5, v[50:51]
	s_delay_alu instid0(VALU_DEP_2) | instskip(SKIP_2) | instid1(VALU_DEP_3)
	v_add_f64_e64 v[46:47], v[58:59], -v[46:47]
	v_add_co_ci_u32_e64 v49, null, 0, v23, vcc_lo
	v_cndmask_b32_e64 v23, 0, 0x3ff00000, vcc_lo
	v_add_f64_e32 v[44:45], v[44:45], v[46:47]
	s_delay_alu instid0(VALU_DEP_2) | instskip(NEXT) | instid1(VALU_DEP_1)
	v_add_f64_e64 v[46:47], v[50:51], -v[22:23]
	v_add_f64_e32 v[50:51], v[46:47], v[44:45]
	s_delay_alu instid0(VALU_DEP_1) | instskip(SKIP_1) | instid1(VALU_DEP_2)
	v_mul_f64_e32 v[52:53], 0x3ff921fb54442d18, v[50:51]
	v_add_f64_e64 v[46:47], v[50:51], -v[46:47]
	v_fma_f64 v[54:55], v[50:51], s[12:13], -v[52:53]
	s_delay_alu instid0(VALU_DEP_2) | instskip(NEXT) | instid1(VALU_DEP_2)
	v_add_f64_e64 v[44:45], v[44:45], -v[46:47]
	v_fmac_f64_e32 v[54:55], 0x3c91a62633145c07, v[50:51]
	s_delay_alu instid0(VALU_DEP_1) | instskip(NEXT) | instid1(VALU_DEP_1)
	v_fmac_f64_e32 v[54:55], 0x3ff921fb54442d18, v[44:45]
	v_add_f64_e32 v[44:45], v[52:53], v[54:55]
	s_delay_alu instid0(VALU_DEP_1) | instskip(NEXT) | instid1(VALU_DEP_1)
	v_add_f64_e64 v[46:47], v[44:45], -v[52:53]
	v_add_f64_e64 v[46:47], v[54:55], -v[46:47]
	s_and_not1_saveexec_b32 s4, s4
	s_cbranch_execnz .LBB155_203
	s_branch .LBB155_204
.LBB155_202:                            ;   in Loop: Header=BB155_161 Depth=1
	s_and_not1_saveexec_b32 s4, s4
	s_cbranch_execz .LBB155_204
.LBB155_203:                            ;   in Loop: Header=BB155_161 Depth=1
	v_mul_f64_e64 v[44:45], |v[8:9]|, s[14:15]
	s_delay_alu instid0(VALU_DEP_1) | instskip(NEXT) | instid1(VALU_DEP_1)
	v_rndne_f64_e32 v[50:51], v[44:45]
	v_fma_f64 v[44:45], v[50:51], s[16:17], |v[8:9]|
	v_mul_f64_e32 v[46:47], 0xbc91a62633145c00, v[50:51]
	v_cvt_i32_f64_e32 v49, v[50:51]
	s_delay_alu instid0(VALU_DEP_3) | instskip(NEXT) | instid1(VALU_DEP_3)
	v_fmamk_f64 v[56:57], v[50:51], 0xbc91a62633145c00, v[44:45]
	v_add_f64_e32 v[52:53], v[44:45], v[46:47]
	s_delay_alu instid0(VALU_DEP_1) | instskip(NEXT) | instid1(VALU_DEP_3)
	v_add_f64_e64 v[54:55], v[44:45], -v[52:53]
	v_add_f64_e64 v[44:45], v[52:53], -v[56:57]
	s_delay_alu instid0(VALU_DEP_2) | instskip(SKIP_1) | instid1(VALU_DEP_2)
	v_add_f64_e32 v[52:53], v[54:55], v[46:47]
	v_fmamk_f64 v[46:47], v[50:51], 0x3c91a62633145c00, v[46:47]
	v_add_f64_e32 v[44:45], v[44:45], v[52:53]
	s_delay_alu instid0(VALU_DEP_1) | instskip(NEXT) | instid1(VALU_DEP_1)
	v_add_f64_e64 v[46:47], v[44:45], -v[46:47]
	v_fmac_f64_e32 v[46:47], 0xb97b839a252049c0, v[50:51]
	s_delay_alu instid0(VALU_DEP_1) | instskip(NEXT) | instid1(VALU_DEP_1)
	v_add_f64_e32 v[44:45], v[56:57], v[46:47]
	v_add_f64_e64 v[52:53], v[44:45], -v[56:57]
	s_delay_alu instid0(VALU_DEP_1)
	v_add_f64_e64 v[46:47], v[46:47], -v[52:53]
.LBB155_204:                            ;   in Loop: Header=BB155_161 Depth=1
	s_or_b32 exec_lo, exec_lo, s4
	s_delay_alu instid0(VALU_DEP_1) | instskip(SKIP_4) | instid1(VALU_DEP_3)
	v_mul_f64_e32 v[70:71], 0.5, v[46:47]
	v_cmp_class_f64_e64 s4, v[8:9], 0x1f8
	v_and_b32_e32 v8, 1, v49
	v_mul_f64_e32 v[52:53], v[44:45], v[44:45]
	v_and_b32_e32 v23, 1, v48
	v_cmp_eq_u32_e64 s5, 0, v8
	v_mul_f64_e32 v[50:51], v[40:41], v[40:41]
	s_delay_alu instid0(VALU_DEP_3)
	v_cmp_eq_u32_e32 vcc_lo, 0, v23
	v_dual_mul_f64 v[62:63], 0.5, v[42:43] :: v_dual_lshlrev_b32 v8, 30, v49
	v_mul_f64_e32 v[56:57], 0.5, v[52:53]
	v_mul_f64_e64 v[72:73], v[44:45], -v[52:53]
	v_fmamk_f64 v[74:75], v[52:53], 0x3de5e0b2f9a43bb8, v[30:31]
	v_mul_f64_e32 v[54:55], 0.5, v[50:51]
	v_mul_f64_e64 v[64:65], v[40:41], -v[50:51]
	v_fmamk_f64 v[68:69], v[50:51], 0x3de5e0b2f9a43bb8, v[30:31]
	s_delay_alu instid0(VALU_DEP_4) | instskip(NEXT) | instid1(VALU_DEP_2)
	v_fmaak_f64 v[74:75], v[52:53], v[74:75], 0x3ec71de3796cde01
	v_fmaak_f64 v[68:69], v[50:51], v[68:69], 0x3ec71de3796cde01
	s_delay_alu instid0(VALU_DEP_1) | instskip(NEXT) | instid1(VALU_DEP_1)
	v_fmaak_f64 v[68:69], v[50:51], v[68:69], 0xbf2a01a019e83e5c
	v_fmaak_f64 v[68:69], v[50:51], v[68:69], 0x3f81111111110bb3
	v_add_f64_e64 v[60:61], -v[56:57], 1.0
	v_add_f64_e64 v[58:59], -v[54:55], 1.0
	s_delay_alu instid0(VALU_DEP_3) | instskip(SKIP_1) | instid1(VALU_DEP_4)
	v_fmac_f64_e32 v[62:63], v[64:65], v[68:69]
	v_mul_f64_e32 v[68:69], v[50:51], v[50:51]
	v_add_f64_e64 v[76:77], -v[60:61], 1.0
	s_delay_alu instid0(VALU_DEP_4) | instskip(NEXT) | instid1(VALU_DEP_4)
	v_add_f64_e64 v[66:67], -v[58:59], 1.0
	v_fma_f64 v[62:63], v[50:51], v[62:63], -v[42:43]
	s_delay_alu instid0(VALU_DEP_3) | instskip(NEXT) | instid1(VALU_DEP_3)
	v_add_f64_e64 v[56:57], v[76:77], -v[56:57]
	v_add_f64_e64 v[54:55], v[66:67], -v[54:55]
	v_fmaak_f64 v[66:67], v[52:53], v[74:75], 0xbf2a01a019e83e5c
	s_delay_alu instid0(VALU_DEP_4) | instskip(SKIP_1) | instid1(VALU_DEP_3)
	v_fmac_f64_e32 v[62:63], 0xbfc5555555555555, v[64:65]
	v_mul_f64_e32 v[74:75], v[52:53], v[52:53]
	v_fmaak_f64 v[66:67], v[52:53], v[66:67], 0x3f81111111110bb3
	s_delay_alu instid0(VALU_DEP_1) | instskip(SKIP_2) | instid1(VALU_DEP_2)
	v_fmac_f64_e32 v[70:71], v[72:73], v[66:67]
	v_fmamk_f64 v[66:67], v[50:51], 0xbda907db46cc5e42, v[28:29]
	v_fma_f64 v[42:43], v[40:41], -v[42:43], v[54:55]
	v_fmaak_f64 v[54:55], v[50:51], v[66:67], 0xbe927e4fa17f65f6
	v_add_f64_e64 v[40:41], v[40:41], -v[62:63]
	s_delay_alu instid0(VALU_DEP_2) | instskip(NEXT) | instid1(VALU_DEP_1)
	v_fmaak_f64 v[54:55], v[50:51], v[54:55], 0x3efa01a019f4ec90
	v_fmaak_f64 v[54:55], v[50:51], v[54:55], 0xbf56c16c16c16967
	s_delay_alu instid0(VALU_DEP_1) | instskip(NEXT) | instid1(VALU_DEP_1)
	v_fmaak_f64 v[50:51], v[50:51], v[54:55], 0x3fa5555555555555
	v_fmac_f64_e32 v[42:43], v[68:69], v[50:51]
	s_delay_alu instid0(VALU_DEP_1) | instskip(SKIP_3) | instid1(VALU_DEP_2)
	v_add_f64_e32 v[42:43], v[58:59], v[42:43]
	v_fma_f64 v[66:67], v[52:53], v[70:71], -v[46:47]
	v_fmamk_f64 v[70:71], v[52:53], 0xbda907db46cc5e42, v[28:29]
	v_fma_f64 v[46:47], v[44:45], -v[46:47], v[56:57]
	v_fmaak_f64 v[54:55], v[52:53], v[70:71], 0xbe927e4fa17f65f6
	s_delay_alu instid0(VALU_DEP_1) | instskip(NEXT) | instid1(VALU_DEP_1)
	v_fmaak_f64 v[50:51], v[52:53], v[54:55], 0x3efa01a019f4ec90
	v_fmaak_f64 v[50:51], v[52:53], v[50:51], 0xbf56c16c16c16967
	s_delay_alu instid0(VALU_DEP_1) | instskip(SKIP_2) | instid1(VALU_DEP_3)
	v_fmaak_f64 v[50:51], v[52:53], v[50:51], 0x3fa5555555555555
	v_cndmask_b32_e32 v23, v42, v40, vcc_lo
	v_lshlrev_b32_e32 v40, 30, v48
	v_fmac_f64_e32 v[46:47], v[74:75], v[50:51]
	s_delay_alu instid0(VALU_DEP_2) | instskip(SKIP_2) | instid1(VALU_DEP_2)
	v_xor_b32_e32 v9, v40, v9
	v_cndmask_b32_e32 v40, v43, v41, vcc_lo
	v_fmac_f64_e32 v[66:67], 0xbfc5555555555555, v[72:73]
	v_bitop3_b32 v9, v40, v9, 0x80000000 bitop3:0x78
	s_delay_alu instid0(VALU_DEP_1) | instskip(SKIP_1) | instid1(VALU_DEP_4)
	v_cndmask_b32_e64 v9, 0x7ff80000, v9, s4
	v_add_f64_e32 v[46:47], v[60:61], v[46:47]
	v_add_f64_e64 v[44:45], v[44:45], -v[66:67]
	s_delay_alu instid0(VALU_DEP_1) | instskip(NEXT) | instid1(VALU_DEP_1)
	v_xor_b32_e32 v42, 0x80000000, v45
	v_dual_cndmask_b32 v41, v44, v46, s5 :: v_dual_cndmask_b32 v42, v42, v47, s5
	s_delay_alu instid0(VALU_DEP_1) | instskip(NEXT) | instid1(VALU_DEP_2)
	v_cndmask_b32_e64 v40, 0, v41, s4
	v_bitop3_b32 v42, v42, v8, 0x80000000 bitop3:0x78
	v_cndmask_b32_e64 v8, 0, v23, s4
	s_delay_alu instid0(VALU_DEP_2) | instskip(NEXT) | instid1(VALU_DEP_1)
	v_cndmask_b32_e64 v41, 0x7ff80000, v42, s4
	v_mul_f64_e32 v[8:9], v[8:9], v[40:41]
.LBB155_205:                            ;   in Loop: Header=BB155_161 Depth=1
	s_or_b32 exec_lo, exec_lo, s36
	s_delay_alu instid0(VALU_DEP_1) | instskip(SKIP_1) | instid1(VALU_DEP_2)
	v_bfi_b32 v23, 0x7fffffff, 0, v9
	v_add_nc_u32_e32 v7, -2.0, v7
	v_mov_b64_e32 v[8:9], v[22:23]
.LBB155_206:                            ;   in Loop: Header=BB155_161 Depth=1
	s_or_b32 exec_lo, exec_lo, s35
.LBB155_207:                            ;   in Loop: Header=BB155_161 Depth=1
	s_delay_alu instid0(SALU_CYCLE_1) | instskip(SKIP_2) | instid1(VALU_DEP_1)
	s_or_b32 exec_lo, exec_lo, s34
	v_and_b32_e32 v44, 0x7fffffff, v3
	s_mov_b32 s4, exec_lo
	v_cmpx_gt_u32_e32 0x7ff00000, v44
	s_xor_b32 s5, exec_lo, s4
	s_cbranch_execz .LBB155_229
; %bb.208:                              ;   in Loop: Header=BB155_161 Depth=1
	v_cmp_class_f64_e64 s4, v[4:5], 0x1f8
	s_and_saveexec_b32 s34, s4
	s_delay_alu instid0(SALU_CYCLE_1)
	s_xor_b32 s34, exec_lo, s34
	s_cbranch_execz .LBB155_226
; %bb.209:                              ;   in Loop: Header=BB155_161 Depth=1
	s_mov_b32 s4, exec_lo
	v_cmpx_gt_u32_e32 0x40360000, v44
	s_xor_b32 s35, exec_lo, s4
	s_cbranch_execz .LBB155_215
; %bb.210:                              ;   in Loop: Header=BB155_161 Depth=1
	v_cmp_ngt_f64_e64 s4, 0x41d00000, |v[4:5]|
                                        ; implicit-def: $vgpr45
                                        ; implicit-def: $vgpr40_vgpr41
                                        ; implicit-def: $vgpr42_vgpr43
	s_and_saveexec_b32 s36, s4
	s_delay_alu instid0(SALU_CYCLE_1)
	s_xor_b32 s4, exec_lo, s36
	s_cbranch_execz .LBB155_212
; %bb.211:                              ;   in Loop: Header=BB155_161 Depth=1
	v_ldexp_f64 v[40:41], |v[4:5]|, 0xffffff80
	v_cmp_le_f64_e64 vcc_lo, 0x7b000000, |v[4:5]|
	v_trig_preop_f64 v[42:43], |v[4:5]|, 0
	v_and_b32_e32 v23, 0x7fffffff, v5
	v_trig_preop_f64 v[46:47], |v[4:5]|, 1
	v_trig_preop_f64 v[56:57], |v[4:5]|, 2
	s_delay_alu instid0(VALU_DEP_3) | instskip(NEXT) | instid1(VALU_DEP_1)
	v_dual_cndmask_b32 v41, v23, v41 :: v_dual_cndmask_b32 v40, v4, v40
	v_mul_f64_e32 v[48:49], v[42:43], v[40:41]
	s_delay_alu instid0(VALU_DEP_4) | instskip(NEXT) | instid1(VALU_DEP_4)
	v_mul_f64_e32 v[50:51], v[46:47], v[40:41]
	v_mul_f64_e32 v[62:63], v[56:57], v[40:41]
	s_delay_alu instid0(VALU_DEP_3) | instskip(NEXT) | instid1(VALU_DEP_3)
	v_fma_f64 v[42:43], v[42:43], v[40:41], -v[48:49]
	v_fma_f64 v[46:47], v[46:47], v[40:41], -v[50:51]
	s_delay_alu instid0(VALU_DEP_3) | instskip(NEXT) | instid1(VALU_DEP_3)
	v_fma_f64 v[40:41], v[56:57], v[40:41], -v[62:63]
	v_add_f64_e32 v[52:53], v[50:51], v[42:43]
	s_delay_alu instid0(VALU_DEP_1) | instskip(SKIP_1) | instid1(VALU_DEP_2)
	v_add_f64_e64 v[54:55], v[52:53], -v[50:51]
	v_add_f64_e32 v[60:61], v[48:49], v[52:53]
	v_add_f64_e64 v[58:59], v[52:53], -v[54:55]
	v_add_f64_e64 v[42:43], v[42:43], -v[54:55]
	s_delay_alu instid0(VALU_DEP_3) | instskip(NEXT) | instid1(VALU_DEP_3)
	v_ldexp_f64 v[54:55], v[60:61], -2
	v_add_f64_e64 v[50:51], v[50:51], -v[58:59]
	v_add_f64_e32 v[58:59], v[62:63], v[46:47]
	s_delay_alu instid0(VALU_DEP_3) | instskip(NEXT) | instid1(VALU_DEP_3)
	v_cmp_neq_f64_e64 vcc_lo, 0x7ff00000, |v[54:55]|
	v_add_f64_e32 v[42:43], v[42:43], v[50:51]
	v_fract_f64_e32 v[50:51], v[54:55]
	s_delay_alu instid0(VALU_DEP_1) | instskip(NEXT) | instid1(VALU_DEP_1)
	v_ldexp_f64 v[50:51], v[50:51], 2
	v_dual_add_f64 v[48:49], v[60:61], -v[48:49] :: v_dual_cndmask_b32 v51, 0, v51, vcc_lo
	s_delay_alu instid0(VALU_DEP_1) | instskip(SKIP_1) | instid1(VALU_DEP_1)
	v_dual_add_f64 v[48:49], v[52:53], -v[48:49] :: v_dual_cndmask_b32 v50, 0, v50, vcc_lo
	v_add_f64_e32 v[52:53], v[58:59], v[42:43]
	v_add_f64_e32 v[54:55], v[48:49], v[52:53]
	v_add_f64_e64 v[64:65], v[52:53], -v[58:59]
	s_delay_alu instid0(VALU_DEP_2) | instskip(NEXT) | instid1(VALU_DEP_2)
	v_add_f64_e32 v[60:61], v[54:55], v[50:51]
	v_add_f64_e64 v[70:71], v[52:53], -v[64:65]
	v_add_f64_e64 v[42:43], v[42:43], -v[64:65]
	;; [unrolled: 1-line block ×3, first 2 shown]
	s_delay_alu instid0(VALU_DEP_4) | instskip(SKIP_1) | instid1(VALU_DEP_3)
	v_cmp_gt_f64_e32 vcc_lo, 0, v[60:61]
	v_add_f64_e64 v[60:61], v[58:59], -v[62:63]
	v_add_f64_e64 v[48:49], v[52:53], -v[48:49]
	v_cndmask_b32_e64 v23, 0, 0x40100000, vcc_lo
	s_delay_alu instid0(VALU_DEP_3) | instskip(SKIP_2) | instid1(VALU_DEP_4)
	v_add_f64_e64 v[68:69], v[58:59], -v[60:61]
	v_add_f64_e64 v[46:47], v[46:47], -v[60:61]
	;; [unrolled: 1-line block ×3, first 2 shown]
	v_add_f64_e32 v[50:51], v[50:51], v[22:23]
	s_delay_alu instid0(VALU_DEP_4) | instskip(NEXT) | instid1(VALU_DEP_3)
	v_add_f64_e64 v[60:61], v[62:63], -v[68:69]
	v_add_f64_e32 v[42:43], v[42:43], v[58:59]
	s_delay_alu instid0(VALU_DEP_3) | instskip(NEXT) | instid1(VALU_DEP_3)
	v_add_f64_e32 v[66:67], v[54:55], v[50:51]
	v_add_f64_e32 v[46:47], v[46:47], v[60:61]
	s_delay_alu instid0(VALU_DEP_2) | instskip(NEXT) | instid1(VALU_DEP_2)
	v_cvt_i32_f64_e32 v23, v[66:67]
	v_add_f64_e32 v[42:43], v[46:47], v[42:43]
	s_delay_alu instid0(VALU_DEP_2) | instskip(NEXT) | instid1(VALU_DEP_2)
	v_cvt_f64_i32_e32 v[64:65], v23
	v_add_f64_e32 v[40:41], v[40:41], v[42:43]
	s_delay_alu instid0(VALU_DEP_2) | instskip(NEXT) | instid1(VALU_DEP_2)
	v_add_f64_e64 v[50:51], v[50:51], -v[64:65]
	v_add_f64_e32 v[40:41], v[48:49], v[40:41]
	s_delay_alu instid0(VALU_DEP_2) | instskip(NEXT) | instid1(VALU_DEP_1)
	v_add_f64_e32 v[46:47], v[54:55], v[50:51]
	v_add_f64_e64 v[42:43], v[46:47], -v[50:51]
	v_cmp_le_f64_e32 vcc_lo, 0.5, v[46:47]
	s_delay_alu instid0(VALU_DEP_2) | instskip(SKIP_2) | instid1(VALU_DEP_3)
	v_add_f64_e64 v[42:43], v[54:55], -v[42:43]
	v_add_co_ci_u32_e64 v45, null, 0, v23, vcc_lo
	v_cndmask_b32_e64 v23, 0, 0x3ff00000, vcc_lo
	v_add_f64_e32 v[40:41], v[40:41], v[42:43]
	s_delay_alu instid0(VALU_DEP_2) | instskip(NEXT) | instid1(VALU_DEP_1)
	v_add_f64_e64 v[42:43], v[46:47], -v[22:23]
	v_add_f64_e32 v[46:47], v[42:43], v[40:41]
	s_delay_alu instid0(VALU_DEP_1) | instskip(SKIP_1) | instid1(VALU_DEP_2)
	v_mul_f64_e32 v[48:49], 0x3ff921fb54442d18, v[46:47]
	v_add_f64_e64 v[42:43], v[46:47], -v[42:43]
	v_fma_f64 v[50:51], v[46:47], s[12:13], -v[48:49]
	s_delay_alu instid0(VALU_DEP_2) | instskip(NEXT) | instid1(VALU_DEP_2)
	v_add_f64_e64 v[40:41], v[40:41], -v[42:43]
	v_fmac_f64_e32 v[50:51], 0x3c91a62633145c07, v[46:47]
	s_delay_alu instid0(VALU_DEP_1) | instskip(NEXT) | instid1(VALU_DEP_1)
	v_fmac_f64_e32 v[50:51], 0x3ff921fb54442d18, v[40:41]
	v_add_f64_e32 v[40:41], v[48:49], v[50:51]
	s_delay_alu instid0(VALU_DEP_1) | instskip(NEXT) | instid1(VALU_DEP_1)
	v_add_f64_e64 v[42:43], v[40:41], -v[48:49]
	v_add_f64_e64 v[42:43], v[50:51], -v[42:43]
.LBB155_212:                            ;   in Loop: Header=BB155_161 Depth=1
	s_and_not1_saveexec_b32 s4, s4
	s_cbranch_execz .LBB155_214
; %bb.213:                              ;   in Loop: Header=BB155_161 Depth=1
	v_mul_f64_e64 v[40:41], |v[4:5]|, s[14:15]
	s_delay_alu instid0(VALU_DEP_1) | instskip(NEXT) | instid1(VALU_DEP_1)
	v_rndne_f64_e32 v[46:47], v[40:41]
	v_fma_f64 v[40:41], v[46:47], s[16:17], |v[4:5]|
	v_mul_f64_e32 v[42:43], 0xbc91a62633145c00, v[46:47]
	v_cvt_i32_f64_e32 v45, v[46:47]
	s_delay_alu instid0(VALU_DEP_3) | instskip(NEXT) | instid1(VALU_DEP_3)
	v_fmamk_f64 v[52:53], v[46:47], 0xbc91a62633145c00, v[40:41]
	v_add_f64_e32 v[48:49], v[40:41], v[42:43]
	s_delay_alu instid0(VALU_DEP_1) | instskip(NEXT) | instid1(VALU_DEP_3)
	v_add_f64_e64 v[50:51], v[40:41], -v[48:49]
	v_add_f64_e64 v[40:41], v[48:49], -v[52:53]
	s_delay_alu instid0(VALU_DEP_2) | instskip(SKIP_1) | instid1(VALU_DEP_2)
	v_add_f64_e32 v[48:49], v[50:51], v[42:43]
	v_fmamk_f64 v[42:43], v[46:47], 0x3c91a62633145c00, v[42:43]
	v_add_f64_e32 v[40:41], v[40:41], v[48:49]
	s_delay_alu instid0(VALU_DEP_1) | instskip(NEXT) | instid1(VALU_DEP_1)
	v_add_f64_e64 v[42:43], v[40:41], -v[42:43]
	v_fmac_f64_e32 v[42:43], 0xb97b839a252049c0, v[46:47]
	s_delay_alu instid0(VALU_DEP_1) | instskip(NEXT) | instid1(VALU_DEP_1)
	v_add_f64_e32 v[40:41], v[52:53], v[42:43]
	v_add_f64_e64 v[48:49], v[40:41], -v[52:53]
	s_delay_alu instid0(VALU_DEP_1)
	v_add_f64_e64 v[42:43], v[42:43], -v[48:49]
.LBB155_214:                            ;   in Loop: Header=BB155_161 Depth=1
	s_or_b32 exec_lo, exec_lo, s4
	v_add_f64_e64 v[46:47], |v[2:3]|, s[18:19]
	v_cmp_nge_f64_e64 vcc_lo, |v[2:3]|, s[20:21]
	v_mul_f64_e32 v[64:65], v[40:41], v[40:41]
	s_delay_alu instid0(VALU_DEP_4) | instskip(NEXT) | instid1(VALU_DEP_4)
	v_add_f64_e32 v[66:67], v[42:43], v[42:43]
	v_add_f64_e64 v[48:49], v[46:47], -|v[2:3]|
	s_delay_alu instid0(VALU_DEP_3) | instskip(NEXT) | instid1(VALU_DEP_2)
	v_fma_f64 v[68:69], v[40:41], v[40:41], -v[64:65]
	v_add_f64_e64 v[50:51], v[48:49], -v[46:47]
	v_add_f64_e32 v[48:49], 0x3fe62e42fefa39ef, v[48:49]
	s_delay_alu instid0(VALU_DEP_3) | instskip(NEXT) | instid1(VALU_DEP_3)
	v_fmac_f64_e32 v[68:69], v[40:41], v[66:67]
	v_add_f64_e64 v[50:51], |v[2:3]|, v[50:51]
	s_delay_alu instid0(VALU_DEP_2) | instskip(NEXT) | instid1(VALU_DEP_2)
	v_add_f64_e32 v[64:65], v[64:65], v[68:69]
	v_add_f64_e64 v[48:49], v[50:51], -v[48:49]
	s_delay_alu instid0(VALU_DEP_2) | instskip(NEXT) | instid1(VALU_DEP_1)
	v_fmamk_f64 v[68:69], v[64:65], 0x3ef5e089c751c08c, v[24:25]
	v_fmaak_f64 v[68:69], v[64:65], v[68:69], 0x3f17746f90a8aae0
	s_delay_alu instid0(VALU_DEP_1) | instskip(NEXT) | instid1(VALU_DEP_4)
	v_fmaak_f64 v[68:69], v[64:65], v[68:69], 0xbefbb44da6fbf144
	v_add_f64_e32 v[48:49], 0xbc7abc9e3b39803f, v[48:49]
	s_delay_alu instid0(VALU_DEP_1) | instskip(NEXT) | instid1(VALU_DEP_1)
	v_add_f64_e32 v[50:51], v[46:47], v[48:49]
	v_mul_f64_e32 v[52:53], 0x3ff71547652b82fe, v[50:51]
	v_add_f64_e64 v[46:47], v[46:47], -v[50:51]
	s_delay_alu instid0(VALU_DEP_2) | instskip(NEXT) | instid1(VALU_DEP_2)
	v_rndne_f64_e32 v[52:53], v[52:53]
	v_add_f64_e32 v[46:47], v[48:49], v[46:47]
	s_delay_alu instid0(VALU_DEP_2) | instskip(SKIP_2) | instid1(VALU_DEP_3)
	v_fmac_f64_e32 v[50:51], 0xbfe62e42fefa3000, v[52:53]
	v_mul_f64_e32 v[48:49], 0xbd53de6af278e000, v[52:53]
	v_cvt_i32_f64_e32 v4, v[52:53]
	v_add_f64_e32 v[54:55], v[46:47], v[50:51]
	s_delay_alu instid0(VALU_DEP_1) | instskip(SKIP_1) | instid1(VALU_DEP_2)
	v_add_f64_e32 v[56:57], v[54:55], v[48:49]
	v_add_f64_e64 v[50:51], v[50:51], -v[54:55]
	v_add_f64_e64 v[54:55], v[54:55], -v[56:57]
	s_delay_alu instid0(VALU_DEP_2) | instskip(NEXT) | instid1(VALU_DEP_2)
	v_add_f64_e32 v[46:47], v[46:47], v[50:51]
	v_add_f64_e32 v[48:49], v[54:55], v[48:49]
	s_delay_alu instid0(VALU_DEP_1) | instskip(SKIP_1) | instid1(VALU_DEP_2)
	v_add_f64_e32 v[46:47], v[46:47], v[48:49]
	v_mul_f64_e32 v[48:49], 0xbac9cc01f97b57a0, v[52:53]
	v_add_f64_e32 v[50:51], v[56:57], v[46:47]
	s_delay_alu instid0(VALU_DEP_1) | instskip(SKIP_1) | instid1(VALU_DEP_2)
	v_add_f64_e32 v[54:55], v[50:51], v[48:49]
	v_add_f64_e64 v[56:57], v[56:57], -v[50:51]
	v_add_f64_e64 v[50:51], v[50:51], -v[54:55]
	s_delay_alu instid0(VALU_DEP_2) | instskip(NEXT) | instid1(VALU_DEP_2)
	v_add_f64_e32 v[46:47], v[46:47], v[56:57]
	v_add_f64_e32 v[48:49], v[50:51], v[48:49]
	s_delay_alu instid0(VALU_DEP_1) | instskip(NEXT) | instid1(VALU_DEP_1)
	v_add_f64_e32 v[46:47], v[46:47], v[48:49]
	v_add_f64_e32 v[48:49], v[54:55], v[46:47]
	s_delay_alu instid0(VALU_DEP_1) | instskip(SKIP_1) | instid1(VALU_DEP_2)
	v_add_f64_e64 v[50:51], v[54:55], -v[48:49]
	v_mul_f64_e32 v[54:55], v[48:49], v[48:49]
	v_add_f64_e32 v[46:47], v[46:47], v[50:51]
	s_delay_alu instid0(VALU_DEP_2) | instskip(NEXT) | instid1(VALU_DEP_2)
	v_fma_f64 v[50:51], v[48:49], v[48:49], -v[54:55]
	v_add_f64_e32 v[56:57], v[46:47], v[46:47]
	s_delay_alu instid0(VALU_DEP_1) | instskip(SKIP_1) | instid1(VALU_DEP_1)
	v_fmac_f64_e32 v[50:51], v[48:49], v[56:57]
	v_fmamk_f64 v[56:57], v[48:49], 0x3e5ade156a5dcb37, v[26:27]
	v_fmaak_f64 v[56:57], v[48:49], v[56:57], 0x3ec71dee623fde64
	s_delay_alu instid0(VALU_DEP_1) | instskip(NEXT) | instid1(VALU_DEP_1)
	v_fmaak_f64 v[56:57], v[48:49], v[56:57], 0x3efa01997c89e6b0
	v_fmaak_f64 v[56:57], v[48:49], v[56:57], 0x3f2a01a014761f6e
	s_delay_alu instid0(VALU_DEP_1) | instskip(SKIP_1) | instid1(VALU_DEP_2)
	v_fmaak_f64 v[56:57], v[48:49], v[56:57], 0x3f56c16c1852b7b0
	v_add_f64_e32 v[58:59], v[54:55], v[50:51]
	v_fmaak_f64 v[56:57], v[48:49], v[56:57], 0x3f81111111122322
	s_delay_alu instid0(VALU_DEP_1) | instskip(NEXT) | instid1(VALU_DEP_1)
	v_fmaak_f64 v[56:57], v[48:49], v[56:57], 0x3fa55555555502a1
	v_fmaak_f64 v[56:57], v[48:49], v[56:57], 0x3fc5555555555511
	s_delay_alu instid0(VALU_DEP_1) | instskip(SKIP_1) | instid1(VALU_DEP_2)
	v_fmaak_f64 v[56:57], v[48:49], v[56:57], 0x3fe000000000000b
	v_add_f64_e64 v[54:55], v[58:59], -v[54:55]
	v_mul_f64_e32 v[60:61], v[58:59], v[56:57]
	s_delay_alu instid0(VALU_DEP_2) | instskip(NEXT) | instid1(VALU_DEP_2)
	v_add_f64_e64 v[50:51], v[50:51], -v[54:55]
	v_fma_f64 v[54:55], v[58:59], v[56:57], -v[60:61]
	s_delay_alu instid0(VALU_DEP_1) | instskip(NEXT) | instid1(VALU_DEP_1)
	v_fmac_f64_e32 v[54:55], v[50:51], v[56:57]
	v_add_f64_e32 v[50:51], v[60:61], v[54:55]
	s_delay_alu instid0(VALU_DEP_1) | instskip(SKIP_1) | instid1(VALU_DEP_2)
	v_add_f64_e32 v[56:57], v[48:49], v[50:51]
	v_add_f64_e64 v[58:59], v[50:51], -v[60:61]
	v_add_f64_e64 v[48:49], v[56:57], -v[48:49]
	s_delay_alu instid0(VALU_DEP_2) | instskip(NEXT) | instid1(VALU_DEP_2)
	v_add_f64_e64 v[54:55], v[54:55], -v[58:59]
	v_add_f64_e64 v[48:49], v[50:51], -v[48:49]
	s_delay_alu instid0(VALU_DEP_2) | instskip(NEXT) | instid1(VALU_DEP_1)
	v_add_f64_e32 v[46:47], v[46:47], v[54:55]
	v_add_f64_e32 v[46:47], v[46:47], v[48:49]
	s_delay_alu instid0(VALU_DEP_1) | instskip(NEXT) | instid1(VALU_DEP_1)
	v_add_f64_e32 v[48:49], v[56:57], v[46:47]
	v_add_f64_e32 v[50:51], 1.0, v[48:49]
	v_add_f64_e64 v[54:55], v[48:49], -v[56:57]
	s_delay_alu instid0(VALU_DEP_2) | instskip(NEXT) | instid1(VALU_DEP_2)
	v_add_f64_e32 v[56:57], -1.0, v[50:51]
	v_add_f64_e64 v[46:47], v[46:47], -v[54:55]
	s_delay_alu instid0(VALU_DEP_2) | instskip(NEXT) | instid1(VALU_DEP_1)
	v_add_f64_e64 v[48:49], v[48:49], -v[56:57]
	v_add_f64_e32 v[46:47], v[46:47], v[48:49]
	s_delay_alu instid0(VALU_DEP_1) | instskip(NEXT) | instid1(VALU_DEP_1)
	v_add_f64_e32 v[48:49], v[50:51], v[46:47]
	v_ldexp_f64 v[52:53], v[48:49], v4
	v_add_f64_e64 v[48:49], v[48:49], -v[50:51]
	s_delay_alu instid0(VALU_DEP_2) | instskip(NEXT) | instid1(VALU_DEP_1)
	v_rcp_f64_e32 v[54:55], v[52:53]
	v_add_f64_e64 v[46:47], v[46:47], -v[48:49]
	s_delay_alu instid0(VALU_DEP_1) | instskip(NEXT) | instid1(TRANS32_DEP_1)
	v_ldexp_f64 v[46:47], v[46:47], v4
	v_fma_f64 v[56:57], -v[52:53], v[54:55], 1.0
	s_delay_alu instid0(VALU_DEP_1) | instskip(NEXT) | instid1(VALU_DEP_1)
	v_fmac_f64_e32 v[54:55], v[56:57], v[54:55]
	v_fma_f64 v[56:57], -v[52:53], v[54:55], 1.0
	s_delay_alu instid0(VALU_DEP_1) | instskip(NEXT) | instid1(VALU_DEP_1)
	v_fmac_f64_e32 v[54:55], v[56:57], v[54:55]
	v_mul_f64_e32 v[48:49], v[52:53], v[54:55]
	s_delay_alu instid0(VALU_DEP_1) | instskip(NEXT) | instid1(VALU_DEP_1)
	v_fma_f64 v[50:51], v[54:55], v[52:53], -v[48:49]
	v_fmac_f64_e32 v[50:51], v[54:55], v[46:47]
	s_delay_alu instid0(VALU_DEP_1) | instskip(NEXT) | instid1(VALU_DEP_1)
	v_add_f64_e32 v[56:57], v[48:49], v[50:51]
	v_add_f64_e64 v[58:59], -v[56:57], 1.0
	v_add_f64_e64 v[48:49], v[56:57], -v[48:49]
	s_delay_alu instid0(VALU_DEP_2) | instskip(NEXT) | instid1(VALU_DEP_2)
	v_add_f64_e64 v[60:61], -v[58:59], 1.0
	v_add_f64_e64 v[48:49], v[48:49], -v[50:51]
	s_delay_alu instid0(VALU_DEP_2) | instskip(NEXT) | instid1(VALU_DEP_1)
	v_add_f64_e64 v[50:51], v[60:61], -v[56:57]
	v_add_f64_e32 v[48:49], v[48:49], v[50:51]
	s_delay_alu instid0(VALU_DEP_1) | instskip(NEXT) | instid1(VALU_DEP_1)
	v_add_f64_e32 v[50:51], v[58:59], v[48:49]
	v_mul_f64_e32 v[56:57], v[54:55], v[50:51]
	v_add_f64_e64 v[58:59], v[58:59], -v[50:51]
	s_delay_alu instid0(VALU_DEP_2) | instskip(NEXT) | instid1(VALU_DEP_2)
	v_mul_f64_e32 v[60:61], v[52:53], v[56:57]
	v_add_f64_e32 v[48:49], v[48:49], v[58:59]
	s_delay_alu instid0(VALU_DEP_2) | instskip(NEXT) | instid1(VALU_DEP_1)
	v_fma_f64 v[62:63], v[56:57], v[52:53], -v[60:61]
	v_fmac_f64_e32 v[62:63], v[56:57], v[46:47]
	s_delay_alu instid0(VALU_DEP_1) | instskip(NEXT) | instid1(VALU_DEP_1)
	v_add_f64_e32 v[70:71], v[60:61], v[62:63]
	v_add_f64_e64 v[66:67], v[50:51], -v[70:71]
	v_add_f64_e64 v[58:59], v[70:71], -v[60:61]
	v_fmaak_f64 v[60:61], v[64:65], v[68:69], 0x3f21e634a7943acf
	s_delay_alu instid0(VALU_DEP_1) | instskip(NEXT) | instid1(VALU_DEP_1)
	v_fmaak_f64 v[60:61], v[64:65], v[60:61], 0x3f2d250fdeb68feb
	v_fmaak_f64 v[60:61], v[64:65], v[60:61], 0x3f437fd9b58c4d95
	s_delay_alu instid0(VALU_DEP_1) | instskip(NEXT) | instid1(VALU_DEP_1)
	v_fmaak_f64 v[60:61], v[64:65], v[60:61], 0x3f57d5af15120e2c
	v_fmaak_f64 v[60:61], v[64:65], v[60:61], 0x3f6d6d93e09491df
	v_add_f64_e64 v[50:51], v[50:51], -v[66:67]
	v_add_f64_e64 v[58:59], v[58:59], -v[62:63]
	s_delay_alu instid0(VALU_DEP_2) | instskip(NEXT) | instid1(VALU_DEP_1)
	v_add_f64_e64 v[50:51], v[50:51], -v[70:71]
	v_add_f64_e32 v[48:49], v[48:49], v[50:51]
	v_fmaak_f64 v[50:51], v[64:65], v[60:61], 0x3f8226e12033784d
	v_add_f64_e32 v[60:61], v[54:55], v[56:57]
	s_delay_alu instid0(VALU_DEP_2) | instskip(NEXT) | instid1(VALU_DEP_1)
	v_fmaak_f64 v[50:51], v[64:65], v[50:51], 0x3f9664f49ac36ae2
	v_fmaak_f64 v[50:51], v[64:65], v[50:51], 0x3faba1ba1b451c21
	s_delay_alu instid0(VALU_DEP_1) | instskip(NEXT) | instid1(VALU_DEP_1)
	v_fmaak_f64 v[50:51], v[64:65], v[50:51], 0x3fc11111111185b7
	v_fmaak_f64 v[50:51], v[64:65], v[50:51], 0x3fd55555555554ee
	v_add_f64_e32 v[48:49], v[58:59], v[48:49]
	v_add_f64_e64 v[58:59], v[60:61], -v[54:55]
	s_delay_alu instid0(VALU_DEP_3) | instskip(NEXT) | instid1(VALU_DEP_3)
	v_mul_f64_e32 v[50:51], v[64:65], v[50:51]
	v_add_f64_e32 v[48:49], v[66:67], v[48:49]
	s_delay_alu instid0(VALU_DEP_3) | instskip(NEXT) | instid1(VALU_DEP_3)
	v_add_f64_e64 v[56:57], v[56:57], -v[58:59]
	v_mul_f64_e32 v[62:63], v[40:41], v[50:51]
	s_delay_alu instid0(VALU_DEP_3) | instskip(NEXT) | instid1(VALU_DEP_2)
	v_mul_f64_e32 v[48:49], v[54:55], v[48:49]
	v_add_f64_e32 v[54:55], v[40:41], v[62:63]
	v_fma_f64 v[50:51], v[40:41], v[50:51], -v[62:63]
	s_delay_alu instid0(VALU_DEP_3) | instskip(NEXT) | instid1(VALU_DEP_3)
	v_add_f64_e32 v[48:49], v[56:57], v[48:49]
	v_add_f64_e64 v[40:41], v[54:55], -v[40:41]
	s_delay_alu instid0(VALU_DEP_3) | instskip(NEXT) | instid1(VALU_DEP_3)
	v_add_f64_e32 v[42:43], v[42:43], v[50:51]
	v_add_f64_e32 v[56:57], v[60:61], v[48:49]
	s_delay_alu instid0(VALU_DEP_3) | instskip(NEXT) | instid1(VALU_DEP_2)
	v_add_f64_e64 v[40:41], v[62:63], -v[40:41]
	v_ldexp_f64 v[50:51], v[56:57], -2
	v_add_f64_e64 v[56:57], v[56:57], -v[60:61]
	s_delay_alu instid0(VALU_DEP_3) | instskip(NEXT) | instid1(VALU_DEP_3)
	v_add_f64_e32 v[40:41], v[42:43], v[40:41]
	v_add_f64_e64 v[42:43], v[52:53], -v[50:51]
	s_delay_alu instid0(VALU_DEP_3) | instskip(NEXT) | instid1(VALU_DEP_3)
	v_add_f64_e64 v[48:49], v[48:49], -v[56:57]
	v_add_f64_e32 v[58:59], v[54:55], v[40:41]
	s_delay_alu instid0(VALU_DEP_3) | instskip(NEXT) | instid1(VALU_DEP_3)
	v_add_f64_e64 v[52:53], v[52:53], -v[42:43]
	v_ldexp_f64 v[48:49], v[48:49], -2
	s_delay_alu instid0(VALU_DEP_3) | instskip(NEXT) | instid1(VALU_DEP_2)
	v_rcp_f64_e32 v[60:61], v[58:59]
	v_add_f64_e64 v[50:51], v[52:53], -v[50:51]
	s_delay_alu instid0(TRANS32_DEP_1) | instskip(NEXT) | instid1(VALU_DEP_2)
	v_fma_f64 v[52:53], -v[58:59], v[60:61], 1.0
	v_add_f64_e32 v[46:47], v[46:47], v[50:51]
	s_delay_alu instid0(VALU_DEP_2) | instskip(NEXT) | instid1(VALU_DEP_2)
	v_fmac_f64_e32 v[60:61], v[52:53], v[60:61]
	v_add_f64_e64 v[46:47], v[46:47], -v[48:49]
	s_delay_alu instid0(VALU_DEP_2) | instskip(NEXT) | instid1(VALU_DEP_2)
	v_fma_f64 v[48:49], -v[58:59], v[60:61], 1.0
	v_add_f64_e32 v[42:43], v[42:43], v[46:47]
	s_delay_alu instid0(VALU_DEP_2) | instskip(NEXT) | instid1(VALU_DEP_2)
	v_fmac_f64_e32 v[60:61], v[48:49], v[60:61]
	v_cndmask_b32_e32 v4, 0x7ff00000, v43, vcc_lo
	s_delay_alu instid0(VALU_DEP_3) | instskip(SKIP_3) | instid1(VALU_DEP_3)
	v_cndmask_b32_e32 v23, 0, v42, vcc_lo
	v_cmp_gt_f64_e64 vcc_lo, 0x3e400000, |v[2:3]|
	v_add_f64_e64 v[42:43], v[58:59], -v[54:55]
	v_mul_f64_e32 v[46:47], v[58:59], v[60:61]
	v_dual_cndmask_b32 v4, v4, v44, vcc_lo :: v_dual_cndmask_b32 v2, v23, v2, vcc_lo
	s_delay_alu instid0(VALU_DEP_3) | instskip(NEXT) | instid1(VALU_DEP_2)
	v_add_f64_e64 v[40:41], v[40:41], -v[42:43]
	v_bfi_b32 v3, 0x7fffffff, v4, v3
	s_delay_alu instid0(VALU_DEP_4) | instskip(NEXT) | instid1(VALU_DEP_2)
	v_fma_f64 v[42:43], v[60:61], v[58:59], -v[46:47]
	v_fma_f64 v[48:49], v[2:3], v[2:3], 1.0
	s_delay_alu instid0(VALU_DEP_2) | instskip(NEXT) | instid1(VALU_DEP_2)
	v_fmac_f64_e32 v[42:43], v[60:61], v[40:41]
	v_cmp_gt_f64_e32 vcc_lo, 0x10000000, v[48:49]
	v_cndmask_b32_e64 v4, 0, 0x100, vcc_lo
	s_delay_alu instid0(VALU_DEP_1) | instskip(NEXT) | instid1(VALU_DEP_4)
	v_ldexp_f64 v[40:41], v[48:49], v4
	v_dual_add_f64 v[48:49], v[46:47], v[42:43] :: v_dual_bitop2_b32 v4, 1, v45 bitop3:0x40
	s_delay_alu instid0(VALU_DEP_1) | instskip(NEXT) | instid1(VALU_DEP_3)
	v_cmp_eq_u32_e64 s4, 0, v4
	v_rsq_f64_e32 v[50:51], v[40:41]
	s_delay_alu instid0(VALU_DEP_2) | instskip(SKIP_1) | instid1(VALU_DEP_2)
	v_add_f64_e64 v[52:53], -v[48:49], 1.0
	v_add_f64_e64 v[46:47], v[48:49], -v[46:47]
	v_add_f64_e64 v[56:57], -v[52:53], 1.0
	s_delay_alu instid0(VALU_DEP_2) | instskip(NEXT) | instid1(TRANS32_DEP_1)
	v_add_f64_e64 v[42:43], v[46:47], -v[42:43]
	v_mul_f64_e32 v[54:55], v[40:41], v[50:51]
	v_mul_f64_e32 v[50:51], 0.5, v[50:51]
	s_delay_alu instid0(VALU_DEP_4) | instskip(NEXT) | instid1(VALU_DEP_2)
	v_add_f64_e64 v[46:47], v[56:57], -v[48:49]
	v_fma_f64 v[62:63], -v[50:51], v[54:55], 0.5
	s_delay_alu instid0(VALU_DEP_2) | instskip(NEXT) | instid1(VALU_DEP_2)
	v_add_f64_e32 v[42:43], v[42:43], v[46:47]
	v_fmac_f64_e32 v[54:55], v[54:55], v[62:63]
	v_fmac_f64_e32 v[50:51], v[50:51], v[62:63]
	s_delay_alu instid0(VALU_DEP_3) | instskip(NEXT) | instid1(VALU_DEP_3)
	v_add_f64_e32 v[42:43], v[52:53], v[42:43]
	v_fma_f64 v[46:47], -v[54:55], v[54:55], v[40:41]
	s_delay_alu instid0(VALU_DEP_2) | instskip(NEXT) | instid1(VALU_DEP_2)
	v_mul_f64_e32 v[42:43], v[60:61], v[42:43]
	v_fmac_f64_e32 v[54:55], v[46:47], v[50:51]
	s_delay_alu instid0(VALU_DEP_2) | instskip(NEXT) | instid1(VALU_DEP_2)
	v_add_f64_e32 v[42:43], v[60:61], v[42:43]
	v_fma_f64 v[46:47], -v[54:55], v[54:55], v[40:41]
	s_delay_alu instid0(VALU_DEP_2) | instskip(NEXT) | instid1(VALU_DEP_3)
	v_xor_b32_e32 v23, 0x80000000, v43
	v_cndmask_b32_e64 v4, v42, v58, s4
	v_cndmask_b32_e64 v42, 0, 0xffffff80, vcc_lo
	v_cmp_class_f64_e64 vcc_lo, v[40:41], 0x260
	s_delay_alu instid0(VALU_DEP_4) | instskip(SKIP_1) | instid1(VALU_DEP_2)
	v_cndmask_b32_e64 v23, v23, v59, s4
	v_fmac_f64_e32 v[54:55], v[46:47], v[50:51]
	v_bitop3_b32 v5, v23, v5, 0x80000000 bitop3:0x78
	s_delay_alu instid0(VALU_DEP_1) | instskip(NEXT) | instid1(VALU_DEP_3)
	v_fma_f64 v[44:45], v[4:5], v[4:5], 1.0
	v_ldexp_f64 v[42:43], v[54:55], v42
	s_delay_alu instid0(VALU_DEP_1) | instskip(NEXT) | instid1(VALU_DEP_3)
	v_dual_cndmask_b32 v41, v43, v41 :: v_dual_cndmask_b32 v40, v42, v40
	v_mul_f64_e32 v[42:43], v[2:3], v[44:45]
	s_delay_alu instid0(VALU_DEP_2) | instskip(NEXT) | instid1(VALU_DEP_2)
	v_mul_f64_e32 v[40:41], v[40:41], v[44:45]
	v_fma_f64 v[42:43], v[2:3], v[42:43], 1.0
	s_delay_alu instid0(VALU_DEP_2) | instskip(NEXT) | instid1(VALU_DEP_2)
	v_mul_f64_e32 v[2:3], v[2:3], v[40:41]
	v_div_scale_f64 v[44:45], null, v[42:43], v[42:43], v[4:5]
	s_delay_alu instid0(VALU_DEP_2) | instskip(SKIP_1) | instid1(VALU_DEP_3)
	v_div_scale_f64 v[40:41], null, v[42:43], v[42:43], v[2:3]
	v_div_scale_f64 v[54:55], vcc_lo, v[2:3], v[42:43], v[2:3]
	v_rcp_f64_e32 v[48:49], v[44:45]
	s_delay_alu instid0(VALU_DEP_2) | instskip(NEXT) | instid1(TRANS32_DEP_2)
	v_rcp_f64_e32 v[46:47], v[40:41]
	v_fma_f64 v[52:53], -v[44:45], v[48:49], 1.0
	s_delay_alu instid0(TRANS32_DEP_1) | instskip(NEXT) | instid1(VALU_DEP_2)
	v_fma_f64 v[50:51], -v[40:41], v[46:47], 1.0
	v_fmac_f64_e32 v[48:49], v[48:49], v[52:53]
	s_delay_alu instid0(VALU_DEP_2) | instskip(NEXT) | instid1(VALU_DEP_2)
	v_fmac_f64_e32 v[46:47], v[46:47], v[50:51]
	v_fma_f64 v[52:53], -v[44:45], v[48:49], 1.0
	s_delay_alu instid0(VALU_DEP_2) | instskip(NEXT) | instid1(VALU_DEP_2)
	v_fma_f64 v[50:51], -v[40:41], v[46:47], 1.0
	v_fmac_f64_e32 v[48:49], v[48:49], v[52:53]
	s_delay_alu instid0(VALU_DEP_2) | instskip(SKIP_1) | instid1(VALU_DEP_2)
	v_fmac_f64_e32 v[46:47], v[46:47], v[50:51]
	v_div_scale_f64 v[50:51], s4, v[4:5], v[42:43], v[4:5]
	v_mul_f64_e32 v[52:53], v[54:55], v[46:47]
	s_delay_alu instid0(VALU_DEP_2) | instskip(NEXT) | instid1(VALU_DEP_2)
	v_mul_f64_e32 v[56:57], v[50:51], v[48:49]
	v_fma_f64 v[40:41], -v[40:41], v[52:53], v[54:55]
	s_delay_alu instid0(VALU_DEP_2) | instskip(NEXT) | instid1(VALU_DEP_2)
	v_fma_f64 v[44:45], -v[44:45], v[56:57], v[50:51]
	v_div_fmas_f64 v[40:41], v[40:41], v[46:47], v[52:53]
	s_mov_b32 vcc_lo, s4
	s_delay_alu instid0(VALU_DEP_2) | instskip(NEXT) | instid1(VALU_DEP_2)
	v_div_fmas_f64 v[44:45], v[44:45], v[48:49], v[56:57]
	v_div_fixup_f64 v[2:3], v[40:41], v[42:43], v[2:3]
	s_delay_alu instid0(VALU_DEP_2)
	v_div_fixup_f64 v[4:5], v[44:45], v[42:43], v[4:5]
.LBB155_215:                            ;   in Loop: Header=BB155_161 Depth=1
	s_and_not1_saveexec_b32 s4, s35
	s_cbranch_execz .LBB155_225
; %bb.216:                              ;   in Loop: Header=BB155_161 Depth=1
	s_delay_alu instid0(VALU_DEP_1) | instskip(SKIP_1) | instid1(SALU_CYCLE_1)
	v_cmp_ngt_f64_e64 s35, 0x41d00000, |v[4:5]|
                                        ; implicit-def: $vgpr48
                                        ; implicit-def: $vgpr40_vgpr41
                                        ; implicit-def: $vgpr42_vgpr43
	s_and_saveexec_b32 s36, s35
	s_xor_b32 s36, exec_lo, s36
	s_cbranch_execz .LBB155_218
; %bb.217:                              ;   in Loop: Header=BB155_161 Depth=1
	v_ldexp_f64 v[40:41], |v[4:5]|, 0xffffff80
	v_cmp_le_f64_e64 vcc_lo, 0x7b000000, |v[4:5]|
	v_trig_preop_f64 v[42:43], |v[4:5]|, 0
	v_and_b32_e32 v23, 0x7fffffff, v5
	v_trig_preop_f64 v[44:45], |v[4:5]|, 1
	v_trig_preop_f64 v[54:55], |v[4:5]|, 2
	s_delay_alu instid0(VALU_DEP_3) | instskip(NEXT) | instid1(VALU_DEP_1)
	v_dual_cndmask_b32 v41, v23, v41 :: v_dual_cndmask_b32 v40, v4, v40
	v_mul_f64_e32 v[46:47], v[42:43], v[40:41]
	s_delay_alu instid0(VALU_DEP_4) | instskip(NEXT) | instid1(VALU_DEP_4)
	v_mul_f64_e32 v[48:49], v[44:45], v[40:41]
	v_mul_f64_e32 v[60:61], v[54:55], v[40:41]
	s_delay_alu instid0(VALU_DEP_3) | instskip(NEXT) | instid1(VALU_DEP_3)
	v_fma_f64 v[42:43], v[42:43], v[40:41], -v[46:47]
	v_fma_f64 v[44:45], v[44:45], v[40:41], -v[48:49]
	s_delay_alu instid0(VALU_DEP_3) | instskip(NEXT) | instid1(VALU_DEP_3)
	v_fma_f64 v[40:41], v[54:55], v[40:41], -v[60:61]
	v_add_f64_e32 v[50:51], v[48:49], v[42:43]
	s_delay_alu instid0(VALU_DEP_1) | instskip(SKIP_1) | instid1(VALU_DEP_2)
	v_add_f64_e64 v[52:53], v[50:51], -v[48:49]
	v_add_f64_e32 v[58:59], v[46:47], v[50:51]
	v_add_f64_e64 v[56:57], v[50:51], -v[52:53]
	v_add_f64_e64 v[42:43], v[42:43], -v[52:53]
	s_delay_alu instid0(VALU_DEP_3) | instskip(NEXT) | instid1(VALU_DEP_3)
	v_ldexp_f64 v[52:53], v[58:59], -2
	v_add_f64_e64 v[48:49], v[48:49], -v[56:57]
	v_add_f64_e32 v[56:57], v[60:61], v[44:45]
	s_delay_alu instid0(VALU_DEP_3) | instskip(NEXT) | instid1(VALU_DEP_3)
	v_cmp_neq_f64_e64 vcc_lo, 0x7ff00000, |v[52:53]|
	v_add_f64_e32 v[42:43], v[42:43], v[48:49]
	v_fract_f64_e32 v[48:49], v[52:53]
	s_delay_alu instid0(VALU_DEP_1) | instskip(NEXT) | instid1(VALU_DEP_1)
	v_ldexp_f64 v[48:49], v[48:49], 2
	v_dual_add_f64 v[46:47], v[58:59], -v[46:47] :: v_dual_cndmask_b32 v48, 0, v48, vcc_lo
	s_delay_alu instid0(VALU_DEP_1) | instskip(SKIP_1) | instid1(VALU_DEP_1)
	v_dual_add_f64 v[46:47], v[50:51], -v[46:47] :: v_dual_cndmask_b32 v49, 0, v49, vcc_lo
	v_add_f64_e32 v[50:51], v[56:57], v[42:43]
	v_add_f64_e32 v[52:53], v[46:47], v[50:51]
	v_add_f64_e64 v[62:63], v[50:51], -v[56:57]
	s_delay_alu instid0(VALU_DEP_2) | instskip(NEXT) | instid1(VALU_DEP_2)
	v_add_f64_e32 v[58:59], v[52:53], v[48:49]
	v_add_f64_e64 v[68:69], v[50:51], -v[62:63]
	v_add_f64_e64 v[42:43], v[42:43], -v[62:63]
	;; [unrolled: 1-line block ×3, first 2 shown]
	s_delay_alu instid0(VALU_DEP_4) | instskip(SKIP_1) | instid1(VALU_DEP_3)
	v_cmp_gt_f64_e32 vcc_lo, 0, v[58:59]
	v_add_f64_e64 v[58:59], v[56:57], -v[60:61]
	v_add_f64_e64 v[46:47], v[50:51], -v[46:47]
	v_cndmask_b32_e64 v23, 0, 0x40100000, vcc_lo
	s_delay_alu instid0(VALU_DEP_3) | instskip(SKIP_2) | instid1(VALU_DEP_4)
	v_add_f64_e64 v[66:67], v[56:57], -v[58:59]
	v_add_f64_e64 v[44:45], v[44:45], -v[58:59]
	;; [unrolled: 1-line block ×3, first 2 shown]
	v_add_f64_e32 v[48:49], v[48:49], v[22:23]
	s_delay_alu instid0(VALU_DEP_4) | instskip(NEXT) | instid1(VALU_DEP_3)
	v_add_f64_e64 v[58:59], v[60:61], -v[66:67]
	v_add_f64_e32 v[42:43], v[42:43], v[56:57]
	s_delay_alu instid0(VALU_DEP_3) | instskip(NEXT) | instid1(VALU_DEP_3)
	v_add_f64_e32 v[64:65], v[52:53], v[48:49]
	v_add_f64_e32 v[44:45], v[44:45], v[58:59]
	s_delay_alu instid0(VALU_DEP_2) | instskip(NEXT) | instid1(VALU_DEP_2)
	v_cvt_i32_f64_e32 v23, v[64:65]
	v_add_f64_e32 v[42:43], v[44:45], v[42:43]
	s_delay_alu instid0(VALU_DEP_2) | instskip(NEXT) | instid1(VALU_DEP_2)
	v_cvt_f64_i32_e32 v[62:63], v23
	v_add_f64_e32 v[40:41], v[40:41], v[42:43]
	s_delay_alu instid0(VALU_DEP_2) | instskip(NEXT) | instid1(VALU_DEP_2)
	v_add_f64_e64 v[48:49], v[48:49], -v[62:63]
	v_add_f64_e32 v[40:41], v[46:47], v[40:41]
	s_delay_alu instid0(VALU_DEP_2) | instskip(NEXT) | instid1(VALU_DEP_1)
	v_add_f64_e32 v[44:45], v[52:53], v[48:49]
	v_add_f64_e64 v[42:43], v[44:45], -v[48:49]
	v_cmp_le_f64_e32 vcc_lo, 0.5, v[44:45]
	s_delay_alu instid0(VALU_DEP_2) | instskip(SKIP_2) | instid1(VALU_DEP_3)
	v_add_f64_e64 v[42:43], v[52:53], -v[42:43]
	v_add_co_ci_u32_e64 v48, null, 0, v23, vcc_lo
	v_cndmask_b32_e64 v23, 0, 0x3ff00000, vcc_lo
	v_add_f64_e32 v[40:41], v[40:41], v[42:43]
	s_delay_alu instid0(VALU_DEP_2) | instskip(NEXT) | instid1(VALU_DEP_1)
	v_add_f64_e64 v[42:43], v[44:45], -v[22:23]
	v_add_f64_e32 v[44:45], v[42:43], v[40:41]
	s_delay_alu instid0(VALU_DEP_1) | instskip(SKIP_1) | instid1(VALU_DEP_2)
	v_mul_f64_e32 v[46:47], 0x3ff921fb54442d18, v[44:45]
	v_add_f64_e64 v[42:43], v[44:45], -v[42:43]
	v_fma_f64 v[50:51], v[44:45], s[12:13], -v[46:47]
	s_delay_alu instid0(VALU_DEP_2) | instskip(NEXT) | instid1(VALU_DEP_2)
	v_add_f64_e64 v[40:41], v[40:41], -v[42:43]
	v_fmac_f64_e32 v[50:51], 0x3c91a62633145c07, v[44:45]
	s_delay_alu instid0(VALU_DEP_1) | instskip(NEXT) | instid1(VALU_DEP_1)
	v_fmac_f64_e32 v[50:51], 0x3ff921fb54442d18, v[40:41]
	v_add_f64_e32 v[40:41], v[46:47], v[50:51]
	s_delay_alu instid0(VALU_DEP_1) | instskip(NEXT) | instid1(VALU_DEP_1)
	v_add_f64_e64 v[42:43], v[40:41], -v[46:47]
	v_add_f64_e64 v[42:43], v[50:51], -v[42:43]
	s_and_not1_saveexec_b32 s36, s36
	s_cbranch_execz .LBB155_220
	s_branch .LBB155_219
.LBB155_218:                            ;   in Loop: Header=BB155_161 Depth=1
	s_and_not1_saveexec_b32 s36, s36
	s_cbranch_execz .LBB155_220
.LBB155_219:                            ;   in Loop: Header=BB155_161 Depth=1
	v_mul_f64_e64 v[40:41], |v[4:5]|, s[14:15]
	s_delay_alu instid0(VALU_DEP_1) | instskip(NEXT) | instid1(VALU_DEP_1)
	v_rndne_f64_e32 v[44:45], v[40:41]
	v_fma_f64 v[40:41], v[44:45], s[16:17], |v[4:5]|
	v_mul_f64_e32 v[42:43], 0xbc91a62633145c00, v[44:45]
	s_delay_alu instid0(VALU_DEP_2) | instskip(NEXT) | instid1(VALU_DEP_2)
	v_fmamk_f64 v[50:51], v[44:45], 0xbc91a62633145c00, v[40:41]
	v_add_f64_e32 v[46:47], v[40:41], v[42:43]
	s_delay_alu instid0(VALU_DEP_1) | instskip(NEXT) | instid1(VALU_DEP_3)
	v_add_f64_e64 v[48:49], v[40:41], -v[46:47]
	v_add_f64_e64 v[40:41], v[46:47], -v[50:51]
	s_delay_alu instid0(VALU_DEP_2) | instskip(SKIP_2) | instid1(VALU_DEP_3)
	v_add_f64_e32 v[46:47], v[48:49], v[42:43]
	v_fmamk_f64 v[42:43], v[44:45], 0x3c91a62633145c00, v[42:43]
	v_cvt_i32_f64_e32 v48, v[44:45]
	v_add_f64_e32 v[40:41], v[40:41], v[46:47]
	s_delay_alu instid0(VALU_DEP_1) | instskip(NEXT) | instid1(VALU_DEP_1)
	v_add_f64_e64 v[42:43], v[40:41], -v[42:43]
	v_fmac_f64_e32 v[42:43], 0xb97b839a252049c0, v[44:45]
	s_delay_alu instid0(VALU_DEP_1) | instskip(NEXT) | instid1(VALU_DEP_1)
	v_add_f64_e32 v[40:41], v[50:51], v[42:43]
	v_add_f64_e64 v[46:47], v[40:41], -v[50:51]
	s_delay_alu instid0(VALU_DEP_1)
	v_add_f64_e64 v[42:43], v[42:43], -v[46:47]
.LBB155_220:                            ;   in Loop: Header=BB155_161 Depth=1
	s_or_b32 exec_lo, exec_lo, s36
                                        ; implicit-def: $vgpr49
                                        ; implicit-def: $vgpr44_vgpr45
                                        ; implicit-def: $vgpr46_vgpr47
	s_and_saveexec_b32 s36, s35
	s_delay_alu instid0(SALU_CYCLE_1)
	s_xor_b32 s35, exec_lo, s36
	s_cbranch_execz .LBB155_222
; %bb.221:                              ;   in Loop: Header=BB155_161 Depth=1
	v_ldexp_f64 v[44:45], |v[4:5]|, 0xffffff80
	v_cmp_le_f64_e64 vcc_lo, 0x7b000000, |v[4:5]|
	v_trig_preop_f64 v[46:47], |v[4:5]|, 0
	v_and_b32_e32 v23, 0x7fffffff, v5
	v_trig_preop_f64 v[50:51], |v[4:5]|, 1
	v_trig_preop_f64 v[60:61], |v[4:5]|, 2
	s_delay_alu instid0(VALU_DEP_3) | instskip(NEXT) | instid1(VALU_DEP_1)
	v_dual_cndmask_b32 v45, v23, v45 :: v_dual_cndmask_b32 v44, v4, v44
	v_mul_f64_e32 v[52:53], v[46:47], v[44:45]
	s_delay_alu instid0(VALU_DEP_4) | instskip(NEXT) | instid1(VALU_DEP_4)
	v_mul_f64_e32 v[54:55], v[50:51], v[44:45]
	v_mul_f64_e32 v[66:67], v[60:61], v[44:45]
	s_delay_alu instid0(VALU_DEP_3) | instskip(NEXT) | instid1(VALU_DEP_3)
	v_fma_f64 v[46:47], v[46:47], v[44:45], -v[52:53]
	v_fma_f64 v[50:51], v[50:51], v[44:45], -v[54:55]
	s_delay_alu instid0(VALU_DEP_3) | instskip(NEXT) | instid1(VALU_DEP_3)
	v_fma_f64 v[44:45], v[60:61], v[44:45], -v[66:67]
	v_add_f64_e32 v[56:57], v[54:55], v[46:47]
	s_delay_alu instid0(VALU_DEP_1) | instskip(SKIP_1) | instid1(VALU_DEP_2)
	v_add_f64_e64 v[58:59], v[56:57], -v[54:55]
	v_add_f64_e32 v[64:65], v[52:53], v[56:57]
	v_add_f64_e64 v[62:63], v[56:57], -v[58:59]
	v_add_f64_e64 v[46:47], v[46:47], -v[58:59]
	s_delay_alu instid0(VALU_DEP_3) | instskip(NEXT) | instid1(VALU_DEP_3)
	v_ldexp_f64 v[58:59], v[64:65], -2
	v_add_f64_e64 v[54:55], v[54:55], -v[62:63]
	v_add_f64_e32 v[62:63], v[66:67], v[50:51]
	s_delay_alu instid0(VALU_DEP_3) | instskip(NEXT) | instid1(VALU_DEP_3)
	v_cmp_neq_f64_e64 vcc_lo, 0x7ff00000, |v[58:59]|
	v_add_f64_e32 v[46:47], v[46:47], v[54:55]
	v_fract_f64_e32 v[54:55], v[58:59]
	s_delay_alu instid0(VALU_DEP_1) | instskip(NEXT) | instid1(VALU_DEP_1)
	v_ldexp_f64 v[54:55], v[54:55], 2
	v_dual_add_f64 v[52:53], v[64:65], -v[52:53] :: v_dual_cndmask_b32 v55, 0, v55, vcc_lo
	s_delay_alu instid0(VALU_DEP_1) | instskip(SKIP_1) | instid1(VALU_DEP_1)
	v_dual_add_f64 v[52:53], v[56:57], -v[52:53] :: v_dual_cndmask_b32 v54, 0, v54, vcc_lo
	v_add_f64_e32 v[56:57], v[62:63], v[46:47]
	v_add_f64_e32 v[58:59], v[52:53], v[56:57]
	v_add_f64_e64 v[68:69], v[56:57], -v[62:63]
	s_delay_alu instid0(VALU_DEP_2) | instskip(NEXT) | instid1(VALU_DEP_2)
	v_add_f64_e32 v[64:65], v[58:59], v[54:55]
	v_add_f64_e64 v[74:75], v[56:57], -v[68:69]
	v_add_f64_e64 v[46:47], v[46:47], -v[68:69]
	;; [unrolled: 1-line block ×3, first 2 shown]
	s_delay_alu instid0(VALU_DEP_4) | instskip(SKIP_1) | instid1(VALU_DEP_3)
	v_cmp_gt_f64_e32 vcc_lo, 0, v[64:65]
	v_add_f64_e64 v[64:65], v[62:63], -v[66:67]
	v_add_f64_e64 v[52:53], v[56:57], -v[52:53]
	v_cndmask_b32_e64 v23, 0, 0x40100000, vcc_lo
	s_delay_alu instid0(VALU_DEP_3) | instskip(SKIP_2) | instid1(VALU_DEP_4)
	v_add_f64_e64 v[72:73], v[62:63], -v[64:65]
	v_add_f64_e64 v[50:51], v[50:51], -v[64:65]
	;; [unrolled: 1-line block ×3, first 2 shown]
	v_add_f64_e32 v[54:55], v[54:55], v[22:23]
	s_delay_alu instid0(VALU_DEP_4) | instskip(NEXT) | instid1(VALU_DEP_3)
	v_add_f64_e64 v[64:65], v[66:67], -v[72:73]
	v_add_f64_e32 v[46:47], v[46:47], v[62:63]
	s_delay_alu instid0(VALU_DEP_3) | instskip(NEXT) | instid1(VALU_DEP_3)
	v_add_f64_e32 v[70:71], v[58:59], v[54:55]
	v_add_f64_e32 v[50:51], v[50:51], v[64:65]
	s_delay_alu instid0(VALU_DEP_2) | instskip(NEXT) | instid1(VALU_DEP_2)
	v_cvt_i32_f64_e32 v23, v[70:71]
	v_add_f64_e32 v[46:47], v[50:51], v[46:47]
	s_delay_alu instid0(VALU_DEP_2) | instskip(NEXT) | instid1(VALU_DEP_2)
	v_cvt_f64_i32_e32 v[68:69], v23
	v_add_f64_e32 v[44:45], v[44:45], v[46:47]
	s_delay_alu instid0(VALU_DEP_2) | instskip(NEXT) | instid1(VALU_DEP_2)
	v_add_f64_e64 v[54:55], v[54:55], -v[68:69]
	v_add_f64_e32 v[44:45], v[52:53], v[44:45]
	s_delay_alu instid0(VALU_DEP_2) | instskip(NEXT) | instid1(VALU_DEP_1)
	v_add_f64_e32 v[50:51], v[58:59], v[54:55]
	v_add_f64_e64 v[46:47], v[50:51], -v[54:55]
	v_cmp_le_f64_e32 vcc_lo, 0.5, v[50:51]
	s_delay_alu instid0(VALU_DEP_2) | instskip(SKIP_2) | instid1(VALU_DEP_3)
	v_add_f64_e64 v[46:47], v[58:59], -v[46:47]
	v_add_co_ci_u32_e64 v49, null, 0, v23, vcc_lo
	v_cndmask_b32_e64 v23, 0, 0x3ff00000, vcc_lo
	v_add_f64_e32 v[44:45], v[44:45], v[46:47]
	s_delay_alu instid0(VALU_DEP_2) | instskip(NEXT) | instid1(VALU_DEP_1)
	v_add_f64_e64 v[46:47], v[50:51], -v[22:23]
	v_add_f64_e32 v[50:51], v[46:47], v[44:45]
	s_delay_alu instid0(VALU_DEP_1) | instskip(SKIP_1) | instid1(VALU_DEP_2)
	v_mul_f64_e32 v[52:53], 0x3ff921fb54442d18, v[50:51]
	v_add_f64_e64 v[46:47], v[50:51], -v[46:47]
	v_fma_f64 v[54:55], v[50:51], s[12:13], -v[52:53]
	s_delay_alu instid0(VALU_DEP_2) | instskip(NEXT) | instid1(VALU_DEP_2)
	v_add_f64_e64 v[44:45], v[44:45], -v[46:47]
	v_fmac_f64_e32 v[54:55], 0x3c91a62633145c07, v[50:51]
	s_delay_alu instid0(VALU_DEP_1) | instskip(NEXT) | instid1(VALU_DEP_1)
	v_fmac_f64_e32 v[54:55], 0x3ff921fb54442d18, v[44:45]
	v_add_f64_e32 v[44:45], v[52:53], v[54:55]
	s_delay_alu instid0(VALU_DEP_1) | instskip(NEXT) | instid1(VALU_DEP_1)
	v_add_f64_e64 v[46:47], v[44:45], -v[52:53]
	v_add_f64_e64 v[46:47], v[54:55], -v[46:47]
	s_and_not1_saveexec_b32 s35, s35
	s_cbranch_execnz .LBB155_223
	s_branch .LBB155_224
.LBB155_222:                            ;   in Loop: Header=BB155_161 Depth=1
	s_and_not1_saveexec_b32 s35, s35
	s_cbranch_execz .LBB155_224
.LBB155_223:                            ;   in Loop: Header=BB155_161 Depth=1
	v_mul_f64_e64 v[44:45], |v[4:5]|, s[14:15]
	s_delay_alu instid0(VALU_DEP_1) | instskip(NEXT) | instid1(VALU_DEP_1)
	v_rndne_f64_e32 v[50:51], v[44:45]
	v_fma_f64 v[44:45], v[50:51], s[16:17], |v[4:5]|
	v_mul_f64_e32 v[46:47], 0xbc91a62633145c00, v[50:51]
	v_cvt_i32_f64_e32 v49, v[50:51]
	s_delay_alu instid0(VALU_DEP_3) | instskip(NEXT) | instid1(VALU_DEP_3)
	v_fmamk_f64 v[56:57], v[50:51], 0xbc91a62633145c00, v[44:45]
	v_add_f64_e32 v[52:53], v[44:45], v[46:47]
	s_delay_alu instid0(VALU_DEP_1) | instskip(NEXT) | instid1(VALU_DEP_3)
	v_add_f64_e64 v[54:55], v[44:45], -v[52:53]
	v_add_f64_e64 v[44:45], v[52:53], -v[56:57]
	s_delay_alu instid0(VALU_DEP_2) | instskip(SKIP_1) | instid1(VALU_DEP_2)
	v_add_f64_e32 v[52:53], v[54:55], v[46:47]
	v_fmamk_f64 v[46:47], v[50:51], 0x3c91a62633145c00, v[46:47]
	v_add_f64_e32 v[44:45], v[44:45], v[52:53]
	s_delay_alu instid0(VALU_DEP_1) | instskip(NEXT) | instid1(VALU_DEP_1)
	v_add_f64_e64 v[46:47], v[44:45], -v[46:47]
	v_fmac_f64_e32 v[46:47], 0xb97b839a252049c0, v[50:51]
	s_delay_alu instid0(VALU_DEP_1) | instskip(NEXT) | instid1(VALU_DEP_1)
	v_add_f64_e32 v[44:45], v[56:57], v[46:47]
	v_add_f64_e64 v[52:53], v[44:45], -v[56:57]
	s_delay_alu instid0(VALU_DEP_1)
	v_add_f64_e64 v[46:47], v[46:47], -v[52:53]
.LBB155_224:                            ;   in Loop: Header=BB155_161 Depth=1
	s_or_b32 exec_lo, exec_lo, s35
	v_mul_f64_e32 v[50:51], v[40:41], v[40:41]
	s_delay_alu instid0(VALU_DEP_2) | instskip(SKIP_3) | instid1(VALU_DEP_4)
	v_dual_mul_f64 v[62:63], 0.5, v[42:43] :: v_dual_lshlrev_b32 v23, 30, v48
	v_mul_f64_e32 v[52:53], v[44:45], v[44:45]
	v_mul_f64_e64 v[56:57], |v[2:3]|, s[26:27]
	v_and_b32_e32 v4, 1, v48
	v_xor_b32_e32 v5, v23, v5
	s_delay_alu instid0(VALU_DEP_2)
	v_cmp_eq_u32_e32 vcc_lo, 0, v4
	v_mul_f64_e32 v[54:55], 0.5, v[50:51]
	v_mul_f64_e64 v[64:65], v[40:41], -v[50:51]
	v_fmamk_f64 v[70:71], v[50:51], 0x3de5e0b2f9a43bb8, v[30:31]
	v_mul_f64_e64 v[76:77], v[44:45], -v[52:53]
	v_fmamk_f64 v[78:79], v[52:53], 0x3de5e0b2f9a43bb8, v[30:31]
	v_rndne_f64_e32 v[56:57], v[56:57]
	s_delay_alu instid0(VALU_DEP_4) | instskip(NEXT) | instid1(VALU_DEP_1)
	v_fmaak_f64 v[70:71], v[50:51], v[70:71], 0x3ec71de3796cde01
	v_fmaak_f64 v[70:71], v[50:51], v[70:71], 0xbf2a01a019e83e5c
	s_delay_alu instid0(VALU_DEP_1) | instskip(SKIP_1) | instid1(VALU_DEP_2)
	v_fmaak_f64 v[70:71], v[50:51], v[70:71], 0x3f81111111110bb3
	v_add_f64_e64 v[60:61], -v[54:55], 1.0
	v_fmac_f64_e32 v[62:63], v[64:65], v[70:71]
	v_fma_f64 v[72:73], v[56:57], s[18:19], -|v[2:3]|
	v_cvt_i32_f64_e32 v23, v[56:57]
	s_delay_alu instid0(VALU_DEP_4) | instskip(NEXT) | instid1(VALU_DEP_4)
	v_add_f64_e64 v[68:69], -v[60:61], 1.0
	v_fma_f64 v[62:63], v[50:51], v[62:63], -v[42:43]
	s_delay_alu instid0(VALU_DEP_4) | instskip(NEXT) | instid1(VALU_DEP_3)
	v_fmac_f64_e32 v[72:73], 0xbc7abc9e3b39803f, v[56:57]
	v_add_f64_e64 v[54:55], v[68:69], -v[54:55]
	v_fmaak_f64 v[68:69], v[52:53], v[78:79], 0x3ec71de3796cde01
	v_fmamk_f64 v[78:79], v[50:51], 0xbda907db46cc5e42, v[28:29]
	v_fmac_f64_e32 v[62:63], 0xbfc5555555555555, v[64:65]
	s_delay_alu instid0(VALU_DEP_3) | instskip(NEXT) | instid1(VALU_DEP_1)
	v_fmaak_f64 v[68:69], v[52:53], v[68:69], 0xbf2a01a019e83e5c
	v_fmaak_f64 v[68:69], v[52:53], v[68:69], 0x3f81111111110bb3
	v_fma_f64 v[42:43], v[40:41], -v[42:43], v[54:55]
	v_fmaak_f64 v[54:55], v[50:51], v[78:79], 0xbe927e4fa17f65f6
	v_mul_f64_e32 v[78:79], v[52:53], v[52:53]
	v_add_f64_e64 v[40:41], v[40:41], -v[62:63]
	v_mul_f64_e32 v[74:75], 0.5, v[46:47]
	s_delay_alu instid0(VALU_DEP_4) | instskip(NEXT) | instid1(VALU_DEP_1)
	v_fmaak_f64 v[54:55], v[50:51], v[54:55], 0x3efa01a019f4ec90
	v_fmaak_f64 v[54:55], v[50:51], v[54:55], 0xbf56c16c16c16967
	s_delay_alu instid0(VALU_DEP_3) | instskip(SKIP_1) | instid1(VALU_DEP_3)
	v_fmac_f64_e32 v[74:75], v[76:77], v[68:69]
	v_mul_f64_e32 v[68:69], v[50:51], v[50:51]
	v_fmaak_f64 v[50:51], v[50:51], v[54:55], 0x3fa5555555555555
	s_delay_alu instid0(VALU_DEP_1) | instskip(NEXT) | instid1(VALU_DEP_1)
	v_fmac_f64_e32 v[42:43], v[68:69], v[50:51]
	v_add_f64_e32 v[42:43], v[60:61], v[42:43]
	s_delay_alu instid0(VALU_DEP_1) | instskip(NEXT) | instid1(VALU_DEP_1)
	v_dual_cndmask_b32 v4, v42, v40, vcc_lo :: v_dual_cndmask_b32 v42, v43, v41, vcc_lo
	v_bitop3_b32 v5, v42, v5, 0x80000000 bitop3:0x78
	v_and_b32_e32 v42, 1, v49
	s_delay_alu instid0(VALU_DEP_2) | instskip(NEXT) | instid1(VALU_DEP_2)
	v_mul_f64_e32 v[4:5], 4.0, v[4:5]
	v_cmp_eq_u32_e32 vcc_lo, 0, v42
	v_mul_f64_e32 v[58:59], 0.5, v[52:53]
	s_delay_alu instid0(VALU_DEP_1) | instskip(NEXT) | instid1(VALU_DEP_1)
	v_add_f64_e64 v[66:67], -v[58:59], 1.0
	v_add_f64_e64 v[70:71], -v[66:67], 1.0
	s_delay_alu instid0(VALU_DEP_1) | instskip(SKIP_1) | instid1(VALU_DEP_1)
	v_add_f64_e64 v[58:59], v[70:71], -v[58:59]
	v_fmamk_f64 v[70:71], v[72:73], 0x3e5ade156a5dcb37, v[26:27]
	v_fmaak_f64 v[70:71], v[72:73], v[70:71], 0x3ec71dee623fde64
	s_delay_alu instid0(VALU_DEP_1) | instskip(NEXT) | instid1(VALU_DEP_1)
	v_fmaak_f64 v[70:71], v[72:73], v[70:71], 0x3efa01997c89e6b0
	v_fmaak_f64 v[54:55], v[72:73], v[70:71], 0x3f2a01a014761f6e
	v_fma_f64 v[70:71], v[52:53], v[74:75], -v[46:47]
	v_fmamk_f64 v[74:75], v[52:53], 0xbda907db46cc5e42, v[28:29]
	s_delay_alu instid0(VALU_DEP_3) | instskip(NEXT) | instid1(VALU_DEP_2)
	v_fmaak_f64 v[50:51], v[72:73], v[54:55], 0x3f56c16c1852b7b0
	v_fmaak_f64 v[54:55], v[52:53], v[74:75], 0xbe927e4fa17f65f6
	v_fma_f64 v[46:47], v[44:45], -v[46:47], v[58:59]
	s_delay_alu instid0(VALU_DEP_3) | instskip(NEXT) | instid1(VALU_DEP_3)
	v_fmaak_f64 v[50:51], v[72:73], v[50:51], 0x3f81111111122322
	v_fmaak_f64 v[54:55], v[52:53], v[54:55], 0x3efa01a019f4ec90
	s_delay_alu instid0(VALU_DEP_2) | instskip(NEXT) | instid1(VALU_DEP_2)
	v_fmaak_f64 v[50:51], v[72:73], v[50:51], 0x3fa55555555502a1
	v_fmaak_f64 v[54:55], v[52:53], v[54:55], 0xbf56c16c16c16967
	s_delay_alu instid0(VALU_DEP_2) | instskip(NEXT) | instid1(VALU_DEP_2)
	v_fmaak_f64 v[50:51], v[72:73], v[50:51], 0x3fc5555555555511
	v_fmaak_f64 v[52:53], v[52:53], v[54:55], 0x3fa5555555555555
	v_fmac_f64_e32 v[70:71], 0xbfc5555555555555, v[76:77]
	s_delay_alu instid0(VALU_DEP_3) | instskip(NEXT) | instid1(VALU_DEP_1)
	v_fmaak_f64 v[50:51], v[72:73], v[50:51], 0x3fe000000000000b
	v_fma_f64 v[50:51], v[72:73], v[50:51], 1.0
	s_delay_alu instid0(VALU_DEP_4) | instskip(NEXT) | instid1(VALU_DEP_4)
	v_fmac_f64_e32 v[46:47], v[78:79], v[52:53]
	v_add_f64_e64 v[44:45], v[44:45], -v[70:71]
	s_delay_alu instid0(VALU_DEP_3) | instskip(NEXT) | instid1(VALU_DEP_3)
	v_fma_f64 v[40:41], v[72:73], v[50:51], 1.0
	v_add_f64_e32 v[46:47], v[66:67], v[46:47]
	s_delay_alu instid0(VALU_DEP_3) | instskip(NEXT) | instid1(VALU_DEP_3)
	v_xor_b32_e32 v43, 0x80000000, v45
	v_ldexp_f64 v[40:41], v[40:41], v23
	s_delay_alu instid0(VALU_DEP_2) | instskip(SKIP_3) | instid1(VALU_DEP_3)
	v_dual_cndmask_b32 v42, v44, v46 :: v_dual_cndmask_b32 v43, v43, v47
	v_lshlrev_b32_e32 v44, 30, v49
	v_cmp_nlt_f64_e64 vcc_lo, 0x4090cc00, |v[2:3]|
	v_bfi_b32 v23, 0x7fffffff, s33, v3
	v_bitop3_b32 v43, v43, v44, 0x80000000 bitop3:0x78
	s_delay_alu instid0(VALU_DEP_2) | instskip(NEXT) | instid1(VALU_DEP_2)
	v_mov_b64_e32 v[2:3], v[22:23]
	v_dual_mul_f64 v[4:5], v[4:5], v[42:43] :: v_dual_cndmask_b32 v41, 0, v41, vcc_lo
	v_cndmask_b32_e32 v40, 0, v40, vcc_lo
	s_delay_alu instid0(VALU_DEP_1) | instskip(NEXT) | instid1(VALU_DEP_1)
	v_mul_f64_e32 v[4:5], v[40:41], v[4:5]
	v_mul_f64_e32 v[4:5], v[40:41], v[4:5]
.LBB155_225:                            ;   in Loop: Header=BB155_161 Depth=1
	s_or_b32 exec_lo, exec_lo, s4
.LBB155_226:                            ;   in Loop: Header=BB155_161 Depth=1
	s_and_not1_saveexec_b32 s4, s34
	s_cbranch_execz .LBB155_228
; %bb.227:                              ;   in Loop: Header=BB155_161 Depth=1
	s_delay_alu instid0(VALU_DEP_1) | instskip(NEXT) | instid1(VALU_DEP_1)
	v_add_f64_e64 v[4:5], v[4:5], -v[4:5]
	v_mov_b64_e32 v[2:3], v[4:5]
.LBB155_228:                            ;   in Loop: Header=BB155_161 Depth=1
	s_or_b32 exec_lo, exec_lo, s4
.LBB155_229:                            ;   in Loop: Header=BB155_161 Depth=1
	s_and_not1_saveexec_b32 s34, s5
	s_cbranch_execz .LBB155_245
; %bb.230:                              ;   in Loop: Header=BB155_161 Depth=1
	s_delay_alu instid0(VALU_DEP_1) | instskip(SKIP_1) | instid1(VALU_DEP_1)
	v_and_or_b32 v23, 0xfffff, v3, v2
	s_mov_b32 s4, exec_lo
	v_cmpx_ne_u32_e32 0, v23
	s_xor_b32 s4, exec_lo, s4
	s_cbranch_execz .LBB155_232
; %bb.231:                              ;   in Loop: Header=BB155_161 Depth=1
	s_delay_alu instid0(VALU_DEP_3) | instskip(SKIP_1) | instid1(VALU_DEP_2)
	v_mul_f64_e32 v[40:41], v[4:5], v[2:3]
	v_cmp_eq_f64_e32 vcc_lo, 0, v[4:5]
	v_dual_cndmask_b32 v5, v41, v5 :: v_dual_cndmask_b32 v4, v40, v4
.LBB155_232:                            ;   in Loop: Header=BB155_161 Depth=1
	s_and_not1_saveexec_b32 s35, s4
	s_cbranch_execz .LBB155_244
; %bb.233:                              ;   in Loop: Header=BB155_161 Depth=1
	s_mov_b32 s36, exec_lo
	s_delay_alu instid0(VALU_DEP_1)
	v_cmpx_neq_f64_e64 0x7ff00000, |v[4:5]|
	s_cbranch_execz .LBB155_243
; %bb.234:                              ;   in Loop: Header=BB155_161 Depth=1
	v_cmp_ngt_f64_e64 s4, 0x41d00000, |v[4:5]|
                                        ; implicit-def: $vgpr48
                                        ; implicit-def: $vgpr40_vgpr41
                                        ; implicit-def: $vgpr42_vgpr43
	s_and_saveexec_b32 s5, s4
	s_delay_alu instid0(SALU_CYCLE_1)
	s_xor_b32 s5, exec_lo, s5
	s_cbranch_execz .LBB155_236
; %bb.235:                              ;   in Loop: Header=BB155_161 Depth=1
	v_ldexp_f64 v[40:41], |v[4:5]|, 0xffffff80
	v_cmp_le_f64_e64 vcc_lo, 0x7b000000, |v[4:5]|
	v_trig_preop_f64 v[42:43], |v[4:5]|, 0
	v_and_b32_e32 v23, 0x7fffffff, v5
	v_trig_preop_f64 v[44:45], |v[4:5]|, 1
	v_trig_preop_f64 v[54:55], |v[4:5]|, 2
	s_delay_alu instid0(VALU_DEP_3) | instskip(NEXT) | instid1(VALU_DEP_1)
	v_dual_cndmask_b32 v41, v23, v41 :: v_dual_cndmask_b32 v40, v4, v40
	v_mul_f64_e32 v[46:47], v[42:43], v[40:41]
	s_delay_alu instid0(VALU_DEP_4) | instskip(NEXT) | instid1(VALU_DEP_4)
	v_mul_f64_e32 v[48:49], v[44:45], v[40:41]
	v_mul_f64_e32 v[60:61], v[54:55], v[40:41]
	s_delay_alu instid0(VALU_DEP_3) | instskip(NEXT) | instid1(VALU_DEP_3)
	v_fma_f64 v[42:43], v[42:43], v[40:41], -v[46:47]
	v_fma_f64 v[44:45], v[44:45], v[40:41], -v[48:49]
	s_delay_alu instid0(VALU_DEP_3) | instskip(NEXT) | instid1(VALU_DEP_3)
	v_fma_f64 v[40:41], v[54:55], v[40:41], -v[60:61]
	v_add_f64_e32 v[50:51], v[48:49], v[42:43]
	s_delay_alu instid0(VALU_DEP_1) | instskip(SKIP_1) | instid1(VALU_DEP_2)
	v_add_f64_e64 v[52:53], v[50:51], -v[48:49]
	v_add_f64_e32 v[58:59], v[46:47], v[50:51]
	v_add_f64_e64 v[56:57], v[50:51], -v[52:53]
	v_add_f64_e64 v[42:43], v[42:43], -v[52:53]
	s_delay_alu instid0(VALU_DEP_3) | instskip(NEXT) | instid1(VALU_DEP_3)
	v_ldexp_f64 v[52:53], v[58:59], -2
	v_add_f64_e64 v[48:49], v[48:49], -v[56:57]
	v_add_f64_e32 v[56:57], v[60:61], v[44:45]
	s_delay_alu instid0(VALU_DEP_3) | instskip(NEXT) | instid1(VALU_DEP_3)
	v_cmp_neq_f64_e64 vcc_lo, 0x7ff00000, |v[52:53]|
	v_add_f64_e32 v[42:43], v[42:43], v[48:49]
	v_fract_f64_e32 v[48:49], v[52:53]
	s_delay_alu instid0(VALU_DEP_1) | instskip(NEXT) | instid1(VALU_DEP_1)
	v_ldexp_f64 v[48:49], v[48:49], 2
	v_dual_add_f64 v[46:47], v[58:59], -v[46:47] :: v_dual_cndmask_b32 v48, 0, v48, vcc_lo
	s_delay_alu instid0(VALU_DEP_1) | instskip(SKIP_1) | instid1(VALU_DEP_1)
	v_dual_add_f64 v[46:47], v[50:51], -v[46:47] :: v_dual_cndmask_b32 v49, 0, v49, vcc_lo
	v_add_f64_e32 v[50:51], v[56:57], v[42:43]
	v_add_f64_e32 v[52:53], v[46:47], v[50:51]
	v_add_f64_e64 v[62:63], v[50:51], -v[56:57]
	s_delay_alu instid0(VALU_DEP_2) | instskip(NEXT) | instid1(VALU_DEP_2)
	v_add_f64_e32 v[58:59], v[52:53], v[48:49]
	v_add_f64_e64 v[68:69], v[50:51], -v[62:63]
	v_add_f64_e64 v[42:43], v[42:43], -v[62:63]
	;; [unrolled: 1-line block ×3, first 2 shown]
	s_delay_alu instid0(VALU_DEP_4) | instskip(SKIP_1) | instid1(VALU_DEP_3)
	v_cmp_gt_f64_e32 vcc_lo, 0, v[58:59]
	v_add_f64_e64 v[58:59], v[56:57], -v[60:61]
	v_add_f64_e64 v[46:47], v[50:51], -v[46:47]
	v_cndmask_b32_e64 v23, 0, 0x40100000, vcc_lo
	s_delay_alu instid0(VALU_DEP_3) | instskip(SKIP_2) | instid1(VALU_DEP_4)
	v_add_f64_e64 v[66:67], v[56:57], -v[58:59]
	v_add_f64_e64 v[44:45], v[44:45], -v[58:59]
	;; [unrolled: 1-line block ×3, first 2 shown]
	v_add_f64_e32 v[48:49], v[48:49], v[22:23]
	s_delay_alu instid0(VALU_DEP_4) | instskip(NEXT) | instid1(VALU_DEP_3)
	v_add_f64_e64 v[58:59], v[60:61], -v[66:67]
	v_add_f64_e32 v[42:43], v[42:43], v[56:57]
	s_delay_alu instid0(VALU_DEP_3) | instskip(NEXT) | instid1(VALU_DEP_3)
	v_add_f64_e32 v[64:65], v[52:53], v[48:49]
	v_add_f64_e32 v[44:45], v[44:45], v[58:59]
	s_delay_alu instid0(VALU_DEP_2) | instskip(NEXT) | instid1(VALU_DEP_2)
	v_cvt_i32_f64_e32 v23, v[64:65]
	v_add_f64_e32 v[42:43], v[44:45], v[42:43]
	s_delay_alu instid0(VALU_DEP_2) | instskip(NEXT) | instid1(VALU_DEP_2)
	v_cvt_f64_i32_e32 v[62:63], v23
	v_add_f64_e32 v[40:41], v[40:41], v[42:43]
	s_delay_alu instid0(VALU_DEP_2) | instskip(NEXT) | instid1(VALU_DEP_2)
	v_add_f64_e64 v[48:49], v[48:49], -v[62:63]
	v_add_f64_e32 v[40:41], v[46:47], v[40:41]
	s_delay_alu instid0(VALU_DEP_2) | instskip(NEXT) | instid1(VALU_DEP_1)
	v_add_f64_e32 v[44:45], v[52:53], v[48:49]
	v_add_f64_e64 v[42:43], v[44:45], -v[48:49]
	v_cmp_le_f64_e32 vcc_lo, 0.5, v[44:45]
	s_delay_alu instid0(VALU_DEP_2) | instskip(SKIP_2) | instid1(VALU_DEP_3)
	v_add_f64_e64 v[42:43], v[52:53], -v[42:43]
	v_add_co_ci_u32_e64 v48, null, 0, v23, vcc_lo
	v_cndmask_b32_e64 v23, 0, 0x3ff00000, vcc_lo
	v_add_f64_e32 v[40:41], v[40:41], v[42:43]
	s_delay_alu instid0(VALU_DEP_2) | instskip(NEXT) | instid1(VALU_DEP_1)
	v_add_f64_e64 v[42:43], v[44:45], -v[22:23]
	v_add_f64_e32 v[44:45], v[42:43], v[40:41]
	s_delay_alu instid0(VALU_DEP_1) | instskip(SKIP_1) | instid1(VALU_DEP_2)
	v_mul_f64_e32 v[46:47], 0x3ff921fb54442d18, v[44:45]
	v_add_f64_e64 v[42:43], v[44:45], -v[42:43]
	v_fma_f64 v[50:51], v[44:45], s[12:13], -v[46:47]
	s_delay_alu instid0(VALU_DEP_2) | instskip(NEXT) | instid1(VALU_DEP_2)
	v_add_f64_e64 v[40:41], v[40:41], -v[42:43]
	v_fmac_f64_e32 v[50:51], 0x3c91a62633145c07, v[44:45]
	s_delay_alu instid0(VALU_DEP_1) | instskip(NEXT) | instid1(VALU_DEP_1)
	v_fmac_f64_e32 v[50:51], 0x3ff921fb54442d18, v[40:41]
	v_add_f64_e32 v[40:41], v[46:47], v[50:51]
	s_delay_alu instid0(VALU_DEP_1) | instskip(NEXT) | instid1(VALU_DEP_1)
	v_add_f64_e64 v[42:43], v[40:41], -v[46:47]
	v_add_f64_e64 v[42:43], v[50:51], -v[42:43]
	s_and_not1_saveexec_b32 s5, s5
	s_cbranch_execz .LBB155_238
	s_branch .LBB155_237
.LBB155_236:                            ;   in Loop: Header=BB155_161 Depth=1
	s_and_not1_saveexec_b32 s5, s5
	s_cbranch_execz .LBB155_238
.LBB155_237:                            ;   in Loop: Header=BB155_161 Depth=1
	v_mul_f64_e64 v[40:41], |v[4:5]|, s[14:15]
	s_delay_alu instid0(VALU_DEP_1) | instskip(NEXT) | instid1(VALU_DEP_1)
	v_rndne_f64_e32 v[44:45], v[40:41]
	v_fma_f64 v[40:41], v[44:45], s[16:17], |v[4:5]|
	v_mul_f64_e32 v[42:43], 0xbc91a62633145c00, v[44:45]
	s_delay_alu instid0(VALU_DEP_2) | instskip(NEXT) | instid1(VALU_DEP_2)
	v_fmamk_f64 v[50:51], v[44:45], 0xbc91a62633145c00, v[40:41]
	v_add_f64_e32 v[46:47], v[40:41], v[42:43]
	s_delay_alu instid0(VALU_DEP_1) | instskip(NEXT) | instid1(VALU_DEP_3)
	v_add_f64_e64 v[48:49], v[40:41], -v[46:47]
	v_add_f64_e64 v[40:41], v[46:47], -v[50:51]
	s_delay_alu instid0(VALU_DEP_2) | instskip(SKIP_2) | instid1(VALU_DEP_3)
	v_add_f64_e32 v[46:47], v[48:49], v[42:43]
	v_fmamk_f64 v[42:43], v[44:45], 0x3c91a62633145c00, v[42:43]
	v_cvt_i32_f64_e32 v48, v[44:45]
	v_add_f64_e32 v[40:41], v[40:41], v[46:47]
	s_delay_alu instid0(VALU_DEP_1) | instskip(NEXT) | instid1(VALU_DEP_1)
	v_add_f64_e64 v[42:43], v[40:41], -v[42:43]
	v_fmac_f64_e32 v[42:43], 0xb97b839a252049c0, v[44:45]
	s_delay_alu instid0(VALU_DEP_1) | instskip(NEXT) | instid1(VALU_DEP_1)
	v_add_f64_e32 v[40:41], v[50:51], v[42:43]
	v_add_f64_e64 v[46:47], v[40:41], -v[50:51]
	s_delay_alu instid0(VALU_DEP_1)
	v_add_f64_e64 v[42:43], v[42:43], -v[46:47]
.LBB155_238:                            ;   in Loop: Header=BB155_161 Depth=1
	s_or_b32 exec_lo, exec_lo, s5
                                        ; implicit-def: $vgpr49
                                        ; implicit-def: $vgpr44_vgpr45
                                        ; implicit-def: $vgpr46_vgpr47
	s_and_saveexec_b32 s5, s4
	s_delay_alu instid0(SALU_CYCLE_1)
	s_xor_b32 s4, exec_lo, s5
	s_cbranch_execz .LBB155_240
; %bb.239:                              ;   in Loop: Header=BB155_161 Depth=1
	v_ldexp_f64 v[44:45], |v[4:5]|, 0xffffff80
	v_cmp_le_f64_e64 vcc_lo, 0x7b000000, |v[4:5]|
	v_trig_preop_f64 v[46:47], |v[4:5]|, 0
	v_and_b32_e32 v23, 0x7fffffff, v5
	v_trig_preop_f64 v[50:51], |v[4:5]|, 1
	v_trig_preop_f64 v[60:61], |v[4:5]|, 2
	s_delay_alu instid0(VALU_DEP_3) | instskip(NEXT) | instid1(VALU_DEP_1)
	v_dual_cndmask_b32 v45, v23, v45 :: v_dual_cndmask_b32 v44, v4, v44
	v_mul_f64_e32 v[52:53], v[46:47], v[44:45]
	s_delay_alu instid0(VALU_DEP_4) | instskip(NEXT) | instid1(VALU_DEP_4)
	v_mul_f64_e32 v[54:55], v[50:51], v[44:45]
	v_mul_f64_e32 v[66:67], v[60:61], v[44:45]
	s_delay_alu instid0(VALU_DEP_3) | instskip(NEXT) | instid1(VALU_DEP_3)
	v_fma_f64 v[46:47], v[46:47], v[44:45], -v[52:53]
	v_fma_f64 v[50:51], v[50:51], v[44:45], -v[54:55]
	s_delay_alu instid0(VALU_DEP_3) | instskip(NEXT) | instid1(VALU_DEP_3)
	v_fma_f64 v[44:45], v[60:61], v[44:45], -v[66:67]
	v_add_f64_e32 v[56:57], v[54:55], v[46:47]
	s_delay_alu instid0(VALU_DEP_1) | instskip(SKIP_1) | instid1(VALU_DEP_2)
	v_add_f64_e64 v[58:59], v[56:57], -v[54:55]
	v_add_f64_e32 v[64:65], v[52:53], v[56:57]
	v_add_f64_e64 v[62:63], v[56:57], -v[58:59]
	v_add_f64_e64 v[46:47], v[46:47], -v[58:59]
	s_delay_alu instid0(VALU_DEP_3) | instskip(NEXT) | instid1(VALU_DEP_3)
	v_ldexp_f64 v[58:59], v[64:65], -2
	v_add_f64_e64 v[54:55], v[54:55], -v[62:63]
	v_add_f64_e32 v[62:63], v[66:67], v[50:51]
	s_delay_alu instid0(VALU_DEP_3) | instskip(NEXT) | instid1(VALU_DEP_3)
	v_cmp_neq_f64_e64 vcc_lo, 0x7ff00000, |v[58:59]|
	v_add_f64_e32 v[46:47], v[46:47], v[54:55]
	v_fract_f64_e32 v[54:55], v[58:59]
	s_delay_alu instid0(VALU_DEP_1) | instskip(NEXT) | instid1(VALU_DEP_1)
	v_ldexp_f64 v[54:55], v[54:55], 2
	v_dual_add_f64 v[52:53], v[64:65], -v[52:53] :: v_dual_cndmask_b32 v55, 0, v55, vcc_lo
	s_delay_alu instid0(VALU_DEP_1) | instskip(SKIP_1) | instid1(VALU_DEP_1)
	v_dual_add_f64 v[52:53], v[56:57], -v[52:53] :: v_dual_cndmask_b32 v54, 0, v54, vcc_lo
	v_add_f64_e32 v[56:57], v[62:63], v[46:47]
	v_add_f64_e32 v[58:59], v[52:53], v[56:57]
	v_add_f64_e64 v[68:69], v[56:57], -v[62:63]
	s_delay_alu instid0(VALU_DEP_2) | instskip(NEXT) | instid1(VALU_DEP_2)
	v_add_f64_e32 v[64:65], v[58:59], v[54:55]
	v_add_f64_e64 v[74:75], v[56:57], -v[68:69]
	v_add_f64_e64 v[46:47], v[46:47], -v[68:69]
	;; [unrolled: 1-line block ×3, first 2 shown]
	s_delay_alu instid0(VALU_DEP_4) | instskip(SKIP_1) | instid1(VALU_DEP_3)
	v_cmp_gt_f64_e32 vcc_lo, 0, v[64:65]
	v_add_f64_e64 v[64:65], v[62:63], -v[66:67]
	v_add_f64_e64 v[52:53], v[56:57], -v[52:53]
	v_cndmask_b32_e64 v23, 0, 0x40100000, vcc_lo
	s_delay_alu instid0(VALU_DEP_3) | instskip(SKIP_2) | instid1(VALU_DEP_4)
	v_add_f64_e64 v[72:73], v[62:63], -v[64:65]
	v_add_f64_e64 v[50:51], v[50:51], -v[64:65]
	;; [unrolled: 1-line block ×3, first 2 shown]
	v_add_f64_e32 v[54:55], v[54:55], v[22:23]
	s_delay_alu instid0(VALU_DEP_4) | instskip(NEXT) | instid1(VALU_DEP_3)
	v_add_f64_e64 v[64:65], v[66:67], -v[72:73]
	v_add_f64_e32 v[46:47], v[46:47], v[62:63]
	s_delay_alu instid0(VALU_DEP_3) | instskip(NEXT) | instid1(VALU_DEP_3)
	v_add_f64_e32 v[70:71], v[58:59], v[54:55]
	v_add_f64_e32 v[50:51], v[50:51], v[64:65]
	s_delay_alu instid0(VALU_DEP_2) | instskip(NEXT) | instid1(VALU_DEP_2)
	v_cvt_i32_f64_e32 v23, v[70:71]
	v_add_f64_e32 v[46:47], v[50:51], v[46:47]
	s_delay_alu instid0(VALU_DEP_2) | instskip(NEXT) | instid1(VALU_DEP_2)
	v_cvt_f64_i32_e32 v[68:69], v23
	v_add_f64_e32 v[44:45], v[44:45], v[46:47]
	s_delay_alu instid0(VALU_DEP_2) | instskip(NEXT) | instid1(VALU_DEP_2)
	v_add_f64_e64 v[54:55], v[54:55], -v[68:69]
	v_add_f64_e32 v[44:45], v[52:53], v[44:45]
	s_delay_alu instid0(VALU_DEP_2) | instskip(NEXT) | instid1(VALU_DEP_1)
	v_add_f64_e32 v[50:51], v[58:59], v[54:55]
	v_add_f64_e64 v[46:47], v[50:51], -v[54:55]
	v_cmp_le_f64_e32 vcc_lo, 0.5, v[50:51]
	s_delay_alu instid0(VALU_DEP_2) | instskip(SKIP_2) | instid1(VALU_DEP_3)
	v_add_f64_e64 v[46:47], v[58:59], -v[46:47]
	v_add_co_ci_u32_e64 v49, null, 0, v23, vcc_lo
	v_cndmask_b32_e64 v23, 0, 0x3ff00000, vcc_lo
	v_add_f64_e32 v[44:45], v[44:45], v[46:47]
	s_delay_alu instid0(VALU_DEP_2) | instskip(NEXT) | instid1(VALU_DEP_1)
	v_add_f64_e64 v[46:47], v[50:51], -v[22:23]
	v_add_f64_e32 v[50:51], v[46:47], v[44:45]
	s_delay_alu instid0(VALU_DEP_1) | instskip(SKIP_1) | instid1(VALU_DEP_2)
	v_mul_f64_e32 v[52:53], 0x3ff921fb54442d18, v[50:51]
	v_add_f64_e64 v[46:47], v[50:51], -v[46:47]
	v_fma_f64 v[54:55], v[50:51], s[12:13], -v[52:53]
	s_delay_alu instid0(VALU_DEP_2) | instskip(NEXT) | instid1(VALU_DEP_2)
	v_add_f64_e64 v[44:45], v[44:45], -v[46:47]
	v_fmac_f64_e32 v[54:55], 0x3c91a62633145c07, v[50:51]
	s_delay_alu instid0(VALU_DEP_1) | instskip(NEXT) | instid1(VALU_DEP_1)
	v_fmac_f64_e32 v[54:55], 0x3ff921fb54442d18, v[44:45]
	v_add_f64_e32 v[44:45], v[52:53], v[54:55]
	s_delay_alu instid0(VALU_DEP_1) | instskip(NEXT) | instid1(VALU_DEP_1)
	v_add_f64_e64 v[46:47], v[44:45], -v[52:53]
	v_add_f64_e64 v[46:47], v[54:55], -v[46:47]
	s_and_not1_saveexec_b32 s4, s4
	s_cbranch_execnz .LBB155_241
	s_branch .LBB155_242
.LBB155_240:                            ;   in Loop: Header=BB155_161 Depth=1
	s_and_not1_saveexec_b32 s4, s4
	s_cbranch_execz .LBB155_242
.LBB155_241:                            ;   in Loop: Header=BB155_161 Depth=1
	v_mul_f64_e64 v[44:45], |v[4:5]|, s[14:15]
	s_delay_alu instid0(VALU_DEP_1) | instskip(NEXT) | instid1(VALU_DEP_1)
	v_rndne_f64_e32 v[50:51], v[44:45]
	v_fma_f64 v[44:45], v[50:51], s[16:17], |v[4:5]|
	v_mul_f64_e32 v[46:47], 0xbc91a62633145c00, v[50:51]
	v_cvt_i32_f64_e32 v49, v[50:51]
	s_delay_alu instid0(VALU_DEP_3) | instskip(NEXT) | instid1(VALU_DEP_3)
	v_fmamk_f64 v[56:57], v[50:51], 0xbc91a62633145c00, v[44:45]
	v_add_f64_e32 v[52:53], v[44:45], v[46:47]
	s_delay_alu instid0(VALU_DEP_1) | instskip(NEXT) | instid1(VALU_DEP_3)
	v_add_f64_e64 v[54:55], v[44:45], -v[52:53]
	v_add_f64_e64 v[44:45], v[52:53], -v[56:57]
	s_delay_alu instid0(VALU_DEP_2) | instskip(SKIP_1) | instid1(VALU_DEP_2)
	v_add_f64_e32 v[52:53], v[54:55], v[46:47]
	v_fmamk_f64 v[46:47], v[50:51], 0x3c91a62633145c00, v[46:47]
	v_add_f64_e32 v[44:45], v[44:45], v[52:53]
	s_delay_alu instid0(VALU_DEP_1) | instskip(NEXT) | instid1(VALU_DEP_1)
	v_add_f64_e64 v[46:47], v[44:45], -v[46:47]
	v_fmac_f64_e32 v[46:47], 0xb97b839a252049c0, v[50:51]
	s_delay_alu instid0(VALU_DEP_1) | instskip(NEXT) | instid1(VALU_DEP_1)
	v_add_f64_e32 v[44:45], v[56:57], v[46:47]
	v_add_f64_e64 v[52:53], v[44:45], -v[56:57]
	s_delay_alu instid0(VALU_DEP_1)
	v_add_f64_e64 v[46:47], v[46:47], -v[52:53]
.LBB155_242:                            ;   in Loop: Header=BB155_161 Depth=1
	s_or_b32 exec_lo, exec_lo, s4
	s_delay_alu instid0(VALU_DEP_1) | instskip(SKIP_4) | instid1(VALU_DEP_3)
	v_mul_f64_e32 v[70:71], 0.5, v[46:47]
	v_cmp_class_f64_e64 s4, v[4:5], 0x1f8
	v_and_b32_e32 v4, 1, v49
	v_mul_f64_e32 v[52:53], v[44:45], v[44:45]
	v_and_b32_e32 v23, 1, v48
	v_cmp_eq_u32_e64 s5, 0, v4
	v_mul_f64_e32 v[50:51], v[40:41], v[40:41]
	s_delay_alu instid0(VALU_DEP_3)
	v_cmp_eq_u32_e32 vcc_lo, 0, v23
	v_dual_mul_f64 v[62:63], 0.5, v[42:43] :: v_dual_lshlrev_b32 v4, 30, v49
	v_mul_f64_e32 v[56:57], 0.5, v[52:53]
	v_mul_f64_e64 v[72:73], v[44:45], -v[52:53]
	v_fmamk_f64 v[74:75], v[52:53], 0x3de5e0b2f9a43bb8, v[30:31]
	v_mul_f64_e32 v[54:55], 0.5, v[50:51]
	v_mul_f64_e64 v[64:65], v[40:41], -v[50:51]
	v_fmamk_f64 v[68:69], v[50:51], 0x3de5e0b2f9a43bb8, v[30:31]
	s_delay_alu instid0(VALU_DEP_4) | instskip(NEXT) | instid1(VALU_DEP_2)
	v_fmaak_f64 v[74:75], v[52:53], v[74:75], 0x3ec71de3796cde01
	v_fmaak_f64 v[68:69], v[50:51], v[68:69], 0x3ec71de3796cde01
	s_delay_alu instid0(VALU_DEP_1) | instskip(NEXT) | instid1(VALU_DEP_1)
	v_fmaak_f64 v[68:69], v[50:51], v[68:69], 0xbf2a01a019e83e5c
	v_fmaak_f64 v[68:69], v[50:51], v[68:69], 0x3f81111111110bb3
	v_add_f64_e64 v[60:61], -v[56:57], 1.0
	v_add_f64_e64 v[58:59], -v[54:55], 1.0
	s_delay_alu instid0(VALU_DEP_3) | instskip(SKIP_1) | instid1(VALU_DEP_4)
	v_fmac_f64_e32 v[62:63], v[64:65], v[68:69]
	v_mul_f64_e32 v[68:69], v[50:51], v[50:51]
	v_add_f64_e64 v[76:77], -v[60:61], 1.0
	s_delay_alu instid0(VALU_DEP_4) | instskip(NEXT) | instid1(VALU_DEP_4)
	v_add_f64_e64 v[66:67], -v[58:59], 1.0
	v_fma_f64 v[62:63], v[50:51], v[62:63], -v[42:43]
	s_delay_alu instid0(VALU_DEP_3) | instskip(NEXT) | instid1(VALU_DEP_3)
	v_add_f64_e64 v[56:57], v[76:77], -v[56:57]
	v_add_f64_e64 v[54:55], v[66:67], -v[54:55]
	v_fmaak_f64 v[66:67], v[52:53], v[74:75], 0xbf2a01a019e83e5c
	s_delay_alu instid0(VALU_DEP_4) | instskip(SKIP_1) | instid1(VALU_DEP_3)
	v_fmac_f64_e32 v[62:63], 0xbfc5555555555555, v[64:65]
	v_mul_f64_e32 v[74:75], v[52:53], v[52:53]
	v_fmaak_f64 v[66:67], v[52:53], v[66:67], 0x3f81111111110bb3
	s_delay_alu instid0(VALU_DEP_1) | instskip(SKIP_2) | instid1(VALU_DEP_2)
	v_fmac_f64_e32 v[70:71], v[72:73], v[66:67]
	v_fmamk_f64 v[66:67], v[50:51], 0xbda907db46cc5e42, v[28:29]
	v_fma_f64 v[42:43], v[40:41], -v[42:43], v[54:55]
	v_fmaak_f64 v[54:55], v[50:51], v[66:67], 0xbe927e4fa17f65f6
	v_add_f64_e64 v[40:41], v[40:41], -v[62:63]
	s_delay_alu instid0(VALU_DEP_2) | instskip(NEXT) | instid1(VALU_DEP_1)
	v_fmaak_f64 v[54:55], v[50:51], v[54:55], 0x3efa01a019f4ec90
	v_fmaak_f64 v[54:55], v[50:51], v[54:55], 0xbf56c16c16c16967
	s_delay_alu instid0(VALU_DEP_1) | instskip(NEXT) | instid1(VALU_DEP_1)
	v_fmaak_f64 v[50:51], v[50:51], v[54:55], 0x3fa5555555555555
	v_fmac_f64_e32 v[42:43], v[68:69], v[50:51]
	s_delay_alu instid0(VALU_DEP_1) | instskip(SKIP_3) | instid1(VALU_DEP_2)
	v_add_f64_e32 v[42:43], v[58:59], v[42:43]
	v_fma_f64 v[66:67], v[52:53], v[70:71], -v[46:47]
	v_fmamk_f64 v[70:71], v[52:53], 0xbda907db46cc5e42, v[28:29]
	v_fma_f64 v[46:47], v[44:45], -v[46:47], v[56:57]
	v_fmaak_f64 v[54:55], v[52:53], v[70:71], 0xbe927e4fa17f65f6
	s_delay_alu instid0(VALU_DEP_1) | instskip(NEXT) | instid1(VALU_DEP_1)
	v_fmaak_f64 v[50:51], v[52:53], v[54:55], 0x3efa01a019f4ec90
	v_fmaak_f64 v[50:51], v[52:53], v[50:51], 0xbf56c16c16c16967
	s_delay_alu instid0(VALU_DEP_1) | instskip(SKIP_2) | instid1(VALU_DEP_3)
	v_fmaak_f64 v[50:51], v[52:53], v[50:51], 0x3fa5555555555555
	v_cndmask_b32_e32 v23, v42, v40, vcc_lo
	v_lshlrev_b32_e32 v40, 30, v48
	v_fmac_f64_e32 v[46:47], v[74:75], v[50:51]
	s_delay_alu instid0(VALU_DEP_2) | instskip(SKIP_2) | instid1(VALU_DEP_2)
	v_xor_b32_e32 v5, v40, v5
	v_cndmask_b32_e32 v40, v43, v41, vcc_lo
	v_fmac_f64_e32 v[66:67], 0xbfc5555555555555, v[72:73]
	v_bitop3_b32 v5, v40, v5, 0x80000000 bitop3:0x78
	s_delay_alu instid0(VALU_DEP_1) | instskip(SKIP_1) | instid1(VALU_DEP_4)
	v_cndmask_b32_e64 v5, 0x7ff80000, v5, s4
	v_add_f64_e32 v[46:47], v[60:61], v[46:47]
	v_add_f64_e64 v[44:45], v[44:45], -v[66:67]
	s_delay_alu instid0(VALU_DEP_1) | instskip(NEXT) | instid1(VALU_DEP_1)
	v_xor_b32_e32 v42, 0x80000000, v45
	v_dual_cndmask_b32 v41, v44, v46, s5 :: v_dual_cndmask_b32 v42, v42, v47, s5
	s_delay_alu instid0(VALU_DEP_1) | instskip(NEXT) | instid1(VALU_DEP_2)
	v_cndmask_b32_e64 v40, 0, v41, s4
	v_bitop3_b32 v42, v42, v4, 0x80000000 bitop3:0x78
	v_cndmask_b32_e64 v4, 0, v23, s4
	s_delay_alu instid0(VALU_DEP_2) | instskip(NEXT) | instid1(VALU_DEP_1)
	v_cndmask_b32_e64 v41, 0x7ff80000, v42, s4
	v_mul_f64_e32 v[4:5], v[4:5], v[40:41]
.LBB155_243:                            ;   in Loop: Header=BB155_161 Depth=1
	s_or_b32 exec_lo, exec_lo, s36
	s_delay_alu instid0(VALU_DEP_1) | instskip(SKIP_1) | instid1(VALU_DEP_2)
	v_bfi_b32 v23, 0x7fffffff, 0, v5
	v_add_nc_u32_e32 v3, -2.0, v3
	v_mov_b64_e32 v[4:5], v[22:23]
.LBB155_244:                            ;   in Loop: Header=BB155_161 Depth=1
	s_or_b32 exec_lo, exec_lo, s35
.LBB155_245:                            ;   in Loop: Header=BB155_161 Depth=1
	s_delay_alu instid0(SALU_CYCLE_1) | instskip(SKIP_2) | instid1(VALU_DEP_1)
	s_or_b32 exec_lo, exec_lo, s34
	v_and_b32_e32 v44, 0x7fffffff, v15
	s_mov_b32 s4, exec_lo
	v_cmpx_gt_u32_e32 0x7ff00000, v44
	s_xor_b32 s5, exec_lo, s4
	s_cbranch_execz .LBB155_267
; %bb.246:                              ;   in Loop: Header=BB155_161 Depth=1
	v_cmp_class_f64_e64 s4, v[16:17], 0x1f8
	s_and_saveexec_b32 s34, s4
	s_delay_alu instid0(SALU_CYCLE_1)
	s_xor_b32 s34, exec_lo, s34
	s_cbranch_execz .LBB155_264
; %bb.247:                              ;   in Loop: Header=BB155_161 Depth=1
	s_mov_b32 s4, exec_lo
	v_cmpx_gt_u32_e32 0x40360000, v44
	s_xor_b32 s35, exec_lo, s4
	s_cbranch_execz .LBB155_253
; %bb.248:                              ;   in Loop: Header=BB155_161 Depth=1
	v_cmp_ngt_f64_e64 s4, 0x41d00000, |v[16:17]|
                                        ; implicit-def: $vgpr45
                                        ; implicit-def: $vgpr40_vgpr41
                                        ; implicit-def: $vgpr42_vgpr43
	s_and_saveexec_b32 s36, s4
	s_delay_alu instid0(SALU_CYCLE_1)
	s_xor_b32 s4, exec_lo, s36
	s_cbranch_execz .LBB155_250
; %bb.249:                              ;   in Loop: Header=BB155_161 Depth=1
	v_ldexp_f64 v[40:41], |v[16:17]|, 0xffffff80
	v_cmp_le_f64_e64 vcc_lo, 0x7b000000, |v[16:17]|
	v_trig_preop_f64 v[42:43], |v[16:17]|, 0
	v_and_b32_e32 v23, 0x7fffffff, v17
	v_trig_preop_f64 v[46:47], |v[16:17]|, 1
	v_trig_preop_f64 v[56:57], |v[16:17]|, 2
	s_delay_alu instid0(VALU_DEP_3) | instskip(NEXT) | instid1(VALU_DEP_1)
	v_dual_cndmask_b32 v41, v23, v41 :: v_dual_cndmask_b32 v40, v16, v40
	v_mul_f64_e32 v[48:49], v[42:43], v[40:41]
	s_delay_alu instid0(VALU_DEP_4) | instskip(NEXT) | instid1(VALU_DEP_4)
	v_mul_f64_e32 v[50:51], v[46:47], v[40:41]
	v_mul_f64_e32 v[62:63], v[56:57], v[40:41]
	s_delay_alu instid0(VALU_DEP_3) | instskip(NEXT) | instid1(VALU_DEP_3)
	v_fma_f64 v[42:43], v[42:43], v[40:41], -v[48:49]
	v_fma_f64 v[46:47], v[46:47], v[40:41], -v[50:51]
	s_delay_alu instid0(VALU_DEP_3) | instskip(NEXT) | instid1(VALU_DEP_3)
	v_fma_f64 v[40:41], v[56:57], v[40:41], -v[62:63]
	v_add_f64_e32 v[52:53], v[50:51], v[42:43]
	s_delay_alu instid0(VALU_DEP_1) | instskip(SKIP_1) | instid1(VALU_DEP_2)
	v_add_f64_e64 v[54:55], v[52:53], -v[50:51]
	v_add_f64_e32 v[60:61], v[48:49], v[52:53]
	v_add_f64_e64 v[58:59], v[52:53], -v[54:55]
	v_add_f64_e64 v[42:43], v[42:43], -v[54:55]
	s_delay_alu instid0(VALU_DEP_3) | instskip(NEXT) | instid1(VALU_DEP_3)
	v_ldexp_f64 v[54:55], v[60:61], -2
	v_add_f64_e64 v[50:51], v[50:51], -v[58:59]
	v_add_f64_e32 v[58:59], v[62:63], v[46:47]
	s_delay_alu instid0(VALU_DEP_3) | instskip(NEXT) | instid1(VALU_DEP_3)
	v_cmp_neq_f64_e64 vcc_lo, 0x7ff00000, |v[54:55]|
	v_add_f64_e32 v[42:43], v[42:43], v[50:51]
	v_fract_f64_e32 v[50:51], v[54:55]
	s_delay_alu instid0(VALU_DEP_1) | instskip(NEXT) | instid1(VALU_DEP_1)
	v_ldexp_f64 v[50:51], v[50:51], 2
	v_dual_add_f64 v[48:49], v[60:61], -v[48:49] :: v_dual_cndmask_b32 v51, 0, v51, vcc_lo
	s_delay_alu instid0(VALU_DEP_1) | instskip(SKIP_1) | instid1(VALU_DEP_1)
	v_dual_add_f64 v[48:49], v[52:53], -v[48:49] :: v_dual_cndmask_b32 v50, 0, v50, vcc_lo
	v_add_f64_e32 v[52:53], v[58:59], v[42:43]
	v_add_f64_e32 v[54:55], v[48:49], v[52:53]
	v_add_f64_e64 v[64:65], v[52:53], -v[58:59]
	s_delay_alu instid0(VALU_DEP_2) | instskip(NEXT) | instid1(VALU_DEP_2)
	v_add_f64_e32 v[60:61], v[54:55], v[50:51]
	v_add_f64_e64 v[70:71], v[52:53], -v[64:65]
	v_add_f64_e64 v[42:43], v[42:43], -v[64:65]
	;; [unrolled: 1-line block ×3, first 2 shown]
	s_delay_alu instid0(VALU_DEP_4) | instskip(SKIP_1) | instid1(VALU_DEP_3)
	v_cmp_gt_f64_e32 vcc_lo, 0, v[60:61]
	v_add_f64_e64 v[60:61], v[58:59], -v[62:63]
	v_add_f64_e64 v[48:49], v[52:53], -v[48:49]
	v_cndmask_b32_e64 v23, 0, 0x40100000, vcc_lo
	s_delay_alu instid0(VALU_DEP_3) | instskip(SKIP_2) | instid1(VALU_DEP_4)
	v_add_f64_e64 v[68:69], v[58:59], -v[60:61]
	v_add_f64_e64 v[46:47], v[46:47], -v[60:61]
	;; [unrolled: 1-line block ×3, first 2 shown]
	v_add_f64_e32 v[50:51], v[50:51], v[22:23]
	s_delay_alu instid0(VALU_DEP_4) | instskip(NEXT) | instid1(VALU_DEP_3)
	v_add_f64_e64 v[60:61], v[62:63], -v[68:69]
	v_add_f64_e32 v[42:43], v[42:43], v[58:59]
	s_delay_alu instid0(VALU_DEP_3) | instskip(NEXT) | instid1(VALU_DEP_3)
	v_add_f64_e32 v[66:67], v[54:55], v[50:51]
	v_add_f64_e32 v[46:47], v[46:47], v[60:61]
	s_delay_alu instid0(VALU_DEP_2) | instskip(NEXT) | instid1(VALU_DEP_2)
	v_cvt_i32_f64_e32 v23, v[66:67]
	v_add_f64_e32 v[42:43], v[46:47], v[42:43]
	s_delay_alu instid0(VALU_DEP_2) | instskip(NEXT) | instid1(VALU_DEP_2)
	v_cvt_f64_i32_e32 v[64:65], v23
	v_add_f64_e32 v[40:41], v[40:41], v[42:43]
	s_delay_alu instid0(VALU_DEP_2) | instskip(NEXT) | instid1(VALU_DEP_2)
	v_add_f64_e64 v[50:51], v[50:51], -v[64:65]
	v_add_f64_e32 v[40:41], v[48:49], v[40:41]
	s_delay_alu instid0(VALU_DEP_2) | instskip(NEXT) | instid1(VALU_DEP_1)
	v_add_f64_e32 v[46:47], v[54:55], v[50:51]
	v_add_f64_e64 v[42:43], v[46:47], -v[50:51]
	v_cmp_le_f64_e32 vcc_lo, 0.5, v[46:47]
	s_delay_alu instid0(VALU_DEP_2) | instskip(SKIP_2) | instid1(VALU_DEP_3)
	v_add_f64_e64 v[42:43], v[54:55], -v[42:43]
	v_add_co_ci_u32_e64 v45, null, 0, v23, vcc_lo
	v_cndmask_b32_e64 v23, 0, 0x3ff00000, vcc_lo
	v_add_f64_e32 v[40:41], v[40:41], v[42:43]
	s_delay_alu instid0(VALU_DEP_2) | instskip(NEXT) | instid1(VALU_DEP_1)
	v_add_f64_e64 v[42:43], v[46:47], -v[22:23]
	v_add_f64_e32 v[46:47], v[42:43], v[40:41]
	s_delay_alu instid0(VALU_DEP_1) | instskip(SKIP_1) | instid1(VALU_DEP_2)
	v_mul_f64_e32 v[48:49], 0x3ff921fb54442d18, v[46:47]
	v_add_f64_e64 v[42:43], v[46:47], -v[42:43]
	v_fma_f64 v[50:51], v[46:47], s[12:13], -v[48:49]
	s_delay_alu instid0(VALU_DEP_2) | instskip(NEXT) | instid1(VALU_DEP_2)
	v_add_f64_e64 v[40:41], v[40:41], -v[42:43]
	v_fmac_f64_e32 v[50:51], 0x3c91a62633145c07, v[46:47]
	s_delay_alu instid0(VALU_DEP_1) | instskip(NEXT) | instid1(VALU_DEP_1)
	v_fmac_f64_e32 v[50:51], 0x3ff921fb54442d18, v[40:41]
	v_add_f64_e32 v[40:41], v[48:49], v[50:51]
	s_delay_alu instid0(VALU_DEP_1) | instskip(NEXT) | instid1(VALU_DEP_1)
	v_add_f64_e64 v[42:43], v[40:41], -v[48:49]
	v_add_f64_e64 v[42:43], v[50:51], -v[42:43]
.LBB155_250:                            ;   in Loop: Header=BB155_161 Depth=1
	s_and_not1_saveexec_b32 s4, s4
	s_cbranch_execz .LBB155_252
; %bb.251:                              ;   in Loop: Header=BB155_161 Depth=1
	v_mul_f64_e64 v[40:41], |v[16:17]|, s[14:15]
	s_delay_alu instid0(VALU_DEP_1) | instskip(NEXT) | instid1(VALU_DEP_1)
	v_rndne_f64_e32 v[46:47], v[40:41]
	v_fma_f64 v[40:41], v[46:47], s[16:17], |v[16:17]|
	v_mul_f64_e32 v[42:43], 0xbc91a62633145c00, v[46:47]
	v_cvt_i32_f64_e32 v45, v[46:47]
	s_delay_alu instid0(VALU_DEP_3) | instskip(NEXT) | instid1(VALU_DEP_3)
	v_fmamk_f64 v[52:53], v[46:47], 0xbc91a62633145c00, v[40:41]
	v_add_f64_e32 v[48:49], v[40:41], v[42:43]
	s_delay_alu instid0(VALU_DEP_1) | instskip(NEXT) | instid1(VALU_DEP_3)
	v_add_f64_e64 v[50:51], v[40:41], -v[48:49]
	v_add_f64_e64 v[40:41], v[48:49], -v[52:53]
	s_delay_alu instid0(VALU_DEP_2) | instskip(SKIP_1) | instid1(VALU_DEP_2)
	v_add_f64_e32 v[48:49], v[50:51], v[42:43]
	v_fmamk_f64 v[42:43], v[46:47], 0x3c91a62633145c00, v[42:43]
	v_add_f64_e32 v[40:41], v[40:41], v[48:49]
	s_delay_alu instid0(VALU_DEP_1) | instskip(NEXT) | instid1(VALU_DEP_1)
	v_add_f64_e64 v[42:43], v[40:41], -v[42:43]
	v_fmac_f64_e32 v[42:43], 0xb97b839a252049c0, v[46:47]
	s_delay_alu instid0(VALU_DEP_1) | instskip(NEXT) | instid1(VALU_DEP_1)
	v_add_f64_e32 v[40:41], v[52:53], v[42:43]
	v_add_f64_e64 v[48:49], v[40:41], -v[52:53]
	s_delay_alu instid0(VALU_DEP_1)
	v_add_f64_e64 v[42:43], v[42:43], -v[48:49]
.LBB155_252:                            ;   in Loop: Header=BB155_161 Depth=1
	s_or_b32 exec_lo, exec_lo, s4
	v_add_f64_e64 v[46:47], |v[14:15]|, s[18:19]
	v_cmp_nge_f64_e64 vcc_lo, |v[14:15]|, s[20:21]
	v_mul_f64_e32 v[64:65], v[40:41], v[40:41]
	s_delay_alu instid0(VALU_DEP_4) | instskip(NEXT) | instid1(VALU_DEP_4)
	v_add_f64_e32 v[66:67], v[42:43], v[42:43]
	v_add_f64_e64 v[48:49], v[46:47], -|v[14:15]|
	s_delay_alu instid0(VALU_DEP_3) | instskip(NEXT) | instid1(VALU_DEP_2)
	v_fma_f64 v[68:69], v[40:41], v[40:41], -v[64:65]
	v_add_f64_e64 v[50:51], v[48:49], -v[46:47]
	v_add_f64_e32 v[48:49], 0x3fe62e42fefa39ef, v[48:49]
	s_delay_alu instid0(VALU_DEP_3) | instskip(NEXT) | instid1(VALU_DEP_3)
	v_fmac_f64_e32 v[68:69], v[40:41], v[66:67]
	v_add_f64_e64 v[50:51], |v[14:15]|, v[50:51]
	s_delay_alu instid0(VALU_DEP_2) | instskip(NEXT) | instid1(VALU_DEP_2)
	v_add_f64_e32 v[64:65], v[64:65], v[68:69]
	v_add_f64_e64 v[48:49], v[50:51], -v[48:49]
	s_delay_alu instid0(VALU_DEP_2) | instskip(NEXT) | instid1(VALU_DEP_1)
	v_fmamk_f64 v[68:69], v[64:65], 0x3ef5e089c751c08c, v[24:25]
	v_fmaak_f64 v[68:69], v[64:65], v[68:69], 0x3f17746f90a8aae0
	s_delay_alu instid0(VALU_DEP_1) | instskip(NEXT) | instid1(VALU_DEP_4)
	v_fmaak_f64 v[68:69], v[64:65], v[68:69], 0xbefbb44da6fbf144
	v_add_f64_e32 v[48:49], 0xbc7abc9e3b39803f, v[48:49]
	s_delay_alu instid0(VALU_DEP_1) | instskip(NEXT) | instid1(VALU_DEP_1)
	v_add_f64_e32 v[50:51], v[46:47], v[48:49]
	v_mul_f64_e32 v[52:53], 0x3ff71547652b82fe, v[50:51]
	v_add_f64_e64 v[46:47], v[46:47], -v[50:51]
	s_delay_alu instid0(VALU_DEP_2) | instskip(NEXT) | instid1(VALU_DEP_2)
	v_rndne_f64_e32 v[52:53], v[52:53]
	v_add_f64_e32 v[46:47], v[48:49], v[46:47]
	s_delay_alu instid0(VALU_DEP_2) | instskip(SKIP_2) | instid1(VALU_DEP_3)
	v_fmac_f64_e32 v[50:51], 0xbfe62e42fefa3000, v[52:53]
	v_mul_f64_e32 v[48:49], 0xbd53de6af278e000, v[52:53]
	v_cvt_i32_f64_e32 v16, v[52:53]
	v_add_f64_e32 v[54:55], v[46:47], v[50:51]
	s_delay_alu instid0(VALU_DEP_1) | instskip(SKIP_1) | instid1(VALU_DEP_2)
	v_add_f64_e32 v[56:57], v[54:55], v[48:49]
	v_add_f64_e64 v[50:51], v[50:51], -v[54:55]
	v_add_f64_e64 v[54:55], v[54:55], -v[56:57]
	s_delay_alu instid0(VALU_DEP_2) | instskip(NEXT) | instid1(VALU_DEP_2)
	v_add_f64_e32 v[46:47], v[46:47], v[50:51]
	v_add_f64_e32 v[48:49], v[54:55], v[48:49]
	s_delay_alu instid0(VALU_DEP_1) | instskip(SKIP_1) | instid1(VALU_DEP_2)
	v_add_f64_e32 v[46:47], v[46:47], v[48:49]
	v_mul_f64_e32 v[48:49], 0xbac9cc01f97b57a0, v[52:53]
	v_add_f64_e32 v[50:51], v[56:57], v[46:47]
	s_delay_alu instid0(VALU_DEP_1) | instskip(SKIP_1) | instid1(VALU_DEP_2)
	v_add_f64_e32 v[54:55], v[50:51], v[48:49]
	v_add_f64_e64 v[56:57], v[56:57], -v[50:51]
	v_add_f64_e64 v[50:51], v[50:51], -v[54:55]
	s_delay_alu instid0(VALU_DEP_2) | instskip(NEXT) | instid1(VALU_DEP_2)
	v_add_f64_e32 v[46:47], v[46:47], v[56:57]
	v_add_f64_e32 v[48:49], v[50:51], v[48:49]
	s_delay_alu instid0(VALU_DEP_1) | instskip(NEXT) | instid1(VALU_DEP_1)
	v_add_f64_e32 v[46:47], v[46:47], v[48:49]
	v_add_f64_e32 v[48:49], v[54:55], v[46:47]
	s_delay_alu instid0(VALU_DEP_1) | instskip(SKIP_1) | instid1(VALU_DEP_2)
	v_add_f64_e64 v[50:51], v[54:55], -v[48:49]
	v_mul_f64_e32 v[54:55], v[48:49], v[48:49]
	v_add_f64_e32 v[46:47], v[46:47], v[50:51]
	s_delay_alu instid0(VALU_DEP_2) | instskip(NEXT) | instid1(VALU_DEP_2)
	v_fma_f64 v[50:51], v[48:49], v[48:49], -v[54:55]
	v_add_f64_e32 v[56:57], v[46:47], v[46:47]
	s_delay_alu instid0(VALU_DEP_1) | instskip(SKIP_1) | instid1(VALU_DEP_1)
	v_fmac_f64_e32 v[50:51], v[48:49], v[56:57]
	v_fmamk_f64 v[56:57], v[48:49], 0x3e5ade156a5dcb37, v[26:27]
	v_fmaak_f64 v[56:57], v[48:49], v[56:57], 0x3ec71dee623fde64
	s_delay_alu instid0(VALU_DEP_1) | instskip(NEXT) | instid1(VALU_DEP_1)
	v_fmaak_f64 v[56:57], v[48:49], v[56:57], 0x3efa01997c89e6b0
	v_fmaak_f64 v[56:57], v[48:49], v[56:57], 0x3f2a01a014761f6e
	s_delay_alu instid0(VALU_DEP_1) | instskip(SKIP_1) | instid1(VALU_DEP_2)
	v_fmaak_f64 v[56:57], v[48:49], v[56:57], 0x3f56c16c1852b7b0
	v_add_f64_e32 v[58:59], v[54:55], v[50:51]
	v_fmaak_f64 v[56:57], v[48:49], v[56:57], 0x3f81111111122322
	s_delay_alu instid0(VALU_DEP_1) | instskip(NEXT) | instid1(VALU_DEP_1)
	v_fmaak_f64 v[56:57], v[48:49], v[56:57], 0x3fa55555555502a1
	v_fmaak_f64 v[56:57], v[48:49], v[56:57], 0x3fc5555555555511
	s_delay_alu instid0(VALU_DEP_1) | instskip(SKIP_1) | instid1(VALU_DEP_2)
	v_fmaak_f64 v[56:57], v[48:49], v[56:57], 0x3fe000000000000b
	v_add_f64_e64 v[54:55], v[58:59], -v[54:55]
	v_mul_f64_e32 v[60:61], v[58:59], v[56:57]
	s_delay_alu instid0(VALU_DEP_2) | instskip(NEXT) | instid1(VALU_DEP_2)
	v_add_f64_e64 v[50:51], v[50:51], -v[54:55]
	v_fma_f64 v[54:55], v[58:59], v[56:57], -v[60:61]
	s_delay_alu instid0(VALU_DEP_1) | instskip(NEXT) | instid1(VALU_DEP_1)
	v_fmac_f64_e32 v[54:55], v[50:51], v[56:57]
	v_add_f64_e32 v[50:51], v[60:61], v[54:55]
	s_delay_alu instid0(VALU_DEP_1) | instskip(SKIP_1) | instid1(VALU_DEP_2)
	v_add_f64_e32 v[56:57], v[48:49], v[50:51]
	v_add_f64_e64 v[58:59], v[50:51], -v[60:61]
	v_add_f64_e64 v[48:49], v[56:57], -v[48:49]
	s_delay_alu instid0(VALU_DEP_2) | instskip(NEXT) | instid1(VALU_DEP_2)
	v_add_f64_e64 v[54:55], v[54:55], -v[58:59]
	v_add_f64_e64 v[48:49], v[50:51], -v[48:49]
	s_delay_alu instid0(VALU_DEP_2) | instskip(NEXT) | instid1(VALU_DEP_1)
	v_add_f64_e32 v[46:47], v[46:47], v[54:55]
	v_add_f64_e32 v[46:47], v[46:47], v[48:49]
	s_delay_alu instid0(VALU_DEP_1) | instskip(NEXT) | instid1(VALU_DEP_1)
	v_add_f64_e32 v[48:49], v[56:57], v[46:47]
	v_add_f64_e32 v[50:51], 1.0, v[48:49]
	v_add_f64_e64 v[54:55], v[48:49], -v[56:57]
	s_delay_alu instid0(VALU_DEP_2) | instskip(NEXT) | instid1(VALU_DEP_2)
	v_add_f64_e32 v[56:57], -1.0, v[50:51]
	v_add_f64_e64 v[46:47], v[46:47], -v[54:55]
	s_delay_alu instid0(VALU_DEP_2) | instskip(NEXT) | instid1(VALU_DEP_1)
	v_add_f64_e64 v[48:49], v[48:49], -v[56:57]
	v_add_f64_e32 v[46:47], v[46:47], v[48:49]
	s_delay_alu instid0(VALU_DEP_1) | instskip(NEXT) | instid1(VALU_DEP_1)
	v_add_f64_e32 v[48:49], v[50:51], v[46:47]
	v_ldexp_f64 v[52:53], v[48:49], v16
	v_add_f64_e64 v[48:49], v[48:49], -v[50:51]
	s_delay_alu instid0(VALU_DEP_2) | instskip(NEXT) | instid1(VALU_DEP_1)
	v_rcp_f64_e32 v[54:55], v[52:53]
	v_add_f64_e64 v[46:47], v[46:47], -v[48:49]
	s_delay_alu instid0(VALU_DEP_1) | instskip(NEXT) | instid1(TRANS32_DEP_1)
	v_ldexp_f64 v[46:47], v[46:47], v16
	v_fma_f64 v[56:57], -v[52:53], v[54:55], 1.0
	s_delay_alu instid0(VALU_DEP_1) | instskip(NEXT) | instid1(VALU_DEP_1)
	v_fmac_f64_e32 v[54:55], v[56:57], v[54:55]
	v_fma_f64 v[56:57], -v[52:53], v[54:55], 1.0
	s_delay_alu instid0(VALU_DEP_1) | instskip(NEXT) | instid1(VALU_DEP_1)
	v_fmac_f64_e32 v[54:55], v[56:57], v[54:55]
	v_mul_f64_e32 v[48:49], v[52:53], v[54:55]
	s_delay_alu instid0(VALU_DEP_1) | instskip(NEXT) | instid1(VALU_DEP_1)
	v_fma_f64 v[50:51], v[54:55], v[52:53], -v[48:49]
	v_fmac_f64_e32 v[50:51], v[54:55], v[46:47]
	s_delay_alu instid0(VALU_DEP_1) | instskip(NEXT) | instid1(VALU_DEP_1)
	v_add_f64_e32 v[56:57], v[48:49], v[50:51]
	v_add_f64_e64 v[58:59], -v[56:57], 1.0
	v_add_f64_e64 v[48:49], v[56:57], -v[48:49]
	s_delay_alu instid0(VALU_DEP_2) | instskip(NEXT) | instid1(VALU_DEP_2)
	v_add_f64_e64 v[60:61], -v[58:59], 1.0
	v_add_f64_e64 v[48:49], v[48:49], -v[50:51]
	s_delay_alu instid0(VALU_DEP_2) | instskip(NEXT) | instid1(VALU_DEP_1)
	v_add_f64_e64 v[50:51], v[60:61], -v[56:57]
	v_add_f64_e32 v[48:49], v[48:49], v[50:51]
	s_delay_alu instid0(VALU_DEP_1) | instskip(NEXT) | instid1(VALU_DEP_1)
	v_add_f64_e32 v[50:51], v[58:59], v[48:49]
	v_mul_f64_e32 v[56:57], v[54:55], v[50:51]
	v_add_f64_e64 v[58:59], v[58:59], -v[50:51]
	s_delay_alu instid0(VALU_DEP_2) | instskip(NEXT) | instid1(VALU_DEP_2)
	v_mul_f64_e32 v[60:61], v[52:53], v[56:57]
	v_add_f64_e32 v[48:49], v[48:49], v[58:59]
	s_delay_alu instid0(VALU_DEP_2) | instskip(NEXT) | instid1(VALU_DEP_1)
	v_fma_f64 v[62:63], v[56:57], v[52:53], -v[60:61]
	v_fmac_f64_e32 v[62:63], v[56:57], v[46:47]
	s_delay_alu instid0(VALU_DEP_1) | instskip(NEXT) | instid1(VALU_DEP_1)
	v_add_f64_e32 v[70:71], v[60:61], v[62:63]
	v_add_f64_e64 v[66:67], v[50:51], -v[70:71]
	v_add_f64_e64 v[58:59], v[70:71], -v[60:61]
	v_fmaak_f64 v[60:61], v[64:65], v[68:69], 0x3f21e634a7943acf
	s_delay_alu instid0(VALU_DEP_1) | instskip(NEXT) | instid1(VALU_DEP_1)
	v_fmaak_f64 v[60:61], v[64:65], v[60:61], 0x3f2d250fdeb68feb
	v_fmaak_f64 v[60:61], v[64:65], v[60:61], 0x3f437fd9b58c4d95
	s_delay_alu instid0(VALU_DEP_1) | instskip(NEXT) | instid1(VALU_DEP_1)
	v_fmaak_f64 v[60:61], v[64:65], v[60:61], 0x3f57d5af15120e2c
	v_fmaak_f64 v[60:61], v[64:65], v[60:61], 0x3f6d6d93e09491df
	v_add_f64_e64 v[50:51], v[50:51], -v[66:67]
	v_add_f64_e64 v[58:59], v[58:59], -v[62:63]
	s_delay_alu instid0(VALU_DEP_2) | instskip(NEXT) | instid1(VALU_DEP_1)
	v_add_f64_e64 v[50:51], v[50:51], -v[70:71]
	v_add_f64_e32 v[48:49], v[48:49], v[50:51]
	v_fmaak_f64 v[50:51], v[64:65], v[60:61], 0x3f8226e12033784d
	v_add_f64_e32 v[60:61], v[54:55], v[56:57]
	s_delay_alu instid0(VALU_DEP_2) | instskip(NEXT) | instid1(VALU_DEP_1)
	v_fmaak_f64 v[50:51], v[64:65], v[50:51], 0x3f9664f49ac36ae2
	v_fmaak_f64 v[50:51], v[64:65], v[50:51], 0x3faba1ba1b451c21
	s_delay_alu instid0(VALU_DEP_1) | instskip(NEXT) | instid1(VALU_DEP_1)
	v_fmaak_f64 v[50:51], v[64:65], v[50:51], 0x3fc11111111185b7
	v_fmaak_f64 v[50:51], v[64:65], v[50:51], 0x3fd55555555554ee
	v_add_f64_e32 v[48:49], v[58:59], v[48:49]
	v_add_f64_e64 v[58:59], v[60:61], -v[54:55]
	s_delay_alu instid0(VALU_DEP_3) | instskip(NEXT) | instid1(VALU_DEP_3)
	v_mul_f64_e32 v[50:51], v[64:65], v[50:51]
	v_add_f64_e32 v[48:49], v[66:67], v[48:49]
	s_delay_alu instid0(VALU_DEP_3) | instskip(NEXT) | instid1(VALU_DEP_3)
	v_add_f64_e64 v[56:57], v[56:57], -v[58:59]
	v_mul_f64_e32 v[62:63], v[40:41], v[50:51]
	s_delay_alu instid0(VALU_DEP_3) | instskip(NEXT) | instid1(VALU_DEP_2)
	v_mul_f64_e32 v[48:49], v[54:55], v[48:49]
	v_add_f64_e32 v[54:55], v[40:41], v[62:63]
	v_fma_f64 v[50:51], v[40:41], v[50:51], -v[62:63]
	s_delay_alu instid0(VALU_DEP_3) | instskip(NEXT) | instid1(VALU_DEP_3)
	v_add_f64_e32 v[48:49], v[56:57], v[48:49]
	v_add_f64_e64 v[40:41], v[54:55], -v[40:41]
	s_delay_alu instid0(VALU_DEP_3) | instskip(NEXT) | instid1(VALU_DEP_3)
	v_add_f64_e32 v[42:43], v[42:43], v[50:51]
	v_add_f64_e32 v[56:57], v[60:61], v[48:49]
	s_delay_alu instid0(VALU_DEP_3) | instskip(NEXT) | instid1(VALU_DEP_2)
	v_add_f64_e64 v[40:41], v[62:63], -v[40:41]
	v_ldexp_f64 v[50:51], v[56:57], -2
	v_add_f64_e64 v[56:57], v[56:57], -v[60:61]
	s_delay_alu instid0(VALU_DEP_3) | instskip(NEXT) | instid1(VALU_DEP_3)
	v_add_f64_e32 v[40:41], v[42:43], v[40:41]
	v_add_f64_e64 v[42:43], v[52:53], -v[50:51]
	s_delay_alu instid0(VALU_DEP_3) | instskip(NEXT) | instid1(VALU_DEP_3)
	v_add_f64_e64 v[48:49], v[48:49], -v[56:57]
	v_add_f64_e32 v[58:59], v[54:55], v[40:41]
	s_delay_alu instid0(VALU_DEP_3) | instskip(NEXT) | instid1(VALU_DEP_3)
	v_add_f64_e64 v[52:53], v[52:53], -v[42:43]
	v_ldexp_f64 v[48:49], v[48:49], -2
	s_delay_alu instid0(VALU_DEP_3) | instskip(NEXT) | instid1(VALU_DEP_2)
	v_rcp_f64_e32 v[60:61], v[58:59]
	v_add_f64_e64 v[50:51], v[52:53], -v[50:51]
	s_delay_alu instid0(TRANS32_DEP_1) | instskip(NEXT) | instid1(VALU_DEP_2)
	v_fma_f64 v[52:53], -v[58:59], v[60:61], 1.0
	v_add_f64_e32 v[46:47], v[46:47], v[50:51]
	s_delay_alu instid0(VALU_DEP_2) | instskip(NEXT) | instid1(VALU_DEP_2)
	v_fmac_f64_e32 v[60:61], v[52:53], v[60:61]
	v_add_f64_e64 v[46:47], v[46:47], -v[48:49]
	s_delay_alu instid0(VALU_DEP_2) | instskip(NEXT) | instid1(VALU_DEP_2)
	v_fma_f64 v[48:49], -v[58:59], v[60:61], 1.0
	v_add_f64_e32 v[42:43], v[42:43], v[46:47]
	s_delay_alu instid0(VALU_DEP_2) | instskip(NEXT) | instid1(VALU_DEP_2)
	v_fmac_f64_e32 v[60:61], v[48:49], v[60:61]
	v_cndmask_b32_e32 v16, 0x7ff00000, v43, vcc_lo
	s_delay_alu instid0(VALU_DEP_3) | instskip(SKIP_3) | instid1(VALU_DEP_3)
	v_cndmask_b32_e32 v23, 0, v42, vcc_lo
	v_cmp_gt_f64_e64 vcc_lo, 0x3e400000, |v[14:15]|
	v_add_f64_e64 v[42:43], v[58:59], -v[54:55]
	v_mul_f64_e32 v[46:47], v[58:59], v[60:61]
	v_dual_cndmask_b32 v16, v16, v44, vcc_lo :: v_dual_cndmask_b32 v14, v23, v14, vcc_lo
	s_delay_alu instid0(VALU_DEP_3) | instskip(NEXT) | instid1(VALU_DEP_2)
	v_add_f64_e64 v[40:41], v[40:41], -v[42:43]
	v_bfi_b32 v15, 0x7fffffff, v16, v15
	s_delay_alu instid0(VALU_DEP_4) | instskip(NEXT) | instid1(VALU_DEP_2)
	v_fma_f64 v[42:43], v[60:61], v[58:59], -v[46:47]
	v_fma_f64 v[48:49], v[14:15], v[14:15], 1.0
	s_delay_alu instid0(VALU_DEP_2) | instskip(NEXT) | instid1(VALU_DEP_2)
	v_fmac_f64_e32 v[42:43], v[60:61], v[40:41]
	v_cmp_gt_f64_e32 vcc_lo, 0x10000000, v[48:49]
	v_cndmask_b32_e64 v16, 0, 0x100, vcc_lo
	s_delay_alu instid0(VALU_DEP_1) | instskip(NEXT) | instid1(VALU_DEP_4)
	v_ldexp_f64 v[40:41], v[48:49], v16
	v_dual_add_f64 v[48:49], v[46:47], v[42:43] :: v_dual_bitop2_b32 v16, 1, v45 bitop3:0x40
	s_delay_alu instid0(VALU_DEP_1) | instskip(NEXT) | instid1(VALU_DEP_3)
	v_cmp_eq_u32_e64 s4, 0, v16
	v_rsq_f64_e32 v[50:51], v[40:41]
	s_delay_alu instid0(VALU_DEP_2) | instskip(SKIP_1) | instid1(VALU_DEP_2)
	v_add_f64_e64 v[52:53], -v[48:49], 1.0
	v_add_f64_e64 v[46:47], v[48:49], -v[46:47]
	v_add_f64_e64 v[56:57], -v[52:53], 1.0
	s_delay_alu instid0(VALU_DEP_2) | instskip(NEXT) | instid1(TRANS32_DEP_1)
	v_add_f64_e64 v[42:43], v[46:47], -v[42:43]
	v_mul_f64_e32 v[54:55], v[40:41], v[50:51]
	v_mul_f64_e32 v[50:51], 0.5, v[50:51]
	s_delay_alu instid0(VALU_DEP_4) | instskip(NEXT) | instid1(VALU_DEP_2)
	v_add_f64_e64 v[46:47], v[56:57], -v[48:49]
	v_fma_f64 v[62:63], -v[50:51], v[54:55], 0.5
	s_delay_alu instid0(VALU_DEP_2) | instskip(NEXT) | instid1(VALU_DEP_2)
	v_add_f64_e32 v[42:43], v[42:43], v[46:47]
	v_fmac_f64_e32 v[54:55], v[54:55], v[62:63]
	v_fmac_f64_e32 v[50:51], v[50:51], v[62:63]
	s_delay_alu instid0(VALU_DEP_3) | instskip(NEXT) | instid1(VALU_DEP_3)
	v_add_f64_e32 v[42:43], v[52:53], v[42:43]
	v_fma_f64 v[46:47], -v[54:55], v[54:55], v[40:41]
	s_delay_alu instid0(VALU_DEP_2) | instskip(NEXT) | instid1(VALU_DEP_2)
	v_mul_f64_e32 v[42:43], v[60:61], v[42:43]
	v_fmac_f64_e32 v[54:55], v[46:47], v[50:51]
	s_delay_alu instid0(VALU_DEP_2) | instskip(NEXT) | instid1(VALU_DEP_2)
	v_add_f64_e32 v[42:43], v[60:61], v[42:43]
	v_fma_f64 v[46:47], -v[54:55], v[54:55], v[40:41]
	s_delay_alu instid0(VALU_DEP_2) | instskip(NEXT) | instid1(VALU_DEP_3)
	v_xor_b32_e32 v23, 0x80000000, v43
	v_cndmask_b32_e64 v16, v42, v58, s4
	v_cndmask_b32_e64 v42, 0, 0xffffff80, vcc_lo
	v_cmp_class_f64_e64 vcc_lo, v[40:41], 0x260
	s_delay_alu instid0(VALU_DEP_4) | instskip(SKIP_1) | instid1(VALU_DEP_2)
	v_cndmask_b32_e64 v23, v23, v59, s4
	v_fmac_f64_e32 v[54:55], v[46:47], v[50:51]
	v_bitop3_b32 v17, v23, v17, 0x80000000 bitop3:0x78
	s_delay_alu instid0(VALU_DEP_1) | instskip(NEXT) | instid1(VALU_DEP_3)
	v_fma_f64 v[44:45], v[16:17], v[16:17], 1.0
	v_ldexp_f64 v[42:43], v[54:55], v42
	s_delay_alu instid0(VALU_DEP_1) | instskip(NEXT) | instid1(VALU_DEP_3)
	v_dual_cndmask_b32 v41, v43, v41 :: v_dual_cndmask_b32 v40, v42, v40
	v_mul_f64_e32 v[42:43], v[14:15], v[44:45]
	s_delay_alu instid0(VALU_DEP_2) | instskip(NEXT) | instid1(VALU_DEP_2)
	v_mul_f64_e32 v[40:41], v[40:41], v[44:45]
	v_fma_f64 v[42:43], v[14:15], v[42:43], 1.0
	s_delay_alu instid0(VALU_DEP_2) | instskip(NEXT) | instid1(VALU_DEP_2)
	v_mul_f64_e32 v[14:15], v[14:15], v[40:41]
	v_div_scale_f64 v[44:45], null, v[42:43], v[42:43], v[16:17]
	s_delay_alu instid0(VALU_DEP_2) | instskip(SKIP_1) | instid1(VALU_DEP_3)
	v_div_scale_f64 v[40:41], null, v[42:43], v[42:43], v[14:15]
	v_div_scale_f64 v[54:55], vcc_lo, v[14:15], v[42:43], v[14:15]
	v_rcp_f64_e32 v[48:49], v[44:45]
	s_delay_alu instid0(VALU_DEP_2) | instskip(NEXT) | instid1(TRANS32_DEP_2)
	v_rcp_f64_e32 v[46:47], v[40:41]
	v_fma_f64 v[52:53], -v[44:45], v[48:49], 1.0
	s_delay_alu instid0(TRANS32_DEP_1) | instskip(NEXT) | instid1(VALU_DEP_2)
	v_fma_f64 v[50:51], -v[40:41], v[46:47], 1.0
	v_fmac_f64_e32 v[48:49], v[48:49], v[52:53]
	s_delay_alu instid0(VALU_DEP_2) | instskip(NEXT) | instid1(VALU_DEP_2)
	v_fmac_f64_e32 v[46:47], v[46:47], v[50:51]
	v_fma_f64 v[52:53], -v[44:45], v[48:49], 1.0
	s_delay_alu instid0(VALU_DEP_2) | instskip(NEXT) | instid1(VALU_DEP_2)
	v_fma_f64 v[50:51], -v[40:41], v[46:47], 1.0
	v_fmac_f64_e32 v[48:49], v[48:49], v[52:53]
	s_delay_alu instid0(VALU_DEP_2) | instskip(SKIP_1) | instid1(VALU_DEP_2)
	v_fmac_f64_e32 v[46:47], v[46:47], v[50:51]
	v_div_scale_f64 v[50:51], s4, v[16:17], v[42:43], v[16:17]
	v_mul_f64_e32 v[52:53], v[54:55], v[46:47]
	s_delay_alu instid0(VALU_DEP_2) | instskip(NEXT) | instid1(VALU_DEP_2)
	v_mul_f64_e32 v[56:57], v[50:51], v[48:49]
	v_fma_f64 v[40:41], -v[40:41], v[52:53], v[54:55]
	s_delay_alu instid0(VALU_DEP_2) | instskip(NEXT) | instid1(VALU_DEP_2)
	v_fma_f64 v[44:45], -v[44:45], v[56:57], v[50:51]
	v_div_fmas_f64 v[40:41], v[40:41], v[46:47], v[52:53]
	s_mov_b32 vcc_lo, s4
	s_delay_alu instid0(VALU_DEP_2) | instskip(NEXT) | instid1(VALU_DEP_2)
	v_div_fmas_f64 v[44:45], v[44:45], v[48:49], v[56:57]
	v_div_fixup_f64 v[14:15], v[40:41], v[42:43], v[14:15]
	s_delay_alu instid0(VALU_DEP_2)
	v_div_fixup_f64 v[16:17], v[44:45], v[42:43], v[16:17]
.LBB155_253:                            ;   in Loop: Header=BB155_161 Depth=1
	s_and_not1_saveexec_b32 s4, s35
	s_cbranch_execz .LBB155_263
; %bb.254:                              ;   in Loop: Header=BB155_161 Depth=1
	s_delay_alu instid0(VALU_DEP_1) | instskip(SKIP_1) | instid1(SALU_CYCLE_1)
	v_cmp_ngt_f64_e64 s35, 0x41d00000, |v[16:17]|
                                        ; implicit-def: $vgpr48
                                        ; implicit-def: $vgpr40_vgpr41
                                        ; implicit-def: $vgpr42_vgpr43
	s_and_saveexec_b32 s36, s35
	s_xor_b32 s36, exec_lo, s36
	s_cbranch_execz .LBB155_256
; %bb.255:                              ;   in Loop: Header=BB155_161 Depth=1
	v_ldexp_f64 v[40:41], |v[16:17]|, 0xffffff80
	v_cmp_le_f64_e64 vcc_lo, 0x7b000000, |v[16:17]|
	v_trig_preop_f64 v[42:43], |v[16:17]|, 0
	v_and_b32_e32 v23, 0x7fffffff, v17
	v_trig_preop_f64 v[44:45], |v[16:17]|, 1
	v_trig_preop_f64 v[54:55], |v[16:17]|, 2
	s_delay_alu instid0(VALU_DEP_3) | instskip(NEXT) | instid1(VALU_DEP_1)
	v_dual_cndmask_b32 v41, v23, v41 :: v_dual_cndmask_b32 v40, v16, v40
	v_mul_f64_e32 v[46:47], v[42:43], v[40:41]
	s_delay_alu instid0(VALU_DEP_4) | instskip(NEXT) | instid1(VALU_DEP_4)
	v_mul_f64_e32 v[48:49], v[44:45], v[40:41]
	v_mul_f64_e32 v[60:61], v[54:55], v[40:41]
	s_delay_alu instid0(VALU_DEP_3) | instskip(NEXT) | instid1(VALU_DEP_3)
	v_fma_f64 v[42:43], v[42:43], v[40:41], -v[46:47]
	v_fma_f64 v[44:45], v[44:45], v[40:41], -v[48:49]
	s_delay_alu instid0(VALU_DEP_3) | instskip(NEXT) | instid1(VALU_DEP_3)
	v_fma_f64 v[40:41], v[54:55], v[40:41], -v[60:61]
	v_add_f64_e32 v[50:51], v[48:49], v[42:43]
	s_delay_alu instid0(VALU_DEP_1) | instskip(SKIP_1) | instid1(VALU_DEP_2)
	v_add_f64_e64 v[52:53], v[50:51], -v[48:49]
	v_add_f64_e32 v[58:59], v[46:47], v[50:51]
	v_add_f64_e64 v[56:57], v[50:51], -v[52:53]
	v_add_f64_e64 v[42:43], v[42:43], -v[52:53]
	s_delay_alu instid0(VALU_DEP_3) | instskip(NEXT) | instid1(VALU_DEP_3)
	v_ldexp_f64 v[52:53], v[58:59], -2
	v_add_f64_e64 v[48:49], v[48:49], -v[56:57]
	v_add_f64_e32 v[56:57], v[60:61], v[44:45]
	s_delay_alu instid0(VALU_DEP_3) | instskip(NEXT) | instid1(VALU_DEP_3)
	v_cmp_neq_f64_e64 vcc_lo, 0x7ff00000, |v[52:53]|
	v_add_f64_e32 v[42:43], v[42:43], v[48:49]
	v_fract_f64_e32 v[48:49], v[52:53]
	s_delay_alu instid0(VALU_DEP_1) | instskip(NEXT) | instid1(VALU_DEP_1)
	v_ldexp_f64 v[48:49], v[48:49], 2
	v_dual_add_f64 v[46:47], v[58:59], -v[46:47] :: v_dual_cndmask_b32 v48, 0, v48, vcc_lo
	s_delay_alu instid0(VALU_DEP_1) | instskip(SKIP_1) | instid1(VALU_DEP_1)
	v_dual_add_f64 v[46:47], v[50:51], -v[46:47] :: v_dual_cndmask_b32 v49, 0, v49, vcc_lo
	v_add_f64_e32 v[50:51], v[56:57], v[42:43]
	v_add_f64_e32 v[52:53], v[46:47], v[50:51]
	v_add_f64_e64 v[62:63], v[50:51], -v[56:57]
	s_delay_alu instid0(VALU_DEP_2) | instskip(NEXT) | instid1(VALU_DEP_2)
	v_add_f64_e32 v[58:59], v[52:53], v[48:49]
	v_add_f64_e64 v[68:69], v[50:51], -v[62:63]
	v_add_f64_e64 v[42:43], v[42:43], -v[62:63]
	;; [unrolled: 1-line block ×3, first 2 shown]
	s_delay_alu instid0(VALU_DEP_4) | instskip(SKIP_1) | instid1(VALU_DEP_3)
	v_cmp_gt_f64_e32 vcc_lo, 0, v[58:59]
	v_add_f64_e64 v[58:59], v[56:57], -v[60:61]
	v_add_f64_e64 v[46:47], v[50:51], -v[46:47]
	v_cndmask_b32_e64 v23, 0, 0x40100000, vcc_lo
	s_delay_alu instid0(VALU_DEP_3) | instskip(SKIP_2) | instid1(VALU_DEP_4)
	v_add_f64_e64 v[66:67], v[56:57], -v[58:59]
	v_add_f64_e64 v[44:45], v[44:45], -v[58:59]
	;; [unrolled: 1-line block ×3, first 2 shown]
	v_add_f64_e32 v[48:49], v[48:49], v[22:23]
	s_delay_alu instid0(VALU_DEP_4) | instskip(NEXT) | instid1(VALU_DEP_3)
	v_add_f64_e64 v[58:59], v[60:61], -v[66:67]
	v_add_f64_e32 v[42:43], v[42:43], v[56:57]
	s_delay_alu instid0(VALU_DEP_3) | instskip(NEXT) | instid1(VALU_DEP_3)
	v_add_f64_e32 v[64:65], v[52:53], v[48:49]
	v_add_f64_e32 v[44:45], v[44:45], v[58:59]
	s_delay_alu instid0(VALU_DEP_2) | instskip(NEXT) | instid1(VALU_DEP_2)
	v_cvt_i32_f64_e32 v23, v[64:65]
	v_add_f64_e32 v[42:43], v[44:45], v[42:43]
	s_delay_alu instid0(VALU_DEP_2) | instskip(NEXT) | instid1(VALU_DEP_2)
	v_cvt_f64_i32_e32 v[62:63], v23
	v_add_f64_e32 v[40:41], v[40:41], v[42:43]
	s_delay_alu instid0(VALU_DEP_2) | instskip(NEXT) | instid1(VALU_DEP_2)
	v_add_f64_e64 v[48:49], v[48:49], -v[62:63]
	v_add_f64_e32 v[40:41], v[46:47], v[40:41]
	s_delay_alu instid0(VALU_DEP_2) | instskip(NEXT) | instid1(VALU_DEP_1)
	v_add_f64_e32 v[44:45], v[52:53], v[48:49]
	v_add_f64_e64 v[42:43], v[44:45], -v[48:49]
	v_cmp_le_f64_e32 vcc_lo, 0.5, v[44:45]
	s_delay_alu instid0(VALU_DEP_2) | instskip(SKIP_2) | instid1(VALU_DEP_3)
	v_add_f64_e64 v[42:43], v[52:53], -v[42:43]
	v_add_co_ci_u32_e64 v48, null, 0, v23, vcc_lo
	v_cndmask_b32_e64 v23, 0, 0x3ff00000, vcc_lo
	v_add_f64_e32 v[40:41], v[40:41], v[42:43]
	s_delay_alu instid0(VALU_DEP_2) | instskip(NEXT) | instid1(VALU_DEP_1)
	v_add_f64_e64 v[42:43], v[44:45], -v[22:23]
	v_add_f64_e32 v[44:45], v[42:43], v[40:41]
	s_delay_alu instid0(VALU_DEP_1) | instskip(SKIP_1) | instid1(VALU_DEP_2)
	v_mul_f64_e32 v[46:47], 0x3ff921fb54442d18, v[44:45]
	v_add_f64_e64 v[42:43], v[44:45], -v[42:43]
	v_fma_f64 v[50:51], v[44:45], s[12:13], -v[46:47]
	s_delay_alu instid0(VALU_DEP_2) | instskip(NEXT) | instid1(VALU_DEP_2)
	v_add_f64_e64 v[40:41], v[40:41], -v[42:43]
	v_fmac_f64_e32 v[50:51], 0x3c91a62633145c07, v[44:45]
	s_delay_alu instid0(VALU_DEP_1) | instskip(NEXT) | instid1(VALU_DEP_1)
	v_fmac_f64_e32 v[50:51], 0x3ff921fb54442d18, v[40:41]
	v_add_f64_e32 v[40:41], v[46:47], v[50:51]
	s_delay_alu instid0(VALU_DEP_1) | instskip(NEXT) | instid1(VALU_DEP_1)
	v_add_f64_e64 v[42:43], v[40:41], -v[46:47]
	v_add_f64_e64 v[42:43], v[50:51], -v[42:43]
	s_and_not1_saveexec_b32 s36, s36
	s_cbranch_execz .LBB155_258
	s_branch .LBB155_257
.LBB155_256:                            ;   in Loop: Header=BB155_161 Depth=1
	s_and_not1_saveexec_b32 s36, s36
	s_cbranch_execz .LBB155_258
.LBB155_257:                            ;   in Loop: Header=BB155_161 Depth=1
	v_mul_f64_e64 v[40:41], |v[16:17]|, s[14:15]
	s_delay_alu instid0(VALU_DEP_1) | instskip(NEXT) | instid1(VALU_DEP_1)
	v_rndne_f64_e32 v[44:45], v[40:41]
	v_fma_f64 v[40:41], v[44:45], s[16:17], |v[16:17]|
	v_mul_f64_e32 v[42:43], 0xbc91a62633145c00, v[44:45]
	s_delay_alu instid0(VALU_DEP_2) | instskip(NEXT) | instid1(VALU_DEP_2)
	v_fmamk_f64 v[50:51], v[44:45], 0xbc91a62633145c00, v[40:41]
	v_add_f64_e32 v[46:47], v[40:41], v[42:43]
	s_delay_alu instid0(VALU_DEP_1) | instskip(NEXT) | instid1(VALU_DEP_3)
	v_add_f64_e64 v[48:49], v[40:41], -v[46:47]
	v_add_f64_e64 v[40:41], v[46:47], -v[50:51]
	s_delay_alu instid0(VALU_DEP_2) | instskip(SKIP_2) | instid1(VALU_DEP_3)
	v_add_f64_e32 v[46:47], v[48:49], v[42:43]
	v_fmamk_f64 v[42:43], v[44:45], 0x3c91a62633145c00, v[42:43]
	v_cvt_i32_f64_e32 v48, v[44:45]
	v_add_f64_e32 v[40:41], v[40:41], v[46:47]
	s_delay_alu instid0(VALU_DEP_1) | instskip(NEXT) | instid1(VALU_DEP_1)
	v_add_f64_e64 v[42:43], v[40:41], -v[42:43]
	v_fmac_f64_e32 v[42:43], 0xb97b839a252049c0, v[44:45]
	s_delay_alu instid0(VALU_DEP_1) | instskip(NEXT) | instid1(VALU_DEP_1)
	v_add_f64_e32 v[40:41], v[50:51], v[42:43]
	v_add_f64_e64 v[46:47], v[40:41], -v[50:51]
	s_delay_alu instid0(VALU_DEP_1)
	v_add_f64_e64 v[42:43], v[42:43], -v[46:47]
.LBB155_258:                            ;   in Loop: Header=BB155_161 Depth=1
	s_or_b32 exec_lo, exec_lo, s36
                                        ; implicit-def: $vgpr49
                                        ; implicit-def: $vgpr44_vgpr45
                                        ; implicit-def: $vgpr46_vgpr47
	s_and_saveexec_b32 s36, s35
	s_delay_alu instid0(SALU_CYCLE_1)
	s_xor_b32 s35, exec_lo, s36
	s_cbranch_execz .LBB155_260
; %bb.259:                              ;   in Loop: Header=BB155_161 Depth=1
	v_ldexp_f64 v[44:45], |v[16:17]|, 0xffffff80
	v_cmp_le_f64_e64 vcc_lo, 0x7b000000, |v[16:17]|
	v_trig_preop_f64 v[46:47], |v[16:17]|, 0
	v_and_b32_e32 v23, 0x7fffffff, v17
	v_trig_preop_f64 v[50:51], |v[16:17]|, 1
	v_trig_preop_f64 v[60:61], |v[16:17]|, 2
	s_delay_alu instid0(VALU_DEP_3) | instskip(NEXT) | instid1(VALU_DEP_1)
	v_dual_cndmask_b32 v45, v23, v45 :: v_dual_cndmask_b32 v44, v16, v44
	v_mul_f64_e32 v[52:53], v[46:47], v[44:45]
	s_delay_alu instid0(VALU_DEP_4) | instskip(NEXT) | instid1(VALU_DEP_4)
	v_mul_f64_e32 v[54:55], v[50:51], v[44:45]
	v_mul_f64_e32 v[66:67], v[60:61], v[44:45]
	s_delay_alu instid0(VALU_DEP_3) | instskip(NEXT) | instid1(VALU_DEP_3)
	v_fma_f64 v[46:47], v[46:47], v[44:45], -v[52:53]
	v_fma_f64 v[50:51], v[50:51], v[44:45], -v[54:55]
	s_delay_alu instid0(VALU_DEP_3) | instskip(NEXT) | instid1(VALU_DEP_3)
	v_fma_f64 v[44:45], v[60:61], v[44:45], -v[66:67]
	v_add_f64_e32 v[56:57], v[54:55], v[46:47]
	s_delay_alu instid0(VALU_DEP_1) | instskip(SKIP_1) | instid1(VALU_DEP_2)
	v_add_f64_e64 v[58:59], v[56:57], -v[54:55]
	v_add_f64_e32 v[64:65], v[52:53], v[56:57]
	v_add_f64_e64 v[62:63], v[56:57], -v[58:59]
	v_add_f64_e64 v[46:47], v[46:47], -v[58:59]
	s_delay_alu instid0(VALU_DEP_3) | instskip(NEXT) | instid1(VALU_DEP_3)
	v_ldexp_f64 v[58:59], v[64:65], -2
	v_add_f64_e64 v[54:55], v[54:55], -v[62:63]
	v_add_f64_e32 v[62:63], v[66:67], v[50:51]
	s_delay_alu instid0(VALU_DEP_3) | instskip(NEXT) | instid1(VALU_DEP_3)
	v_cmp_neq_f64_e64 vcc_lo, 0x7ff00000, |v[58:59]|
	v_add_f64_e32 v[46:47], v[46:47], v[54:55]
	v_fract_f64_e32 v[54:55], v[58:59]
	s_delay_alu instid0(VALU_DEP_1) | instskip(NEXT) | instid1(VALU_DEP_1)
	v_ldexp_f64 v[54:55], v[54:55], 2
	v_dual_add_f64 v[52:53], v[64:65], -v[52:53] :: v_dual_cndmask_b32 v55, 0, v55, vcc_lo
	s_delay_alu instid0(VALU_DEP_1) | instskip(SKIP_1) | instid1(VALU_DEP_1)
	v_dual_add_f64 v[52:53], v[56:57], -v[52:53] :: v_dual_cndmask_b32 v54, 0, v54, vcc_lo
	v_add_f64_e32 v[56:57], v[62:63], v[46:47]
	v_add_f64_e32 v[58:59], v[52:53], v[56:57]
	v_add_f64_e64 v[68:69], v[56:57], -v[62:63]
	s_delay_alu instid0(VALU_DEP_2) | instskip(NEXT) | instid1(VALU_DEP_2)
	v_add_f64_e32 v[64:65], v[58:59], v[54:55]
	v_add_f64_e64 v[74:75], v[56:57], -v[68:69]
	v_add_f64_e64 v[46:47], v[46:47], -v[68:69]
	;; [unrolled: 1-line block ×3, first 2 shown]
	s_delay_alu instid0(VALU_DEP_4) | instskip(SKIP_1) | instid1(VALU_DEP_3)
	v_cmp_gt_f64_e32 vcc_lo, 0, v[64:65]
	v_add_f64_e64 v[64:65], v[62:63], -v[66:67]
	v_add_f64_e64 v[52:53], v[56:57], -v[52:53]
	v_cndmask_b32_e64 v23, 0, 0x40100000, vcc_lo
	s_delay_alu instid0(VALU_DEP_3) | instskip(SKIP_2) | instid1(VALU_DEP_4)
	v_add_f64_e64 v[72:73], v[62:63], -v[64:65]
	v_add_f64_e64 v[50:51], v[50:51], -v[64:65]
	;; [unrolled: 1-line block ×3, first 2 shown]
	v_add_f64_e32 v[54:55], v[54:55], v[22:23]
	s_delay_alu instid0(VALU_DEP_4) | instskip(NEXT) | instid1(VALU_DEP_3)
	v_add_f64_e64 v[64:65], v[66:67], -v[72:73]
	v_add_f64_e32 v[46:47], v[46:47], v[62:63]
	s_delay_alu instid0(VALU_DEP_3) | instskip(NEXT) | instid1(VALU_DEP_3)
	v_add_f64_e32 v[70:71], v[58:59], v[54:55]
	v_add_f64_e32 v[50:51], v[50:51], v[64:65]
	s_delay_alu instid0(VALU_DEP_2) | instskip(NEXT) | instid1(VALU_DEP_2)
	v_cvt_i32_f64_e32 v23, v[70:71]
	v_add_f64_e32 v[46:47], v[50:51], v[46:47]
	s_delay_alu instid0(VALU_DEP_2) | instskip(NEXT) | instid1(VALU_DEP_2)
	v_cvt_f64_i32_e32 v[68:69], v23
	v_add_f64_e32 v[44:45], v[44:45], v[46:47]
	s_delay_alu instid0(VALU_DEP_2) | instskip(NEXT) | instid1(VALU_DEP_2)
	v_add_f64_e64 v[54:55], v[54:55], -v[68:69]
	v_add_f64_e32 v[44:45], v[52:53], v[44:45]
	s_delay_alu instid0(VALU_DEP_2) | instskip(NEXT) | instid1(VALU_DEP_1)
	v_add_f64_e32 v[50:51], v[58:59], v[54:55]
	v_add_f64_e64 v[46:47], v[50:51], -v[54:55]
	v_cmp_le_f64_e32 vcc_lo, 0.5, v[50:51]
	s_delay_alu instid0(VALU_DEP_2) | instskip(SKIP_2) | instid1(VALU_DEP_3)
	v_add_f64_e64 v[46:47], v[58:59], -v[46:47]
	v_add_co_ci_u32_e64 v49, null, 0, v23, vcc_lo
	v_cndmask_b32_e64 v23, 0, 0x3ff00000, vcc_lo
	v_add_f64_e32 v[44:45], v[44:45], v[46:47]
	s_delay_alu instid0(VALU_DEP_2) | instskip(NEXT) | instid1(VALU_DEP_1)
	v_add_f64_e64 v[46:47], v[50:51], -v[22:23]
	v_add_f64_e32 v[50:51], v[46:47], v[44:45]
	s_delay_alu instid0(VALU_DEP_1) | instskip(SKIP_1) | instid1(VALU_DEP_2)
	v_mul_f64_e32 v[52:53], 0x3ff921fb54442d18, v[50:51]
	v_add_f64_e64 v[46:47], v[50:51], -v[46:47]
	v_fma_f64 v[54:55], v[50:51], s[12:13], -v[52:53]
	s_delay_alu instid0(VALU_DEP_2) | instskip(NEXT) | instid1(VALU_DEP_2)
	v_add_f64_e64 v[44:45], v[44:45], -v[46:47]
	v_fmac_f64_e32 v[54:55], 0x3c91a62633145c07, v[50:51]
	s_delay_alu instid0(VALU_DEP_1) | instskip(NEXT) | instid1(VALU_DEP_1)
	v_fmac_f64_e32 v[54:55], 0x3ff921fb54442d18, v[44:45]
	v_add_f64_e32 v[44:45], v[52:53], v[54:55]
	s_delay_alu instid0(VALU_DEP_1) | instskip(NEXT) | instid1(VALU_DEP_1)
	v_add_f64_e64 v[46:47], v[44:45], -v[52:53]
	v_add_f64_e64 v[46:47], v[54:55], -v[46:47]
	s_and_not1_saveexec_b32 s35, s35
	s_cbranch_execnz .LBB155_261
	s_branch .LBB155_262
.LBB155_260:                            ;   in Loop: Header=BB155_161 Depth=1
	s_and_not1_saveexec_b32 s35, s35
	s_cbranch_execz .LBB155_262
.LBB155_261:                            ;   in Loop: Header=BB155_161 Depth=1
	v_mul_f64_e64 v[44:45], |v[16:17]|, s[14:15]
	s_delay_alu instid0(VALU_DEP_1) | instskip(NEXT) | instid1(VALU_DEP_1)
	v_rndne_f64_e32 v[50:51], v[44:45]
	v_fma_f64 v[44:45], v[50:51], s[16:17], |v[16:17]|
	v_mul_f64_e32 v[46:47], 0xbc91a62633145c00, v[50:51]
	v_cvt_i32_f64_e32 v49, v[50:51]
	s_delay_alu instid0(VALU_DEP_3) | instskip(NEXT) | instid1(VALU_DEP_3)
	v_fmamk_f64 v[56:57], v[50:51], 0xbc91a62633145c00, v[44:45]
	v_add_f64_e32 v[52:53], v[44:45], v[46:47]
	s_delay_alu instid0(VALU_DEP_1) | instskip(NEXT) | instid1(VALU_DEP_3)
	v_add_f64_e64 v[54:55], v[44:45], -v[52:53]
	v_add_f64_e64 v[44:45], v[52:53], -v[56:57]
	s_delay_alu instid0(VALU_DEP_2) | instskip(SKIP_1) | instid1(VALU_DEP_2)
	v_add_f64_e32 v[52:53], v[54:55], v[46:47]
	v_fmamk_f64 v[46:47], v[50:51], 0x3c91a62633145c00, v[46:47]
	v_add_f64_e32 v[44:45], v[44:45], v[52:53]
	s_delay_alu instid0(VALU_DEP_1) | instskip(NEXT) | instid1(VALU_DEP_1)
	v_add_f64_e64 v[46:47], v[44:45], -v[46:47]
	v_fmac_f64_e32 v[46:47], 0xb97b839a252049c0, v[50:51]
	s_delay_alu instid0(VALU_DEP_1) | instskip(NEXT) | instid1(VALU_DEP_1)
	v_add_f64_e32 v[44:45], v[56:57], v[46:47]
	v_add_f64_e64 v[52:53], v[44:45], -v[56:57]
	s_delay_alu instid0(VALU_DEP_1)
	v_add_f64_e64 v[46:47], v[46:47], -v[52:53]
.LBB155_262:                            ;   in Loop: Header=BB155_161 Depth=1
	s_or_b32 exec_lo, exec_lo, s35
	v_mul_f64_e32 v[50:51], v[40:41], v[40:41]
	s_delay_alu instid0(VALU_DEP_2) | instskip(SKIP_3) | instid1(VALU_DEP_4)
	v_dual_mul_f64 v[62:63], 0.5, v[42:43] :: v_dual_lshlrev_b32 v23, 30, v48
	v_mul_f64_e32 v[52:53], v[44:45], v[44:45]
	v_mul_f64_e64 v[56:57], |v[14:15]|, s[26:27]
	v_and_b32_e32 v16, 1, v48
	v_xor_b32_e32 v17, v23, v17
	s_delay_alu instid0(VALU_DEP_2)
	v_cmp_eq_u32_e32 vcc_lo, 0, v16
	v_mul_f64_e32 v[54:55], 0.5, v[50:51]
	v_mul_f64_e64 v[64:65], v[40:41], -v[50:51]
	v_fmamk_f64 v[70:71], v[50:51], 0x3de5e0b2f9a43bb8, v[30:31]
	v_mul_f64_e64 v[76:77], v[44:45], -v[52:53]
	v_fmamk_f64 v[78:79], v[52:53], 0x3de5e0b2f9a43bb8, v[30:31]
	v_rndne_f64_e32 v[56:57], v[56:57]
	s_delay_alu instid0(VALU_DEP_4) | instskip(NEXT) | instid1(VALU_DEP_1)
	v_fmaak_f64 v[70:71], v[50:51], v[70:71], 0x3ec71de3796cde01
	v_fmaak_f64 v[70:71], v[50:51], v[70:71], 0xbf2a01a019e83e5c
	s_delay_alu instid0(VALU_DEP_1) | instskip(SKIP_1) | instid1(VALU_DEP_2)
	v_fmaak_f64 v[70:71], v[50:51], v[70:71], 0x3f81111111110bb3
	v_add_f64_e64 v[60:61], -v[54:55], 1.0
	v_fmac_f64_e32 v[62:63], v[64:65], v[70:71]
	v_fma_f64 v[72:73], v[56:57], s[18:19], -|v[14:15]|
	v_cvt_i32_f64_e32 v23, v[56:57]
	s_delay_alu instid0(VALU_DEP_4) | instskip(NEXT) | instid1(VALU_DEP_4)
	v_add_f64_e64 v[68:69], -v[60:61], 1.0
	v_fma_f64 v[62:63], v[50:51], v[62:63], -v[42:43]
	s_delay_alu instid0(VALU_DEP_4) | instskip(NEXT) | instid1(VALU_DEP_3)
	v_fmac_f64_e32 v[72:73], 0xbc7abc9e3b39803f, v[56:57]
	v_add_f64_e64 v[54:55], v[68:69], -v[54:55]
	v_fmaak_f64 v[68:69], v[52:53], v[78:79], 0x3ec71de3796cde01
	v_fmamk_f64 v[78:79], v[50:51], 0xbda907db46cc5e42, v[28:29]
	v_fmac_f64_e32 v[62:63], 0xbfc5555555555555, v[64:65]
	s_delay_alu instid0(VALU_DEP_3) | instskip(NEXT) | instid1(VALU_DEP_1)
	v_fmaak_f64 v[68:69], v[52:53], v[68:69], 0xbf2a01a019e83e5c
	v_fmaak_f64 v[68:69], v[52:53], v[68:69], 0x3f81111111110bb3
	v_fma_f64 v[42:43], v[40:41], -v[42:43], v[54:55]
	v_fmaak_f64 v[54:55], v[50:51], v[78:79], 0xbe927e4fa17f65f6
	v_mul_f64_e32 v[78:79], v[52:53], v[52:53]
	v_add_f64_e64 v[40:41], v[40:41], -v[62:63]
	v_mul_f64_e32 v[74:75], 0.5, v[46:47]
	s_delay_alu instid0(VALU_DEP_4) | instskip(NEXT) | instid1(VALU_DEP_1)
	v_fmaak_f64 v[54:55], v[50:51], v[54:55], 0x3efa01a019f4ec90
	v_fmaak_f64 v[54:55], v[50:51], v[54:55], 0xbf56c16c16c16967
	s_delay_alu instid0(VALU_DEP_3) | instskip(SKIP_1) | instid1(VALU_DEP_3)
	v_fmac_f64_e32 v[74:75], v[76:77], v[68:69]
	v_mul_f64_e32 v[68:69], v[50:51], v[50:51]
	v_fmaak_f64 v[50:51], v[50:51], v[54:55], 0x3fa5555555555555
	s_delay_alu instid0(VALU_DEP_1) | instskip(NEXT) | instid1(VALU_DEP_1)
	v_fmac_f64_e32 v[42:43], v[68:69], v[50:51]
	v_add_f64_e32 v[42:43], v[60:61], v[42:43]
	s_delay_alu instid0(VALU_DEP_1) | instskip(NEXT) | instid1(VALU_DEP_1)
	v_dual_cndmask_b32 v16, v42, v40, vcc_lo :: v_dual_cndmask_b32 v42, v43, v41, vcc_lo
	v_bitop3_b32 v17, v42, v17, 0x80000000 bitop3:0x78
	v_and_b32_e32 v42, 1, v49
	s_delay_alu instid0(VALU_DEP_2) | instskip(NEXT) | instid1(VALU_DEP_2)
	v_mul_f64_e32 v[16:17], 4.0, v[16:17]
	v_cmp_eq_u32_e32 vcc_lo, 0, v42
	v_mul_f64_e32 v[58:59], 0.5, v[52:53]
	s_delay_alu instid0(VALU_DEP_1) | instskip(NEXT) | instid1(VALU_DEP_1)
	v_add_f64_e64 v[66:67], -v[58:59], 1.0
	v_add_f64_e64 v[70:71], -v[66:67], 1.0
	s_delay_alu instid0(VALU_DEP_1) | instskip(SKIP_1) | instid1(VALU_DEP_1)
	v_add_f64_e64 v[58:59], v[70:71], -v[58:59]
	v_fmamk_f64 v[70:71], v[72:73], 0x3e5ade156a5dcb37, v[26:27]
	v_fmaak_f64 v[70:71], v[72:73], v[70:71], 0x3ec71dee623fde64
	s_delay_alu instid0(VALU_DEP_1) | instskip(NEXT) | instid1(VALU_DEP_1)
	v_fmaak_f64 v[70:71], v[72:73], v[70:71], 0x3efa01997c89e6b0
	v_fmaak_f64 v[54:55], v[72:73], v[70:71], 0x3f2a01a014761f6e
	v_fma_f64 v[70:71], v[52:53], v[74:75], -v[46:47]
	v_fmamk_f64 v[74:75], v[52:53], 0xbda907db46cc5e42, v[28:29]
	s_delay_alu instid0(VALU_DEP_3) | instskip(NEXT) | instid1(VALU_DEP_2)
	v_fmaak_f64 v[50:51], v[72:73], v[54:55], 0x3f56c16c1852b7b0
	v_fmaak_f64 v[54:55], v[52:53], v[74:75], 0xbe927e4fa17f65f6
	v_fma_f64 v[46:47], v[44:45], -v[46:47], v[58:59]
	s_delay_alu instid0(VALU_DEP_3) | instskip(NEXT) | instid1(VALU_DEP_3)
	v_fmaak_f64 v[50:51], v[72:73], v[50:51], 0x3f81111111122322
	v_fmaak_f64 v[54:55], v[52:53], v[54:55], 0x3efa01a019f4ec90
	s_delay_alu instid0(VALU_DEP_2) | instskip(NEXT) | instid1(VALU_DEP_2)
	v_fmaak_f64 v[50:51], v[72:73], v[50:51], 0x3fa55555555502a1
	v_fmaak_f64 v[54:55], v[52:53], v[54:55], 0xbf56c16c16c16967
	s_delay_alu instid0(VALU_DEP_2) | instskip(NEXT) | instid1(VALU_DEP_2)
	v_fmaak_f64 v[50:51], v[72:73], v[50:51], 0x3fc5555555555511
	v_fmaak_f64 v[52:53], v[52:53], v[54:55], 0x3fa5555555555555
	v_fmac_f64_e32 v[70:71], 0xbfc5555555555555, v[76:77]
	s_delay_alu instid0(VALU_DEP_3) | instskip(NEXT) | instid1(VALU_DEP_1)
	v_fmaak_f64 v[50:51], v[72:73], v[50:51], 0x3fe000000000000b
	v_fma_f64 v[50:51], v[72:73], v[50:51], 1.0
	s_delay_alu instid0(VALU_DEP_4) | instskip(NEXT) | instid1(VALU_DEP_4)
	v_fmac_f64_e32 v[46:47], v[78:79], v[52:53]
	v_add_f64_e64 v[44:45], v[44:45], -v[70:71]
	s_delay_alu instid0(VALU_DEP_3) | instskip(NEXT) | instid1(VALU_DEP_3)
	v_fma_f64 v[40:41], v[72:73], v[50:51], 1.0
	v_add_f64_e32 v[46:47], v[66:67], v[46:47]
	s_delay_alu instid0(VALU_DEP_3) | instskip(NEXT) | instid1(VALU_DEP_3)
	v_xor_b32_e32 v43, 0x80000000, v45
	v_ldexp_f64 v[40:41], v[40:41], v23
	s_delay_alu instid0(VALU_DEP_2) | instskip(SKIP_3) | instid1(VALU_DEP_3)
	v_dual_cndmask_b32 v42, v44, v46 :: v_dual_cndmask_b32 v43, v43, v47
	v_lshlrev_b32_e32 v44, 30, v49
	v_cmp_nlt_f64_e64 vcc_lo, 0x4090cc00, |v[14:15]|
	v_bfi_b32 v23, 0x7fffffff, s33, v15
	v_bitop3_b32 v43, v43, v44, 0x80000000 bitop3:0x78
	s_delay_alu instid0(VALU_DEP_2) | instskip(NEXT) | instid1(VALU_DEP_2)
	v_mov_b64_e32 v[14:15], v[22:23]
	v_dual_mul_f64 v[16:17], v[16:17], v[42:43] :: v_dual_cndmask_b32 v41, 0, v41, vcc_lo
	v_cndmask_b32_e32 v40, 0, v40, vcc_lo
	s_delay_alu instid0(VALU_DEP_1) | instskip(NEXT) | instid1(VALU_DEP_1)
	v_mul_f64_e32 v[16:17], v[40:41], v[16:17]
	v_mul_f64_e32 v[16:17], v[40:41], v[16:17]
.LBB155_263:                            ;   in Loop: Header=BB155_161 Depth=1
	s_or_b32 exec_lo, exec_lo, s4
.LBB155_264:                            ;   in Loop: Header=BB155_161 Depth=1
	s_and_not1_saveexec_b32 s4, s34
	s_cbranch_execz .LBB155_266
; %bb.265:                              ;   in Loop: Header=BB155_161 Depth=1
	s_delay_alu instid0(VALU_DEP_1) | instskip(NEXT) | instid1(VALU_DEP_1)
	v_add_f64_e64 v[16:17], v[16:17], -v[16:17]
	v_mov_b64_e32 v[14:15], v[16:17]
.LBB155_266:                            ;   in Loop: Header=BB155_161 Depth=1
	s_or_b32 exec_lo, exec_lo, s4
.LBB155_267:                            ;   in Loop: Header=BB155_161 Depth=1
	s_and_not1_saveexec_b32 s34, s5
	s_cbranch_execz .LBB155_283
; %bb.268:                              ;   in Loop: Header=BB155_161 Depth=1
	s_delay_alu instid0(VALU_DEP_1) | instskip(SKIP_1) | instid1(VALU_DEP_1)
	v_and_or_b32 v23, 0xfffff, v15, v14
	s_mov_b32 s4, exec_lo
	v_cmpx_ne_u32_e32 0, v23
	s_xor_b32 s4, exec_lo, s4
	s_cbranch_execz .LBB155_270
; %bb.269:                              ;   in Loop: Header=BB155_161 Depth=1
	s_delay_alu instid0(VALU_DEP_3) | instskip(SKIP_1) | instid1(VALU_DEP_2)
	v_mul_f64_e32 v[40:41], v[16:17], v[14:15]
	v_cmp_eq_f64_e32 vcc_lo, 0, v[16:17]
	v_dual_cndmask_b32 v17, v41, v17 :: v_dual_cndmask_b32 v16, v40, v16
.LBB155_270:                            ;   in Loop: Header=BB155_161 Depth=1
	s_and_not1_saveexec_b32 s35, s4
	s_cbranch_execz .LBB155_282
; %bb.271:                              ;   in Loop: Header=BB155_161 Depth=1
	s_mov_b32 s36, exec_lo
	s_delay_alu instid0(VALU_DEP_1)
	v_cmpx_neq_f64_e64 0x7ff00000, |v[16:17]|
	s_cbranch_execz .LBB155_281
; %bb.272:                              ;   in Loop: Header=BB155_161 Depth=1
	v_cmp_ngt_f64_e64 s4, 0x41d00000, |v[16:17]|
                                        ; implicit-def: $vgpr48
                                        ; implicit-def: $vgpr40_vgpr41
                                        ; implicit-def: $vgpr42_vgpr43
	s_and_saveexec_b32 s5, s4
	s_delay_alu instid0(SALU_CYCLE_1)
	s_xor_b32 s5, exec_lo, s5
	s_cbranch_execz .LBB155_274
; %bb.273:                              ;   in Loop: Header=BB155_161 Depth=1
	v_ldexp_f64 v[40:41], |v[16:17]|, 0xffffff80
	v_cmp_le_f64_e64 vcc_lo, 0x7b000000, |v[16:17]|
	v_trig_preop_f64 v[42:43], |v[16:17]|, 0
	v_and_b32_e32 v23, 0x7fffffff, v17
	v_trig_preop_f64 v[44:45], |v[16:17]|, 1
	v_trig_preop_f64 v[54:55], |v[16:17]|, 2
	s_delay_alu instid0(VALU_DEP_3) | instskip(NEXT) | instid1(VALU_DEP_1)
	v_dual_cndmask_b32 v41, v23, v41 :: v_dual_cndmask_b32 v40, v16, v40
	v_mul_f64_e32 v[46:47], v[42:43], v[40:41]
	s_delay_alu instid0(VALU_DEP_4) | instskip(NEXT) | instid1(VALU_DEP_4)
	v_mul_f64_e32 v[48:49], v[44:45], v[40:41]
	v_mul_f64_e32 v[60:61], v[54:55], v[40:41]
	s_delay_alu instid0(VALU_DEP_3) | instskip(NEXT) | instid1(VALU_DEP_3)
	v_fma_f64 v[42:43], v[42:43], v[40:41], -v[46:47]
	v_fma_f64 v[44:45], v[44:45], v[40:41], -v[48:49]
	s_delay_alu instid0(VALU_DEP_3) | instskip(NEXT) | instid1(VALU_DEP_3)
	v_fma_f64 v[40:41], v[54:55], v[40:41], -v[60:61]
	v_add_f64_e32 v[50:51], v[48:49], v[42:43]
	s_delay_alu instid0(VALU_DEP_1) | instskip(SKIP_1) | instid1(VALU_DEP_2)
	v_add_f64_e64 v[52:53], v[50:51], -v[48:49]
	v_add_f64_e32 v[58:59], v[46:47], v[50:51]
	v_add_f64_e64 v[56:57], v[50:51], -v[52:53]
	v_add_f64_e64 v[42:43], v[42:43], -v[52:53]
	s_delay_alu instid0(VALU_DEP_3) | instskip(NEXT) | instid1(VALU_DEP_3)
	v_ldexp_f64 v[52:53], v[58:59], -2
	v_add_f64_e64 v[48:49], v[48:49], -v[56:57]
	v_add_f64_e32 v[56:57], v[60:61], v[44:45]
	s_delay_alu instid0(VALU_DEP_3) | instskip(NEXT) | instid1(VALU_DEP_3)
	v_cmp_neq_f64_e64 vcc_lo, 0x7ff00000, |v[52:53]|
	v_add_f64_e32 v[42:43], v[42:43], v[48:49]
	v_fract_f64_e32 v[48:49], v[52:53]
	s_delay_alu instid0(VALU_DEP_1) | instskip(NEXT) | instid1(VALU_DEP_1)
	v_ldexp_f64 v[48:49], v[48:49], 2
	v_dual_add_f64 v[46:47], v[58:59], -v[46:47] :: v_dual_cndmask_b32 v48, 0, v48, vcc_lo
	s_delay_alu instid0(VALU_DEP_1) | instskip(SKIP_1) | instid1(VALU_DEP_1)
	v_dual_add_f64 v[46:47], v[50:51], -v[46:47] :: v_dual_cndmask_b32 v49, 0, v49, vcc_lo
	v_add_f64_e32 v[50:51], v[56:57], v[42:43]
	v_add_f64_e32 v[52:53], v[46:47], v[50:51]
	v_add_f64_e64 v[62:63], v[50:51], -v[56:57]
	s_delay_alu instid0(VALU_DEP_2) | instskip(NEXT) | instid1(VALU_DEP_2)
	v_add_f64_e32 v[58:59], v[52:53], v[48:49]
	v_add_f64_e64 v[68:69], v[50:51], -v[62:63]
	v_add_f64_e64 v[42:43], v[42:43], -v[62:63]
	;; [unrolled: 1-line block ×3, first 2 shown]
	s_delay_alu instid0(VALU_DEP_4) | instskip(SKIP_1) | instid1(VALU_DEP_3)
	v_cmp_gt_f64_e32 vcc_lo, 0, v[58:59]
	v_add_f64_e64 v[58:59], v[56:57], -v[60:61]
	v_add_f64_e64 v[46:47], v[50:51], -v[46:47]
	v_cndmask_b32_e64 v23, 0, 0x40100000, vcc_lo
	s_delay_alu instid0(VALU_DEP_3) | instskip(SKIP_2) | instid1(VALU_DEP_4)
	v_add_f64_e64 v[66:67], v[56:57], -v[58:59]
	v_add_f64_e64 v[44:45], v[44:45], -v[58:59]
	;; [unrolled: 1-line block ×3, first 2 shown]
	v_add_f64_e32 v[48:49], v[48:49], v[22:23]
	s_delay_alu instid0(VALU_DEP_4) | instskip(NEXT) | instid1(VALU_DEP_3)
	v_add_f64_e64 v[58:59], v[60:61], -v[66:67]
	v_add_f64_e32 v[42:43], v[42:43], v[56:57]
	s_delay_alu instid0(VALU_DEP_3) | instskip(NEXT) | instid1(VALU_DEP_3)
	v_add_f64_e32 v[64:65], v[52:53], v[48:49]
	v_add_f64_e32 v[44:45], v[44:45], v[58:59]
	s_delay_alu instid0(VALU_DEP_2) | instskip(NEXT) | instid1(VALU_DEP_2)
	v_cvt_i32_f64_e32 v23, v[64:65]
	v_add_f64_e32 v[42:43], v[44:45], v[42:43]
	s_delay_alu instid0(VALU_DEP_2) | instskip(NEXT) | instid1(VALU_DEP_2)
	v_cvt_f64_i32_e32 v[62:63], v23
	v_add_f64_e32 v[40:41], v[40:41], v[42:43]
	s_delay_alu instid0(VALU_DEP_2) | instskip(NEXT) | instid1(VALU_DEP_2)
	v_add_f64_e64 v[48:49], v[48:49], -v[62:63]
	v_add_f64_e32 v[40:41], v[46:47], v[40:41]
	s_delay_alu instid0(VALU_DEP_2) | instskip(NEXT) | instid1(VALU_DEP_1)
	v_add_f64_e32 v[44:45], v[52:53], v[48:49]
	v_add_f64_e64 v[42:43], v[44:45], -v[48:49]
	v_cmp_le_f64_e32 vcc_lo, 0.5, v[44:45]
	s_delay_alu instid0(VALU_DEP_2) | instskip(SKIP_2) | instid1(VALU_DEP_3)
	v_add_f64_e64 v[42:43], v[52:53], -v[42:43]
	v_add_co_ci_u32_e64 v48, null, 0, v23, vcc_lo
	v_cndmask_b32_e64 v23, 0, 0x3ff00000, vcc_lo
	v_add_f64_e32 v[40:41], v[40:41], v[42:43]
	s_delay_alu instid0(VALU_DEP_2) | instskip(NEXT) | instid1(VALU_DEP_1)
	v_add_f64_e64 v[42:43], v[44:45], -v[22:23]
	v_add_f64_e32 v[44:45], v[42:43], v[40:41]
	s_delay_alu instid0(VALU_DEP_1) | instskip(SKIP_1) | instid1(VALU_DEP_2)
	v_mul_f64_e32 v[46:47], 0x3ff921fb54442d18, v[44:45]
	v_add_f64_e64 v[42:43], v[44:45], -v[42:43]
	v_fma_f64 v[50:51], v[44:45], s[12:13], -v[46:47]
	s_delay_alu instid0(VALU_DEP_2) | instskip(NEXT) | instid1(VALU_DEP_2)
	v_add_f64_e64 v[40:41], v[40:41], -v[42:43]
	v_fmac_f64_e32 v[50:51], 0x3c91a62633145c07, v[44:45]
	s_delay_alu instid0(VALU_DEP_1) | instskip(NEXT) | instid1(VALU_DEP_1)
	v_fmac_f64_e32 v[50:51], 0x3ff921fb54442d18, v[40:41]
	v_add_f64_e32 v[40:41], v[46:47], v[50:51]
	s_delay_alu instid0(VALU_DEP_1) | instskip(NEXT) | instid1(VALU_DEP_1)
	v_add_f64_e64 v[42:43], v[40:41], -v[46:47]
	v_add_f64_e64 v[42:43], v[50:51], -v[42:43]
	s_and_not1_saveexec_b32 s5, s5
	s_cbranch_execz .LBB155_276
	s_branch .LBB155_275
.LBB155_274:                            ;   in Loop: Header=BB155_161 Depth=1
	s_and_not1_saveexec_b32 s5, s5
	s_cbranch_execz .LBB155_276
.LBB155_275:                            ;   in Loop: Header=BB155_161 Depth=1
	v_mul_f64_e64 v[40:41], |v[16:17]|, s[14:15]
	s_delay_alu instid0(VALU_DEP_1) | instskip(NEXT) | instid1(VALU_DEP_1)
	v_rndne_f64_e32 v[44:45], v[40:41]
	v_fma_f64 v[40:41], v[44:45], s[16:17], |v[16:17]|
	v_mul_f64_e32 v[42:43], 0xbc91a62633145c00, v[44:45]
	s_delay_alu instid0(VALU_DEP_2) | instskip(NEXT) | instid1(VALU_DEP_2)
	v_fmamk_f64 v[50:51], v[44:45], 0xbc91a62633145c00, v[40:41]
	v_add_f64_e32 v[46:47], v[40:41], v[42:43]
	s_delay_alu instid0(VALU_DEP_1) | instskip(NEXT) | instid1(VALU_DEP_3)
	v_add_f64_e64 v[48:49], v[40:41], -v[46:47]
	v_add_f64_e64 v[40:41], v[46:47], -v[50:51]
	s_delay_alu instid0(VALU_DEP_2) | instskip(SKIP_2) | instid1(VALU_DEP_3)
	v_add_f64_e32 v[46:47], v[48:49], v[42:43]
	v_fmamk_f64 v[42:43], v[44:45], 0x3c91a62633145c00, v[42:43]
	v_cvt_i32_f64_e32 v48, v[44:45]
	v_add_f64_e32 v[40:41], v[40:41], v[46:47]
	s_delay_alu instid0(VALU_DEP_1) | instskip(NEXT) | instid1(VALU_DEP_1)
	v_add_f64_e64 v[42:43], v[40:41], -v[42:43]
	v_fmac_f64_e32 v[42:43], 0xb97b839a252049c0, v[44:45]
	s_delay_alu instid0(VALU_DEP_1) | instskip(NEXT) | instid1(VALU_DEP_1)
	v_add_f64_e32 v[40:41], v[50:51], v[42:43]
	v_add_f64_e64 v[46:47], v[40:41], -v[50:51]
	s_delay_alu instid0(VALU_DEP_1)
	v_add_f64_e64 v[42:43], v[42:43], -v[46:47]
.LBB155_276:                            ;   in Loop: Header=BB155_161 Depth=1
	s_or_b32 exec_lo, exec_lo, s5
                                        ; implicit-def: $vgpr49
                                        ; implicit-def: $vgpr44_vgpr45
                                        ; implicit-def: $vgpr46_vgpr47
	s_and_saveexec_b32 s5, s4
	s_delay_alu instid0(SALU_CYCLE_1)
	s_xor_b32 s4, exec_lo, s5
	s_cbranch_execz .LBB155_278
; %bb.277:                              ;   in Loop: Header=BB155_161 Depth=1
	v_ldexp_f64 v[44:45], |v[16:17]|, 0xffffff80
	v_cmp_le_f64_e64 vcc_lo, 0x7b000000, |v[16:17]|
	v_trig_preop_f64 v[46:47], |v[16:17]|, 0
	v_and_b32_e32 v23, 0x7fffffff, v17
	v_trig_preop_f64 v[50:51], |v[16:17]|, 1
	v_trig_preop_f64 v[60:61], |v[16:17]|, 2
	s_delay_alu instid0(VALU_DEP_3) | instskip(NEXT) | instid1(VALU_DEP_1)
	v_dual_cndmask_b32 v45, v23, v45 :: v_dual_cndmask_b32 v44, v16, v44
	v_mul_f64_e32 v[52:53], v[46:47], v[44:45]
	s_delay_alu instid0(VALU_DEP_4) | instskip(NEXT) | instid1(VALU_DEP_4)
	v_mul_f64_e32 v[54:55], v[50:51], v[44:45]
	v_mul_f64_e32 v[66:67], v[60:61], v[44:45]
	s_delay_alu instid0(VALU_DEP_3) | instskip(NEXT) | instid1(VALU_DEP_3)
	v_fma_f64 v[46:47], v[46:47], v[44:45], -v[52:53]
	v_fma_f64 v[50:51], v[50:51], v[44:45], -v[54:55]
	s_delay_alu instid0(VALU_DEP_3) | instskip(NEXT) | instid1(VALU_DEP_3)
	v_fma_f64 v[44:45], v[60:61], v[44:45], -v[66:67]
	v_add_f64_e32 v[56:57], v[54:55], v[46:47]
	s_delay_alu instid0(VALU_DEP_1) | instskip(SKIP_1) | instid1(VALU_DEP_2)
	v_add_f64_e64 v[58:59], v[56:57], -v[54:55]
	v_add_f64_e32 v[64:65], v[52:53], v[56:57]
	v_add_f64_e64 v[62:63], v[56:57], -v[58:59]
	v_add_f64_e64 v[46:47], v[46:47], -v[58:59]
	s_delay_alu instid0(VALU_DEP_3) | instskip(NEXT) | instid1(VALU_DEP_3)
	v_ldexp_f64 v[58:59], v[64:65], -2
	v_add_f64_e64 v[54:55], v[54:55], -v[62:63]
	v_add_f64_e32 v[62:63], v[66:67], v[50:51]
	s_delay_alu instid0(VALU_DEP_3) | instskip(NEXT) | instid1(VALU_DEP_3)
	v_cmp_neq_f64_e64 vcc_lo, 0x7ff00000, |v[58:59]|
	v_add_f64_e32 v[46:47], v[46:47], v[54:55]
	v_fract_f64_e32 v[54:55], v[58:59]
	s_delay_alu instid0(VALU_DEP_1) | instskip(NEXT) | instid1(VALU_DEP_1)
	v_ldexp_f64 v[54:55], v[54:55], 2
	v_dual_add_f64 v[52:53], v[64:65], -v[52:53] :: v_dual_cndmask_b32 v55, 0, v55, vcc_lo
	s_delay_alu instid0(VALU_DEP_1) | instskip(SKIP_1) | instid1(VALU_DEP_1)
	v_dual_add_f64 v[52:53], v[56:57], -v[52:53] :: v_dual_cndmask_b32 v54, 0, v54, vcc_lo
	v_add_f64_e32 v[56:57], v[62:63], v[46:47]
	v_add_f64_e32 v[58:59], v[52:53], v[56:57]
	v_add_f64_e64 v[68:69], v[56:57], -v[62:63]
	s_delay_alu instid0(VALU_DEP_2) | instskip(NEXT) | instid1(VALU_DEP_2)
	v_add_f64_e32 v[64:65], v[58:59], v[54:55]
	v_add_f64_e64 v[74:75], v[56:57], -v[68:69]
	v_add_f64_e64 v[46:47], v[46:47], -v[68:69]
	;; [unrolled: 1-line block ×3, first 2 shown]
	s_delay_alu instid0(VALU_DEP_4) | instskip(SKIP_1) | instid1(VALU_DEP_3)
	v_cmp_gt_f64_e32 vcc_lo, 0, v[64:65]
	v_add_f64_e64 v[64:65], v[62:63], -v[66:67]
	v_add_f64_e64 v[52:53], v[56:57], -v[52:53]
	v_cndmask_b32_e64 v23, 0, 0x40100000, vcc_lo
	s_delay_alu instid0(VALU_DEP_3) | instskip(SKIP_2) | instid1(VALU_DEP_4)
	v_add_f64_e64 v[72:73], v[62:63], -v[64:65]
	v_add_f64_e64 v[50:51], v[50:51], -v[64:65]
	;; [unrolled: 1-line block ×3, first 2 shown]
	v_add_f64_e32 v[54:55], v[54:55], v[22:23]
	s_delay_alu instid0(VALU_DEP_4) | instskip(NEXT) | instid1(VALU_DEP_3)
	v_add_f64_e64 v[64:65], v[66:67], -v[72:73]
	v_add_f64_e32 v[46:47], v[46:47], v[62:63]
	s_delay_alu instid0(VALU_DEP_3) | instskip(NEXT) | instid1(VALU_DEP_3)
	v_add_f64_e32 v[70:71], v[58:59], v[54:55]
	v_add_f64_e32 v[50:51], v[50:51], v[64:65]
	s_delay_alu instid0(VALU_DEP_2) | instskip(NEXT) | instid1(VALU_DEP_2)
	v_cvt_i32_f64_e32 v23, v[70:71]
	v_add_f64_e32 v[46:47], v[50:51], v[46:47]
	s_delay_alu instid0(VALU_DEP_2) | instskip(NEXT) | instid1(VALU_DEP_2)
	v_cvt_f64_i32_e32 v[68:69], v23
	v_add_f64_e32 v[44:45], v[44:45], v[46:47]
	s_delay_alu instid0(VALU_DEP_2) | instskip(NEXT) | instid1(VALU_DEP_2)
	v_add_f64_e64 v[54:55], v[54:55], -v[68:69]
	v_add_f64_e32 v[44:45], v[52:53], v[44:45]
	s_delay_alu instid0(VALU_DEP_2) | instskip(NEXT) | instid1(VALU_DEP_1)
	v_add_f64_e32 v[50:51], v[58:59], v[54:55]
	v_add_f64_e64 v[46:47], v[50:51], -v[54:55]
	v_cmp_le_f64_e32 vcc_lo, 0.5, v[50:51]
	s_delay_alu instid0(VALU_DEP_2) | instskip(SKIP_2) | instid1(VALU_DEP_3)
	v_add_f64_e64 v[46:47], v[58:59], -v[46:47]
	v_add_co_ci_u32_e64 v49, null, 0, v23, vcc_lo
	v_cndmask_b32_e64 v23, 0, 0x3ff00000, vcc_lo
	v_add_f64_e32 v[44:45], v[44:45], v[46:47]
	s_delay_alu instid0(VALU_DEP_2) | instskip(NEXT) | instid1(VALU_DEP_1)
	v_add_f64_e64 v[46:47], v[50:51], -v[22:23]
	v_add_f64_e32 v[50:51], v[46:47], v[44:45]
	s_delay_alu instid0(VALU_DEP_1) | instskip(SKIP_1) | instid1(VALU_DEP_2)
	v_mul_f64_e32 v[52:53], 0x3ff921fb54442d18, v[50:51]
	v_add_f64_e64 v[46:47], v[50:51], -v[46:47]
	v_fma_f64 v[54:55], v[50:51], s[12:13], -v[52:53]
	s_delay_alu instid0(VALU_DEP_2) | instskip(NEXT) | instid1(VALU_DEP_2)
	v_add_f64_e64 v[44:45], v[44:45], -v[46:47]
	v_fmac_f64_e32 v[54:55], 0x3c91a62633145c07, v[50:51]
	s_delay_alu instid0(VALU_DEP_1) | instskip(NEXT) | instid1(VALU_DEP_1)
	v_fmac_f64_e32 v[54:55], 0x3ff921fb54442d18, v[44:45]
	v_add_f64_e32 v[44:45], v[52:53], v[54:55]
	s_delay_alu instid0(VALU_DEP_1) | instskip(NEXT) | instid1(VALU_DEP_1)
	v_add_f64_e64 v[46:47], v[44:45], -v[52:53]
	v_add_f64_e64 v[46:47], v[54:55], -v[46:47]
	s_and_not1_saveexec_b32 s4, s4
	s_cbranch_execnz .LBB155_279
	s_branch .LBB155_280
.LBB155_278:                            ;   in Loop: Header=BB155_161 Depth=1
	s_and_not1_saveexec_b32 s4, s4
	s_cbranch_execz .LBB155_280
.LBB155_279:                            ;   in Loop: Header=BB155_161 Depth=1
	v_mul_f64_e64 v[44:45], |v[16:17]|, s[14:15]
	s_delay_alu instid0(VALU_DEP_1) | instskip(NEXT) | instid1(VALU_DEP_1)
	v_rndne_f64_e32 v[50:51], v[44:45]
	v_fma_f64 v[44:45], v[50:51], s[16:17], |v[16:17]|
	v_mul_f64_e32 v[46:47], 0xbc91a62633145c00, v[50:51]
	v_cvt_i32_f64_e32 v49, v[50:51]
	s_delay_alu instid0(VALU_DEP_3) | instskip(NEXT) | instid1(VALU_DEP_3)
	v_fmamk_f64 v[56:57], v[50:51], 0xbc91a62633145c00, v[44:45]
	v_add_f64_e32 v[52:53], v[44:45], v[46:47]
	s_delay_alu instid0(VALU_DEP_1) | instskip(NEXT) | instid1(VALU_DEP_3)
	v_add_f64_e64 v[54:55], v[44:45], -v[52:53]
	v_add_f64_e64 v[44:45], v[52:53], -v[56:57]
	s_delay_alu instid0(VALU_DEP_2) | instskip(SKIP_1) | instid1(VALU_DEP_2)
	v_add_f64_e32 v[52:53], v[54:55], v[46:47]
	v_fmamk_f64 v[46:47], v[50:51], 0x3c91a62633145c00, v[46:47]
	v_add_f64_e32 v[44:45], v[44:45], v[52:53]
	s_delay_alu instid0(VALU_DEP_1) | instskip(NEXT) | instid1(VALU_DEP_1)
	v_add_f64_e64 v[46:47], v[44:45], -v[46:47]
	v_fmac_f64_e32 v[46:47], 0xb97b839a252049c0, v[50:51]
	s_delay_alu instid0(VALU_DEP_1) | instskip(NEXT) | instid1(VALU_DEP_1)
	v_add_f64_e32 v[44:45], v[56:57], v[46:47]
	v_add_f64_e64 v[52:53], v[44:45], -v[56:57]
	s_delay_alu instid0(VALU_DEP_1)
	v_add_f64_e64 v[46:47], v[46:47], -v[52:53]
.LBB155_280:                            ;   in Loop: Header=BB155_161 Depth=1
	s_or_b32 exec_lo, exec_lo, s4
	s_delay_alu instid0(VALU_DEP_1) | instskip(SKIP_4) | instid1(VALU_DEP_3)
	v_mul_f64_e32 v[70:71], 0.5, v[46:47]
	v_cmp_class_f64_e64 s4, v[16:17], 0x1f8
	v_and_b32_e32 v16, 1, v49
	v_mul_f64_e32 v[52:53], v[44:45], v[44:45]
	v_and_b32_e32 v23, 1, v48
	v_cmp_eq_u32_e64 s5, 0, v16
	v_mul_f64_e32 v[50:51], v[40:41], v[40:41]
	s_delay_alu instid0(VALU_DEP_3)
	v_cmp_eq_u32_e32 vcc_lo, 0, v23
	v_dual_mul_f64 v[62:63], 0.5, v[42:43] :: v_dual_lshlrev_b32 v16, 30, v49
	v_mul_f64_e32 v[56:57], 0.5, v[52:53]
	v_mul_f64_e64 v[72:73], v[44:45], -v[52:53]
	v_fmamk_f64 v[74:75], v[52:53], 0x3de5e0b2f9a43bb8, v[30:31]
	v_mul_f64_e32 v[54:55], 0.5, v[50:51]
	v_mul_f64_e64 v[64:65], v[40:41], -v[50:51]
	v_fmamk_f64 v[68:69], v[50:51], 0x3de5e0b2f9a43bb8, v[30:31]
	s_delay_alu instid0(VALU_DEP_4) | instskip(NEXT) | instid1(VALU_DEP_2)
	v_fmaak_f64 v[74:75], v[52:53], v[74:75], 0x3ec71de3796cde01
	v_fmaak_f64 v[68:69], v[50:51], v[68:69], 0x3ec71de3796cde01
	s_delay_alu instid0(VALU_DEP_1) | instskip(NEXT) | instid1(VALU_DEP_1)
	v_fmaak_f64 v[68:69], v[50:51], v[68:69], 0xbf2a01a019e83e5c
	v_fmaak_f64 v[68:69], v[50:51], v[68:69], 0x3f81111111110bb3
	v_add_f64_e64 v[60:61], -v[56:57], 1.0
	v_add_f64_e64 v[58:59], -v[54:55], 1.0
	s_delay_alu instid0(VALU_DEP_3) | instskip(SKIP_1) | instid1(VALU_DEP_4)
	v_fmac_f64_e32 v[62:63], v[64:65], v[68:69]
	v_mul_f64_e32 v[68:69], v[50:51], v[50:51]
	v_add_f64_e64 v[76:77], -v[60:61], 1.0
	s_delay_alu instid0(VALU_DEP_4) | instskip(NEXT) | instid1(VALU_DEP_4)
	v_add_f64_e64 v[66:67], -v[58:59], 1.0
	v_fma_f64 v[62:63], v[50:51], v[62:63], -v[42:43]
	s_delay_alu instid0(VALU_DEP_3) | instskip(NEXT) | instid1(VALU_DEP_3)
	v_add_f64_e64 v[56:57], v[76:77], -v[56:57]
	v_add_f64_e64 v[54:55], v[66:67], -v[54:55]
	v_fmaak_f64 v[66:67], v[52:53], v[74:75], 0xbf2a01a019e83e5c
	s_delay_alu instid0(VALU_DEP_4) | instskip(SKIP_1) | instid1(VALU_DEP_3)
	v_fmac_f64_e32 v[62:63], 0xbfc5555555555555, v[64:65]
	v_mul_f64_e32 v[74:75], v[52:53], v[52:53]
	v_fmaak_f64 v[66:67], v[52:53], v[66:67], 0x3f81111111110bb3
	s_delay_alu instid0(VALU_DEP_1) | instskip(SKIP_2) | instid1(VALU_DEP_2)
	v_fmac_f64_e32 v[70:71], v[72:73], v[66:67]
	v_fmamk_f64 v[66:67], v[50:51], 0xbda907db46cc5e42, v[28:29]
	v_fma_f64 v[42:43], v[40:41], -v[42:43], v[54:55]
	v_fmaak_f64 v[54:55], v[50:51], v[66:67], 0xbe927e4fa17f65f6
	v_add_f64_e64 v[40:41], v[40:41], -v[62:63]
	s_delay_alu instid0(VALU_DEP_2) | instskip(NEXT) | instid1(VALU_DEP_1)
	v_fmaak_f64 v[54:55], v[50:51], v[54:55], 0x3efa01a019f4ec90
	v_fmaak_f64 v[54:55], v[50:51], v[54:55], 0xbf56c16c16c16967
	s_delay_alu instid0(VALU_DEP_1) | instskip(NEXT) | instid1(VALU_DEP_1)
	v_fmaak_f64 v[50:51], v[50:51], v[54:55], 0x3fa5555555555555
	v_fmac_f64_e32 v[42:43], v[68:69], v[50:51]
	s_delay_alu instid0(VALU_DEP_1) | instskip(SKIP_3) | instid1(VALU_DEP_2)
	v_add_f64_e32 v[42:43], v[58:59], v[42:43]
	v_fma_f64 v[66:67], v[52:53], v[70:71], -v[46:47]
	v_fmamk_f64 v[70:71], v[52:53], 0xbda907db46cc5e42, v[28:29]
	v_fma_f64 v[46:47], v[44:45], -v[46:47], v[56:57]
	v_fmaak_f64 v[54:55], v[52:53], v[70:71], 0xbe927e4fa17f65f6
	s_delay_alu instid0(VALU_DEP_1) | instskip(NEXT) | instid1(VALU_DEP_1)
	v_fmaak_f64 v[50:51], v[52:53], v[54:55], 0x3efa01a019f4ec90
	v_fmaak_f64 v[50:51], v[52:53], v[50:51], 0xbf56c16c16c16967
	s_delay_alu instid0(VALU_DEP_1) | instskip(SKIP_2) | instid1(VALU_DEP_3)
	v_fmaak_f64 v[50:51], v[52:53], v[50:51], 0x3fa5555555555555
	v_cndmask_b32_e32 v23, v42, v40, vcc_lo
	v_lshlrev_b32_e32 v40, 30, v48
	v_fmac_f64_e32 v[46:47], v[74:75], v[50:51]
	s_delay_alu instid0(VALU_DEP_2) | instskip(SKIP_2) | instid1(VALU_DEP_2)
	v_xor_b32_e32 v17, v40, v17
	v_cndmask_b32_e32 v40, v43, v41, vcc_lo
	v_fmac_f64_e32 v[66:67], 0xbfc5555555555555, v[72:73]
	v_bitop3_b32 v17, v40, v17, 0x80000000 bitop3:0x78
	s_delay_alu instid0(VALU_DEP_1) | instskip(SKIP_1) | instid1(VALU_DEP_4)
	v_cndmask_b32_e64 v17, 0x7ff80000, v17, s4
	v_add_f64_e32 v[46:47], v[60:61], v[46:47]
	v_add_f64_e64 v[44:45], v[44:45], -v[66:67]
	s_delay_alu instid0(VALU_DEP_1) | instskip(NEXT) | instid1(VALU_DEP_1)
	v_xor_b32_e32 v42, 0x80000000, v45
	v_dual_cndmask_b32 v41, v44, v46, s5 :: v_dual_cndmask_b32 v42, v42, v47, s5
	s_delay_alu instid0(VALU_DEP_1) | instskip(NEXT) | instid1(VALU_DEP_2)
	v_cndmask_b32_e64 v40, 0, v41, s4
	v_bitop3_b32 v42, v42, v16, 0x80000000 bitop3:0x78
	v_cndmask_b32_e64 v16, 0, v23, s4
	s_delay_alu instid0(VALU_DEP_2) | instskip(NEXT) | instid1(VALU_DEP_1)
	v_cndmask_b32_e64 v41, 0x7ff80000, v42, s4
	v_mul_f64_e32 v[16:17], v[16:17], v[40:41]
.LBB155_281:                            ;   in Loop: Header=BB155_161 Depth=1
	s_or_b32 exec_lo, exec_lo, s36
	s_delay_alu instid0(VALU_DEP_1) | instskip(SKIP_1) | instid1(VALU_DEP_2)
	v_bfi_b32 v23, 0x7fffffff, 0, v17
	v_add_nc_u32_e32 v15, -2.0, v15
	v_mov_b64_e32 v[16:17], v[22:23]
.LBB155_282:                            ;   in Loop: Header=BB155_161 Depth=1
	s_or_b32 exec_lo, exec_lo, s35
.LBB155_283:                            ;   in Loop: Header=BB155_161 Depth=1
	s_delay_alu instid0(SALU_CYCLE_1) | instskip(SKIP_2) | instid1(VALU_DEP_1)
	s_or_b32 exec_lo, exec_lo, s34
	v_and_b32_e32 v44, 0x7fffffff, v11
	s_mov_b32 s4, exec_lo
	v_cmpx_gt_u32_e32 0x7ff00000, v44
	s_xor_b32 s5, exec_lo, s4
	s_cbranch_execz .LBB155_294
; %bb.284:                              ;   in Loop: Header=BB155_161 Depth=1
	v_cmp_class_f64_e64 s4, v[12:13], 0x1f8
	s_and_saveexec_b32 s34, s4
	s_delay_alu instid0(SALU_CYCLE_1)
	s_xor_b32 s34, exec_lo, s34
	s_cbranch_execz .LBB155_313
; %bb.285:                              ;   in Loop: Header=BB155_161 Depth=1
	s_mov_b32 s4, exec_lo
	v_cmpx_gt_u32_e32 0x40360000, v44
	s_xor_b32 s35, exec_lo, s4
	s_cbranch_execz .LBB155_291
; %bb.286:                              ;   in Loop: Header=BB155_161 Depth=1
	v_cmp_ngt_f64_e64 s4, 0x41d00000, |v[12:13]|
                                        ; implicit-def: $vgpr45
                                        ; implicit-def: $vgpr40_vgpr41
                                        ; implicit-def: $vgpr42_vgpr43
	s_and_saveexec_b32 s36, s4
	s_delay_alu instid0(SALU_CYCLE_1)
	s_xor_b32 s4, exec_lo, s36
	s_cbranch_execz .LBB155_288
; %bb.287:                              ;   in Loop: Header=BB155_161 Depth=1
	v_ldexp_f64 v[40:41], |v[12:13]|, 0xffffff80
	v_cmp_le_f64_e64 vcc_lo, 0x7b000000, |v[12:13]|
	v_trig_preop_f64 v[42:43], |v[12:13]|, 0
	v_and_b32_e32 v23, 0x7fffffff, v13
	v_trig_preop_f64 v[46:47], |v[12:13]|, 1
	v_trig_preop_f64 v[56:57], |v[12:13]|, 2
	s_delay_alu instid0(VALU_DEP_3) | instskip(NEXT) | instid1(VALU_DEP_1)
	v_dual_cndmask_b32 v41, v23, v41 :: v_dual_cndmask_b32 v40, v12, v40
	v_mul_f64_e32 v[48:49], v[42:43], v[40:41]
	s_delay_alu instid0(VALU_DEP_4) | instskip(NEXT) | instid1(VALU_DEP_4)
	v_mul_f64_e32 v[50:51], v[46:47], v[40:41]
	v_mul_f64_e32 v[62:63], v[56:57], v[40:41]
	s_delay_alu instid0(VALU_DEP_3) | instskip(NEXT) | instid1(VALU_DEP_3)
	v_fma_f64 v[42:43], v[42:43], v[40:41], -v[48:49]
	v_fma_f64 v[46:47], v[46:47], v[40:41], -v[50:51]
	s_delay_alu instid0(VALU_DEP_3) | instskip(NEXT) | instid1(VALU_DEP_3)
	v_fma_f64 v[40:41], v[56:57], v[40:41], -v[62:63]
	v_add_f64_e32 v[52:53], v[50:51], v[42:43]
	s_delay_alu instid0(VALU_DEP_1) | instskip(SKIP_1) | instid1(VALU_DEP_2)
	v_add_f64_e64 v[54:55], v[52:53], -v[50:51]
	v_add_f64_e32 v[60:61], v[48:49], v[52:53]
	v_add_f64_e64 v[58:59], v[52:53], -v[54:55]
	v_add_f64_e64 v[42:43], v[42:43], -v[54:55]
	s_delay_alu instid0(VALU_DEP_3) | instskip(NEXT) | instid1(VALU_DEP_3)
	v_ldexp_f64 v[54:55], v[60:61], -2
	v_add_f64_e64 v[50:51], v[50:51], -v[58:59]
	v_add_f64_e32 v[58:59], v[62:63], v[46:47]
	s_delay_alu instid0(VALU_DEP_3) | instskip(NEXT) | instid1(VALU_DEP_3)
	v_cmp_neq_f64_e64 vcc_lo, 0x7ff00000, |v[54:55]|
	v_add_f64_e32 v[42:43], v[42:43], v[50:51]
	v_fract_f64_e32 v[50:51], v[54:55]
	s_delay_alu instid0(VALU_DEP_1) | instskip(NEXT) | instid1(VALU_DEP_1)
	v_ldexp_f64 v[50:51], v[50:51], 2
	v_dual_add_f64 v[48:49], v[60:61], -v[48:49] :: v_dual_cndmask_b32 v51, 0, v51, vcc_lo
	s_delay_alu instid0(VALU_DEP_1) | instskip(SKIP_1) | instid1(VALU_DEP_1)
	v_dual_add_f64 v[48:49], v[52:53], -v[48:49] :: v_dual_cndmask_b32 v50, 0, v50, vcc_lo
	v_add_f64_e32 v[52:53], v[58:59], v[42:43]
	v_add_f64_e32 v[54:55], v[48:49], v[52:53]
	v_add_f64_e64 v[64:65], v[52:53], -v[58:59]
	s_delay_alu instid0(VALU_DEP_2) | instskip(NEXT) | instid1(VALU_DEP_2)
	v_add_f64_e32 v[60:61], v[54:55], v[50:51]
	v_add_f64_e64 v[70:71], v[52:53], -v[64:65]
	v_add_f64_e64 v[42:43], v[42:43], -v[64:65]
	v_add_f64_e64 v[48:49], v[54:55], -v[48:49]
	s_delay_alu instid0(VALU_DEP_4) | instskip(SKIP_1) | instid1(VALU_DEP_3)
	v_cmp_gt_f64_e32 vcc_lo, 0, v[60:61]
	v_add_f64_e64 v[60:61], v[58:59], -v[62:63]
	v_add_f64_e64 v[48:49], v[52:53], -v[48:49]
	v_cndmask_b32_e64 v23, 0, 0x40100000, vcc_lo
	s_delay_alu instid0(VALU_DEP_3) | instskip(SKIP_2) | instid1(VALU_DEP_4)
	v_add_f64_e64 v[68:69], v[58:59], -v[60:61]
	v_add_f64_e64 v[46:47], v[46:47], -v[60:61]
	;; [unrolled: 1-line block ×3, first 2 shown]
	v_add_f64_e32 v[50:51], v[50:51], v[22:23]
	s_delay_alu instid0(VALU_DEP_4) | instskip(NEXT) | instid1(VALU_DEP_3)
	v_add_f64_e64 v[60:61], v[62:63], -v[68:69]
	v_add_f64_e32 v[42:43], v[42:43], v[58:59]
	s_delay_alu instid0(VALU_DEP_3) | instskip(NEXT) | instid1(VALU_DEP_3)
	v_add_f64_e32 v[66:67], v[54:55], v[50:51]
	v_add_f64_e32 v[46:47], v[46:47], v[60:61]
	s_delay_alu instid0(VALU_DEP_2) | instskip(NEXT) | instid1(VALU_DEP_2)
	v_cvt_i32_f64_e32 v23, v[66:67]
	v_add_f64_e32 v[42:43], v[46:47], v[42:43]
	s_delay_alu instid0(VALU_DEP_2) | instskip(NEXT) | instid1(VALU_DEP_2)
	v_cvt_f64_i32_e32 v[64:65], v23
	v_add_f64_e32 v[40:41], v[40:41], v[42:43]
	s_delay_alu instid0(VALU_DEP_2) | instskip(NEXT) | instid1(VALU_DEP_2)
	v_add_f64_e64 v[50:51], v[50:51], -v[64:65]
	v_add_f64_e32 v[40:41], v[48:49], v[40:41]
	s_delay_alu instid0(VALU_DEP_2) | instskip(NEXT) | instid1(VALU_DEP_1)
	v_add_f64_e32 v[46:47], v[54:55], v[50:51]
	v_add_f64_e64 v[42:43], v[46:47], -v[50:51]
	v_cmp_le_f64_e32 vcc_lo, 0.5, v[46:47]
	s_delay_alu instid0(VALU_DEP_2) | instskip(SKIP_2) | instid1(VALU_DEP_3)
	v_add_f64_e64 v[42:43], v[54:55], -v[42:43]
	v_add_co_ci_u32_e64 v45, null, 0, v23, vcc_lo
	v_cndmask_b32_e64 v23, 0, 0x3ff00000, vcc_lo
	v_add_f64_e32 v[40:41], v[40:41], v[42:43]
	s_delay_alu instid0(VALU_DEP_2) | instskip(NEXT) | instid1(VALU_DEP_1)
	v_add_f64_e64 v[42:43], v[46:47], -v[22:23]
	v_add_f64_e32 v[46:47], v[42:43], v[40:41]
	s_delay_alu instid0(VALU_DEP_1) | instskip(SKIP_1) | instid1(VALU_DEP_2)
	v_mul_f64_e32 v[48:49], 0x3ff921fb54442d18, v[46:47]
	v_add_f64_e64 v[42:43], v[46:47], -v[42:43]
	v_fma_f64 v[50:51], v[46:47], s[12:13], -v[48:49]
	s_delay_alu instid0(VALU_DEP_2) | instskip(NEXT) | instid1(VALU_DEP_2)
	v_add_f64_e64 v[40:41], v[40:41], -v[42:43]
	v_fmac_f64_e32 v[50:51], 0x3c91a62633145c07, v[46:47]
	s_delay_alu instid0(VALU_DEP_1) | instskip(NEXT) | instid1(VALU_DEP_1)
	v_fmac_f64_e32 v[50:51], 0x3ff921fb54442d18, v[40:41]
	v_add_f64_e32 v[40:41], v[48:49], v[50:51]
	s_delay_alu instid0(VALU_DEP_1) | instskip(NEXT) | instid1(VALU_DEP_1)
	v_add_f64_e64 v[42:43], v[40:41], -v[48:49]
	v_add_f64_e64 v[42:43], v[50:51], -v[42:43]
.LBB155_288:                            ;   in Loop: Header=BB155_161 Depth=1
	s_and_not1_saveexec_b32 s4, s4
	s_cbranch_execz .LBB155_290
; %bb.289:                              ;   in Loop: Header=BB155_161 Depth=1
	v_mul_f64_e64 v[40:41], |v[12:13]|, s[14:15]
	s_delay_alu instid0(VALU_DEP_1) | instskip(NEXT) | instid1(VALU_DEP_1)
	v_rndne_f64_e32 v[46:47], v[40:41]
	v_fma_f64 v[40:41], v[46:47], s[16:17], |v[12:13]|
	v_mul_f64_e32 v[42:43], 0xbc91a62633145c00, v[46:47]
	v_cvt_i32_f64_e32 v45, v[46:47]
	s_delay_alu instid0(VALU_DEP_3) | instskip(NEXT) | instid1(VALU_DEP_3)
	v_fmamk_f64 v[52:53], v[46:47], 0xbc91a62633145c00, v[40:41]
	v_add_f64_e32 v[48:49], v[40:41], v[42:43]
	s_delay_alu instid0(VALU_DEP_1) | instskip(NEXT) | instid1(VALU_DEP_3)
	v_add_f64_e64 v[50:51], v[40:41], -v[48:49]
	v_add_f64_e64 v[40:41], v[48:49], -v[52:53]
	s_delay_alu instid0(VALU_DEP_2) | instskip(SKIP_1) | instid1(VALU_DEP_2)
	v_add_f64_e32 v[48:49], v[50:51], v[42:43]
	v_fmamk_f64 v[42:43], v[46:47], 0x3c91a62633145c00, v[42:43]
	v_add_f64_e32 v[40:41], v[40:41], v[48:49]
	s_delay_alu instid0(VALU_DEP_1) | instskip(NEXT) | instid1(VALU_DEP_1)
	v_add_f64_e64 v[42:43], v[40:41], -v[42:43]
	v_fmac_f64_e32 v[42:43], 0xb97b839a252049c0, v[46:47]
	s_delay_alu instid0(VALU_DEP_1) | instskip(NEXT) | instid1(VALU_DEP_1)
	v_add_f64_e32 v[40:41], v[52:53], v[42:43]
	v_add_f64_e64 v[48:49], v[40:41], -v[52:53]
	s_delay_alu instid0(VALU_DEP_1)
	v_add_f64_e64 v[42:43], v[42:43], -v[48:49]
.LBB155_290:                            ;   in Loop: Header=BB155_161 Depth=1
	s_or_b32 exec_lo, exec_lo, s4
	v_add_f64_e64 v[46:47], |v[10:11]|, s[18:19]
	v_cmp_nge_f64_e64 vcc_lo, |v[10:11]|, s[20:21]
	v_mul_f64_e32 v[64:65], v[40:41], v[40:41]
	s_delay_alu instid0(VALU_DEP_4) | instskip(NEXT) | instid1(VALU_DEP_4)
	v_add_f64_e32 v[66:67], v[42:43], v[42:43]
	v_add_f64_e64 v[48:49], v[46:47], -|v[10:11]|
	s_delay_alu instid0(VALU_DEP_3) | instskip(NEXT) | instid1(VALU_DEP_2)
	v_fma_f64 v[68:69], v[40:41], v[40:41], -v[64:65]
	v_add_f64_e64 v[50:51], v[48:49], -v[46:47]
	v_add_f64_e32 v[48:49], 0x3fe62e42fefa39ef, v[48:49]
	s_delay_alu instid0(VALU_DEP_3) | instskip(NEXT) | instid1(VALU_DEP_3)
	v_fmac_f64_e32 v[68:69], v[40:41], v[66:67]
	v_add_f64_e64 v[50:51], |v[10:11]|, v[50:51]
	s_delay_alu instid0(VALU_DEP_2) | instskip(NEXT) | instid1(VALU_DEP_2)
	v_add_f64_e32 v[64:65], v[64:65], v[68:69]
	v_add_f64_e64 v[48:49], v[50:51], -v[48:49]
	s_delay_alu instid0(VALU_DEP_2) | instskip(NEXT) | instid1(VALU_DEP_1)
	v_fmamk_f64 v[68:69], v[64:65], 0x3ef5e089c751c08c, v[24:25]
	v_fmaak_f64 v[68:69], v[64:65], v[68:69], 0x3f17746f90a8aae0
	s_delay_alu instid0(VALU_DEP_1) | instskip(NEXT) | instid1(VALU_DEP_4)
	v_fmaak_f64 v[68:69], v[64:65], v[68:69], 0xbefbb44da6fbf144
	v_add_f64_e32 v[48:49], 0xbc7abc9e3b39803f, v[48:49]
	s_delay_alu instid0(VALU_DEP_1) | instskip(NEXT) | instid1(VALU_DEP_1)
	v_add_f64_e32 v[50:51], v[46:47], v[48:49]
	v_mul_f64_e32 v[52:53], 0x3ff71547652b82fe, v[50:51]
	v_add_f64_e64 v[46:47], v[46:47], -v[50:51]
	s_delay_alu instid0(VALU_DEP_2) | instskip(NEXT) | instid1(VALU_DEP_2)
	v_rndne_f64_e32 v[52:53], v[52:53]
	v_add_f64_e32 v[46:47], v[48:49], v[46:47]
	s_delay_alu instid0(VALU_DEP_2) | instskip(SKIP_2) | instid1(VALU_DEP_3)
	v_fmac_f64_e32 v[50:51], 0xbfe62e42fefa3000, v[52:53]
	v_mul_f64_e32 v[48:49], 0xbd53de6af278e000, v[52:53]
	v_cvt_i32_f64_e32 v12, v[52:53]
	v_add_f64_e32 v[54:55], v[46:47], v[50:51]
	s_delay_alu instid0(VALU_DEP_1) | instskip(SKIP_1) | instid1(VALU_DEP_2)
	v_add_f64_e32 v[56:57], v[54:55], v[48:49]
	v_add_f64_e64 v[50:51], v[50:51], -v[54:55]
	v_add_f64_e64 v[54:55], v[54:55], -v[56:57]
	s_delay_alu instid0(VALU_DEP_2) | instskip(NEXT) | instid1(VALU_DEP_2)
	v_add_f64_e32 v[46:47], v[46:47], v[50:51]
	v_add_f64_e32 v[48:49], v[54:55], v[48:49]
	s_delay_alu instid0(VALU_DEP_1) | instskip(SKIP_1) | instid1(VALU_DEP_2)
	v_add_f64_e32 v[46:47], v[46:47], v[48:49]
	v_mul_f64_e32 v[48:49], 0xbac9cc01f97b57a0, v[52:53]
	v_add_f64_e32 v[50:51], v[56:57], v[46:47]
	s_delay_alu instid0(VALU_DEP_1) | instskip(SKIP_1) | instid1(VALU_DEP_2)
	v_add_f64_e32 v[54:55], v[50:51], v[48:49]
	v_add_f64_e64 v[56:57], v[56:57], -v[50:51]
	v_add_f64_e64 v[50:51], v[50:51], -v[54:55]
	s_delay_alu instid0(VALU_DEP_2) | instskip(NEXT) | instid1(VALU_DEP_2)
	v_add_f64_e32 v[46:47], v[46:47], v[56:57]
	v_add_f64_e32 v[48:49], v[50:51], v[48:49]
	s_delay_alu instid0(VALU_DEP_1) | instskip(NEXT) | instid1(VALU_DEP_1)
	v_add_f64_e32 v[46:47], v[46:47], v[48:49]
	v_add_f64_e32 v[48:49], v[54:55], v[46:47]
	s_delay_alu instid0(VALU_DEP_1) | instskip(SKIP_1) | instid1(VALU_DEP_2)
	v_add_f64_e64 v[50:51], v[54:55], -v[48:49]
	v_mul_f64_e32 v[54:55], v[48:49], v[48:49]
	v_add_f64_e32 v[46:47], v[46:47], v[50:51]
	s_delay_alu instid0(VALU_DEP_2) | instskip(NEXT) | instid1(VALU_DEP_2)
	v_fma_f64 v[50:51], v[48:49], v[48:49], -v[54:55]
	v_add_f64_e32 v[56:57], v[46:47], v[46:47]
	s_delay_alu instid0(VALU_DEP_1) | instskip(SKIP_1) | instid1(VALU_DEP_1)
	v_fmac_f64_e32 v[50:51], v[48:49], v[56:57]
	v_fmamk_f64 v[56:57], v[48:49], 0x3e5ade156a5dcb37, v[26:27]
	v_fmaak_f64 v[56:57], v[48:49], v[56:57], 0x3ec71dee623fde64
	s_delay_alu instid0(VALU_DEP_1) | instskip(NEXT) | instid1(VALU_DEP_1)
	v_fmaak_f64 v[56:57], v[48:49], v[56:57], 0x3efa01997c89e6b0
	v_fmaak_f64 v[56:57], v[48:49], v[56:57], 0x3f2a01a014761f6e
	s_delay_alu instid0(VALU_DEP_1) | instskip(SKIP_1) | instid1(VALU_DEP_2)
	v_fmaak_f64 v[56:57], v[48:49], v[56:57], 0x3f56c16c1852b7b0
	v_add_f64_e32 v[58:59], v[54:55], v[50:51]
	v_fmaak_f64 v[56:57], v[48:49], v[56:57], 0x3f81111111122322
	s_delay_alu instid0(VALU_DEP_1) | instskip(NEXT) | instid1(VALU_DEP_1)
	v_fmaak_f64 v[56:57], v[48:49], v[56:57], 0x3fa55555555502a1
	v_fmaak_f64 v[56:57], v[48:49], v[56:57], 0x3fc5555555555511
	s_delay_alu instid0(VALU_DEP_1) | instskip(SKIP_1) | instid1(VALU_DEP_2)
	v_fmaak_f64 v[56:57], v[48:49], v[56:57], 0x3fe000000000000b
	v_add_f64_e64 v[54:55], v[58:59], -v[54:55]
	v_mul_f64_e32 v[60:61], v[58:59], v[56:57]
	s_delay_alu instid0(VALU_DEP_2) | instskip(NEXT) | instid1(VALU_DEP_2)
	v_add_f64_e64 v[50:51], v[50:51], -v[54:55]
	v_fma_f64 v[54:55], v[58:59], v[56:57], -v[60:61]
	s_delay_alu instid0(VALU_DEP_1) | instskip(NEXT) | instid1(VALU_DEP_1)
	v_fmac_f64_e32 v[54:55], v[50:51], v[56:57]
	v_add_f64_e32 v[50:51], v[60:61], v[54:55]
	s_delay_alu instid0(VALU_DEP_1) | instskip(SKIP_1) | instid1(VALU_DEP_2)
	v_add_f64_e32 v[56:57], v[48:49], v[50:51]
	v_add_f64_e64 v[58:59], v[50:51], -v[60:61]
	v_add_f64_e64 v[48:49], v[56:57], -v[48:49]
	s_delay_alu instid0(VALU_DEP_2) | instskip(NEXT) | instid1(VALU_DEP_2)
	v_add_f64_e64 v[54:55], v[54:55], -v[58:59]
	v_add_f64_e64 v[48:49], v[50:51], -v[48:49]
	s_delay_alu instid0(VALU_DEP_2) | instskip(NEXT) | instid1(VALU_DEP_1)
	v_add_f64_e32 v[46:47], v[46:47], v[54:55]
	v_add_f64_e32 v[46:47], v[46:47], v[48:49]
	s_delay_alu instid0(VALU_DEP_1) | instskip(NEXT) | instid1(VALU_DEP_1)
	v_add_f64_e32 v[48:49], v[56:57], v[46:47]
	v_add_f64_e32 v[50:51], 1.0, v[48:49]
	v_add_f64_e64 v[54:55], v[48:49], -v[56:57]
	s_delay_alu instid0(VALU_DEP_2) | instskip(NEXT) | instid1(VALU_DEP_2)
	v_add_f64_e32 v[56:57], -1.0, v[50:51]
	v_add_f64_e64 v[46:47], v[46:47], -v[54:55]
	s_delay_alu instid0(VALU_DEP_2) | instskip(NEXT) | instid1(VALU_DEP_1)
	v_add_f64_e64 v[48:49], v[48:49], -v[56:57]
	v_add_f64_e32 v[46:47], v[46:47], v[48:49]
	s_delay_alu instid0(VALU_DEP_1) | instskip(NEXT) | instid1(VALU_DEP_1)
	v_add_f64_e32 v[48:49], v[50:51], v[46:47]
	v_ldexp_f64 v[52:53], v[48:49], v12
	v_add_f64_e64 v[48:49], v[48:49], -v[50:51]
	s_delay_alu instid0(VALU_DEP_2) | instskip(NEXT) | instid1(VALU_DEP_1)
	v_rcp_f64_e32 v[54:55], v[52:53]
	v_add_f64_e64 v[46:47], v[46:47], -v[48:49]
	s_delay_alu instid0(VALU_DEP_1) | instskip(NEXT) | instid1(TRANS32_DEP_1)
	v_ldexp_f64 v[46:47], v[46:47], v12
	v_fma_f64 v[56:57], -v[52:53], v[54:55], 1.0
	s_delay_alu instid0(VALU_DEP_1) | instskip(NEXT) | instid1(VALU_DEP_1)
	v_fmac_f64_e32 v[54:55], v[56:57], v[54:55]
	v_fma_f64 v[56:57], -v[52:53], v[54:55], 1.0
	s_delay_alu instid0(VALU_DEP_1) | instskip(NEXT) | instid1(VALU_DEP_1)
	v_fmac_f64_e32 v[54:55], v[56:57], v[54:55]
	v_mul_f64_e32 v[48:49], v[52:53], v[54:55]
	s_delay_alu instid0(VALU_DEP_1) | instskip(NEXT) | instid1(VALU_DEP_1)
	v_fma_f64 v[50:51], v[54:55], v[52:53], -v[48:49]
	v_fmac_f64_e32 v[50:51], v[54:55], v[46:47]
	s_delay_alu instid0(VALU_DEP_1) | instskip(NEXT) | instid1(VALU_DEP_1)
	v_add_f64_e32 v[56:57], v[48:49], v[50:51]
	v_add_f64_e64 v[58:59], -v[56:57], 1.0
	v_add_f64_e64 v[48:49], v[56:57], -v[48:49]
	s_delay_alu instid0(VALU_DEP_2) | instskip(NEXT) | instid1(VALU_DEP_2)
	v_add_f64_e64 v[60:61], -v[58:59], 1.0
	v_add_f64_e64 v[48:49], v[48:49], -v[50:51]
	s_delay_alu instid0(VALU_DEP_2) | instskip(NEXT) | instid1(VALU_DEP_1)
	v_add_f64_e64 v[50:51], v[60:61], -v[56:57]
	v_add_f64_e32 v[48:49], v[48:49], v[50:51]
	s_delay_alu instid0(VALU_DEP_1) | instskip(NEXT) | instid1(VALU_DEP_1)
	v_add_f64_e32 v[50:51], v[58:59], v[48:49]
	v_mul_f64_e32 v[56:57], v[54:55], v[50:51]
	v_add_f64_e64 v[58:59], v[58:59], -v[50:51]
	s_delay_alu instid0(VALU_DEP_2) | instskip(NEXT) | instid1(VALU_DEP_2)
	v_mul_f64_e32 v[60:61], v[52:53], v[56:57]
	v_add_f64_e32 v[48:49], v[48:49], v[58:59]
	s_delay_alu instid0(VALU_DEP_2) | instskip(NEXT) | instid1(VALU_DEP_1)
	v_fma_f64 v[62:63], v[56:57], v[52:53], -v[60:61]
	v_fmac_f64_e32 v[62:63], v[56:57], v[46:47]
	s_delay_alu instid0(VALU_DEP_1) | instskip(NEXT) | instid1(VALU_DEP_1)
	v_add_f64_e32 v[70:71], v[60:61], v[62:63]
	v_add_f64_e64 v[66:67], v[50:51], -v[70:71]
	v_add_f64_e64 v[58:59], v[70:71], -v[60:61]
	v_fmaak_f64 v[60:61], v[64:65], v[68:69], 0x3f21e634a7943acf
	s_delay_alu instid0(VALU_DEP_1) | instskip(NEXT) | instid1(VALU_DEP_1)
	v_fmaak_f64 v[60:61], v[64:65], v[60:61], 0x3f2d250fdeb68feb
	v_fmaak_f64 v[60:61], v[64:65], v[60:61], 0x3f437fd9b58c4d95
	s_delay_alu instid0(VALU_DEP_1) | instskip(NEXT) | instid1(VALU_DEP_1)
	v_fmaak_f64 v[60:61], v[64:65], v[60:61], 0x3f57d5af15120e2c
	v_fmaak_f64 v[60:61], v[64:65], v[60:61], 0x3f6d6d93e09491df
	v_add_f64_e64 v[50:51], v[50:51], -v[66:67]
	v_add_f64_e64 v[58:59], v[58:59], -v[62:63]
	s_delay_alu instid0(VALU_DEP_2) | instskip(NEXT) | instid1(VALU_DEP_1)
	v_add_f64_e64 v[50:51], v[50:51], -v[70:71]
	v_add_f64_e32 v[48:49], v[48:49], v[50:51]
	v_fmaak_f64 v[50:51], v[64:65], v[60:61], 0x3f8226e12033784d
	v_add_f64_e32 v[60:61], v[54:55], v[56:57]
	s_delay_alu instid0(VALU_DEP_2) | instskip(NEXT) | instid1(VALU_DEP_1)
	v_fmaak_f64 v[50:51], v[64:65], v[50:51], 0x3f9664f49ac36ae2
	v_fmaak_f64 v[50:51], v[64:65], v[50:51], 0x3faba1ba1b451c21
	s_delay_alu instid0(VALU_DEP_1) | instskip(NEXT) | instid1(VALU_DEP_1)
	v_fmaak_f64 v[50:51], v[64:65], v[50:51], 0x3fc11111111185b7
	v_fmaak_f64 v[50:51], v[64:65], v[50:51], 0x3fd55555555554ee
	v_add_f64_e32 v[48:49], v[58:59], v[48:49]
	v_add_f64_e64 v[58:59], v[60:61], -v[54:55]
	s_delay_alu instid0(VALU_DEP_3) | instskip(NEXT) | instid1(VALU_DEP_3)
	v_mul_f64_e32 v[50:51], v[64:65], v[50:51]
	v_add_f64_e32 v[48:49], v[66:67], v[48:49]
	s_delay_alu instid0(VALU_DEP_3) | instskip(NEXT) | instid1(VALU_DEP_3)
	v_add_f64_e64 v[56:57], v[56:57], -v[58:59]
	v_mul_f64_e32 v[62:63], v[40:41], v[50:51]
	s_delay_alu instid0(VALU_DEP_3) | instskip(NEXT) | instid1(VALU_DEP_2)
	v_mul_f64_e32 v[48:49], v[54:55], v[48:49]
	v_add_f64_e32 v[54:55], v[40:41], v[62:63]
	v_fma_f64 v[50:51], v[40:41], v[50:51], -v[62:63]
	s_delay_alu instid0(VALU_DEP_3) | instskip(NEXT) | instid1(VALU_DEP_3)
	v_add_f64_e32 v[48:49], v[56:57], v[48:49]
	v_add_f64_e64 v[40:41], v[54:55], -v[40:41]
	s_delay_alu instid0(VALU_DEP_3) | instskip(NEXT) | instid1(VALU_DEP_3)
	v_add_f64_e32 v[42:43], v[42:43], v[50:51]
	v_add_f64_e32 v[56:57], v[60:61], v[48:49]
	s_delay_alu instid0(VALU_DEP_3) | instskip(NEXT) | instid1(VALU_DEP_2)
	v_add_f64_e64 v[40:41], v[62:63], -v[40:41]
	v_ldexp_f64 v[50:51], v[56:57], -2
	v_add_f64_e64 v[56:57], v[56:57], -v[60:61]
	s_delay_alu instid0(VALU_DEP_3) | instskip(NEXT) | instid1(VALU_DEP_3)
	v_add_f64_e32 v[40:41], v[42:43], v[40:41]
	v_add_f64_e64 v[42:43], v[52:53], -v[50:51]
	s_delay_alu instid0(VALU_DEP_3) | instskip(NEXT) | instid1(VALU_DEP_3)
	v_add_f64_e64 v[48:49], v[48:49], -v[56:57]
	v_add_f64_e32 v[58:59], v[54:55], v[40:41]
	s_delay_alu instid0(VALU_DEP_3) | instskip(NEXT) | instid1(VALU_DEP_3)
	v_add_f64_e64 v[52:53], v[52:53], -v[42:43]
	v_ldexp_f64 v[48:49], v[48:49], -2
	s_delay_alu instid0(VALU_DEP_3) | instskip(NEXT) | instid1(VALU_DEP_2)
	v_rcp_f64_e32 v[60:61], v[58:59]
	v_add_f64_e64 v[50:51], v[52:53], -v[50:51]
	s_delay_alu instid0(TRANS32_DEP_1) | instskip(NEXT) | instid1(VALU_DEP_2)
	v_fma_f64 v[52:53], -v[58:59], v[60:61], 1.0
	v_add_f64_e32 v[46:47], v[46:47], v[50:51]
	s_delay_alu instid0(VALU_DEP_2) | instskip(NEXT) | instid1(VALU_DEP_2)
	v_fmac_f64_e32 v[60:61], v[52:53], v[60:61]
	v_add_f64_e64 v[46:47], v[46:47], -v[48:49]
	s_delay_alu instid0(VALU_DEP_2) | instskip(NEXT) | instid1(VALU_DEP_2)
	v_fma_f64 v[48:49], -v[58:59], v[60:61], 1.0
	v_add_f64_e32 v[42:43], v[42:43], v[46:47]
	s_delay_alu instid0(VALU_DEP_2) | instskip(NEXT) | instid1(VALU_DEP_2)
	v_fmac_f64_e32 v[60:61], v[48:49], v[60:61]
	v_cndmask_b32_e32 v12, 0x7ff00000, v43, vcc_lo
	s_delay_alu instid0(VALU_DEP_3) | instskip(SKIP_3) | instid1(VALU_DEP_3)
	v_cndmask_b32_e32 v23, 0, v42, vcc_lo
	v_cmp_gt_f64_e64 vcc_lo, 0x3e400000, |v[10:11]|
	v_add_f64_e64 v[42:43], v[58:59], -v[54:55]
	v_mul_f64_e32 v[46:47], v[58:59], v[60:61]
	v_dual_cndmask_b32 v12, v12, v44, vcc_lo :: v_dual_cndmask_b32 v10, v23, v10, vcc_lo
	s_delay_alu instid0(VALU_DEP_3) | instskip(NEXT) | instid1(VALU_DEP_2)
	v_add_f64_e64 v[40:41], v[40:41], -v[42:43]
	v_bfi_b32 v11, 0x7fffffff, v12, v11
	s_delay_alu instid0(VALU_DEP_4) | instskip(NEXT) | instid1(VALU_DEP_2)
	v_fma_f64 v[42:43], v[60:61], v[58:59], -v[46:47]
	v_fma_f64 v[48:49], v[10:11], v[10:11], 1.0
	s_delay_alu instid0(VALU_DEP_2) | instskip(NEXT) | instid1(VALU_DEP_2)
	v_fmac_f64_e32 v[42:43], v[60:61], v[40:41]
	v_cmp_gt_f64_e32 vcc_lo, 0x10000000, v[48:49]
	v_cndmask_b32_e64 v12, 0, 0x100, vcc_lo
	s_delay_alu instid0(VALU_DEP_1) | instskip(NEXT) | instid1(VALU_DEP_4)
	v_ldexp_f64 v[40:41], v[48:49], v12
	v_dual_add_f64 v[48:49], v[46:47], v[42:43] :: v_dual_bitop2_b32 v12, 1, v45 bitop3:0x40
	s_delay_alu instid0(VALU_DEP_1) | instskip(NEXT) | instid1(VALU_DEP_3)
	v_cmp_eq_u32_e64 s4, 0, v12
	v_rsq_f64_e32 v[50:51], v[40:41]
	s_delay_alu instid0(VALU_DEP_2) | instskip(SKIP_1) | instid1(VALU_DEP_2)
	v_add_f64_e64 v[52:53], -v[48:49], 1.0
	v_add_f64_e64 v[46:47], v[48:49], -v[46:47]
	v_add_f64_e64 v[56:57], -v[52:53], 1.0
	s_delay_alu instid0(VALU_DEP_2) | instskip(NEXT) | instid1(TRANS32_DEP_1)
	v_add_f64_e64 v[42:43], v[46:47], -v[42:43]
	v_mul_f64_e32 v[54:55], v[40:41], v[50:51]
	v_mul_f64_e32 v[50:51], 0.5, v[50:51]
	s_delay_alu instid0(VALU_DEP_4) | instskip(NEXT) | instid1(VALU_DEP_2)
	v_add_f64_e64 v[46:47], v[56:57], -v[48:49]
	v_fma_f64 v[62:63], -v[50:51], v[54:55], 0.5
	s_delay_alu instid0(VALU_DEP_2) | instskip(NEXT) | instid1(VALU_DEP_2)
	v_add_f64_e32 v[42:43], v[42:43], v[46:47]
	v_fmac_f64_e32 v[54:55], v[54:55], v[62:63]
	v_fmac_f64_e32 v[50:51], v[50:51], v[62:63]
	s_delay_alu instid0(VALU_DEP_3) | instskip(NEXT) | instid1(VALU_DEP_3)
	v_add_f64_e32 v[42:43], v[52:53], v[42:43]
	v_fma_f64 v[46:47], -v[54:55], v[54:55], v[40:41]
	s_delay_alu instid0(VALU_DEP_2) | instskip(NEXT) | instid1(VALU_DEP_2)
	v_mul_f64_e32 v[42:43], v[60:61], v[42:43]
	v_fmac_f64_e32 v[54:55], v[46:47], v[50:51]
	s_delay_alu instid0(VALU_DEP_2) | instskip(NEXT) | instid1(VALU_DEP_2)
	v_add_f64_e32 v[42:43], v[60:61], v[42:43]
	v_fma_f64 v[46:47], -v[54:55], v[54:55], v[40:41]
	s_delay_alu instid0(VALU_DEP_2) | instskip(NEXT) | instid1(VALU_DEP_3)
	v_xor_b32_e32 v23, 0x80000000, v43
	v_cndmask_b32_e64 v12, v42, v58, s4
	v_cndmask_b32_e64 v42, 0, 0xffffff80, vcc_lo
	v_cmp_class_f64_e64 vcc_lo, v[40:41], 0x260
	s_delay_alu instid0(VALU_DEP_4) | instskip(SKIP_1) | instid1(VALU_DEP_2)
	v_cndmask_b32_e64 v23, v23, v59, s4
	v_fmac_f64_e32 v[54:55], v[46:47], v[50:51]
	v_bitop3_b32 v13, v23, v13, 0x80000000 bitop3:0x78
	s_delay_alu instid0(VALU_DEP_1) | instskip(NEXT) | instid1(VALU_DEP_3)
	v_fma_f64 v[44:45], v[12:13], v[12:13], 1.0
	v_ldexp_f64 v[42:43], v[54:55], v42
	s_delay_alu instid0(VALU_DEP_1) | instskip(NEXT) | instid1(VALU_DEP_3)
	v_dual_cndmask_b32 v41, v43, v41 :: v_dual_cndmask_b32 v40, v42, v40
	v_mul_f64_e32 v[42:43], v[10:11], v[44:45]
	s_delay_alu instid0(VALU_DEP_2) | instskip(NEXT) | instid1(VALU_DEP_2)
	v_mul_f64_e32 v[40:41], v[40:41], v[44:45]
	v_fma_f64 v[42:43], v[10:11], v[42:43], 1.0
	s_delay_alu instid0(VALU_DEP_2) | instskip(NEXT) | instid1(VALU_DEP_2)
	v_mul_f64_e32 v[10:11], v[10:11], v[40:41]
	v_div_scale_f64 v[44:45], null, v[42:43], v[42:43], v[12:13]
	s_delay_alu instid0(VALU_DEP_2) | instskip(SKIP_1) | instid1(VALU_DEP_3)
	v_div_scale_f64 v[40:41], null, v[42:43], v[42:43], v[10:11]
	v_div_scale_f64 v[54:55], vcc_lo, v[10:11], v[42:43], v[10:11]
	v_rcp_f64_e32 v[48:49], v[44:45]
	s_delay_alu instid0(VALU_DEP_2) | instskip(NEXT) | instid1(TRANS32_DEP_2)
	v_rcp_f64_e32 v[46:47], v[40:41]
	v_fma_f64 v[52:53], -v[44:45], v[48:49], 1.0
	s_delay_alu instid0(TRANS32_DEP_1) | instskip(NEXT) | instid1(VALU_DEP_2)
	v_fma_f64 v[50:51], -v[40:41], v[46:47], 1.0
	v_fmac_f64_e32 v[48:49], v[48:49], v[52:53]
	s_delay_alu instid0(VALU_DEP_2) | instskip(NEXT) | instid1(VALU_DEP_2)
	v_fmac_f64_e32 v[46:47], v[46:47], v[50:51]
	v_fma_f64 v[52:53], -v[44:45], v[48:49], 1.0
	s_delay_alu instid0(VALU_DEP_2) | instskip(NEXT) | instid1(VALU_DEP_2)
	v_fma_f64 v[50:51], -v[40:41], v[46:47], 1.0
	v_fmac_f64_e32 v[48:49], v[48:49], v[52:53]
	s_delay_alu instid0(VALU_DEP_2) | instskip(SKIP_1) | instid1(VALU_DEP_2)
	v_fmac_f64_e32 v[46:47], v[46:47], v[50:51]
	v_div_scale_f64 v[50:51], s4, v[12:13], v[42:43], v[12:13]
	v_mul_f64_e32 v[52:53], v[54:55], v[46:47]
	s_delay_alu instid0(VALU_DEP_2) | instskip(NEXT) | instid1(VALU_DEP_2)
	v_mul_f64_e32 v[56:57], v[50:51], v[48:49]
	v_fma_f64 v[40:41], -v[40:41], v[52:53], v[54:55]
	s_delay_alu instid0(VALU_DEP_2) | instskip(NEXT) | instid1(VALU_DEP_2)
	v_fma_f64 v[44:45], -v[44:45], v[56:57], v[50:51]
	v_div_fmas_f64 v[40:41], v[40:41], v[46:47], v[52:53]
	s_mov_b32 vcc_lo, s4
	s_delay_alu instid0(VALU_DEP_2) | instskip(NEXT) | instid1(VALU_DEP_2)
	v_div_fmas_f64 v[44:45], v[44:45], v[48:49], v[56:57]
	v_div_fixup_f64 v[10:11], v[40:41], v[42:43], v[10:11]
	s_delay_alu instid0(VALU_DEP_2)
	v_div_fixup_f64 v[12:13], v[44:45], v[42:43], v[12:13]
.LBB155_291:                            ;   in Loop: Header=BB155_161 Depth=1
	s_and_not1_saveexec_b32 s4, s35
	s_cbranch_execz .LBB155_312
; %bb.292:                              ;   in Loop: Header=BB155_161 Depth=1
	s_delay_alu instid0(VALU_DEP_1) | instskip(SKIP_1) | instid1(SALU_CYCLE_1)
	v_cmp_ngt_f64_e64 s35, 0x41d00000, |v[12:13]|
                                        ; implicit-def: $vgpr48
                                        ; implicit-def: $vgpr40_vgpr41
                                        ; implicit-def: $vgpr42_vgpr43
	s_and_saveexec_b32 s36, s35
	s_xor_b32 s36, exec_lo, s36
	s_cbranch_execz .LBB155_301
; %bb.293:                              ;   in Loop: Header=BB155_161 Depth=1
	v_ldexp_f64 v[40:41], |v[12:13]|, 0xffffff80
	v_cmp_le_f64_e64 vcc_lo, 0x7b000000, |v[12:13]|
	v_trig_preop_f64 v[42:43], |v[12:13]|, 0
	v_and_b32_e32 v23, 0x7fffffff, v13
	v_trig_preop_f64 v[44:45], |v[12:13]|, 1
	v_trig_preop_f64 v[54:55], |v[12:13]|, 2
	s_delay_alu instid0(VALU_DEP_3) | instskip(NEXT) | instid1(VALU_DEP_1)
	v_dual_cndmask_b32 v41, v23, v41 :: v_dual_cndmask_b32 v40, v12, v40
	v_mul_f64_e32 v[46:47], v[42:43], v[40:41]
	s_delay_alu instid0(VALU_DEP_4) | instskip(NEXT) | instid1(VALU_DEP_4)
	v_mul_f64_e32 v[48:49], v[44:45], v[40:41]
	v_mul_f64_e32 v[60:61], v[54:55], v[40:41]
	s_delay_alu instid0(VALU_DEP_3) | instskip(NEXT) | instid1(VALU_DEP_3)
	v_fma_f64 v[42:43], v[42:43], v[40:41], -v[46:47]
	v_fma_f64 v[44:45], v[44:45], v[40:41], -v[48:49]
	s_delay_alu instid0(VALU_DEP_3) | instskip(NEXT) | instid1(VALU_DEP_3)
	v_fma_f64 v[40:41], v[54:55], v[40:41], -v[60:61]
	v_add_f64_e32 v[50:51], v[48:49], v[42:43]
	s_delay_alu instid0(VALU_DEP_1) | instskip(SKIP_1) | instid1(VALU_DEP_2)
	v_add_f64_e64 v[52:53], v[50:51], -v[48:49]
	v_add_f64_e32 v[58:59], v[46:47], v[50:51]
	v_add_f64_e64 v[56:57], v[50:51], -v[52:53]
	v_add_f64_e64 v[42:43], v[42:43], -v[52:53]
	s_delay_alu instid0(VALU_DEP_3) | instskip(NEXT) | instid1(VALU_DEP_3)
	v_ldexp_f64 v[52:53], v[58:59], -2
	v_add_f64_e64 v[48:49], v[48:49], -v[56:57]
	v_add_f64_e32 v[56:57], v[60:61], v[44:45]
	s_delay_alu instid0(VALU_DEP_3) | instskip(NEXT) | instid1(VALU_DEP_3)
	v_cmp_neq_f64_e64 vcc_lo, 0x7ff00000, |v[52:53]|
	v_add_f64_e32 v[42:43], v[42:43], v[48:49]
	v_fract_f64_e32 v[48:49], v[52:53]
	s_delay_alu instid0(VALU_DEP_1) | instskip(NEXT) | instid1(VALU_DEP_1)
	v_ldexp_f64 v[48:49], v[48:49], 2
	v_dual_add_f64 v[46:47], v[58:59], -v[46:47] :: v_dual_cndmask_b32 v48, 0, v48, vcc_lo
	s_delay_alu instid0(VALU_DEP_1) | instskip(SKIP_1) | instid1(VALU_DEP_1)
	v_dual_add_f64 v[46:47], v[50:51], -v[46:47] :: v_dual_cndmask_b32 v49, 0, v49, vcc_lo
	v_add_f64_e32 v[50:51], v[56:57], v[42:43]
	v_add_f64_e32 v[52:53], v[46:47], v[50:51]
	v_add_f64_e64 v[62:63], v[50:51], -v[56:57]
	s_delay_alu instid0(VALU_DEP_2) | instskip(NEXT) | instid1(VALU_DEP_2)
	v_add_f64_e32 v[58:59], v[52:53], v[48:49]
	v_add_f64_e64 v[68:69], v[50:51], -v[62:63]
	v_add_f64_e64 v[42:43], v[42:43], -v[62:63]
	;; [unrolled: 1-line block ×3, first 2 shown]
	s_delay_alu instid0(VALU_DEP_4) | instskip(SKIP_1) | instid1(VALU_DEP_3)
	v_cmp_gt_f64_e32 vcc_lo, 0, v[58:59]
	v_add_f64_e64 v[58:59], v[56:57], -v[60:61]
	v_add_f64_e64 v[46:47], v[50:51], -v[46:47]
	v_cndmask_b32_e64 v23, 0, 0x40100000, vcc_lo
	s_delay_alu instid0(VALU_DEP_3) | instskip(SKIP_2) | instid1(VALU_DEP_4)
	v_add_f64_e64 v[66:67], v[56:57], -v[58:59]
	v_add_f64_e64 v[44:45], v[44:45], -v[58:59]
	;; [unrolled: 1-line block ×3, first 2 shown]
	v_add_f64_e32 v[48:49], v[48:49], v[22:23]
	s_delay_alu instid0(VALU_DEP_4) | instskip(NEXT) | instid1(VALU_DEP_3)
	v_add_f64_e64 v[58:59], v[60:61], -v[66:67]
	v_add_f64_e32 v[42:43], v[42:43], v[56:57]
	s_delay_alu instid0(VALU_DEP_3) | instskip(NEXT) | instid1(VALU_DEP_3)
	v_add_f64_e32 v[64:65], v[52:53], v[48:49]
	v_add_f64_e32 v[44:45], v[44:45], v[58:59]
	s_delay_alu instid0(VALU_DEP_2) | instskip(NEXT) | instid1(VALU_DEP_2)
	v_cvt_i32_f64_e32 v23, v[64:65]
	v_add_f64_e32 v[42:43], v[44:45], v[42:43]
	s_delay_alu instid0(VALU_DEP_2) | instskip(NEXT) | instid1(VALU_DEP_2)
	v_cvt_f64_i32_e32 v[62:63], v23
	v_add_f64_e32 v[40:41], v[40:41], v[42:43]
	s_delay_alu instid0(VALU_DEP_2) | instskip(NEXT) | instid1(VALU_DEP_2)
	v_add_f64_e64 v[48:49], v[48:49], -v[62:63]
	v_add_f64_e32 v[40:41], v[46:47], v[40:41]
	s_delay_alu instid0(VALU_DEP_2) | instskip(NEXT) | instid1(VALU_DEP_1)
	v_add_f64_e32 v[44:45], v[52:53], v[48:49]
	v_add_f64_e64 v[42:43], v[44:45], -v[48:49]
	v_cmp_le_f64_e32 vcc_lo, 0.5, v[44:45]
	s_delay_alu instid0(VALU_DEP_2) | instskip(SKIP_2) | instid1(VALU_DEP_3)
	v_add_f64_e64 v[42:43], v[52:53], -v[42:43]
	v_add_co_ci_u32_e64 v48, null, 0, v23, vcc_lo
	v_cndmask_b32_e64 v23, 0, 0x3ff00000, vcc_lo
	v_add_f64_e32 v[40:41], v[40:41], v[42:43]
	s_delay_alu instid0(VALU_DEP_2) | instskip(NEXT) | instid1(VALU_DEP_1)
	v_add_f64_e64 v[42:43], v[44:45], -v[22:23]
	v_add_f64_e32 v[44:45], v[42:43], v[40:41]
	s_delay_alu instid0(VALU_DEP_1) | instskip(SKIP_1) | instid1(VALU_DEP_2)
	v_mul_f64_e32 v[46:47], 0x3ff921fb54442d18, v[44:45]
	v_add_f64_e64 v[42:43], v[44:45], -v[42:43]
	v_fma_f64 v[50:51], v[44:45], s[12:13], -v[46:47]
	s_delay_alu instid0(VALU_DEP_2) | instskip(NEXT) | instid1(VALU_DEP_2)
	v_add_f64_e64 v[40:41], v[40:41], -v[42:43]
	v_fmac_f64_e32 v[50:51], 0x3c91a62633145c07, v[44:45]
	s_delay_alu instid0(VALU_DEP_1) | instskip(NEXT) | instid1(VALU_DEP_1)
	v_fmac_f64_e32 v[50:51], 0x3ff921fb54442d18, v[40:41]
	v_add_f64_e32 v[40:41], v[46:47], v[50:51]
	s_delay_alu instid0(VALU_DEP_1) | instskip(NEXT) | instid1(VALU_DEP_1)
	v_add_f64_e64 v[42:43], v[40:41], -v[46:47]
	v_add_f64_e64 v[42:43], v[50:51], -v[42:43]
	s_and_not1_saveexec_b32 s36, s36
	s_cbranch_execz .LBB155_303
	s_branch .LBB155_302
.LBB155_294:                            ;   in Loop: Header=BB155_161 Depth=1
	s_and_not1_saveexec_b32 s34, s5
	s_cbranch_execz .LBB155_316
.LBB155_295:                            ;   in Loop: Header=BB155_161 Depth=1
	s_delay_alu instid0(VALU_DEP_1) | instskip(SKIP_1) | instid1(VALU_DEP_1)
	v_and_or_b32 v23, 0xfffff, v11, v10
	s_mov_b32 s4, exec_lo
	v_cmpx_ne_u32_e32 0, v23
	s_xor_b32 s4, exec_lo, s4
	s_cbranch_execz .LBB155_297
; %bb.296:                              ;   in Loop: Header=BB155_161 Depth=1
	s_delay_alu instid0(VALU_DEP_3) | instskip(SKIP_1) | instid1(VALU_DEP_2)
	v_mul_f64_e32 v[40:41], v[12:13], v[10:11]
	v_cmp_eq_f64_e32 vcc_lo, 0, v[12:13]
	v_dual_cndmask_b32 v13, v41, v13 :: v_dual_cndmask_b32 v12, v40, v12
.LBB155_297:                            ;   in Loop: Header=BB155_161 Depth=1
	s_and_not1_saveexec_b32 s35, s4
	s_cbranch_execz .LBB155_324
; %bb.298:                              ;   in Loop: Header=BB155_161 Depth=1
	s_mov_b32 s36, exec_lo
	s_delay_alu instid0(VALU_DEP_1)
	v_cmpx_neq_f64_e64 0x7ff00000, |v[12:13]|
	s_cbranch_execz .LBB155_323
; %bb.299:                              ;   in Loop: Header=BB155_161 Depth=1
	v_cmp_ngt_f64_e64 s4, 0x41d00000, |v[12:13]|
                                        ; implicit-def: $vgpr48
                                        ; implicit-def: $vgpr40_vgpr41
                                        ; implicit-def: $vgpr42_vgpr43
	s_and_saveexec_b32 s5, s4
	s_delay_alu instid0(SALU_CYCLE_1)
	s_xor_b32 s5, exec_lo, s5
	s_cbranch_execz .LBB155_305
; %bb.300:                              ;   in Loop: Header=BB155_161 Depth=1
	v_ldexp_f64 v[40:41], |v[12:13]|, 0xffffff80
	v_cmp_le_f64_e64 vcc_lo, 0x7b000000, |v[12:13]|
	v_trig_preop_f64 v[42:43], |v[12:13]|, 0
	v_and_b32_e32 v23, 0x7fffffff, v13
	v_trig_preop_f64 v[44:45], |v[12:13]|, 1
	v_trig_preop_f64 v[54:55], |v[12:13]|, 2
	s_delay_alu instid0(VALU_DEP_3) | instskip(NEXT) | instid1(VALU_DEP_1)
	v_dual_cndmask_b32 v41, v23, v41 :: v_dual_cndmask_b32 v40, v12, v40
	v_mul_f64_e32 v[46:47], v[42:43], v[40:41]
	s_delay_alu instid0(VALU_DEP_4) | instskip(NEXT) | instid1(VALU_DEP_4)
	v_mul_f64_e32 v[48:49], v[44:45], v[40:41]
	v_mul_f64_e32 v[60:61], v[54:55], v[40:41]
	s_delay_alu instid0(VALU_DEP_3) | instskip(NEXT) | instid1(VALU_DEP_3)
	v_fma_f64 v[42:43], v[42:43], v[40:41], -v[46:47]
	v_fma_f64 v[44:45], v[44:45], v[40:41], -v[48:49]
	s_delay_alu instid0(VALU_DEP_3) | instskip(NEXT) | instid1(VALU_DEP_3)
	v_fma_f64 v[40:41], v[54:55], v[40:41], -v[60:61]
	v_add_f64_e32 v[50:51], v[48:49], v[42:43]
	s_delay_alu instid0(VALU_DEP_1) | instskip(SKIP_1) | instid1(VALU_DEP_2)
	v_add_f64_e64 v[52:53], v[50:51], -v[48:49]
	v_add_f64_e32 v[58:59], v[46:47], v[50:51]
	v_add_f64_e64 v[56:57], v[50:51], -v[52:53]
	v_add_f64_e64 v[42:43], v[42:43], -v[52:53]
	s_delay_alu instid0(VALU_DEP_3) | instskip(NEXT) | instid1(VALU_DEP_3)
	v_ldexp_f64 v[52:53], v[58:59], -2
	v_add_f64_e64 v[48:49], v[48:49], -v[56:57]
	v_add_f64_e32 v[56:57], v[60:61], v[44:45]
	s_delay_alu instid0(VALU_DEP_3) | instskip(NEXT) | instid1(VALU_DEP_3)
	v_cmp_neq_f64_e64 vcc_lo, 0x7ff00000, |v[52:53]|
	v_add_f64_e32 v[42:43], v[42:43], v[48:49]
	v_fract_f64_e32 v[48:49], v[52:53]
	s_delay_alu instid0(VALU_DEP_1) | instskip(NEXT) | instid1(VALU_DEP_1)
	v_ldexp_f64 v[48:49], v[48:49], 2
	v_dual_add_f64 v[46:47], v[58:59], -v[46:47] :: v_dual_cndmask_b32 v48, 0, v48, vcc_lo
	s_delay_alu instid0(VALU_DEP_1) | instskip(SKIP_1) | instid1(VALU_DEP_1)
	v_dual_add_f64 v[46:47], v[50:51], -v[46:47] :: v_dual_cndmask_b32 v49, 0, v49, vcc_lo
	v_add_f64_e32 v[50:51], v[56:57], v[42:43]
	v_add_f64_e32 v[52:53], v[46:47], v[50:51]
	v_add_f64_e64 v[62:63], v[50:51], -v[56:57]
	s_delay_alu instid0(VALU_DEP_2) | instskip(NEXT) | instid1(VALU_DEP_2)
	v_add_f64_e32 v[58:59], v[52:53], v[48:49]
	v_add_f64_e64 v[68:69], v[50:51], -v[62:63]
	v_add_f64_e64 v[42:43], v[42:43], -v[62:63]
	v_add_f64_e64 v[46:47], v[52:53], -v[46:47]
	s_delay_alu instid0(VALU_DEP_4) | instskip(SKIP_1) | instid1(VALU_DEP_3)
	v_cmp_gt_f64_e32 vcc_lo, 0, v[58:59]
	v_add_f64_e64 v[58:59], v[56:57], -v[60:61]
	v_add_f64_e64 v[46:47], v[50:51], -v[46:47]
	v_cndmask_b32_e64 v23, 0, 0x40100000, vcc_lo
	s_delay_alu instid0(VALU_DEP_3) | instskip(SKIP_2) | instid1(VALU_DEP_4)
	v_add_f64_e64 v[66:67], v[56:57], -v[58:59]
	v_add_f64_e64 v[44:45], v[44:45], -v[58:59]
	;; [unrolled: 1-line block ×3, first 2 shown]
	v_add_f64_e32 v[48:49], v[48:49], v[22:23]
	s_delay_alu instid0(VALU_DEP_4) | instskip(NEXT) | instid1(VALU_DEP_3)
	v_add_f64_e64 v[58:59], v[60:61], -v[66:67]
	v_add_f64_e32 v[42:43], v[42:43], v[56:57]
	s_delay_alu instid0(VALU_DEP_3) | instskip(NEXT) | instid1(VALU_DEP_3)
	v_add_f64_e32 v[64:65], v[52:53], v[48:49]
	v_add_f64_e32 v[44:45], v[44:45], v[58:59]
	s_delay_alu instid0(VALU_DEP_2) | instskip(NEXT) | instid1(VALU_DEP_2)
	v_cvt_i32_f64_e32 v23, v[64:65]
	v_add_f64_e32 v[42:43], v[44:45], v[42:43]
	s_delay_alu instid0(VALU_DEP_2) | instskip(NEXT) | instid1(VALU_DEP_2)
	v_cvt_f64_i32_e32 v[62:63], v23
	v_add_f64_e32 v[40:41], v[40:41], v[42:43]
	s_delay_alu instid0(VALU_DEP_2) | instskip(NEXT) | instid1(VALU_DEP_2)
	v_add_f64_e64 v[48:49], v[48:49], -v[62:63]
	v_add_f64_e32 v[40:41], v[46:47], v[40:41]
	s_delay_alu instid0(VALU_DEP_2) | instskip(NEXT) | instid1(VALU_DEP_1)
	v_add_f64_e32 v[44:45], v[52:53], v[48:49]
	v_add_f64_e64 v[42:43], v[44:45], -v[48:49]
	v_cmp_le_f64_e32 vcc_lo, 0.5, v[44:45]
	s_delay_alu instid0(VALU_DEP_2) | instskip(SKIP_2) | instid1(VALU_DEP_3)
	v_add_f64_e64 v[42:43], v[52:53], -v[42:43]
	v_add_co_ci_u32_e64 v48, null, 0, v23, vcc_lo
	v_cndmask_b32_e64 v23, 0, 0x3ff00000, vcc_lo
	v_add_f64_e32 v[40:41], v[40:41], v[42:43]
	s_delay_alu instid0(VALU_DEP_2) | instskip(NEXT) | instid1(VALU_DEP_1)
	v_add_f64_e64 v[42:43], v[44:45], -v[22:23]
	v_add_f64_e32 v[44:45], v[42:43], v[40:41]
	s_delay_alu instid0(VALU_DEP_1) | instskip(SKIP_1) | instid1(VALU_DEP_2)
	v_mul_f64_e32 v[46:47], 0x3ff921fb54442d18, v[44:45]
	v_add_f64_e64 v[42:43], v[44:45], -v[42:43]
	v_fma_f64 v[50:51], v[44:45], s[12:13], -v[46:47]
	s_delay_alu instid0(VALU_DEP_2) | instskip(NEXT) | instid1(VALU_DEP_2)
	v_add_f64_e64 v[40:41], v[40:41], -v[42:43]
	v_fmac_f64_e32 v[50:51], 0x3c91a62633145c07, v[44:45]
	s_delay_alu instid0(VALU_DEP_1) | instskip(NEXT) | instid1(VALU_DEP_1)
	v_fmac_f64_e32 v[50:51], 0x3ff921fb54442d18, v[40:41]
	v_add_f64_e32 v[40:41], v[46:47], v[50:51]
	s_delay_alu instid0(VALU_DEP_1) | instskip(NEXT) | instid1(VALU_DEP_1)
	v_add_f64_e64 v[42:43], v[40:41], -v[46:47]
	v_add_f64_e64 v[42:43], v[50:51], -v[42:43]
	s_and_not1_saveexec_b32 s5, s5
	s_cbranch_execz .LBB155_307
	s_branch .LBB155_306
.LBB155_301:                            ;   in Loop: Header=BB155_161 Depth=1
	s_and_not1_saveexec_b32 s36, s36
	s_cbranch_execz .LBB155_303
.LBB155_302:                            ;   in Loop: Header=BB155_161 Depth=1
	v_mul_f64_e64 v[40:41], |v[12:13]|, s[14:15]
	s_delay_alu instid0(VALU_DEP_1) | instskip(NEXT) | instid1(VALU_DEP_1)
	v_rndne_f64_e32 v[44:45], v[40:41]
	v_fma_f64 v[40:41], v[44:45], s[16:17], |v[12:13]|
	v_mul_f64_e32 v[42:43], 0xbc91a62633145c00, v[44:45]
	s_delay_alu instid0(VALU_DEP_2) | instskip(NEXT) | instid1(VALU_DEP_2)
	v_fmamk_f64 v[50:51], v[44:45], 0xbc91a62633145c00, v[40:41]
	v_add_f64_e32 v[46:47], v[40:41], v[42:43]
	s_delay_alu instid0(VALU_DEP_1) | instskip(NEXT) | instid1(VALU_DEP_3)
	v_add_f64_e64 v[48:49], v[40:41], -v[46:47]
	v_add_f64_e64 v[40:41], v[46:47], -v[50:51]
	s_delay_alu instid0(VALU_DEP_2) | instskip(SKIP_2) | instid1(VALU_DEP_3)
	v_add_f64_e32 v[46:47], v[48:49], v[42:43]
	v_fmamk_f64 v[42:43], v[44:45], 0x3c91a62633145c00, v[42:43]
	v_cvt_i32_f64_e32 v48, v[44:45]
	v_add_f64_e32 v[40:41], v[40:41], v[46:47]
	s_delay_alu instid0(VALU_DEP_1) | instskip(NEXT) | instid1(VALU_DEP_1)
	v_add_f64_e64 v[42:43], v[40:41], -v[42:43]
	v_fmac_f64_e32 v[42:43], 0xb97b839a252049c0, v[44:45]
	s_delay_alu instid0(VALU_DEP_1) | instskip(NEXT) | instid1(VALU_DEP_1)
	v_add_f64_e32 v[40:41], v[50:51], v[42:43]
	v_add_f64_e64 v[46:47], v[40:41], -v[50:51]
	s_delay_alu instid0(VALU_DEP_1)
	v_add_f64_e64 v[42:43], v[42:43], -v[46:47]
.LBB155_303:                            ;   in Loop: Header=BB155_161 Depth=1
	s_or_b32 exec_lo, exec_lo, s36
                                        ; implicit-def: $vgpr49
                                        ; implicit-def: $vgpr44_vgpr45
                                        ; implicit-def: $vgpr46_vgpr47
	s_and_saveexec_b32 s36, s35
	s_delay_alu instid0(SALU_CYCLE_1)
	s_xor_b32 s35, exec_lo, s36
	s_cbranch_execz .LBB155_309
; %bb.304:                              ;   in Loop: Header=BB155_161 Depth=1
	v_ldexp_f64 v[44:45], |v[12:13]|, 0xffffff80
	v_cmp_le_f64_e64 vcc_lo, 0x7b000000, |v[12:13]|
	v_trig_preop_f64 v[46:47], |v[12:13]|, 0
	v_and_b32_e32 v23, 0x7fffffff, v13
	v_trig_preop_f64 v[50:51], |v[12:13]|, 1
	v_trig_preop_f64 v[60:61], |v[12:13]|, 2
	s_delay_alu instid0(VALU_DEP_3) | instskip(NEXT) | instid1(VALU_DEP_1)
	v_dual_cndmask_b32 v45, v23, v45 :: v_dual_cndmask_b32 v44, v12, v44
	v_mul_f64_e32 v[52:53], v[46:47], v[44:45]
	s_delay_alu instid0(VALU_DEP_4) | instskip(NEXT) | instid1(VALU_DEP_4)
	v_mul_f64_e32 v[54:55], v[50:51], v[44:45]
	v_mul_f64_e32 v[66:67], v[60:61], v[44:45]
	s_delay_alu instid0(VALU_DEP_3) | instskip(NEXT) | instid1(VALU_DEP_3)
	v_fma_f64 v[46:47], v[46:47], v[44:45], -v[52:53]
	v_fma_f64 v[50:51], v[50:51], v[44:45], -v[54:55]
	s_delay_alu instid0(VALU_DEP_3) | instskip(NEXT) | instid1(VALU_DEP_3)
	v_fma_f64 v[44:45], v[60:61], v[44:45], -v[66:67]
	v_add_f64_e32 v[56:57], v[54:55], v[46:47]
	s_delay_alu instid0(VALU_DEP_1) | instskip(SKIP_1) | instid1(VALU_DEP_2)
	v_add_f64_e64 v[58:59], v[56:57], -v[54:55]
	v_add_f64_e32 v[64:65], v[52:53], v[56:57]
	v_add_f64_e64 v[62:63], v[56:57], -v[58:59]
	v_add_f64_e64 v[46:47], v[46:47], -v[58:59]
	s_delay_alu instid0(VALU_DEP_3) | instskip(NEXT) | instid1(VALU_DEP_3)
	v_ldexp_f64 v[58:59], v[64:65], -2
	v_add_f64_e64 v[54:55], v[54:55], -v[62:63]
	v_add_f64_e32 v[62:63], v[66:67], v[50:51]
	s_delay_alu instid0(VALU_DEP_3) | instskip(NEXT) | instid1(VALU_DEP_3)
	v_cmp_neq_f64_e64 vcc_lo, 0x7ff00000, |v[58:59]|
	v_add_f64_e32 v[46:47], v[46:47], v[54:55]
	v_fract_f64_e32 v[54:55], v[58:59]
	s_delay_alu instid0(VALU_DEP_1) | instskip(NEXT) | instid1(VALU_DEP_1)
	v_ldexp_f64 v[54:55], v[54:55], 2
	v_dual_add_f64 v[52:53], v[64:65], -v[52:53] :: v_dual_cndmask_b32 v55, 0, v55, vcc_lo
	s_delay_alu instid0(VALU_DEP_1) | instskip(SKIP_1) | instid1(VALU_DEP_1)
	v_dual_add_f64 v[52:53], v[56:57], -v[52:53] :: v_dual_cndmask_b32 v54, 0, v54, vcc_lo
	v_add_f64_e32 v[56:57], v[62:63], v[46:47]
	v_add_f64_e32 v[58:59], v[52:53], v[56:57]
	v_add_f64_e64 v[68:69], v[56:57], -v[62:63]
	s_delay_alu instid0(VALU_DEP_2) | instskip(NEXT) | instid1(VALU_DEP_2)
	v_add_f64_e32 v[64:65], v[58:59], v[54:55]
	v_add_f64_e64 v[74:75], v[56:57], -v[68:69]
	v_add_f64_e64 v[46:47], v[46:47], -v[68:69]
	;; [unrolled: 1-line block ×3, first 2 shown]
	s_delay_alu instid0(VALU_DEP_4) | instskip(SKIP_1) | instid1(VALU_DEP_3)
	v_cmp_gt_f64_e32 vcc_lo, 0, v[64:65]
	v_add_f64_e64 v[64:65], v[62:63], -v[66:67]
	v_add_f64_e64 v[52:53], v[56:57], -v[52:53]
	v_cndmask_b32_e64 v23, 0, 0x40100000, vcc_lo
	s_delay_alu instid0(VALU_DEP_3) | instskip(SKIP_2) | instid1(VALU_DEP_4)
	v_add_f64_e64 v[72:73], v[62:63], -v[64:65]
	v_add_f64_e64 v[50:51], v[50:51], -v[64:65]
	;; [unrolled: 1-line block ×3, first 2 shown]
	v_add_f64_e32 v[54:55], v[54:55], v[22:23]
	s_delay_alu instid0(VALU_DEP_4) | instskip(NEXT) | instid1(VALU_DEP_3)
	v_add_f64_e64 v[64:65], v[66:67], -v[72:73]
	v_add_f64_e32 v[46:47], v[46:47], v[62:63]
	s_delay_alu instid0(VALU_DEP_3) | instskip(NEXT) | instid1(VALU_DEP_3)
	v_add_f64_e32 v[70:71], v[58:59], v[54:55]
	v_add_f64_e32 v[50:51], v[50:51], v[64:65]
	s_delay_alu instid0(VALU_DEP_2) | instskip(NEXT) | instid1(VALU_DEP_2)
	v_cvt_i32_f64_e32 v23, v[70:71]
	v_add_f64_e32 v[46:47], v[50:51], v[46:47]
	s_delay_alu instid0(VALU_DEP_2) | instskip(NEXT) | instid1(VALU_DEP_2)
	v_cvt_f64_i32_e32 v[68:69], v23
	v_add_f64_e32 v[44:45], v[44:45], v[46:47]
	s_delay_alu instid0(VALU_DEP_2) | instskip(NEXT) | instid1(VALU_DEP_2)
	v_add_f64_e64 v[54:55], v[54:55], -v[68:69]
	v_add_f64_e32 v[44:45], v[52:53], v[44:45]
	s_delay_alu instid0(VALU_DEP_2) | instskip(NEXT) | instid1(VALU_DEP_1)
	v_add_f64_e32 v[50:51], v[58:59], v[54:55]
	v_add_f64_e64 v[46:47], v[50:51], -v[54:55]
	v_cmp_le_f64_e32 vcc_lo, 0.5, v[50:51]
	s_delay_alu instid0(VALU_DEP_2) | instskip(SKIP_2) | instid1(VALU_DEP_3)
	v_add_f64_e64 v[46:47], v[58:59], -v[46:47]
	v_add_co_ci_u32_e64 v49, null, 0, v23, vcc_lo
	v_cndmask_b32_e64 v23, 0, 0x3ff00000, vcc_lo
	v_add_f64_e32 v[44:45], v[44:45], v[46:47]
	s_delay_alu instid0(VALU_DEP_2) | instskip(NEXT) | instid1(VALU_DEP_1)
	v_add_f64_e64 v[46:47], v[50:51], -v[22:23]
	v_add_f64_e32 v[50:51], v[46:47], v[44:45]
	s_delay_alu instid0(VALU_DEP_1) | instskip(SKIP_1) | instid1(VALU_DEP_2)
	v_mul_f64_e32 v[52:53], 0x3ff921fb54442d18, v[50:51]
	v_add_f64_e64 v[46:47], v[50:51], -v[46:47]
	v_fma_f64 v[54:55], v[50:51], s[12:13], -v[52:53]
	s_delay_alu instid0(VALU_DEP_2) | instskip(NEXT) | instid1(VALU_DEP_2)
	v_add_f64_e64 v[44:45], v[44:45], -v[46:47]
	v_fmac_f64_e32 v[54:55], 0x3c91a62633145c07, v[50:51]
	s_delay_alu instid0(VALU_DEP_1) | instskip(NEXT) | instid1(VALU_DEP_1)
	v_fmac_f64_e32 v[54:55], 0x3ff921fb54442d18, v[44:45]
	v_add_f64_e32 v[44:45], v[52:53], v[54:55]
	s_delay_alu instid0(VALU_DEP_1) | instskip(NEXT) | instid1(VALU_DEP_1)
	v_add_f64_e64 v[46:47], v[44:45], -v[52:53]
	v_add_f64_e64 v[46:47], v[54:55], -v[46:47]
	s_and_not1_saveexec_b32 s35, s35
	s_cbranch_execnz .LBB155_310
	s_branch .LBB155_311
.LBB155_305:                            ;   in Loop: Header=BB155_161 Depth=1
	s_and_not1_saveexec_b32 s5, s5
	s_cbranch_execz .LBB155_307
.LBB155_306:                            ;   in Loop: Header=BB155_161 Depth=1
	v_mul_f64_e64 v[40:41], |v[12:13]|, s[14:15]
	s_delay_alu instid0(VALU_DEP_1) | instskip(NEXT) | instid1(VALU_DEP_1)
	v_rndne_f64_e32 v[44:45], v[40:41]
	v_fma_f64 v[40:41], v[44:45], s[16:17], |v[12:13]|
	v_mul_f64_e32 v[42:43], 0xbc91a62633145c00, v[44:45]
	s_delay_alu instid0(VALU_DEP_2) | instskip(NEXT) | instid1(VALU_DEP_2)
	v_fmamk_f64 v[50:51], v[44:45], 0xbc91a62633145c00, v[40:41]
	v_add_f64_e32 v[46:47], v[40:41], v[42:43]
	s_delay_alu instid0(VALU_DEP_1) | instskip(NEXT) | instid1(VALU_DEP_3)
	v_add_f64_e64 v[48:49], v[40:41], -v[46:47]
	v_add_f64_e64 v[40:41], v[46:47], -v[50:51]
	s_delay_alu instid0(VALU_DEP_2) | instskip(SKIP_2) | instid1(VALU_DEP_3)
	v_add_f64_e32 v[46:47], v[48:49], v[42:43]
	v_fmamk_f64 v[42:43], v[44:45], 0x3c91a62633145c00, v[42:43]
	v_cvt_i32_f64_e32 v48, v[44:45]
	v_add_f64_e32 v[40:41], v[40:41], v[46:47]
	s_delay_alu instid0(VALU_DEP_1) | instskip(NEXT) | instid1(VALU_DEP_1)
	v_add_f64_e64 v[42:43], v[40:41], -v[42:43]
	v_fmac_f64_e32 v[42:43], 0xb97b839a252049c0, v[44:45]
	s_delay_alu instid0(VALU_DEP_1) | instskip(NEXT) | instid1(VALU_DEP_1)
	v_add_f64_e32 v[40:41], v[50:51], v[42:43]
	v_add_f64_e64 v[46:47], v[40:41], -v[50:51]
	s_delay_alu instid0(VALU_DEP_1)
	v_add_f64_e64 v[42:43], v[42:43], -v[46:47]
.LBB155_307:                            ;   in Loop: Header=BB155_161 Depth=1
	s_or_b32 exec_lo, exec_lo, s5
                                        ; implicit-def: $vgpr49
                                        ; implicit-def: $vgpr44_vgpr45
                                        ; implicit-def: $vgpr46_vgpr47
	s_and_saveexec_b32 s5, s4
	s_delay_alu instid0(SALU_CYCLE_1)
	s_xor_b32 s4, exec_lo, s5
	s_cbranch_execz .LBB155_320
; %bb.308:                              ;   in Loop: Header=BB155_161 Depth=1
	v_ldexp_f64 v[44:45], |v[12:13]|, 0xffffff80
	v_cmp_le_f64_e64 vcc_lo, 0x7b000000, |v[12:13]|
	v_trig_preop_f64 v[46:47], |v[12:13]|, 0
	v_and_b32_e32 v23, 0x7fffffff, v13
	v_trig_preop_f64 v[50:51], |v[12:13]|, 1
	v_trig_preop_f64 v[60:61], |v[12:13]|, 2
	s_delay_alu instid0(VALU_DEP_3) | instskip(NEXT) | instid1(VALU_DEP_1)
	v_dual_cndmask_b32 v45, v23, v45 :: v_dual_cndmask_b32 v44, v12, v44
	v_mul_f64_e32 v[52:53], v[46:47], v[44:45]
	s_delay_alu instid0(VALU_DEP_4) | instskip(NEXT) | instid1(VALU_DEP_4)
	v_mul_f64_e32 v[54:55], v[50:51], v[44:45]
	v_mul_f64_e32 v[66:67], v[60:61], v[44:45]
	s_delay_alu instid0(VALU_DEP_3) | instskip(NEXT) | instid1(VALU_DEP_3)
	v_fma_f64 v[46:47], v[46:47], v[44:45], -v[52:53]
	v_fma_f64 v[50:51], v[50:51], v[44:45], -v[54:55]
	s_delay_alu instid0(VALU_DEP_3) | instskip(NEXT) | instid1(VALU_DEP_3)
	v_fma_f64 v[44:45], v[60:61], v[44:45], -v[66:67]
	v_add_f64_e32 v[56:57], v[54:55], v[46:47]
	s_delay_alu instid0(VALU_DEP_1) | instskip(SKIP_1) | instid1(VALU_DEP_2)
	v_add_f64_e64 v[58:59], v[56:57], -v[54:55]
	v_add_f64_e32 v[64:65], v[52:53], v[56:57]
	v_add_f64_e64 v[62:63], v[56:57], -v[58:59]
	v_add_f64_e64 v[46:47], v[46:47], -v[58:59]
	s_delay_alu instid0(VALU_DEP_3) | instskip(NEXT) | instid1(VALU_DEP_3)
	v_ldexp_f64 v[58:59], v[64:65], -2
	v_add_f64_e64 v[54:55], v[54:55], -v[62:63]
	v_add_f64_e32 v[62:63], v[66:67], v[50:51]
	s_delay_alu instid0(VALU_DEP_3) | instskip(NEXT) | instid1(VALU_DEP_3)
	v_cmp_neq_f64_e64 vcc_lo, 0x7ff00000, |v[58:59]|
	v_add_f64_e32 v[46:47], v[46:47], v[54:55]
	v_fract_f64_e32 v[54:55], v[58:59]
	s_delay_alu instid0(VALU_DEP_1) | instskip(NEXT) | instid1(VALU_DEP_1)
	v_ldexp_f64 v[54:55], v[54:55], 2
	v_dual_add_f64 v[52:53], v[64:65], -v[52:53] :: v_dual_cndmask_b32 v55, 0, v55, vcc_lo
	s_delay_alu instid0(VALU_DEP_1) | instskip(SKIP_1) | instid1(VALU_DEP_1)
	v_dual_add_f64 v[52:53], v[56:57], -v[52:53] :: v_dual_cndmask_b32 v54, 0, v54, vcc_lo
	v_add_f64_e32 v[56:57], v[62:63], v[46:47]
	v_add_f64_e32 v[58:59], v[52:53], v[56:57]
	v_add_f64_e64 v[68:69], v[56:57], -v[62:63]
	s_delay_alu instid0(VALU_DEP_2) | instskip(NEXT) | instid1(VALU_DEP_2)
	v_add_f64_e32 v[64:65], v[58:59], v[54:55]
	v_add_f64_e64 v[74:75], v[56:57], -v[68:69]
	v_add_f64_e64 v[46:47], v[46:47], -v[68:69]
	;; [unrolled: 1-line block ×3, first 2 shown]
	s_delay_alu instid0(VALU_DEP_4) | instskip(SKIP_1) | instid1(VALU_DEP_3)
	v_cmp_gt_f64_e32 vcc_lo, 0, v[64:65]
	v_add_f64_e64 v[64:65], v[62:63], -v[66:67]
	v_add_f64_e64 v[52:53], v[56:57], -v[52:53]
	v_cndmask_b32_e64 v23, 0, 0x40100000, vcc_lo
	s_delay_alu instid0(VALU_DEP_3) | instskip(SKIP_2) | instid1(VALU_DEP_4)
	v_add_f64_e64 v[72:73], v[62:63], -v[64:65]
	v_add_f64_e64 v[50:51], v[50:51], -v[64:65]
	;; [unrolled: 1-line block ×3, first 2 shown]
	v_add_f64_e32 v[54:55], v[54:55], v[22:23]
	s_delay_alu instid0(VALU_DEP_4) | instskip(NEXT) | instid1(VALU_DEP_3)
	v_add_f64_e64 v[64:65], v[66:67], -v[72:73]
	v_add_f64_e32 v[46:47], v[46:47], v[62:63]
	s_delay_alu instid0(VALU_DEP_3) | instskip(NEXT) | instid1(VALU_DEP_3)
	v_add_f64_e32 v[70:71], v[58:59], v[54:55]
	v_add_f64_e32 v[50:51], v[50:51], v[64:65]
	s_delay_alu instid0(VALU_DEP_2) | instskip(NEXT) | instid1(VALU_DEP_2)
	v_cvt_i32_f64_e32 v23, v[70:71]
	v_add_f64_e32 v[46:47], v[50:51], v[46:47]
	s_delay_alu instid0(VALU_DEP_2) | instskip(NEXT) | instid1(VALU_DEP_2)
	v_cvt_f64_i32_e32 v[68:69], v23
	v_add_f64_e32 v[44:45], v[44:45], v[46:47]
	s_delay_alu instid0(VALU_DEP_2) | instskip(NEXT) | instid1(VALU_DEP_2)
	v_add_f64_e64 v[54:55], v[54:55], -v[68:69]
	v_add_f64_e32 v[44:45], v[52:53], v[44:45]
	s_delay_alu instid0(VALU_DEP_2) | instskip(NEXT) | instid1(VALU_DEP_1)
	v_add_f64_e32 v[50:51], v[58:59], v[54:55]
	v_add_f64_e64 v[46:47], v[50:51], -v[54:55]
	v_cmp_le_f64_e32 vcc_lo, 0.5, v[50:51]
	s_delay_alu instid0(VALU_DEP_2) | instskip(SKIP_2) | instid1(VALU_DEP_3)
	v_add_f64_e64 v[46:47], v[58:59], -v[46:47]
	v_add_co_ci_u32_e64 v49, null, 0, v23, vcc_lo
	v_cndmask_b32_e64 v23, 0, 0x3ff00000, vcc_lo
	v_add_f64_e32 v[44:45], v[44:45], v[46:47]
	s_delay_alu instid0(VALU_DEP_2) | instskip(NEXT) | instid1(VALU_DEP_1)
	v_add_f64_e64 v[46:47], v[50:51], -v[22:23]
	v_add_f64_e32 v[50:51], v[46:47], v[44:45]
	s_delay_alu instid0(VALU_DEP_1) | instskip(SKIP_1) | instid1(VALU_DEP_2)
	v_mul_f64_e32 v[52:53], 0x3ff921fb54442d18, v[50:51]
	v_add_f64_e64 v[46:47], v[50:51], -v[46:47]
	v_fma_f64 v[54:55], v[50:51], s[12:13], -v[52:53]
	s_delay_alu instid0(VALU_DEP_2) | instskip(NEXT) | instid1(VALU_DEP_2)
	v_add_f64_e64 v[44:45], v[44:45], -v[46:47]
	v_fmac_f64_e32 v[54:55], 0x3c91a62633145c07, v[50:51]
	s_delay_alu instid0(VALU_DEP_1) | instskip(NEXT) | instid1(VALU_DEP_1)
	v_fmac_f64_e32 v[54:55], 0x3ff921fb54442d18, v[44:45]
	v_add_f64_e32 v[44:45], v[52:53], v[54:55]
	s_delay_alu instid0(VALU_DEP_1) | instskip(NEXT) | instid1(VALU_DEP_1)
	v_add_f64_e64 v[46:47], v[44:45], -v[52:53]
	v_add_f64_e64 v[46:47], v[54:55], -v[46:47]
	s_and_not1_saveexec_b32 s4, s4
	s_cbranch_execnz .LBB155_321
	s_branch .LBB155_322
.LBB155_309:                            ;   in Loop: Header=BB155_161 Depth=1
	s_and_not1_saveexec_b32 s35, s35
	s_cbranch_execz .LBB155_311
.LBB155_310:                            ;   in Loop: Header=BB155_161 Depth=1
	v_mul_f64_e64 v[44:45], |v[12:13]|, s[14:15]
	s_delay_alu instid0(VALU_DEP_1) | instskip(NEXT) | instid1(VALU_DEP_1)
	v_rndne_f64_e32 v[50:51], v[44:45]
	v_fma_f64 v[44:45], v[50:51], s[16:17], |v[12:13]|
	v_mul_f64_e32 v[46:47], 0xbc91a62633145c00, v[50:51]
	v_cvt_i32_f64_e32 v49, v[50:51]
	s_delay_alu instid0(VALU_DEP_3) | instskip(NEXT) | instid1(VALU_DEP_3)
	v_fmamk_f64 v[56:57], v[50:51], 0xbc91a62633145c00, v[44:45]
	v_add_f64_e32 v[52:53], v[44:45], v[46:47]
	s_delay_alu instid0(VALU_DEP_1) | instskip(NEXT) | instid1(VALU_DEP_3)
	v_add_f64_e64 v[54:55], v[44:45], -v[52:53]
	v_add_f64_e64 v[44:45], v[52:53], -v[56:57]
	s_delay_alu instid0(VALU_DEP_2) | instskip(SKIP_1) | instid1(VALU_DEP_2)
	v_add_f64_e32 v[52:53], v[54:55], v[46:47]
	v_fmamk_f64 v[46:47], v[50:51], 0x3c91a62633145c00, v[46:47]
	v_add_f64_e32 v[44:45], v[44:45], v[52:53]
	s_delay_alu instid0(VALU_DEP_1) | instskip(NEXT) | instid1(VALU_DEP_1)
	v_add_f64_e64 v[46:47], v[44:45], -v[46:47]
	v_fmac_f64_e32 v[46:47], 0xb97b839a252049c0, v[50:51]
	s_delay_alu instid0(VALU_DEP_1) | instskip(NEXT) | instid1(VALU_DEP_1)
	v_add_f64_e32 v[44:45], v[56:57], v[46:47]
	v_add_f64_e64 v[52:53], v[44:45], -v[56:57]
	s_delay_alu instid0(VALU_DEP_1)
	v_add_f64_e64 v[46:47], v[46:47], -v[52:53]
.LBB155_311:                            ;   in Loop: Header=BB155_161 Depth=1
	s_or_b32 exec_lo, exec_lo, s35
	v_mul_f64_e32 v[50:51], v[40:41], v[40:41]
	s_delay_alu instid0(VALU_DEP_2) | instskip(SKIP_3) | instid1(VALU_DEP_4)
	v_dual_mul_f64 v[62:63], 0.5, v[42:43] :: v_dual_lshlrev_b32 v23, 30, v48
	v_mul_f64_e32 v[52:53], v[44:45], v[44:45]
	v_mul_f64_e64 v[56:57], |v[10:11]|, s[26:27]
	v_and_b32_e32 v12, 1, v48
	v_xor_b32_e32 v13, v23, v13
	s_delay_alu instid0(VALU_DEP_2)
	v_cmp_eq_u32_e32 vcc_lo, 0, v12
	v_mul_f64_e32 v[54:55], 0.5, v[50:51]
	v_mul_f64_e64 v[64:65], v[40:41], -v[50:51]
	v_fmamk_f64 v[70:71], v[50:51], 0x3de5e0b2f9a43bb8, v[30:31]
	v_mul_f64_e64 v[76:77], v[44:45], -v[52:53]
	v_fmamk_f64 v[78:79], v[52:53], 0x3de5e0b2f9a43bb8, v[30:31]
	v_rndne_f64_e32 v[56:57], v[56:57]
	s_delay_alu instid0(VALU_DEP_4) | instskip(NEXT) | instid1(VALU_DEP_1)
	v_fmaak_f64 v[70:71], v[50:51], v[70:71], 0x3ec71de3796cde01
	v_fmaak_f64 v[70:71], v[50:51], v[70:71], 0xbf2a01a019e83e5c
	s_delay_alu instid0(VALU_DEP_1) | instskip(SKIP_1) | instid1(VALU_DEP_2)
	v_fmaak_f64 v[70:71], v[50:51], v[70:71], 0x3f81111111110bb3
	v_add_f64_e64 v[60:61], -v[54:55], 1.0
	v_fmac_f64_e32 v[62:63], v[64:65], v[70:71]
	v_fma_f64 v[72:73], v[56:57], s[18:19], -|v[10:11]|
	v_cvt_i32_f64_e32 v23, v[56:57]
	s_delay_alu instid0(VALU_DEP_4) | instskip(NEXT) | instid1(VALU_DEP_4)
	v_add_f64_e64 v[68:69], -v[60:61], 1.0
	v_fma_f64 v[62:63], v[50:51], v[62:63], -v[42:43]
	s_delay_alu instid0(VALU_DEP_4) | instskip(NEXT) | instid1(VALU_DEP_3)
	v_fmac_f64_e32 v[72:73], 0xbc7abc9e3b39803f, v[56:57]
	v_add_f64_e64 v[54:55], v[68:69], -v[54:55]
	v_fmaak_f64 v[68:69], v[52:53], v[78:79], 0x3ec71de3796cde01
	v_fmamk_f64 v[78:79], v[50:51], 0xbda907db46cc5e42, v[28:29]
	v_fmac_f64_e32 v[62:63], 0xbfc5555555555555, v[64:65]
	s_delay_alu instid0(VALU_DEP_3) | instskip(NEXT) | instid1(VALU_DEP_1)
	v_fmaak_f64 v[68:69], v[52:53], v[68:69], 0xbf2a01a019e83e5c
	v_fmaak_f64 v[68:69], v[52:53], v[68:69], 0x3f81111111110bb3
	v_fma_f64 v[42:43], v[40:41], -v[42:43], v[54:55]
	v_fmaak_f64 v[54:55], v[50:51], v[78:79], 0xbe927e4fa17f65f6
	v_mul_f64_e32 v[78:79], v[52:53], v[52:53]
	v_add_f64_e64 v[40:41], v[40:41], -v[62:63]
	v_mul_f64_e32 v[74:75], 0.5, v[46:47]
	s_delay_alu instid0(VALU_DEP_4) | instskip(NEXT) | instid1(VALU_DEP_1)
	v_fmaak_f64 v[54:55], v[50:51], v[54:55], 0x3efa01a019f4ec90
	v_fmaak_f64 v[54:55], v[50:51], v[54:55], 0xbf56c16c16c16967
	s_delay_alu instid0(VALU_DEP_3) | instskip(SKIP_1) | instid1(VALU_DEP_3)
	v_fmac_f64_e32 v[74:75], v[76:77], v[68:69]
	v_mul_f64_e32 v[68:69], v[50:51], v[50:51]
	v_fmaak_f64 v[50:51], v[50:51], v[54:55], 0x3fa5555555555555
	s_delay_alu instid0(VALU_DEP_1) | instskip(NEXT) | instid1(VALU_DEP_1)
	v_fmac_f64_e32 v[42:43], v[68:69], v[50:51]
	v_add_f64_e32 v[42:43], v[60:61], v[42:43]
	s_delay_alu instid0(VALU_DEP_1) | instskip(NEXT) | instid1(VALU_DEP_1)
	v_dual_cndmask_b32 v12, v42, v40, vcc_lo :: v_dual_cndmask_b32 v42, v43, v41, vcc_lo
	v_bitop3_b32 v13, v42, v13, 0x80000000 bitop3:0x78
	v_and_b32_e32 v42, 1, v49
	s_delay_alu instid0(VALU_DEP_2) | instskip(NEXT) | instid1(VALU_DEP_2)
	v_mul_f64_e32 v[12:13], 4.0, v[12:13]
	v_cmp_eq_u32_e32 vcc_lo, 0, v42
	v_mul_f64_e32 v[58:59], 0.5, v[52:53]
	s_delay_alu instid0(VALU_DEP_1) | instskip(NEXT) | instid1(VALU_DEP_1)
	v_add_f64_e64 v[66:67], -v[58:59], 1.0
	v_add_f64_e64 v[70:71], -v[66:67], 1.0
	s_delay_alu instid0(VALU_DEP_1) | instskip(SKIP_1) | instid1(VALU_DEP_1)
	v_add_f64_e64 v[58:59], v[70:71], -v[58:59]
	v_fmamk_f64 v[70:71], v[72:73], 0x3e5ade156a5dcb37, v[26:27]
	v_fmaak_f64 v[70:71], v[72:73], v[70:71], 0x3ec71dee623fde64
	s_delay_alu instid0(VALU_DEP_1) | instskip(NEXT) | instid1(VALU_DEP_1)
	v_fmaak_f64 v[70:71], v[72:73], v[70:71], 0x3efa01997c89e6b0
	v_fmaak_f64 v[54:55], v[72:73], v[70:71], 0x3f2a01a014761f6e
	v_fma_f64 v[70:71], v[52:53], v[74:75], -v[46:47]
	v_fmamk_f64 v[74:75], v[52:53], 0xbda907db46cc5e42, v[28:29]
	s_delay_alu instid0(VALU_DEP_3) | instskip(NEXT) | instid1(VALU_DEP_2)
	v_fmaak_f64 v[50:51], v[72:73], v[54:55], 0x3f56c16c1852b7b0
	v_fmaak_f64 v[54:55], v[52:53], v[74:75], 0xbe927e4fa17f65f6
	v_fma_f64 v[46:47], v[44:45], -v[46:47], v[58:59]
	s_delay_alu instid0(VALU_DEP_3) | instskip(NEXT) | instid1(VALU_DEP_3)
	v_fmaak_f64 v[50:51], v[72:73], v[50:51], 0x3f81111111122322
	v_fmaak_f64 v[54:55], v[52:53], v[54:55], 0x3efa01a019f4ec90
	s_delay_alu instid0(VALU_DEP_2) | instskip(NEXT) | instid1(VALU_DEP_2)
	v_fmaak_f64 v[50:51], v[72:73], v[50:51], 0x3fa55555555502a1
	v_fmaak_f64 v[54:55], v[52:53], v[54:55], 0xbf56c16c16c16967
	s_delay_alu instid0(VALU_DEP_2) | instskip(NEXT) | instid1(VALU_DEP_2)
	v_fmaak_f64 v[50:51], v[72:73], v[50:51], 0x3fc5555555555511
	v_fmaak_f64 v[52:53], v[52:53], v[54:55], 0x3fa5555555555555
	v_fmac_f64_e32 v[70:71], 0xbfc5555555555555, v[76:77]
	s_delay_alu instid0(VALU_DEP_3) | instskip(NEXT) | instid1(VALU_DEP_1)
	v_fmaak_f64 v[50:51], v[72:73], v[50:51], 0x3fe000000000000b
	v_fma_f64 v[50:51], v[72:73], v[50:51], 1.0
	s_delay_alu instid0(VALU_DEP_4) | instskip(NEXT) | instid1(VALU_DEP_4)
	v_fmac_f64_e32 v[46:47], v[78:79], v[52:53]
	v_add_f64_e64 v[44:45], v[44:45], -v[70:71]
	s_delay_alu instid0(VALU_DEP_3) | instskip(NEXT) | instid1(VALU_DEP_3)
	v_fma_f64 v[40:41], v[72:73], v[50:51], 1.0
	v_add_f64_e32 v[46:47], v[66:67], v[46:47]
	s_delay_alu instid0(VALU_DEP_3) | instskip(NEXT) | instid1(VALU_DEP_3)
	v_xor_b32_e32 v43, 0x80000000, v45
	v_ldexp_f64 v[40:41], v[40:41], v23
	s_delay_alu instid0(VALU_DEP_2) | instskip(SKIP_3) | instid1(VALU_DEP_3)
	v_dual_cndmask_b32 v42, v44, v46 :: v_dual_cndmask_b32 v43, v43, v47
	v_lshlrev_b32_e32 v44, 30, v49
	v_cmp_nlt_f64_e64 vcc_lo, 0x4090cc00, |v[10:11]|
	v_bfi_b32 v23, 0x7fffffff, s33, v11
	v_bitop3_b32 v43, v43, v44, 0x80000000 bitop3:0x78
	s_delay_alu instid0(VALU_DEP_2) | instskip(NEXT) | instid1(VALU_DEP_2)
	v_mov_b64_e32 v[10:11], v[22:23]
	v_dual_mul_f64 v[12:13], v[12:13], v[42:43] :: v_dual_cndmask_b32 v41, 0, v41, vcc_lo
	v_cndmask_b32_e32 v40, 0, v40, vcc_lo
	s_delay_alu instid0(VALU_DEP_1) | instskip(NEXT) | instid1(VALU_DEP_1)
	v_mul_f64_e32 v[12:13], v[40:41], v[12:13]
	v_mul_f64_e32 v[12:13], v[40:41], v[12:13]
.LBB155_312:                            ;   in Loop: Header=BB155_161 Depth=1
	s_or_b32 exec_lo, exec_lo, s4
.LBB155_313:                            ;   in Loop: Header=BB155_161 Depth=1
	s_and_not1_saveexec_b32 s4, s34
	s_cbranch_execz .LBB155_315
; %bb.314:                              ;   in Loop: Header=BB155_161 Depth=1
	s_delay_alu instid0(VALU_DEP_1) | instskip(NEXT) | instid1(VALU_DEP_1)
	v_add_f64_e64 v[12:13], v[12:13], -v[12:13]
	v_mov_b64_e32 v[10:11], v[12:13]
.LBB155_315:                            ;   in Loop: Header=BB155_161 Depth=1
	s_or_b32 exec_lo, exec_lo, s4
	s_and_not1_saveexec_b32 s34, s5
	s_cbranch_execnz .LBB155_295
.LBB155_316:                            ;   in Loop: Header=BB155_161 Depth=1
	s_or_b32 exec_lo, exec_lo, s34
	s_and_saveexec_b32 s4, s0
	s_delay_alu instid0(SALU_CYCLE_1)
	s_xor_b32 s0, exec_lo, s4
	s_cbranch_execz .LBB155_325
.LBB155_317:                            ;   in Loop: Header=BB155_161 Depth=1
	v_lshl_add_u64 v[32:33], v[32:33], 4, s[8:9]
	global_store_b128 v[32:33], v[6:9], off
	s_wait_xcnt 0x0
	s_or_b32 exec_lo, exec_lo, s0
	s_and_saveexec_b32 s0, s1
	s_cbranch_execnz .LBB155_326
.LBB155_318:                            ;   in Loop: Header=BB155_161 Depth=1
	s_or_b32 exec_lo, exec_lo, s0
	s_and_saveexec_b32 s0, s2
	s_cbranch_execz .LBB155_327
.LBB155_319:                            ;   in Loop: Header=BB155_161 Depth=1
	v_lshl_add_u64 v[2:3], v[36:37], 4, s[8:9]
	global_store_b128 v[2:3], v[14:17], off
	s_wait_xcnt 0x0
	s_or_b32 exec_lo, exec_lo, s0
	s_and_saveexec_b32 s0, s3
	s_cbranch_execz .LBB155_160
	s_branch .LBB155_328
.LBB155_320:                            ;   in Loop: Header=BB155_161 Depth=1
	s_and_not1_saveexec_b32 s4, s4
	s_cbranch_execz .LBB155_322
.LBB155_321:                            ;   in Loop: Header=BB155_161 Depth=1
	v_mul_f64_e64 v[44:45], |v[12:13]|, s[14:15]
	s_delay_alu instid0(VALU_DEP_1) | instskip(NEXT) | instid1(VALU_DEP_1)
	v_rndne_f64_e32 v[50:51], v[44:45]
	v_fma_f64 v[44:45], v[50:51], s[16:17], |v[12:13]|
	v_mul_f64_e32 v[46:47], 0xbc91a62633145c00, v[50:51]
	v_cvt_i32_f64_e32 v49, v[50:51]
	s_delay_alu instid0(VALU_DEP_3) | instskip(NEXT) | instid1(VALU_DEP_3)
	v_fmamk_f64 v[56:57], v[50:51], 0xbc91a62633145c00, v[44:45]
	v_add_f64_e32 v[52:53], v[44:45], v[46:47]
	s_delay_alu instid0(VALU_DEP_1) | instskip(NEXT) | instid1(VALU_DEP_3)
	v_add_f64_e64 v[54:55], v[44:45], -v[52:53]
	v_add_f64_e64 v[44:45], v[52:53], -v[56:57]
	s_delay_alu instid0(VALU_DEP_2) | instskip(SKIP_1) | instid1(VALU_DEP_2)
	v_add_f64_e32 v[52:53], v[54:55], v[46:47]
	v_fmamk_f64 v[46:47], v[50:51], 0x3c91a62633145c00, v[46:47]
	v_add_f64_e32 v[44:45], v[44:45], v[52:53]
	s_delay_alu instid0(VALU_DEP_1) | instskip(NEXT) | instid1(VALU_DEP_1)
	v_add_f64_e64 v[46:47], v[44:45], -v[46:47]
	v_fmac_f64_e32 v[46:47], 0xb97b839a252049c0, v[50:51]
	s_delay_alu instid0(VALU_DEP_1) | instskip(NEXT) | instid1(VALU_DEP_1)
	v_add_f64_e32 v[44:45], v[56:57], v[46:47]
	v_add_f64_e64 v[52:53], v[44:45], -v[56:57]
	s_delay_alu instid0(VALU_DEP_1)
	v_add_f64_e64 v[46:47], v[46:47], -v[52:53]
.LBB155_322:                            ;   in Loop: Header=BB155_161 Depth=1
	s_or_b32 exec_lo, exec_lo, s4
	s_delay_alu instid0(VALU_DEP_1) | instskip(SKIP_4) | instid1(VALU_DEP_3)
	v_mul_f64_e32 v[70:71], 0.5, v[46:47]
	v_cmp_class_f64_e64 s4, v[12:13], 0x1f8
	v_and_b32_e32 v12, 1, v49
	v_mul_f64_e32 v[52:53], v[44:45], v[44:45]
	v_and_b32_e32 v23, 1, v48
	v_cmp_eq_u32_e64 s5, 0, v12
	v_mul_f64_e32 v[50:51], v[40:41], v[40:41]
	s_delay_alu instid0(VALU_DEP_3)
	v_cmp_eq_u32_e32 vcc_lo, 0, v23
	v_dual_mul_f64 v[62:63], 0.5, v[42:43] :: v_dual_lshlrev_b32 v12, 30, v49
	v_mul_f64_e32 v[56:57], 0.5, v[52:53]
	v_mul_f64_e64 v[72:73], v[44:45], -v[52:53]
	v_fmamk_f64 v[74:75], v[52:53], 0x3de5e0b2f9a43bb8, v[30:31]
	v_mul_f64_e32 v[54:55], 0.5, v[50:51]
	v_mul_f64_e64 v[64:65], v[40:41], -v[50:51]
	v_fmamk_f64 v[68:69], v[50:51], 0x3de5e0b2f9a43bb8, v[30:31]
	s_delay_alu instid0(VALU_DEP_4) | instskip(NEXT) | instid1(VALU_DEP_2)
	v_fmaak_f64 v[74:75], v[52:53], v[74:75], 0x3ec71de3796cde01
	v_fmaak_f64 v[68:69], v[50:51], v[68:69], 0x3ec71de3796cde01
	s_delay_alu instid0(VALU_DEP_1) | instskip(NEXT) | instid1(VALU_DEP_1)
	v_fmaak_f64 v[68:69], v[50:51], v[68:69], 0xbf2a01a019e83e5c
	v_fmaak_f64 v[68:69], v[50:51], v[68:69], 0x3f81111111110bb3
	v_add_f64_e64 v[60:61], -v[56:57], 1.0
	v_add_f64_e64 v[58:59], -v[54:55], 1.0
	s_delay_alu instid0(VALU_DEP_3) | instskip(SKIP_1) | instid1(VALU_DEP_4)
	v_fmac_f64_e32 v[62:63], v[64:65], v[68:69]
	v_mul_f64_e32 v[68:69], v[50:51], v[50:51]
	v_add_f64_e64 v[76:77], -v[60:61], 1.0
	s_delay_alu instid0(VALU_DEP_4) | instskip(NEXT) | instid1(VALU_DEP_4)
	v_add_f64_e64 v[66:67], -v[58:59], 1.0
	v_fma_f64 v[62:63], v[50:51], v[62:63], -v[42:43]
	s_delay_alu instid0(VALU_DEP_3) | instskip(NEXT) | instid1(VALU_DEP_3)
	v_add_f64_e64 v[56:57], v[76:77], -v[56:57]
	v_add_f64_e64 v[54:55], v[66:67], -v[54:55]
	v_fmaak_f64 v[66:67], v[52:53], v[74:75], 0xbf2a01a019e83e5c
	s_delay_alu instid0(VALU_DEP_4) | instskip(SKIP_1) | instid1(VALU_DEP_3)
	v_fmac_f64_e32 v[62:63], 0xbfc5555555555555, v[64:65]
	v_mul_f64_e32 v[74:75], v[52:53], v[52:53]
	v_fmaak_f64 v[66:67], v[52:53], v[66:67], 0x3f81111111110bb3
	s_delay_alu instid0(VALU_DEP_1) | instskip(SKIP_2) | instid1(VALU_DEP_2)
	v_fmac_f64_e32 v[70:71], v[72:73], v[66:67]
	v_fmamk_f64 v[66:67], v[50:51], 0xbda907db46cc5e42, v[28:29]
	v_fma_f64 v[42:43], v[40:41], -v[42:43], v[54:55]
	v_fmaak_f64 v[54:55], v[50:51], v[66:67], 0xbe927e4fa17f65f6
	v_add_f64_e64 v[40:41], v[40:41], -v[62:63]
	s_delay_alu instid0(VALU_DEP_2) | instskip(NEXT) | instid1(VALU_DEP_1)
	v_fmaak_f64 v[54:55], v[50:51], v[54:55], 0x3efa01a019f4ec90
	v_fmaak_f64 v[54:55], v[50:51], v[54:55], 0xbf56c16c16c16967
	s_delay_alu instid0(VALU_DEP_1) | instskip(NEXT) | instid1(VALU_DEP_1)
	v_fmaak_f64 v[50:51], v[50:51], v[54:55], 0x3fa5555555555555
	v_fmac_f64_e32 v[42:43], v[68:69], v[50:51]
	s_delay_alu instid0(VALU_DEP_1) | instskip(SKIP_3) | instid1(VALU_DEP_2)
	v_add_f64_e32 v[42:43], v[58:59], v[42:43]
	v_fma_f64 v[66:67], v[52:53], v[70:71], -v[46:47]
	v_fmamk_f64 v[70:71], v[52:53], 0xbda907db46cc5e42, v[28:29]
	v_fma_f64 v[46:47], v[44:45], -v[46:47], v[56:57]
	v_fmaak_f64 v[54:55], v[52:53], v[70:71], 0xbe927e4fa17f65f6
	s_delay_alu instid0(VALU_DEP_1) | instskip(NEXT) | instid1(VALU_DEP_1)
	v_fmaak_f64 v[50:51], v[52:53], v[54:55], 0x3efa01a019f4ec90
	v_fmaak_f64 v[50:51], v[52:53], v[50:51], 0xbf56c16c16c16967
	s_delay_alu instid0(VALU_DEP_1) | instskip(SKIP_2) | instid1(VALU_DEP_3)
	v_fmaak_f64 v[50:51], v[52:53], v[50:51], 0x3fa5555555555555
	v_cndmask_b32_e32 v23, v42, v40, vcc_lo
	v_lshlrev_b32_e32 v40, 30, v48
	v_fmac_f64_e32 v[46:47], v[74:75], v[50:51]
	s_delay_alu instid0(VALU_DEP_2) | instskip(SKIP_2) | instid1(VALU_DEP_2)
	v_xor_b32_e32 v13, v40, v13
	v_cndmask_b32_e32 v40, v43, v41, vcc_lo
	v_fmac_f64_e32 v[66:67], 0xbfc5555555555555, v[72:73]
	v_bitop3_b32 v13, v40, v13, 0x80000000 bitop3:0x78
	s_delay_alu instid0(VALU_DEP_1) | instskip(SKIP_1) | instid1(VALU_DEP_4)
	v_cndmask_b32_e64 v13, 0x7ff80000, v13, s4
	v_add_f64_e32 v[46:47], v[60:61], v[46:47]
	v_add_f64_e64 v[44:45], v[44:45], -v[66:67]
	s_delay_alu instid0(VALU_DEP_1) | instskip(NEXT) | instid1(VALU_DEP_1)
	v_xor_b32_e32 v42, 0x80000000, v45
	v_dual_cndmask_b32 v41, v44, v46, s5 :: v_dual_cndmask_b32 v42, v42, v47, s5
	s_delay_alu instid0(VALU_DEP_1) | instskip(NEXT) | instid1(VALU_DEP_2)
	v_cndmask_b32_e64 v40, 0, v41, s4
	v_bitop3_b32 v42, v42, v12, 0x80000000 bitop3:0x78
	v_cndmask_b32_e64 v12, 0, v23, s4
	s_delay_alu instid0(VALU_DEP_2) | instskip(NEXT) | instid1(VALU_DEP_1)
	v_cndmask_b32_e64 v41, 0x7ff80000, v42, s4
	v_mul_f64_e32 v[12:13], v[12:13], v[40:41]
.LBB155_323:                            ;   in Loop: Header=BB155_161 Depth=1
	s_or_b32 exec_lo, exec_lo, s36
	s_delay_alu instid0(VALU_DEP_1) | instskip(SKIP_1) | instid1(VALU_DEP_2)
	v_bfi_b32 v23, 0x7fffffff, 0, v13
	v_add_nc_u32_e32 v11, -2.0, v11
	v_mov_b64_e32 v[12:13], v[22:23]
.LBB155_324:                            ;   in Loop: Header=BB155_161 Depth=1
	s_or_b32 exec_lo, exec_lo, s35
	s_delay_alu instid0(SALU_CYCLE_1) | instskip(SKIP_1) | instid1(SALU_CYCLE_1)
	s_or_b32 exec_lo, exec_lo, s34
	s_and_saveexec_b32 s4, s0
	s_xor_b32 s0, exec_lo, s4
	s_cbranch_execnz .LBB155_317
.LBB155_325:                            ;   in Loop: Header=BB155_161 Depth=1
	s_or_b32 exec_lo, exec_lo, s0
	s_and_saveexec_b32 s0, s1
	s_cbranch_execz .LBB155_318
.LBB155_326:                            ;   in Loop: Header=BB155_161 Depth=1
	v_lshl_add_u64 v[6:7], v[34:35], 4, s[8:9]
	global_store_b128 v[6:7], v[2:5], off
	s_wait_xcnt 0x0
	s_or_b32 exec_lo, exec_lo, s0
	s_and_saveexec_b32 s0, s2
	s_cbranch_execnz .LBB155_319
.LBB155_327:                            ;   in Loop: Header=BB155_161 Depth=1
	s_or_b32 exec_lo, exec_lo, s0
	s_and_saveexec_b32 s0, s3
	s_cbranch_execz .LBB155_160
.LBB155_328:                            ;   in Loop: Header=BB155_161 Depth=1
	v_lshl_add_u64 v[2:3], v[38:39], 4, s[8:9]
	global_store_b128 v[2:3], v[10:13], off
	s_branch .LBB155_160
.LBB155_329:
	s_sendmsg sendmsg(MSG_DEALLOC_VGPRS)
	s_endpgm
	.section	.rodata,"a",@progbits
	.p2align	6, 0x0
	.amdhsa_kernel _ZN2at6native12_GLOBAL__N_125multi_tensor_apply_kernelINS1_18TensorListMetadataILi2EEENS1_14UnaryOpFunctorIN3c107complexIdEELi2ELi1ELi1EEEJNS0_4TanhIS8_EEEEEvT_T0_DpT1_
		.amdhsa_group_segment_fixed_size 0
		.amdhsa_private_segment_fixed_size 0
		.amdhsa_kernarg_size 3408
		.amdhsa_user_sgpr_count 2
		.amdhsa_user_sgpr_dispatch_ptr 0
		.amdhsa_user_sgpr_queue_ptr 0
		.amdhsa_user_sgpr_kernarg_segment_ptr 1
		.amdhsa_user_sgpr_dispatch_id 0
		.amdhsa_user_sgpr_kernarg_preload_length 0
		.amdhsa_user_sgpr_kernarg_preload_offset 0
		.amdhsa_user_sgpr_private_segment_size 0
		.amdhsa_wavefront_size32 1
		.amdhsa_uses_dynamic_stack 0
		.amdhsa_enable_private_segment 0
		.amdhsa_system_sgpr_workgroup_id_x 1
		.amdhsa_system_sgpr_workgroup_id_y 0
		.amdhsa_system_sgpr_workgroup_id_z 0
		.amdhsa_system_sgpr_workgroup_info 0
		.amdhsa_system_vgpr_workitem_id 0
		.amdhsa_next_free_vgpr 80
		.amdhsa_next_free_sgpr 37
		.amdhsa_named_barrier_count 0
		.amdhsa_reserve_vcc 1
		.amdhsa_float_round_mode_32 0
		.amdhsa_float_round_mode_16_64 0
		.amdhsa_float_denorm_mode_32 3
		.amdhsa_float_denorm_mode_16_64 3
		.amdhsa_fp16_overflow 0
		.amdhsa_memory_ordered 1
		.amdhsa_forward_progress 1
		.amdhsa_inst_pref_size 255
		.amdhsa_round_robin_scheduling 0
		.amdhsa_exception_fp_ieee_invalid_op 0
		.amdhsa_exception_fp_denorm_src 0
		.amdhsa_exception_fp_ieee_div_zero 0
		.amdhsa_exception_fp_ieee_overflow 0
		.amdhsa_exception_fp_ieee_underflow 0
		.amdhsa_exception_fp_ieee_inexact 0
		.amdhsa_exception_int_div_zero 0
	.end_amdhsa_kernel
	.section	.text._ZN2at6native12_GLOBAL__N_125multi_tensor_apply_kernelINS1_18TensorListMetadataILi2EEENS1_14UnaryOpFunctorIN3c107complexIdEELi2ELi1ELi1EEEJNS0_4TanhIS8_EEEEEvT_T0_DpT1_,"axG",@progbits,_ZN2at6native12_GLOBAL__N_125multi_tensor_apply_kernelINS1_18TensorListMetadataILi2EEENS1_14UnaryOpFunctorIN3c107complexIdEELi2ELi1ELi1EEEJNS0_4TanhIS8_EEEEEvT_T0_DpT1_,comdat
.Lfunc_end155:
	.size	_ZN2at6native12_GLOBAL__N_125multi_tensor_apply_kernelINS1_18TensorListMetadataILi2EEENS1_14UnaryOpFunctorIN3c107complexIdEELi2ELi1ELi1EEEJNS0_4TanhIS8_EEEEEvT_T0_DpT1_, .Lfunc_end155-_ZN2at6native12_GLOBAL__N_125multi_tensor_apply_kernelINS1_18TensorListMetadataILi2EEENS1_14UnaryOpFunctorIN3c107complexIdEELi2ELi1ELi1EEEJNS0_4TanhIS8_EEEEEvT_T0_DpT1_
                                        ; -- End function
	.set _ZN2at6native12_GLOBAL__N_125multi_tensor_apply_kernelINS1_18TensorListMetadataILi2EEENS1_14UnaryOpFunctorIN3c107complexIdEELi2ELi1ELi1EEEJNS0_4TanhIS8_EEEEEvT_T0_DpT1_.num_vgpr, 80
	.set _ZN2at6native12_GLOBAL__N_125multi_tensor_apply_kernelINS1_18TensorListMetadataILi2EEENS1_14UnaryOpFunctorIN3c107complexIdEELi2ELi1ELi1EEEJNS0_4TanhIS8_EEEEEvT_T0_DpT1_.num_agpr, 0
	.set _ZN2at6native12_GLOBAL__N_125multi_tensor_apply_kernelINS1_18TensorListMetadataILi2EEENS1_14UnaryOpFunctorIN3c107complexIdEELi2ELi1ELi1EEEJNS0_4TanhIS8_EEEEEvT_T0_DpT1_.numbered_sgpr, 37
	.set _ZN2at6native12_GLOBAL__N_125multi_tensor_apply_kernelINS1_18TensorListMetadataILi2EEENS1_14UnaryOpFunctorIN3c107complexIdEELi2ELi1ELi1EEEJNS0_4TanhIS8_EEEEEvT_T0_DpT1_.num_named_barrier, 0
	.set _ZN2at6native12_GLOBAL__N_125multi_tensor_apply_kernelINS1_18TensorListMetadataILi2EEENS1_14UnaryOpFunctorIN3c107complexIdEELi2ELi1ELi1EEEJNS0_4TanhIS8_EEEEEvT_T0_DpT1_.private_seg_size, 0
	.set _ZN2at6native12_GLOBAL__N_125multi_tensor_apply_kernelINS1_18TensorListMetadataILi2EEENS1_14UnaryOpFunctorIN3c107complexIdEELi2ELi1ELi1EEEJNS0_4TanhIS8_EEEEEvT_T0_DpT1_.uses_vcc, 1
	.set _ZN2at6native12_GLOBAL__N_125multi_tensor_apply_kernelINS1_18TensorListMetadataILi2EEENS1_14UnaryOpFunctorIN3c107complexIdEELi2ELi1ELi1EEEJNS0_4TanhIS8_EEEEEvT_T0_DpT1_.uses_flat_scratch, 0
	.set _ZN2at6native12_GLOBAL__N_125multi_tensor_apply_kernelINS1_18TensorListMetadataILi2EEENS1_14UnaryOpFunctorIN3c107complexIdEELi2ELi1ELi1EEEJNS0_4TanhIS8_EEEEEvT_T0_DpT1_.has_dyn_sized_stack, 0
	.set _ZN2at6native12_GLOBAL__N_125multi_tensor_apply_kernelINS1_18TensorListMetadataILi2EEENS1_14UnaryOpFunctorIN3c107complexIdEELi2ELi1ELi1EEEJNS0_4TanhIS8_EEEEEvT_T0_DpT1_.has_recursion, 0
	.set _ZN2at6native12_GLOBAL__N_125multi_tensor_apply_kernelINS1_18TensorListMetadataILi2EEENS1_14UnaryOpFunctorIN3c107complexIdEELi2ELi1ELi1EEEJNS0_4TanhIS8_EEEEEvT_T0_DpT1_.has_indirect_call, 0
	.section	.AMDGPU.csdata,"",@progbits
; Kernel info:
; codeLenInByte = 61716
; TotalNumSgprs: 39
; NumVgprs: 80
; ScratchSize: 0
; MemoryBound: 1
; FloatMode: 240
; IeeeMode: 1
; LDSByteSize: 0 bytes/workgroup (compile time only)
; SGPRBlocks: 0
; VGPRBlocks: 4
; NumSGPRsForWavesPerEU: 39
; NumVGPRsForWavesPerEU: 80
; NamedBarCnt: 0
; Occupancy: 12
; WaveLimiterHint : 0
; COMPUTE_PGM_RSRC2:SCRATCH_EN: 0
; COMPUTE_PGM_RSRC2:USER_SGPR: 2
; COMPUTE_PGM_RSRC2:TRAP_HANDLER: 0
; COMPUTE_PGM_RSRC2:TGID_X_EN: 1
; COMPUTE_PGM_RSRC2:TGID_Y_EN: 0
; COMPUTE_PGM_RSRC2:TGID_Z_EN: 0
; COMPUTE_PGM_RSRC2:TIDIG_COMP_CNT: 0
	.section	.text._ZN2at6native12_GLOBAL__N_125multi_tensor_apply_kernelINS1_18TensorListMetadataILi2EEENS1_14UnaryOpFunctorIN3c107complexIfEELi2ELi1ELi1EEEJNS0_4TanhIS8_EEEEEvT_T0_DpT1_,"axG",@progbits,_ZN2at6native12_GLOBAL__N_125multi_tensor_apply_kernelINS1_18TensorListMetadataILi2EEENS1_14UnaryOpFunctorIN3c107complexIfEELi2ELi1ELi1EEEJNS0_4TanhIS8_EEEEEvT_T0_DpT1_,comdat
	.globl	_ZN2at6native12_GLOBAL__N_125multi_tensor_apply_kernelINS1_18TensorListMetadataILi2EEENS1_14UnaryOpFunctorIN3c107complexIfEELi2ELi1ELi1EEEJNS0_4TanhIS8_EEEEEvT_T0_DpT1_ ; -- Begin function _ZN2at6native12_GLOBAL__N_125multi_tensor_apply_kernelINS1_18TensorListMetadataILi2EEENS1_14UnaryOpFunctorIN3c107complexIfEELi2ELi1ELi1EEEJNS0_4TanhIS8_EEEEEvT_T0_DpT1_
	.p2align	8
	.type	_ZN2at6native12_GLOBAL__N_125multi_tensor_apply_kernelINS1_18TensorListMetadataILi2EEENS1_14UnaryOpFunctorIN3c107complexIfEELi2ELi1ELi1EEEJNS0_4TanhIS8_EEEEEvT_T0_DpT1_,@function
_ZN2at6native12_GLOBAL__N_125multi_tensor_apply_kernelINS1_18TensorListMetadataILi2EEENS1_14UnaryOpFunctorIN3c107complexIfEELi2ELi1ELi1EEEJNS0_4TanhIS8_EEEEEvT_T0_DpT1_: ; @_ZN2at6native12_GLOBAL__N_125multi_tensor_apply_kernelINS1_18TensorListMetadataILi2EEENS1_14UnaryOpFunctorIN3c107complexIfEELi2ELi1ELi1EEEJNS0_4TanhIS8_EEEEEvT_T0_DpT1_
; %bb.0:
	s_bfe_u32 s2, ttmp6, 0x4000c
	s_and_b32 s3, ttmp6, 15
	s_add_co_i32 s2, s2, 1
	s_getreg_b32 s4, hwreg(HW_REG_IB_STS2, 6, 4)
	s_mul_i32 s2, ttmp9, s2
	s_delay_alu instid0(SALU_CYCLE_1)
	s_add_co_i32 s3, s3, s2
	s_cmp_eq_u32 s4, 0
	s_cselect_b32 s2, ttmp9, s3
	s_mov_b32 s3, 0
	s_load_u8 s9, s[0:1], s2 offset:0x600
	s_add_nc_u64 s[4:5], s[0:1], s[2:3]
	s_mul_u64 s[6:7], s[2:3], 3
	s_mov_b32 s19, s3
	s_add_nc_u64 s[6:7], s[4:5], s[6:7]
	s_load_b32 s8, s[6:7], 0x740
	s_wait_kmcnt 0x0
	s_clause 0x2
	s_load_b64 s[4:5], s[0:1], s9 offset:0x0 scale_offset
	s_load_b64 s[14:15], s[0:1], s9 offset:0x200 scale_offset
	;; [unrolled: 1-line block ×3, first 2 shown]
	s_wait_xcnt 0x0
	s_ashr_i32 s9, s8, 31
	s_delay_alu instid0(SALU_CYCLE_1)
	s_lshl_b64 s[6:7], s[8:9], 19
	s_wait_kmcnt 0x0
	s_and_b32 s18, s16, 3
	s_add_nc_u64 s[12:13], s[14:15], s[6:7]
	s_add_nc_u64 s[10:11], s[4:5], s[6:7]
	s_and_b64 s[20:21], s[12:13], 31
	s_and_b32 s2, s10, 31
	s_or_b64 s[18:19], s[20:21], s[18:19]
	s_lshl_b64 s[8:9], s[8:9], 16
	s_or_b64 s[2:3], s[18:19], s[2:3]
	s_sub_nc_u64 s[8:9], s[16:17], s[8:9]
	s_cmp_eq_u64 s[2:3], 0
	s_mov_b32 s2, -1
	s_cbranch_scc0 .LBB156_157
; %bb.1:
	v_min_i64 v[14:15], 0x10000, s[8:9]
	v_dual_mov_b32 v17, 0 :: v_dual_lshlrev_b32 v16, 2, v0
	s_mov_b32 s20, exec_lo
	s_delay_alu instid0(VALU_DEP_1)
	v_cmpx_lt_i64_e64 v[16:17], v[14:15]
	s_cbranch_execz .LBB156_156
; %bb.2:
	s_load_b32 s2, s[0:1], 0xc5c
	v_dual_mov_b32 v1, v17 :: v_dual_lshlrev_b32 v18, 5, v0
	v_dual_mov_b32 v19, v17 :: v_dual_mov_b32 v23, -1.0
	v_mov_b32_e32 v21, 0x3f317218
	s_delay_alu instid0(VALU_DEP_3)
	v_mov_b64_e32 v[24:25], v[0:1]
	s_mov_b32 s17, 0
	s_mov_b32 s24, 0x7fffff
	s_mov_b64 s[18:19], 0xfe5163ab
	s_mov_b32 s25, 0xbc8cedd3
	s_mov_b32 s26, 0x3c971480
	;; [unrolled: 1-line block ×3, first 2 shown]
	s_mov_b32 s21, -1.0
	s_mov_b32 s28, 0xb94c1982
	s_mov_b32 s29, 0x37d75334
	;; [unrolled: 1-line block ×4, first 2 shown]
	s_wait_kmcnt 0x0
	s_and_b32 s16, s2, 0xffff
	s_delay_alu instid0(SALU_CYCLE_1)
	s_lshl_b32 s22, s16, 5
	s_branch .LBB156_7
.LBB156_3:                              ;   in Loop: Header=BB156_7 Depth=1
	s_or_b32 exec_lo, exec_lo, s2
	s_delay_alu instid0(VALU_DEP_1) | instskip(SKIP_1) | instid1(VALU_DEP_2)
	v_dual_mul_f32 v12, v2, v2 :: v_dual_mul_f32 v16, v13, v13
	v_dual_lshlrev_b32 v3, 30, v3 :: v_dual_bitop2_b32 v22, 1, v3 bitop3:0x40
	v_fmaak_f32 v26, s28, v12, 0x3c0881c4
	s_delay_alu instid0(VALU_DEP_3) | instskip(NEXT) | instid1(VALU_DEP_3)
	v_fmaak_f32 v28, s28, v16, 0x3c0881c4
	v_cmp_eq_u32_e32 vcc_lo, 0, v22
	s_delay_alu instid0(VALU_DEP_4) | instskip(NEXT) | instid1(VALU_DEP_3)
	v_bitop3_b32 v1, v1, v3, 0x80000000 bitop3:0x78
	v_fmaak_f32 v28, v16, v28, 0xbe2aaa9d
	s_delay_alu instid0(VALU_DEP_1) | instskip(NEXT) | instid1(VALU_DEP_1)
	v_mul_f32_e32 v28, v16, v28
	v_dual_fmaak_f32 v26, v12, v26, 0xbe2aaa9d :: v_dual_fmac_f32 v13, v13, v28
	s_delay_alu instid0(VALU_DEP_1) | instskip(SKIP_1) | instid1(VALU_DEP_2)
	v_dual_fmaak_f32 v27, s29, v12, 0xbab64f3b :: v_dual_mul_f32 v26, v12, v26
	v_fmaak_f32 v29, s29, v16, 0xbab64f3b
	v_dual_fmaak_f32 v27, v12, v27, 0x3d2aabf7 :: v_dual_fmac_f32 v2, v2, v26
	s_delay_alu instid0(VALU_DEP_2) | instskip(SKIP_1) | instid1(VALU_DEP_3)
	v_fmaak_f32 v29, v16, v29, 0x3d2aabf7
	v_dual_lshlrev_b32 v20, 30, v20 :: v_dual_bitop2_b32 v30, 1, v20 bitop3:0x40
	v_fmaak_f32 v27, v12, v27, 0xbf000004
	s_delay_alu instid0(VALU_DEP_3) | instskip(NEXT) | instid1(VALU_DEP_2)
	v_fmaak_f32 v29, v16, v29, 0xbf000004
	v_fma_f32 v12, v12, v27, 1.0
	s_delay_alu instid0(VALU_DEP_2) | instskip(NEXT) | instid1(VALU_DEP_2)
	v_fma_f32 v16, v16, v29, 1.0
	v_cndmask_b32_e32 v2, v12, v2, vcc_lo
	v_cmp_eq_u32_e32 vcc_lo, 0, v30
	s_delay_alu instid0(VALU_DEP_2) | instskip(NEXT) | instid1(VALU_DEP_4)
	v_xor3_b32 v1, v1, v2, v5
	v_cndmask_b32_e64 v3, -v13, v16, vcc_lo
	v_cmp_class_f32_e64 vcc_lo, v5, 0x1f8
	s_delay_alu instid0(VALU_DEP_2) | instskip(NEXT) | instid1(VALU_DEP_1)
	v_bitop3_b32 v2, v20, v3, 0x80000000 bitop3:0x6c
	v_mul_f32_e32 v1, v1, v2
	s_delay_alu instid0(VALU_DEP_1)
	v_cndmask_b32_e32 v5, 0x7fc00000, v1, vcc_lo
.LBB156_4:                              ;   in Loop: Header=BB156_7 Depth=1
	s_or_b32 exec_lo, exec_lo, s34
	v_add_nc_u32_e32 v4, -2.0, v4
	s_delay_alu instid0(VALU_DEP_2)
	v_bfi_b32 v13, 0x7fffffff, 0, v5
.LBB156_5:                              ;   in Loop: Header=BB156_7 Depth=1
	s_or_b32 exec_lo, exec_lo, s33
	s_delay_alu instid0(VALU_DEP_2)
	v_mov_b32_e32 v12, v4
.LBB156_6:                              ;   in Loop: Header=BB156_7 Depth=1
	s_or_b32 exec_lo, exec_lo, s31
	v_add_nc_u64_e32 v[24:25], s[16:17], v[24:25]
	s_add_nc_u64 s[10:11], s[10:11], s[22:23]
	s_delay_alu instid0(VALU_DEP_1) | instskip(NEXT) | instid1(VALU_DEP_1)
	v_lshlrev_b64_e32 v[2:3], 2, v[24:25]
	v_cmp_ge_i64_e32 vcc_lo, v[2:3], v[14:15]
	v_add_nc_u64_e32 v[2:3], s[12:13], v[18:19]
	s_add_nc_u64 s[12:13], s[12:13], s[22:23]
	s_clause 0x1
	global_store_b128 v[2:3], v[6:9], off
	global_store_b128 v[2:3], v[10:13], off offset:16
	s_or_b32 s30, vcc_lo, s30
	s_wait_xcnt 0x0
	s_and_not1_b32 exec_lo, exec_lo, s30
	s_cbranch_execz .LBB156_156
.LBB156_7:                              ; =>This Inner Loop Header: Depth=1
	v_add_nc_u64_e32 v[6:7], s[10:11], v[18:19]
	s_mov_b32 s2, exec_lo
	s_clause 0x1
	global_load_b128 v[10:13], v[6:7], off
	global_load_b128 v[2:5], v[6:7], off offset:16
                                        ; implicit-def: $vgpr7
	s_wait_loadcnt 0x1
	v_and_b32_e32 v20, 0x7fffffff, v10
	s_wait_xcnt 0x0
	s_delay_alu instid0(VALU_DEP_1)
	v_cmpx_gt_u32_e32 0x7f800000, v20
	s_xor_b32 s31, exec_lo, s2
	s_cbranch_execz .LBB156_29
; %bb.8:                                ;   in Loop: Header=BB156_7 Depth=1
	v_cmp_class_f32_e64 s2, v11, 0x1f8
                                        ; implicit-def: $vgpr7
	s_and_saveexec_b32 s3, s2
	s_delay_alu instid0(SALU_CYCLE_1)
	s_xor_b32 s33, exec_lo, s3
	s_cbranch_execz .LBB156_26
; %bb.9:                                ;   in Loop: Header=BB156_7 Depth=1
	v_and_b32_e32 v1, 0x7fffffff, v11
                                        ; implicit-def: $vgpr7
	s_mov_b32 s2, exec_lo
	v_cmpx_gt_u32_e32 0x41300000, v20
	s_xor_b32 s34, exec_lo, s2
	s_cbranch_execz .LBB156_15
; %bb.10:                               ;   in Loop: Header=BB156_7 Depth=1
                                        ; implicit-def: $vgpr6
                                        ; implicit-def: $vgpr7
	s_mov_b32 s3, exec_lo
	v_cmpx_ngt_f32_e64 0x48000000, |v11|
	s_xor_b32 s35, exec_lo, s3
	s_cbranch_execz .LBB156_12
; %bb.11:                               ;   in Loop: Header=BB156_7 Depth=1
	v_and_or_b32 v16, v1, s24, 0x800000
	v_mov_b32_e32 v33, v17
	s_delay_alu instid0(VALU_DEP_2) | instskip(NEXT) | instid1(VALU_DEP_1)
	v_mul_u64_e32 v[6:7], s[18:19], v[16:17]
	v_dual_mov_b32 v9, v17 :: v_dual_mov_b32 v8, v7
	v_lshrrev_b32_e32 v7, 23, v1
	s_delay_alu instid0(VALU_DEP_2) | instskip(SKIP_1) | instid1(VALU_DEP_3)
	v_mad_nc_u64_u32 v[8:9], 0x3c439041, v16, v[8:9]
	v_mov_b32_e32 v27, v17
	v_add_nc_u32_e32 v7, 0xffffff88, v7
	s_delay_alu instid0(VALU_DEP_1) | instskip(NEXT) | instid1(VALU_DEP_4)
	v_cmp_lt_u32_e32 vcc_lo, 63, v7
	v_mov_b32_e32 v26, v9
	v_cndmask_b32_e64 v9, 0, 0xffffffc0, vcc_lo
	s_delay_alu instid0(VALU_DEP_2) | instskip(NEXT) | instid1(VALU_DEP_1)
	v_mad_nc_u64_u32 v[26:27], 0xdb629599, v16, v[26:27]
	v_dual_mov_b32 v29, v17 :: v_dual_mov_b32 v28, v27
	s_delay_alu instid0(VALU_DEP_2) | instskip(NEXT) | instid1(VALU_DEP_2)
	v_cndmask_b32_e32 v6, v26, v6, vcc_lo
	v_mad_nc_u64_u32 v[28:29], 0xf534ddc0, v16, v[28:29]
	s_delay_alu instid0(VALU_DEP_1) | instskip(NEXT) | instid1(VALU_DEP_2)
	v_dual_mov_b32 v31, v17 :: v_dual_mov_b32 v30, v29
	v_cndmask_b32_e32 v8, v28, v8, vcc_lo
	s_delay_alu instid0(VALU_DEP_2) | instskip(NEXT) | instid1(VALU_DEP_1)
	v_mad_nc_u64_u32 v[30:31], 0xfc2757d1, v16, v[30:31]
	v_dual_mov_b32 v32, v31 :: v_dual_cndmask_b32 v29, v30, v26
	s_delay_alu instid0(VALU_DEP_1) | instskip(SKIP_1) | instid1(VALU_DEP_2)
	v_mad_nc_u64_u32 v[32:33], 0x4e441529, v16, v[32:33]
	v_add_nc_u32_e32 v7, v9, v7
	v_dual_mov_b32 v35, v17 :: v_dual_mov_b32 v34, v33
	s_delay_alu instid0(VALU_DEP_1) | instskip(NEXT) | instid1(VALU_DEP_4)
	v_mad_nc_u64_u32 v[34:35], 0xa2f9836e, v16, v[34:35]
	v_cndmask_b32_e32 v16, v32, v28, vcc_lo
	s_delay_alu instid0(VALU_DEP_4) | instskip(NEXT) | instid1(VALU_DEP_1)
	v_cmp_lt_u32_e64 s2, 31, v7
	v_cndmask_b32_e64 v9, 0, 0xffffffe0, s2
	s_delay_alu instid0(VALU_DEP_1) | instskip(SKIP_1) | instid1(VALU_DEP_2)
	v_dual_cndmask_b32 v22, v34, v30 :: v_dual_add_nc_u32 v7, v9, v7
	v_cndmask_b32_e32 v27, v35, v32, vcc_lo
	v_cmp_lt_u32_e64 s3, 31, v7
	s_delay_alu instid0(VALU_DEP_1) | instskip(NEXT) | instid1(VALU_DEP_1)
	v_cndmask_b32_e64 v9, 0, 0xffffffe0, s3
	v_dual_add_nc_u32 v7, v9, v7 :: v_dual_cndmask_b32 v9, v22, v16, s2
	s_delay_alu instid0(VALU_DEP_4) | instskip(NEXT) | instid1(VALU_DEP_2)
	v_dual_cndmask_b32 v22, v27, v22, s2 :: v_dual_cndmask_b32 v16, v16, v29, s2
	v_dual_cndmask_b32 v28, v29, v8, s2 :: v_dual_sub_nc_u32 v27, 32, v7
	v_cmp_eq_u32_e32 vcc_lo, 0, v7
	s_delay_alu instid0(VALU_DEP_3) | instskip(NEXT) | instid1(VALU_DEP_1)
	v_dual_cndmask_b32 v22, v22, v9, s3 :: v_dual_cndmask_b32 v9, v9, v16, s3
	v_alignbit_b32 v29, v22, v9, v27
	s_delay_alu instid0(VALU_DEP_1) | instskip(NEXT) | instid1(VALU_DEP_1)
	v_dual_cndmask_b32 v16, v16, v28, s3 :: v_dual_cndmask_b32 v7, v29, v22, vcc_lo
	v_alignbit_b32 v26, v9, v16, v27
	s_delay_alu instid0(VALU_DEP_1) | instskip(NEXT) | instid1(VALU_DEP_3)
	v_dual_cndmask_b32 v6, v8, v6, s2 :: v_dual_cndmask_b32 v8, v26, v9, vcc_lo
	v_bfe_u32 v9, v7, 29, 1
	s_delay_alu instid0(VALU_DEP_2) | instskip(NEXT) | instid1(VALU_DEP_3)
	v_cndmask_b32_e64 v6, v28, v6, s3
	v_alignbit_b32 v22, v7, v8, 30
	s_delay_alu instid0(VALU_DEP_3) | instskip(NEXT) | instid1(VALU_DEP_3)
	v_sub_nc_u32_e32 v26, 0, v9
	v_alignbit_b32 v27, v16, v6, v27
	s_delay_alu instid0(VALU_DEP_1) | instskip(NEXT) | instid1(VALU_DEP_1)
	v_dual_cndmask_b32 v16, v27, v16, vcc_lo :: v_dual_bitop2_b32 v22, v22, v26 bitop3:0x14
	v_clz_i32_u32_e32 v27, v22
	s_delay_alu instid0(VALU_DEP_2) | instskip(SKIP_1) | instid1(VALU_DEP_3)
	v_alignbit_b32 v8, v8, v16, 30
	v_alignbit_b32 v6, v16, v6, 30
	v_min_u32_e32 v27, 32, v27
	s_delay_alu instid0(VALU_DEP_3) | instskip(NEXT) | instid1(VALU_DEP_3)
	v_xor_b32_e32 v8, v8, v26
	v_dual_lshrrev_b32 v26, 29, v7 :: v_dual_bitop2_b32 v6, v6, v26 bitop3:0x14
	s_delay_alu instid0(VALU_DEP_3) | instskip(NEXT) | instid1(VALU_DEP_1)
	v_dual_sub_nc_u32 v16, 31, v27 :: v_dual_lshlrev_b32 v28, 23, v27
	v_alignbit_b32 v22, v22, v8, v16
	s_delay_alu instid0(VALU_DEP_3) | instskip(NEXT) | instid1(VALU_DEP_4)
	v_alignbit_b32 v6, v8, v6, v16
	v_lshlrev_b32_e32 v8, 31, v26
	s_delay_alu instid0(VALU_DEP_2) | instskip(NEXT) | instid1(VALU_DEP_2)
	v_alignbit_b32 v16, v22, v6, 9
	v_dual_lshrrev_b32 v22, 9, v22 :: v_dual_bitop2_b32 v26, 0.5, v8 bitop3:0x54
	v_or_b32_e32 v8, 0x33000000, v8
	s_delay_alu instid0(VALU_DEP_3) | instskip(NEXT) | instid1(VALU_DEP_3)
	v_clz_i32_u32_e32 v29, v16
	v_sub_nc_u32_e32 v26, v26, v28
	s_delay_alu instid0(VALU_DEP_2) | instskip(NEXT) | instid1(VALU_DEP_1)
	v_min_u32_e32 v28, 32, v29
	v_add_lshl_u32 v27, v28, v27, 23
	s_delay_alu instid0(VALU_DEP_3) | instskip(SKIP_1) | instid1(VALU_DEP_2)
	v_or_b32_e32 v22, v22, v26
	v_not_b32_e32 v26, v28
	v_dual_mul_f32 v29, 0x3fc90fda, v22 :: v_dual_sub_nc_u32 v8, v8, v27
	s_delay_alu instid0(VALU_DEP_2) | instskip(NEXT) | instid1(VALU_DEP_2)
	v_alignbit_b32 v6, v16, v6, v26
	v_fma_f32 v16, 0x3fc90fda, v22, -v29
	s_delay_alu instid0(VALU_DEP_2) | instskip(NEXT) | instid1(VALU_DEP_2)
	v_lshrrev_b32_e32 v6, 9, v6
	v_fmac_f32_e32 v16, 0x33a22168, v22
	s_delay_alu instid0(VALU_DEP_2) | instskip(NEXT) | instid1(VALU_DEP_1)
	v_or_b32_e32 v6, v8, v6
	v_fmac_f32_e32 v16, 0x3fc90fda, v6
	s_delay_alu instid0(VALU_DEP_1) | instskip(NEXT) | instid1(VALU_DEP_1)
	v_dual_add_f32 v7, v29, v16 :: v_dual_lshrrev_b32 v6, 30, v7
	v_add_nc_u32_e32 v6, v9, v6
.LBB156_12:                             ;   in Loop: Header=BB156_7 Depth=1
	s_and_not1_saveexec_b32 s2, s35
; %bb.13:                               ;   in Loop: Header=BB156_7 Depth=1
	v_mul_f32_e64 v6, 0x3f22f983, |v11|
	s_delay_alu instid0(VALU_DEP_1) | instskip(NEXT) | instid1(VALU_DEP_1)
	v_rndne_f32_e32 v6, v6
	v_fma_f32 v7, 0xbfc90fda, v6, |v11|
	s_delay_alu instid0(VALU_DEP_1) | instskip(NEXT) | instid1(VALU_DEP_1)
	v_fmac_f32_e32 v7, 0xb3a22168, v6
	v_fmac_f32_e32 v7, 0xa7c234c4, v6
	v_cvt_i32_f32_e32 v6, v6
; %bb.14:                               ;   in Loop: Header=BB156_7 Depth=1
	s_or_b32 exec_lo, exec_lo, s2
	v_add_f32_e64 v16, 0xbf317218, |v10|
	v_cmp_nlt_f32_e64 vcc_lo, 0x42b2d4fc, |v10|
	v_cmp_gt_f32_e64 s2, 0x39800000, |v10|
	s_delay_alu instid0(VALU_DEP_3) | instskip(NEXT) | instid1(VALU_DEP_1)
	v_sub_f32_e64 v9, v16, |v10|
	v_sub_f32_e32 v8, v9, v16
	s_delay_alu instid0(VALU_DEP_1) | instskip(NEXT) | instid1(VALU_DEP_1)
	v_pk_add_f32 v[8:9], v[20:21], v[8:9]
	v_sub_f32_e32 v8, v8, v9
	s_delay_alu instid0(VALU_DEP_1) | instskip(NEXT) | instid1(VALU_DEP_1)
	v_add_f32_e32 v8, 0x3102e308, v8
	v_add_f32_e32 v9, v16, v8
	s_delay_alu instid0(VALU_DEP_1) | instskip(NEXT) | instid1(VALU_DEP_1)
	v_sub_f32_e32 v16, v16, v9
	v_add_f32_e32 v16, v8, v16
	v_mul_f32_e32 v20, 0x3fb8aa3b, v9
	s_delay_alu instid0(VALU_DEP_1) | instskip(NEXT) | instid1(VALU_DEP_1)
	v_rndne_f32_e32 v20, v20
	v_fmac_f32_e32 v9, 0xbf317200, v20
	v_mul_f32_e32 v22, 0x35bfbc00, v20
	s_delay_alu instid0(VALU_DEP_2) | instskip(NEXT) | instid1(VALU_DEP_1)
	v_dual_mul_f32 v27, 0x2ea39ef3, v20 :: v_dual_add_f32 v26, v16, v9
	v_sub_f32_e32 v8, v26, v22
	s_delay_alu instid0(VALU_DEP_1) | instskip(NEXT) | instid1(VALU_DEP_1)
	v_dual_sub_f32 v9, v9, v26 :: v_dual_sub_f32 v26, v26, v8
	v_dual_add_f32 v9, v16, v9 :: v_dual_sub_f32 v16, v26, v22
	s_delay_alu instid0(VALU_DEP_1) | instskip(NEXT) | instid1(VALU_DEP_1)
	v_add_f32_e32 v16, v9, v16
	v_add_f32_e32 v9, v8, v16
	s_delay_alu instid0(VALU_DEP_1) | instskip(NEXT) | instid1(VALU_DEP_1)
	v_mov_b32_e32 v26, v9
	v_pk_add_f32 v[28:29], v[8:9], v[26:27] neg_lo:[0,1] neg_hi:[0,1]
	s_delay_alu instid0(VALU_DEP_1) | instskip(NEXT) | instid1(VALU_DEP_1)
	v_dual_sub_f32 v8, v9, v29 :: v_dual_add_f32 v9, v16, v28
	v_sub_f32_e32 v8, v8, v27
	s_delay_alu instid0(VALU_DEP_1) | instskip(NEXT) | instid1(VALU_DEP_1)
	v_add_f32_e32 v8, v9, v8
	v_add_f32_e32 v9, v29, v8
	s_delay_alu instid0(VALU_DEP_1) | instskip(SKIP_1) | instid1(VALU_DEP_1)
	v_mul_f32_e32 v22, v9, v9
	v_sub_f32_e32 v16, v29, v9
	v_add_f32_e32 v8, v8, v16
	s_delay_alu instid0(VALU_DEP_1) | instskip(NEXT) | instid1(VALU_DEP_4)
	v_dual_add_f32 v27, v8, v8 :: v_dual_fmaak_f32 v16, s27, v9, 0x3c091de6
	v_fma_f32 v26, v9, v9, -v22
	s_delay_alu instid0(VALU_DEP_2) | instskip(NEXT) | instid1(VALU_DEP_1)
	v_fmaak_f32 v16, v9, v16, 0x3d2aadcc
	v_fmaak_f32 v16, v9, v16, 0x3e2aaa47
	s_delay_alu instid0(VALU_DEP_1) | instskip(NEXT) | instid1(VALU_DEP_4)
	v_fmaak_f32 v16, v9, v16, 0x3efffffc
	v_fmac_f32_e32 v26, v9, v27
	s_delay_alu instid0(VALU_DEP_1) | instskip(NEXT) | instid1(VALU_DEP_1)
	v_add_f32_e32 v27, v22, v26
	v_dual_sub_f32 v22, v27, v22 :: v_dual_mul_f32 v28, v16, v27
	s_delay_alu instid0(VALU_DEP_1) | instskip(NEXT) | instid1(VALU_DEP_1)
	v_dual_sub_f32 v22, v26, v22 :: v_dual_fma_f32 v26, v27, v16, -v28
	v_fmac_f32_e32 v26, v22, v16
	s_delay_alu instid0(VALU_DEP_1) | instskip(NEXT) | instid1(VALU_DEP_1)
	v_add_f32_e32 v16, v28, v26
	v_add_f32_e32 v22, v9, v16
	v_sub_f32_e32 v27, v16, v28
	v_mov_b64_e32 v[28:29], s[20:21]
	s_delay_alu instid0(VALU_DEP_3) | instskip(NEXT) | instid1(VALU_DEP_1)
	v_sub_f32_e32 v9, v22, v9
	v_dual_sub_f32 v26, v26, v27 :: v_dual_sub_f32 v9, v16, v9
	s_delay_alu instid0(VALU_DEP_1) | instskip(NEXT) | instid1(VALU_DEP_1)
	v_add_f32_e32 v8, v8, v26
	v_add_f32_e32 v8, v8, v9
	s_delay_alu instid0(VALU_DEP_1) | instskip(NEXT) | instid1(VALU_DEP_1)
	v_add_f32_e32 v26, v22, v8
	v_dual_add_f32 v27, 1.0, v26 :: v_dual_mov_b32 v9, v26
	s_delay_alu instid0(VALU_DEP_1) | instskip(SKIP_1) | instid1(VALU_DEP_2)
	v_pk_add_f32 v[28:29], v[26:27], v[28:29]
	v_pk_add_f32 v[30:31], v[26:27], v[22:23] neg_lo:[0,1] neg_hi:[0,1]
	v_mov_b32_e32 v31, v29
	s_delay_alu instid0(VALU_DEP_1) | instskip(NEXT) | instid1(VALU_DEP_1)
	v_pk_add_f32 v[8:9], v[8:9], v[30:31] neg_lo:[0,1] neg_hi:[0,1]
	v_add_f32_e32 v8, v8, v9
	v_cvt_i32_f32_e32 v9, v20
	s_delay_alu instid0(VALU_DEP_2) | instskip(NEXT) | instid1(VALU_DEP_1)
	v_add_f32_e32 v16, v27, v8
	v_ldexp_f32 v20, v16, v9
	v_sub_f32_e32 v16, v16, v27
	s_delay_alu instid0(VALU_DEP_2) | instskip(NEXT) | instid1(VALU_DEP_1)
	v_rcp_f32_e32 v22, v20
	v_sub_f32_e32 v8, v8, v16
	s_delay_alu instid0(VALU_DEP_1) | instskip(NEXT) | instid1(TRANS32_DEP_1)
	v_ldexp_f32 v8, v8, v9
	v_mul_f32_e32 v16, v20, v22
	s_delay_alu instid0(VALU_DEP_1) | instskip(NEXT) | instid1(VALU_DEP_1)
	v_fma_f32 v9, v22, v20, -v16
	v_fmac_f32_e32 v9, v22, v8
	s_delay_alu instid0(VALU_DEP_1) | instskip(NEXT) | instid1(VALU_DEP_1)
	v_add_f32_e32 v26, v16, v9
	v_sub_f32_e32 v16, v26, v16
	s_delay_alu instid0(VALU_DEP_1) | instskip(NEXT) | instid1(VALU_DEP_1)
	v_dual_sub_f32 v9, v16, v9 :: v_dual_sub_f32 v27, 1.0, v26
	v_sub_f32_e32 v28, 1.0, v27
	s_delay_alu instid0(VALU_DEP_1) | instskip(NEXT) | instid1(VALU_DEP_1)
	v_sub_f32_e32 v16, v28, v26
	v_add_f32_e32 v9, v9, v16
	s_delay_alu instid0(VALU_DEP_1) | instskip(NEXT) | instid1(VALU_DEP_1)
	v_add_f32_e32 v16, v27, v9
	v_mul_f32_e32 v26, v22, v16
	s_delay_alu instid0(VALU_DEP_1) | instskip(NEXT) | instid1(VALU_DEP_1)
	v_dual_mul_f32 v28, v20, v26 :: v_dual_sub_f32 v27, v27, v16
	v_fma_f32 v29, v26, v20, -v28
	s_delay_alu instid0(VALU_DEP_1) | instskip(NEXT) | instid1(VALU_DEP_1)
	v_fmac_f32_e32 v29, v26, v8
	v_add_f32_e32 v30, v28, v29
	s_delay_alu instid0(VALU_DEP_1) | instskip(NEXT) | instid1(VALU_DEP_1)
	v_sub_f32_e32 v31, v16, v30
	v_sub_f32_e32 v16, v16, v31
	v_dual_add_f32 v9, v9, v27 :: v_dual_sub_f32 v27, v30, v28
	s_delay_alu instid0(VALU_DEP_1) | instskip(NEXT) | instid1(VALU_DEP_1)
	v_dual_sub_f32 v16, v16, v30 :: v_dual_sub_f32 v27, v27, v29
	v_dual_add_f32 v9, v9, v16 :: v_dual_add_f32 v16, v22, v26
	s_delay_alu instid0(VALU_DEP_1) | instskip(NEXT) | instid1(VALU_DEP_1)
	v_dual_add_f32 v9, v27, v9 :: v_dual_sub_f32 v27, v16, v22
	v_dual_add_f32 v9, v31, v9 :: v_dual_sub_f32 v26, v26, v27
	s_delay_alu instid0(VALU_DEP_1) | instskip(NEXT) | instid1(VALU_DEP_1)
	v_mul_f32_e32 v9, v22, v9
	v_add_f32_e32 v9, v26, v9
	s_delay_alu instid0(VALU_DEP_1) | instskip(NEXT) | instid1(VALU_DEP_1)
	v_add_f32_e32 v22, v16, v9
	v_ldexp_f32 v26, v22, -2
	s_delay_alu instid0(VALU_DEP_1) | instskip(NEXT) | instid1(VALU_DEP_1)
	v_dual_sub_f32 v16, v22, v16 :: v_dual_sub_f32 v27, v20, v26
	v_dual_sub_f32 v20, v20, v27 :: v_dual_sub_f32 v9, v9, v16
	s_delay_alu instid0(VALU_DEP_1) | instskip(NEXT) | instid1(VALU_DEP_2)
	v_sub_f32_e32 v16, v20, v26
	v_ldexp_f32 v9, v9, -2
	s_delay_alu instid0(VALU_DEP_2) | instskip(NEXT) | instid1(VALU_DEP_1)
	v_add_f32_e32 v8, v8, v16
	v_dual_sub_f32 v8, v8, v9 :: v_dual_mul_f32 v9, v7, v7
	s_delay_alu instid0(VALU_DEP_1) | instskip(SKIP_1) | instid1(VALU_DEP_2)
	v_fmaak_f32 v16, s26, v9, 0xbf039337
	v_fmaak_f32 v20, s25, v9, 0x3ec54587
	;; [unrolled: 1-line block ×3, first 2 shown]
	s_delay_alu instid0(VALU_DEP_1) | instskip(SKIP_1) | instid1(TRANS32_DEP_1)
	v_rcp_f32_e32 v16, v16
	v_nop
	v_mul_f32_e32 v16, v20, v16
	s_delay_alu instid0(VALU_DEP_1) | instskip(SKIP_1) | instid1(VALU_DEP_1)
	v_mul_f32_e32 v9, v9, v16
	v_add_f32_e32 v8, v27, v8
	v_cndmask_b32_e32 v8, 0x7f800000, v8, vcc_lo
	s_delay_alu instid0(VALU_DEP_1) | instskip(NEXT) | instid1(VALU_DEP_1)
	v_cndmask_b32_e64 v8, v8, |v10|, s2
	v_bfi_b32 v8, 0x7fffffff, v8, v10
	s_delay_alu instid0(VALU_DEP_1) | instskip(NEXT) | instid1(VALU_DEP_1)
	v_fma_f32 v22, v8, v8, 1.0
	v_mul_f32_e32 v20, 0x4f800000, v22
	v_cmp_gt_f32_e32 vcc_lo, 0xf800000, v22
	s_delay_alu instid0(VALU_DEP_2) | instskip(NEXT) | instid1(VALU_DEP_1)
	v_dual_cndmask_b32 v16, v22, v20, vcc_lo :: v_dual_fma_f32 v20, v9, v7, v7
	v_sub_f32_e32 v27, v20, v7
	v_rcp_f32_e32 v26, v20
	s_delay_alu instid0(VALU_DEP_1) | instskip(NEXT) | instid1(VALU_DEP_3)
	v_fma_f32 v7, v9, v7, -v27
	v_sqrt_f32_e32 v22, v16
	s_delay_alu instid0(TRANS32_DEP_2) | instskip(NEXT) | instid1(TRANS32_DEP_1)
	v_fma_f32 v9, v20, -v26, 1.0
	v_dual_add_nc_u32 v28, -1, v22 :: v_dual_add_nc_u32 v27, 1, v22
	s_delay_alu instid0(VALU_DEP_2) | instskip(NEXT) | instid1(VALU_DEP_2)
	v_fma_f32 v7, v7, -v26, v9
	v_dual_fma_f32 v29, -v28, v22, v16 :: v_dual_fma_f32 v9, -v27, v22, v16
	s_delay_alu instid0(VALU_DEP_1) | instskip(NEXT) | instid1(VALU_DEP_1)
	v_cmp_ge_f32_e64 s2, 0, v29
	v_cndmask_b32_e64 v22, v22, v28, s2
	s_delay_alu instid0(VALU_DEP_3) | instskip(SKIP_1) | instid1(VALU_DEP_2)
	v_cmp_lt_f32_e64 s2, 0, v9
	v_and_b32_e32 v6, 1, v6
	v_dual_fma_f32 v7, v7, -v26, -v26 :: v_dual_cndmask_b32 v9, v22, v27, s2
	s_delay_alu instid0(VALU_DEP_2) | instskip(NEXT) | instid1(VALU_DEP_1)
	v_cmp_eq_u32_e64 s2, 0, v6
	v_cndmask_b32_e64 v6, v7, v20, s2
	s_delay_alu instid0(VALU_DEP_3) | instskip(NEXT) | instid1(VALU_DEP_2)
	v_mul_f32_e32 v7, 0x37800000, v9
	v_xor3_b32 v1, v1, v6, v11
	s_delay_alu instid0(VALU_DEP_2) | instskip(SKIP_1) | instid1(VALU_DEP_3)
	v_cndmask_b32_e32 v6, v9, v7, vcc_lo
	v_cmp_class_f32_e64 vcc_lo, v16, 0x260
	v_fma_f32 v7, v1, v1, 1.0
	s_delay_alu instid0(VALU_DEP_1) | instskip(NEXT) | instid1(VALU_DEP_1)
	v_dual_cndmask_b32 v6, v6, v16 :: v_dual_mul_f32 v9, v8, v7
	v_mul_f32_e32 v6, v6, v7
	s_delay_alu instid0(VALU_DEP_2) | instskip(NEXT) | instid1(VALU_DEP_2)
	v_fma_f32 v7, v8, v9, 1.0
	v_mul_f32_e32 v6, v8, v6
	s_delay_alu instid0(VALU_DEP_2) | instskip(NEXT) | instid1(VALU_DEP_2)
	v_div_scale_f32 v9, null, v7, v7, v1
	v_div_scale_f32 v8, null, v7, v7, v6
	v_div_scale_f32 v27, vcc_lo, v6, v7, v6
	s_delay_alu instid0(VALU_DEP_3) | instskip(NEXT) | instid1(VALU_DEP_2)
	v_rcp_f32_e32 v20, v9
	v_rcp_f32_e32 v16, v8
	s_delay_alu instid0(TRANS32_DEP_2) | instskip(NEXT) | instid1(TRANS32_DEP_1)
	v_fma_f32 v26, -v9, v20, 1.0
	v_fma_f32 v22, -v8, v16, 1.0
	s_delay_alu instid0(VALU_DEP_2) | instskip(NEXT) | instid1(VALU_DEP_2)
	v_fmac_f32_e32 v20, v26, v20
	v_fmac_f32_e32 v16, v22, v16
	v_div_scale_f32 v22, s2, v1, v7, v1
	s_delay_alu instid0(VALU_DEP_2) | instskip(NEXT) | instid1(VALU_DEP_1)
	v_mul_f32_e32 v26, v27, v16
	v_dual_mul_f32 v28, v22, v20 :: v_dual_fma_f32 v29, -v8, v26, v27
	s_delay_alu instid0(VALU_DEP_1) | instskip(NEXT) | instid1(VALU_DEP_1)
	v_fmac_f32_e32 v26, v29, v16
	v_dual_fma_f32 v30, -v9, v28, v22 :: v_dual_fma_f32 v8, -v8, v26, v27
	s_delay_alu instid0(VALU_DEP_1) | instskip(NEXT) | instid1(VALU_DEP_2)
	v_fmac_f32_e32 v28, v30, v20
	v_div_fmas_f32 v8, v8, v16, v26
	s_delay_alu instid0(VALU_DEP_2) | instskip(SKIP_1) | instid1(VALU_DEP_2)
	v_fma_f32 v9, -v9, v28, v22
	s_mov_b32 vcc_lo, s2
	v_div_fixup_f32 v6, v8, v7, v6
	s_delay_alu instid0(VALU_DEP_2) | instskip(NEXT) | instid1(VALU_DEP_1)
	v_div_fmas_f32 v9, v9, v20, v28
	v_div_fixup_f32 v7, v9, v7, v1
                                        ; implicit-def: $vgpr1
.LBB156_15:                             ;   in Loop: Header=BB156_7 Depth=1
	s_and_not1_saveexec_b32 s34, s34
	s_cbranch_execz .LBB156_18
; %bb.16:                               ;   in Loop: Header=BB156_7 Depth=1
	v_lshrrev_b32_e32 v6, 23, v1
	v_cmp_ngt_f32_e64 s35, 0x48000000, |v11|
	v_and_or_b32 v16, v1, s24, 0x800000
                                        ; implicit-def: $vgpr8
	s_delay_alu instid0(VALU_DEP_3) | instskip(SKIP_1) | instid1(SALU_CYCLE_1)
	v_add_nc_u32_e32 v7, 0xffffff88, v6
                                        ; implicit-def: $vgpr6
	s_and_saveexec_b32 s2, s35
	s_xor_b32 s36, exec_lo, s2
	s_cbranch_execz .LBB156_19
; %bb.17:                               ;   in Loop: Header=BB156_7 Depth=1
	v_mul_u64_e32 v[8:9], s[18:19], v[16:17]
	v_mov_b32_e32 v27, v17
	v_cmp_lt_u32_e32 vcc_lo, 63, v7
	v_mov_b32_e32 v37, v17
	v_cndmask_b32_e64 v6, 0, 0xffffffc0, vcc_lo
	s_delay_alu instid0(VALU_DEP_1) | instskip(NEXT) | instid1(VALU_DEP_1)
	v_add_nc_u32_e32 v6, v6, v7
	v_cmp_lt_u32_e64 s2, 31, v6
	v_mov_b32_e32 v26, v9
	s_delay_alu instid0(VALU_DEP_2) | instskip(NEXT) | instid1(VALU_DEP_2)
	v_cndmask_b32_e64 v9, 0, 0xffffffe0, s2
	v_mad_nc_u64_u32 v[26:27], 0x3c439041, v16, v[26:27]
	v_mov_b32_e32 v29, v17
	s_delay_alu instid0(VALU_DEP_3) | instskip(NEXT) | instid1(VALU_DEP_1)
	v_add_nc_u32_e32 v6, v9, v6
	v_cmp_lt_u32_e64 s3, 31, v6
	s_delay_alu instid0(VALU_DEP_4) | instskip(NEXT) | instid1(VALU_DEP_2)
	v_mov_b32_e32 v28, v27
	v_cndmask_b32_e64 v9, 0, 0xffffffe0, s3
	s_delay_alu instid0(VALU_DEP_2) | instskip(NEXT) | instid1(VALU_DEP_1)
	v_mad_nc_u64_u32 v[28:29], 0xdb629599, v16, v[28:29]
	v_dual_mov_b32 v31, v17 :: v_dual_mov_b32 v30, v29
	s_delay_alu instid0(VALU_DEP_1) | instskip(NEXT) | instid1(VALU_DEP_1)
	v_mad_nc_u64_u32 v[30:31], 0xf534ddc0, v16, v[30:31]
	v_dual_mov_b32 v33, v17 :: v_dual_mov_b32 v32, v31
	s_delay_alu instid0(VALU_DEP_1) | instskip(NEXT) | instid1(VALU_DEP_1)
	v_mad_nc_u64_u32 v[32:33], 0xfc2757d1, v16, v[32:33]
	v_dual_mov_b32 v35, v17 :: v_dual_mov_b32 v34, v33
	s_delay_alu instid0(VALU_DEP_2) | instskip(NEXT) | instid1(VALU_DEP_2)
	v_cndmask_b32_e32 v29, v32, v28, vcc_lo
	v_mad_nc_u64_u32 v[34:35], 0x4e441529, v16, v[34:35]
	s_delay_alu instid0(VALU_DEP_1) | instskip(NEXT) | instid1(VALU_DEP_1)
	v_mov_b32_e32 v36, v35
	v_mad_nc_u64_u32 v[36:37], 0xa2f9836e, v16, v[36:37]
	s_delay_alu instid0(VALU_DEP_1) | instskip(NEXT) | instid1(VALU_DEP_2)
	v_dual_cndmask_b32 v20, v34, v30, vcc_lo :: v_dual_cndmask_b32 v22, v36, v32, vcc_lo
	v_cndmask_b32_e32 v27, v37, v34, vcc_lo
	v_add_nc_u32_e32 v6, v9, v6
	v_cndmask_b32_e32 v9, v30, v26, vcc_lo
	s_delay_alu instid0(VALU_DEP_3) | instskip(NEXT) | instid1(VALU_DEP_3)
	v_dual_cndmask_b32 v26, v22, v20, s2 :: v_dual_cndmask_b32 v22, v27, v22, s2
	v_dual_cndmask_b32 v20, v20, v29, s2 :: v_dual_sub_nc_u32 v27, 32, v6
	s_delay_alu instid0(VALU_DEP_2) | instskip(NEXT) | instid1(VALU_DEP_1)
	v_dual_cndmask_b32 v29, v29, v9, s2 :: v_dual_cndmask_b32 v22, v22, v26, s3
	v_dual_cndmask_b32 v26, v26, v20, s3 :: v_dual_cndmask_b32 v20, v20, v29, s3
	s_delay_alu instid0(VALU_DEP_1) | instskip(SKIP_2) | instid1(VALU_DEP_4)
	v_alignbit_b32 v30, v22, v26, v27
	v_cndmask_b32_e32 v8, v28, v8, vcc_lo
	v_cmp_eq_u32_e32 vcc_lo, 0, v6
	v_alignbit_b32 v28, v26, v20, v27
	s_delay_alu instid0(VALU_DEP_3) | instskip(NEXT) | instid1(VALU_DEP_2)
	v_dual_cndmask_b32 v6, v30, v22, vcc_lo :: v_dual_cndmask_b32 v8, v9, v8, s2
	v_cndmask_b32_e32 v9, v28, v26, vcc_lo
	s_delay_alu instid0(VALU_DEP_2) | instskip(NEXT) | instid1(VALU_DEP_3)
	v_bfe_u32 v22, v6, 29, 1
	v_cndmask_b32_e64 v8, v29, v8, s3
	s_delay_alu instid0(VALU_DEP_3) | instskip(NEXT) | instid1(VALU_DEP_3)
	v_alignbit_b32 v26, v6, v9, 30
	v_sub_nc_u32_e32 v28, 0, v22
	s_delay_alu instid0(VALU_DEP_3) | instskip(NEXT) | instid1(VALU_DEP_2)
	v_alignbit_b32 v27, v20, v8, v27
	v_xor_b32_e32 v26, v26, v28
	s_delay_alu instid0(VALU_DEP_2) | instskip(NEXT) | instid1(VALU_DEP_2)
	v_cndmask_b32_e32 v20, v27, v20, vcc_lo
	v_clz_i32_u32_e32 v27, v26
	s_delay_alu instid0(VALU_DEP_2) | instskip(SKIP_1) | instid1(VALU_DEP_3)
	v_alignbit_b32 v9, v9, v20, 30
	v_alignbit_b32 v8, v20, v8, 30
	v_min_u32_e32 v27, 32, v27
	s_delay_alu instid0(VALU_DEP_3) | instskip(NEXT) | instid1(VALU_DEP_3)
	v_xor_b32_e32 v9, v9, v28
	v_dual_lshrrev_b32 v28, 29, v6 :: v_dual_bitop2_b32 v8, v8, v28 bitop3:0x14
	s_delay_alu instid0(VALU_DEP_3) | instskip(NEXT) | instid1(VALU_DEP_1)
	v_dual_sub_nc_u32 v20, 31, v27 :: v_dual_lshlrev_b32 v29, 23, v27
	v_alignbit_b32 v26, v26, v9, v20
	s_delay_alu instid0(VALU_DEP_3) | instskip(NEXT) | instid1(VALU_DEP_4)
	v_alignbit_b32 v8, v9, v8, v20
	v_lshlrev_b32_e32 v9, 31, v28
	s_delay_alu instid0(VALU_DEP_2) | instskip(NEXT) | instid1(VALU_DEP_2)
	v_alignbit_b32 v20, v26, v8, 9
	v_dual_lshrrev_b32 v26, 9, v26 :: v_dual_bitop2_b32 v28, 0.5, v9 bitop3:0x54
	v_or_b32_e32 v9, 0x33000000, v9
	s_delay_alu instid0(VALU_DEP_3) | instskip(NEXT) | instid1(VALU_DEP_3)
	v_clz_i32_u32_e32 v30, v20
	v_sub_nc_u32_e32 v28, v28, v29
	s_delay_alu instid0(VALU_DEP_2) | instskip(NEXT) | instid1(VALU_DEP_1)
	v_min_u32_e32 v29, 32, v30
	v_add_lshl_u32 v27, v29, v27, 23
	s_delay_alu instid0(VALU_DEP_1) | instskip(SKIP_1) | instid1(VALU_DEP_2)
	v_dual_sub_nc_u32 v9, v9, v27 :: v_dual_bitop2_b32 v26, v26, v28 bitop3:0x54
	v_not_b32_e32 v28, v29
	v_mul_f32_e32 v30, 0x3fc90fda, v26
	s_delay_alu instid0(VALU_DEP_2) | instskip(NEXT) | instid1(VALU_DEP_2)
	v_alignbit_b32 v8, v20, v8, v28
	v_fma_f32 v20, 0x3fc90fda, v26, -v30
	s_delay_alu instid0(VALU_DEP_2) | instskip(NEXT) | instid1(VALU_DEP_2)
	v_lshrrev_b32_e32 v8, 9, v8
	v_fmac_f32_e32 v20, 0x33a22168, v26
	s_delay_alu instid0(VALU_DEP_2) | instskip(NEXT) | instid1(VALU_DEP_1)
	v_or_b32_e32 v8, v9, v8
	v_fmac_f32_e32 v20, 0x3fc90fda, v8
	s_delay_alu instid0(VALU_DEP_1) | instskip(NEXT) | instid1(VALU_DEP_1)
	v_dual_lshrrev_b32 v8, 30, v6 :: v_dual_add_f32 v6, v30, v20
	v_add_nc_u32_e32 v8, v22, v8
	s_and_not1_saveexec_b32 s2, s36
	s_branch .LBB156_20
.LBB156_18:                             ;   in Loop: Header=BB156_7 Depth=1
	s_or_b32 exec_lo, exec_lo, s34
	s_and_not1_saveexec_b32 s2, s33
	s_cbranch_execnz .LBB156_27
	s_branch .LBB156_28
.LBB156_19:                             ;   in Loop: Header=BB156_7 Depth=1
	s_and_not1_saveexec_b32 s2, s36
.LBB156_20:                             ;   in Loop: Header=BB156_7 Depth=1
	v_mul_f32_e64 v6, 0x3f22f983, |v11|
	s_delay_alu instid0(VALU_DEP_1) | instskip(NEXT) | instid1(VALU_DEP_1)
	v_rndne_f32_e32 v8, v6
	v_fma_f32 v6, 0xbfc90fda, v8, |v11|
	s_delay_alu instid0(VALU_DEP_1) | instskip(NEXT) | instid1(VALU_DEP_1)
	v_fmac_f32_e32 v6, 0xb3a22168, v8
	v_fmac_f32_e32 v6, 0xa7c234c4, v8
	v_cvt_i32_f32_e32 v8, v8
; %bb.21:                               ;   in Loop: Header=BB156_7 Depth=1
	s_or_b32 exec_lo, exec_lo, s2
                                        ; implicit-def: $vgpr20
                                        ; implicit-def: $vgpr9
	s_and_saveexec_b32 s2, s35
	s_delay_alu instid0(SALU_CYCLE_1)
	s_xor_b32 s35, exec_lo, s2
	s_cbranch_execz .LBB156_23
; %bb.22:                               ;   in Loop: Header=BB156_7 Depth=1
	v_mul_u64_e32 v[26:27], s[18:19], v[16:17]
	v_mov_b32_e32 v29, v17
	v_cmp_lt_u32_e32 vcc_lo, 63, v7
	v_cndmask_b32_e64 v9, 0, 0xffffffc0, vcc_lo
	s_delay_alu instid0(VALU_DEP_4) | instskip(NEXT) | instid1(VALU_DEP_1)
	v_mov_b32_e32 v28, v27
	v_mad_nc_u64_u32 v[28:29], 0x3c439041, v16, v[28:29]
	s_delay_alu instid0(VALU_DEP_1) | instskip(NEXT) | instid1(VALU_DEP_1)
	v_dual_mov_b32 v31, v17 :: v_dual_mov_b32 v30, v29
	v_mad_nc_u64_u32 v[30:31], 0xdb629599, v16, v[30:31]
	s_delay_alu instid0(VALU_DEP_1) | instskip(NEXT) | instid1(VALU_DEP_2)
	v_dual_mov_b32 v33, v17 :: v_dual_mov_b32 v32, v31
	v_cndmask_b32_e32 v26, v30, v26, vcc_lo
	s_delay_alu instid0(VALU_DEP_2) | instskip(NEXT) | instid1(VALU_DEP_1)
	v_mad_nc_u64_u32 v[32:33], 0xf534ddc0, v16, v[32:33]
	v_dual_mov_b32 v35, v17 :: v_dual_mov_b32 v34, v33
	s_delay_alu instid0(VALU_DEP_1) | instskip(NEXT) | instid1(VALU_DEP_1)
	v_mad_nc_u64_u32 v[34:35], 0xfc2757d1, v16, v[34:35]
	v_dual_mov_b32 v37, v17 :: v_dual_mov_b32 v36, v35
	s_delay_alu instid0(VALU_DEP_2) | instskip(NEXT) | instid1(VALU_DEP_2)
	v_cndmask_b32_e32 v27, v34, v30, vcc_lo
	v_mad_nc_u64_u32 v[36:37], 0x4e441529, v16, v[36:37]
	v_add_nc_u32_e32 v7, v9, v7
	s_delay_alu instid0(VALU_DEP_2) | instskip(NEXT) | instid1(VALU_DEP_1)
	v_dual_mov_b32 v39, v17 :: v_dual_mov_b32 v38, v37
	v_mad_nc_u64_u32 v[38:39], 0xa2f9836e, v16, v[38:39]
	s_delay_alu instid0(VALU_DEP_4) | instskip(NEXT) | instid1(VALU_DEP_4)
	v_cndmask_b32_e32 v16, v36, v32, vcc_lo
	v_cmp_lt_u32_e64 s2, 31, v7
	s_delay_alu instid0(VALU_DEP_1) | instskip(NEXT) | instid1(VALU_DEP_1)
	v_cndmask_b32_e64 v9, 0, 0xffffffe0, s2
	v_dual_cndmask_b32 v20, v38, v34 :: v_dual_add_nc_u32 v7, v9, v7
	v_cndmask_b32_e32 v22, v39, v36, vcc_lo
	s_delay_alu instid0(VALU_DEP_2) | instskip(NEXT) | instid1(VALU_DEP_1)
	v_cmp_lt_u32_e64 s3, 31, v7
	v_cndmask_b32_e64 v9, 0, 0xffffffe0, s3
	s_delay_alu instid0(VALU_DEP_1) | instskip(SKIP_2) | instid1(VALU_DEP_3)
	v_dual_add_nc_u32 v7, v9, v7 :: v_dual_cndmask_b32 v9, v32, v28, vcc_lo
	v_cndmask_b32_e64 v28, v20, v16, s2
	v_dual_cndmask_b32 v20, v22, v20, s2 :: v_dual_cndmask_b32 v16, v16, v27, s2
	v_dual_sub_nc_u32 v22, 32, v7 :: v_dual_cndmask_b32 v27, v27, v9, s2
	v_cmp_eq_u32_e32 vcc_lo, 0, v7
	s_delay_alu instid0(VALU_DEP_3) | instskip(NEXT) | instid1(VALU_DEP_4)
	v_cndmask_b32_e64 v20, v20, v28, s3
	v_cndmask_b32_e64 v28, v28, v16, s3
	s_delay_alu instid0(VALU_DEP_1) | instskip(NEXT) | instid1(VALU_DEP_1)
	v_alignbit_b32 v29, v20, v28, v22
	v_dual_cndmask_b32 v16, v16, v27, s3 :: v_dual_cndmask_b32 v7, v29, v20, vcc_lo
	s_delay_alu instid0(VALU_DEP_1) | instskip(SKIP_1) | instid1(VALU_DEP_3)
	v_alignbit_b32 v30, v28, v16, v22
	v_cndmask_b32_e64 v9, v9, v26, s2
	v_bfe_u32 v26, v7, 29, 1
	s_delay_alu instid0(VALU_DEP_2) | instskip(NEXT) | instid1(VALU_DEP_2)
	v_dual_cndmask_b32 v20, v30, v28, vcc_lo :: v_dual_cndmask_b32 v9, v27, v9, s3
	v_sub_nc_u32_e32 v28, 0, v26
	s_delay_alu instid0(VALU_DEP_2) | instskip(NEXT) | instid1(VALU_DEP_3)
	v_alignbit_b32 v27, v7, v20, 30
	v_alignbit_b32 v22, v16, v9, v22
	s_delay_alu instid0(VALU_DEP_2) | instskip(NEXT) | instid1(VALU_DEP_2)
	v_xor_b32_e32 v27, v27, v28
	v_cndmask_b32_e32 v16, v22, v16, vcc_lo
	s_delay_alu instid0(VALU_DEP_2) | instskip(NEXT) | instid1(VALU_DEP_2)
	v_clz_i32_u32_e32 v22, v27
	v_alignbit_b32 v20, v20, v16, 30
	v_alignbit_b32 v9, v16, v9, 30
	s_delay_alu instid0(VALU_DEP_3) | instskip(NEXT) | instid1(VALU_DEP_3)
	v_min_u32_e32 v22, 32, v22
	v_xor_b32_e32 v16, v20, v28
	s_delay_alu instid0(VALU_DEP_3) | instskip(NEXT) | instid1(VALU_DEP_3)
	v_dual_lshrrev_b32 v28, 29, v7 :: v_dual_bitop2_b32 v9, v9, v28 bitop3:0x14
	v_dual_lshrrev_b32 v7, 30, v7 :: v_dual_sub_nc_u32 v20, 31, v22
	v_lshlrev_b32_e32 v29, 23, v22
	s_delay_alu instid0(VALU_DEP_2) | instskip(NEXT) | instid1(VALU_DEP_4)
	v_alignbit_b32 v27, v27, v16, v20
	v_alignbit_b32 v9, v16, v9, v20
	v_lshlrev_b32_e32 v16, 31, v28
	s_delay_alu instid0(VALU_DEP_2) | instskip(NEXT) | instid1(VALU_DEP_2)
	v_alignbit_b32 v20, v27, v9, 9
	v_dual_lshrrev_b32 v27, 9, v27 :: v_dual_bitop2_b32 v28, 0.5, v16 bitop3:0x54
	v_or_b32_e32 v16, 0x33000000, v16
	s_delay_alu instid0(VALU_DEP_3) | instskip(NEXT) | instid1(VALU_DEP_3)
	v_clz_i32_u32_e32 v30, v20
	v_sub_nc_u32_e32 v28, v28, v29
	s_delay_alu instid0(VALU_DEP_2) | instskip(NEXT) | instid1(VALU_DEP_1)
	v_min_u32_e32 v29, 32, v30
	v_add_lshl_u32 v22, v29, v22, 23
	s_delay_alu instid0(VALU_DEP_3) | instskip(SKIP_1) | instid1(VALU_DEP_3)
	v_or_b32_e32 v27, v27, v28
	v_not_b32_e32 v28, v29
	v_sub_nc_u32_e32 v16, v16, v22
	s_delay_alu instid0(VALU_DEP_2) | instskip(NEXT) | instid1(VALU_DEP_1)
	v_alignbit_b32 v9, v20, v9, v28
	v_dual_mul_f32 v30, 0x3fc90fda, v27 :: v_dual_lshrrev_b32 v9, 9, v9
	s_delay_alu instid0(VALU_DEP_1) | instskip(NEXT) | instid1(VALU_DEP_2)
	v_fma_f32 v20, 0x3fc90fda, v27, -v30
	v_or_b32_e32 v9, v16, v9
	s_delay_alu instid0(VALU_DEP_2) | instskip(NEXT) | instid1(VALU_DEP_1)
	v_fmac_f32_e32 v20, 0x33a22168, v27
	v_fmac_f32_e32 v20, 0x3fc90fda, v9
	s_delay_alu instid0(VALU_DEP_1)
	v_add_f32_e32 v9, v30, v20
	v_add_nc_u32_e32 v20, v26, v7
	s_and_not1_saveexec_b32 s2, s35
	s_cbranch_execnz .LBB156_24
	s_branch .LBB156_25
.LBB156_23:                             ;   in Loop: Header=BB156_7 Depth=1
	s_and_not1_saveexec_b32 s2, s35
.LBB156_24:                             ;   in Loop: Header=BB156_7 Depth=1
	v_mul_f32_e64 v7, 0x3f22f983, |v11|
	s_delay_alu instid0(VALU_DEP_1) | instskip(NEXT) | instid1(VALU_DEP_1)
	v_rndne_f32_e32 v7, v7
	v_fma_f32 v9, 0xbfc90fda, v7, |v11|
	v_cvt_i32_f32_e32 v20, v7
	s_delay_alu instid0(VALU_DEP_2) | instskip(NEXT) | instid1(VALU_DEP_1)
	v_fmac_f32_e32 v9, 0xb3a22168, v7
	v_fmac_f32_e32 v9, 0xa7c234c4, v7
.LBB156_25:                             ;   in Loop: Header=BB156_7 Depth=1
	s_or_b32 exec_lo, exec_lo, s2
	v_dual_mul_f32 v7, v6, v6 :: v_dual_bitop2_b32 v16, 1, v8 bitop3:0x40
	v_lshlrev_b32_e32 v8, 30, v8
	v_mul_f32_e64 v22, 0xbfb8aa3b, |v10|
	s_delay_alu instid0(VALU_DEP_3) | instskip(NEXT) | instid1(VALU_DEP_3)
	v_dual_fmaak_f32 v27, s29, v7, 0xbab64f3b :: v_dual_mul_f32 v28, v9, v9
	v_bitop3_b32 v1, v1, v8, 0x80000000 bitop3:0x78
	s_delay_alu instid0(VALU_DEP_3) | instskip(SKIP_1) | instid1(VALU_DEP_4)
	v_rndne_f32_e32 v8, v22
	v_fma_f32 v29, 0xbfb8aa3b, |v10|, -v22
	v_fmaak_f32 v27, v7, v27, 0x3d2aabf7
	v_fmaak_f32 v30, s28, v28, 0x3c0881c4
	v_cmp_eq_u32_e32 vcc_lo, 0, v16
	v_sub_f32_e32 v22, v22, v8
	v_fma_f32 v29, 0xb2a5705f, |v10|, v29
	v_fmaak_f32 v27, v7, v27, 0xbf000004
	v_fmaak_f32 v30, v28, v30, 0xbe2aaa9d
	;; [unrolled: 1-line block ×3, first 2 shown]
	v_cvt_i32_f32_e32 v8, v8
	s_delay_alu instid0(VALU_DEP_2) | instskip(NEXT) | instid1(VALU_DEP_1)
	v_fmaak_f32 v26, v7, v26, 0xbe2aaa9d
	v_dual_fmaak_f32 v31, s29, v28, 0xbab64f3b :: v_dual_mul_f32 v26, v7, v26
	v_fma_f32 v7, v7, v27, 1.0
	v_mul_f32_e32 v27, v28, v30
	s_delay_alu instid0(VALU_DEP_3) | instskip(NEXT) | instid1(VALU_DEP_4)
	v_fmac_f32_e32 v6, v6, v26
	v_fmaak_f32 v26, v28, v31, 0x3d2aabf7
	s_delay_alu instid0(VALU_DEP_3) | instskip(NEXT) | instid1(VALU_DEP_3)
	v_dual_add_f32 v22, v22, v29 :: v_dual_fmac_f32 v9, v9, v27
	v_cndmask_b32_e32 v6, v7, v6, vcc_lo
	s_delay_alu instid0(VALU_DEP_3) | instskip(NEXT) | instid1(VALU_DEP_3)
	v_fmaak_f32 v7, v28, v26, 0xbf000004
	v_exp_f32_e32 v16, v22
	s_delay_alu instid0(VALU_DEP_2) | instskip(NEXT) | instid1(VALU_DEP_2)
	v_xor3_b32 v1, v1, v6, v11
	v_fma_f32 v7, v28, v7, 1.0
	v_and_b32_e32 v22, 1, v20
	s_delay_alu instid0(TRANS32_DEP_1) | instskip(NEXT) | instid1(VALU_DEP_4)
	v_ldexp_f32 v6, v16, v8
	v_mul_f32_e32 v1, 4.0, v1
	s_delay_alu instid0(VALU_DEP_3) | instskip(SKIP_2) | instid1(VALU_DEP_1)
	v_cmp_eq_u32_e32 vcc_lo, 0, v22
	v_cndmask_b32_e64 v7, -v9, v7, vcc_lo
	v_cmp_nlt_f32_e64 vcc_lo, 0x42ce8ed0, |v10|
	v_dual_lshlrev_b32 v8, 30, v20 :: v_dual_cndmask_b32 v6, 0, v6, vcc_lo
	s_delay_alu instid0(VALU_DEP_1) | instskip(SKIP_1) | instid1(VALU_DEP_2)
	v_bitop3_b32 v7, v8, v7, 0x80000000 bitop3:0x6c
	v_cmp_ngt_f32_e64 vcc_lo, 0xc2b17218, |v10|
	v_dual_mul_f32 v1, v1, v7 :: v_dual_cndmask_b32 v8, 0x7f800000, v6
	v_bfi_b32 v6, 0x7fffffff, 1.0, v10
	s_delay_alu instid0(VALU_DEP_2) | instskip(NEXT) | instid1(VALU_DEP_1)
	v_mul_f32_e32 v1, v8, v1
	v_mul_f32_e32 v7, v8, v1
	s_or_b32 exec_lo, exec_lo, s34
.LBB156_26:                             ;   in Loop: Header=BB156_7 Depth=1
	s_and_not1_saveexec_b32 s2, s33
.LBB156_27:                             ;   in Loop: Header=BB156_7 Depth=1
	v_sub_f32_e32 v7, v11, v11
	s_delay_alu instid0(VALU_DEP_1)
	v_mov_b32_e32 v6, v7
.LBB156_28:                             ;   in Loop: Header=BB156_7 Depth=1
	s_or_b32 exec_lo, exec_lo, s2
.LBB156_29:                             ;   in Loop: Header=BB156_7 Depth=1
	s_and_not1_saveexec_b32 s31, s31
	s_cbranch_execz .LBB156_45
; %bb.30:                               ;   in Loop: Header=BB156_7 Depth=1
	v_and_b32_e32 v1, 0x7fffff, v10
	s_mov_b32 s2, exec_lo
                                        ; implicit-def: $vgpr7
	s_delay_alu instid0(VALU_DEP_1)
	v_cmpx_ne_u32_e32 0, v1
	s_xor_b32 s2, exec_lo, s2
; %bb.31:                               ;   in Loop: Header=BB156_7 Depth=1
	v_mul_f32_e32 v1, v10, v11
	v_cmp_eq_f32_e32 vcc_lo, 0, v11
	s_delay_alu instid0(VALU_DEP_2)
	v_cndmask_b32_e32 v7, v1, v11, vcc_lo
; %bb.32:                               ;   in Loop: Header=BB156_7 Depth=1
	s_and_not1_saveexec_b32 s33, s2
	s_cbranch_execz .LBB156_44
; %bb.33:                               ;   in Loop: Header=BB156_7 Depth=1
	s_mov_b32 s34, exec_lo
	v_cmpx_neq_f32_e64 0x7f800000, |v11|
	s_cbranch_execz .LBB156_43
; %bb.34:                               ;   in Loop: Header=BB156_7 Depth=1
	v_and_b32_e32 v1, 0x7fffffff, v11
	v_cmp_ngt_f32_e64 s35, 0x48000000, |v11|
                                        ; implicit-def: $vgpr7
	s_delay_alu instid0(VALU_DEP_2) | instskip(SKIP_1) | instid1(VALU_DEP_2)
	v_lshrrev_b32_e32 v6, 23, v1
	v_and_or_b32 v16, v1, s24, 0x800000
	v_add_nc_u32_e32 v8, 0xffffff88, v6
                                        ; implicit-def: $vgpr6
	s_and_saveexec_b32 s2, s35
	s_delay_alu instid0(SALU_CYCLE_1)
	s_xor_b32 s36, exec_lo, s2
	s_cbranch_execz .LBB156_36
; %bb.35:                               ;   in Loop: Header=BB156_7 Depth=1
	v_mul_u64_e32 v[6:7], s[18:19], v[16:17]
	v_mov_b32_e32 v27, v17
	v_cmp_lt_u32_e32 vcc_lo, 63, v8
	s_delay_alu instid0(VALU_DEP_3) | instskip(SKIP_1) | instid1(VALU_DEP_2)
	v_dual_mov_b32 v37, v17 :: v_dual_mov_b32 v26, v7
	v_cndmask_b32_e64 v7, 0, 0xffffffc0, vcc_lo
	v_mad_nc_u64_u32 v[26:27], 0x3c439041, v16, v[26:27]
	s_delay_alu instid0(VALU_DEP_2) | instskip(NEXT) | instid1(VALU_DEP_1)
	v_dual_mov_b32 v29, v17 :: v_dual_add_nc_u32 v7, v7, v8
	v_cmp_lt_u32_e64 s2, 31, v7
	s_delay_alu instid0(VALU_DEP_3) | instskip(NEXT) | instid1(VALU_DEP_2)
	v_mov_b32_e32 v28, v27
	v_cndmask_b32_e64 v9, 0, 0xffffffe0, s2
	s_delay_alu instid0(VALU_DEP_2) | instskip(SKIP_1) | instid1(VALU_DEP_3)
	v_mad_nc_u64_u32 v[28:29], 0xdb629599, v16, v[28:29]
	v_mov_b32_e32 v31, v17
	v_add_nc_u32_e32 v7, v9, v7
	s_delay_alu instid0(VALU_DEP_1) | instskip(NEXT) | instid1(VALU_DEP_4)
	v_cmp_lt_u32_e64 s3, 31, v7
	v_dual_mov_b32 v30, v29 :: v_dual_cndmask_b32 v6, v28, v6, vcc_lo
	s_delay_alu instid0(VALU_DEP_2) | instskip(NEXT) | instid1(VALU_DEP_2)
	v_cndmask_b32_e64 v9, 0, 0xffffffe0, s3
	v_mad_nc_u64_u32 v[30:31], 0xf534ddc0, v16, v[30:31]
	v_mov_b32_e32 v33, v17
	s_delay_alu instid0(VALU_DEP_2) | instskip(NEXT) | instid1(VALU_DEP_3)
	v_dual_add_nc_u32 v7, v9, v7 :: v_dual_cndmask_b32 v9, v30, v26, vcc_lo
	v_mov_b32_e32 v32, v31
	s_delay_alu instid0(VALU_DEP_1) | instskip(NEXT) | instid1(VALU_DEP_1)
	v_mad_nc_u64_u32 v[32:33], 0xfc2757d1, v16, v[32:33]
	v_dual_mov_b32 v35, v17 :: v_dual_mov_b32 v34, v33
	s_delay_alu instid0(VALU_DEP_2) | instskip(NEXT) | instid1(VALU_DEP_2)
	v_cndmask_b32_e32 v29, v32, v28, vcc_lo
	v_mad_nc_u64_u32 v[34:35], 0x4e441529, v16, v[34:35]
	s_delay_alu instid0(VALU_DEP_1) | instskip(NEXT) | instid1(VALU_DEP_1)
	v_mov_b32_e32 v36, v35
	v_mad_nc_u64_u32 v[36:37], 0xa2f9836e, v16, v[36:37]
	s_delay_alu instid0(VALU_DEP_1) | instskip(NEXT) | instid1(VALU_DEP_2)
	v_dual_cndmask_b32 v20, v34, v30, vcc_lo :: v_dual_cndmask_b32 v22, v36, v32, vcc_lo
	v_cndmask_b32_e32 v27, v37, v34, vcc_lo
	v_cmp_eq_u32_e32 vcc_lo, 0, v7
	s_delay_alu instid0(VALU_DEP_2) | instskip(SKIP_1) | instid1(VALU_DEP_2)
	v_dual_cndmask_b32 v26, v22, v20, s2 :: v_dual_cndmask_b32 v22, v27, v22, s2
	v_dual_cndmask_b32 v20, v20, v29, s2 :: v_dual_sub_nc_u32 v27, 32, v7
	v_dual_cndmask_b32 v29, v29, v9, s2 :: v_dual_cndmask_b32 v22, v22, v26, s3
	s_delay_alu instid0(VALU_DEP_1) | instskip(SKIP_1) | instid1(VALU_DEP_2)
	v_dual_cndmask_b32 v26, v26, v20, s3 :: v_dual_cndmask_b32 v20, v20, v29, s3
	v_cndmask_b32_e64 v6, v9, v6, s2
	v_alignbit_b32 v30, v22, v26, v27
	s_delay_alu instid0(VALU_DEP_3) | instskip(NEXT) | instid1(VALU_DEP_2)
	v_alignbit_b32 v28, v26, v20, v27
	v_cndmask_b32_e32 v7, v30, v22, vcc_lo
	s_delay_alu instid0(VALU_DEP_4) | instskip(NEXT) | instid1(VALU_DEP_3)
	v_cndmask_b32_e64 v6, v29, v6, s3
	v_cndmask_b32_e32 v9, v28, v26, vcc_lo
	s_delay_alu instid0(VALU_DEP_3) | instskip(NEXT) | instid1(VALU_DEP_3)
	v_bfe_u32 v22, v7, 29, 1
	v_alignbit_b32 v27, v20, v6, v27
	s_delay_alu instid0(VALU_DEP_2) | instskip(NEXT) | instid1(VALU_DEP_4)
	v_sub_nc_u32_e32 v28, 0, v22
	v_alignbit_b32 v26, v7, v9, 30
	s_delay_alu instid0(VALU_DEP_3) | instskip(NEXT) | instid1(VALU_DEP_2)
	v_cndmask_b32_e32 v20, v27, v20, vcc_lo
	v_xor_b32_e32 v26, v26, v28
	s_delay_alu instid0(VALU_DEP_2) | instskip(SKIP_1) | instid1(VALU_DEP_3)
	v_alignbit_b32 v9, v9, v20, 30
	v_alignbit_b32 v6, v20, v6, 30
	v_clz_i32_u32_e32 v27, v26
	s_delay_alu instid0(VALU_DEP_2) | instskip(NEXT) | instid1(VALU_DEP_2)
	v_xor_b32_e32 v6, v6, v28
	v_min_u32_e32 v27, 32, v27
	v_dual_lshrrev_b32 v28, 29, v7 :: v_dual_bitop2_b32 v9, v9, v28 bitop3:0x14
	v_lshrrev_b32_e32 v7, 30, v7
	s_delay_alu instid0(VALU_DEP_3) | instskip(NEXT) | instid1(VALU_DEP_2)
	v_dual_sub_nc_u32 v20, 31, v27 :: v_dual_lshlrev_b32 v29, 23, v27
	v_add_nc_u32_e32 v7, v22, v7
	s_delay_alu instid0(VALU_DEP_2) | instskip(SKIP_2) | instid1(VALU_DEP_2)
	v_alignbit_b32 v26, v26, v9, v20
	v_alignbit_b32 v6, v9, v6, v20
	v_lshlrev_b32_e32 v9, 31, v28
	v_alignbit_b32 v20, v26, v6, 9
	s_delay_alu instid0(VALU_DEP_2) | instskip(SKIP_1) | instid1(VALU_DEP_3)
	v_dual_lshrrev_b32 v26, 9, v26 :: v_dual_bitop2_b32 v28, 0.5, v9 bitop3:0x54
	v_or_b32_e32 v9, 0x33000000, v9
	v_clz_i32_u32_e32 v30, v20
	s_delay_alu instid0(VALU_DEP_3) | instskip(NEXT) | instid1(VALU_DEP_2)
	v_sub_nc_u32_e32 v28, v28, v29
	v_min_u32_e32 v29, 32, v30
	s_delay_alu instid0(VALU_DEP_1) | instskip(NEXT) | instid1(VALU_DEP_1)
	v_add_lshl_u32 v27, v29, v27, 23
	v_dual_sub_nc_u32 v9, v9, v27 :: v_dual_bitop2_b32 v26, v26, v28 bitop3:0x54
	v_not_b32_e32 v28, v29
	s_delay_alu instid0(VALU_DEP_1) | instskip(NEXT) | instid1(VALU_DEP_1)
	v_alignbit_b32 v6, v20, v6, v28
	v_lshrrev_b32_e32 v6, 9, v6
	s_delay_alu instid0(VALU_DEP_4) | instskip(NEXT) | instid1(VALU_DEP_2)
	v_mul_f32_e32 v30, 0x3fc90fda, v26
	v_or_b32_e32 v6, v9, v6
	s_delay_alu instid0(VALU_DEP_2) | instskip(NEXT) | instid1(VALU_DEP_1)
	v_fma_f32 v20, 0x3fc90fda, v26, -v30
	v_fmac_f32_e32 v20, 0x33a22168, v26
	s_delay_alu instid0(VALU_DEP_1) | instskip(NEXT) | instid1(VALU_DEP_1)
	v_fmac_f32_e32 v20, 0x3fc90fda, v6
	v_add_f32_e32 v6, v30, v20
.LBB156_36:                             ;   in Loop: Header=BB156_7 Depth=1
	s_or_saveexec_b32 s2, s36
	v_mul_f32_e64 v9, 0x3f22f983, |v11|
	s_delay_alu instid0(VALU_DEP_1)
	v_rndne_f32_e32 v22, v9
	s_xor_b32 exec_lo, exec_lo, s2
; %bb.37:                               ;   in Loop: Header=BB156_7 Depth=1
	s_delay_alu instid0(VALU_DEP_1) | instskip(SKIP_1) | instid1(VALU_DEP_2)
	v_fma_f32 v6, 0xbfc90fda, v22, |v11|
	v_cvt_i32_f32_e32 v7, v22
	v_fmac_f32_e32 v6, 0xb3a22168, v22
	s_delay_alu instid0(VALU_DEP_1)
	v_fmac_f32_e32 v6, 0xa7c234c4, v22
; %bb.38:                               ;   in Loop: Header=BB156_7 Depth=1
	s_or_b32 exec_lo, exec_lo, s2
                                        ; implicit-def: $vgpr20
                                        ; implicit-def: $vgpr9
	s_and_saveexec_b32 s2, s35
	s_delay_alu instid0(SALU_CYCLE_1)
	s_xor_b32 s35, exec_lo, s2
	s_cbranch_execz .LBB156_40
; %bb.39:                               ;   in Loop: Header=BB156_7 Depth=1
	v_mul_u64_e32 v[26:27], s[18:19], v[16:17]
	v_mov_b32_e32 v29, v17
	v_cmp_lt_u32_e32 vcc_lo, 63, v8
	v_cndmask_b32_e64 v9, 0, 0xffffffc0, vcc_lo
	s_delay_alu instid0(VALU_DEP_4) | instskip(NEXT) | instid1(VALU_DEP_1)
	v_mov_b32_e32 v28, v27
	v_mad_nc_u64_u32 v[28:29], 0x3c439041, v16, v[28:29]
	s_delay_alu instid0(VALU_DEP_1) | instskip(NEXT) | instid1(VALU_DEP_1)
	v_dual_mov_b32 v31, v17 :: v_dual_mov_b32 v30, v29
	v_mad_nc_u64_u32 v[30:31], 0xdb629599, v16, v[30:31]
	s_delay_alu instid0(VALU_DEP_1) | instskip(NEXT) | instid1(VALU_DEP_2)
	v_dual_mov_b32 v33, v17 :: v_dual_mov_b32 v32, v31
	v_cndmask_b32_e32 v26, v30, v26, vcc_lo
	s_delay_alu instid0(VALU_DEP_2) | instskip(NEXT) | instid1(VALU_DEP_1)
	v_mad_nc_u64_u32 v[32:33], 0xf534ddc0, v16, v[32:33]
	v_dual_mov_b32 v35, v17 :: v_dual_mov_b32 v34, v33
	s_delay_alu instid0(VALU_DEP_1) | instskip(SKIP_1) | instid1(VALU_DEP_2)
	v_mad_nc_u64_u32 v[34:35], 0xfc2757d1, v16, v[34:35]
	v_mov_b32_e32 v37, v17
	v_dual_add_nc_u32 v20, v9, v8 :: v_dual_mov_b32 v36, v35
	s_delay_alu instid0(VALU_DEP_3) | instskip(NEXT) | instid1(VALU_DEP_2)
	v_cndmask_b32_e32 v27, v34, v30, vcc_lo
	v_mad_nc_u64_u32 v[36:37], 0x4e441529, v16, v[36:37]
	s_delay_alu instid0(VALU_DEP_1) | instskip(NEXT) | instid1(VALU_DEP_1)
	v_dual_mov_b32 v9, v17 :: v_dual_mov_b32 v8, v37
	v_mad_nc_u64_u32 v[8:9], 0xa2f9836e, v16, v[8:9]
	s_delay_alu instid0(VALU_DEP_1) | instskip(SKIP_1) | instid1(VALU_DEP_3)
	v_cndmask_b32_e32 v8, v8, v34, vcc_lo
	v_cmp_lt_u32_e64 s2, 31, v20
	v_cndmask_b32_e32 v9, v9, v36, vcc_lo
	s_delay_alu instid0(VALU_DEP_2) | instskip(NEXT) | instid1(VALU_DEP_1)
	v_cndmask_b32_e64 v22, 0, 0xffffffe0, s2
	v_add_nc_u32_e32 v16, v22, v20
	v_cndmask_b32_e32 v22, v36, v32, vcc_lo
	s_delay_alu instid0(VALU_DEP_2) | instskip(NEXT) | instid1(VALU_DEP_1)
	v_cmp_lt_u32_e64 s3, 31, v16
	v_cndmask_b32_e64 v20, 0, 0xffffffe0, s3
	s_delay_alu instid0(VALU_DEP_1) | instskip(SKIP_3) | instid1(VALU_DEP_4)
	v_add_nc_u32_e32 v16, v20, v16
	v_cndmask_b32_e32 v20, v32, v28, vcc_lo
	v_dual_cndmask_b32 v28, v8, v22, s2 :: v_dual_cndmask_b32 v8, v9, v8, s2
	v_cndmask_b32_e64 v9, v22, v27, s2
	v_cmp_eq_u32_e32 vcc_lo, 0, v16
	s_delay_alu instid0(VALU_DEP_4) | instskip(NEXT) | instid1(VALU_DEP_4)
	v_cndmask_b32_e64 v27, v27, v20, s2
	v_cndmask_b32_e64 v8, v8, v28, s3
	s_delay_alu instid0(VALU_DEP_2) | instskip(SKIP_1) | instid1(VALU_DEP_1)
	v_dual_cndmask_b32 v28, v28, v9, s3 :: v_dual_cndmask_b32 v9, v9, v27, s3
	v_dual_sub_nc_u32 v22, 32, v16 :: v_dual_cndmask_b32 v16, v20, v26, s2
	v_alignbit_b32 v30, v28, v9, v22
	s_delay_alu instid0(VALU_DEP_1) | instskip(SKIP_1) | instid1(VALU_DEP_1)
	v_cndmask_b32_e32 v20, v30, v28, vcc_lo
	v_alignbit_b32 v29, v8, v28, v22
	v_cndmask_b32_e32 v8, v29, v8, vcc_lo
	s_delay_alu instid0(VALU_DEP_1) | instskip(NEXT) | instid1(VALU_DEP_1)
	v_bfe_u32 v26, v8, 29, 1
	v_dual_sub_nc_u32 v28, 0, v26 :: v_dual_cndmask_b32 v16, v27, v16, s3
	s_delay_alu instid0(VALU_DEP_1) | instskip(NEXT) | instid1(VALU_DEP_1)
	v_alignbit_b32 v22, v9, v16, v22
	v_cndmask_b32_e32 v9, v22, v9, vcc_lo
	v_alignbit_b32 v27, v8, v20, 30
	s_delay_alu instid0(VALU_DEP_2) | instskip(NEXT) | instid1(VALU_DEP_2)
	v_alignbit_b32 v20, v20, v9, 30
	v_xor_b32_e32 v27, v27, v28
	v_alignbit_b32 v9, v9, v16, 30
	s_delay_alu instid0(VALU_DEP_2) | instskip(NEXT) | instid1(VALU_DEP_1)
	v_clz_i32_u32_e32 v22, v27
	v_min_u32_e32 v22, 32, v22
	s_delay_alu instid0(VALU_DEP_1) | instskip(NEXT) | instid1(VALU_DEP_4)
	v_dual_lshlrev_b32 v29, 23, v22 :: v_dual_bitop2_b32 v16, v20, v28 bitop3:0x14
	v_dual_sub_nc_u32 v20, 31, v22 :: v_dual_bitop2_b32 v9, v9, v28 bitop3:0x14
	s_delay_alu instid0(VALU_DEP_1) | instskip(SKIP_1) | instid1(VALU_DEP_3)
	v_alignbit_b32 v27, v27, v16, v20
	v_lshrrev_b32_e32 v28, 29, v8
	v_alignbit_b32 v9, v16, v9, v20
	v_lshrrev_b32_e32 v8, 30, v8
	s_delay_alu instid0(VALU_DEP_2) | instskip(NEXT) | instid1(VALU_DEP_4)
	v_alignbit_b32 v20, v27, v9, 9
	v_dual_lshrrev_b32 v27, 9, v27 :: v_dual_lshlrev_b32 v16, 31, v28
	s_delay_alu instid0(VALU_DEP_2) | instskip(NEXT) | instid1(VALU_DEP_2)
	v_clz_i32_u32_e32 v30, v20
	v_or_b32_e32 v28, 0.5, v16
	v_or_b32_e32 v16, 0x33000000, v16
	s_delay_alu instid0(VALU_DEP_2) | instskip(NEXT) | instid1(VALU_DEP_4)
	v_sub_nc_u32_e32 v28, v28, v29
	v_min_u32_e32 v29, 32, v30
	s_delay_alu instid0(VALU_DEP_2) | instskip(NEXT) | instid1(VALU_DEP_2)
	v_or_b32_e32 v27, v27, v28
	v_not_b32_e32 v28, v29
	v_add_lshl_u32 v22, v29, v22, 23
	s_delay_alu instid0(VALU_DEP_2) | instskip(NEXT) | instid1(VALU_DEP_2)
	v_alignbit_b32 v9, v20, v9, v28
	v_sub_nc_u32_e32 v16, v16, v22
                                        ; implicit-def: $vgpr22
	s_delay_alu instid0(VALU_DEP_2) | instskip(NEXT) | instid1(VALU_DEP_1)
	v_dual_mul_f32 v30, 0x3fc90fda, v27 :: v_dual_lshrrev_b32 v9, 9, v9
	v_or_b32_e32 v9, v16, v9
	s_delay_alu instid0(VALU_DEP_2) | instskip(NEXT) | instid1(VALU_DEP_1)
	v_fma_f32 v20, 0x3fc90fda, v27, -v30
	v_fmac_f32_e32 v20, 0x33a22168, v27
	s_delay_alu instid0(VALU_DEP_1) | instskip(NEXT) | instid1(VALU_DEP_1)
	v_fmac_f32_e32 v20, 0x3fc90fda, v9
	v_add_f32_e32 v9, v30, v20
	v_add_nc_u32_e32 v20, v26, v8
	s_and_not1_saveexec_b32 s2, s35
	s_cbranch_execnz .LBB156_41
	s_branch .LBB156_42
.LBB156_40:                             ;   in Loop: Header=BB156_7 Depth=1
	s_and_not1_saveexec_b32 s2, s35
.LBB156_41:                             ;   in Loop: Header=BB156_7 Depth=1
	v_fma_f32 v9, 0xbfc90fda, v22, |v11|
	v_cvt_i32_f32_e32 v20, v22
	s_delay_alu instid0(VALU_DEP_2) | instskip(NEXT) | instid1(VALU_DEP_1)
	v_fmac_f32_e32 v9, 0xb3a22168, v22
	v_fmac_f32_e32 v9, 0xa7c234c4, v22
.LBB156_42:                             ;   in Loop: Header=BB156_7 Depth=1
	s_or_b32 exec_lo, exec_lo, s2
	s_delay_alu instid0(VALU_DEP_1) | instskip(SKIP_1) | instid1(VALU_DEP_2)
	v_dual_mul_f32 v8, v6, v6 :: v_dual_mul_f32 v16, v9, v9
	v_dual_lshlrev_b32 v7, 30, v7 :: v_dual_bitop2_b32 v22, 1, v7 bitop3:0x40
	v_fmaak_f32 v26, s28, v8, 0x3c0881c4
	s_delay_alu instid0(VALU_DEP_3) | instskip(NEXT) | instid1(VALU_DEP_3)
	v_fmaak_f32 v28, s28, v16, 0x3c0881c4
	v_cmp_eq_u32_e32 vcc_lo, 0, v22
	s_delay_alu instid0(VALU_DEP_4) | instskip(NEXT) | instid1(VALU_DEP_3)
	v_bitop3_b32 v1, v1, v7, 0x80000000 bitop3:0x78
	v_fmaak_f32 v28, v16, v28, 0xbe2aaa9d
	s_delay_alu instid0(VALU_DEP_1) | instskip(NEXT) | instid1(VALU_DEP_1)
	v_mul_f32_e32 v28, v16, v28
	v_dual_fmaak_f32 v26, v8, v26, 0xbe2aaa9d :: v_dual_fmac_f32 v9, v9, v28
	s_delay_alu instid0(VALU_DEP_1) | instskip(SKIP_1) | instid1(VALU_DEP_2)
	v_dual_fmaak_f32 v27, s29, v8, 0xbab64f3b :: v_dual_mul_f32 v26, v8, v26
	v_fmaak_f32 v29, s29, v16, 0xbab64f3b
	v_dual_fmaak_f32 v27, v8, v27, 0x3d2aabf7 :: v_dual_fmac_f32 v6, v6, v26
	s_delay_alu instid0(VALU_DEP_2) | instskip(SKIP_1) | instid1(VALU_DEP_3)
	v_fmaak_f32 v29, v16, v29, 0x3d2aabf7
	v_dual_lshlrev_b32 v20, 30, v20 :: v_dual_bitop2_b32 v30, 1, v20 bitop3:0x40
	v_fmaak_f32 v27, v8, v27, 0xbf000004
	s_delay_alu instid0(VALU_DEP_3) | instskip(NEXT) | instid1(VALU_DEP_2)
	v_fmaak_f32 v29, v16, v29, 0xbf000004
	v_fma_f32 v8, v8, v27, 1.0
	s_delay_alu instid0(VALU_DEP_2) | instskip(NEXT) | instid1(VALU_DEP_2)
	v_fma_f32 v16, v16, v29, 1.0
	v_cndmask_b32_e32 v6, v8, v6, vcc_lo
	v_cmp_eq_u32_e32 vcc_lo, 0, v30
	s_delay_alu instid0(VALU_DEP_2) | instskip(NEXT) | instid1(VALU_DEP_4)
	v_xor3_b32 v1, v1, v6, v11
	v_cndmask_b32_e64 v7, -v9, v16, vcc_lo
	v_cmp_class_f32_e64 vcc_lo, v11, 0x1f8
	s_delay_alu instid0(VALU_DEP_2) | instskip(NEXT) | instid1(VALU_DEP_1)
	v_bitop3_b32 v6, v20, v7, 0x80000000 bitop3:0x6c
	v_mul_f32_e32 v1, v1, v6
	s_delay_alu instid0(VALU_DEP_1)
	v_cndmask_b32_e32 v11, 0x7fc00000, v1, vcc_lo
.LBB156_43:                             ;   in Loop: Header=BB156_7 Depth=1
	s_or_b32 exec_lo, exec_lo, s34
	v_add_nc_u32_e32 v10, -2.0, v10
	s_delay_alu instid0(VALU_DEP_2)
	v_bfi_b32 v7, 0x7fffffff, 0, v11
.LBB156_44:                             ;   in Loop: Header=BB156_7 Depth=1
	s_or_b32 exec_lo, exec_lo, s33
	s_delay_alu instid0(VALU_DEP_2)
	v_mov_b32_e32 v6, v10
.LBB156_45:                             ;   in Loop: Header=BB156_7 Depth=1
	s_or_b32 exec_lo, exec_lo, s31
	v_and_b32_e32 v20, 0x7fffffff, v12
	s_mov_b32 s2, exec_lo
	s_delay_alu instid0(VALU_DEP_1)
	v_cmpx_gt_u32_e32 0x7f800000, v20
	s_xor_b32 s31, exec_lo, s2
	s_cbranch_execz .LBB156_67
; %bb.46:                               ;   in Loop: Header=BB156_7 Depth=1
	v_cmp_class_f32_e64 s2, v13, 0x1f8
	s_and_saveexec_b32 s3, s2
	s_delay_alu instid0(SALU_CYCLE_1)
	s_xor_b32 s33, exec_lo, s3
	s_cbranch_execz .LBB156_64
; %bb.47:                               ;   in Loop: Header=BB156_7 Depth=1
	v_and_b32_e32 v1, 0x7fffffff, v13
	s_mov_b32 s2, exec_lo
	v_cmpx_gt_u32_e32 0x41300000, v20
	s_xor_b32 s34, exec_lo, s2
	s_cbranch_execz .LBB156_53
; %bb.48:                               ;   in Loop: Header=BB156_7 Depth=1
                                        ; implicit-def: $vgpr8
                                        ; implicit-def: $vgpr9
	s_mov_b32 s3, exec_lo
	v_cmpx_ngt_f32_e64 0x48000000, |v13|
	s_xor_b32 s35, exec_lo, s3
	s_cbranch_execz .LBB156_50
; %bb.49:                               ;   in Loop: Header=BB156_7 Depth=1
	v_and_or_b32 v16, v1, s24, 0x800000
	v_dual_mov_b32 v33, v17 :: v_dual_mov_b32 v35, v17
	s_delay_alu instid0(VALU_DEP_2) | instskip(NEXT) | instid1(VALU_DEP_1)
	v_mul_u64_e32 v[8:9], s[18:19], v[16:17]
	v_dual_mov_b32 v11, v17 :: v_dual_mov_b32 v10, v9
	v_lshrrev_b32_e32 v9, 23, v1
	s_delay_alu instid0(VALU_DEP_2) | instskip(SKIP_1) | instid1(VALU_DEP_3)
	v_mad_nc_u64_u32 v[10:11], 0x3c439041, v16, v[10:11]
	v_mov_b32_e32 v27, v17
	v_add_nc_u32_e32 v9, 0xffffff88, v9
	s_delay_alu instid0(VALU_DEP_1) | instskip(NEXT) | instid1(VALU_DEP_4)
	v_cmp_lt_u32_e32 vcc_lo, 63, v9
	v_mov_b32_e32 v26, v11
	v_cndmask_b32_e64 v11, 0, 0xffffffc0, vcc_lo
	s_delay_alu instid0(VALU_DEP_2) | instskip(NEXT) | instid1(VALU_DEP_2)
	v_mad_nc_u64_u32 v[26:27], 0xdb629599, v16, v[26:27]
	v_dual_mov_b32 v29, v17 :: v_dual_add_nc_u32 v9, v11, v9
	s_delay_alu instid0(VALU_DEP_1) | instskip(NEXT) | instid1(VALU_DEP_3)
	v_cmp_lt_u32_e64 s2, 31, v9
	v_dual_mov_b32 v28, v27 :: v_dual_cndmask_b32 v8, v26, v8, vcc_lo
	s_delay_alu instid0(VALU_DEP_2) | instskip(NEXT) | instid1(VALU_DEP_2)
	v_cndmask_b32_e64 v11, 0, 0xffffffe0, s2
	v_mad_nc_u64_u32 v[28:29], 0xf534ddc0, v16, v[28:29]
	s_delay_alu instid0(VALU_DEP_2) | instskip(NEXT) | instid1(VALU_DEP_1)
	v_dual_mov_b32 v31, v17 :: v_dual_add_nc_u32 v9, v11, v9
	v_cmp_lt_u32_e64 s3, 31, v9
	s_delay_alu instid0(VALU_DEP_3) | instskip(NEXT) | instid1(VALU_DEP_2)
	v_mov_b32_e32 v30, v29
	v_cndmask_b32_e64 v11, 0, 0xffffffe0, s3
	v_cndmask_b32_e32 v10, v28, v10, vcc_lo
	s_delay_alu instid0(VALU_DEP_3) | instskip(NEXT) | instid1(VALU_DEP_2)
	v_mad_nc_u64_u32 v[30:31], 0xfc2757d1, v16, v[30:31]
	v_dual_add_nc_u32 v9, v11, v9 :: v_dual_cndmask_b32 v8, v10, v8, s2
	s_delay_alu instid0(VALU_DEP_2) | instskip(NEXT) | instid1(VALU_DEP_1)
	v_dual_mov_b32 v32, v31 :: v_dual_cndmask_b32 v29, v30, v26
	v_mad_nc_u64_u32 v[32:33], 0x4e441529, v16, v[32:33]
	s_delay_alu instid0(VALU_DEP_1) | instskip(NEXT) | instid1(VALU_DEP_1)
	v_mov_b32_e32 v34, v33
	v_mad_nc_u64_u32 v[34:35], 0xa2f9836e, v16, v[34:35]
	s_delay_alu instid0(VALU_DEP_3) | instskip(NEXT) | instid1(VALU_DEP_2)
	v_dual_cndmask_b32 v16, v32, v28, vcc_lo :: v_dual_cndmask_b32 v28, v29, v10, s2
	v_dual_cndmask_b32 v22, v34, v30 :: v_dual_cndmask_b32 v27, v35, v32
	v_cmp_eq_u32_e32 vcc_lo, 0, v9
	s_delay_alu instid0(VALU_DEP_2) | instskip(SKIP_1) | instid1(VALU_DEP_2)
	v_dual_cndmask_b32 v11, v22, v16, s2 :: v_dual_cndmask_b32 v22, v27, v22, s2
	v_cndmask_b32_e64 v16, v16, v29, s2
	v_dual_sub_nc_u32 v27, 32, v9 :: v_dual_cndmask_b32 v22, v22, v11, s3
	s_delay_alu instid0(VALU_DEP_2) | instskip(NEXT) | instid1(VALU_DEP_1)
	v_cndmask_b32_e64 v11, v11, v16, s3
	v_alignbit_b32 v29, v22, v11, v27
	s_delay_alu instid0(VALU_DEP_1) | instskip(NEXT) | instid1(VALU_DEP_1)
	v_dual_cndmask_b32 v9, v29, v22, vcc_lo :: v_dual_cndmask_b32 v16, v16, v28, s3
	v_alignbit_b32 v26, v11, v16, v27
	s_delay_alu instid0(VALU_DEP_1) | instskip(NEXT) | instid1(VALU_DEP_3)
	v_cndmask_b32_e32 v10, v26, v11, vcc_lo
	v_bfe_u32 v11, v9, 29, 1
	s_delay_alu instid0(VALU_DEP_2) | instskip(NEXT) | instid1(VALU_DEP_2)
	v_alignbit_b32 v22, v9, v10, 30
	v_dual_sub_nc_u32 v26, 0, v11 :: v_dual_cndmask_b32 v8, v28, v8, s3
	s_delay_alu instid0(VALU_DEP_1) | instskip(NEXT) | instid1(VALU_DEP_2)
	v_xor_b32_e32 v22, v22, v26
	v_alignbit_b32 v27, v16, v8, v27
	s_delay_alu instid0(VALU_DEP_1) | instskip(NEXT) | instid1(VALU_DEP_3)
	v_cndmask_b32_e32 v16, v27, v16, vcc_lo
	v_clz_i32_u32_e32 v27, v22
	s_delay_alu instid0(VALU_DEP_2) | instskip(NEXT) | instid1(VALU_DEP_2)
	v_alignbit_b32 v8, v16, v8, 30
	v_min_u32_e32 v27, 32, v27
	s_delay_alu instid0(VALU_DEP_2) | instskip(SKIP_1) | instid1(VALU_DEP_3)
	v_xor_b32_e32 v8, v8, v26
	v_alignbit_b32 v10, v10, v16, 30
	v_dual_sub_nc_u32 v16, 31, v27 :: v_dual_lshlrev_b32 v28, 23, v27
	s_delay_alu instid0(VALU_DEP_2) | instskip(NEXT) | instid1(VALU_DEP_1)
	v_dual_lshrrev_b32 v26, 29, v9 :: v_dual_bitop2_b32 v10, v10, v26 bitop3:0x14
	v_alignbit_b32 v22, v22, v10, v16
	v_alignbit_b32 v8, v10, v8, v16
	s_delay_alu instid0(VALU_DEP_3) | instskip(NEXT) | instid1(VALU_DEP_2)
	v_lshlrev_b32_e32 v10, 31, v26
	v_alignbit_b32 v16, v22, v8, 9
	s_delay_alu instid0(VALU_DEP_2) | instskip(SKIP_2) | instid1(VALU_DEP_4)
	v_or_b32_e32 v26, 0.5, v10
	v_or_b32_e32 v10, 0x33000000, v10
	v_lshrrev_b32_e32 v22, 9, v22
	v_clz_i32_u32_e32 v29, v16
	s_delay_alu instid0(VALU_DEP_4) | instskip(NEXT) | instid1(VALU_DEP_2)
	v_sub_nc_u32_e32 v26, v26, v28
	v_min_u32_e32 v28, 32, v29
	s_delay_alu instid0(VALU_DEP_2) | instskip(NEXT) | instid1(VALU_DEP_2)
	v_or_b32_e32 v22, v22, v26
	v_not_b32_e32 v26, v28
	v_add_lshl_u32 v27, v28, v27, 23
	s_delay_alu instid0(VALU_DEP_2) | instskip(NEXT) | instid1(VALU_DEP_1)
	v_alignbit_b32 v8, v16, v8, v26
	v_dual_sub_nc_u32 v10, v10, v27 :: v_dual_lshrrev_b32 v8, 9, v8
	s_delay_alu instid0(VALU_DEP_1) | instskip(SKIP_1) | instid1(VALU_DEP_1)
	v_or_b32_e32 v8, v10, v8
	v_mul_f32_e32 v29, 0x3fc90fda, v22
	v_fma_f32 v16, 0x3fc90fda, v22, -v29
	s_delay_alu instid0(VALU_DEP_1) | instskip(NEXT) | instid1(VALU_DEP_1)
	v_fmac_f32_e32 v16, 0x33a22168, v22
	v_fmac_f32_e32 v16, 0x3fc90fda, v8
	s_delay_alu instid0(VALU_DEP_1) | instskip(NEXT) | instid1(VALU_DEP_1)
	v_dual_add_f32 v9, v29, v16 :: v_dual_lshrrev_b32 v8, 30, v9
	v_add_nc_u32_e32 v8, v11, v8
.LBB156_50:                             ;   in Loop: Header=BB156_7 Depth=1
	s_and_not1_saveexec_b32 s2, s35
; %bb.51:                               ;   in Loop: Header=BB156_7 Depth=1
	v_mul_f32_e64 v8, 0x3f22f983, |v13|
	s_delay_alu instid0(VALU_DEP_1) | instskip(NEXT) | instid1(VALU_DEP_1)
	v_rndne_f32_e32 v8, v8
	v_fma_f32 v9, 0xbfc90fda, v8, |v13|
	s_delay_alu instid0(VALU_DEP_1) | instskip(NEXT) | instid1(VALU_DEP_1)
	v_fmac_f32_e32 v9, 0xb3a22168, v8
	v_fmac_f32_e32 v9, 0xa7c234c4, v8
	v_cvt_i32_f32_e32 v8, v8
; %bb.52:                               ;   in Loop: Header=BB156_7 Depth=1
	s_or_b32 exec_lo, exec_lo, s2
	v_add_f32_e64 v16, 0xbf317218, |v12|
	v_cmp_nlt_f32_e64 vcc_lo, 0x42b2d4fc, |v12|
	v_cmp_gt_f32_e64 s2, 0x39800000, |v12|
	v_and_b32_e32 v8, 1, v8
	s_delay_alu instid0(VALU_DEP_4) | instskip(NEXT) | instid1(VALU_DEP_1)
	v_sub_f32_e64 v11, v16, |v12|
	v_sub_f32_e32 v10, v11, v16
	s_delay_alu instid0(VALU_DEP_1) | instskip(NEXT) | instid1(VALU_DEP_1)
	v_pk_add_f32 v[10:11], v[20:21], v[10:11]
	v_sub_f32_e32 v10, v10, v11
	s_delay_alu instid0(VALU_DEP_1) | instskip(NEXT) | instid1(VALU_DEP_1)
	v_add_f32_e32 v10, 0x3102e308, v10
	v_add_f32_e32 v11, v16, v10
	s_delay_alu instid0(VALU_DEP_1) | instskip(NEXT) | instid1(VALU_DEP_1)
	v_sub_f32_e32 v16, v16, v11
	v_add_f32_e32 v16, v10, v16
	v_mul_f32_e32 v20, 0x3fb8aa3b, v11
	s_delay_alu instid0(VALU_DEP_1) | instskip(NEXT) | instid1(VALU_DEP_1)
	v_rndne_f32_e32 v20, v20
	v_fmac_f32_e32 v11, 0xbf317200, v20
	v_mul_f32_e32 v22, 0x35bfbc00, v20
	s_delay_alu instid0(VALU_DEP_2) | instskip(NEXT) | instid1(VALU_DEP_1)
	v_dual_mul_f32 v27, 0x2ea39ef3, v20 :: v_dual_add_f32 v26, v16, v11
	v_sub_f32_e32 v10, v26, v22
	v_sub_f32_e32 v11, v11, v26
	s_delay_alu instid0(VALU_DEP_1) | instskip(NEXT) | instid1(VALU_DEP_1)
	v_dual_sub_f32 v26, v26, v10 :: v_dual_add_f32 v11, v16, v11
	v_sub_f32_e32 v16, v26, v22
	s_delay_alu instid0(VALU_DEP_1) | instskip(NEXT) | instid1(VALU_DEP_1)
	v_add_f32_e32 v16, v11, v16
	v_add_f32_e32 v11, v10, v16
	s_delay_alu instid0(VALU_DEP_1) | instskip(NEXT) | instid1(VALU_DEP_1)
	v_mov_b32_e32 v26, v11
	v_pk_add_f32 v[28:29], v[10:11], v[26:27] neg_lo:[0,1] neg_hi:[0,1]
	s_delay_alu instid0(VALU_DEP_1) | instskip(NEXT) | instid1(VALU_DEP_1)
	v_dual_sub_f32 v10, v11, v29 :: v_dual_add_f32 v11, v16, v28
	v_sub_f32_e32 v10, v10, v27
	s_delay_alu instid0(VALU_DEP_1) | instskip(NEXT) | instid1(VALU_DEP_1)
	v_add_f32_e32 v10, v11, v10
	v_add_f32_e32 v11, v29, v10
	s_delay_alu instid0(VALU_DEP_1) | instskip(NEXT) | instid1(VALU_DEP_1)
	v_dual_sub_f32 v16, v29, v11 :: v_dual_mul_f32 v22, v11, v11
	v_dual_add_f32 v10, v10, v16 :: v_dual_fma_f32 v26, v11, v11, -v22
	s_delay_alu instid0(VALU_DEP_1) | instskip(NEXT) | instid1(VALU_DEP_1)
	v_add_f32_e32 v27, v10, v10
	v_fmac_f32_e32 v26, v11, v27
	s_delay_alu instid0(VALU_DEP_1) | instskip(NEXT) | instid1(VALU_DEP_1)
	v_dual_fmaak_f32 v16, s27, v11, 0x3c091de6 :: v_dual_add_f32 v27, v22, v26
	v_fmaak_f32 v16, v11, v16, 0x3d2aadcc
	s_delay_alu instid0(VALU_DEP_1) | instskip(NEXT) | instid1(VALU_DEP_1)
	v_fmaak_f32 v16, v11, v16, 0x3e2aaa47
	v_fmaak_f32 v16, v11, v16, 0x3efffffc
	s_delay_alu instid0(VALU_DEP_1) | instskip(NEXT) | instid1(VALU_DEP_1)
	v_dual_mul_f32 v28, v16, v27 :: v_dual_sub_f32 v22, v27, v22
	v_dual_sub_f32 v22, v26, v22 :: v_dual_fma_f32 v26, v27, v16, -v28
	s_delay_alu instid0(VALU_DEP_1) | instskip(NEXT) | instid1(VALU_DEP_1)
	v_fmac_f32_e32 v26, v22, v16
	v_add_f32_e32 v16, v28, v26
	s_delay_alu instid0(VALU_DEP_1) | instskip(SKIP_2) | instid1(VALU_DEP_3)
	v_add_f32_e32 v22, v11, v16
	v_sub_f32_e32 v27, v16, v28
	v_mov_b64_e32 v[28:29], s[20:21]
	v_sub_f32_e32 v11, v22, v11
	s_delay_alu instid0(VALU_DEP_1) | instskip(NEXT) | instid1(VALU_DEP_4)
	v_sub_f32_e32 v11, v16, v11
	v_sub_f32_e32 v26, v26, v27
	s_delay_alu instid0(VALU_DEP_1) | instskip(NEXT) | instid1(VALU_DEP_1)
	v_add_f32_e32 v10, v10, v26
	v_add_f32_e32 v10, v10, v11
	s_delay_alu instid0(VALU_DEP_1) | instskip(NEXT) | instid1(VALU_DEP_1)
	v_add_f32_e32 v26, v22, v10
	v_dual_add_f32 v27, 1.0, v26 :: v_dual_mov_b32 v11, v26
	s_delay_alu instid0(VALU_DEP_1) | instskip(SKIP_1) | instid1(VALU_DEP_2)
	v_pk_add_f32 v[28:29], v[26:27], v[28:29]
	v_pk_add_f32 v[30:31], v[26:27], v[22:23] neg_lo:[0,1] neg_hi:[0,1]
	v_mov_b32_e32 v31, v29
	s_delay_alu instid0(VALU_DEP_1) | instskip(NEXT) | instid1(VALU_DEP_1)
	v_pk_add_f32 v[10:11], v[10:11], v[30:31] neg_lo:[0,1] neg_hi:[0,1]
	v_add_f32_e32 v10, v10, v11
	v_cvt_i32_f32_e32 v11, v20
	s_delay_alu instid0(VALU_DEP_2) | instskip(NEXT) | instid1(VALU_DEP_1)
	v_add_f32_e32 v16, v27, v10
	v_ldexp_f32 v20, v16, v11
	s_delay_alu instid0(VALU_DEP_1)
	v_rcp_f32_e32 v22, v20
	v_sub_f32_e32 v16, v16, v27
	s_delay_alu instid0(TRANS32_DEP_1) | instid1(VALU_DEP_1)
	v_dual_sub_f32 v10, v10, v16 :: v_dual_mul_f32 v16, v20, v22
	s_delay_alu instid0(VALU_DEP_1) | instskip(NEXT) | instid1(VALU_DEP_2)
	v_ldexp_f32 v10, v10, v11
	v_fma_f32 v11, v22, v20, -v16
	s_delay_alu instid0(VALU_DEP_1) | instskip(NEXT) | instid1(VALU_DEP_1)
	v_fmac_f32_e32 v11, v22, v10
	v_add_f32_e32 v26, v16, v11
	s_delay_alu instid0(VALU_DEP_1) | instskip(NEXT) | instid1(VALU_DEP_1)
	v_dual_sub_f32 v27, 1.0, v26 :: v_dual_sub_f32 v16, v26, v16
	v_sub_f32_e32 v28, 1.0, v27
	s_delay_alu instid0(VALU_DEP_2) | instskip(NEXT) | instid1(VALU_DEP_2)
	v_sub_f32_e32 v11, v16, v11
	v_sub_f32_e32 v16, v28, v26
	s_delay_alu instid0(VALU_DEP_1) | instskip(NEXT) | instid1(VALU_DEP_1)
	v_add_f32_e32 v11, v11, v16
	v_add_f32_e32 v16, v27, v11
	s_delay_alu instid0(VALU_DEP_1) | instskip(NEXT) | instid1(VALU_DEP_1)
	v_mul_f32_e32 v26, v22, v16
	v_mul_f32_e32 v28, v20, v26
	s_delay_alu instid0(VALU_DEP_1) | instskip(NEXT) | instid1(VALU_DEP_1)
	v_fma_f32 v29, v26, v20, -v28
	v_fmac_f32_e32 v29, v26, v10
	s_delay_alu instid0(VALU_DEP_1) | instskip(NEXT) | instid1(VALU_DEP_1)
	v_dual_add_f32 v30, v28, v29 :: v_dual_sub_f32 v27, v27, v16
	v_sub_f32_e32 v31, v16, v30
	s_delay_alu instid0(VALU_DEP_1) | instskip(NEXT) | instid1(VALU_DEP_3)
	v_sub_f32_e32 v16, v16, v31
	v_dual_add_f32 v11, v11, v27 :: v_dual_sub_f32 v27, v30, v28
	s_delay_alu instid0(VALU_DEP_1) | instskip(NEXT) | instid1(VALU_DEP_1)
	v_dual_sub_f32 v16, v16, v30 :: v_dual_sub_f32 v27, v27, v29
	v_dual_add_f32 v11, v11, v16 :: v_dual_add_f32 v16, v22, v26
	s_delay_alu instid0(VALU_DEP_1) | instskip(NEXT) | instid1(VALU_DEP_1)
	v_dual_add_f32 v11, v27, v11 :: v_dual_sub_f32 v27, v16, v22
	v_add_f32_e32 v11, v31, v11
	s_delay_alu instid0(VALU_DEP_2) | instskip(NEXT) | instid1(VALU_DEP_2)
	v_sub_f32_e32 v26, v26, v27
	v_mul_f32_e32 v11, v22, v11
	s_delay_alu instid0(VALU_DEP_1) | instskip(NEXT) | instid1(VALU_DEP_1)
	v_add_f32_e32 v11, v26, v11
	v_add_f32_e32 v22, v16, v11
	s_delay_alu instid0(VALU_DEP_1) | instskip(NEXT) | instid1(VALU_DEP_1)
	v_sub_f32_e32 v16, v22, v16
	v_sub_f32_e32 v11, v11, v16
	v_ldexp_f32 v26, v22, -2
	s_delay_alu instid0(VALU_DEP_2) | instskip(NEXT) | instid1(VALU_DEP_2)
	v_ldexp_f32 v11, v11, -2
	v_sub_f32_e32 v27, v20, v26
	s_delay_alu instid0(VALU_DEP_1) | instskip(NEXT) | instid1(VALU_DEP_1)
	v_sub_f32_e32 v20, v20, v27
	v_sub_f32_e32 v16, v20, v26
	s_delay_alu instid0(VALU_DEP_1) | instskip(NEXT) | instid1(VALU_DEP_1)
	v_add_f32_e32 v10, v10, v16
	v_dual_sub_f32 v10, v10, v11 :: v_dual_mul_f32 v11, v9, v9
	s_delay_alu instid0(VALU_DEP_1) | instskip(NEXT) | instid1(VALU_DEP_2)
	v_add_f32_e32 v10, v27, v10
	v_fmaak_f32 v16, s26, v11, 0xbf039337
	s_delay_alu instid0(VALU_DEP_2) | instskip(NEXT) | instid1(VALU_DEP_1)
	v_cndmask_b32_e32 v10, 0x7f800000, v10, vcc_lo
	v_cndmask_b32_e64 v10, v10, |v12|, s2
	s_delay_alu instid0(VALU_DEP_1) | instskip(NEXT) | instid1(VALU_DEP_4)
	v_bfi_b32 v10, 0x7fffffff, v10, v12
	v_fmaak_f32 v16, v11, v16, 0x3f93f425
	s_delay_alu instid0(VALU_DEP_2) | instskip(NEXT) | instid1(VALU_DEP_2)
	v_fma_f32 v20, v10, v10, 1.0
	v_rcp_f32_e32 v12, v16
	v_nop
	v_fmaak_f32 v16, s25, v11, 0x3ec54587
	s_delay_alu instid0(VALU_DEP_3)
	v_cmp_gt_f32_e32 vcc_lo, 0xf800000, v20
	s_delay_alu instid0(TRANS32_DEP_1) | instid1(VALU_DEP_2)
	v_mul_f32_e32 v12, v16, v12
	v_mul_f32_e32 v16, 0x4f800000, v20
	s_delay_alu instid0(VALU_DEP_2) | instskip(NEXT) | instid1(VALU_DEP_1)
	v_mul_f32_e32 v11, v11, v12
	v_dual_cndmask_b32 v12, v20, v16, vcc_lo :: v_dual_fma_f32 v16, v11, v9, v9
	s_delay_alu instid0(VALU_DEP_1) | instskip(NEXT) | instid1(VALU_DEP_1)
	v_sqrt_f32_e32 v20, v12
	v_rcp_f32_e32 v22, v16
	s_delay_alu instid0(TRANS32_DEP_2) | instskip(NEXT) | instid1(VALU_DEP_1)
	v_dual_sub_f32 v26, v16, v9 :: v_dual_add_nc_u32 v27, -1, v20
	v_fma_f32 v28, -v27, v20, v12
	s_delay_alu instid0(VALU_DEP_2) | instskip(NEXT) | instid1(TRANS32_DEP_1)
	v_dual_fma_f32 v9, v11, v9, -v26 :: v_dual_add_nc_u32 v26, 1, v20
	v_fma_f32 v11, v16, -v22, 1.0
	s_delay_alu instid0(VALU_DEP_3) | instskip(NEXT) | instid1(VALU_DEP_2)
	v_cmp_ge_f32_e64 s2, 0, v28
	v_dual_fma_f32 v9, v9, -v22, v11 :: v_dual_fma_f32 v11, -v26, v20, v12
	s_delay_alu instid0(VALU_DEP_1) | instskip(NEXT) | instid1(VALU_DEP_2)
	v_dual_cndmask_b32 v20, v20, v27, s2 :: v_dual_fma_f32 v9, v9, -v22, -v22
	v_cmp_lt_f32_e64 s2, 0, v11
	s_delay_alu instid0(VALU_DEP_1) | instskip(SKIP_1) | instid1(VALU_DEP_1)
	v_cndmask_b32_e64 v11, v20, v26, s2
	v_cmp_eq_u32_e64 s2, 0, v8
	v_cndmask_b32_e64 v8, v9, v16, s2
	s_delay_alu instid0(VALU_DEP_3) | instskip(NEXT) | instid1(VALU_DEP_2)
	v_mul_f32_e32 v9, 0x37800000, v11
	v_xor3_b32 v1, v1, v8, v13
	s_delay_alu instid0(VALU_DEP_2) | instskip(SKIP_1) | instid1(VALU_DEP_3)
	v_cndmask_b32_e32 v8, v11, v9, vcc_lo
	v_cmp_class_f32_e64 vcc_lo, v12, 0x260
	v_fma_f32 v9, v1, v1, 1.0
	s_delay_alu instid0(VALU_DEP_1) | instskip(NEXT) | instid1(VALU_DEP_1)
	v_dual_cndmask_b32 v8, v8, v12 :: v_dual_mul_f32 v11, v10, v9
	v_mul_f32_e32 v8, v8, v9
	s_delay_alu instid0(VALU_DEP_2) | instskip(NEXT) | instid1(VALU_DEP_2)
	v_fma_f32 v9, v10, v11, 1.0
	v_mul_f32_e32 v8, v10, v8
	s_delay_alu instid0(VALU_DEP_2) | instskip(NEXT) | instid1(VALU_DEP_2)
	v_div_scale_f32 v11, null, v9, v9, v1
	v_div_scale_f32 v10, null, v9, v9, v8
	v_div_scale_f32 v22, vcc_lo, v8, v9, v8
	s_delay_alu instid0(VALU_DEP_3) | instskip(NEXT) | instid1(VALU_DEP_2)
	v_rcp_f32_e32 v13, v11
	v_rcp_f32_e32 v12, v10
	s_delay_alu instid0(TRANS32_DEP_2) | instskip(NEXT) | instid1(TRANS32_DEP_1)
	v_fma_f32 v20, -v11, v13, 1.0
	v_fma_f32 v16, -v10, v12, 1.0
	s_delay_alu instid0(VALU_DEP_2) | instskip(NEXT) | instid1(VALU_DEP_2)
	v_fmac_f32_e32 v13, v20, v13
	v_fmac_f32_e32 v12, v16, v12
	v_div_scale_f32 v16, s2, v1, v9, v1
	s_delay_alu instid0(VALU_DEP_1) | instskip(NEXT) | instid1(VALU_DEP_1)
	v_dual_mul_f32 v20, v22, v12 :: v_dual_mul_f32 v26, v16, v13
	v_fma_f32 v27, -v10, v20, v22
	s_delay_alu instid0(VALU_DEP_1) | instskip(NEXT) | instid1(VALU_DEP_1)
	v_fmac_f32_e32 v20, v27, v12
	v_dual_fma_f32 v28, -v11, v26, v16 :: v_dual_fma_f32 v10, -v10, v20, v22
	s_delay_alu instid0(VALU_DEP_1) | instskip(NEXT) | instid1(VALU_DEP_2)
	v_fmac_f32_e32 v26, v28, v13
	v_div_fmas_f32 v10, v10, v12, v20
	s_delay_alu instid0(VALU_DEP_2) | instskip(SKIP_1) | instid1(VALU_DEP_2)
	v_fma_f32 v11, -v11, v26, v16
	s_mov_b32 vcc_lo, s2
	v_div_fixup_f32 v8, v10, v9, v8
	s_delay_alu instid0(VALU_DEP_2) | instskip(NEXT) | instid1(VALU_DEP_1)
	v_div_fmas_f32 v11, v11, v13, v26
	v_div_fixup_f32 v9, v11, v9, v1
                                        ; implicit-def: $vgpr10_vgpr11_vgpr12_vgpr13
                                        ; implicit-def: $vgpr1
.LBB156_53:                             ;   in Loop: Header=BB156_7 Depth=1
	s_and_not1_saveexec_b32 s34, s34
	s_cbranch_execz .LBB156_63
; %bb.54:                               ;   in Loop: Header=BB156_7 Depth=1
	v_lshrrev_b32_e32 v8, 23, v1
	v_cmp_ngt_f32_e64 s35, 0x48000000, |v13|
	v_and_or_b32 v16, v1, s24, 0x800000
                                        ; implicit-def: $vgpr10
	s_delay_alu instid0(VALU_DEP_3) | instskip(SKIP_1) | instid1(SALU_CYCLE_1)
	v_add_nc_u32_e32 v9, 0xffffff88, v8
                                        ; implicit-def: $vgpr8
	s_and_saveexec_b32 s2, s35
	s_xor_b32 s36, exec_lo, s2
	s_cbranch_execz .LBB156_56
; %bb.55:                               ;   in Loop: Header=BB156_7 Depth=1
	v_mul_u64_e32 v[10:11], s[18:19], v[16:17]
	v_mov_b32_e32 v27, v17
	v_cmp_lt_u32_e32 vcc_lo, 63, v9
	v_mov_b32_e32 v37, v17
	v_cndmask_b32_e64 v8, 0, 0xffffffc0, vcc_lo
	s_delay_alu instid0(VALU_DEP_1) | instskip(NEXT) | instid1(VALU_DEP_1)
	v_add_nc_u32_e32 v8, v8, v9
	v_cmp_lt_u32_e64 s2, 31, v8
	v_mov_b32_e32 v26, v11
	s_delay_alu instid0(VALU_DEP_2) | instskip(NEXT) | instid1(VALU_DEP_2)
	v_cndmask_b32_e64 v11, 0, 0xffffffe0, s2
	v_mad_nc_u64_u32 v[26:27], 0x3c439041, v16, v[26:27]
	s_delay_alu instid0(VALU_DEP_1) | instskip(NEXT) | instid1(VALU_DEP_1)
	v_dual_mov_b32 v29, v17 :: v_dual_mov_b32 v28, v27
	v_mad_nc_u64_u32 v[28:29], 0xdb629599, v16, v[28:29]
	s_delay_alu instid0(VALU_DEP_1) | instskip(NEXT) | instid1(VALU_DEP_2)
	v_dual_mov_b32 v31, v17 :: v_dual_mov_b32 v30, v29
	v_cndmask_b32_e32 v10, v28, v10, vcc_lo
	s_delay_alu instid0(VALU_DEP_2) | instskip(NEXT) | instid1(VALU_DEP_1)
	v_mad_nc_u64_u32 v[30:31], 0xf534ddc0, v16, v[30:31]
	v_dual_mov_b32 v33, v17 :: v_dual_mov_b32 v32, v31
	s_delay_alu instid0(VALU_DEP_1) | instskip(NEXT) | instid1(VALU_DEP_1)
	v_mad_nc_u64_u32 v[32:33], 0xfc2757d1, v16, v[32:33]
	v_dual_mov_b32 v35, v17 :: v_dual_mov_b32 v34, v33
	s_delay_alu instid0(VALU_DEP_1) | instskip(NEXT) | instid1(VALU_DEP_1)
	v_mad_nc_u64_u32 v[34:35], 0x4e441529, v16, v[34:35]
	v_dual_mov_b32 v36, v35 :: v_dual_cndmask_b32 v20, v34, v30, vcc_lo
	s_delay_alu instid0(VALU_DEP_1) | instskip(NEXT) | instid1(VALU_DEP_1)
	v_mad_nc_u64_u32 v[36:37], 0xa2f9836e, v16, v[36:37]
	v_dual_cndmask_b32 v27, v37, v34 :: v_dual_add_nc_u32 v8, v11, v8
	s_delay_alu instid0(VALU_DEP_1) | instskip(NEXT) | instid1(VALU_DEP_3)
	v_cmp_lt_u32_e64 s3, 31, v8
	v_cndmask_b32_e32 v22, v36, v32, vcc_lo
	s_delay_alu instid0(VALU_DEP_2) | instskip(NEXT) | instid1(VALU_DEP_1)
	v_cndmask_b32_e64 v11, 0, 0xffffffe0, s3
	v_dual_cndmask_b32 v11, v30, v26 :: v_dual_add_nc_u32 v8, v11, v8
	v_cndmask_b32_e32 v29, v32, v28, vcc_lo
	s_delay_alu instid0(VALU_DEP_4) | instskip(NEXT) | instid1(VALU_DEP_2)
	v_dual_cndmask_b32 v26, v22, v20, s2 :: v_dual_cndmask_b32 v22, v27, v22, s2
	v_dual_cndmask_b32 v10, v11, v10, s2 :: v_dual_cndmask_b32 v20, v20, v29, s2
	s_delay_alu instid0(VALU_DEP_4) | instskip(NEXT) | instid1(VALU_DEP_3)
	v_dual_cndmask_b32 v29, v29, v11, s2 :: v_dual_sub_nc_u32 v27, 32, v8
	v_cndmask_b32_e64 v22, v22, v26, s3
	v_cmp_eq_u32_e32 vcc_lo, 0, v8
	s_delay_alu instid0(VALU_DEP_3) | instskip(SKIP_1) | instid1(VALU_DEP_2)
	v_dual_cndmask_b32 v26, v26, v20, s3 :: v_dual_cndmask_b32 v20, v20, v29, s3
	v_cndmask_b32_e64 v10, v29, v10, s3
	v_alignbit_b32 v30, v22, v26, v27
	s_delay_alu instid0(VALU_DEP_3) | instskip(NEXT) | instid1(VALU_DEP_3)
	v_alignbit_b32 v28, v26, v20, v27
	v_alignbit_b32 v27, v20, v10, v27
	s_delay_alu instid0(VALU_DEP_3) | instskip(NEXT) | instid1(VALU_DEP_2)
	v_cndmask_b32_e32 v8, v30, v22, vcc_lo
	v_dual_cndmask_b32 v11, v28, v26 :: v_dual_cndmask_b32 v20, v27, v20
	s_delay_alu instid0(VALU_DEP_2) | instskip(NEXT) | instid1(VALU_DEP_2)
	v_bfe_u32 v22, v8, 29, 1
	v_alignbit_b32 v10, v20, v10, 30
	s_delay_alu instid0(VALU_DEP_2) | instskip(NEXT) | instid1(VALU_DEP_4)
	v_sub_nc_u32_e32 v28, 0, v22
	v_alignbit_b32 v26, v8, v11, 30
	v_alignbit_b32 v11, v11, v20, 30
	s_delay_alu instid0(VALU_DEP_3) | instskip(NEXT) | instid1(VALU_DEP_3)
	v_xor_b32_e32 v10, v10, v28
	v_xor_b32_e32 v26, v26, v28
	s_delay_alu instid0(VALU_DEP_3) | instskip(NEXT) | instid1(VALU_DEP_2)
	v_xor_b32_e32 v11, v11, v28
	v_clz_i32_u32_e32 v27, v26
	s_delay_alu instid0(VALU_DEP_1) | instskip(NEXT) | instid1(VALU_DEP_1)
	v_min_u32_e32 v27, 32, v27
	v_dual_lshrrev_b32 v28, 29, v8 :: v_dual_lshlrev_b32 v29, 23, v27
	v_sub_nc_u32_e32 v20, 31, v27
	s_delay_alu instid0(VALU_DEP_1) | instskip(SKIP_1) | instid1(VALU_DEP_4)
	v_alignbit_b32 v26, v26, v11, v20
	v_alignbit_b32 v10, v11, v10, v20
	v_lshlrev_b32_e32 v11, 31, v28
	s_delay_alu instid0(VALU_DEP_2) | instskip(NEXT) | instid1(VALU_DEP_2)
	v_alignbit_b32 v20, v26, v10, 9
	v_dual_lshrrev_b32 v26, 9, v26 :: v_dual_bitop2_b32 v28, 0.5, v11 bitop3:0x54
	v_or_b32_e32 v11, 0x33000000, v11
	s_delay_alu instid0(VALU_DEP_3) | instskip(NEXT) | instid1(VALU_DEP_3)
	v_clz_i32_u32_e32 v30, v20
	v_sub_nc_u32_e32 v28, v28, v29
	s_delay_alu instid0(VALU_DEP_2) | instskip(NEXT) | instid1(VALU_DEP_1)
	v_min_u32_e32 v29, 32, v30
	v_add_lshl_u32 v27, v29, v27, 23
	s_delay_alu instid0(VALU_DEP_1) | instskip(SKIP_1) | instid1(VALU_DEP_1)
	v_dual_sub_nc_u32 v11, v11, v27 :: v_dual_bitop2_b32 v26, v26, v28 bitop3:0x54
	v_not_b32_e32 v28, v29
	v_alignbit_b32 v10, v20, v10, v28
	s_delay_alu instid0(VALU_DEP_1) | instskip(NEXT) | instid1(VALU_DEP_4)
	v_lshrrev_b32_e32 v10, 9, v10
	v_mul_f32_e32 v30, 0x3fc90fda, v26
	s_delay_alu instid0(VALU_DEP_2) | instskip(NEXT) | instid1(VALU_DEP_2)
	v_or_b32_e32 v10, v11, v10
	v_fma_f32 v20, 0x3fc90fda, v26, -v30
	s_delay_alu instid0(VALU_DEP_1) | instskip(NEXT) | instid1(VALU_DEP_1)
	v_fmac_f32_e32 v20, 0x33a22168, v26
	v_fmac_f32_e32 v20, 0x3fc90fda, v10
	v_lshrrev_b32_e32 v10, 30, v8
	s_delay_alu instid0(VALU_DEP_2) | instskip(NEXT) | instid1(VALU_DEP_2)
	v_add_f32_e32 v8, v30, v20
	v_add_nc_u32_e32 v10, v22, v10
	s_and_not1_saveexec_b32 s2, s36
	s_branch .LBB156_57
.LBB156_56:                             ;   in Loop: Header=BB156_7 Depth=1
	s_and_not1_saveexec_b32 s2, s36
.LBB156_57:                             ;   in Loop: Header=BB156_7 Depth=1
	v_mul_f32_e64 v8, 0x3f22f983, |v13|
	s_delay_alu instid0(VALU_DEP_1) | instskip(NEXT) | instid1(VALU_DEP_1)
	v_rndne_f32_e32 v10, v8
	v_fma_f32 v8, 0xbfc90fda, v10, |v13|
	s_delay_alu instid0(VALU_DEP_1) | instskip(NEXT) | instid1(VALU_DEP_1)
	v_fmac_f32_e32 v8, 0xb3a22168, v10
	v_fmac_f32_e32 v8, 0xa7c234c4, v10
	v_cvt_i32_f32_e32 v10, v10
; %bb.58:                               ;   in Loop: Header=BB156_7 Depth=1
	s_or_b32 exec_lo, exec_lo, s2
                                        ; implicit-def: $vgpr20
                                        ; implicit-def: $vgpr11
	s_and_saveexec_b32 s2, s35
	s_delay_alu instid0(SALU_CYCLE_1)
	s_xor_b32 s35, exec_lo, s2
	s_cbranch_execz .LBB156_60
; %bb.59:                               ;   in Loop: Header=BB156_7 Depth=1
	v_mul_u64_e32 v[26:27], s[18:19], v[16:17]
	v_mov_b32_e32 v29, v17
	v_cmp_lt_u32_e32 vcc_lo, 63, v9
	v_mov_b32_e32 v39, v17
	v_cndmask_b32_e64 v11, 0, 0xffffffc0, vcc_lo
	s_delay_alu instid0(VALU_DEP_1) | instskip(NEXT) | instid1(VALU_DEP_1)
	v_add_nc_u32_e32 v9, v11, v9
	v_cmp_lt_u32_e64 s2, 31, v9
	s_delay_alu instid0(VALU_DEP_1) | instskip(NEXT) | instid1(VALU_DEP_1)
	v_cndmask_b32_e64 v11, 0, 0xffffffe0, s2
	v_add_nc_u32_e32 v9, v11, v9
	v_mov_b32_e32 v28, v27
	s_delay_alu instid0(VALU_DEP_2) | instskip(NEXT) | instid1(VALU_DEP_2)
	v_cmp_lt_u32_e64 s3, 31, v9
	v_mad_nc_u64_u32 v[28:29], 0x3c439041, v16, v[28:29]
	v_mov_b32_e32 v31, v17
	s_delay_alu instid0(VALU_DEP_3) | instskip(NEXT) | instid1(VALU_DEP_3)
	v_cndmask_b32_e64 v11, 0, 0xffffffe0, s3
	v_mov_b32_e32 v30, v29
	s_delay_alu instid0(VALU_DEP_1) | instskip(NEXT) | instid1(VALU_DEP_1)
	v_mad_nc_u64_u32 v[30:31], 0xdb629599, v16, v[30:31]
	v_dual_mov_b32 v33, v17 :: v_dual_mov_b32 v32, v31
	s_delay_alu instid0(VALU_DEP_2) | instskip(NEXT) | instid1(VALU_DEP_2)
	v_cndmask_b32_e32 v26, v30, v26, vcc_lo
	v_mad_nc_u64_u32 v[32:33], 0xf534ddc0, v16, v[32:33]
	v_dual_mov_b32 v35, v17 :: v_dual_add_nc_u32 v9, v11, v9
	s_delay_alu instid0(VALU_DEP_2) | instskip(NEXT) | instid1(VALU_DEP_1)
	v_dual_cndmask_b32 v11, v32, v28 :: v_dual_mov_b32 v34, v33
	v_mad_nc_u64_u32 v[34:35], 0xfc2757d1, v16, v[34:35]
	s_delay_alu instid0(VALU_DEP_1) | instskip(NEXT) | instid1(VALU_DEP_2)
	v_dual_mov_b32 v37, v17 :: v_dual_mov_b32 v36, v35
	v_cndmask_b32_e32 v27, v34, v30, vcc_lo
	s_delay_alu instid0(VALU_DEP_2) | instskip(NEXT) | instid1(VALU_DEP_1)
	v_mad_nc_u64_u32 v[36:37], 0x4e441529, v16, v[36:37]
	v_mov_b32_e32 v38, v37
	s_delay_alu instid0(VALU_DEP_1) | instskip(NEXT) | instid1(VALU_DEP_1)
	v_mad_nc_u64_u32 v[38:39], 0xa2f9836e, v16, v[38:39]
	v_dual_cndmask_b32 v16, v36, v32, vcc_lo :: v_dual_cndmask_b32 v20, v38, v34, vcc_lo
	s_delay_alu instid0(VALU_DEP_2) | instskip(SKIP_1) | instid1(VALU_DEP_3)
	v_cndmask_b32_e32 v22, v39, v36, vcc_lo
	v_cmp_eq_u32_e32 vcc_lo, 0, v9
	v_cndmask_b32_e64 v28, v20, v16, s2
	s_delay_alu instid0(VALU_DEP_3) | instskip(SKIP_1) | instid1(VALU_DEP_2)
	v_dual_cndmask_b32 v20, v22, v20, s2 :: v_dual_cndmask_b32 v16, v16, v27, s2
	v_dual_sub_nc_u32 v22, 32, v9 :: v_dual_cndmask_b32 v27, v27, v11, s2
	v_cndmask_b32_e64 v20, v20, v28, s3
	s_delay_alu instid0(VALU_DEP_3) | instskip(NEXT) | instid1(VALU_DEP_1)
	v_cndmask_b32_e64 v28, v28, v16, s3
	v_alignbit_b32 v29, v20, v28, v22
	s_delay_alu instid0(VALU_DEP_1) | instskip(NEXT) | instid1(VALU_DEP_1)
	v_dual_cndmask_b32 v16, v16, v27, s3 :: v_dual_cndmask_b32 v9, v29, v20, vcc_lo
	v_alignbit_b32 v30, v28, v16, v22
	v_cndmask_b32_e64 v11, v11, v26, s2
	s_delay_alu instid0(VALU_DEP_3) | instskip(NEXT) | instid1(VALU_DEP_2)
	v_bfe_u32 v26, v9, 29, 1
	v_dual_cndmask_b32 v20, v30, v28, vcc_lo :: v_dual_cndmask_b32 v11, v27, v11, s3
	s_delay_alu instid0(VALU_DEP_2) | instskip(NEXT) | instid1(VALU_DEP_2)
	v_sub_nc_u32_e32 v28, 0, v26
	v_alignbit_b32 v27, v9, v20, 30
	s_delay_alu instid0(VALU_DEP_3) | instskip(NEXT) | instid1(VALU_DEP_2)
	v_alignbit_b32 v22, v16, v11, v22
	v_xor_b32_e32 v27, v27, v28
	s_delay_alu instid0(VALU_DEP_2) | instskip(NEXT) | instid1(VALU_DEP_2)
	v_cndmask_b32_e32 v16, v22, v16, vcc_lo
	v_clz_i32_u32_e32 v22, v27
	s_delay_alu instid0(VALU_DEP_2) | instskip(SKIP_1) | instid1(VALU_DEP_3)
	v_alignbit_b32 v20, v20, v16, 30
	v_alignbit_b32 v11, v16, v11, 30
	v_min_u32_e32 v22, 32, v22
	s_delay_alu instid0(VALU_DEP_3) | instskip(NEXT) | instid1(VALU_DEP_3)
	v_xor_b32_e32 v16, v20, v28
	v_dual_lshrrev_b32 v28, 29, v9 :: v_dual_bitop2_b32 v11, v11, v28 bitop3:0x14
	s_delay_alu instid0(VALU_DEP_3) | instskip(SKIP_1) | instid1(VALU_DEP_2)
	v_dual_lshrrev_b32 v9, 30, v9 :: v_dual_sub_nc_u32 v20, 31, v22
	v_lshlrev_b32_e32 v29, 23, v22
	v_alignbit_b32 v27, v27, v16, v20
	s_delay_alu instid0(VALU_DEP_4) | instskip(SKIP_1) | instid1(VALU_DEP_2)
	v_alignbit_b32 v11, v16, v11, v20
	v_lshlrev_b32_e32 v16, 31, v28
	v_alignbit_b32 v20, v27, v11, 9
	s_delay_alu instid0(VALU_DEP_2) | instskip(SKIP_1) | instid1(VALU_DEP_3)
	v_dual_lshrrev_b32 v27, 9, v27 :: v_dual_bitop2_b32 v28, 0.5, v16 bitop3:0x54
	v_or_b32_e32 v16, 0x33000000, v16
	v_clz_i32_u32_e32 v30, v20
	s_delay_alu instid0(VALU_DEP_3) | instskip(NEXT) | instid1(VALU_DEP_2)
	v_sub_nc_u32_e32 v28, v28, v29
	v_min_u32_e32 v29, 32, v30
	s_delay_alu instid0(VALU_DEP_1) | instskip(NEXT) | instid1(VALU_DEP_3)
	v_add_lshl_u32 v22, v29, v22, 23
	v_or_b32_e32 v27, v27, v28
	v_not_b32_e32 v28, v29
	s_delay_alu instid0(VALU_DEP_3) | instskip(NEXT) | instid1(VALU_DEP_3)
	v_sub_nc_u32_e32 v16, v16, v22
	v_mul_f32_e32 v30, 0x3fc90fda, v27
	s_delay_alu instid0(VALU_DEP_3) | instskip(NEXT) | instid1(VALU_DEP_2)
	v_alignbit_b32 v11, v20, v11, v28
	v_fma_f32 v20, 0x3fc90fda, v27, -v30
	s_delay_alu instid0(VALU_DEP_2) | instskip(NEXT) | instid1(VALU_DEP_2)
	v_lshrrev_b32_e32 v11, 9, v11
	v_fmac_f32_e32 v20, 0x33a22168, v27
	s_delay_alu instid0(VALU_DEP_2) | instskip(NEXT) | instid1(VALU_DEP_1)
	v_or_b32_e32 v11, v16, v11
	v_fmac_f32_e32 v20, 0x3fc90fda, v11
	s_delay_alu instid0(VALU_DEP_1)
	v_add_f32_e32 v11, v30, v20
	v_add_nc_u32_e32 v20, v26, v9
	s_and_not1_saveexec_b32 s2, s35
	s_cbranch_execnz .LBB156_61
	s_branch .LBB156_62
.LBB156_60:                             ;   in Loop: Header=BB156_7 Depth=1
	s_and_not1_saveexec_b32 s2, s35
.LBB156_61:                             ;   in Loop: Header=BB156_7 Depth=1
	v_mul_f32_e64 v9, 0x3f22f983, |v13|
	s_delay_alu instid0(VALU_DEP_1) | instskip(NEXT) | instid1(VALU_DEP_1)
	v_rndne_f32_e32 v9, v9
	v_fma_f32 v11, 0xbfc90fda, v9, |v13|
	v_cvt_i32_f32_e32 v20, v9
	s_delay_alu instid0(VALU_DEP_2) | instskip(NEXT) | instid1(VALU_DEP_1)
	v_fmac_f32_e32 v11, 0xb3a22168, v9
	v_fmac_f32_e32 v11, 0xa7c234c4, v9
.LBB156_62:                             ;   in Loop: Header=BB156_7 Depth=1
	s_or_b32 exec_lo, exec_lo, s2
	v_dual_mul_f32 v9, v8, v8 :: v_dual_bitop2_b32 v16, 1, v10 bitop3:0x40
	s_delay_alu instid0(VALU_DEP_2) | instskip(SKIP_1) | instid1(VALU_DEP_3)
	v_dual_mul_f32 v28, v11, v11 :: v_dual_lshlrev_b32 v10, 30, v10
	v_mul_f32_e64 v22, 0xbfb8aa3b, |v12|
	v_fmaak_f32 v27, s29, v9, 0xbab64f3b
	s_delay_alu instid0(VALU_DEP_4) | instskip(NEXT) | instid1(VALU_DEP_4)
	v_cmp_eq_u32_e32 vcc_lo, 0, v16
	v_fmaak_f32 v30, s28, v28, 0x3c0881c4
	v_bitop3_b32 v1, v1, v10, 0x80000000 bitop3:0x78
	v_rndne_f32_e32 v10, v22
	v_fmaak_f32 v27, v9, v27, 0x3d2aabf7
	v_fma_f32 v29, 0xbfb8aa3b, |v12|, -v22
	v_fmaak_f32 v30, v28, v30, 0xbe2aaa9d
	v_fmaak_f32 v26, s28, v9, 0x3c0881c4
	v_sub_f32_e32 v22, v22, v10
	v_cvt_i32_f32_e32 v10, v10
	v_fma_f32 v29, 0xb2a5705f, |v12|, v29
	v_fmaak_f32 v27, v9, v27, 0xbf000004
	v_fmaak_f32 v26, v9, v26, 0xbe2aaa9d
	s_delay_alu instid0(VALU_DEP_1) | instskip(SKIP_1) | instid1(VALU_DEP_4)
	v_dual_add_f32 v22, v22, v29 :: v_dual_mul_f32 v26, v9, v26
	v_fmaak_f32 v31, s29, v28, 0xbab64f3b
	v_fma_f32 v9, v9, v27, 1.0
	v_mul_f32_e32 v27, v28, v30
	s_delay_alu instid0(VALU_DEP_4) | instskip(SKIP_2) | instid1(VALU_DEP_2)
	v_exp_f32_e32 v16, v22
	v_fmac_f32_e32 v8, v8, v26
	v_fmaak_f32 v26, v28, v31, 0x3d2aabf7
	v_dual_fmac_f32 v11, v11, v27 :: v_dual_cndmask_b32 v8, v9, v8
	s_delay_alu instid0(VALU_DEP_2) | instskip(NEXT) | instid1(VALU_DEP_2)
	v_fmaak_f32 v9, v28, v26, 0xbf000004
	v_xor3_b32 v1, v1, v8, v13
	s_delay_alu instid0(VALU_DEP_2) | instskip(SKIP_2) | instid1(VALU_DEP_4)
	v_fma_f32 v9, v28, v9, 1.0
	v_and_b32_e32 v22, 1, v20
	v_ldexp_f32 v8, v16, v10
	v_dual_mul_f32 v1, 4.0, v1 :: v_dual_lshlrev_b32 v10, 30, v20
	s_delay_alu instid0(VALU_DEP_3) | instskip(SKIP_2) | instid1(VALU_DEP_2)
	v_cmp_eq_u32_e32 vcc_lo, 0, v22
	v_cndmask_b32_e64 v9, -v11, v9, vcc_lo
	v_cmp_nlt_f32_e64 vcc_lo, 0x42ce8ed0, |v12|
	v_bitop3_b32 v9, v10, v9, 0x80000000 bitop3:0x6c
	v_cndmask_b32_e32 v8, 0, v8, vcc_lo
	v_cmp_ngt_f32_e64 vcc_lo, 0xc2b17218, |v12|
	s_delay_alu instid0(VALU_DEP_2) | instskip(SKIP_1) | instid1(VALU_DEP_2)
	v_dual_mul_f32 v1, v1, v9 :: v_dual_cndmask_b32 v10, 0x7f800000, v8
	v_bfi_b32 v8, 0x7fffffff, 1.0, v12
	v_mul_f32_e32 v1, v10, v1
	s_delay_alu instid0(VALU_DEP_1)
	v_mul_f32_e32 v9, v10, v1
.LBB156_63:                             ;   in Loop: Header=BB156_7 Depth=1
	s_or_b32 exec_lo, exec_lo, s34
                                        ; implicit-def: $vgpr10_vgpr11_vgpr12_vgpr13
.LBB156_64:                             ;   in Loop: Header=BB156_7 Depth=1
	s_and_not1_saveexec_b32 s2, s33
; %bb.65:                               ;   in Loop: Header=BB156_7 Depth=1
	v_sub_f32_e32 v9, v13, v13
	s_delay_alu instid0(VALU_DEP_1)
	v_mov_b32_e32 v8, v9
; %bb.66:                               ;   in Loop: Header=BB156_7 Depth=1
	s_or_b32 exec_lo, exec_lo, s2
                                        ; implicit-def: $vgpr12
.LBB156_67:                             ;   in Loop: Header=BB156_7 Depth=1
	s_and_not1_saveexec_b32 s31, s31
	s_cbranch_execz .LBB156_83
; %bb.68:                               ;   in Loop: Header=BB156_7 Depth=1
	v_and_b32_e32 v1, 0x7fffff, v12
	s_mov_b32 s2, exec_lo
	s_delay_alu instid0(VALU_DEP_1)
	v_cmpx_ne_u32_e32 0, v1
	s_xor_b32 s2, exec_lo, s2
; %bb.69:                               ;   in Loop: Header=BB156_7 Depth=1
	v_mul_f32_e32 v1, v12, v13
	v_cmp_eq_f32_e32 vcc_lo, 0, v13
	s_delay_alu instid0(VALU_DEP_2)
	v_cndmask_b32_e32 v9, v1, v13, vcc_lo
; %bb.70:                               ;   in Loop: Header=BB156_7 Depth=1
	s_and_not1_saveexec_b32 s33, s2
	s_cbranch_execz .LBB156_82
; %bb.71:                               ;   in Loop: Header=BB156_7 Depth=1
	s_mov_b32 s34, exec_lo
	v_cmpx_neq_f32_e64 0x7f800000, |v13|
	s_cbranch_execz .LBB156_81
; %bb.72:                               ;   in Loop: Header=BB156_7 Depth=1
	v_and_b32_e32 v1, 0x7fffffff, v13
	v_cmp_ngt_f32_e64 s35, 0x48000000, |v13|
                                        ; implicit-def: $vgpr9
	s_delay_alu instid0(VALU_DEP_2) | instskip(SKIP_1) | instid1(VALU_DEP_2)
	v_lshrrev_b32_e32 v8, 23, v1
	v_and_or_b32 v16, v1, s24, 0x800000
	v_add_nc_u32_e32 v10, 0xffffff88, v8
                                        ; implicit-def: $vgpr8
	s_and_saveexec_b32 s2, s35
	s_delay_alu instid0(SALU_CYCLE_1)
	s_xor_b32 s36, exec_lo, s2
	s_cbranch_execz .LBB156_74
; %bb.73:                               ;   in Loop: Header=BB156_7 Depth=1
	v_mul_u64_e32 v[8:9], s[18:19], v[16:17]
	v_mov_b32_e32 v27, v17
	v_cmp_lt_u32_e32 vcc_lo, 63, v10
	s_delay_alu instid0(VALU_DEP_3) | instskip(SKIP_1) | instid1(VALU_DEP_2)
	v_mov_b32_e32 v26, v9
	v_cndmask_b32_e64 v9, 0, 0xffffffc0, vcc_lo
	v_mad_nc_u64_u32 v[26:27], 0x3c439041, v16, v[26:27]
	s_delay_alu instid0(VALU_DEP_1) | instskip(NEXT) | instid1(VALU_DEP_1)
	v_dual_mov_b32 v29, v17 :: v_dual_mov_b32 v28, v27
	v_mad_nc_u64_u32 v[28:29], 0xdb629599, v16, v[28:29]
	s_delay_alu instid0(VALU_DEP_1) | instskip(NEXT) | instid1(VALU_DEP_1)
	v_dual_mov_b32 v31, v17 :: v_dual_mov_b32 v30, v29
	;; [unrolled: 3-line block ×3, first 2 shown]
	v_mad_nc_u64_u32 v[32:33], 0xfc2757d1, v16, v[32:33]
	s_delay_alu instid0(VALU_DEP_1) | instskip(NEXT) | instid1(VALU_DEP_2)
	v_dual_mov_b32 v35, v17 :: v_dual_mov_b32 v34, v33
	v_cndmask_b32_e32 v29, v32, v28, vcc_lo
	s_delay_alu instid0(VALU_DEP_2) | instskip(NEXT) | instid1(VALU_DEP_1)
	v_mad_nc_u64_u32 v[34:35], 0x4e441529, v16, v[34:35]
	v_dual_mov_b32 v36, v35 :: v_dual_add_nc_u32 v9, v9, v10
	s_delay_alu instid0(VALU_DEP_1) | instskip(NEXT) | instid1(VALU_DEP_1)
	v_cmp_lt_u32_e64 s2, 31, v9
	v_cndmask_b32_e64 v11, 0, 0xffffffe0, s2
	s_delay_alu instid0(VALU_DEP_1) | instskip(NEXT) | instid1(VALU_DEP_1)
	v_dual_mov_b32 v37, v17 :: v_dual_add_nc_u32 v9, v11, v9
	v_mad_nc_u64_u32 v[36:37], 0xa2f9836e, v16, v[36:37]
	v_cndmask_b32_e32 v20, v34, v30, vcc_lo
	s_delay_alu instid0(VALU_DEP_3) | instskip(NEXT) | instid1(VALU_DEP_1)
	v_cmp_lt_u32_e64 s3, 31, v9
	v_cndmask_b32_e64 v11, 0, 0xffffffe0, s3
	s_delay_alu instid0(VALU_DEP_4) | instskip(NEXT) | instid1(VALU_DEP_2)
	v_dual_cndmask_b32 v22, v36, v32 :: v_dual_cndmask_b32 v27, v37, v34
	v_dual_add_nc_u32 v9, v11, v9 :: v_dual_cndmask_b32 v11, v30, v26, vcc_lo
	s_delay_alu instid0(VALU_DEP_2) | instskip(SKIP_1) | instid1(VALU_DEP_3)
	v_dual_cndmask_b32 v26, v22, v20, s2 :: v_dual_cndmask_b32 v22, v27, v22, s2
	v_cndmask_b32_e64 v20, v20, v29, s2
	v_dual_sub_nc_u32 v27, 32, v9 :: v_dual_cndmask_b32 v29, v29, v11, s2
	s_delay_alu instid0(VALU_DEP_3) | instskip(NEXT) | instid1(VALU_DEP_2)
	v_cndmask_b32_e64 v22, v22, v26, s3
	v_dual_cndmask_b32 v26, v26, v20, s3 :: v_dual_cndmask_b32 v20, v20, v29, s3
	s_delay_alu instid0(VALU_DEP_1) | instskip(SKIP_2) | instid1(VALU_DEP_4)
	v_alignbit_b32 v30, v22, v26, v27
	v_cndmask_b32_e32 v8, v28, v8, vcc_lo
	v_cmp_eq_u32_e32 vcc_lo, 0, v9
	v_alignbit_b32 v28, v26, v20, v27
	s_delay_alu instid0(VALU_DEP_3) | instskip(NEXT) | instid1(VALU_DEP_2)
	v_dual_cndmask_b32 v9, v30, v22, vcc_lo :: v_dual_cndmask_b32 v8, v11, v8, s2
	v_cndmask_b32_e32 v11, v28, v26, vcc_lo
	s_delay_alu instid0(VALU_DEP_2) | instskip(NEXT) | instid1(VALU_DEP_3)
	v_bfe_u32 v22, v9, 29, 1
	v_cndmask_b32_e64 v8, v29, v8, s3
	s_delay_alu instid0(VALU_DEP_3) | instskip(NEXT) | instid1(VALU_DEP_3)
	v_alignbit_b32 v26, v9, v11, 30
	v_sub_nc_u32_e32 v28, 0, v22
	s_delay_alu instid0(VALU_DEP_3) | instskip(NEXT) | instid1(VALU_DEP_2)
	v_alignbit_b32 v27, v20, v8, v27
	v_xor_b32_e32 v26, v26, v28
	s_delay_alu instid0(VALU_DEP_2) | instskip(NEXT) | instid1(VALU_DEP_2)
	v_cndmask_b32_e32 v20, v27, v20, vcc_lo
	v_clz_i32_u32_e32 v27, v26
	s_delay_alu instid0(VALU_DEP_2) | instskip(SKIP_1) | instid1(VALU_DEP_3)
	v_alignbit_b32 v11, v11, v20, 30
	v_alignbit_b32 v8, v20, v8, 30
	v_min_u32_e32 v27, 32, v27
	s_delay_alu instid0(VALU_DEP_3) | instskip(NEXT) | instid1(VALU_DEP_3)
	v_xor_b32_e32 v11, v11, v28
	v_dual_lshrrev_b32 v28, 29, v9 :: v_dual_bitop2_b32 v8, v8, v28 bitop3:0x14
	s_delay_alu instid0(VALU_DEP_3) | instskip(NEXT) | instid1(VALU_DEP_1)
	v_dual_lshrrev_b32 v9, 30, v9 :: v_dual_sub_nc_u32 v20, 31, v27
	v_dual_lshlrev_b32 v29, 23, v27 :: v_dual_add_nc_u32 v9, v22, v9
	s_delay_alu instid0(VALU_DEP_2) | instskip(NEXT) | instid1(VALU_DEP_4)
	v_alignbit_b32 v26, v26, v11, v20
	v_alignbit_b32 v8, v11, v8, v20
	v_lshlrev_b32_e32 v11, 31, v28
	s_delay_alu instid0(VALU_DEP_2) | instskip(NEXT) | instid1(VALU_DEP_2)
	v_alignbit_b32 v20, v26, v8, 9
	v_dual_lshrrev_b32 v26, 9, v26 :: v_dual_bitop2_b32 v28, 0.5, v11 bitop3:0x54
	v_or_b32_e32 v11, 0x33000000, v11
	s_delay_alu instid0(VALU_DEP_3) | instskip(NEXT) | instid1(VALU_DEP_3)
	v_clz_i32_u32_e32 v30, v20
	v_sub_nc_u32_e32 v28, v28, v29
	s_delay_alu instid0(VALU_DEP_2) | instskip(NEXT) | instid1(VALU_DEP_1)
	v_min_u32_e32 v29, 32, v30
	v_add_lshl_u32 v27, v29, v27, 23
	s_delay_alu instid0(VALU_DEP_1) | instskip(SKIP_1) | instid1(VALU_DEP_2)
	v_dual_sub_nc_u32 v11, v11, v27 :: v_dual_bitop2_b32 v26, v26, v28 bitop3:0x54
	v_not_b32_e32 v28, v29
	v_mul_f32_e32 v30, 0x3fc90fda, v26
	s_delay_alu instid0(VALU_DEP_2) | instskip(NEXT) | instid1(VALU_DEP_2)
	v_alignbit_b32 v8, v20, v8, v28
	v_fma_f32 v20, 0x3fc90fda, v26, -v30
	s_delay_alu instid0(VALU_DEP_2) | instskip(NEXT) | instid1(VALU_DEP_2)
	v_lshrrev_b32_e32 v8, 9, v8
	v_fmac_f32_e32 v20, 0x33a22168, v26
	s_delay_alu instid0(VALU_DEP_2) | instskip(NEXT) | instid1(VALU_DEP_1)
	v_or_b32_e32 v8, v11, v8
	v_fmac_f32_e32 v20, 0x3fc90fda, v8
	s_delay_alu instid0(VALU_DEP_1)
	v_add_f32_e32 v8, v30, v20
.LBB156_74:                             ;   in Loop: Header=BB156_7 Depth=1
	s_or_saveexec_b32 s2, s36
	v_mul_f32_e64 v11, 0x3f22f983, |v13|
	s_delay_alu instid0(VALU_DEP_1)
	v_rndne_f32_e32 v22, v11
	s_xor_b32 exec_lo, exec_lo, s2
; %bb.75:                               ;   in Loop: Header=BB156_7 Depth=1
	s_delay_alu instid0(VALU_DEP_1) | instskip(SKIP_1) | instid1(VALU_DEP_2)
	v_fma_f32 v8, 0xbfc90fda, v22, |v13|
	v_cvt_i32_f32_e32 v9, v22
	v_fmac_f32_e32 v8, 0xb3a22168, v22
	s_delay_alu instid0(VALU_DEP_1)
	v_fmac_f32_e32 v8, 0xa7c234c4, v22
; %bb.76:                               ;   in Loop: Header=BB156_7 Depth=1
	s_or_b32 exec_lo, exec_lo, s2
                                        ; implicit-def: $vgpr20
                                        ; implicit-def: $vgpr11
	s_and_saveexec_b32 s2, s35
	s_delay_alu instid0(SALU_CYCLE_1)
	s_xor_b32 s35, exec_lo, s2
	s_cbranch_execz .LBB156_78
; %bb.77:                               ;   in Loop: Header=BB156_7 Depth=1
	v_mul_u64_e32 v[26:27], s[18:19], v[16:17]
	v_mov_b32_e32 v29, v17
	v_cmp_lt_u32_e32 vcc_lo, 63, v10
	v_cndmask_b32_e64 v11, 0, 0xffffffc0, vcc_lo
	s_delay_alu instid0(VALU_DEP_1) | instskip(NEXT) | instid1(VALU_DEP_1)
	v_dual_mov_b32 v11, v17 :: v_dual_add_nc_u32 v20, v11, v10
	v_cmp_lt_u32_e64 s2, 31, v20
	s_delay_alu instid0(VALU_DEP_1) | instskip(SKIP_1) | instid1(VALU_DEP_1)
	v_cndmask_b32_e64 v22, 0, 0xffffffe0, s2
	v_mov_b32_e32 v28, v27
	v_mad_nc_u64_u32 v[28:29], 0x3c439041, v16, v[28:29]
	s_delay_alu instid0(VALU_DEP_1) | instskip(NEXT) | instid1(VALU_DEP_1)
	v_dual_mov_b32 v31, v17 :: v_dual_mov_b32 v30, v29
	v_mad_nc_u64_u32 v[30:31], 0xdb629599, v16, v[30:31]
	s_delay_alu instid0(VALU_DEP_1) | instskip(NEXT) | instid1(VALU_DEP_1)
	v_dual_mov_b32 v33, v17 :: v_dual_mov_b32 v32, v31
	;; [unrolled: 3-line block ×3, first 2 shown]
	v_mad_nc_u64_u32 v[34:35], 0xfc2757d1, v16, v[34:35]
	s_delay_alu instid0(VALU_DEP_1) | instskip(NEXT) | instid1(VALU_DEP_2)
	v_dual_mov_b32 v37, v17 :: v_dual_mov_b32 v36, v35
	v_cndmask_b32_e32 v27, v34, v30, vcc_lo
	s_delay_alu instid0(VALU_DEP_2) | instskip(NEXT) | instid1(VALU_DEP_1)
	v_mad_nc_u64_u32 v[36:37], 0x4e441529, v16, v[36:37]
	v_mov_b32_e32 v10, v37
	s_delay_alu instid0(VALU_DEP_1) | instskip(SKIP_1) | instid1(VALU_DEP_4)
	v_mad_nc_u64_u32 v[10:11], 0xa2f9836e, v16, v[10:11]
	v_add_nc_u32_e32 v16, v22, v20
	v_cndmask_b32_e32 v22, v36, v32, vcc_lo
	s_delay_alu instid0(VALU_DEP_2) | instskip(NEXT) | instid1(VALU_DEP_1)
	v_cmp_lt_u32_e64 s3, 31, v16
	v_cndmask_b32_e64 v20, 0, 0xffffffe0, s3
	v_dual_cndmask_b32 v10, v10, v34 :: v_dual_cndmask_b32 v11, v11, v36
	s_delay_alu instid0(VALU_DEP_2) | instskip(NEXT) | instid1(VALU_DEP_2)
	v_add_nc_u32_e32 v16, v20, v16
	v_dual_cndmask_b32 v20, v32, v28, vcc_lo :: v_dual_cndmask_b32 v28, v10, v22, s2
	s_delay_alu instid0(VALU_DEP_3) | instskip(NEXT) | instid1(VALU_DEP_3)
	v_dual_cndmask_b32 v10, v11, v10, s2 :: v_dual_cndmask_b32 v11, v22, v27, s2
	v_sub_nc_u32_e32 v22, 32, v16
	s_delay_alu instid0(VALU_DEP_3) | instskip(NEXT) | instid1(VALU_DEP_3)
	v_cndmask_b32_e64 v27, v27, v20, s2
	v_dual_cndmask_b32 v10, v10, v28, s3 :: v_dual_cndmask_b32 v28, v28, v11, s3
	s_delay_alu instid0(VALU_DEP_2) | instskip(SKIP_1) | instid1(VALU_DEP_3)
	v_dual_cndmask_b32 v26, v30, v26, vcc_lo :: v_dual_cndmask_b32 v11, v11, v27, s3
	v_cmp_eq_u32_e32 vcc_lo, 0, v16
	v_alignbit_b32 v29, v10, v28, v22
	s_delay_alu instid0(VALU_DEP_3) | instskip(NEXT) | instid1(VALU_DEP_4)
	v_cndmask_b32_e64 v16, v20, v26, s2
	v_alignbit_b32 v30, v28, v11, v22
	s_delay_alu instid0(VALU_DEP_2) | instskip(NEXT) | instid1(VALU_DEP_2)
	v_dual_cndmask_b32 v10, v29, v10, vcc_lo :: v_dual_cndmask_b32 v16, v27, v16, s3
	v_cndmask_b32_e32 v20, v30, v28, vcc_lo
	s_delay_alu instid0(VALU_DEP_2) | instskip(NEXT) | instid1(VALU_DEP_3)
	v_bfe_u32 v26, v10, 29, 1
	v_alignbit_b32 v22, v11, v16, v22
	s_delay_alu instid0(VALU_DEP_3) | instskip(NEXT) | instid1(VALU_DEP_2)
	v_alignbit_b32 v27, v10, v20, 30
	v_dual_cndmask_b32 v11, v22, v11 :: v_dual_sub_nc_u32 v28, 0, v26
	s_delay_alu instid0(VALU_DEP_1) | instskip(NEXT) | instid1(VALU_DEP_2)
	v_xor_b32_e32 v27, v27, v28
	v_alignbit_b32 v20, v20, v11, 30
	v_alignbit_b32 v11, v11, v16, 30
	s_delay_alu instid0(VALU_DEP_3) | instskip(NEXT) | instid1(VALU_DEP_2)
	v_clz_i32_u32_e32 v22, v27
	v_xor_b32_e32 v11, v11, v28
	s_delay_alu instid0(VALU_DEP_2) | instskip(SKIP_2) | instid1(VALU_DEP_3)
	v_min_u32_e32 v22, 32, v22
	v_dual_lshrrev_b32 v28, 29, v10 :: v_dual_bitop2_b32 v16, v20, v28 bitop3:0x14
	v_lshrrev_b32_e32 v10, 30, v10
	v_dual_sub_nc_u32 v20, 31, v22 :: v_dual_lshlrev_b32 v29, 23, v22
	s_delay_alu instid0(VALU_DEP_1) | instskip(SKIP_2) | instid1(VALU_DEP_2)
	v_alignbit_b32 v27, v27, v16, v20
	v_alignbit_b32 v11, v16, v11, v20
	v_lshlrev_b32_e32 v16, 31, v28
	v_alignbit_b32 v20, v27, v11, 9
	s_delay_alu instid0(VALU_DEP_2) | instskip(SKIP_1) | instid1(VALU_DEP_3)
	v_dual_lshrrev_b32 v27, 9, v27 :: v_dual_bitop2_b32 v28, 0.5, v16 bitop3:0x54
	v_or_b32_e32 v16, 0x33000000, v16
	v_clz_i32_u32_e32 v30, v20
	s_delay_alu instid0(VALU_DEP_3) | instskip(NEXT) | instid1(VALU_DEP_2)
	v_sub_nc_u32_e32 v28, v28, v29
	v_min_u32_e32 v29, 32, v30
	s_delay_alu instid0(VALU_DEP_1) | instskip(NEXT) | instid1(VALU_DEP_3)
	v_add_lshl_u32 v22, v29, v22, 23
	v_or_b32_e32 v27, v27, v28
	v_not_b32_e32 v28, v29
	s_delay_alu instid0(VALU_DEP_3) | instskip(NEXT) | instid1(VALU_DEP_3)
	v_sub_nc_u32_e32 v16, v16, v22
	v_mul_f32_e32 v30, 0x3fc90fda, v27
	s_delay_alu instid0(VALU_DEP_3) | instskip(NEXT) | instid1(VALU_DEP_2)
	v_alignbit_b32 v11, v20, v11, v28
                                        ; implicit-def: $vgpr22
	v_fma_f32 v20, 0x3fc90fda, v27, -v30
	s_delay_alu instid0(VALU_DEP_2) | instskip(NEXT) | instid1(VALU_DEP_2)
	v_lshrrev_b32_e32 v11, 9, v11
	v_fmac_f32_e32 v20, 0x33a22168, v27
	s_delay_alu instid0(VALU_DEP_2) | instskip(NEXT) | instid1(VALU_DEP_1)
	v_or_b32_e32 v11, v16, v11
	v_fmac_f32_e32 v20, 0x3fc90fda, v11
	s_delay_alu instid0(VALU_DEP_1)
	v_add_f32_e32 v11, v30, v20
	v_add_nc_u32_e32 v20, v26, v10
	s_and_not1_saveexec_b32 s2, s35
	s_cbranch_execnz .LBB156_79
	s_branch .LBB156_80
.LBB156_78:                             ;   in Loop: Header=BB156_7 Depth=1
	s_and_not1_saveexec_b32 s2, s35
.LBB156_79:                             ;   in Loop: Header=BB156_7 Depth=1
	v_fma_f32 v11, 0xbfc90fda, v22, |v13|
	v_cvt_i32_f32_e32 v20, v22
	s_delay_alu instid0(VALU_DEP_2) | instskip(NEXT) | instid1(VALU_DEP_1)
	v_fmac_f32_e32 v11, 0xb3a22168, v22
	v_fmac_f32_e32 v11, 0xa7c234c4, v22
.LBB156_80:                             ;   in Loop: Header=BB156_7 Depth=1
	s_or_b32 exec_lo, exec_lo, s2
	s_delay_alu instid0(VALU_DEP_1) | instskip(SKIP_1) | instid1(VALU_DEP_2)
	v_dual_mul_f32 v10, v8, v8 :: v_dual_mul_f32 v16, v11, v11
	v_dual_lshlrev_b32 v9, 30, v9 :: v_dual_bitop2_b32 v22, 1, v9 bitop3:0x40
	v_fmaak_f32 v28, s28, v16, 0x3c0881c4
	s_delay_alu instid0(VALU_DEP_2) | instskip(NEXT) | instid1(VALU_DEP_3)
	v_cmp_eq_u32_e32 vcc_lo, 0, v22
	v_bitop3_b32 v1, v1, v9, 0x80000000 bitop3:0x78
	s_delay_alu instid0(VALU_DEP_3) | instskip(NEXT) | instid1(VALU_DEP_1)
	v_fmaak_f32 v28, v16, v28, 0xbe2aaa9d
	v_dual_fmaak_f32 v27, s29, v10, 0xbab64f3b :: v_dual_mul_f32 v28, v16, v28
	v_fmaak_f32 v26, s28, v10, 0x3c0881c4
	s_delay_alu instid0(VALU_DEP_2) | instskip(NEXT) | instid1(VALU_DEP_2)
	v_fmaak_f32 v27, v10, v27, 0x3d2aabf7
	v_dual_fmac_f32 v11, v11, v28 :: v_dual_fmaak_f32 v26, v10, v26, 0xbe2aaa9d
	s_delay_alu instid0(VALU_DEP_1) | instskip(SKIP_1) | instid1(VALU_DEP_2)
	v_dual_fmaak_f32 v29, s29, v16, 0xbab64f3b :: v_dual_mul_f32 v26, v10, v26
	v_dual_lshlrev_b32 v20, 30, v20 :: v_dual_bitop2_b32 v30, 1, v20 bitop3:0x40
	v_dual_fmaak_f32 v27, v10, v27, 0xbf000004 :: v_dual_fmac_f32 v8, v8, v26
	s_delay_alu instid0(VALU_DEP_1) | instskip(NEXT) | instid1(VALU_DEP_1)
	v_fma_f32 v10, v10, v27, 1.0
	v_dual_fmaak_f32 v29, v16, v29, 0x3d2aabf7 :: v_dual_cndmask_b32 v8, v10, v8
	s_delay_alu instid0(VALU_DEP_1) | instskip(SKIP_1) | instid1(VALU_DEP_3)
	v_fmaak_f32 v29, v16, v29, 0xbf000004
	v_cmp_eq_u32_e32 vcc_lo, 0, v30
	v_xor3_b32 v1, v1, v8, v13
	s_delay_alu instid0(VALU_DEP_3) | instskip(NEXT) | instid1(VALU_DEP_1)
	v_fma_f32 v16, v16, v29, 1.0
	v_cndmask_b32_e64 v9, -v11, v16, vcc_lo
	v_cmp_class_f32_e64 vcc_lo, v13, 0x1f8
	s_delay_alu instid0(VALU_DEP_2) | instskip(NEXT) | instid1(VALU_DEP_1)
	v_bitop3_b32 v8, v20, v9, 0x80000000 bitop3:0x6c
	v_mul_f32_e32 v1, v1, v8
	s_delay_alu instid0(VALU_DEP_1)
	v_cndmask_b32_e32 v13, 0x7fc00000, v1, vcc_lo
.LBB156_81:                             ;   in Loop: Header=BB156_7 Depth=1
	s_or_b32 exec_lo, exec_lo, s34
	v_add_nc_u32_e32 v12, -2.0, v12
	s_delay_alu instid0(VALU_DEP_2)
	v_bfi_b32 v9, 0x7fffffff, 0, v13
.LBB156_82:                             ;   in Loop: Header=BB156_7 Depth=1
	s_or_b32 exec_lo, exec_lo, s33
	s_delay_alu instid0(VALU_DEP_2)
	v_mov_b32_e32 v8, v12
.LBB156_83:                             ;   in Loop: Header=BB156_7 Depth=1
	s_or_b32 exec_lo, exec_lo, s31
	s_wait_loadcnt 0x0
	v_and_b32_e32 v20, 0x7fffffff, v2
                                        ; implicit-def: $vgpr11
	s_mov_b32 s2, exec_lo
	s_delay_alu instid0(VALU_DEP_1)
	v_cmpx_gt_u32_e32 0x7f800000, v20
	s_xor_b32 s31, exec_lo, s2
	s_cbranch_execz .LBB156_105
; %bb.84:                               ;   in Loop: Header=BB156_7 Depth=1
	v_cmp_class_f32_e64 s2, v3, 0x1f8
                                        ; implicit-def: $vgpr11
	s_and_saveexec_b32 s3, s2
	s_delay_alu instid0(SALU_CYCLE_1)
	s_xor_b32 s33, exec_lo, s3
	s_cbranch_execz .LBB156_102
; %bb.85:                               ;   in Loop: Header=BB156_7 Depth=1
	v_and_b32_e32 v1, 0x7fffffff, v3
                                        ; implicit-def: $vgpr11
	s_mov_b32 s2, exec_lo
	v_cmpx_gt_u32_e32 0x41300000, v20
	s_xor_b32 s34, exec_lo, s2
	s_cbranch_execz .LBB156_91
; %bb.86:                               ;   in Loop: Header=BB156_7 Depth=1
                                        ; implicit-def: $vgpr10
                                        ; implicit-def: $vgpr11
	s_mov_b32 s3, exec_lo
	v_cmpx_ngt_f32_e64 0x48000000, |v3|
	s_xor_b32 s35, exec_lo, s3
	s_cbranch_execz .LBB156_88
; %bb.87:                               ;   in Loop: Header=BB156_7 Depth=1
	v_and_or_b32 v16, v1, s24, 0x800000
	v_mov_b32_e32 v33, v17
	s_delay_alu instid0(VALU_DEP_2) | instskip(NEXT) | instid1(VALU_DEP_1)
	v_mul_u64_e32 v[10:11], s[18:19], v[16:17]
	v_dual_mov_b32 v13, v17 :: v_dual_mov_b32 v12, v11
	v_lshrrev_b32_e32 v11, 23, v1
	s_delay_alu instid0(VALU_DEP_2) | instskip(SKIP_1) | instid1(VALU_DEP_3)
	v_mad_nc_u64_u32 v[12:13], 0x3c439041, v16, v[12:13]
	v_mov_b32_e32 v27, v17
	v_add_nc_u32_e32 v11, 0xffffff88, v11
	s_delay_alu instid0(VALU_DEP_1) | instskip(NEXT) | instid1(VALU_DEP_4)
	v_cmp_lt_u32_e32 vcc_lo, 63, v11
	v_mov_b32_e32 v26, v13
	v_cndmask_b32_e64 v13, 0, 0xffffffc0, vcc_lo
	s_delay_alu instid0(VALU_DEP_2) | instskip(NEXT) | instid1(VALU_DEP_1)
	v_mad_nc_u64_u32 v[26:27], 0xdb629599, v16, v[26:27]
	v_dual_mov_b32 v29, v17 :: v_dual_mov_b32 v28, v27
	s_delay_alu instid0(VALU_DEP_2) | instskip(NEXT) | instid1(VALU_DEP_2)
	v_cndmask_b32_e32 v10, v26, v10, vcc_lo
	v_mad_nc_u64_u32 v[28:29], 0xf534ddc0, v16, v[28:29]
	s_delay_alu instid0(VALU_DEP_1) | instskip(NEXT) | instid1(VALU_DEP_2)
	v_dual_mov_b32 v31, v17 :: v_dual_mov_b32 v30, v29
	v_cndmask_b32_e32 v12, v28, v12, vcc_lo
	s_delay_alu instid0(VALU_DEP_2) | instskip(NEXT) | instid1(VALU_DEP_1)
	v_mad_nc_u64_u32 v[30:31], 0xfc2757d1, v16, v[30:31]
	v_dual_mov_b32 v32, v31 :: v_dual_cndmask_b32 v29, v30, v26
	s_delay_alu instid0(VALU_DEP_1) | instskip(SKIP_1) | instid1(VALU_DEP_2)
	v_mad_nc_u64_u32 v[32:33], 0x4e441529, v16, v[32:33]
	v_add_nc_u32_e32 v11, v13, v11
	v_dual_mov_b32 v35, v17 :: v_dual_mov_b32 v34, v33
	s_delay_alu instid0(VALU_DEP_1) | instskip(NEXT) | instid1(VALU_DEP_4)
	v_mad_nc_u64_u32 v[34:35], 0xa2f9836e, v16, v[34:35]
	v_cndmask_b32_e32 v16, v32, v28, vcc_lo
	s_delay_alu instid0(VALU_DEP_4) | instskip(NEXT) | instid1(VALU_DEP_1)
	v_cmp_lt_u32_e64 s2, 31, v11
	v_cndmask_b32_e64 v13, 0, 0xffffffe0, s2
	s_delay_alu instid0(VALU_DEP_1) | instskip(SKIP_1) | instid1(VALU_DEP_2)
	v_dual_cndmask_b32 v22, v34, v30 :: v_dual_add_nc_u32 v11, v13, v11
	v_cndmask_b32_e32 v27, v35, v32, vcc_lo
	v_cmp_lt_u32_e64 s3, 31, v11
	s_delay_alu instid0(VALU_DEP_1) | instskip(NEXT) | instid1(VALU_DEP_1)
	v_cndmask_b32_e64 v13, 0, 0xffffffe0, s3
	v_dual_add_nc_u32 v11, v13, v11 :: v_dual_cndmask_b32 v13, v22, v16, s2
	s_delay_alu instid0(VALU_DEP_4) | instskip(NEXT) | instid1(VALU_DEP_2)
	v_dual_cndmask_b32 v22, v27, v22, s2 :: v_dual_cndmask_b32 v16, v16, v29, s2
	v_dual_cndmask_b32 v28, v29, v12, s2 :: v_dual_sub_nc_u32 v27, 32, v11
	v_cmp_eq_u32_e32 vcc_lo, 0, v11
	s_delay_alu instid0(VALU_DEP_3) | instskip(NEXT) | instid1(VALU_DEP_1)
	v_dual_cndmask_b32 v22, v22, v13, s3 :: v_dual_cndmask_b32 v13, v13, v16, s3
	v_alignbit_b32 v29, v22, v13, v27
	s_delay_alu instid0(VALU_DEP_1) | instskip(NEXT) | instid1(VALU_DEP_1)
	v_dual_cndmask_b32 v16, v16, v28, s3 :: v_dual_cndmask_b32 v11, v29, v22, vcc_lo
	v_alignbit_b32 v26, v13, v16, v27
	s_delay_alu instid0(VALU_DEP_1) | instskip(NEXT) | instid1(VALU_DEP_3)
	v_dual_cndmask_b32 v10, v12, v10, s2 :: v_dual_cndmask_b32 v12, v26, v13, vcc_lo
	v_bfe_u32 v13, v11, 29, 1
	s_delay_alu instid0(VALU_DEP_2) | instskip(NEXT) | instid1(VALU_DEP_3)
	v_cndmask_b32_e64 v10, v28, v10, s3
	v_alignbit_b32 v22, v11, v12, 30
	s_delay_alu instid0(VALU_DEP_3) | instskip(NEXT) | instid1(VALU_DEP_3)
	v_sub_nc_u32_e32 v26, 0, v13
	v_alignbit_b32 v27, v16, v10, v27
	s_delay_alu instid0(VALU_DEP_1) | instskip(NEXT) | instid1(VALU_DEP_1)
	v_dual_cndmask_b32 v16, v27, v16, vcc_lo :: v_dual_bitop2_b32 v22, v22, v26 bitop3:0x14
	v_clz_i32_u32_e32 v27, v22
	s_delay_alu instid0(VALU_DEP_2) | instskip(SKIP_1) | instid1(VALU_DEP_3)
	v_alignbit_b32 v12, v12, v16, 30
	v_alignbit_b32 v10, v16, v10, 30
	v_min_u32_e32 v27, 32, v27
	s_delay_alu instid0(VALU_DEP_3) | instskip(NEXT) | instid1(VALU_DEP_3)
	v_xor_b32_e32 v12, v12, v26
	v_dual_lshrrev_b32 v26, 29, v11 :: v_dual_bitop2_b32 v10, v10, v26 bitop3:0x14
	s_delay_alu instid0(VALU_DEP_3) | instskip(NEXT) | instid1(VALU_DEP_1)
	v_dual_sub_nc_u32 v16, 31, v27 :: v_dual_lshlrev_b32 v28, 23, v27
	v_alignbit_b32 v22, v22, v12, v16
	s_delay_alu instid0(VALU_DEP_3) | instskip(NEXT) | instid1(VALU_DEP_4)
	v_alignbit_b32 v10, v12, v10, v16
	v_lshlrev_b32_e32 v12, 31, v26
	s_delay_alu instid0(VALU_DEP_2) | instskip(NEXT) | instid1(VALU_DEP_2)
	v_alignbit_b32 v16, v22, v10, 9
	v_dual_lshrrev_b32 v22, 9, v22 :: v_dual_bitop2_b32 v26, 0.5, v12 bitop3:0x54
	v_or_b32_e32 v12, 0x33000000, v12
	s_delay_alu instid0(VALU_DEP_3) | instskip(NEXT) | instid1(VALU_DEP_3)
	v_clz_i32_u32_e32 v29, v16
	v_sub_nc_u32_e32 v26, v26, v28
	s_delay_alu instid0(VALU_DEP_2) | instskip(NEXT) | instid1(VALU_DEP_1)
	v_min_u32_e32 v28, 32, v29
	v_add_lshl_u32 v27, v28, v27, 23
	s_delay_alu instid0(VALU_DEP_3) | instskip(SKIP_1) | instid1(VALU_DEP_2)
	v_or_b32_e32 v22, v22, v26
	v_not_b32_e32 v26, v28
	v_dual_mul_f32 v29, 0x3fc90fda, v22 :: v_dual_sub_nc_u32 v12, v12, v27
	s_delay_alu instid0(VALU_DEP_2) | instskip(NEXT) | instid1(VALU_DEP_2)
	v_alignbit_b32 v10, v16, v10, v26
	v_fma_f32 v16, 0x3fc90fda, v22, -v29
	s_delay_alu instid0(VALU_DEP_2) | instskip(NEXT) | instid1(VALU_DEP_2)
	v_lshrrev_b32_e32 v10, 9, v10
	v_fmac_f32_e32 v16, 0x33a22168, v22
	s_delay_alu instid0(VALU_DEP_2) | instskip(NEXT) | instid1(VALU_DEP_1)
	v_or_b32_e32 v10, v12, v10
	v_fmac_f32_e32 v16, 0x3fc90fda, v10
	s_delay_alu instid0(VALU_DEP_1) | instskip(NEXT) | instid1(VALU_DEP_1)
	v_dual_add_f32 v11, v29, v16 :: v_dual_lshrrev_b32 v10, 30, v11
	v_add_nc_u32_e32 v10, v13, v10
.LBB156_88:                             ;   in Loop: Header=BB156_7 Depth=1
	s_and_not1_saveexec_b32 s2, s35
; %bb.89:                               ;   in Loop: Header=BB156_7 Depth=1
	v_mul_f32_e64 v10, 0x3f22f983, |v3|
	s_delay_alu instid0(VALU_DEP_1) | instskip(NEXT) | instid1(VALU_DEP_1)
	v_rndne_f32_e32 v10, v10
	v_fma_f32 v11, 0xbfc90fda, v10, |v3|
	s_delay_alu instid0(VALU_DEP_1) | instskip(NEXT) | instid1(VALU_DEP_1)
	v_fmac_f32_e32 v11, 0xb3a22168, v10
	v_fmac_f32_e32 v11, 0xa7c234c4, v10
	v_cvt_i32_f32_e32 v10, v10
; %bb.90:                               ;   in Loop: Header=BB156_7 Depth=1
	s_or_b32 exec_lo, exec_lo, s2
	v_add_f32_e64 v16, 0xbf317218, |v2|
	v_cmp_nlt_f32_e64 vcc_lo, 0x42b2d4fc, |v2|
	v_cmp_gt_f32_e64 s2, 0x39800000, |v2|
	s_delay_alu instid0(VALU_DEP_3) | instskip(NEXT) | instid1(VALU_DEP_1)
	v_sub_f32_e64 v13, v16, |v2|
	v_sub_f32_e32 v12, v13, v16
	s_delay_alu instid0(VALU_DEP_1) | instskip(NEXT) | instid1(VALU_DEP_1)
	v_pk_add_f32 v[12:13], v[20:21], v[12:13]
	v_sub_f32_e32 v12, v12, v13
	s_delay_alu instid0(VALU_DEP_1) | instskip(NEXT) | instid1(VALU_DEP_1)
	v_add_f32_e32 v12, 0x3102e308, v12
	v_add_f32_e32 v13, v16, v12
	s_delay_alu instid0(VALU_DEP_1) | instskip(NEXT) | instid1(VALU_DEP_1)
	v_sub_f32_e32 v16, v16, v13
	v_add_f32_e32 v16, v12, v16
	v_mul_f32_e32 v20, 0x3fb8aa3b, v13
	s_delay_alu instid0(VALU_DEP_1) | instskip(NEXT) | instid1(VALU_DEP_1)
	v_rndne_f32_e32 v20, v20
	v_fmac_f32_e32 v13, 0xbf317200, v20
	v_mul_f32_e32 v22, 0x35bfbc00, v20
	s_delay_alu instid0(VALU_DEP_2) | instskip(NEXT) | instid1(VALU_DEP_1)
	v_dual_mul_f32 v27, 0x2ea39ef3, v20 :: v_dual_add_f32 v26, v16, v13
	v_sub_f32_e32 v12, v26, v22
	s_delay_alu instid0(VALU_DEP_1) | instskip(NEXT) | instid1(VALU_DEP_1)
	v_dual_sub_f32 v13, v13, v26 :: v_dual_sub_f32 v26, v26, v12
	v_dual_add_f32 v13, v16, v13 :: v_dual_sub_f32 v16, v26, v22
	s_delay_alu instid0(VALU_DEP_1) | instskip(NEXT) | instid1(VALU_DEP_1)
	v_add_f32_e32 v16, v13, v16
	v_add_f32_e32 v13, v12, v16
	s_delay_alu instid0(VALU_DEP_1) | instskip(NEXT) | instid1(VALU_DEP_1)
	v_mov_b32_e32 v26, v13
	v_pk_add_f32 v[28:29], v[12:13], v[26:27] neg_lo:[0,1] neg_hi:[0,1]
	s_delay_alu instid0(VALU_DEP_1) | instskip(NEXT) | instid1(VALU_DEP_1)
	v_dual_sub_f32 v12, v13, v29 :: v_dual_add_f32 v13, v16, v28
	v_sub_f32_e32 v12, v12, v27
	s_delay_alu instid0(VALU_DEP_1) | instskip(NEXT) | instid1(VALU_DEP_1)
	v_add_f32_e32 v12, v13, v12
	v_add_f32_e32 v13, v29, v12
	s_delay_alu instid0(VALU_DEP_1) | instskip(SKIP_1) | instid1(VALU_DEP_1)
	v_mul_f32_e32 v22, v13, v13
	v_sub_f32_e32 v16, v29, v13
	v_add_f32_e32 v12, v12, v16
	s_delay_alu instid0(VALU_DEP_1) | instskip(NEXT) | instid1(VALU_DEP_4)
	v_dual_add_f32 v27, v12, v12 :: v_dual_fmaak_f32 v16, s27, v13, 0x3c091de6
	v_fma_f32 v26, v13, v13, -v22
	s_delay_alu instid0(VALU_DEP_2) | instskip(NEXT) | instid1(VALU_DEP_1)
	v_fmaak_f32 v16, v13, v16, 0x3d2aadcc
	v_fmaak_f32 v16, v13, v16, 0x3e2aaa47
	s_delay_alu instid0(VALU_DEP_1) | instskip(NEXT) | instid1(VALU_DEP_4)
	v_fmaak_f32 v16, v13, v16, 0x3efffffc
	v_fmac_f32_e32 v26, v13, v27
	s_delay_alu instid0(VALU_DEP_1) | instskip(NEXT) | instid1(VALU_DEP_1)
	v_add_f32_e32 v27, v22, v26
	v_dual_sub_f32 v22, v27, v22 :: v_dual_mul_f32 v28, v16, v27
	s_delay_alu instid0(VALU_DEP_1) | instskip(NEXT) | instid1(VALU_DEP_1)
	v_dual_sub_f32 v22, v26, v22 :: v_dual_fma_f32 v26, v27, v16, -v28
	v_fmac_f32_e32 v26, v22, v16
	s_delay_alu instid0(VALU_DEP_1) | instskip(NEXT) | instid1(VALU_DEP_1)
	v_add_f32_e32 v16, v28, v26
	v_add_f32_e32 v22, v13, v16
	v_sub_f32_e32 v27, v16, v28
	v_mov_b64_e32 v[28:29], s[20:21]
	s_delay_alu instid0(VALU_DEP_3) | instskip(NEXT) | instid1(VALU_DEP_1)
	v_sub_f32_e32 v13, v22, v13
	v_dual_sub_f32 v26, v26, v27 :: v_dual_sub_f32 v13, v16, v13
	s_delay_alu instid0(VALU_DEP_1) | instskip(NEXT) | instid1(VALU_DEP_1)
	v_add_f32_e32 v12, v12, v26
	v_add_f32_e32 v12, v12, v13
	s_delay_alu instid0(VALU_DEP_1) | instskip(NEXT) | instid1(VALU_DEP_1)
	v_add_f32_e32 v26, v22, v12
	v_dual_add_f32 v27, 1.0, v26 :: v_dual_mov_b32 v13, v26
	s_delay_alu instid0(VALU_DEP_1) | instskip(SKIP_1) | instid1(VALU_DEP_2)
	v_pk_add_f32 v[28:29], v[26:27], v[28:29]
	v_pk_add_f32 v[30:31], v[26:27], v[22:23] neg_lo:[0,1] neg_hi:[0,1]
	v_mov_b32_e32 v31, v29
	s_delay_alu instid0(VALU_DEP_1) | instskip(NEXT) | instid1(VALU_DEP_1)
	v_pk_add_f32 v[12:13], v[12:13], v[30:31] neg_lo:[0,1] neg_hi:[0,1]
	v_add_f32_e32 v12, v12, v13
	v_cvt_i32_f32_e32 v13, v20
	s_delay_alu instid0(VALU_DEP_2) | instskip(NEXT) | instid1(VALU_DEP_1)
	v_add_f32_e32 v16, v27, v12
	v_ldexp_f32 v20, v16, v13
	v_sub_f32_e32 v16, v16, v27
	s_delay_alu instid0(VALU_DEP_2) | instskip(NEXT) | instid1(VALU_DEP_1)
	v_rcp_f32_e32 v22, v20
	v_sub_f32_e32 v12, v12, v16
	s_delay_alu instid0(VALU_DEP_1) | instskip(NEXT) | instid1(TRANS32_DEP_1)
	v_ldexp_f32 v12, v12, v13
	v_mul_f32_e32 v16, v20, v22
	s_delay_alu instid0(VALU_DEP_1) | instskip(NEXT) | instid1(VALU_DEP_1)
	v_fma_f32 v13, v22, v20, -v16
	v_fmac_f32_e32 v13, v22, v12
	s_delay_alu instid0(VALU_DEP_1) | instskip(NEXT) | instid1(VALU_DEP_1)
	v_add_f32_e32 v26, v16, v13
	v_sub_f32_e32 v16, v26, v16
	s_delay_alu instid0(VALU_DEP_1) | instskip(NEXT) | instid1(VALU_DEP_1)
	v_dual_sub_f32 v13, v16, v13 :: v_dual_sub_f32 v27, 1.0, v26
	v_sub_f32_e32 v28, 1.0, v27
	s_delay_alu instid0(VALU_DEP_1) | instskip(NEXT) | instid1(VALU_DEP_1)
	v_sub_f32_e32 v16, v28, v26
	v_add_f32_e32 v13, v13, v16
	s_delay_alu instid0(VALU_DEP_1) | instskip(NEXT) | instid1(VALU_DEP_1)
	v_add_f32_e32 v16, v27, v13
	v_mul_f32_e32 v26, v22, v16
	s_delay_alu instid0(VALU_DEP_1) | instskip(NEXT) | instid1(VALU_DEP_1)
	v_dual_mul_f32 v28, v20, v26 :: v_dual_sub_f32 v27, v27, v16
	v_fma_f32 v29, v26, v20, -v28
	s_delay_alu instid0(VALU_DEP_1) | instskip(NEXT) | instid1(VALU_DEP_1)
	v_fmac_f32_e32 v29, v26, v12
	v_add_f32_e32 v30, v28, v29
	s_delay_alu instid0(VALU_DEP_1) | instskip(NEXT) | instid1(VALU_DEP_1)
	v_sub_f32_e32 v31, v16, v30
	v_sub_f32_e32 v16, v16, v31
	v_dual_add_f32 v13, v13, v27 :: v_dual_sub_f32 v27, v30, v28
	s_delay_alu instid0(VALU_DEP_1) | instskip(NEXT) | instid1(VALU_DEP_1)
	v_dual_sub_f32 v16, v16, v30 :: v_dual_sub_f32 v27, v27, v29
	v_dual_add_f32 v13, v13, v16 :: v_dual_add_f32 v16, v22, v26
	s_delay_alu instid0(VALU_DEP_1) | instskip(NEXT) | instid1(VALU_DEP_1)
	v_dual_add_f32 v13, v27, v13 :: v_dual_sub_f32 v27, v16, v22
	v_dual_add_f32 v13, v31, v13 :: v_dual_sub_f32 v26, v26, v27
	s_delay_alu instid0(VALU_DEP_1) | instskip(NEXT) | instid1(VALU_DEP_1)
	v_mul_f32_e32 v13, v22, v13
	v_add_f32_e32 v13, v26, v13
	s_delay_alu instid0(VALU_DEP_1) | instskip(NEXT) | instid1(VALU_DEP_1)
	v_add_f32_e32 v22, v16, v13
	v_ldexp_f32 v26, v22, -2
	s_delay_alu instid0(VALU_DEP_1) | instskip(NEXT) | instid1(VALU_DEP_1)
	v_dual_sub_f32 v16, v22, v16 :: v_dual_sub_f32 v27, v20, v26
	v_dual_sub_f32 v20, v20, v27 :: v_dual_sub_f32 v13, v13, v16
	s_delay_alu instid0(VALU_DEP_1) | instskip(NEXT) | instid1(VALU_DEP_2)
	v_sub_f32_e32 v16, v20, v26
	v_ldexp_f32 v13, v13, -2
	s_delay_alu instid0(VALU_DEP_2) | instskip(NEXT) | instid1(VALU_DEP_1)
	v_add_f32_e32 v12, v12, v16
	v_dual_sub_f32 v12, v12, v13 :: v_dual_mul_f32 v13, v11, v11
	s_delay_alu instid0(VALU_DEP_1) | instskip(SKIP_1) | instid1(VALU_DEP_2)
	v_fmaak_f32 v16, s26, v13, 0xbf039337
	v_fmaak_f32 v20, s25, v13, 0x3ec54587
	v_fmaak_f32 v16, v13, v16, 0x3f93f425
	s_delay_alu instid0(VALU_DEP_1) | instskip(SKIP_1) | instid1(TRANS32_DEP_1)
	v_rcp_f32_e32 v16, v16
	v_nop
	v_mul_f32_e32 v16, v20, v16
	s_delay_alu instid0(VALU_DEP_1) | instskip(SKIP_1) | instid1(VALU_DEP_1)
	v_mul_f32_e32 v13, v13, v16
	v_add_f32_e32 v12, v27, v12
	v_cndmask_b32_e32 v12, 0x7f800000, v12, vcc_lo
	s_delay_alu instid0(VALU_DEP_1) | instskip(NEXT) | instid1(VALU_DEP_1)
	v_cndmask_b32_e64 v12, v12, |v2|, s2
	v_bfi_b32 v12, 0x7fffffff, v12, v2
	s_delay_alu instid0(VALU_DEP_1) | instskip(NEXT) | instid1(VALU_DEP_1)
	v_fma_f32 v22, v12, v12, 1.0
	v_mul_f32_e32 v20, 0x4f800000, v22
	v_cmp_gt_f32_e32 vcc_lo, 0xf800000, v22
	s_delay_alu instid0(VALU_DEP_2) | instskip(NEXT) | instid1(VALU_DEP_1)
	v_dual_cndmask_b32 v16, v22, v20, vcc_lo :: v_dual_fma_f32 v20, v13, v11, v11
	v_sub_f32_e32 v27, v20, v11
	v_rcp_f32_e32 v26, v20
	s_delay_alu instid0(VALU_DEP_1) | instskip(NEXT) | instid1(VALU_DEP_3)
	v_fma_f32 v11, v13, v11, -v27
	v_sqrt_f32_e32 v22, v16
	s_delay_alu instid0(TRANS32_DEP_2) | instskip(NEXT) | instid1(TRANS32_DEP_1)
	v_fma_f32 v13, v20, -v26, 1.0
	v_dual_add_nc_u32 v28, -1, v22 :: v_dual_add_nc_u32 v27, 1, v22
	s_delay_alu instid0(VALU_DEP_2) | instskip(NEXT) | instid1(VALU_DEP_2)
	v_fma_f32 v11, v11, -v26, v13
	v_dual_fma_f32 v29, -v28, v22, v16 :: v_dual_fma_f32 v13, -v27, v22, v16
	s_delay_alu instid0(VALU_DEP_1) | instskip(NEXT) | instid1(VALU_DEP_1)
	v_cmp_ge_f32_e64 s2, 0, v29
	v_cndmask_b32_e64 v22, v22, v28, s2
	s_delay_alu instid0(VALU_DEP_3) | instskip(SKIP_1) | instid1(VALU_DEP_2)
	v_cmp_lt_f32_e64 s2, 0, v13
	v_and_b32_e32 v10, 1, v10
	v_dual_fma_f32 v11, v11, -v26, -v26 :: v_dual_cndmask_b32 v13, v22, v27, s2
	s_delay_alu instid0(VALU_DEP_2) | instskip(NEXT) | instid1(VALU_DEP_1)
	v_cmp_eq_u32_e64 s2, 0, v10
	v_cndmask_b32_e64 v10, v11, v20, s2
	s_delay_alu instid0(VALU_DEP_3) | instskip(NEXT) | instid1(VALU_DEP_2)
	v_mul_f32_e32 v11, 0x37800000, v13
	v_xor3_b32 v1, v1, v10, v3
	s_delay_alu instid0(VALU_DEP_2) | instskip(SKIP_1) | instid1(VALU_DEP_3)
	v_cndmask_b32_e32 v10, v13, v11, vcc_lo
	v_cmp_class_f32_e64 vcc_lo, v16, 0x260
	v_fma_f32 v11, v1, v1, 1.0
	s_delay_alu instid0(VALU_DEP_1) | instskip(NEXT) | instid1(VALU_DEP_1)
	v_dual_cndmask_b32 v10, v10, v16 :: v_dual_mul_f32 v13, v12, v11
	v_mul_f32_e32 v10, v10, v11
	s_delay_alu instid0(VALU_DEP_2) | instskip(NEXT) | instid1(VALU_DEP_2)
	v_fma_f32 v11, v12, v13, 1.0
	v_mul_f32_e32 v10, v12, v10
	s_delay_alu instid0(VALU_DEP_2) | instskip(NEXT) | instid1(VALU_DEP_2)
	v_div_scale_f32 v13, null, v11, v11, v1
	v_div_scale_f32 v12, null, v11, v11, v10
	v_div_scale_f32 v27, vcc_lo, v10, v11, v10
	s_delay_alu instid0(VALU_DEP_3) | instskip(NEXT) | instid1(VALU_DEP_2)
	v_rcp_f32_e32 v20, v13
	v_rcp_f32_e32 v16, v12
	s_delay_alu instid0(TRANS32_DEP_2) | instskip(NEXT) | instid1(TRANS32_DEP_1)
	v_fma_f32 v26, -v13, v20, 1.0
	v_fma_f32 v22, -v12, v16, 1.0
	s_delay_alu instid0(VALU_DEP_2) | instskip(NEXT) | instid1(VALU_DEP_2)
	v_fmac_f32_e32 v20, v26, v20
	v_fmac_f32_e32 v16, v22, v16
	v_div_scale_f32 v22, s2, v1, v11, v1
	s_delay_alu instid0(VALU_DEP_2) | instskip(NEXT) | instid1(VALU_DEP_1)
	v_mul_f32_e32 v26, v27, v16
	v_dual_mul_f32 v28, v22, v20 :: v_dual_fma_f32 v29, -v12, v26, v27
	s_delay_alu instid0(VALU_DEP_1) | instskip(NEXT) | instid1(VALU_DEP_1)
	v_fmac_f32_e32 v26, v29, v16
	v_dual_fma_f32 v30, -v13, v28, v22 :: v_dual_fma_f32 v12, -v12, v26, v27
	s_delay_alu instid0(VALU_DEP_1) | instskip(NEXT) | instid1(VALU_DEP_2)
	v_fmac_f32_e32 v28, v30, v20
	v_div_fmas_f32 v12, v12, v16, v26
	s_delay_alu instid0(VALU_DEP_2) | instskip(SKIP_1) | instid1(VALU_DEP_2)
	v_fma_f32 v13, -v13, v28, v22
	s_mov_b32 vcc_lo, s2
	v_div_fixup_f32 v10, v12, v11, v10
	s_delay_alu instid0(VALU_DEP_2) | instskip(NEXT) | instid1(VALU_DEP_1)
	v_div_fmas_f32 v13, v13, v20, v28
	v_div_fixup_f32 v11, v13, v11, v1
                                        ; implicit-def: $vgpr1
.LBB156_91:                             ;   in Loop: Header=BB156_7 Depth=1
	s_and_not1_saveexec_b32 s34, s34
	s_cbranch_execz .LBB156_101
; %bb.92:                               ;   in Loop: Header=BB156_7 Depth=1
	v_lshrrev_b32_e32 v10, 23, v1
	v_cmp_ngt_f32_e64 s35, 0x48000000, |v3|
	v_and_or_b32 v16, v1, s24, 0x800000
                                        ; implicit-def: $vgpr12
	s_delay_alu instid0(VALU_DEP_3) | instskip(SKIP_1) | instid1(SALU_CYCLE_1)
	v_add_nc_u32_e32 v11, 0xffffff88, v10
                                        ; implicit-def: $vgpr10
	s_and_saveexec_b32 s2, s35
	s_xor_b32 s36, exec_lo, s2
	s_cbranch_execz .LBB156_94
; %bb.93:                               ;   in Loop: Header=BB156_7 Depth=1
	v_mul_u64_e32 v[12:13], s[18:19], v[16:17]
	v_mov_b32_e32 v27, v17
	v_cmp_lt_u32_e32 vcc_lo, 63, v11
	v_mov_b32_e32 v37, v17
	v_cndmask_b32_e64 v10, 0, 0xffffffc0, vcc_lo
	s_delay_alu instid0(VALU_DEP_1) | instskip(NEXT) | instid1(VALU_DEP_1)
	v_add_nc_u32_e32 v10, v10, v11
	v_cmp_lt_u32_e64 s2, 31, v10
	v_mov_b32_e32 v26, v13
	s_delay_alu instid0(VALU_DEP_2) | instskip(NEXT) | instid1(VALU_DEP_2)
	v_cndmask_b32_e64 v13, 0, 0xffffffe0, s2
	v_mad_nc_u64_u32 v[26:27], 0x3c439041, v16, v[26:27]
	v_mov_b32_e32 v29, v17
	s_delay_alu instid0(VALU_DEP_3) | instskip(NEXT) | instid1(VALU_DEP_1)
	v_add_nc_u32_e32 v10, v13, v10
	v_cmp_lt_u32_e64 s3, 31, v10
	s_delay_alu instid0(VALU_DEP_4) | instskip(NEXT) | instid1(VALU_DEP_2)
	v_mov_b32_e32 v28, v27
	v_cndmask_b32_e64 v13, 0, 0xffffffe0, s3
	s_delay_alu instid0(VALU_DEP_2) | instskip(NEXT) | instid1(VALU_DEP_1)
	v_mad_nc_u64_u32 v[28:29], 0xdb629599, v16, v[28:29]
	v_dual_mov_b32 v31, v17 :: v_dual_mov_b32 v30, v29
	s_delay_alu instid0(VALU_DEP_1) | instskip(NEXT) | instid1(VALU_DEP_1)
	v_mad_nc_u64_u32 v[30:31], 0xf534ddc0, v16, v[30:31]
	v_dual_mov_b32 v33, v17 :: v_dual_mov_b32 v32, v31
	s_delay_alu instid0(VALU_DEP_1) | instskip(NEXT) | instid1(VALU_DEP_1)
	v_mad_nc_u64_u32 v[32:33], 0xfc2757d1, v16, v[32:33]
	v_dual_mov_b32 v35, v17 :: v_dual_mov_b32 v34, v33
	s_delay_alu instid0(VALU_DEP_2) | instskip(NEXT) | instid1(VALU_DEP_2)
	v_cndmask_b32_e32 v29, v32, v28, vcc_lo
	v_mad_nc_u64_u32 v[34:35], 0x4e441529, v16, v[34:35]
	s_delay_alu instid0(VALU_DEP_1) | instskip(NEXT) | instid1(VALU_DEP_1)
	v_mov_b32_e32 v36, v35
	v_mad_nc_u64_u32 v[36:37], 0xa2f9836e, v16, v[36:37]
	s_delay_alu instid0(VALU_DEP_1) | instskip(NEXT) | instid1(VALU_DEP_2)
	v_dual_cndmask_b32 v20, v34, v30, vcc_lo :: v_dual_cndmask_b32 v22, v36, v32, vcc_lo
	v_cndmask_b32_e32 v27, v37, v34, vcc_lo
	v_add_nc_u32_e32 v10, v13, v10
	v_cndmask_b32_e32 v13, v30, v26, vcc_lo
	s_delay_alu instid0(VALU_DEP_3) | instskip(NEXT) | instid1(VALU_DEP_3)
	v_dual_cndmask_b32 v26, v22, v20, s2 :: v_dual_cndmask_b32 v22, v27, v22, s2
	v_dual_cndmask_b32 v20, v20, v29, s2 :: v_dual_sub_nc_u32 v27, 32, v10
	s_delay_alu instid0(VALU_DEP_2) | instskip(NEXT) | instid1(VALU_DEP_1)
	v_dual_cndmask_b32 v29, v29, v13, s2 :: v_dual_cndmask_b32 v22, v22, v26, s3
	v_dual_cndmask_b32 v26, v26, v20, s3 :: v_dual_cndmask_b32 v20, v20, v29, s3
	s_delay_alu instid0(VALU_DEP_1) | instskip(SKIP_2) | instid1(VALU_DEP_4)
	v_alignbit_b32 v30, v22, v26, v27
	v_cndmask_b32_e32 v12, v28, v12, vcc_lo
	v_cmp_eq_u32_e32 vcc_lo, 0, v10
	v_alignbit_b32 v28, v26, v20, v27
	s_delay_alu instid0(VALU_DEP_3) | instskip(NEXT) | instid1(VALU_DEP_2)
	v_dual_cndmask_b32 v10, v30, v22, vcc_lo :: v_dual_cndmask_b32 v12, v13, v12, s2
	v_cndmask_b32_e32 v13, v28, v26, vcc_lo
	s_delay_alu instid0(VALU_DEP_2) | instskip(NEXT) | instid1(VALU_DEP_3)
	v_bfe_u32 v22, v10, 29, 1
	v_cndmask_b32_e64 v12, v29, v12, s3
	s_delay_alu instid0(VALU_DEP_3) | instskip(NEXT) | instid1(VALU_DEP_3)
	v_alignbit_b32 v26, v10, v13, 30
	v_sub_nc_u32_e32 v28, 0, v22
	s_delay_alu instid0(VALU_DEP_3) | instskip(NEXT) | instid1(VALU_DEP_2)
	v_alignbit_b32 v27, v20, v12, v27
	v_xor_b32_e32 v26, v26, v28
	s_delay_alu instid0(VALU_DEP_2) | instskip(NEXT) | instid1(VALU_DEP_2)
	v_cndmask_b32_e32 v20, v27, v20, vcc_lo
	v_clz_i32_u32_e32 v27, v26
	s_delay_alu instid0(VALU_DEP_2) | instskip(SKIP_1) | instid1(VALU_DEP_3)
	v_alignbit_b32 v13, v13, v20, 30
	v_alignbit_b32 v12, v20, v12, 30
	v_min_u32_e32 v27, 32, v27
	s_delay_alu instid0(VALU_DEP_3) | instskip(NEXT) | instid1(VALU_DEP_3)
	v_xor_b32_e32 v13, v13, v28
	v_dual_lshrrev_b32 v28, 29, v10 :: v_dual_bitop2_b32 v12, v12, v28 bitop3:0x14
	s_delay_alu instid0(VALU_DEP_3) | instskip(NEXT) | instid1(VALU_DEP_1)
	v_dual_sub_nc_u32 v20, 31, v27 :: v_dual_lshlrev_b32 v29, 23, v27
	v_alignbit_b32 v26, v26, v13, v20
	s_delay_alu instid0(VALU_DEP_3) | instskip(NEXT) | instid1(VALU_DEP_4)
	v_alignbit_b32 v12, v13, v12, v20
	v_lshlrev_b32_e32 v13, 31, v28
	s_delay_alu instid0(VALU_DEP_2) | instskip(NEXT) | instid1(VALU_DEP_2)
	v_alignbit_b32 v20, v26, v12, 9
	v_dual_lshrrev_b32 v26, 9, v26 :: v_dual_bitop2_b32 v28, 0.5, v13 bitop3:0x54
	v_or_b32_e32 v13, 0x33000000, v13
	s_delay_alu instid0(VALU_DEP_3) | instskip(NEXT) | instid1(VALU_DEP_3)
	v_clz_i32_u32_e32 v30, v20
	v_sub_nc_u32_e32 v28, v28, v29
	s_delay_alu instid0(VALU_DEP_2) | instskip(NEXT) | instid1(VALU_DEP_1)
	v_min_u32_e32 v29, 32, v30
	v_add_lshl_u32 v27, v29, v27, 23
	s_delay_alu instid0(VALU_DEP_1) | instskip(SKIP_1) | instid1(VALU_DEP_2)
	v_dual_sub_nc_u32 v13, v13, v27 :: v_dual_bitop2_b32 v26, v26, v28 bitop3:0x54
	v_not_b32_e32 v28, v29
	v_mul_f32_e32 v30, 0x3fc90fda, v26
	s_delay_alu instid0(VALU_DEP_2) | instskip(NEXT) | instid1(VALU_DEP_2)
	v_alignbit_b32 v12, v20, v12, v28
	v_fma_f32 v20, 0x3fc90fda, v26, -v30
	s_delay_alu instid0(VALU_DEP_2) | instskip(NEXT) | instid1(VALU_DEP_2)
	v_lshrrev_b32_e32 v12, 9, v12
	v_fmac_f32_e32 v20, 0x33a22168, v26
	s_delay_alu instid0(VALU_DEP_2) | instskip(NEXT) | instid1(VALU_DEP_1)
	v_or_b32_e32 v12, v13, v12
	v_fmac_f32_e32 v20, 0x3fc90fda, v12
	s_delay_alu instid0(VALU_DEP_1) | instskip(NEXT) | instid1(VALU_DEP_1)
	v_dual_lshrrev_b32 v12, 30, v10 :: v_dual_add_f32 v10, v30, v20
	v_add_nc_u32_e32 v12, v22, v12
	s_and_not1_saveexec_b32 s2, s36
	s_branch .LBB156_95
.LBB156_94:                             ;   in Loop: Header=BB156_7 Depth=1
	s_and_not1_saveexec_b32 s2, s36
.LBB156_95:                             ;   in Loop: Header=BB156_7 Depth=1
	v_mul_f32_e64 v10, 0x3f22f983, |v3|
	s_delay_alu instid0(VALU_DEP_1) | instskip(NEXT) | instid1(VALU_DEP_1)
	v_rndne_f32_e32 v12, v10
	v_fma_f32 v10, 0xbfc90fda, v12, |v3|
	s_delay_alu instid0(VALU_DEP_1) | instskip(NEXT) | instid1(VALU_DEP_1)
	v_fmac_f32_e32 v10, 0xb3a22168, v12
	v_fmac_f32_e32 v10, 0xa7c234c4, v12
	v_cvt_i32_f32_e32 v12, v12
; %bb.96:                               ;   in Loop: Header=BB156_7 Depth=1
	s_or_b32 exec_lo, exec_lo, s2
                                        ; implicit-def: $vgpr20
                                        ; implicit-def: $vgpr13
	s_and_saveexec_b32 s2, s35
	s_delay_alu instid0(SALU_CYCLE_1)
	s_xor_b32 s35, exec_lo, s2
	s_cbranch_execz .LBB156_98
; %bb.97:                               ;   in Loop: Header=BB156_7 Depth=1
	v_mul_u64_e32 v[26:27], s[18:19], v[16:17]
	v_mov_b32_e32 v29, v17
	v_cmp_lt_u32_e32 vcc_lo, 63, v11
	v_cndmask_b32_e64 v13, 0, 0xffffffc0, vcc_lo
	s_delay_alu instid0(VALU_DEP_4) | instskip(NEXT) | instid1(VALU_DEP_1)
	v_mov_b32_e32 v28, v27
	v_mad_nc_u64_u32 v[28:29], 0x3c439041, v16, v[28:29]
	s_delay_alu instid0(VALU_DEP_1) | instskip(NEXT) | instid1(VALU_DEP_1)
	v_dual_mov_b32 v31, v17 :: v_dual_mov_b32 v30, v29
	v_mad_nc_u64_u32 v[30:31], 0xdb629599, v16, v[30:31]
	s_delay_alu instid0(VALU_DEP_1) | instskip(NEXT) | instid1(VALU_DEP_2)
	v_dual_mov_b32 v33, v17 :: v_dual_mov_b32 v32, v31
	v_cndmask_b32_e32 v26, v30, v26, vcc_lo
	s_delay_alu instid0(VALU_DEP_2) | instskip(NEXT) | instid1(VALU_DEP_1)
	v_mad_nc_u64_u32 v[32:33], 0xf534ddc0, v16, v[32:33]
	v_dual_mov_b32 v35, v17 :: v_dual_mov_b32 v34, v33
	s_delay_alu instid0(VALU_DEP_1) | instskip(NEXT) | instid1(VALU_DEP_1)
	v_mad_nc_u64_u32 v[34:35], 0xfc2757d1, v16, v[34:35]
	v_dual_mov_b32 v37, v17 :: v_dual_mov_b32 v36, v35
	s_delay_alu instid0(VALU_DEP_2) | instskip(NEXT) | instid1(VALU_DEP_2)
	v_cndmask_b32_e32 v27, v34, v30, vcc_lo
	v_mad_nc_u64_u32 v[36:37], 0x4e441529, v16, v[36:37]
	v_add_nc_u32_e32 v11, v13, v11
	s_delay_alu instid0(VALU_DEP_2) | instskip(NEXT) | instid1(VALU_DEP_1)
	v_dual_mov_b32 v39, v17 :: v_dual_mov_b32 v38, v37
	v_mad_nc_u64_u32 v[38:39], 0xa2f9836e, v16, v[38:39]
	s_delay_alu instid0(VALU_DEP_4) | instskip(NEXT) | instid1(VALU_DEP_4)
	v_cndmask_b32_e32 v16, v36, v32, vcc_lo
	v_cmp_lt_u32_e64 s2, 31, v11
	s_delay_alu instid0(VALU_DEP_1) | instskip(NEXT) | instid1(VALU_DEP_1)
	v_cndmask_b32_e64 v13, 0, 0xffffffe0, s2
	v_dual_cndmask_b32 v20, v38, v34 :: v_dual_add_nc_u32 v11, v13, v11
	v_cndmask_b32_e32 v22, v39, v36, vcc_lo
	s_delay_alu instid0(VALU_DEP_2) | instskip(NEXT) | instid1(VALU_DEP_1)
	v_cmp_lt_u32_e64 s3, 31, v11
	v_cndmask_b32_e64 v13, 0, 0xffffffe0, s3
	s_delay_alu instid0(VALU_DEP_1) | instskip(SKIP_2) | instid1(VALU_DEP_3)
	v_dual_add_nc_u32 v11, v13, v11 :: v_dual_cndmask_b32 v13, v32, v28, vcc_lo
	v_cndmask_b32_e64 v28, v20, v16, s2
	v_dual_cndmask_b32 v20, v22, v20, s2 :: v_dual_cndmask_b32 v16, v16, v27, s2
	v_dual_sub_nc_u32 v22, 32, v11 :: v_dual_cndmask_b32 v27, v27, v13, s2
	v_cmp_eq_u32_e32 vcc_lo, 0, v11
	s_delay_alu instid0(VALU_DEP_3) | instskip(NEXT) | instid1(VALU_DEP_4)
	v_cndmask_b32_e64 v20, v20, v28, s3
	v_cndmask_b32_e64 v28, v28, v16, s3
	s_delay_alu instid0(VALU_DEP_1) | instskip(NEXT) | instid1(VALU_DEP_1)
	v_alignbit_b32 v29, v20, v28, v22
	v_dual_cndmask_b32 v16, v16, v27, s3 :: v_dual_cndmask_b32 v11, v29, v20, vcc_lo
	s_delay_alu instid0(VALU_DEP_1) | instskip(SKIP_1) | instid1(VALU_DEP_3)
	v_alignbit_b32 v30, v28, v16, v22
	v_cndmask_b32_e64 v13, v13, v26, s2
	v_bfe_u32 v26, v11, 29, 1
	s_delay_alu instid0(VALU_DEP_2) | instskip(NEXT) | instid1(VALU_DEP_2)
	v_dual_cndmask_b32 v20, v30, v28, vcc_lo :: v_dual_cndmask_b32 v13, v27, v13, s3
	v_sub_nc_u32_e32 v28, 0, v26
	s_delay_alu instid0(VALU_DEP_2) | instskip(NEXT) | instid1(VALU_DEP_3)
	v_alignbit_b32 v27, v11, v20, 30
	v_alignbit_b32 v22, v16, v13, v22
	s_delay_alu instid0(VALU_DEP_2) | instskip(NEXT) | instid1(VALU_DEP_2)
	v_xor_b32_e32 v27, v27, v28
	v_cndmask_b32_e32 v16, v22, v16, vcc_lo
	s_delay_alu instid0(VALU_DEP_2) | instskip(NEXT) | instid1(VALU_DEP_2)
	v_clz_i32_u32_e32 v22, v27
	v_alignbit_b32 v20, v20, v16, 30
	v_alignbit_b32 v13, v16, v13, 30
	s_delay_alu instid0(VALU_DEP_3) | instskip(NEXT) | instid1(VALU_DEP_3)
	v_min_u32_e32 v22, 32, v22
	v_xor_b32_e32 v16, v20, v28
	s_delay_alu instid0(VALU_DEP_3) | instskip(NEXT) | instid1(VALU_DEP_3)
	v_dual_lshrrev_b32 v28, 29, v11 :: v_dual_bitop2_b32 v13, v13, v28 bitop3:0x14
	v_dual_lshrrev_b32 v11, 30, v11 :: v_dual_sub_nc_u32 v20, 31, v22
	v_lshlrev_b32_e32 v29, 23, v22
	s_delay_alu instid0(VALU_DEP_2) | instskip(NEXT) | instid1(VALU_DEP_4)
	v_alignbit_b32 v27, v27, v16, v20
	v_alignbit_b32 v13, v16, v13, v20
	v_lshlrev_b32_e32 v16, 31, v28
	s_delay_alu instid0(VALU_DEP_2) | instskip(NEXT) | instid1(VALU_DEP_2)
	v_alignbit_b32 v20, v27, v13, 9
	v_dual_lshrrev_b32 v27, 9, v27 :: v_dual_bitop2_b32 v28, 0.5, v16 bitop3:0x54
	v_or_b32_e32 v16, 0x33000000, v16
	s_delay_alu instid0(VALU_DEP_3) | instskip(NEXT) | instid1(VALU_DEP_3)
	v_clz_i32_u32_e32 v30, v20
	v_sub_nc_u32_e32 v28, v28, v29
	s_delay_alu instid0(VALU_DEP_2) | instskip(NEXT) | instid1(VALU_DEP_1)
	v_min_u32_e32 v29, 32, v30
	v_add_lshl_u32 v22, v29, v22, 23
	s_delay_alu instid0(VALU_DEP_3) | instskip(SKIP_1) | instid1(VALU_DEP_3)
	v_or_b32_e32 v27, v27, v28
	v_not_b32_e32 v28, v29
	v_sub_nc_u32_e32 v16, v16, v22
	s_delay_alu instid0(VALU_DEP_2) | instskip(NEXT) | instid1(VALU_DEP_1)
	v_alignbit_b32 v13, v20, v13, v28
	v_dual_mul_f32 v30, 0x3fc90fda, v27 :: v_dual_lshrrev_b32 v13, 9, v13
	s_delay_alu instid0(VALU_DEP_1) | instskip(NEXT) | instid1(VALU_DEP_2)
	v_fma_f32 v20, 0x3fc90fda, v27, -v30
	v_or_b32_e32 v13, v16, v13
	s_delay_alu instid0(VALU_DEP_2) | instskip(NEXT) | instid1(VALU_DEP_1)
	v_fmac_f32_e32 v20, 0x33a22168, v27
	v_fmac_f32_e32 v20, 0x3fc90fda, v13
	s_delay_alu instid0(VALU_DEP_1)
	v_add_f32_e32 v13, v30, v20
	v_add_nc_u32_e32 v20, v26, v11
	s_and_not1_saveexec_b32 s2, s35
	s_cbranch_execnz .LBB156_99
	s_branch .LBB156_100
.LBB156_98:                             ;   in Loop: Header=BB156_7 Depth=1
	s_and_not1_saveexec_b32 s2, s35
.LBB156_99:                             ;   in Loop: Header=BB156_7 Depth=1
	v_mul_f32_e64 v11, 0x3f22f983, |v3|
	s_delay_alu instid0(VALU_DEP_1) | instskip(NEXT) | instid1(VALU_DEP_1)
	v_rndne_f32_e32 v11, v11
	v_fma_f32 v13, 0xbfc90fda, v11, |v3|
	v_cvt_i32_f32_e32 v20, v11
	s_delay_alu instid0(VALU_DEP_2) | instskip(NEXT) | instid1(VALU_DEP_1)
	v_fmac_f32_e32 v13, 0xb3a22168, v11
	v_fmac_f32_e32 v13, 0xa7c234c4, v11
.LBB156_100:                            ;   in Loop: Header=BB156_7 Depth=1
	s_or_b32 exec_lo, exec_lo, s2
	v_dual_mul_f32 v11, v10, v10 :: v_dual_bitop2_b32 v16, 1, v12 bitop3:0x40
	v_lshlrev_b32_e32 v12, 30, v12
	v_mul_f32_e64 v22, 0xbfb8aa3b, |v2|
	s_delay_alu instid0(VALU_DEP_3) | instskip(NEXT) | instid1(VALU_DEP_3)
	v_dual_fmaak_f32 v27, s29, v11, 0xbab64f3b :: v_dual_mul_f32 v28, v13, v13
	v_bitop3_b32 v1, v1, v12, 0x80000000 bitop3:0x78
	s_delay_alu instid0(VALU_DEP_3) | instskip(SKIP_1) | instid1(VALU_DEP_4)
	v_rndne_f32_e32 v12, v22
	v_fma_f32 v29, 0xbfb8aa3b, |v2|, -v22
	v_fmaak_f32 v27, v11, v27, 0x3d2aabf7
	v_fmaak_f32 v30, s28, v28, 0x3c0881c4
	v_cmp_eq_u32_e32 vcc_lo, 0, v16
	v_sub_f32_e32 v22, v22, v12
	v_fma_f32 v29, 0xb2a5705f, |v2|, v29
	v_fmaak_f32 v27, v11, v27, 0xbf000004
	v_fmaak_f32 v30, v28, v30, 0xbe2aaa9d
	;; [unrolled: 1-line block ×3, first 2 shown]
	v_cvt_i32_f32_e32 v12, v12
	s_delay_alu instid0(VALU_DEP_2) | instskip(NEXT) | instid1(VALU_DEP_1)
	v_fmaak_f32 v26, v11, v26, 0xbe2aaa9d
	v_dual_fmaak_f32 v31, s29, v28, 0xbab64f3b :: v_dual_mul_f32 v26, v11, v26
	v_fma_f32 v11, v11, v27, 1.0
	v_mul_f32_e32 v27, v28, v30
	s_delay_alu instid0(VALU_DEP_3) | instskip(NEXT) | instid1(VALU_DEP_4)
	v_fmac_f32_e32 v10, v10, v26
	v_fmaak_f32 v26, v28, v31, 0x3d2aabf7
	s_delay_alu instid0(VALU_DEP_3) | instskip(NEXT) | instid1(VALU_DEP_3)
	v_dual_add_f32 v22, v22, v29 :: v_dual_fmac_f32 v13, v13, v27
	v_cndmask_b32_e32 v10, v11, v10, vcc_lo
	s_delay_alu instid0(VALU_DEP_3) | instskip(NEXT) | instid1(VALU_DEP_3)
	v_fmaak_f32 v11, v28, v26, 0xbf000004
	v_exp_f32_e32 v16, v22
	s_delay_alu instid0(VALU_DEP_2) | instskip(NEXT) | instid1(VALU_DEP_2)
	v_xor3_b32 v1, v1, v10, v3
	v_fma_f32 v11, v28, v11, 1.0
	v_and_b32_e32 v22, 1, v20
	s_delay_alu instid0(TRANS32_DEP_1) | instskip(NEXT) | instid1(VALU_DEP_4)
	v_ldexp_f32 v10, v16, v12
	v_mul_f32_e32 v1, 4.0, v1
	s_delay_alu instid0(VALU_DEP_3) | instskip(SKIP_2) | instid1(VALU_DEP_1)
	v_cmp_eq_u32_e32 vcc_lo, 0, v22
	v_cndmask_b32_e64 v11, -v13, v11, vcc_lo
	v_cmp_nlt_f32_e64 vcc_lo, 0x42ce8ed0, |v2|
	v_dual_lshlrev_b32 v12, 30, v20 :: v_dual_cndmask_b32 v10, 0, v10, vcc_lo
	s_delay_alu instid0(VALU_DEP_1) | instskip(SKIP_1) | instid1(VALU_DEP_2)
	v_bitop3_b32 v11, v12, v11, 0x80000000 bitop3:0x6c
	v_cmp_ngt_f32_e64 vcc_lo, 0xc2b17218, |v2|
	v_dual_mul_f32 v1, v1, v11 :: v_dual_cndmask_b32 v12, 0x7f800000, v10
	v_bfi_b32 v10, 0x7fffffff, 1.0, v2
	s_delay_alu instid0(VALU_DEP_2) | instskip(NEXT) | instid1(VALU_DEP_1)
	v_mul_f32_e32 v1, v12, v1
	v_mul_f32_e32 v11, v12, v1
.LBB156_101:                            ;   in Loop: Header=BB156_7 Depth=1
	s_or_b32 exec_lo, exec_lo, s34
.LBB156_102:                            ;   in Loop: Header=BB156_7 Depth=1
	s_and_not1_saveexec_b32 s2, s33
; %bb.103:                              ;   in Loop: Header=BB156_7 Depth=1
	v_sub_f32_e32 v11, v3, v3
	s_delay_alu instid0(VALU_DEP_1)
	v_mov_b32_e32 v10, v11
; %bb.104:                              ;   in Loop: Header=BB156_7 Depth=1
	s_or_b32 exec_lo, exec_lo, s2
.LBB156_105:                            ;   in Loop: Header=BB156_7 Depth=1
	s_and_not1_saveexec_b32 s31, s31
	s_cbranch_execz .LBB156_121
; %bb.106:                              ;   in Loop: Header=BB156_7 Depth=1
	v_and_b32_e32 v1, 0x7fffff, v2
	s_mov_b32 s2, exec_lo
                                        ; implicit-def: $vgpr11
	s_delay_alu instid0(VALU_DEP_1)
	v_cmpx_ne_u32_e32 0, v1
	s_xor_b32 s2, exec_lo, s2
; %bb.107:                              ;   in Loop: Header=BB156_7 Depth=1
	v_mul_f32_e32 v1, v2, v3
	v_cmp_eq_f32_e32 vcc_lo, 0, v3
	s_delay_alu instid0(VALU_DEP_2)
	v_cndmask_b32_e32 v11, v1, v3, vcc_lo
; %bb.108:                              ;   in Loop: Header=BB156_7 Depth=1
	s_and_not1_saveexec_b32 s33, s2
	s_cbranch_execz .LBB156_120
; %bb.109:                              ;   in Loop: Header=BB156_7 Depth=1
	s_mov_b32 s34, exec_lo
	v_cmpx_neq_f32_e64 0x7f800000, |v3|
	s_cbranch_execz .LBB156_119
; %bb.110:                              ;   in Loop: Header=BB156_7 Depth=1
	v_and_b32_e32 v1, 0x7fffffff, v3
	v_cmp_ngt_f32_e64 s35, 0x48000000, |v3|
                                        ; implicit-def: $vgpr11
	s_delay_alu instid0(VALU_DEP_2) | instskip(SKIP_1) | instid1(VALU_DEP_2)
	v_lshrrev_b32_e32 v10, 23, v1
	v_and_or_b32 v16, v1, s24, 0x800000
	v_add_nc_u32_e32 v12, 0xffffff88, v10
                                        ; implicit-def: $vgpr10
	s_and_saveexec_b32 s2, s35
	s_delay_alu instid0(SALU_CYCLE_1)
	s_xor_b32 s36, exec_lo, s2
	s_cbranch_execz .LBB156_112
; %bb.111:                              ;   in Loop: Header=BB156_7 Depth=1
	v_mul_u64_e32 v[10:11], s[18:19], v[16:17]
	v_mov_b32_e32 v27, v17
	v_cmp_lt_u32_e32 vcc_lo, 63, v12
	s_delay_alu instid0(VALU_DEP_3) | instskip(SKIP_1) | instid1(VALU_DEP_2)
	v_dual_mov_b32 v37, v17 :: v_dual_mov_b32 v26, v11
	v_cndmask_b32_e64 v11, 0, 0xffffffc0, vcc_lo
	v_mad_nc_u64_u32 v[26:27], 0x3c439041, v16, v[26:27]
	s_delay_alu instid0(VALU_DEP_2) | instskip(NEXT) | instid1(VALU_DEP_1)
	v_dual_mov_b32 v29, v17 :: v_dual_add_nc_u32 v11, v11, v12
	v_cmp_lt_u32_e64 s2, 31, v11
	s_delay_alu instid0(VALU_DEP_3) | instskip(NEXT) | instid1(VALU_DEP_2)
	v_mov_b32_e32 v28, v27
	v_cndmask_b32_e64 v13, 0, 0xffffffe0, s2
	s_delay_alu instid0(VALU_DEP_2) | instskip(SKIP_1) | instid1(VALU_DEP_3)
	v_mad_nc_u64_u32 v[28:29], 0xdb629599, v16, v[28:29]
	v_mov_b32_e32 v31, v17
	v_add_nc_u32_e32 v11, v13, v11
	s_delay_alu instid0(VALU_DEP_1) | instskip(NEXT) | instid1(VALU_DEP_4)
	v_cmp_lt_u32_e64 s3, 31, v11
	v_dual_mov_b32 v30, v29 :: v_dual_cndmask_b32 v10, v28, v10, vcc_lo
	s_delay_alu instid0(VALU_DEP_2) | instskip(NEXT) | instid1(VALU_DEP_2)
	v_cndmask_b32_e64 v13, 0, 0xffffffe0, s3
	v_mad_nc_u64_u32 v[30:31], 0xf534ddc0, v16, v[30:31]
	v_mov_b32_e32 v33, v17
	s_delay_alu instid0(VALU_DEP_2) | instskip(NEXT) | instid1(VALU_DEP_3)
	v_dual_add_nc_u32 v11, v13, v11 :: v_dual_cndmask_b32 v13, v30, v26, vcc_lo
	v_mov_b32_e32 v32, v31
	s_delay_alu instid0(VALU_DEP_1) | instskip(NEXT) | instid1(VALU_DEP_1)
	v_mad_nc_u64_u32 v[32:33], 0xfc2757d1, v16, v[32:33]
	v_dual_mov_b32 v35, v17 :: v_dual_mov_b32 v34, v33
	s_delay_alu instid0(VALU_DEP_2) | instskip(NEXT) | instid1(VALU_DEP_2)
	v_cndmask_b32_e32 v29, v32, v28, vcc_lo
	v_mad_nc_u64_u32 v[34:35], 0x4e441529, v16, v[34:35]
	s_delay_alu instid0(VALU_DEP_1) | instskip(NEXT) | instid1(VALU_DEP_1)
	v_mov_b32_e32 v36, v35
	v_mad_nc_u64_u32 v[36:37], 0xa2f9836e, v16, v[36:37]
	s_delay_alu instid0(VALU_DEP_1) | instskip(NEXT) | instid1(VALU_DEP_2)
	v_dual_cndmask_b32 v20, v34, v30, vcc_lo :: v_dual_cndmask_b32 v22, v36, v32, vcc_lo
	v_cndmask_b32_e32 v27, v37, v34, vcc_lo
	v_cmp_eq_u32_e32 vcc_lo, 0, v11
	s_delay_alu instid0(VALU_DEP_2) | instskip(SKIP_1) | instid1(VALU_DEP_2)
	v_dual_cndmask_b32 v26, v22, v20, s2 :: v_dual_cndmask_b32 v22, v27, v22, s2
	v_dual_cndmask_b32 v20, v20, v29, s2 :: v_dual_sub_nc_u32 v27, 32, v11
	v_dual_cndmask_b32 v29, v29, v13, s2 :: v_dual_cndmask_b32 v22, v22, v26, s3
	s_delay_alu instid0(VALU_DEP_1) | instskip(SKIP_1) | instid1(VALU_DEP_2)
	v_dual_cndmask_b32 v26, v26, v20, s3 :: v_dual_cndmask_b32 v20, v20, v29, s3
	v_cndmask_b32_e64 v10, v13, v10, s2
	v_alignbit_b32 v30, v22, v26, v27
	s_delay_alu instid0(VALU_DEP_3) | instskip(NEXT) | instid1(VALU_DEP_2)
	v_alignbit_b32 v28, v26, v20, v27
	v_cndmask_b32_e32 v11, v30, v22, vcc_lo
	s_delay_alu instid0(VALU_DEP_4) | instskip(NEXT) | instid1(VALU_DEP_3)
	v_cndmask_b32_e64 v10, v29, v10, s3
	v_cndmask_b32_e32 v13, v28, v26, vcc_lo
	s_delay_alu instid0(VALU_DEP_3) | instskip(NEXT) | instid1(VALU_DEP_3)
	v_bfe_u32 v22, v11, 29, 1
	v_alignbit_b32 v27, v20, v10, v27
	s_delay_alu instid0(VALU_DEP_2) | instskip(NEXT) | instid1(VALU_DEP_4)
	v_sub_nc_u32_e32 v28, 0, v22
	v_alignbit_b32 v26, v11, v13, 30
	s_delay_alu instid0(VALU_DEP_3) | instskip(NEXT) | instid1(VALU_DEP_2)
	v_cndmask_b32_e32 v20, v27, v20, vcc_lo
	v_xor_b32_e32 v26, v26, v28
	s_delay_alu instid0(VALU_DEP_2) | instskip(SKIP_1) | instid1(VALU_DEP_3)
	v_alignbit_b32 v13, v13, v20, 30
	v_alignbit_b32 v10, v20, v10, 30
	v_clz_i32_u32_e32 v27, v26
	s_delay_alu instid0(VALU_DEP_2) | instskip(NEXT) | instid1(VALU_DEP_2)
	v_xor_b32_e32 v10, v10, v28
	v_min_u32_e32 v27, 32, v27
	v_dual_lshrrev_b32 v28, 29, v11 :: v_dual_bitop2_b32 v13, v13, v28 bitop3:0x14
	v_lshrrev_b32_e32 v11, 30, v11
	s_delay_alu instid0(VALU_DEP_3) | instskip(NEXT) | instid1(VALU_DEP_2)
	v_dual_sub_nc_u32 v20, 31, v27 :: v_dual_lshlrev_b32 v29, 23, v27
	v_add_nc_u32_e32 v11, v22, v11
	s_delay_alu instid0(VALU_DEP_2) | instskip(SKIP_2) | instid1(VALU_DEP_2)
	v_alignbit_b32 v26, v26, v13, v20
	v_alignbit_b32 v10, v13, v10, v20
	v_lshlrev_b32_e32 v13, 31, v28
	v_alignbit_b32 v20, v26, v10, 9
	s_delay_alu instid0(VALU_DEP_2) | instskip(SKIP_1) | instid1(VALU_DEP_3)
	v_dual_lshrrev_b32 v26, 9, v26 :: v_dual_bitop2_b32 v28, 0.5, v13 bitop3:0x54
	v_or_b32_e32 v13, 0x33000000, v13
	v_clz_i32_u32_e32 v30, v20
	s_delay_alu instid0(VALU_DEP_3) | instskip(NEXT) | instid1(VALU_DEP_2)
	v_sub_nc_u32_e32 v28, v28, v29
	v_min_u32_e32 v29, 32, v30
	s_delay_alu instid0(VALU_DEP_1) | instskip(NEXT) | instid1(VALU_DEP_1)
	v_add_lshl_u32 v27, v29, v27, 23
	v_dual_sub_nc_u32 v13, v13, v27 :: v_dual_bitop2_b32 v26, v26, v28 bitop3:0x54
	v_not_b32_e32 v28, v29
	s_delay_alu instid0(VALU_DEP_1) | instskip(NEXT) | instid1(VALU_DEP_1)
	v_alignbit_b32 v10, v20, v10, v28
	v_lshrrev_b32_e32 v10, 9, v10
	s_delay_alu instid0(VALU_DEP_4) | instskip(NEXT) | instid1(VALU_DEP_2)
	v_mul_f32_e32 v30, 0x3fc90fda, v26
	v_or_b32_e32 v10, v13, v10
	s_delay_alu instid0(VALU_DEP_2) | instskip(NEXT) | instid1(VALU_DEP_1)
	v_fma_f32 v20, 0x3fc90fda, v26, -v30
	v_fmac_f32_e32 v20, 0x33a22168, v26
	s_delay_alu instid0(VALU_DEP_1) | instskip(NEXT) | instid1(VALU_DEP_1)
	v_fmac_f32_e32 v20, 0x3fc90fda, v10
	v_add_f32_e32 v10, v30, v20
.LBB156_112:                            ;   in Loop: Header=BB156_7 Depth=1
	s_or_saveexec_b32 s2, s36
	v_mul_f32_e64 v13, 0x3f22f983, |v3|
	s_delay_alu instid0(VALU_DEP_1)
	v_rndne_f32_e32 v22, v13
	s_xor_b32 exec_lo, exec_lo, s2
; %bb.113:                              ;   in Loop: Header=BB156_7 Depth=1
	s_delay_alu instid0(VALU_DEP_1) | instskip(SKIP_1) | instid1(VALU_DEP_2)
	v_fma_f32 v10, 0xbfc90fda, v22, |v3|
	v_cvt_i32_f32_e32 v11, v22
	v_fmac_f32_e32 v10, 0xb3a22168, v22
	s_delay_alu instid0(VALU_DEP_1)
	v_fmac_f32_e32 v10, 0xa7c234c4, v22
; %bb.114:                              ;   in Loop: Header=BB156_7 Depth=1
	s_or_b32 exec_lo, exec_lo, s2
                                        ; implicit-def: $vgpr20
                                        ; implicit-def: $vgpr13
	s_and_saveexec_b32 s2, s35
	s_delay_alu instid0(SALU_CYCLE_1)
	s_xor_b32 s35, exec_lo, s2
	s_cbranch_execz .LBB156_116
; %bb.115:                              ;   in Loop: Header=BB156_7 Depth=1
	v_mul_u64_e32 v[26:27], s[18:19], v[16:17]
	v_mov_b32_e32 v29, v17
	v_cmp_lt_u32_e32 vcc_lo, 63, v12
	v_cndmask_b32_e64 v13, 0, 0xffffffc0, vcc_lo
	s_delay_alu instid0(VALU_DEP_4) | instskip(NEXT) | instid1(VALU_DEP_1)
	v_mov_b32_e32 v28, v27
	v_mad_nc_u64_u32 v[28:29], 0x3c439041, v16, v[28:29]
	s_delay_alu instid0(VALU_DEP_1) | instskip(NEXT) | instid1(VALU_DEP_1)
	v_dual_mov_b32 v31, v17 :: v_dual_mov_b32 v30, v29
	v_mad_nc_u64_u32 v[30:31], 0xdb629599, v16, v[30:31]
	s_delay_alu instid0(VALU_DEP_1) | instskip(NEXT) | instid1(VALU_DEP_2)
	v_dual_mov_b32 v33, v17 :: v_dual_mov_b32 v32, v31
	v_cndmask_b32_e32 v26, v30, v26, vcc_lo
	s_delay_alu instid0(VALU_DEP_2) | instskip(NEXT) | instid1(VALU_DEP_1)
	v_mad_nc_u64_u32 v[32:33], 0xf534ddc0, v16, v[32:33]
	v_dual_mov_b32 v35, v17 :: v_dual_mov_b32 v34, v33
	s_delay_alu instid0(VALU_DEP_1) | instskip(SKIP_1) | instid1(VALU_DEP_2)
	v_mad_nc_u64_u32 v[34:35], 0xfc2757d1, v16, v[34:35]
	v_mov_b32_e32 v37, v17
	v_dual_add_nc_u32 v20, v13, v12 :: v_dual_mov_b32 v36, v35
	s_delay_alu instid0(VALU_DEP_3) | instskip(NEXT) | instid1(VALU_DEP_2)
	v_cndmask_b32_e32 v27, v34, v30, vcc_lo
	v_mad_nc_u64_u32 v[36:37], 0x4e441529, v16, v[36:37]
	s_delay_alu instid0(VALU_DEP_1) | instskip(NEXT) | instid1(VALU_DEP_1)
	v_dual_mov_b32 v13, v17 :: v_dual_mov_b32 v12, v37
	v_mad_nc_u64_u32 v[12:13], 0xa2f9836e, v16, v[12:13]
	s_delay_alu instid0(VALU_DEP_1) | instskip(SKIP_1) | instid1(VALU_DEP_3)
	v_cndmask_b32_e32 v12, v12, v34, vcc_lo
	v_cmp_lt_u32_e64 s2, 31, v20
	v_cndmask_b32_e32 v13, v13, v36, vcc_lo
	s_delay_alu instid0(VALU_DEP_2) | instskip(NEXT) | instid1(VALU_DEP_1)
	v_cndmask_b32_e64 v22, 0, 0xffffffe0, s2
	v_add_nc_u32_e32 v16, v22, v20
	v_cndmask_b32_e32 v22, v36, v32, vcc_lo
	s_delay_alu instid0(VALU_DEP_2) | instskip(NEXT) | instid1(VALU_DEP_1)
	v_cmp_lt_u32_e64 s3, 31, v16
	v_cndmask_b32_e64 v20, 0, 0xffffffe0, s3
	s_delay_alu instid0(VALU_DEP_1) | instskip(SKIP_3) | instid1(VALU_DEP_4)
	v_add_nc_u32_e32 v16, v20, v16
	v_cndmask_b32_e32 v20, v32, v28, vcc_lo
	v_dual_cndmask_b32 v28, v12, v22, s2 :: v_dual_cndmask_b32 v12, v13, v12, s2
	v_cndmask_b32_e64 v13, v22, v27, s2
	v_cmp_eq_u32_e32 vcc_lo, 0, v16
	s_delay_alu instid0(VALU_DEP_4) | instskip(NEXT) | instid1(VALU_DEP_4)
	v_cndmask_b32_e64 v27, v27, v20, s2
	v_cndmask_b32_e64 v12, v12, v28, s3
	s_delay_alu instid0(VALU_DEP_2) | instskip(SKIP_1) | instid1(VALU_DEP_1)
	v_dual_cndmask_b32 v28, v28, v13, s3 :: v_dual_cndmask_b32 v13, v13, v27, s3
	v_dual_sub_nc_u32 v22, 32, v16 :: v_dual_cndmask_b32 v16, v20, v26, s2
	v_alignbit_b32 v30, v28, v13, v22
	s_delay_alu instid0(VALU_DEP_1) | instskip(SKIP_1) | instid1(VALU_DEP_1)
	v_cndmask_b32_e32 v20, v30, v28, vcc_lo
	v_alignbit_b32 v29, v12, v28, v22
	v_cndmask_b32_e32 v12, v29, v12, vcc_lo
	s_delay_alu instid0(VALU_DEP_1) | instskip(NEXT) | instid1(VALU_DEP_1)
	v_bfe_u32 v26, v12, 29, 1
	v_dual_sub_nc_u32 v28, 0, v26 :: v_dual_cndmask_b32 v16, v27, v16, s3
	s_delay_alu instid0(VALU_DEP_1) | instskip(NEXT) | instid1(VALU_DEP_1)
	v_alignbit_b32 v22, v13, v16, v22
	v_cndmask_b32_e32 v13, v22, v13, vcc_lo
	v_alignbit_b32 v27, v12, v20, 30
	s_delay_alu instid0(VALU_DEP_2) | instskip(NEXT) | instid1(VALU_DEP_2)
	v_alignbit_b32 v20, v20, v13, 30
	v_xor_b32_e32 v27, v27, v28
	v_alignbit_b32 v13, v13, v16, 30
	s_delay_alu instid0(VALU_DEP_2) | instskip(NEXT) | instid1(VALU_DEP_1)
	v_clz_i32_u32_e32 v22, v27
	v_min_u32_e32 v22, 32, v22
	s_delay_alu instid0(VALU_DEP_1) | instskip(NEXT) | instid1(VALU_DEP_4)
	v_dual_lshlrev_b32 v29, 23, v22 :: v_dual_bitop2_b32 v16, v20, v28 bitop3:0x14
	v_dual_sub_nc_u32 v20, 31, v22 :: v_dual_bitop2_b32 v13, v13, v28 bitop3:0x14
	s_delay_alu instid0(VALU_DEP_1) | instskip(SKIP_1) | instid1(VALU_DEP_3)
	v_alignbit_b32 v27, v27, v16, v20
	v_lshrrev_b32_e32 v28, 29, v12
	v_alignbit_b32 v13, v16, v13, v20
	v_lshrrev_b32_e32 v12, 30, v12
	s_delay_alu instid0(VALU_DEP_2) | instskip(NEXT) | instid1(VALU_DEP_4)
	v_alignbit_b32 v20, v27, v13, 9
	v_dual_lshrrev_b32 v27, 9, v27 :: v_dual_lshlrev_b32 v16, 31, v28
	s_delay_alu instid0(VALU_DEP_2) | instskip(NEXT) | instid1(VALU_DEP_2)
	v_clz_i32_u32_e32 v30, v20
	v_or_b32_e32 v28, 0.5, v16
	v_or_b32_e32 v16, 0x33000000, v16
	s_delay_alu instid0(VALU_DEP_2) | instskip(NEXT) | instid1(VALU_DEP_4)
	v_sub_nc_u32_e32 v28, v28, v29
	v_min_u32_e32 v29, 32, v30
	s_delay_alu instid0(VALU_DEP_2) | instskip(NEXT) | instid1(VALU_DEP_2)
	v_or_b32_e32 v27, v27, v28
	v_not_b32_e32 v28, v29
	v_add_lshl_u32 v22, v29, v22, 23
	s_delay_alu instid0(VALU_DEP_2) | instskip(NEXT) | instid1(VALU_DEP_2)
	v_alignbit_b32 v13, v20, v13, v28
	v_sub_nc_u32_e32 v16, v16, v22
                                        ; implicit-def: $vgpr22
	s_delay_alu instid0(VALU_DEP_2) | instskip(NEXT) | instid1(VALU_DEP_1)
	v_dual_mul_f32 v30, 0x3fc90fda, v27 :: v_dual_lshrrev_b32 v13, 9, v13
	v_or_b32_e32 v13, v16, v13
	s_delay_alu instid0(VALU_DEP_2) | instskip(NEXT) | instid1(VALU_DEP_1)
	v_fma_f32 v20, 0x3fc90fda, v27, -v30
	v_fmac_f32_e32 v20, 0x33a22168, v27
	s_delay_alu instid0(VALU_DEP_1) | instskip(NEXT) | instid1(VALU_DEP_1)
	v_fmac_f32_e32 v20, 0x3fc90fda, v13
	v_add_f32_e32 v13, v30, v20
	v_add_nc_u32_e32 v20, v26, v12
	s_and_not1_saveexec_b32 s2, s35
	s_cbranch_execnz .LBB156_117
	s_branch .LBB156_118
.LBB156_116:                            ;   in Loop: Header=BB156_7 Depth=1
	s_and_not1_saveexec_b32 s2, s35
.LBB156_117:                            ;   in Loop: Header=BB156_7 Depth=1
	v_fma_f32 v13, 0xbfc90fda, v22, |v3|
	v_cvt_i32_f32_e32 v20, v22
	s_delay_alu instid0(VALU_DEP_2) | instskip(NEXT) | instid1(VALU_DEP_1)
	v_fmac_f32_e32 v13, 0xb3a22168, v22
	v_fmac_f32_e32 v13, 0xa7c234c4, v22
.LBB156_118:                            ;   in Loop: Header=BB156_7 Depth=1
	s_or_b32 exec_lo, exec_lo, s2
	s_delay_alu instid0(VALU_DEP_1) | instskip(SKIP_1) | instid1(VALU_DEP_2)
	v_dual_mul_f32 v12, v10, v10 :: v_dual_mul_f32 v16, v13, v13
	v_dual_lshlrev_b32 v11, 30, v11 :: v_dual_bitop2_b32 v22, 1, v11 bitop3:0x40
	v_fmaak_f32 v26, s28, v12, 0x3c0881c4
	s_delay_alu instid0(VALU_DEP_3) | instskip(NEXT) | instid1(VALU_DEP_3)
	v_fmaak_f32 v28, s28, v16, 0x3c0881c4
	v_cmp_eq_u32_e32 vcc_lo, 0, v22
	s_delay_alu instid0(VALU_DEP_4) | instskip(NEXT) | instid1(VALU_DEP_3)
	v_bitop3_b32 v1, v1, v11, 0x80000000 bitop3:0x78
	v_fmaak_f32 v28, v16, v28, 0xbe2aaa9d
	s_delay_alu instid0(VALU_DEP_1) | instskip(NEXT) | instid1(VALU_DEP_1)
	v_mul_f32_e32 v28, v16, v28
	v_dual_fmaak_f32 v26, v12, v26, 0xbe2aaa9d :: v_dual_fmac_f32 v13, v13, v28
	s_delay_alu instid0(VALU_DEP_1) | instskip(SKIP_1) | instid1(VALU_DEP_2)
	v_dual_fmaak_f32 v27, s29, v12, 0xbab64f3b :: v_dual_mul_f32 v26, v12, v26
	v_fmaak_f32 v29, s29, v16, 0xbab64f3b
	v_dual_fmaak_f32 v27, v12, v27, 0x3d2aabf7 :: v_dual_fmac_f32 v10, v10, v26
	s_delay_alu instid0(VALU_DEP_2) | instskip(SKIP_1) | instid1(VALU_DEP_3)
	v_fmaak_f32 v29, v16, v29, 0x3d2aabf7
	v_dual_lshlrev_b32 v20, 30, v20 :: v_dual_bitop2_b32 v30, 1, v20 bitop3:0x40
	v_fmaak_f32 v27, v12, v27, 0xbf000004
	s_delay_alu instid0(VALU_DEP_3) | instskip(NEXT) | instid1(VALU_DEP_2)
	v_fmaak_f32 v29, v16, v29, 0xbf000004
	v_fma_f32 v12, v12, v27, 1.0
	s_delay_alu instid0(VALU_DEP_2) | instskip(NEXT) | instid1(VALU_DEP_2)
	v_fma_f32 v16, v16, v29, 1.0
	v_cndmask_b32_e32 v10, v12, v10, vcc_lo
	v_cmp_eq_u32_e32 vcc_lo, 0, v30
	s_delay_alu instid0(VALU_DEP_2) | instskip(NEXT) | instid1(VALU_DEP_4)
	v_xor3_b32 v1, v1, v10, v3
	v_cndmask_b32_e64 v11, -v13, v16, vcc_lo
	v_cmp_class_f32_e64 vcc_lo, v3, 0x1f8
	s_delay_alu instid0(VALU_DEP_2) | instskip(NEXT) | instid1(VALU_DEP_1)
	v_bitop3_b32 v10, v20, v11, 0x80000000 bitop3:0x6c
	v_mul_f32_e32 v1, v1, v10
	s_delay_alu instid0(VALU_DEP_1)
	v_cndmask_b32_e32 v3, 0x7fc00000, v1, vcc_lo
.LBB156_119:                            ;   in Loop: Header=BB156_7 Depth=1
	s_or_b32 exec_lo, exec_lo, s34
	v_add_nc_u32_e32 v2, -2.0, v2
	s_delay_alu instid0(VALU_DEP_2)
	v_bfi_b32 v11, 0x7fffffff, 0, v3
.LBB156_120:                            ;   in Loop: Header=BB156_7 Depth=1
	s_or_b32 exec_lo, exec_lo, s33
	s_delay_alu instid0(VALU_DEP_2)
	v_mov_b32_e32 v10, v2
.LBB156_121:                            ;   in Loop: Header=BB156_7 Depth=1
	s_or_b32 exec_lo, exec_lo, s31
	v_and_b32_e32 v20, 0x7fffffff, v4
	s_mov_b32 s2, exec_lo
	s_delay_alu instid0(VALU_DEP_1)
	v_cmpx_gt_u32_e32 0x7f800000, v20
	s_xor_b32 s31, exec_lo, s2
	s_cbranch_execz .LBB156_143
; %bb.122:                              ;   in Loop: Header=BB156_7 Depth=1
	v_cmp_class_f32_e64 s2, v5, 0x1f8
	s_and_saveexec_b32 s3, s2
	s_delay_alu instid0(SALU_CYCLE_1)
	s_xor_b32 s33, exec_lo, s3
	s_cbranch_execz .LBB156_140
; %bb.123:                              ;   in Loop: Header=BB156_7 Depth=1
	v_and_b32_e32 v1, 0x7fffffff, v5
	s_mov_b32 s2, exec_lo
	v_cmpx_gt_u32_e32 0x41300000, v20
	s_xor_b32 s34, exec_lo, s2
	s_cbranch_execz .LBB156_129
; %bb.124:                              ;   in Loop: Header=BB156_7 Depth=1
                                        ; implicit-def: $vgpr2
                                        ; implicit-def: $vgpr3
	s_mov_b32 s3, exec_lo
	v_cmpx_ngt_f32_e64 0x48000000, |v5|
	s_xor_b32 s35, exec_lo, s3
	s_cbranch_execz .LBB156_126
; %bb.125:                              ;   in Loop: Header=BB156_7 Depth=1
	v_and_or_b32 v16, v1, s24, 0x800000
	v_mov_b32_e32 v33, v17
	s_delay_alu instid0(VALU_DEP_2) | instskip(NEXT) | instid1(VALU_DEP_1)
	v_mul_u64_e32 v[2:3], s[18:19], v[16:17]
	v_dual_mov_b32 v13, v17 :: v_dual_mov_b32 v12, v3
	v_lshrrev_b32_e32 v3, 23, v1
	s_delay_alu instid0(VALU_DEP_2) | instskip(SKIP_1) | instid1(VALU_DEP_3)
	v_mad_nc_u64_u32 v[12:13], 0x3c439041, v16, v[12:13]
	v_mov_b32_e32 v27, v17
	v_add_nc_u32_e32 v3, 0xffffff88, v3
	s_delay_alu instid0(VALU_DEP_1) | instskip(NEXT) | instid1(VALU_DEP_4)
	v_cmp_lt_u32_e32 vcc_lo, 63, v3
	v_mov_b32_e32 v26, v13
	v_cndmask_b32_e64 v13, 0, 0xffffffc0, vcc_lo
	s_delay_alu instid0(VALU_DEP_2) | instskip(NEXT) | instid1(VALU_DEP_1)
	v_mad_nc_u64_u32 v[26:27], 0xdb629599, v16, v[26:27]
	v_dual_mov_b32 v29, v17 :: v_dual_mov_b32 v28, v27
	s_delay_alu instid0(VALU_DEP_2) | instskip(NEXT) | instid1(VALU_DEP_2)
	v_cndmask_b32_e32 v2, v26, v2, vcc_lo
	v_mad_nc_u64_u32 v[28:29], 0xf534ddc0, v16, v[28:29]
	s_delay_alu instid0(VALU_DEP_1) | instskip(NEXT) | instid1(VALU_DEP_2)
	v_dual_mov_b32 v31, v17 :: v_dual_mov_b32 v30, v29
	v_cndmask_b32_e32 v12, v28, v12, vcc_lo
	s_delay_alu instid0(VALU_DEP_2) | instskip(NEXT) | instid1(VALU_DEP_1)
	v_mad_nc_u64_u32 v[30:31], 0xfc2757d1, v16, v[30:31]
	v_dual_mov_b32 v32, v31 :: v_dual_cndmask_b32 v29, v30, v26
	s_delay_alu instid0(VALU_DEP_1) | instskip(SKIP_1) | instid1(VALU_DEP_2)
	v_mad_nc_u64_u32 v[32:33], 0x4e441529, v16, v[32:33]
	v_add_nc_u32_e32 v3, v13, v3
	v_dual_mov_b32 v35, v17 :: v_dual_mov_b32 v34, v33
	s_delay_alu instid0(VALU_DEP_1) | instskip(NEXT) | instid1(VALU_DEP_4)
	v_mad_nc_u64_u32 v[34:35], 0xa2f9836e, v16, v[34:35]
	v_cndmask_b32_e32 v16, v32, v28, vcc_lo
	s_delay_alu instid0(VALU_DEP_4) | instskip(NEXT) | instid1(VALU_DEP_1)
	v_cmp_lt_u32_e64 s2, 31, v3
	v_cndmask_b32_e64 v13, 0, 0xffffffe0, s2
	s_delay_alu instid0(VALU_DEP_1) | instskip(SKIP_1) | instid1(VALU_DEP_2)
	v_dual_cndmask_b32 v22, v34, v30 :: v_dual_add_nc_u32 v3, v13, v3
	v_cndmask_b32_e32 v27, v35, v32, vcc_lo
	v_cmp_lt_u32_e64 s3, 31, v3
	s_delay_alu instid0(VALU_DEP_1) | instskip(NEXT) | instid1(VALU_DEP_1)
	v_cndmask_b32_e64 v13, 0, 0xffffffe0, s3
	v_dual_add_nc_u32 v3, v13, v3 :: v_dual_cndmask_b32 v13, v22, v16, s2
	s_delay_alu instid0(VALU_DEP_4) | instskip(NEXT) | instid1(VALU_DEP_2)
	v_dual_cndmask_b32 v22, v27, v22, s2 :: v_dual_cndmask_b32 v16, v16, v29, s2
	v_dual_cndmask_b32 v28, v29, v12, s2 :: v_dual_sub_nc_u32 v27, 32, v3
	v_cmp_eq_u32_e32 vcc_lo, 0, v3
	s_delay_alu instid0(VALU_DEP_3) | instskip(NEXT) | instid1(VALU_DEP_1)
	v_dual_cndmask_b32 v22, v22, v13, s3 :: v_dual_cndmask_b32 v13, v13, v16, s3
	v_alignbit_b32 v29, v22, v13, v27
	s_delay_alu instid0(VALU_DEP_1) | instskip(NEXT) | instid1(VALU_DEP_1)
	v_dual_cndmask_b32 v16, v16, v28, s3 :: v_dual_cndmask_b32 v3, v29, v22, vcc_lo
	v_alignbit_b32 v26, v13, v16, v27
	s_delay_alu instid0(VALU_DEP_1) | instskip(NEXT) | instid1(VALU_DEP_3)
	v_dual_cndmask_b32 v2, v12, v2, s2 :: v_dual_cndmask_b32 v12, v26, v13, vcc_lo
	v_bfe_u32 v13, v3, 29, 1
	s_delay_alu instid0(VALU_DEP_2) | instskip(NEXT) | instid1(VALU_DEP_3)
	v_cndmask_b32_e64 v2, v28, v2, s3
	v_alignbit_b32 v22, v3, v12, 30
	s_delay_alu instid0(VALU_DEP_3) | instskip(NEXT) | instid1(VALU_DEP_3)
	v_sub_nc_u32_e32 v26, 0, v13
	v_alignbit_b32 v27, v16, v2, v27
	s_delay_alu instid0(VALU_DEP_1) | instskip(NEXT) | instid1(VALU_DEP_1)
	v_dual_cndmask_b32 v16, v27, v16, vcc_lo :: v_dual_bitop2_b32 v22, v22, v26 bitop3:0x14
	v_clz_i32_u32_e32 v27, v22
	s_delay_alu instid0(VALU_DEP_2) | instskip(SKIP_1) | instid1(VALU_DEP_3)
	v_alignbit_b32 v12, v12, v16, 30
	v_alignbit_b32 v2, v16, v2, 30
	v_min_u32_e32 v27, 32, v27
	s_delay_alu instid0(VALU_DEP_3) | instskip(NEXT) | instid1(VALU_DEP_3)
	v_xor_b32_e32 v12, v12, v26
	v_dual_lshrrev_b32 v26, 29, v3 :: v_dual_bitop2_b32 v2, v2, v26 bitop3:0x14
	s_delay_alu instid0(VALU_DEP_3) | instskip(NEXT) | instid1(VALU_DEP_1)
	v_dual_sub_nc_u32 v16, 31, v27 :: v_dual_lshlrev_b32 v28, 23, v27
	v_alignbit_b32 v22, v22, v12, v16
	s_delay_alu instid0(VALU_DEP_3) | instskip(NEXT) | instid1(VALU_DEP_4)
	v_alignbit_b32 v2, v12, v2, v16
	v_lshlrev_b32_e32 v12, 31, v26
	s_delay_alu instid0(VALU_DEP_2) | instskip(NEXT) | instid1(VALU_DEP_2)
	v_alignbit_b32 v16, v22, v2, 9
	v_dual_lshrrev_b32 v22, 9, v22 :: v_dual_bitop2_b32 v26, 0.5, v12 bitop3:0x54
	v_or_b32_e32 v12, 0x33000000, v12
	s_delay_alu instid0(VALU_DEP_3) | instskip(NEXT) | instid1(VALU_DEP_3)
	v_clz_i32_u32_e32 v29, v16
	v_sub_nc_u32_e32 v26, v26, v28
	s_delay_alu instid0(VALU_DEP_2) | instskip(NEXT) | instid1(VALU_DEP_1)
	v_min_u32_e32 v28, 32, v29
	v_add_lshl_u32 v27, v28, v27, 23
	s_delay_alu instid0(VALU_DEP_3) | instskip(SKIP_1) | instid1(VALU_DEP_2)
	v_or_b32_e32 v22, v22, v26
	v_not_b32_e32 v26, v28
	v_dual_mul_f32 v29, 0x3fc90fda, v22 :: v_dual_sub_nc_u32 v12, v12, v27
	s_delay_alu instid0(VALU_DEP_2) | instskip(NEXT) | instid1(VALU_DEP_2)
	v_alignbit_b32 v2, v16, v2, v26
	v_fma_f32 v16, 0x3fc90fda, v22, -v29
	s_delay_alu instid0(VALU_DEP_2) | instskip(NEXT) | instid1(VALU_DEP_2)
	v_lshrrev_b32_e32 v2, 9, v2
	v_fmac_f32_e32 v16, 0x33a22168, v22
	s_delay_alu instid0(VALU_DEP_2) | instskip(NEXT) | instid1(VALU_DEP_1)
	v_or_b32_e32 v2, v12, v2
	v_fmac_f32_e32 v16, 0x3fc90fda, v2
	s_delay_alu instid0(VALU_DEP_1) | instskip(NEXT) | instid1(VALU_DEP_1)
	v_dual_add_f32 v3, v29, v16 :: v_dual_lshrrev_b32 v2, 30, v3
	v_add_nc_u32_e32 v2, v13, v2
.LBB156_126:                            ;   in Loop: Header=BB156_7 Depth=1
	s_and_not1_saveexec_b32 s2, s35
; %bb.127:                              ;   in Loop: Header=BB156_7 Depth=1
	v_mul_f32_e64 v2, 0x3f22f983, |v5|
	s_delay_alu instid0(VALU_DEP_1) | instskip(NEXT) | instid1(VALU_DEP_1)
	v_rndne_f32_e32 v2, v2
	v_fma_f32 v3, 0xbfc90fda, v2, |v5|
	s_delay_alu instid0(VALU_DEP_1) | instskip(NEXT) | instid1(VALU_DEP_1)
	v_fmac_f32_e32 v3, 0xb3a22168, v2
	v_fmac_f32_e32 v3, 0xa7c234c4, v2
	v_cvt_i32_f32_e32 v2, v2
; %bb.128:                              ;   in Loop: Header=BB156_7 Depth=1
	s_or_b32 exec_lo, exec_lo, s2
	v_add_f32_e64 v16, 0xbf317218, |v4|
	v_cmp_nlt_f32_e64 vcc_lo, 0x42b2d4fc, |v4|
	v_cmp_gt_f32_e64 s2, 0x39800000, |v4|
	v_and_b32_e32 v2, 1, v2
	s_delay_alu instid0(VALU_DEP_4) | instskip(NEXT) | instid1(VALU_DEP_1)
	v_sub_f32_e64 v13, v16, |v4|
	v_sub_f32_e32 v12, v13, v16
	s_delay_alu instid0(VALU_DEP_1) | instskip(NEXT) | instid1(VALU_DEP_1)
	v_pk_add_f32 v[12:13], v[20:21], v[12:13]
	v_sub_f32_e32 v12, v12, v13
	s_delay_alu instid0(VALU_DEP_1) | instskip(NEXT) | instid1(VALU_DEP_1)
	v_add_f32_e32 v12, 0x3102e308, v12
	v_add_f32_e32 v13, v16, v12
	s_delay_alu instid0(VALU_DEP_1) | instskip(NEXT) | instid1(VALU_DEP_1)
	v_sub_f32_e32 v16, v16, v13
	v_add_f32_e32 v16, v12, v16
	v_mul_f32_e32 v20, 0x3fb8aa3b, v13
	s_delay_alu instid0(VALU_DEP_1) | instskip(NEXT) | instid1(VALU_DEP_1)
	v_rndne_f32_e32 v20, v20
	v_fmac_f32_e32 v13, 0xbf317200, v20
	v_mul_f32_e32 v22, 0x35bfbc00, v20
	s_delay_alu instid0(VALU_DEP_2) | instskip(NEXT) | instid1(VALU_DEP_1)
	v_dual_mul_f32 v27, 0x2ea39ef3, v20 :: v_dual_add_f32 v26, v16, v13
	v_sub_f32_e32 v12, v26, v22
	s_delay_alu instid0(VALU_DEP_1) | instskip(NEXT) | instid1(VALU_DEP_1)
	v_dual_sub_f32 v13, v13, v26 :: v_dual_sub_f32 v26, v26, v12
	v_dual_add_f32 v13, v16, v13 :: v_dual_sub_f32 v16, v26, v22
	s_delay_alu instid0(VALU_DEP_1) | instskip(NEXT) | instid1(VALU_DEP_1)
	v_add_f32_e32 v16, v13, v16
	v_add_f32_e32 v13, v12, v16
	s_delay_alu instid0(VALU_DEP_1) | instskip(NEXT) | instid1(VALU_DEP_1)
	v_mov_b32_e32 v26, v13
	v_pk_add_f32 v[28:29], v[12:13], v[26:27] neg_lo:[0,1] neg_hi:[0,1]
	s_delay_alu instid0(VALU_DEP_1) | instskip(NEXT) | instid1(VALU_DEP_1)
	v_dual_sub_f32 v12, v13, v29 :: v_dual_add_f32 v13, v16, v28
	v_sub_f32_e32 v12, v12, v27
	s_delay_alu instid0(VALU_DEP_1) | instskip(NEXT) | instid1(VALU_DEP_1)
	v_add_f32_e32 v12, v13, v12
	v_add_f32_e32 v13, v29, v12
	s_delay_alu instid0(VALU_DEP_1) | instskip(SKIP_1) | instid1(VALU_DEP_1)
	v_mul_f32_e32 v22, v13, v13
	v_sub_f32_e32 v16, v29, v13
	v_add_f32_e32 v12, v12, v16
	s_delay_alu instid0(VALU_DEP_1) | instskip(NEXT) | instid1(VALU_DEP_4)
	v_dual_add_f32 v27, v12, v12 :: v_dual_fmaak_f32 v16, s27, v13, 0x3c091de6
	v_fma_f32 v26, v13, v13, -v22
	s_delay_alu instid0(VALU_DEP_2) | instskip(NEXT) | instid1(VALU_DEP_1)
	v_fmaak_f32 v16, v13, v16, 0x3d2aadcc
	v_fmaak_f32 v16, v13, v16, 0x3e2aaa47
	s_delay_alu instid0(VALU_DEP_1) | instskip(NEXT) | instid1(VALU_DEP_4)
	v_fmaak_f32 v16, v13, v16, 0x3efffffc
	v_fmac_f32_e32 v26, v13, v27
	s_delay_alu instid0(VALU_DEP_1) | instskip(NEXT) | instid1(VALU_DEP_1)
	v_add_f32_e32 v27, v22, v26
	v_dual_sub_f32 v22, v27, v22 :: v_dual_mul_f32 v28, v16, v27
	s_delay_alu instid0(VALU_DEP_1) | instskip(NEXT) | instid1(VALU_DEP_1)
	v_dual_sub_f32 v22, v26, v22 :: v_dual_fma_f32 v26, v27, v16, -v28
	v_fmac_f32_e32 v26, v22, v16
	s_delay_alu instid0(VALU_DEP_1) | instskip(NEXT) | instid1(VALU_DEP_1)
	v_add_f32_e32 v16, v28, v26
	v_add_f32_e32 v22, v13, v16
	v_sub_f32_e32 v27, v16, v28
	v_mov_b64_e32 v[28:29], s[20:21]
	s_delay_alu instid0(VALU_DEP_3) | instskip(NEXT) | instid1(VALU_DEP_1)
	v_sub_f32_e32 v13, v22, v13
	v_dual_sub_f32 v26, v26, v27 :: v_dual_sub_f32 v13, v16, v13
	s_delay_alu instid0(VALU_DEP_1) | instskip(NEXT) | instid1(VALU_DEP_1)
	v_add_f32_e32 v12, v12, v26
	v_add_f32_e32 v12, v12, v13
	s_delay_alu instid0(VALU_DEP_1) | instskip(NEXT) | instid1(VALU_DEP_1)
	v_add_f32_e32 v26, v22, v12
	v_dual_add_f32 v27, 1.0, v26 :: v_dual_mov_b32 v13, v26
	s_delay_alu instid0(VALU_DEP_1) | instskip(SKIP_1) | instid1(VALU_DEP_2)
	v_pk_add_f32 v[28:29], v[26:27], v[28:29]
	v_pk_add_f32 v[30:31], v[26:27], v[22:23] neg_lo:[0,1] neg_hi:[0,1]
	v_mov_b32_e32 v31, v29
	s_delay_alu instid0(VALU_DEP_1) | instskip(NEXT) | instid1(VALU_DEP_1)
	v_pk_add_f32 v[12:13], v[12:13], v[30:31] neg_lo:[0,1] neg_hi:[0,1]
	v_add_f32_e32 v12, v12, v13
	v_cvt_i32_f32_e32 v13, v20
	s_delay_alu instid0(VALU_DEP_2) | instskip(NEXT) | instid1(VALU_DEP_1)
	v_add_f32_e32 v16, v27, v12
	v_ldexp_f32 v20, v16, v13
	v_sub_f32_e32 v16, v16, v27
	s_delay_alu instid0(VALU_DEP_2) | instskip(NEXT) | instid1(VALU_DEP_1)
	v_rcp_f32_e32 v22, v20
	v_sub_f32_e32 v12, v12, v16
	s_delay_alu instid0(VALU_DEP_1) | instskip(NEXT) | instid1(TRANS32_DEP_1)
	v_ldexp_f32 v12, v12, v13
	v_mul_f32_e32 v16, v20, v22
	s_delay_alu instid0(VALU_DEP_1) | instskip(NEXT) | instid1(VALU_DEP_1)
	v_fma_f32 v13, v22, v20, -v16
	v_fmac_f32_e32 v13, v22, v12
	s_delay_alu instid0(VALU_DEP_1) | instskip(NEXT) | instid1(VALU_DEP_1)
	v_add_f32_e32 v26, v16, v13
	v_sub_f32_e32 v16, v26, v16
	s_delay_alu instid0(VALU_DEP_1) | instskip(NEXT) | instid1(VALU_DEP_1)
	v_dual_sub_f32 v13, v16, v13 :: v_dual_sub_f32 v27, 1.0, v26
	v_sub_f32_e32 v28, 1.0, v27
	s_delay_alu instid0(VALU_DEP_1) | instskip(NEXT) | instid1(VALU_DEP_1)
	v_sub_f32_e32 v16, v28, v26
	v_add_f32_e32 v13, v13, v16
	s_delay_alu instid0(VALU_DEP_1) | instskip(NEXT) | instid1(VALU_DEP_1)
	v_add_f32_e32 v16, v27, v13
	v_mul_f32_e32 v26, v22, v16
	s_delay_alu instid0(VALU_DEP_1) | instskip(NEXT) | instid1(VALU_DEP_1)
	v_dual_mul_f32 v28, v20, v26 :: v_dual_sub_f32 v27, v27, v16
	v_fma_f32 v29, v26, v20, -v28
	s_delay_alu instid0(VALU_DEP_1) | instskip(NEXT) | instid1(VALU_DEP_1)
	v_fmac_f32_e32 v29, v26, v12
	v_add_f32_e32 v30, v28, v29
	s_delay_alu instid0(VALU_DEP_1) | instskip(NEXT) | instid1(VALU_DEP_1)
	v_sub_f32_e32 v31, v16, v30
	v_sub_f32_e32 v16, v16, v31
	v_dual_add_f32 v13, v13, v27 :: v_dual_sub_f32 v27, v30, v28
	s_delay_alu instid0(VALU_DEP_1) | instskip(NEXT) | instid1(VALU_DEP_1)
	v_dual_sub_f32 v16, v16, v30 :: v_dual_sub_f32 v27, v27, v29
	v_dual_add_f32 v13, v13, v16 :: v_dual_add_f32 v16, v22, v26
	s_delay_alu instid0(VALU_DEP_1) | instskip(NEXT) | instid1(VALU_DEP_1)
	v_dual_add_f32 v13, v27, v13 :: v_dual_sub_f32 v27, v16, v22
	v_dual_add_f32 v13, v31, v13 :: v_dual_sub_f32 v26, v26, v27
	s_delay_alu instid0(VALU_DEP_1) | instskip(NEXT) | instid1(VALU_DEP_1)
	v_mul_f32_e32 v13, v22, v13
	v_add_f32_e32 v13, v26, v13
	s_delay_alu instid0(VALU_DEP_1) | instskip(NEXT) | instid1(VALU_DEP_1)
	v_add_f32_e32 v22, v16, v13
	v_ldexp_f32 v26, v22, -2
	s_delay_alu instid0(VALU_DEP_1) | instskip(NEXT) | instid1(VALU_DEP_1)
	v_dual_sub_f32 v16, v22, v16 :: v_dual_sub_f32 v27, v20, v26
	v_dual_sub_f32 v20, v20, v27 :: v_dual_sub_f32 v13, v13, v16
	s_delay_alu instid0(VALU_DEP_1) | instskip(NEXT) | instid1(VALU_DEP_2)
	v_sub_f32_e32 v16, v20, v26
	v_ldexp_f32 v13, v13, -2
	s_delay_alu instid0(VALU_DEP_2) | instskip(NEXT) | instid1(VALU_DEP_1)
	v_add_f32_e32 v12, v12, v16
	v_dual_sub_f32 v12, v12, v13 :: v_dual_mul_f32 v13, v3, v3
	s_delay_alu instid0(VALU_DEP_1) | instskip(NEXT) | instid1(VALU_DEP_2)
	v_add_f32_e32 v12, v27, v12
	v_fmaak_f32 v16, s26, v13, 0xbf039337
	s_delay_alu instid0(VALU_DEP_2) | instskip(NEXT) | instid1(VALU_DEP_2)
	v_cndmask_b32_e32 v12, 0x7f800000, v12, vcc_lo
	v_fmaak_f32 v16, v13, v16, 0x3f93f425
	s_delay_alu instid0(VALU_DEP_2) | instskip(NEXT) | instid1(VALU_DEP_1)
	v_cndmask_b32_e64 v12, v12, |v4|, s2
	v_bfi_b32 v4, 0x7fffffff, v12, v4
	s_delay_alu instid0(VALU_DEP_3) | instskip(SKIP_2) | instid1(VALU_DEP_3)
	v_rcp_f32_e32 v12, v16
	v_nop
	v_fmaak_f32 v16, s25, v13, 0x3ec54587
	v_fma_f32 v20, v4, v4, 1.0
	s_delay_alu instid0(TRANS32_DEP_1) | instid1(VALU_DEP_2)
	v_mul_f32_e32 v12, v16, v12
	s_delay_alu instid0(VALU_DEP_2) | instskip(SKIP_1) | instid1(VALU_DEP_3)
	v_mul_f32_e32 v16, 0x4f800000, v20
	v_cmp_gt_f32_e32 vcc_lo, 0xf800000, v20
	v_mul_f32_e32 v12, v13, v12
	s_delay_alu instid0(VALU_DEP_3) | instskip(NEXT) | instid1(VALU_DEP_2)
	v_cndmask_b32_e32 v13, v20, v16, vcc_lo
	v_fma_f32 v16, v12, v3, v3
	s_delay_alu instid0(VALU_DEP_1) | instskip(NEXT) | instid1(VALU_DEP_1)
	v_sub_f32_e32 v26, v16, v3
	v_fma_f32 v3, v12, v3, -v26
	v_rcp_f32_e32 v22, v16
	v_nop
	s_delay_alu instid0(TRANS32_DEP_1) | instskip(NEXT) | instid1(VALU_DEP_1)
	v_fma_f32 v12, v16, -v22, 1.0
	v_fma_f32 v3, v3, -v22, v12
	v_sqrt_f32_e32 v20, v13
	v_nop
	s_delay_alu instid0(TRANS32_DEP_1) | instskip(NEXT) | instid1(VALU_DEP_1)
	v_dual_fma_f32 v3, v3, -v22, -v22 :: v_dual_add_nc_u32 v27, -1, v20
	v_dual_add_nc_u32 v26, 1, v20 :: v_dual_fma_f32 v28, -v27, v20, v13
	s_delay_alu instid0(VALU_DEP_1) | instskip(NEXT) | instid1(VALU_DEP_2)
	v_fma_f32 v12, -v26, v20, v13
	v_cmp_ge_f32_e64 s2, 0, v28
	s_delay_alu instid0(VALU_DEP_1) | instskip(NEXT) | instid1(VALU_DEP_3)
	v_cndmask_b32_e64 v20, v20, v27, s2
	v_cmp_lt_f32_e64 s2, 0, v12
	s_delay_alu instid0(VALU_DEP_1) | instskip(SKIP_1) | instid1(VALU_DEP_1)
	v_cndmask_b32_e64 v12, v20, v26, s2
	v_cmp_eq_u32_e64 s2, 0, v2
	v_cndmask_b32_e64 v2, v3, v16, s2
	s_delay_alu instid0(VALU_DEP_3) | instskip(NEXT) | instid1(VALU_DEP_2)
	v_mul_f32_e32 v3, 0x37800000, v12
	v_xor3_b32 v1, v1, v2, v5
	s_delay_alu instid0(VALU_DEP_2) | instskip(SKIP_1) | instid1(VALU_DEP_3)
	v_cndmask_b32_e32 v2, v12, v3, vcc_lo
	v_cmp_class_f32_e64 vcc_lo, v13, 0x260
	v_fma_f32 v3, v1, v1, 1.0
	s_delay_alu instid0(VALU_DEP_1) | instskip(NEXT) | instid1(VALU_DEP_1)
	v_dual_cndmask_b32 v2, v2, v13 :: v_dual_mul_f32 v5, v4, v3
	v_mul_f32_e32 v2, v2, v3
	s_delay_alu instid0(VALU_DEP_2) | instskip(NEXT) | instid1(VALU_DEP_2)
	v_fma_f32 v3, v4, v5, 1.0
	v_mul_f32_e32 v2, v4, v2
	s_delay_alu instid0(VALU_DEP_2) | instskip(NEXT) | instid1(VALU_DEP_2)
	v_div_scale_f32 v5, null, v3, v3, v1
	v_div_scale_f32 v4, null, v3, v3, v2
	v_div_scale_f32 v22, vcc_lo, v2, v3, v2
	s_delay_alu instid0(VALU_DEP_3) | instskip(NEXT) | instid1(VALU_DEP_2)
	v_rcp_f32_e32 v13, v5
	v_rcp_f32_e32 v12, v4
	s_delay_alu instid0(TRANS32_DEP_2) | instskip(NEXT) | instid1(TRANS32_DEP_1)
	v_fma_f32 v20, -v5, v13, 1.0
	v_fma_f32 v16, -v4, v12, 1.0
	s_delay_alu instid0(VALU_DEP_2) | instskip(NEXT) | instid1(VALU_DEP_2)
	v_fmac_f32_e32 v13, v20, v13
	v_fmac_f32_e32 v12, v16, v12
	v_div_scale_f32 v16, s2, v1, v3, v1
	s_delay_alu instid0(VALU_DEP_2) | instskip(NEXT) | instid1(VALU_DEP_1)
	v_mul_f32_e32 v20, v22, v12
	v_fma_f32 v27, -v4, v20, v22
	s_delay_alu instid0(VALU_DEP_1) | instskip(NEXT) | instid1(VALU_DEP_1)
	v_dual_mul_f32 v26, v16, v13 :: v_dual_fmac_f32 v20, v27, v12
	v_dual_fma_f32 v28, -v5, v26, v16 :: v_dual_fma_f32 v4, -v4, v20, v22
	s_delay_alu instid0(VALU_DEP_1) | instskip(NEXT) | instid1(VALU_DEP_2)
	v_fmac_f32_e32 v26, v28, v13
	v_div_fmas_f32 v4, v4, v12, v20
	s_delay_alu instid0(VALU_DEP_2) | instskip(SKIP_1) | instid1(VALU_DEP_2)
	v_fma_f32 v5, -v5, v26, v16
	s_mov_b32 vcc_lo, s2
	v_div_fixup_f32 v12, v4, v3, v2
	s_delay_alu instid0(VALU_DEP_2) | instskip(NEXT) | instid1(VALU_DEP_1)
	v_div_fmas_f32 v5, v5, v13, v26
	v_div_fixup_f32 v13, v5, v3, v1
                                        ; implicit-def: $vgpr2_vgpr3_vgpr4_vgpr5
                                        ; implicit-def: $vgpr1
.LBB156_129:                            ;   in Loop: Header=BB156_7 Depth=1
	s_and_not1_saveexec_b32 s34, s34
	s_cbranch_execz .LBB156_139
; %bb.130:                              ;   in Loop: Header=BB156_7 Depth=1
	v_lshrrev_b32_e32 v2, 23, v1
	v_cmp_ngt_f32_e64 s35, 0x48000000, |v5|
	v_and_or_b32 v16, v1, s24, 0x800000
                                        ; implicit-def: $vgpr12
	s_delay_alu instid0(VALU_DEP_3) | instskip(SKIP_1) | instid1(SALU_CYCLE_1)
	v_add_nc_u32_e32 v3, 0xffffff88, v2
                                        ; implicit-def: $vgpr2
	s_and_saveexec_b32 s2, s35
	s_xor_b32 s36, exec_lo, s2
	s_cbranch_execz .LBB156_132
; %bb.131:                              ;   in Loop: Header=BB156_7 Depth=1
	v_mul_u64_e32 v[12:13], s[18:19], v[16:17]
	v_mov_b32_e32 v27, v17
	v_cmp_lt_u32_e32 vcc_lo, 63, v3
	v_mov_b32_e32 v37, v17
	v_cndmask_b32_e64 v2, 0, 0xffffffc0, vcc_lo
	s_delay_alu instid0(VALU_DEP_1) | instskip(NEXT) | instid1(VALU_DEP_1)
	v_add_nc_u32_e32 v2, v2, v3
	v_cmp_lt_u32_e64 s2, 31, v2
	v_mov_b32_e32 v26, v13
	s_delay_alu instid0(VALU_DEP_2) | instskip(NEXT) | instid1(VALU_DEP_2)
	v_cndmask_b32_e64 v13, 0, 0xffffffe0, s2
	v_mad_nc_u64_u32 v[26:27], 0x3c439041, v16, v[26:27]
	v_mov_b32_e32 v29, v17
	s_delay_alu instid0(VALU_DEP_3) | instskip(NEXT) | instid1(VALU_DEP_1)
	v_add_nc_u32_e32 v2, v13, v2
	v_cmp_lt_u32_e64 s3, 31, v2
	s_delay_alu instid0(VALU_DEP_4) | instskip(NEXT) | instid1(VALU_DEP_2)
	v_mov_b32_e32 v28, v27
	v_cndmask_b32_e64 v13, 0, 0xffffffe0, s3
	s_delay_alu instid0(VALU_DEP_2) | instskip(NEXT) | instid1(VALU_DEP_1)
	v_mad_nc_u64_u32 v[28:29], 0xdb629599, v16, v[28:29]
	v_dual_mov_b32 v31, v17 :: v_dual_mov_b32 v30, v29
	s_delay_alu instid0(VALU_DEP_1) | instskip(NEXT) | instid1(VALU_DEP_1)
	v_mad_nc_u64_u32 v[30:31], 0xf534ddc0, v16, v[30:31]
	v_dual_mov_b32 v33, v17 :: v_dual_mov_b32 v32, v31
	s_delay_alu instid0(VALU_DEP_1) | instskip(NEXT) | instid1(VALU_DEP_1)
	v_mad_nc_u64_u32 v[32:33], 0xfc2757d1, v16, v[32:33]
	v_dual_mov_b32 v35, v17 :: v_dual_mov_b32 v34, v33
	s_delay_alu instid0(VALU_DEP_2) | instskip(NEXT) | instid1(VALU_DEP_2)
	v_cndmask_b32_e32 v29, v32, v28, vcc_lo
	v_mad_nc_u64_u32 v[34:35], 0x4e441529, v16, v[34:35]
	s_delay_alu instid0(VALU_DEP_1) | instskip(NEXT) | instid1(VALU_DEP_1)
	v_mov_b32_e32 v36, v35
	v_mad_nc_u64_u32 v[36:37], 0xa2f9836e, v16, v[36:37]
	s_delay_alu instid0(VALU_DEP_1) | instskip(NEXT) | instid1(VALU_DEP_2)
	v_dual_cndmask_b32 v20, v34, v30, vcc_lo :: v_dual_cndmask_b32 v22, v36, v32, vcc_lo
	v_cndmask_b32_e32 v27, v37, v34, vcc_lo
	v_add_nc_u32_e32 v2, v13, v2
	v_cndmask_b32_e32 v13, v30, v26, vcc_lo
	s_delay_alu instid0(VALU_DEP_3) | instskip(NEXT) | instid1(VALU_DEP_3)
	v_dual_cndmask_b32 v26, v22, v20, s2 :: v_dual_cndmask_b32 v22, v27, v22, s2
	v_dual_cndmask_b32 v20, v20, v29, s2 :: v_dual_sub_nc_u32 v27, 32, v2
	s_delay_alu instid0(VALU_DEP_2) | instskip(NEXT) | instid1(VALU_DEP_1)
	v_dual_cndmask_b32 v29, v29, v13, s2 :: v_dual_cndmask_b32 v22, v22, v26, s3
	v_dual_cndmask_b32 v26, v26, v20, s3 :: v_dual_cndmask_b32 v20, v20, v29, s3
	s_delay_alu instid0(VALU_DEP_1) | instskip(SKIP_2) | instid1(VALU_DEP_4)
	v_alignbit_b32 v30, v22, v26, v27
	v_cndmask_b32_e32 v12, v28, v12, vcc_lo
	v_cmp_eq_u32_e32 vcc_lo, 0, v2
	v_alignbit_b32 v28, v26, v20, v27
	s_delay_alu instid0(VALU_DEP_3) | instskip(NEXT) | instid1(VALU_DEP_2)
	v_dual_cndmask_b32 v2, v30, v22, vcc_lo :: v_dual_cndmask_b32 v12, v13, v12, s2
	v_cndmask_b32_e32 v13, v28, v26, vcc_lo
	s_delay_alu instid0(VALU_DEP_2) | instskip(NEXT) | instid1(VALU_DEP_3)
	v_bfe_u32 v22, v2, 29, 1
	v_cndmask_b32_e64 v12, v29, v12, s3
	s_delay_alu instid0(VALU_DEP_3) | instskip(NEXT) | instid1(VALU_DEP_3)
	v_alignbit_b32 v26, v2, v13, 30
	v_sub_nc_u32_e32 v28, 0, v22
	s_delay_alu instid0(VALU_DEP_3) | instskip(NEXT) | instid1(VALU_DEP_2)
	v_alignbit_b32 v27, v20, v12, v27
	v_xor_b32_e32 v26, v26, v28
	s_delay_alu instid0(VALU_DEP_2) | instskip(NEXT) | instid1(VALU_DEP_2)
	v_cndmask_b32_e32 v20, v27, v20, vcc_lo
	v_clz_i32_u32_e32 v27, v26
	s_delay_alu instid0(VALU_DEP_2) | instskip(SKIP_1) | instid1(VALU_DEP_3)
	v_alignbit_b32 v13, v13, v20, 30
	v_alignbit_b32 v12, v20, v12, 30
	v_min_u32_e32 v27, 32, v27
	s_delay_alu instid0(VALU_DEP_3) | instskip(NEXT) | instid1(VALU_DEP_3)
	v_xor_b32_e32 v13, v13, v28
	v_dual_lshrrev_b32 v28, 29, v2 :: v_dual_bitop2_b32 v12, v12, v28 bitop3:0x14
	s_delay_alu instid0(VALU_DEP_3) | instskip(NEXT) | instid1(VALU_DEP_1)
	v_dual_sub_nc_u32 v20, 31, v27 :: v_dual_lshlrev_b32 v29, 23, v27
	v_alignbit_b32 v26, v26, v13, v20
	s_delay_alu instid0(VALU_DEP_3) | instskip(NEXT) | instid1(VALU_DEP_4)
	v_alignbit_b32 v12, v13, v12, v20
	v_lshlrev_b32_e32 v13, 31, v28
	s_delay_alu instid0(VALU_DEP_2) | instskip(NEXT) | instid1(VALU_DEP_2)
	v_alignbit_b32 v20, v26, v12, 9
	v_dual_lshrrev_b32 v26, 9, v26 :: v_dual_bitop2_b32 v28, 0.5, v13 bitop3:0x54
	v_or_b32_e32 v13, 0x33000000, v13
	s_delay_alu instid0(VALU_DEP_3) | instskip(NEXT) | instid1(VALU_DEP_3)
	v_clz_i32_u32_e32 v30, v20
	v_sub_nc_u32_e32 v28, v28, v29
	s_delay_alu instid0(VALU_DEP_2) | instskip(NEXT) | instid1(VALU_DEP_1)
	v_min_u32_e32 v29, 32, v30
	v_add_lshl_u32 v27, v29, v27, 23
	s_delay_alu instid0(VALU_DEP_1) | instskip(SKIP_1) | instid1(VALU_DEP_2)
	v_dual_sub_nc_u32 v13, v13, v27 :: v_dual_bitop2_b32 v26, v26, v28 bitop3:0x54
	v_not_b32_e32 v28, v29
	v_mul_f32_e32 v30, 0x3fc90fda, v26
	s_delay_alu instid0(VALU_DEP_2) | instskip(NEXT) | instid1(VALU_DEP_2)
	v_alignbit_b32 v12, v20, v12, v28
	v_fma_f32 v20, 0x3fc90fda, v26, -v30
	s_delay_alu instid0(VALU_DEP_2) | instskip(NEXT) | instid1(VALU_DEP_2)
	v_lshrrev_b32_e32 v12, 9, v12
	v_fmac_f32_e32 v20, 0x33a22168, v26
	s_delay_alu instid0(VALU_DEP_2) | instskip(NEXT) | instid1(VALU_DEP_1)
	v_or_b32_e32 v12, v13, v12
	v_fmac_f32_e32 v20, 0x3fc90fda, v12
	s_delay_alu instid0(VALU_DEP_1) | instskip(NEXT) | instid1(VALU_DEP_1)
	v_dual_lshrrev_b32 v12, 30, v2 :: v_dual_add_f32 v2, v30, v20
	v_add_nc_u32_e32 v12, v22, v12
	s_and_not1_saveexec_b32 s2, s36
	s_branch .LBB156_133
.LBB156_132:                            ;   in Loop: Header=BB156_7 Depth=1
	s_and_not1_saveexec_b32 s2, s36
.LBB156_133:                            ;   in Loop: Header=BB156_7 Depth=1
	v_mul_f32_e64 v2, 0x3f22f983, |v5|
	s_delay_alu instid0(VALU_DEP_1) | instskip(NEXT) | instid1(VALU_DEP_1)
	v_rndne_f32_e32 v12, v2
	v_fma_f32 v2, 0xbfc90fda, v12, |v5|
	s_delay_alu instid0(VALU_DEP_1) | instskip(NEXT) | instid1(VALU_DEP_1)
	v_fmac_f32_e32 v2, 0xb3a22168, v12
	v_fmac_f32_e32 v2, 0xa7c234c4, v12
	v_cvt_i32_f32_e32 v12, v12
; %bb.134:                              ;   in Loop: Header=BB156_7 Depth=1
	s_or_b32 exec_lo, exec_lo, s2
                                        ; implicit-def: $vgpr20
                                        ; implicit-def: $vgpr13
	s_and_saveexec_b32 s2, s35
	s_delay_alu instid0(SALU_CYCLE_1)
	s_xor_b32 s35, exec_lo, s2
	s_cbranch_execz .LBB156_136
; %bb.135:                              ;   in Loop: Header=BB156_7 Depth=1
	v_mul_u64_e32 v[26:27], s[18:19], v[16:17]
	v_mov_b32_e32 v29, v17
	v_cmp_lt_u32_e32 vcc_lo, 63, v3
	v_cndmask_b32_e64 v13, 0, 0xffffffc0, vcc_lo
	s_delay_alu instid0(VALU_DEP_4) | instskip(NEXT) | instid1(VALU_DEP_1)
	v_mov_b32_e32 v28, v27
	v_mad_nc_u64_u32 v[28:29], 0x3c439041, v16, v[28:29]
	s_delay_alu instid0(VALU_DEP_1) | instskip(NEXT) | instid1(VALU_DEP_1)
	v_dual_mov_b32 v31, v17 :: v_dual_mov_b32 v30, v29
	v_mad_nc_u64_u32 v[30:31], 0xdb629599, v16, v[30:31]
	s_delay_alu instid0(VALU_DEP_1) | instskip(NEXT) | instid1(VALU_DEP_2)
	v_dual_mov_b32 v33, v17 :: v_dual_mov_b32 v32, v31
	v_cndmask_b32_e32 v26, v30, v26, vcc_lo
	s_delay_alu instid0(VALU_DEP_2) | instskip(NEXT) | instid1(VALU_DEP_1)
	v_mad_nc_u64_u32 v[32:33], 0xf534ddc0, v16, v[32:33]
	v_dual_mov_b32 v35, v17 :: v_dual_mov_b32 v34, v33
	s_delay_alu instid0(VALU_DEP_1) | instskip(NEXT) | instid1(VALU_DEP_1)
	v_mad_nc_u64_u32 v[34:35], 0xfc2757d1, v16, v[34:35]
	v_dual_mov_b32 v37, v17 :: v_dual_mov_b32 v36, v35
	s_delay_alu instid0(VALU_DEP_2) | instskip(NEXT) | instid1(VALU_DEP_2)
	v_cndmask_b32_e32 v27, v34, v30, vcc_lo
	v_mad_nc_u64_u32 v[36:37], 0x4e441529, v16, v[36:37]
	v_add_nc_u32_e32 v3, v13, v3
	s_delay_alu instid0(VALU_DEP_2) | instskip(NEXT) | instid1(VALU_DEP_1)
	v_dual_mov_b32 v39, v17 :: v_dual_mov_b32 v38, v37
	v_mad_nc_u64_u32 v[38:39], 0xa2f9836e, v16, v[38:39]
	s_delay_alu instid0(VALU_DEP_4) | instskip(NEXT) | instid1(VALU_DEP_4)
	v_cndmask_b32_e32 v16, v36, v32, vcc_lo
	v_cmp_lt_u32_e64 s2, 31, v3
	s_delay_alu instid0(VALU_DEP_1) | instskip(NEXT) | instid1(VALU_DEP_1)
	v_cndmask_b32_e64 v13, 0, 0xffffffe0, s2
	v_dual_cndmask_b32 v20, v38, v34 :: v_dual_add_nc_u32 v3, v13, v3
	v_cndmask_b32_e32 v22, v39, v36, vcc_lo
	s_delay_alu instid0(VALU_DEP_2) | instskip(NEXT) | instid1(VALU_DEP_1)
	v_cmp_lt_u32_e64 s3, 31, v3
	v_cndmask_b32_e64 v13, 0, 0xffffffe0, s3
	s_delay_alu instid0(VALU_DEP_1) | instskip(SKIP_2) | instid1(VALU_DEP_3)
	v_dual_add_nc_u32 v3, v13, v3 :: v_dual_cndmask_b32 v13, v32, v28, vcc_lo
	v_cndmask_b32_e64 v28, v20, v16, s2
	v_dual_cndmask_b32 v20, v22, v20, s2 :: v_dual_cndmask_b32 v16, v16, v27, s2
	v_dual_sub_nc_u32 v22, 32, v3 :: v_dual_cndmask_b32 v27, v27, v13, s2
	v_cmp_eq_u32_e32 vcc_lo, 0, v3
	s_delay_alu instid0(VALU_DEP_3) | instskip(NEXT) | instid1(VALU_DEP_4)
	v_cndmask_b32_e64 v20, v20, v28, s3
	v_cndmask_b32_e64 v28, v28, v16, s3
	s_delay_alu instid0(VALU_DEP_1) | instskip(NEXT) | instid1(VALU_DEP_1)
	v_alignbit_b32 v29, v20, v28, v22
	v_dual_cndmask_b32 v16, v16, v27, s3 :: v_dual_cndmask_b32 v3, v29, v20, vcc_lo
	s_delay_alu instid0(VALU_DEP_1) | instskip(SKIP_1) | instid1(VALU_DEP_3)
	v_alignbit_b32 v30, v28, v16, v22
	v_cndmask_b32_e64 v13, v13, v26, s2
	v_bfe_u32 v26, v3, 29, 1
	s_delay_alu instid0(VALU_DEP_2) | instskip(NEXT) | instid1(VALU_DEP_2)
	v_dual_cndmask_b32 v20, v30, v28, vcc_lo :: v_dual_cndmask_b32 v13, v27, v13, s3
	v_sub_nc_u32_e32 v28, 0, v26
	s_delay_alu instid0(VALU_DEP_2) | instskip(NEXT) | instid1(VALU_DEP_3)
	v_alignbit_b32 v27, v3, v20, 30
	v_alignbit_b32 v22, v16, v13, v22
	s_delay_alu instid0(VALU_DEP_2) | instskip(NEXT) | instid1(VALU_DEP_2)
	v_xor_b32_e32 v27, v27, v28
	v_cndmask_b32_e32 v16, v22, v16, vcc_lo
	s_delay_alu instid0(VALU_DEP_2) | instskip(NEXT) | instid1(VALU_DEP_2)
	v_clz_i32_u32_e32 v22, v27
	v_alignbit_b32 v20, v20, v16, 30
	v_alignbit_b32 v13, v16, v13, 30
	s_delay_alu instid0(VALU_DEP_3) | instskip(NEXT) | instid1(VALU_DEP_3)
	v_min_u32_e32 v22, 32, v22
	v_xor_b32_e32 v16, v20, v28
	s_delay_alu instid0(VALU_DEP_3) | instskip(NEXT) | instid1(VALU_DEP_3)
	v_dual_lshrrev_b32 v28, 29, v3 :: v_dual_bitop2_b32 v13, v13, v28 bitop3:0x14
	v_dual_lshrrev_b32 v3, 30, v3 :: v_dual_sub_nc_u32 v20, 31, v22
	v_lshlrev_b32_e32 v29, 23, v22
	s_delay_alu instid0(VALU_DEP_2) | instskip(NEXT) | instid1(VALU_DEP_4)
	v_alignbit_b32 v27, v27, v16, v20
	v_alignbit_b32 v13, v16, v13, v20
	v_lshlrev_b32_e32 v16, 31, v28
	s_delay_alu instid0(VALU_DEP_2) | instskip(NEXT) | instid1(VALU_DEP_2)
	v_alignbit_b32 v20, v27, v13, 9
	v_dual_lshrrev_b32 v27, 9, v27 :: v_dual_bitop2_b32 v28, 0.5, v16 bitop3:0x54
	v_or_b32_e32 v16, 0x33000000, v16
	s_delay_alu instid0(VALU_DEP_3) | instskip(NEXT) | instid1(VALU_DEP_3)
	v_clz_i32_u32_e32 v30, v20
	v_sub_nc_u32_e32 v28, v28, v29
	s_delay_alu instid0(VALU_DEP_2) | instskip(NEXT) | instid1(VALU_DEP_1)
	v_min_u32_e32 v29, 32, v30
	v_add_lshl_u32 v22, v29, v22, 23
	s_delay_alu instid0(VALU_DEP_3) | instskip(SKIP_1) | instid1(VALU_DEP_3)
	v_or_b32_e32 v27, v27, v28
	v_not_b32_e32 v28, v29
	v_sub_nc_u32_e32 v16, v16, v22
	s_delay_alu instid0(VALU_DEP_2) | instskip(NEXT) | instid1(VALU_DEP_1)
	v_alignbit_b32 v13, v20, v13, v28
	v_dual_mul_f32 v30, 0x3fc90fda, v27 :: v_dual_lshrrev_b32 v13, 9, v13
	s_delay_alu instid0(VALU_DEP_1) | instskip(NEXT) | instid1(VALU_DEP_2)
	v_fma_f32 v20, 0x3fc90fda, v27, -v30
	v_or_b32_e32 v13, v16, v13
	s_delay_alu instid0(VALU_DEP_2) | instskip(NEXT) | instid1(VALU_DEP_1)
	v_fmac_f32_e32 v20, 0x33a22168, v27
	v_fmac_f32_e32 v20, 0x3fc90fda, v13
	s_delay_alu instid0(VALU_DEP_1)
	v_add_f32_e32 v13, v30, v20
	v_add_nc_u32_e32 v20, v26, v3
	s_and_not1_saveexec_b32 s2, s35
	s_cbranch_execnz .LBB156_137
	s_branch .LBB156_138
.LBB156_136:                            ;   in Loop: Header=BB156_7 Depth=1
	s_and_not1_saveexec_b32 s2, s35
.LBB156_137:                            ;   in Loop: Header=BB156_7 Depth=1
	v_mul_f32_e64 v3, 0x3f22f983, |v5|
	s_delay_alu instid0(VALU_DEP_1) | instskip(NEXT) | instid1(VALU_DEP_1)
	v_rndne_f32_e32 v3, v3
	v_fma_f32 v13, 0xbfc90fda, v3, |v5|
	v_cvt_i32_f32_e32 v20, v3
	s_delay_alu instid0(VALU_DEP_2) | instskip(NEXT) | instid1(VALU_DEP_1)
	v_fmac_f32_e32 v13, 0xb3a22168, v3
	v_fmac_f32_e32 v13, 0xa7c234c4, v3
.LBB156_138:                            ;   in Loop: Header=BB156_7 Depth=1
	s_or_b32 exec_lo, exec_lo, s2
	v_dual_mul_f32 v3, v2, v2 :: v_dual_bitop2_b32 v16, 1, v12 bitop3:0x40
	v_lshlrev_b32_e32 v12, 30, v12
	v_mul_f32_e64 v22, 0xbfb8aa3b, |v4|
	s_delay_alu instid0(VALU_DEP_3) | instskip(NEXT) | instid1(VALU_DEP_3)
	v_dual_fmaak_f32 v27, s29, v3, 0xbab64f3b :: v_dual_mul_f32 v28, v13, v13
	v_bitop3_b32 v1, v1, v12, 0x80000000 bitop3:0x78
	s_delay_alu instid0(VALU_DEP_3) | instskip(SKIP_1) | instid1(VALU_DEP_4)
	v_rndne_f32_e32 v12, v22
	v_fma_f32 v29, 0xbfb8aa3b, |v4|, -v22
	v_fmaak_f32 v27, v3, v27, 0x3d2aabf7
	v_fmaak_f32 v30, s28, v28, 0x3c0881c4
	v_cmp_eq_u32_e32 vcc_lo, 0, v16
	v_sub_f32_e32 v22, v22, v12
	v_fma_f32 v29, 0xb2a5705f, |v4|, v29
	v_fmaak_f32 v27, v3, v27, 0xbf000004
	v_fmaak_f32 v30, v28, v30, 0xbe2aaa9d
	;; [unrolled: 1-line block ×3, first 2 shown]
	v_cvt_i32_f32_e32 v12, v12
	s_delay_alu instid0(VALU_DEP_2) | instskip(NEXT) | instid1(VALU_DEP_1)
	v_fmaak_f32 v26, v3, v26, 0xbe2aaa9d
	v_dual_fmaak_f32 v31, s29, v28, 0xbab64f3b :: v_dual_mul_f32 v26, v3, v26
	v_fma_f32 v3, v3, v27, 1.0
	s_delay_alu instid0(VALU_DEP_2) | instskip(NEXT) | instid1(VALU_DEP_3)
	v_fmac_f32_e32 v2, v2, v26
	v_fmaak_f32 v26, v28, v31, 0x3d2aabf7
	s_delay_alu instid0(VALU_DEP_2) | instskip(NEXT) | instid1(VALU_DEP_2)
	v_dual_add_f32 v22, v22, v29 :: v_dual_cndmask_b32 v2, v3, v2, vcc_lo
	v_fmaak_f32 v3, v28, v26, 0xbf000004
	s_delay_alu instid0(VALU_DEP_2) | instskip(NEXT) | instid1(VALU_DEP_2)
	v_exp_f32_e32 v16, v22
	v_xor3_b32 v1, v1, v2, v5
	v_dual_lshlrev_b32 v5, 30, v20 :: v_dual_mul_f32 v27, v28, v30
	s_delay_alu instid0(VALU_DEP_3) | instskip(NEXT) | instid1(TRANS32_DEP_1)
	v_fma_f32 v3, v28, v3, 1.0
	v_ldexp_f32 v2, v16, v12
	s_delay_alu instid0(VALU_DEP_4) | instskip(SKIP_2) | instid1(VALU_DEP_1)
	v_mul_f32_e32 v1, 4.0, v1
	v_bfi_b32 v12, 0x7fffffff, 1.0, v4
	v_dual_fmac_f32 v13, v13, v27 :: v_dual_bitop2_b32 v22, 1, v20 bitop3:0x40
	v_cmp_eq_u32_e32 vcc_lo, 0, v22
	s_delay_alu instid0(VALU_DEP_2) | instskip(SKIP_1) | instid1(VALU_DEP_2)
	v_cndmask_b32_e64 v3, -v13, v3, vcc_lo
	v_cmp_nlt_f32_e64 vcc_lo, 0x42ce8ed0, |v4|
	v_bitop3_b32 v3, v5, v3, 0x80000000 bitop3:0x6c
	v_cndmask_b32_e32 v2, 0, v2, vcc_lo
	v_cmp_ngt_f32_e64 vcc_lo, 0xc2b17218, |v4|
	s_delay_alu instid0(VALU_DEP_2) | instskip(NEXT) | instid1(VALU_DEP_1)
	v_dual_mul_f32 v1, v1, v3 :: v_dual_cndmask_b32 v2, 0x7f800000, v2
	v_mul_f32_e32 v1, v2, v1
	s_delay_alu instid0(VALU_DEP_1)
	v_mul_f32_e32 v13, v2, v1
.LBB156_139:                            ;   in Loop: Header=BB156_7 Depth=1
	s_or_b32 exec_lo, exec_lo, s34
                                        ; implicit-def: $vgpr2_vgpr3_vgpr4_vgpr5
.LBB156_140:                            ;   in Loop: Header=BB156_7 Depth=1
	s_and_not1_saveexec_b32 s2, s33
; %bb.141:                              ;   in Loop: Header=BB156_7 Depth=1
	v_sub_f32_e32 v13, v5, v5
	s_delay_alu instid0(VALU_DEP_1)
	v_mov_b32_e32 v12, v13
; %bb.142:                              ;   in Loop: Header=BB156_7 Depth=1
	s_or_b32 exec_lo, exec_lo, s2
                                        ; implicit-def: $vgpr4
.LBB156_143:                            ;   in Loop: Header=BB156_7 Depth=1
	s_and_not1_saveexec_b32 s31, s31
	s_cbranch_execz .LBB156_6
; %bb.144:                              ;   in Loop: Header=BB156_7 Depth=1
	v_and_b32_e32 v1, 0x7fffff, v4
	s_mov_b32 s2, exec_lo
	s_delay_alu instid0(VALU_DEP_1)
	v_cmpx_ne_u32_e32 0, v1
	s_xor_b32 s2, exec_lo, s2
; %bb.145:                              ;   in Loop: Header=BB156_7 Depth=1
	v_mul_f32_e32 v1, v4, v5
	v_cmp_eq_f32_e32 vcc_lo, 0, v5
	s_delay_alu instid0(VALU_DEP_2)
	v_cndmask_b32_e32 v13, v1, v5, vcc_lo
; %bb.146:                              ;   in Loop: Header=BB156_7 Depth=1
	s_and_not1_saveexec_b32 s33, s2
	s_cbranch_execz .LBB156_5
; %bb.147:                              ;   in Loop: Header=BB156_7 Depth=1
	s_mov_b32 s34, exec_lo
	v_cmpx_neq_f32_e64 0x7f800000, |v5|
	s_cbranch_execz .LBB156_4
; %bb.148:                              ;   in Loop: Header=BB156_7 Depth=1
	v_and_b32_e32 v1, 0x7fffffff, v5
	v_cmp_ngt_f32_e64 s35, 0x48000000, |v5|
                                        ; implicit-def: $vgpr3
	s_delay_alu instid0(VALU_DEP_2) | instskip(SKIP_1) | instid1(VALU_DEP_2)
	v_lshrrev_b32_e32 v2, 23, v1
	v_and_or_b32 v16, v1, s24, 0x800000
	v_add_nc_u32_e32 v12, 0xffffff88, v2
                                        ; implicit-def: $vgpr2
	s_and_saveexec_b32 s2, s35
	s_delay_alu instid0(SALU_CYCLE_1)
	s_xor_b32 s36, exec_lo, s2
	s_cbranch_execz .LBB156_150
; %bb.149:                              ;   in Loop: Header=BB156_7 Depth=1
	v_mul_u64_e32 v[2:3], s[18:19], v[16:17]
	v_mov_b32_e32 v27, v17
	v_cmp_lt_u32_e32 vcc_lo, 63, v12
	s_delay_alu instid0(VALU_DEP_3) | instskip(SKIP_1) | instid1(VALU_DEP_2)
	v_dual_mov_b32 v37, v17 :: v_dual_mov_b32 v26, v3
	v_cndmask_b32_e64 v3, 0, 0xffffffc0, vcc_lo
	v_mad_nc_u64_u32 v[26:27], 0x3c439041, v16, v[26:27]
	s_delay_alu instid0(VALU_DEP_2) | instskip(NEXT) | instid1(VALU_DEP_1)
	v_dual_mov_b32 v29, v17 :: v_dual_add_nc_u32 v3, v3, v12
	v_cmp_lt_u32_e64 s2, 31, v3
	s_delay_alu instid0(VALU_DEP_3) | instskip(NEXT) | instid1(VALU_DEP_2)
	v_mov_b32_e32 v28, v27
	v_cndmask_b32_e64 v13, 0, 0xffffffe0, s2
	s_delay_alu instid0(VALU_DEP_2) | instskip(SKIP_1) | instid1(VALU_DEP_3)
	v_mad_nc_u64_u32 v[28:29], 0xdb629599, v16, v[28:29]
	v_mov_b32_e32 v31, v17
	v_add_nc_u32_e32 v3, v13, v3
	s_delay_alu instid0(VALU_DEP_1) | instskip(NEXT) | instid1(VALU_DEP_4)
	v_cmp_lt_u32_e64 s3, 31, v3
	v_dual_mov_b32 v30, v29 :: v_dual_cndmask_b32 v2, v28, v2, vcc_lo
	s_delay_alu instid0(VALU_DEP_2) | instskip(NEXT) | instid1(VALU_DEP_2)
	v_cndmask_b32_e64 v13, 0, 0xffffffe0, s3
	v_mad_nc_u64_u32 v[30:31], 0xf534ddc0, v16, v[30:31]
	v_mov_b32_e32 v33, v17
	s_delay_alu instid0(VALU_DEP_2) | instskip(NEXT) | instid1(VALU_DEP_3)
	v_dual_add_nc_u32 v3, v13, v3 :: v_dual_cndmask_b32 v13, v30, v26, vcc_lo
	v_mov_b32_e32 v32, v31
	s_delay_alu instid0(VALU_DEP_1) | instskip(NEXT) | instid1(VALU_DEP_1)
	v_mad_nc_u64_u32 v[32:33], 0xfc2757d1, v16, v[32:33]
	v_dual_mov_b32 v35, v17 :: v_dual_mov_b32 v34, v33
	s_delay_alu instid0(VALU_DEP_2) | instskip(NEXT) | instid1(VALU_DEP_2)
	v_cndmask_b32_e32 v29, v32, v28, vcc_lo
	v_mad_nc_u64_u32 v[34:35], 0x4e441529, v16, v[34:35]
	s_delay_alu instid0(VALU_DEP_1) | instskip(NEXT) | instid1(VALU_DEP_1)
	v_mov_b32_e32 v36, v35
	v_mad_nc_u64_u32 v[36:37], 0xa2f9836e, v16, v[36:37]
	s_delay_alu instid0(VALU_DEP_1) | instskip(NEXT) | instid1(VALU_DEP_2)
	v_dual_cndmask_b32 v20, v34, v30, vcc_lo :: v_dual_cndmask_b32 v22, v36, v32, vcc_lo
	v_cndmask_b32_e32 v27, v37, v34, vcc_lo
	v_cmp_eq_u32_e32 vcc_lo, 0, v3
	s_delay_alu instid0(VALU_DEP_2) | instskip(SKIP_1) | instid1(VALU_DEP_2)
	v_dual_cndmask_b32 v26, v22, v20, s2 :: v_dual_cndmask_b32 v22, v27, v22, s2
	v_dual_cndmask_b32 v20, v20, v29, s2 :: v_dual_sub_nc_u32 v27, 32, v3
	v_dual_cndmask_b32 v29, v29, v13, s2 :: v_dual_cndmask_b32 v22, v22, v26, s3
	s_delay_alu instid0(VALU_DEP_1) | instskip(SKIP_1) | instid1(VALU_DEP_2)
	v_dual_cndmask_b32 v26, v26, v20, s3 :: v_dual_cndmask_b32 v20, v20, v29, s3
	v_cndmask_b32_e64 v2, v13, v2, s2
	v_alignbit_b32 v30, v22, v26, v27
	s_delay_alu instid0(VALU_DEP_3) | instskip(NEXT) | instid1(VALU_DEP_2)
	v_alignbit_b32 v28, v26, v20, v27
	v_cndmask_b32_e32 v3, v30, v22, vcc_lo
	s_delay_alu instid0(VALU_DEP_4) | instskip(NEXT) | instid1(VALU_DEP_3)
	v_cndmask_b32_e64 v2, v29, v2, s3
	v_cndmask_b32_e32 v13, v28, v26, vcc_lo
	s_delay_alu instid0(VALU_DEP_3) | instskip(NEXT) | instid1(VALU_DEP_3)
	v_bfe_u32 v22, v3, 29, 1
	v_alignbit_b32 v27, v20, v2, v27
	s_delay_alu instid0(VALU_DEP_2) | instskip(NEXT) | instid1(VALU_DEP_4)
	v_sub_nc_u32_e32 v28, 0, v22
	v_alignbit_b32 v26, v3, v13, 30
	s_delay_alu instid0(VALU_DEP_3) | instskip(NEXT) | instid1(VALU_DEP_2)
	v_cndmask_b32_e32 v20, v27, v20, vcc_lo
	v_xor_b32_e32 v26, v26, v28
	s_delay_alu instid0(VALU_DEP_2) | instskip(SKIP_1) | instid1(VALU_DEP_3)
	v_alignbit_b32 v13, v13, v20, 30
	v_alignbit_b32 v2, v20, v2, 30
	v_clz_i32_u32_e32 v27, v26
	s_delay_alu instid0(VALU_DEP_2) | instskip(NEXT) | instid1(VALU_DEP_2)
	v_xor_b32_e32 v2, v2, v28
	v_min_u32_e32 v27, 32, v27
	v_dual_lshrrev_b32 v28, 29, v3 :: v_dual_bitop2_b32 v13, v13, v28 bitop3:0x14
	v_lshrrev_b32_e32 v3, 30, v3
	s_delay_alu instid0(VALU_DEP_3) | instskip(NEXT) | instid1(VALU_DEP_2)
	v_dual_sub_nc_u32 v20, 31, v27 :: v_dual_lshlrev_b32 v29, 23, v27
	v_add_nc_u32_e32 v3, v22, v3
	s_delay_alu instid0(VALU_DEP_2) | instskip(SKIP_2) | instid1(VALU_DEP_2)
	v_alignbit_b32 v26, v26, v13, v20
	v_alignbit_b32 v2, v13, v2, v20
	v_lshlrev_b32_e32 v13, 31, v28
	v_alignbit_b32 v20, v26, v2, 9
	s_delay_alu instid0(VALU_DEP_2) | instskip(SKIP_1) | instid1(VALU_DEP_3)
	v_dual_lshrrev_b32 v26, 9, v26 :: v_dual_bitop2_b32 v28, 0.5, v13 bitop3:0x54
	v_or_b32_e32 v13, 0x33000000, v13
	v_clz_i32_u32_e32 v30, v20
	s_delay_alu instid0(VALU_DEP_3) | instskip(NEXT) | instid1(VALU_DEP_2)
	v_sub_nc_u32_e32 v28, v28, v29
	v_min_u32_e32 v29, 32, v30
	s_delay_alu instid0(VALU_DEP_1) | instskip(NEXT) | instid1(VALU_DEP_1)
	v_add_lshl_u32 v27, v29, v27, 23
	v_dual_sub_nc_u32 v13, v13, v27 :: v_dual_bitop2_b32 v26, v26, v28 bitop3:0x54
	v_not_b32_e32 v28, v29
	s_delay_alu instid0(VALU_DEP_1) | instskip(NEXT) | instid1(VALU_DEP_1)
	v_alignbit_b32 v2, v20, v2, v28
	v_lshrrev_b32_e32 v2, 9, v2
	s_delay_alu instid0(VALU_DEP_4) | instskip(NEXT) | instid1(VALU_DEP_2)
	v_mul_f32_e32 v30, 0x3fc90fda, v26
	v_or_b32_e32 v2, v13, v2
	s_delay_alu instid0(VALU_DEP_2) | instskip(NEXT) | instid1(VALU_DEP_1)
	v_fma_f32 v20, 0x3fc90fda, v26, -v30
	v_fmac_f32_e32 v20, 0x33a22168, v26
	s_delay_alu instid0(VALU_DEP_1) | instskip(NEXT) | instid1(VALU_DEP_1)
	v_fmac_f32_e32 v20, 0x3fc90fda, v2
	v_add_f32_e32 v2, v30, v20
.LBB156_150:                            ;   in Loop: Header=BB156_7 Depth=1
	s_or_saveexec_b32 s2, s36
	v_mul_f32_e64 v13, 0x3f22f983, |v5|
	s_delay_alu instid0(VALU_DEP_1)
	v_rndne_f32_e32 v22, v13
	s_xor_b32 exec_lo, exec_lo, s2
; %bb.151:                              ;   in Loop: Header=BB156_7 Depth=1
	s_delay_alu instid0(VALU_DEP_1) | instskip(SKIP_1) | instid1(VALU_DEP_2)
	v_fma_f32 v2, 0xbfc90fda, v22, |v5|
	v_cvt_i32_f32_e32 v3, v22
	v_fmac_f32_e32 v2, 0xb3a22168, v22
	s_delay_alu instid0(VALU_DEP_1)
	v_fmac_f32_e32 v2, 0xa7c234c4, v22
; %bb.152:                              ;   in Loop: Header=BB156_7 Depth=1
	s_or_b32 exec_lo, exec_lo, s2
                                        ; implicit-def: $vgpr20
                                        ; implicit-def: $vgpr13
	s_and_saveexec_b32 s2, s35
	s_delay_alu instid0(SALU_CYCLE_1)
	s_xor_b32 s35, exec_lo, s2
	s_cbranch_execz .LBB156_154
; %bb.153:                              ;   in Loop: Header=BB156_7 Depth=1
	v_mul_u64_e32 v[26:27], s[18:19], v[16:17]
	v_mov_b32_e32 v29, v17
	v_cmp_lt_u32_e32 vcc_lo, 63, v12
	v_cndmask_b32_e64 v13, 0, 0xffffffc0, vcc_lo
	s_delay_alu instid0(VALU_DEP_4) | instskip(NEXT) | instid1(VALU_DEP_1)
	v_mov_b32_e32 v28, v27
	v_mad_nc_u64_u32 v[28:29], 0x3c439041, v16, v[28:29]
	s_delay_alu instid0(VALU_DEP_1) | instskip(NEXT) | instid1(VALU_DEP_1)
	v_dual_mov_b32 v31, v17 :: v_dual_mov_b32 v30, v29
	v_mad_nc_u64_u32 v[30:31], 0xdb629599, v16, v[30:31]
	s_delay_alu instid0(VALU_DEP_1) | instskip(NEXT) | instid1(VALU_DEP_2)
	v_dual_mov_b32 v33, v17 :: v_dual_mov_b32 v32, v31
	v_cndmask_b32_e32 v26, v30, v26, vcc_lo
	s_delay_alu instid0(VALU_DEP_2) | instskip(NEXT) | instid1(VALU_DEP_1)
	v_mad_nc_u64_u32 v[32:33], 0xf534ddc0, v16, v[32:33]
	v_dual_mov_b32 v35, v17 :: v_dual_mov_b32 v34, v33
	s_delay_alu instid0(VALU_DEP_1) | instskip(SKIP_1) | instid1(VALU_DEP_2)
	v_mad_nc_u64_u32 v[34:35], 0xfc2757d1, v16, v[34:35]
	v_mov_b32_e32 v37, v17
	v_dual_add_nc_u32 v20, v13, v12 :: v_dual_mov_b32 v36, v35
	s_delay_alu instid0(VALU_DEP_3) | instskip(NEXT) | instid1(VALU_DEP_2)
	v_cndmask_b32_e32 v27, v34, v30, vcc_lo
	v_mad_nc_u64_u32 v[36:37], 0x4e441529, v16, v[36:37]
	s_delay_alu instid0(VALU_DEP_1) | instskip(NEXT) | instid1(VALU_DEP_1)
	v_dual_mov_b32 v13, v17 :: v_dual_mov_b32 v12, v37
	v_mad_nc_u64_u32 v[12:13], 0xa2f9836e, v16, v[12:13]
	s_delay_alu instid0(VALU_DEP_1) | instskip(SKIP_1) | instid1(VALU_DEP_3)
	v_cndmask_b32_e32 v12, v12, v34, vcc_lo
	v_cmp_lt_u32_e64 s2, 31, v20
	v_cndmask_b32_e32 v13, v13, v36, vcc_lo
	s_delay_alu instid0(VALU_DEP_2) | instskip(NEXT) | instid1(VALU_DEP_1)
	v_cndmask_b32_e64 v22, 0, 0xffffffe0, s2
	v_add_nc_u32_e32 v16, v22, v20
	v_cndmask_b32_e32 v22, v36, v32, vcc_lo
	s_delay_alu instid0(VALU_DEP_2) | instskip(NEXT) | instid1(VALU_DEP_1)
	v_cmp_lt_u32_e64 s3, 31, v16
	v_cndmask_b32_e64 v20, 0, 0xffffffe0, s3
	s_delay_alu instid0(VALU_DEP_1) | instskip(SKIP_3) | instid1(VALU_DEP_4)
	v_add_nc_u32_e32 v16, v20, v16
	v_cndmask_b32_e32 v20, v32, v28, vcc_lo
	v_dual_cndmask_b32 v28, v12, v22, s2 :: v_dual_cndmask_b32 v12, v13, v12, s2
	v_cndmask_b32_e64 v13, v22, v27, s2
	v_cmp_eq_u32_e32 vcc_lo, 0, v16
	s_delay_alu instid0(VALU_DEP_4) | instskip(NEXT) | instid1(VALU_DEP_4)
	v_cndmask_b32_e64 v27, v27, v20, s2
	v_cndmask_b32_e64 v12, v12, v28, s3
	s_delay_alu instid0(VALU_DEP_2) | instskip(SKIP_1) | instid1(VALU_DEP_1)
	v_dual_cndmask_b32 v28, v28, v13, s3 :: v_dual_cndmask_b32 v13, v13, v27, s3
	v_dual_sub_nc_u32 v22, 32, v16 :: v_dual_cndmask_b32 v16, v20, v26, s2
	v_alignbit_b32 v30, v28, v13, v22
	s_delay_alu instid0(VALU_DEP_1) | instskip(SKIP_1) | instid1(VALU_DEP_1)
	v_cndmask_b32_e32 v20, v30, v28, vcc_lo
	v_alignbit_b32 v29, v12, v28, v22
	v_cndmask_b32_e32 v12, v29, v12, vcc_lo
	s_delay_alu instid0(VALU_DEP_1) | instskip(NEXT) | instid1(VALU_DEP_1)
	v_bfe_u32 v26, v12, 29, 1
	v_dual_sub_nc_u32 v28, 0, v26 :: v_dual_cndmask_b32 v16, v27, v16, s3
	s_delay_alu instid0(VALU_DEP_1) | instskip(NEXT) | instid1(VALU_DEP_1)
	v_alignbit_b32 v22, v13, v16, v22
	v_cndmask_b32_e32 v13, v22, v13, vcc_lo
	v_alignbit_b32 v27, v12, v20, 30
	s_delay_alu instid0(VALU_DEP_2) | instskip(NEXT) | instid1(VALU_DEP_2)
	v_alignbit_b32 v20, v20, v13, 30
	v_xor_b32_e32 v27, v27, v28
	v_alignbit_b32 v13, v13, v16, 30
	s_delay_alu instid0(VALU_DEP_2) | instskip(NEXT) | instid1(VALU_DEP_1)
	v_clz_i32_u32_e32 v22, v27
	v_min_u32_e32 v22, 32, v22
	s_delay_alu instid0(VALU_DEP_1) | instskip(NEXT) | instid1(VALU_DEP_4)
	v_dual_lshlrev_b32 v29, 23, v22 :: v_dual_bitop2_b32 v16, v20, v28 bitop3:0x14
	v_dual_sub_nc_u32 v20, 31, v22 :: v_dual_bitop2_b32 v13, v13, v28 bitop3:0x14
	s_delay_alu instid0(VALU_DEP_1) | instskip(SKIP_1) | instid1(VALU_DEP_3)
	v_alignbit_b32 v27, v27, v16, v20
	v_lshrrev_b32_e32 v28, 29, v12
	v_alignbit_b32 v13, v16, v13, v20
	v_lshrrev_b32_e32 v12, 30, v12
	s_delay_alu instid0(VALU_DEP_2) | instskip(NEXT) | instid1(VALU_DEP_4)
	v_alignbit_b32 v20, v27, v13, 9
	v_dual_lshrrev_b32 v27, 9, v27 :: v_dual_lshlrev_b32 v16, 31, v28
	s_delay_alu instid0(VALU_DEP_2) | instskip(NEXT) | instid1(VALU_DEP_2)
	v_clz_i32_u32_e32 v30, v20
	v_or_b32_e32 v28, 0.5, v16
	v_or_b32_e32 v16, 0x33000000, v16
	s_delay_alu instid0(VALU_DEP_2) | instskip(NEXT) | instid1(VALU_DEP_4)
	v_sub_nc_u32_e32 v28, v28, v29
	v_min_u32_e32 v29, 32, v30
	s_delay_alu instid0(VALU_DEP_2) | instskip(NEXT) | instid1(VALU_DEP_2)
	v_or_b32_e32 v27, v27, v28
	v_not_b32_e32 v28, v29
	v_add_lshl_u32 v22, v29, v22, 23
	s_delay_alu instid0(VALU_DEP_2) | instskip(NEXT) | instid1(VALU_DEP_2)
	v_alignbit_b32 v13, v20, v13, v28
	v_sub_nc_u32_e32 v16, v16, v22
                                        ; implicit-def: $vgpr22
	s_delay_alu instid0(VALU_DEP_2) | instskip(NEXT) | instid1(VALU_DEP_1)
	v_dual_mul_f32 v30, 0x3fc90fda, v27 :: v_dual_lshrrev_b32 v13, 9, v13
	v_or_b32_e32 v13, v16, v13
	s_delay_alu instid0(VALU_DEP_2) | instskip(NEXT) | instid1(VALU_DEP_1)
	v_fma_f32 v20, 0x3fc90fda, v27, -v30
	v_fmac_f32_e32 v20, 0x33a22168, v27
	s_delay_alu instid0(VALU_DEP_1) | instskip(NEXT) | instid1(VALU_DEP_1)
	v_fmac_f32_e32 v20, 0x3fc90fda, v13
	v_add_f32_e32 v13, v30, v20
	v_add_nc_u32_e32 v20, v26, v12
	s_and_not1_saveexec_b32 s2, s35
	s_cbranch_execz .LBB156_3
	s_branch .LBB156_155
.LBB156_154:                            ;   in Loop: Header=BB156_7 Depth=1
	s_and_not1_saveexec_b32 s2, s35
	s_cbranch_execz .LBB156_3
.LBB156_155:                            ;   in Loop: Header=BB156_7 Depth=1
	v_fma_f32 v13, 0xbfc90fda, v22, |v5|
	v_cvt_i32_f32_e32 v20, v22
	s_delay_alu instid0(VALU_DEP_2) | instskip(NEXT) | instid1(VALU_DEP_1)
	v_fmac_f32_e32 v13, 0xb3a22168, v22
	v_fmac_f32_e32 v13, 0xa7c234c4, v22
	s_branch .LBB156_3
.LBB156_156:
	s_or_b32 exec_lo, exec_lo, s20
	s_mov_b32 s2, 0
.LBB156_157:
	s_delay_alu instid0(SALU_CYCLE_1)
	s_and_not1_b32 vcc_lo, exec_lo, s2
	s_cbranch_vccnz .LBB156_329
; %bb.158:
	v_cmp_lt_i64_e64 s2, s[8:9], 1
	s_and_b32 vcc_lo, exec_lo, s2
	s_cbranch_vccnz .LBB156_329
; %bb.159:
	s_load_b32 s0, s[0:1], 0xc5c
	v_min_i64 v[2:3], 0x10000, s[8:9]
	v_min_u64 v[6:7], 0x10000, s[8:9]
	v_dual_mov_b32 v5, 0 :: v_dual_lshlrev_b32 v4, 3, v0
	s_wait_xcnt 0x0
	s_mov_b32 s1, 0
	v_mov_b32_e32 v31, 0x3f317218
	s_mov_b32 s21, s1
	v_mov_b32_e32 v1, v5
	v_add_nc_u64_e32 v[8:9], s[4:5], v[4:5]
	v_add_nc_u64_e32 v[10:11], s[14:15], v[4:5]
	s_mov_b32 s3, s1
	s_mov_b32 s19, s1
	v_mov_b32_e32 v33, -1.0
	s_mov_b64 s[8:9], 0
	s_mov_b32 s16, 0x7fffff
	s_mov_b32 s11, s1
	;; [unrolled: 1-line block ×3, first 2 shown]
	s_mov_b32 s17, -1.0
	s_mov_b32 s22, 0x37d75334
	s_wait_kmcnt 0x0
	s_and_b32 s0, s0, 0xffff
	s_delay_alu instid0(SALU_CYCLE_1)
	v_add_nc_u64_e32 v[12:13], s[0:1], v[0:1]
	v_mad_nc_u64_u32 v[24:25], s0, 24, v[4:5]
	s_lshl_b32 s20, s0, 4
	s_lshl_b32 s2, s0, 1
	v_add_nc_u64_e32 v[20:21], s[20:21], v[4:5]
	s_mul_i32 s18, s0, 3
	s_lshl_b32 s10, s0, 2
	v_lshlrev_b32_e32 v4, 3, v12
	v_add_nc_u64_e32 v[14:15], s[18:19], v[0:1]
	v_add_nc_u64_e32 v[16:17], s[2:3], v[0:1]
	s_lshl_b32 s12, s0, 5
	v_add_nc_u64_e32 v[18:19], s[4:5], v[20:21]
	v_add_nc_u64_e32 v[20:21], s[14:15], v[20:21]
	v_add_nc_u64_e32 v[22:23], s[4:5], v[24:25]
	v_add_nc_u64_e32 v[24:25], s[14:15], v[24:25]
	v_add_nc_u64_e32 v[26:27], s[4:5], v[4:5]
	v_add_nc_u64_e32 v[28:29], s[14:15], v[4:5]
	s_mov_b64 s[14:15], 0xfe5163ab
	s_mov_b32 s18, 0xbc8cedd3
	s_mov_b32 s19, 0x3c971480
	;; [unrolled: 1-line block ×4, first 2 shown]
	s_branch .LBB156_161
.LBB156_160:                            ;   in Loop: Header=BB156_161 Depth=1
	s_wait_xcnt 0x0
	s_or_b32 exec_lo, exec_lo, s0
	s_add_nc_u64 s[8:9], s[8:9], s[10:11]
	v_add_nc_u64_e32 v[8:9], s[12:13], v[8:9]
	v_cmp_ge_i64_e32 vcc_lo, s[8:9], v[2:3]
	v_add_nc_u64_e32 v[10:11], s[12:13], v[10:11]
	v_add_nc_u64_e32 v[22:23], s[12:13], v[22:23]
	;; [unrolled: 1-line block ×7, first 2 shown]
	s_cbranch_vccnz .LBB156_329
.LBB156_161:                            ; =>This Inner Loop Header: Depth=1
	v_add_nc_u64_e32 v[34:35], s[8:9], v[0:1]
	v_dual_mov_b32 v36, 0 :: v_dual_mov_b32 v37, 0
	s_delay_alu instid0(VALU_DEP_2)
	v_cmp_lt_u64_e64 s0, v[34:35], v[6:7]
	s_and_saveexec_b32 s1, s0
	s_cbranch_execz .LBB156_163
; %bb.162:                              ;   in Loop: Header=BB156_161 Depth=1
	v_add_nc_u64_e32 v[34:35], s[6:7], v[8:9]
	global_load_b64 v[36:37], v[34:35], off
.LBB156_163:                            ;   in Loop: Header=BB156_161 Depth=1
	s_wait_xcnt 0x0
	s_or_b32 exec_lo, exec_lo, s1
	v_add_nc_u64_e32 v[34:35], s[8:9], v[12:13]
	v_dual_mov_b32 v39, 0 :: v_dual_mov_b32 v38, 0
	s_delay_alu instid0(VALU_DEP_2)
	v_cmp_lt_u64_e64 s1, v[34:35], v[6:7]
	v_mov_b32_e32 v34, 0
	s_and_saveexec_b32 s2, s1
	s_cbranch_execz .LBB156_165
; %bb.164:                              ;   in Loop: Header=BB156_161 Depth=1
	v_add_nc_u64_e32 v[38:39], s[6:7], v[26:27]
	global_load_b64 v[38:39], v[38:39], off
.LBB156_165:                            ;   in Loop: Header=BB156_161 Depth=1
	s_wait_xcnt 0x0
	s_or_b32 exec_lo, exec_lo, s2
	v_add_nc_u64_e32 v[40:41], s[8:9], v[16:17]
	v_mov_b32_e32 v35, 0
	s_delay_alu instid0(VALU_DEP_2)
	v_cmp_lt_u64_e64 s2, v[40:41], v[6:7]
	s_and_saveexec_b32 s3, s2
	s_cbranch_execz .LBB156_167
; %bb.166:                              ;   in Loop: Header=BB156_161 Depth=1
	v_add_nc_u64_e32 v[34:35], s[6:7], v[18:19]
	global_load_b64 v[34:35], v[34:35], off
.LBB156_167:                            ;   in Loop: Header=BB156_161 Depth=1
	s_wait_xcnt 0x0
	s_or_b32 exec_lo, exec_lo, s3
	v_add_nc_u64_e32 v[40:41], s[8:9], v[14:15]
	s_delay_alu instid0(VALU_DEP_1)
	v_cmp_lt_u64_e64 s3, v[40:41], v[6:7]
	v_dual_mov_b32 v40, 0 :: v_dual_mov_b32 v41, 0
	s_and_saveexec_b32 s4, s3
	s_cbranch_execz .LBB156_169
; %bb.168:                              ;   in Loop: Header=BB156_161 Depth=1
	v_add_nc_u64_e32 v[40:41], s[6:7], v[22:23]
	global_load_b64 v[40:41], v[40:41], off
.LBB156_169:                            ;   in Loop: Header=BB156_161 Depth=1
	s_wait_xcnt 0x0
	s_or_b32 exec_lo, exec_lo, s4
	s_wait_loadcnt 0x0
	v_and_b32_e32 v30, 0x7fffffff, v36
	s_mov_b32 s4, exec_lo
	s_delay_alu instid0(VALU_DEP_1)
	v_cmpx_gt_u32_e32 0x7f800000, v30
	s_xor_b32 s23, exec_lo, s4
	s_cbranch_execz .LBB156_190
; %bb.170:                              ;   in Loop: Header=BB156_161 Depth=1
	v_cmp_class_f32_e64 s4, v37, 0x1f8
	s_and_saveexec_b32 s5, s4
	s_delay_alu instid0(SALU_CYCLE_1)
	s_xor_b32 s24, exec_lo, s5
	s_cbranch_execz .LBB156_187
; %bb.171:                              ;   in Loop: Header=BB156_161 Depth=1
	v_and_b32_e32 v42, 0x7fffffff, v37
	s_mov_b32 s4, exec_lo
	v_cmpx_gt_u32_e32 0x41300000, v30
	s_xor_b32 s25, exec_lo, s4
	s_cbranch_execz .LBB156_177
; %bb.172:                              ;   in Loop: Header=BB156_161 Depth=1
                                        ; implicit-def: $vgpr4
                                        ; implicit-def: $vgpr43
	s_mov_b32 s5, exec_lo
	v_cmpx_ngt_f32_e64 0x48000000, |v37|
	s_xor_b32 s26, exec_lo, s5
	s_cbranch_execz .LBB156_174
; %bb.173:                              ;   in Loop: Header=BB156_161 Depth=1
	v_and_or_b32 v4, v42, s16, 0x800000
	v_dual_mov_b32 v55, v5 :: v_dual_lshrrev_b32 v32, 23, v42
	v_mov_b32_e32 v57, v5
	s_delay_alu instid0(VALU_DEP_3) | instskip(NEXT) | instid1(VALU_DEP_3)
	v_mul_u64_e32 v[44:45], s[14:15], v[4:5]
	v_dual_mov_b32 v47, v5 :: v_dual_add_nc_u32 v32, 0xffffff88, v32
	s_delay_alu instid0(VALU_DEP_1) | instskip(SKIP_1) | instid1(VALU_DEP_1)
	v_cmp_lt_u32_e32 vcc_lo, 63, v32
	v_cndmask_b32_e64 v43, 0, 0xffffffc0, vcc_lo
	v_add_nc_u32_e32 v32, v43, v32
	s_delay_alu instid0(VALU_DEP_1) | instskip(NEXT) | instid1(VALU_DEP_1)
	v_cmp_lt_u32_e64 s4, 31, v32
	v_cndmask_b32_e64 v43, 0, 0xffffffe0, s4
	v_mov_b32_e32 v46, v45
	s_delay_alu instid0(VALU_DEP_1) | instskip(NEXT) | instid1(VALU_DEP_1)
	v_mad_nc_u64_u32 v[46:47], 0x3c439041, v4, v[46:47]
	v_dual_mov_b32 v49, v5 :: v_dual_mov_b32 v48, v47
	s_delay_alu instid0(VALU_DEP_1) | instskip(NEXT) | instid1(VALU_DEP_1)
	v_mad_nc_u64_u32 v[48:49], 0xdb629599, v4, v[48:49]
	v_dual_mov_b32 v51, v5 :: v_dual_mov_b32 v50, v49
	;; [unrolled: 3-line block ×3, first 2 shown]
	s_delay_alu instid0(VALU_DEP_1) | instskip(NEXT) | instid1(VALU_DEP_1)
	v_mad_nc_u64_u32 v[52:53], 0xfc2757d1, v4, v[52:53]
	v_mov_b32_e32 v54, v53
	s_delay_alu instid0(VALU_DEP_1) | instskip(NEXT) | instid1(VALU_DEP_1)
	v_mad_nc_u64_u32 v[54:55], 0x4e441529, v4, v[54:55]
	v_mov_b32_e32 v56, v55
	s_delay_alu instid0(VALU_DEP_1) | instskip(NEXT) | instid1(VALU_DEP_3)
	v_mad_nc_u64_u32 v[56:57], 0xa2f9836e, v4, v[56:57]
	v_dual_cndmask_b32 v43, v54, v50 :: v_dual_add_nc_u32 v4, v43, v32
	s_delay_alu instid0(VALU_DEP_2) | instskip(NEXT) | instid1(VALU_DEP_2)
	v_cndmask_b32_e32 v47, v57, v54, vcc_lo
	v_cmp_lt_u32_e64 s5, 31, v4
	s_delay_alu instid0(VALU_DEP_4) | instskip(SKIP_1) | instid1(VALU_DEP_3)
	v_cndmask_b32_e32 v45, v56, v52, vcc_lo
	v_cndmask_b32_e32 v49, v52, v48, vcc_lo
	v_cndmask_b32_e64 v32, 0, 0xffffffe0, s5
	s_delay_alu instid0(VALU_DEP_1) | instskip(NEXT) | instid1(VALU_DEP_4)
	v_dual_add_nc_u32 v4, v32, v4 :: v_dual_cndmask_b32 v32, v50, v46, vcc_lo
	v_dual_cndmask_b32 v46, v45, v43, s4 :: v_dual_cndmask_b32 v45, v47, v45, s4
	s_delay_alu instid0(VALU_DEP_2) | instskip(NEXT) | instid1(VALU_DEP_3)
	v_dual_cndmask_b32 v43, v43, v49, s4 :: v_dual_sub_nc_u32 v47, 32, v4
	v_cndmask_b32_e64 v49, v49, v32, s4
	s_delay_alu instid0(VALU_DEP_2) | instskip(NEXT) | instid1(VALU_DEP_2)
	v_dual_cndmask_b32 v45, v45, v46, s5 :: v_dual_cndmask_b32 v46, v46, v43, s5
	v_cndmask_b32_e64 v43, v43, v49, s5
	s_delay_alu instid0(VALU_DEP_2) | instskip(SKIP_2) | instid1(VALU_DEP_4)
	v_alignbit_b32 v50, v45, v46, v47
	v_cndmask_b32_e32 v44, v48, v44, vcc_lo
	v_cmp_eq_u32_e32 vcc_lo, 0, v4
	v_alignbit_b32 v48, v46, v43, v47
	s_delay_alu instid0(VALU_DEP_4) | instskip(NEXT) | instid1(VALU_DEP_1)
	v_cndmask_b32_e32 v4, v50, v45, vcc_lo
	v_bfe_u32 v45, v4, 29, 1
	v_cndmask_b32_e64 v32, v32, v44, s4
	s_delay_alu instid0(VALU_DEP_2) | instskip(NEXT) | instid1(VALU_DEP_2)
	v_dual_cndmask_b32 v44, v48, v46, vcc_lo :: v_dual_sub_nc_u32 v48, 0, v45
	v_cndmask_b32_e64 v32, v49, v32, s5
	s_delay_alu instid0(VALU_DEP_2) | instskip(NEXT) | instid1(VALU_DEP_2)
	v_alignbit_b32 v46, v4, v44, 30
	v_alignbit_b32 v47, v43, v32, v47
	s_delay_alu instid0(VALU_DEP_1) | instskip(NEXT) | instid1(VALU_DEP_1)
	v_dual_cndmask_b32 v43, v47, v43, vcc_lo :: v_dual_bitop2_b32 v46, v46, v48 bitop3:0x14
	v_clz_i32_u32_e32 v47, v46
	s_delay_alu instid0(VALU_DEP_2) | instskip(NEXT) | instid1(VALU_DEP_2)
	v_alignbit_b32 v44, v44, v43, 30
	v_min_u32_e32 v47, 32, v47
	v_alignbit_b32 v32, v43, v32, 30
	s_delay_alu instid0(VALU_DEP_2) | instskip(NEXT) | instid1(VALU_DEP_2)
	v_dual_sub_nc_u32 v44, 31, v47 :: v_dual_bitop2_b32 v43, v44, v48 bitop3:0x14
	v_xor_b32_e32 v32, v32, v48
	v_dual_lshrrev_b32 v48, 29, v4 :: v_dual_lshlrev_b32 v49, 23, v47
	v_lshrrev_b32_e32 v4, 30, v4
	s_delay_alu instid0(VALU_DEP_4) | instskip(NEXT) | instid1(VALU_DEP_4)
	v_alignbit_b32 v46, v46, v43, v44
	v_alignbit_b32 v32, v43, v32, v44
	s_delay_alu instid0(VALU_DEP_4) | instskip(NEXT) | instid1(VALU_DEP_4)
	v_lshlrev_b32_e32 v43, 31, v48
	v_add_nc_u32_e32 v4, v45, v4
	s_delay_alu instid0(VALU_DEP_3) | instskip(NEXT) | instid1(VALU_DEP_3)
	v_alignbit_b32 v44, v46, v32, 9
	v_dual_lshrrev_b32 v46, 9, v46 :: v_dual_bitop2_b32 v48, 0.5, v43 bitop3:0x54
	v_or_b32_e32 v43, 0x33000000, v43
	s_delay_alu instid0(VALU_DEP_3) | instskip(NEXT) | instid1(VALU_DEP_3)
	v_clz_i32_u32_e32 v50, v44
	v_sub_nc_u32_e32 v48, v48, v49
	s_delay_alu instid0(VALU_DEP_2) | instskip(NEXT) | instid1(VALU_DEP_1)
	v_min_u32_e32 v49, 32, v50
	v_add_lshl_u32 v47, v49, v47, 23
	s_delay_alu instid0(VALU_DEP_1) | instskip(SKIP_1) | instid1(VALU_DEP_2)
	v_dual_sub_nc_u32 v43, v43, v47 :: v_dual_bitop2_b32 v46, v46, v48 bitop3:0x54
	v_not_b32_e32 v48, v49
	v_mul_f32_e32 v50, 0x3fc90fda, v46
	s_delay_alu instid0(VALU_DEP_2) | instskip(NEXT) | instid1(VALU_DEP_2)
	v_alignbit_b32 v32, v44, v32, v48
	v_fma_f32 v44, 0x3fc90fda, v46, -v50
	s_delay_alu instid0(VALU_DEP_2) | instskip(NEXT) | instid1(VALU_DEP_2)
	v_lshrrev_b32_e32 v32, 9, v32
	v_fmac_f32_e32 v44, 0x33a22168, v46
	s_delay_alu instid0(VALU_DEP_2) | instskip(NEXT) | instid1(VALU_DEP_1)
	v_or_b32_e32 v32, v43, v32
	v_fmac_f32_e32 v44, 0x3fc90fda, v32
	s_delay_alu instid0(VALU_DEP_1)
	v_add_f32_e32 v43, v50, v44
.LBB156_174:                            ;   in Loop: Header=BB156_161 Depth=1
	s_and_not1_saveexec_b32 s4, s26
; %bb.175:                              ;   in Loop: Header=BB156_161 Depth=1
	v_mul_f32_e64 v4, 0x3f22f983, |v37|
	s_delay_alu instid0(VALU_DEP_1) | instskip(NEXT) | instid1(VALU_DEP_1)
	v_rndne_f32_e32 v4, v4
	v_fma_f32 v43, 0xbfc90fda, v4, |v37|
	s_delay_alu instid0(VALU_DEP_1) | instskip(NEXT) | instid1(VALU_DEP_1)
	v_fmac_f32_e32 v43, 0xb3a22168, v4
	v_fmac_f32_e32 v43, 0xa7c234c4, v4
	v_cvt_i32_f32_e32 v4, v4
; %bb.176:                              ;   in Loop: Header=BB156_161 Depth=1
	s_or_b32 exec_lo, exec_lo, s4
	v_add_f32_e64 v32, 0xbf317218, |v36|
	v_cmp_nlt_f32_e64 vcc_lo, 0x42b2d4fc, |v36|
	v_cmp_gt_f32_e64 s4, 0x39800000, |v36|
	v_and_b32_e32 v4, 1, v4
	s_delay_alu instid0(VALU_DEP_4) | instskip(NEXT) | instid1(VALU_DEP_1)
	v_sub_f32_e64 v45, v32, |v36|
	v_sub_f32_e32 v44, v45, v32
	s_delay_alu instid0(VALU_DEP_1) | instskip(NEXT) | instid1(VALU_DEP_1)
	v_pk_add_f32 v[44:45], v[30:31], v[44:45]
	v_sub_f32_e32 v30, v44, v45
	s_delay_alu instid0(VALU_DEP_1) | instskip(NEXT) | instid1(VALU_DEP_1)
	v_add_f32_e32 v30, 0x3102e308, v30
	v_add_f32_e32 v45, v32, v30
	s_delay_alu instid0(VALU_DEP_1) | instskip(SKIP_1) | instid1(VALU_DEP_2)
	v_mul_f32_e32 v44, 0x3fb8aa3b, v45
	v_sub_f32_e32 v32, v32, v45
	v_rndne_f32_e32 v52, v44
	s_delay_alu instid0(VALU_DEP_2) | instskip(NEXT) | instid1(VALU_DEP_2)
	v_add_f32_e32 v30, v30, v32
	v_fmac_f32_e32 v45, 0xbf317200, v52
	v_mul_f32_e32 v32, 0x35bfbc00, v52
	s_delay_alu instid0(VALU_DEP_2) | instskip(NEXT) | instid1(VALU_DEP_1)
	v_dual_mul_f32 v47, 0x2ea39ef3, v52 :: v_dual_add_f32 v46, v30, v45
	v_dual_sub_f32 v44, v46, v32 :: v_dual_sub_f32 v45, v45, v46
	s_delay_alu instid0(VALU_DEP_1) | instskip(NEXT) | instid1(VALU_DEP_2)
	v_sub_f32_e32 v46, v46, v44
	v_add_f32_e32 v30, v30, v45
	s_delay_alu instid0(VALU_DEP_2) | instskip(NEXT) | instid1(VALU_DEP_1)
	v_sub_f32_e32 v32, v46, v32
	v_add_f32_e32 v30, v30, v32
	s_delay_alu instid0(VALU_DEP_1) | instskip(NEXT) | instid1(VALU_DEP_1)
	v_add_f32_e32 v45, v44, v30
	v_mov_b32_e32 v46, v45
	s_delay_alu instid0(VALU_DEP_1) | instskip(NEXT) | instid1(VALU_DEP_1)
	v_pk_add_f32 v[48:49], v[44:45], v[46:47] neg_lo:[0,1] neg_hi:[0,1]
	v_sub_f32_e32 v32, v45, v49
	s_delay_alu instid0(VALU_DEP_1) | instskip(NEXT) | instid1(VALU_DEP_1)
	v_dual_sub_f32 v32, v32, v47 :: v_dual_add_f32 v30, v30, v48
	v_add_f32_e32 v30, v30, v32
	s_delay_alu instid0(VALU_DEP_1) | instskip(NEXT) | instid1(VALU_DEP_1)
	v_add_f32_e32 v44, v49, v30
	v_sub_f32_e32 v32, v49, v44
	s_delay_alu instid0(VALU_DEP_1) | instskip(SKIP_1) | instid1(VALU_DEP_1)
	v_add_f32_e32 v30, v30, v32
	v_dual_mul_f32 v45, v44, v44 :: v_dual_fmaak_f32 v32, s20, v44, 0x3c091de6
	v_dual_add_f32 v47, v30, v30 :: v_dual_fma_f32 v46, v44, v44, -v45
	s_delay_alu instid0(VALU_DEP_1) | instskip(NEXT) | instid1(VALU_DEP_1)
	v_fmac_f32_e32 v46, v44, v47
	v_dual_add_f32 v47, v45, v46 :: v_dual_fmaak_f32 v32, v44, v32, 0x3d2aadcc
	s_delay_alu instid0(VALU_DEP_1) | instskip(NEXT) | instid1(VALU_DEP_1)
	v_dual_sub_f32 v45, v47, v45 :: v_dual_fmaak_f32 v32, v44, v32, 0x3e2aaa47
	v_dual_sub_f32 v45, v46, v45 :: v_dual_fmaak_f32 v32, v44, v32, 0x3efffffc
	s_delay_alu instid0(VALU_DEP_1) | instskip(NEXT) | instid1(VALU_DEP_1)
	v_mul_f32_e32 v48, v32, v47
	v_fma_f32 v46, v47, v32, -v48
	s_delay_alu instid0(VALU_DEP_1) | instskip(NEXT) | instid1(VALU_DEP_1)
	v_fmac_f32_e32 v46, v45, v32
	v_add_f32_e32 v45, v48, v46
	s_delay_alu instid0(VALU_DEP_1) | instskip(SKIP_1) | instid1(VALU_DEP_2)
	v_sub_f32_e32 v47, v45, v48
	v_mov_b64_e32 v[48:49], s[16:17]
	v_dual_sub_f32 v46, v46, v47 :: v_dual_add_f32 v32, v44, v45
	s_delay_alu instid0(VALU_DEP_1) | instskip(NEXT) | instid1(VALU_DEP_1)
	v_dual_add_f32 v30, v30, v46 :: v_dual_sub_f32 v44, v32, v44
	v_sub_f32_e32 v44, v45, v44
	s_delay_alu instid0(VALU_DEP_1) | instskip(NEXT) | instid1(VALU_DEP_1)
	v_add_f32_e32 v44, v30, v44
	v_add_f32_e32 v46, v32, v44
	s_delay_alu instid0(VALU_DEP_1) | instskip(NEXT) | instid1(VALU_DEP_1)
	v_dual_add_f32 v47, 1.0, v46 :: v_dual_mov_b32 v45, v46
	v_pk_add_f32 v[48:49], v[46:47], v[48:49]
	v_pk_add_f32 v[50:51], v[46:47], v[32:33] neg_lo:[0,1] neg_hi:[0,1]
	v_cvt_i32_f32_e32 v32, v52
	s_delay_alu instid0(VALU_DEP_3) | instskip(NEXT) | instid1(VALU_DEP_1)
	v_mov_b32_e32 v51, v49
	v_pk_add_f32 v[44:45], v[44:45], v[50:51] neg_lo:[0,1] neg_hi:[0,1]
	s_delay_alu instid0(VALU_DEP_1) | instskip(NEXT) | instid1(VALU_DEP_1)
	v_add_f32_e32 v30, v44, v45
	v_add_f32_e32 v44, v47, v30
	s_delay_alu instid0(VALU_DEP_1) | instskip(SKIP_1) | instid1(VALU_DEP_2)
	v_ldexp_f32 v45, v44, v32
	v_sub_f32_e32 v44, v44, v47
	v_rcp_f32_e32 v46, v45
	v_nop
	s_delay_alu instid0(TRANS32_DEP_1) | instskip(NEXT) | instid1(VALU_DEP_1)
	v_dual_sub_f32 v30, v30, v44 :: v_dual_mul_f32 v44, v45, v46
	v_ldexp_f32 v30, v30, v32
	s_delay_alu instid0(VALU_DEP_2) | instskip(NEXT) | instid1(VALU_DEP_1)
	v_fma_f32 v32, v46, v45, -v44
	v_fmac_f32_e32 v32, v46, v30
	s_delay_alu instid0(VALU_DEP_1) | instskip(NEXT) | instid1(VALU_DEP_1)
	v_add_f32_e32 v47, v44, v32
	v_sub_f32_e32 v44, v47, v44
	s_delay_alu instid0(VALU_DEP_1) | instskip(NEXT) | instid1(VALU_DEP_1)
	v_dual_sub_f32 v32, v44, v32 :: v_dual_sub_f32 v48, 1.0, v47
	v_sub_f32_e32 v49, 1.0, v48
	s_delay_alu instid0(VALU_DEP_1) | instskip(NEXT) | instid1(VALU_DEP_1)
	v_sub_f32_e32 v44, v49, v47
	v_add_f32_e32 v32, v32, v44
	s_delay_alu instid0(VALU_DEP_1) | instskip(NEXT) | instid1(VALU_DEP_1)
	v_add_f32_e32 v44, v48, v32
	v_mul_f32_e32 v47, v46, v44
	s_delay_alu instid0(VALU_DEP_1) | instskip(NEXT) | instid1(VALU_DEP_1)
	v_mul_f32_e32 v49, v45, v47
	v_fma_f32 v50, v47, v45, -v49
	s_delay_alu instid0(VALU_DEP_1) | instskip(NEXT) | instid1(VALU_DEP_1)
	v_fmac_f32_e32 v50, v47, v30
	v_dual_add_f32 v51, v49, v50 :: v_dual_sub_f32 v48, v48, v44
	s_delay_alu instid0(VALU_DEP_1) | instskip(NEXT) | instid1(VALU_DEP_2)
	v_sub_f32_e32 v52, v44, v51
	v_dual_add_f32 v32, v32, v48 :: v_dual_sub_f32 v48, v51, v49
	s_delay_alu instid0(VALU_DEP_2) | instskip(NEXT) | instid1(VALU_DEP_2)
	v_sub_f32_e32 v44, v44, v52
	v_sub_f32_e32 v48, v48, v50
	s_delay_alu instid0(VALU_DEP_2) | instskip(NEXT) | instid1(VALU_DEP_1)
	v_sub_f32_e32 v44, v44, v51
	v_dual_add_f32 v32, v32, v44 :: v_dual_add_f32 v44, v46, v47
	s_delay_alu instid0(VALU_DEP_1) | instskip(NEXT) | instid1(VALU_DEP_2)
	v_add_f32_e32 v32, v48, v32
	v_sub_f32_e32 v48, v44, v46
	s_delay_alu instid0(VALU_DEP_2) | instskip(NEXT) | instid1(VALU_DEP_2)
	v_add_f32_e32 v32, v52, v32
	v_sub_f32_e32 v47, v47, v48
	s_delay_alu instid0(VALU_DEP_2) | instskip(NEXT) | instid1(VALU_DEP_1)
	v_mul_f32_e32 v32, v46, v32
	v_add_f32_e32 v32, v47, v32
	s_delay_alu instid0(VALU_DEP_1) | instskip(NEXT) | instid1(VALU_DEP_1)
	v_add_f32_e32 v46, v44, v32
	v_ldexp_f32 v47, v46, -2
	s_delay_alu instid0(VALU_DEP_1) | instskip(NEXT) | instid1(VALU_DEP_1)
	v_dual_sub_f32 v44, v46, v44 :: v_dual_sub_f32 v48, v45, v47
	v_sub_f32_e32 v32, v32, v44
	s_delay_alu instid0(VALU_DEP_2) | instskip(NEXT) | instid1(VALU_DEP_1)
	v_sub_f32_e32 v45, v45, v48
	v_sub_f32_e32 v44, v45, v47
	s_delay_alu instid0(VALU_DEP_1) | instskip(NEXT) | instid1(VALU_DEP_4)
	v_add_f32_e32 v30, v30, v44
	v_ldexp_f32 v32, v32, -2
	s_delay_alu instid0(VALU_DEP_1) | instskip(NEXT) | instid1(VALU_DEP_1)
	v_dual_sub_f32 v30, v30, v32 :: v_dual_mul_f32 v32, v43, v43
	v_add_f32_e32 v30, v48, v30
	s_delay_alu instid0(VALU_DEP_2) | instskip(NEXT) | instid1(VALU_DEP_2)
	v_fmaak_f32 v44, s19, v32, 0xbf039337
	v_cndmask_b32_e32 v30, 0x7f800000, v30, vcc_lo
	s_delay_alu instid0(VALU_DEP_2) | instskip(NEXT) | instid1(VALU_DEP_2)
	v_fmaak_f32 v44, v32, v44, 0x3f93f425
	v_cndmask_b32_e64 v30, v30, |v36|, s4
	s_delay_alu instid0(VALU_DEP_1) | instskip(NEXT) | instid1(VALU_DEP_3)
	v_bfi_b32 v30, 0x7fffffff, v30, v36
	v_rcp_f32_e32 v36, v44
	v_nop
	v_fmaak_f32 v44, s18, v32, 0x3ec54587
	s_delay_alu instid0(VALU_DEP_3)
	v_fma_f32 v45, v30, v30, 1.0
	s_delay_alu instid0(TRANS32_DEP_1) | instid1(VALU_DEP_2)
	v_mul_f32_e32 v36, v44, v36
	s_delay_alu instid0(VALU_DEP_2) | instskip(SKIP_1) | instid1(VALU_DEP_3)
	v_mul_f32_e32 v44, 0x4f800000, v45
	v_cmp_gt_f32_e32 vcc_lo, 0xf800000, v45
	v_mul_f32_e32 v32, v32, v36
	s_delay_alu instid0(VALU_DEP_1) | instskip(NEXT) | instid1(VALU_DEP_1)
	v_dual_cndmask_b32 v36, v45, v44, vcc_lo :: v_dual_fma_f32 v44, v32, v43, v43
	v_sqrt_f32_e32 v45, v36
	s_delay_alu instid0(VALU_DEP_1) | instskip(NEXT) | instid1(TRANS32_DEP_2)
	v_rcp_f32_e32 v46, v44
	v_dual_sub_f32 v47, v44, v43 :: v_dual_add_nc_u32 v48, -1, v45
	s_delay_alu instid0(VALU_DEP_1) | instskip(NEXT) | instid1(VALU_DEP_1)
	v_fma_f32 v49, -v48, v45, v36
	v_cmp_ge_f32_e64 s4, 0, v49
	s_delay_alu instid0(VALU_DEP_3) | instskip(NEXT) | instid1(TRANS32_DEP_1)
	v_fma_f32 v32, v32, v43, -v47
	v_fma_f32 v43, v44, -v46, 1.0
	s_delay_alu instid0(VALU_DEP_1) | instskip(NEXT) | instid1(VALU_DEP_1)
	v_dual_add_nc_u32 v47, 1, v45 :: v_dual_fma_f32 v32, v32, -v46, v43
	v_dual_fma_f32 v43, -v47, v45, v36 :: v_dual_cndmask_b32 v45, v45, v48, s4
	s_delay_alu instid0(VALU_DEP_2) | instskip(NEXT) | instid1(VALU_DEP_2)
	v_fma_f32 v32, v32, -v46, -v46
	v_cmp_lt_f32_e64 s4, 0, v43
	s_delay_alu instid0(VALU_DEP_1) | instskip(SKIP_1) | instid1(VALU_DEP_1)
	v_cndmask_b32_e64 v43, v45, v47, s4
	v_cmp_eq_u32_e64 s4, 0, v4
	v_cndmask_b32_e64 v4, v32, v44, s4
	s_delay_alu instid0(VALU_DEP_3) | instskip(NEXT) | instid1(VALU_DEP_2)
	v_mul_f32_e32 v32, 0x37800000, v43
	v_xor3_b32 v4, v42, v4, v37
	s_delay_alu instid0(VALU_DEP_2) | instskip(SKIP_1) | instid1(VALU_DEP_3)
	v_cndmask_b32_e32 v32, v43, v32, vcc_lo
	v_cmp_class_f32_e64 vcc_lo, v36, 0x260
	v_fma_f32 v37, v4, v4, 1.0
	s_delay_alu instid0(VALU_DEP_1) | instskip(NEXT) | instid1(VALU_DEP_1)
	v_dual_cndmask_b32 v32, v32, v36, vcc_lo :: v_dual_mul_f32 v36, v30, v37
	v_mul_f32_e32 v32, v32, v37
	s_delay_alu instid0(VALU_DEP_2) | instskip(NEXT) | instid1(VALU_DEP_2)
	v_fma_f32 v37, v30, v36, 1.0
	v_mul_f32_e32 v30, v30, v32
	s_delay_alu instid0(VALU_DEP_2) | instskip(NEXT) | instid1(VALU_DEP_2)
	v_div_scale_f32 v36, null, v37, v37, v4
	v_div_scale_f32 v32, null, v37, v37, v30
	v_div_scale_f32 v46, vcc_lo, v30, v37, v30
	s_delay_alu instid0(VALU_DEP_3) | instskip(NEXT) | instid1(VALU_DEP_2)
	v_rcp_f32_e32 v43, v36
	v_rcp_f32_e32 v42, v32
	s_delay_alu instid0(TRANS32_DEP_2) | instskip(NEXT) | instid1(TRANS32_DEP_1)
	v_fma_f32 v45, -v36, v43, 1.0
	v_fma_f32 v44, -v32, v42, 1.0
	s_delay_alu instid0(VALU_DEP_1) | instskip(SKIP_1) | instid1(VALU_DEP_1)
	v_dual_fmac_f32 v43, v45, v43 :: v_dual_fmac_f32 v42, v44, v42
	v_div_scale_f32 v44, s4, v4, v37, v4
	v_dual_mul_f32 v45, v46, v42 :: v_dual_mul_f32 v47, v44, v43
	s_delay_alu instid0(VALU_DEP_1) | instskip(NEXT) | instid1(VALU_DEP_2)
	v_fma_f32 v48, -v32, v45, v46
	v_fma_f32 v49, -v36, v47, v44
	s_delay_alu instid0(VALU_DEP_1) | instskip(NEXT) | instid1(VALU_DEP_1)
	v_dual_fmac_f32 v45, v48, v42 :: v_dual_fmac_f32 v47, v49, v43
	v_fma_f32 v32, -v32, v45, v46
	s_delay_alu instid0(VALU_DEP_2) | instskip(NEXT) | instid1(VALU_DEP_2)
	v_fma_f32 v36, -v36, v47, v44
	v_div_fmas_f32 v32, v32, v42, v45
	s_mov_b32 vcc_lo, s4
	s_delay_alu instid0(VALU_DEP_2) | instskip(NEXT) | instid1(VALU_DEP_2)
	v_div_fmas_f32 v42, v36, v43, v47
	v_div_fixup_f32 v36, v32, v37, v30
	s_delay_alu instid0(VALU_DEP_2)
	v_div_fixup_f32 v37, v42, v37, v4
                                        ; implicit-def: $vgpr42
.LBB156_177:                            ;   in Loop: Header=BB156_161 Depth=1
	s_and_not1_saveexec_b32 s25, s25
	s_cbranch_execz .LBB156_197
; %bb.178:                              ;   in Loop: Header=BB156_161 Depth=1
	s_delay_alu instid0(VALU_DEP_1) | instskip(SKIP_1) | instid1(SALU_CYCLE_1)
	v_cmp_ngt_f32_e64 s26, 0x48000000, |v37|
                                        ; implicit-def: $vgpr32
                                        ; implicit-def: $vgpr30
	s_and_saveexec_b32 s4, s26
	s_xor_b32 s27, exec_lo, s4
	s_cbranch_execz .LBB156_180
; %bb.179:                              ;   in Loop: Header=BB156_161 Depth=1
	v_and_or_b32 v4, v42, s16, 0x800000
	v_dual_mov_b32 v55, v5 :: v_dual_lshrrev_b32 v30, 23, v42
	v_mov_b32_e32 v57, v5
	s_delay_alu instid0(VALU_DEP_3) | instskip(NEXT) | instid1(VALU_DEP_3)
	v_mul_u64_e32 v[44:45], s[14:15], v[4:5]
	v_dual_mov_b32 v47, v5 :: v_dual_add_nc_u32 v30, 0xffffff88, v30
	s_delay_alu instid0(VALU_DEP_1) | instskip(SKIP_1) | instid1(VALU_DEP_1)
	v_cmp_lt_u32_e32 vcc_lo, 63, v30
	v_cndmask_b32_e64 v32, 0, 0xffffffc0, vcc_lo
	v_add_nc_u32_e32 v30, v32, v30
	s_delay_alu instid0(VALU_DEP_1) | instskip(NEXT) | instid1(VALU_DEP_1)
	v_cmp_lt_u32_e64 s4, 31, v30
	v_cndmask_b32_e64 v32, 0, 0xffffffe0, s4
	v_mov_b32_e32 v46, v45
	s_delay_alu instid0(VALU_DEP_1) | instskip(NEXT) | instid1(VALU_DEP_1)
	v_mad_nc_u64_u32 v[46:47], 0x3c439041, v4, v[46:47]
	v_dual_mov_b32 v49, v5 :: v_dual_mov_b32 v48, v47
	s_delay_alu instid0(VALU_DEP_1) | instskip(NEXT) | instid1(VALU_DEP_1)
	v_mad_nc_u64_u32 v[48:49], 0xdb629599, v4, v[48:49]
	v_dual_mov_b32 v51, v5 :: v_dual_mov_b32 v50, v49
	;; [unrolled: 3-line block ×3, first 2 shown]
	s_delay_alu instid0(VALU_DEP_1) | instskip(NEXT) | instid1(VALU_DEP_1)
	v_mad_nc_u64_u32 v[52:53], 0xfc2757d1, v4, v[52:53]
	v_dual_mov_b32 v54, v53 :: v_dual_cndmask_b32 v47, v52, v48
	s_delay_alu instid0(VALU_DEP_1) | instskip(NEXT) | instid1(VALU_DEP_1)
	v_mad_nc_u64_u32 v[54:55], 0x4e441529, v4, v[54:55]
	v_mov_b32_e32 v56, v55
	s_delay_alu instid0(VALU_DEP_1) | instskip(SKIP_1) | instid1(VALU_DEP_4)
	v_mad_nc_u64_u32 v[56:57], 0xa2f9836e, v4, v[56:57]
	v_add_nc_u32_e32 v4, v32, v30
	v_cndmask_b32_e32 v32, v54, v50, vcc_lo
	s_delay_alu instid0(VALU_DEP_2) | instskip(NEXT) | instid1(VALU_DEP_1)
	v_cmp_lt_u32_e64 s5, 31, v4
	v_cndmask_b32_e64 v30, 0, 0xffffffe0, s5
	v_dual_cndmask_b32 v43, v56, v52, vcc_lo :: v_dual_cndmask_b32 v45, v57, v54, vcc_lo
	s_delay_alu instid0(VALU_DEP_2) | instskip(NEXT) | instid1(VALU_DEP_2)
	v_add_nc_u32_e32 v4, v30, v4
	v_dual_cndmask_b32 v30, v50, v46, vcc_lo :: v_dual_cndmask_b32 v46, v43, v32, s4
	s_delay_alu instid0(VALU_DEP_3) | instskip(NEXT) | instid1(VALU_DEP_3)
	v_cndmask_b32_e64 v43, v45, v43, s4
	v_dual_cndmask_b32 v32, v32, v47, s4 :: v_dual_sub_nc_u32 v45, 32, v4
	s_delay_alu instid0(VALU_DEP_3) | instskip(NEXT) | instid1(VALU_DEP_2)
	v_cndmask_b32_e64 v47, v47, v30, s4
	v_dual_cndmask_b32 v43, v43, v46, s5 :: v_dual_cndmask_b32 v46, v46, v32, s5
	s_delay_alu instid0(VALU_DEP_2) | instskip(NEXT) | instid1(VALU_DEP_2)
	v_cndmask_b32_e64 v32, v32, v47, s5
	v_alignbit_b32 v49, v43, v46, v45
	v_cndmask_b32_e32 v44, v48, v44, vcc_lo
	v_cmp_eq_u32_e32 vcc_lo, 0, v4
	s_delay_alu instid0(VALU_DEP_4) | instskip(NEXT) | instid1(VALU_DEP_3)
	v_alignbit_b32 v48, v46, v32, v45
	v_dual_cndmask_b32 v4, v49, v43, vcc_lo :: v_dual_cndmask_b32 v30, v30, v44, s4
	s_delay_alu instid0(VALU_DEP_2) | instskip(NEXT) | instid1(VALU_DEP_2)
	v_cndmask_b32_e32 v43, v48, v46, vcc_lo
	v_bfe_u32 v44, v4, 29, 1
	s_delay_alu instid0(VALU_DEP_3) | instskip(NEXT) | instid1(VALU_DEP_3)
	v_cndmask_b32_e64 v30, v47, v30, s5
	v_alignbit_b32 v46, v4, v43, 30
	s_delay_alu instid0(VALU_DEP_3) | instskip(NEXT) | instid1(VALU_DEP_3)
	v_sub_nc_u32_e32 v47, 0, v44
	v_alignbit_b32 v45, v32, v30, v45
	s_delay_alu instid0(VALU_DEP_1) | instskip(NEXT) | instid1(VALU_DEP_1)
	v_dual_cndmask_b32 v32, v45, v32, vcc_lo :: v_dual_bitop2_b32 v46, v46, v47 bitop3:0x14
	v_clz_i32_u32_e32 v45, v46
	s_delay_alu instid0(VALU_DEP_2) | instskip(SKIP_1) | instid1(VALU_DEP_3)
	v_alignbit_b32 v43, v43, v32, 30
	v_alignbit_b32 v30, v32, v30, 30
	v_min_u32_e32 v45, 32, v45
	s_delay_alu instid0(VALU_DEP_3) | instskip(NEXT) | instid1(VALU_DEP_3)
	v_xor_b32_e32 v32, v43, v47
	v_dual_lshrrev_b32 v47, 29, v4 :: v_dual_bitop2_b32 v30, v30, v47 bitop3:0x14
	s_delay_alu instid0(VALU_DEP_3) | instskip(SKIP_1) | instid1(VALU_DEP_2)
	v_dual_lshrrev_b32 v4, 30, v4 :: v_dual_sub_nc_u32 v43, 31, v45
	v_lshlrev_b32_e32 v48, 23, v45
	v_alignbit_b32 v46, v46, v32, v43
	s_delay_alu instid0(VALU_DEP_4) | instskip(SKIP_1) | instid1(VALU_DEP_2)
	v_alignbit_b32 v30, v32, v30, v43
	v_lshlrev_b32_e32 v32, 31, v47
	v_alignbit_b32 v43, v46, v30, 9
	s_delay_alu instid0(VALU_DEP_2) | instskip(SKIP_1) | instid1(VALU_DEP_3)
	v_dual_lshrrev_b32 v46, 9, v46 :: v_dual_bitop2_b32 v47, 0.5, v32 bitop3:0x54
	v_or_b32_e32 v32, 0x33000000, v32
	v_clz_i32_u32_e32 v49, v43
	s_delay_alu instid0(VALU_DEP_3) | instskip(NEXT) | instid1(VALU_DEP_2)
	v_sub_nc_u32_e32 v47, v47, v48
	v_min_u32_e32 v48, 32, v49
	s_delay_alu instid0(VALU_DEP_1) | instskip(NEXT) | instid1(VALU_DEP_1)
	v_add_lshl_u32 v45, v48, v45, 23
	v_dual_sub_nc_u32 v32, v32, v45 :: v_dual_bitop2_b32 v46, v46, v47 bitop3:0x54
	v_not_b32_e32 v47, v48
	s_delay_alu instid0(VALU_DEP_1) | instskip(NEXT) | instid1(VALU_DEP_1)
	v_alignbit_b32 v30, v43, v30, v47
	v_lshrrev_b32_e32 v30, 9, v30
	s_delay_alu instid0(VALU_DEP_4) | instskip(NEXT) | instid1(VALU_DEP_2)
	v_mul_f32_e32 v49, 0x3fc90fda, v46
	v_or_b32_e32 v30, v32, v30
	s_delay_alu instid0(VALU_DEP_2) | instskip(NEXT) | instid1(VALU_DEP_1)
	v_fma_f32 v43, 0x3fc90fda, v46, -v49
	v_dual_fmac_f32 v43, 0x33a22168, v46 :: v_dual_add_nc_u32 v32, v44, v4
	s_delay_alu instid0(VALU_DEP_1) | instskip(NEXT) | instid1(VALU_DEP_1)
	v_fmac_f32_e32 v43, 0x3fc90fda, v30
	v_add_f32_e32 v30, v49, v43
	s_and_not1_saveexec_b32 s4, s27
	s_branch .LBB156_181
.LBB156_180:                            ;   in Loop: Header=BB156_161 Depth=1
	s_and_not1_saveexec_b32 s4, s27
.LBB156_181:                            ;   in Loop: Header=BB156_161 Depth=1
	v_mul_f32_e64 v4, 0x3f22f983, |v37|
	s_delay_alu instid0(VALU_DEP_1) | instskip(NEXT) | instid1(VALU_DEP_1)
	v_rndne_f32_e32 v4, v4
	v_fma_f32 v30, 0xbfc90fda, v4, |v37|
	v_cvt_i32_f32_e32 v32, v4
	s_delay_alu instid0(VALU_DEP_2) | instskip(NEXT) | instid1(VALU_DEP_1)
	v_fmac_f32_e32 v30, 0xb3a22168, v4
	v_fmac_f32_e32 v30, 0xa7c234c4, v4
; %bb.182:                              ;   in Loop: Header=BB156_161 Depth=1
	s_or_b32 exec_lo, exec_lo, s4
                                        ; implicit-def: $vgpr43
                                        ; implicit-def: $vgpr4
	s_and_saveexec_b32 s4, s26
	s_delay_alu instid0(SALU_CYCLE_1)
	s_xor_b32 s26, exec_lo, s4
	s_cbranch_execz .LBB156_184
; %bb.183:                              ;   in Loop: Header=BB156_161 Depth=1
	v_and_or_b32 v4, v42, s16, 0x800000
	v_dual_lshrrev_b32 v43, 23, v42 :: v_dual_mov_b32 v55, v5
	s_delay_alu instid0(VALU_DEP_2) | instskip(SKIP_1) | instid1(VALU_DEP_3)
	v_mul_u64_e32 v[44:45], s[14:15], v[4:5]
	v_mov_b32_e32 v47, v5
	v_add_nc_u32_e32 v43, 0xffffff88, v43
	s_delay_alu instid0(VALU_DEP_1) | instskip(NEXT) | instid1(VALU_DEP_4)
	v_cmp_lt_u32_e32 vcc_lo, 63, v43
	v_mov_b32_e32 v46, v45
	v_cndmask_b32_e64 v45, 0, 0xffffffc0, vcc_lo
	s_delay_alu instid0(VALU_DEP_2) | instskip(NEXT) | instid1(VALU_DEP_1)
	v_mad_nc_u64_u32 v[46:47], 0x3c439041, v4, v[46:47]
	v_dual_mov_b32 v49, v5 :: v_dual_mov_b32 v48, v47
	s_delay_alu instid0(VALU_DEP_1) | instskip(NEXT) | instid1(VALU_DEP_1)
	v_mad_nc_u64_u32 v[48:49], 0xdb629599, v4, v[48:49]
	v_dual_mov_b32 v51, v5 :: v_dual_mov_b32 v50, v49
	s_delay_alu instid0(VALU_DEP_2) | instskip(NEXT) | instid1(VALU_DEP_2)
	v_cndmask_b32_e32 v44, v48, v44, vcc_lo
	v_mad_nc_u64_u32 v[50:51], 0xf534ddc0, v4, v[50:51]
	s_delay_alu instid0(VALU_DEP_1) | instskip(NEXT) | instid1(VALU_DEP_1)
	v_dual_mov_b32 v53, v5 :: v_dual_mov_b32 v52, v51
	v_mad_nc_u64_u32 v[52:53], 0xfc2757d1, v4, v[52:53]
	s_delay_alu instid0(VALU_DEP_1) | instskip(NEXT) | instid1(VALU_DEP_1)
	v_dual_mov_b32 v54, v53 :: v_dual_cndmask_b32 v51, v52, v48
	v_mad_nc_u64_u32 v[54:55], 0x4e441529, v4, v[54:55]
	v_add_nc_u32_e32 v43, v45, v43
	s_delay_alu instid0(VALU_DEP_2) | instskip(NEXT) | instid1(VALU_DEP_2)
	v_dual_mov_b32 v57, v5 :: v_dual_mov_b32 v56, v55
	v_cmp_lt_u32_e64 s4, 31, v43
	s_delay_alu instid0(VALU_DEP_2) | instskip(NEXT) | instid1(VALU_DEP_2)
	v_mad_nc_u64_u32 v[56:57], 0xa2f9836e, v4, v[56:57]
	v_cndmask_b32_e64 v45, 0, 0xffffffe0, s4
	s_delay_alu instid0(VALU_DEP_1) | instskip(NEXT) | instid1(VALU_DEP_3)
	v_dual_cndmask_b32 v45, v54, v50 :: v_dual_add_nc_u32 v4, v45, v43
	v_cndmask_b32_e32 v47, v56, v52, vcc_lo
	s_delay_alu instid0(VALU_DEP_2) | instskip(SKIP_1) | instid1(VALU_DEP_2)
	v_cmp_lt_u32_e64 s5, 31, v4
	v_cndmask_b32_e32 v49, v57, v54, vcc_lo
	v_cndmask_b32_e64 v43, 0, 0xffffffe0, s5
	s_delay_alu instid0(VALU_DEP_1) | instskip(NEXT) | instid1(VALU_DEP_3)
	v_dual_cndmask_b32 v43, v50, v46 :: v_dual_add_nc_u32 v4, v43, v4
	v_dual_cndmask_b32 v46, v47, v45, s4 :: v_dual_cndmask_b32 v47, v49, v47, s4
	s_delay_alu instid0(VALU_DEP_2) | instskip(NEXT) | instid1(VALU_DEP_3)
	v_dual_cndmask_b32 v45, v45, v51, s4 :: v_dual_sub_nc_u32 v49, 32, v4
	v_cndmask_b32_e64 v50, v51, v43, s4
	v_cmp_eq_u32_e32 vcc_lo, 0, v4
	s_delay_alu instid0(VALU_DEP_3) | instskip(NEXT) | instid1(VALU_DEP_1)
	v_dual_cndmask_b32 v47, v47, v46, s5 :: v_dual_cndmask_b32 v46, v46, v45, s5
	v_alignbit_b32 v51, v47, v46, v49
	s_delay_alu instid0(VALU_DEP_1) | instskip(NEXT) | instid1(VALU_DEP_1)
	v_dual_cndmask_b32 v45, v45, v50, s5 :: v_dual_cndmask_b32 v4, v51, v47, vcc_lo
	v_alignbit_b32 v48, v46, v45, v49
	s_delay_alu instid0(VALU_DEP_1) | instskip(NEXT) | instid1(VALU_DEP_3)
	v_dual_cndmask_b32 v43, v43, v44, s4 :: v_dual_cndmask_b32 v44, v48, v46, vcc_lo
	v_bfe_u32 v46, v4, 29, 1
	s_delay_alu instid0(VALU_DEP_2) | instskip(NEXT) | instid1(VALU_DEP_3)
	v_cndmask_b32_e64 v43, v50, v43, s5
	v_alignbit_b32 v47, v4, v44, 30
	s_delay_alu instid0(VALU_DEP_3) | instskip(NEXT) | instid1(VALU_DEP_3)
	v_sub_nc_u32_e32 v48, 0, v46
	v_alignbit_b32 v49, v45, v43, v49
	s_delay_alu instid0(VALU_DEP_1) | instskip(NEXT) | instid1(VALU_DEP_1)
	v_dual_cndmask_b32 v45, v49, v45, vcc_lo :: v_dual_bitop2_b32 v47, v47, v48 bitop3:0x14
	v_clz_i32_u32_e32 v49, v47
	s_delay_alu instid0(VALU_DEP_2) | instskip(SKIP_1) | instid1(VALU_DEP_3)
	v_alignbit_b32 v44, v44, v45, 30
	v_alignbit_b32 v43, v45, v43, 30
	v_min_u32_e32 v49, 32, v49
	s_delay_alu instid0(VALU_DEP_3) | instskip(NEXT) | instid1(VALU_DEP_3)
	v_xor_b32_e32 v44, v44, v48
	v_xor_b32_e32 v43, v43, v48
	s_delay_alu instid0(VALU_DEP_3) | instskip(SKIP_1) | instid1(VALU_DEP_1)
	v_dual_lshrrev_b32 v48, 29, v4 :: v_dual_lshlrev_b32 v50, 23, v49
	v_sub_nc_u32_e32 v45, 31, v49
	v_alignbit_b32 v47, v47, v44, v45
	s_delay_alu instid0(VALU_DEP_4) | instskip(NEXT) | instid1(VALU_DEP_4)
	v_alignbit_b32 v43, v44, v43, v45
	v_lshlrev_b32_e32 v44, 31, v48
	s_delay_alu instid0(VALU_DEP_2) | instskip(NEXT) | instid1(VALU_DEP_2)
	v_alignbit_b32 v45, v47, v43, 9
	v_dual_lshrrev_b32 v47, 9, v47 :: v_dual_bitop2_b32 v48, 0.5, v44 bitop3:0x54
	v_or_b32_e32 v44, 0x33000000, v44
	s_delay_alu instid0(VALU_DEP_3) | instskip(NEXT) | instid1(VALU_DEP_3)
	v_clz_i32_u32_e32 v51, v45
	v_sub_nc_u32_e32 v48, v48, v50
	s_delay_alu instid0(VALU_DEP_2) | instskip(NEXT) | instid1(VALU_DEP_1)
	v_min_u32_e32 v50, 32, v51
	v_add_lshl_u32 v49, v50, v49, 23
	s_delay_alu instid0(VALU_DEP_3) | instskip(SKIP_1) | instid1(VALU_DEP_2)
	v_or_b32_e32 v47, v47, v48
	v_not_b32_e32 v48, v50
	v_dual_mul_f32 v51, 0x3fc90fda, v47 :: v_dual_sub_nc_u32 v44, v44, v49
	s_delay_alu instid0(VALU_DEP_2) | instskip(NEXT) | instid1(VALU_DEP_2)
	v_alignbit_b32 v43, v45, v43, v48
	v_fma_f32 v45, 0x3fc90fda, v47, -v51
	s_delay_alu instid0(VALU_DEP_2) | instskip(NEXT) | instid1(VALU_DEP_2)
	v_lshrrev_b32_e32 v43, 9, v43
	v_fmac_f32_e32 v45, 0x33a22168, v47
	s_delay_alu instid0(VALU_DEP_2) | instskip(NEXT) | instid1(VALU_DEP_1)
	v_or_b32_e32 v43, v44, v43
	v_fmac_f32_e32 v45, 0x3fc90fda, v43
	s_delay_alu instid0(VALU_DEP_1) | instskip(NEXT) | instid1(VALU_DEP_1)
	v_dual_add_f32 v4, v51, v45 :: v_dual_lshrrev_b32 v43, 30, v4
	v_add_nc_u32_e32 v43, v46, v43
	s_and_not1_saveexec_b32 s4, s26
	s_cbranch_execnz .LBB156_185
	s_branch .LBB156_186
.LBB156_184:                            ;   in Loop: Header=BB156_161 Depth=1
	s_and_not1_saveexec_b32 s4, s26
.LBB156_185:                            ;   in Loop: Header=BB156_161 Depth=1
	v_mul_f32_e64 v4, 0x3f22f983, |v37|
	s_delay_alu instid0(VALU_DEP_1) | instskip(NEXT) | instid1(VALU_DEP_1)
	v_rndne_f32_e32 v43, v4
	v_fma_f32 v4, 0xbfc90fda, v43, |v37|
	s_delay_alu instid0(VALU_DEP_1) | instskip(NEXT) | instid1(VALU_DEP_1)
	v_fmac_f32_e32 v4, 0xb3a22168, v43
	v_fmac_f32_e32 v4, 0xa7c234c4, v43
	v_cvt_i32_f32_e32 v43, v43
.LBB156_186:                            ;   in Loop: Header=BB156_161 Depth=1
	s_or_b32 exec_lo, exec_lo, s4
	v_dual_mul_f32 v44, v30, v30 :: v_dual_bitop2_b32 v45, 1, v32 bitop3:0x40
	v_mul_f32_e64 v46, 0xbfb8aa3b, |v36|
	s_delay_alu instid0(VALU_DEP_2) | instskip(SKIP_1) | instid1(VALU_DEP_3)
	v_fmaak_f32 v47, s21, v44, 0x3c0881c4
	v_lshlrev_b32_e32 v32, 30, v32
	v_fma_f32 v50, 0xbfb8aa3b, |v36|, -v46
	v_cmp_eq_u32_e32 vcc_lo, 0, v45
	s_delay_alu instid0(VALU_DEP_4)
	v_fmaak_f32 v47, v44, v47, 0xbe2aaa9d
	v_fmaak_f32 v48, s22, v44, 0xbab64f3b
	v_bitop3_b32 v32, v42, v32, 0x80000000 bitop3:0x78
	v_rndne_f32_e32 v42, v46
	v_fma_f32 v50, 0xb2a5705f, |v36|, v50
	v_mul_f32_e32 v47, v44, v47
	v_mul_f32_e32 v49, v4, v4
	v_fmaak_f32 v48, v44, v48, 0x3d2aabf7
	v_sub_f32_e32 v46, v46, v42
	v_cvt_i32_f32_e32 v42, v42
	s_delay_alu instid0(VALU_DEP_4) | instskip(NEXT) | instid1(VALU_DEP_4)
	v_dual_fmac_f32 v30, v30, v47 :: v_dual_fmaak_f32 v51, s21, v49, 0x3c0881c4
	v_fmaak_f32 v48, v44, v48, 0xbf000004
	v_fmaak_f32 v52, s22, v49, 0xbab64f3b
	v_add_f32_e32 v46, v46, v50
	s_delay_alu instid0(VALU_DEP_3) | instskip(SKIP_1) | instid1(VALU_DEP_3)
	v_fma_f32 v44, v44, v48, 1.0
	v_fmaak_f32 v51, v49, v51, 0xbe2aaa9d
	v_exp_f32_e32 v45, v46
	s_delay_alu instid0(VALU_DEP_2) | instskip(NEXT) | instid1(VALU_DEP_2)
	v_dual_cndmask_b32 v30, v44, v30, vcc_lo :: v_dual_bitop2_b32 v46, 1, v43 bitop3:0x40
	v_dual_fmaak_f32 v47, v49, v52, 0x3d2aabf7 :: v_dual_mul_f32 v48, v49, v51
	s_delay_alu instid0(VALU_DEP_2) | instskip(NEXT) | instid1(VALU_DEP_3)
	v_cmp_eq_u32_e32 vcc_lo, 0, v46
	v_xor3_b32 v30, v32, v30, v37
	s_delay_alu instid0(VALU_DEP_3) | instskip(NEXT) | instid1(VALU_DEP_4)
	v_fmaak_f32 v44, v49, v47, 0xbf000004
	v_fmac_f32_e32 v4, v4, v48
	v_ldexp_f32 v32, v45, v42
	s_delay_alu instid0(VALU_DEP_4) | instskip(NEXT) | instid1(VALU_DEP_4)
	v_dual_mul_f32 v30, 4.0, v30 :: v_dual_lshlrev_b32 v37, 30, v43
	v_fma_f32 v44, v49, v44, 1.0
	s_delay_alu instid0(VALU_DEP_1) | instskip(SKIP_1) | instid1(VALU_DEP_2)
	v_cndmask_b32_e64 v4, -v4, v44, vcc_lo
	v_cmp_nlt_f32_e64 vcc_lo, 0x42ce8ed0, |v36|
	v_bitop3_b32 v4, v37, v4, 0x80000000 bitop3:0x6c
	v_cndmask_b32_e32 v32, 0, v32, vcc_lo
	v_cmp_ngt_f32_e64 vcc_lo, 0xc2b17218, |v36|
	v_bfi_b32 v36, 0x7fffffff, 1.0, v36
	s_delay_alu instid0(VALU_DEP_4) | instskip(NEXT) | instid1(VALU_DEP_4)
	v_mul_f32_e32 v4, v30, v4
	v_cndmask_b32_e32 v32, 0x7f800000, v32, vcc_lo
	s_delay_alu instid0(VALU_DEP_1) | instskip(NEXT) | instid1(VALU_DEP_1)
	v_mul_f32_e32 v4, v32, v4
	v_mul_f32_e32 v37, v32, v4
	s_or_b32 exec_lo, exec_lo, s25
.LBB156_187:                            ;   in Loop: Header=BB156_161 Depth=1
	s_and_not1_saveexec_b32 s4, s24
.LBB156_188:                            ;   in Loop: Header=BB156_161 Depth=1
	s_delay_alu instid0(VALU_DEP_1) | instskip(NEXT) | instid1(VALU_DEP_1)
	v_sub_f32_e32 v37, v37, v37
	v_mov_b32_e32 v36, v37
.LBB156_189:                            ;   in Loop: Header=BB156_161 Depth=1
	s_or_b32 exec_lo, exec_lo, s4
.LBB156_190:                            ;   in Loop: Header=BB156_161 Depth=1
	s_and_not1_saveexec_b32 s23, s23
	s_cbranch_execz .LBB156_207
; %bb.191:                              ;   in Loop: Header=BB156_161 Depth=1
	s_delay_alu instid0(VALU_DEP_1) | instskip(SKIP_1) | instid1(VALU_DEP_1)
	v_and_b32_e32 v4, 0x7fffff, v36
	s_mov_b32 s4, exec_lo
	v_cmpx_ne_u32_e32 0, v4
	s_xor_b32 s4, exec_lo, s4
; %bb.192:                              ;   in Loop: Header=BB156_161 Depth=1
	v_mul_f32_e32 v4, v37, v36
	v_cmp_eq_f32_e32 vcc_lo, 0, v37
	s_delay_alu instid0(VALU_DEP_2)
	v_cndmask_b32_e32 v37, v4, v37, vcc_lo
; %bb.193:                              ;   in Loop: Header=BB156_161 Depth=1
	s_and_not1_saveexec_b32 s24, s4
	s_cbranch_execz .LBB156_206
; %bb.194:                              ;   in Loop: Header=BB156_161 Depth=1
	s_mov_b32 s25, exec_lo
	s_delay_alu instid0(VALU_DEP_1)
	v_cmpx_neq_f32_e64 0x7f800000, |v37|
	s_cbranch_execz .LBB156_205
; %bb.195:                              ;   in Loop: Header=BB156_161 Depth=1
	v_and_b32_e32 v30, 0x7fffffff, v37
	v_cmp_ngt_f32_e64 s26, 0x48000000, |v37|
                                        ; implicit-def: $vgpr42
                                        ; implicit-def: $vgpr32
	s_and_saveexec_b32 s4, s26
	s_delay_alu instid0(SALU_CYCLE_1)
	s_xor_b32 s27, exec_lo, s4
	s_cbranch_execz .LBB156_198
; %bb.196:                              ;   in Loop: Header=BB156_161 Depth=1
	v_and_or_b32 v4, v30, s16, 0x800000
	v_dual_mov_b32 v53, v5 :: v_dual_lshrrev_b32 v32, 23, v30
	v_mov_b32_e32 v55, v5
	s_delay_alu instid0(VALU_DEP_3) | instskip(NEXT) | instid1(VALU_DEP_1)
	v_mul_u64_e32 v[42:43], s[14:15], v[4:5]
	v_dual_mov_b32 v45, v5 :: v_dual_mov_b32 v44, v43
	s_delay_alu instid0(VALU_DEP_1) | instskip(NEXT) | instid1(VALU_DEP_1)
	v_mad_nc_u64_u32 v[44:45], 0x3c439041, v4, v[44:45]
	v_dual_mov_b32 v47, v5 :: v_dual_mov_b32 v46, v45
	s_delay_alu instid0(VALU_DEP_1) | instskip(NEXT) | instid1(VALU_DEP_1)
	v_mad_nc_u64_u32 v[46:47], 0xdb629599, v4, v[46:47]
	v_dual_mov_b32 v49, v5 :: v_dual_mov_b32 v48, v47
	s_delay_alu instid0(VALU_DEP_1) | instskip(NEXT) | instid1(VALU_DEP_1)
	v_mad_nc_u64_u32 v[48:49], 0xf534ddc0, v4, v[48:49]
	v_dual_mov_b32 v51, v5 :: v_dual_mov_b32 v50, v49
	s_delay_alu instid0(VALU_DEP_1) | instskip(NEXT) | instid1(VALU_DEP_1)
	v_mad_nc_u64_u32 v[50:51], 0xfc2757d1, v4, v[50:51]
	v_mov_b32_e32 v52, v51
	s_delay_alu instid0(VALU_DEP_1) | instskip(NEXT) | instid1(VALU_DEP_1)
	v_mad_nc_u64_u32 v[52:53], 0x4e441529, v4, v[52:53]
	v_mov_b32_e32 v54, v53
	s_delay_alu instid0(VALU_DEP_1) | instskip(SKIP_1) | instid1(VALU_DEP_1)
	v_mad_nc_u64_u32 v[54:55], 0xa2f9836e, v4, v[54:55]
	v_add_nc_u32_e32 v32, 0xffffff88, v32
	v_cmp_lt_u32_e32 vcc_lo, 63, v32
	v_cndmask_b32_e64 v43, 0, 0xffffffc0, vcc_lo
	s_delay_alu instid0(VALU_DEP_4) | instskip(SKIP_1) | instid1(VALU_DEP_3)
	v_cndmask_b32_e32 v45, v54, v50, vcc_lo
	v_cndmask_b32_e32 v49, v50, v46, vcc_lo
	v_dual_cndmask_b32 v42, v46, v42, vcc_lo :: v_dual_add_nc_u32 v32, v43, v32
	s_delay_alu instid0(VALU_DEP_1) | instskip(SKIP_1) | instid1(VALU_DEP_2)
	v_cmp_lt_u32_e64 s4, 31, v32
	v_cndmask_b32_e32 v47, v55, v52, vcc_lo
	v_cndmask_b32_e64 v43, 0, 0xffffffe0, s4
	s_delay_alu instid0(VALU_DEP_1) | instskip(SKIP_1) | instid1(VALU_DEP_2)
	v_add_nc_u32_e32 v4, v43, v32
	v_cndmask_b32_e32 v43, v52, v48, vcc_lo
	v_cmp_lt_u32_e64 s5, 31, v4
	s_delay_alu instid0(VALU_DEP_1) | instskip(NEXT) | instid1(VALU_DEP_1)
	v_cndmask_b32_e64 v32, 0, 0xffffffe0, s5
	v_add_nc_u32_e32 v4, v32, v4
	s_delay_alu instid0(VALU_DEP_4) | instskip(SKIP_1) | instid1(VALU_DEP_3)
	v_dual_cndmask_b32 v32, v48, v44, vcc_lo :: v_dual_cndmask_b32 v44, v45, v43, s4
	v_cndmask_b32_e64 v45, v47, v45, s4
	v_dual_cndmask_b32 v43, v43, v49, s4 :: v_dual_sub_nc_u32 v47, 32, v4
	v_cmp_eq_u32_e32 vcc_lo, 0, v4
	s_delay_alu instid0(VALU_DEP_3) | instskip(NEXT) | instid1(VALU_DEP_3)
	v_cndmask_b32_e64 v45, v45, v44, s5
	v_dual_cndmask_b32 v48, v49, v32, s4 :: v_dual_cndmask_b32 v44, v44, v43, s5
	s_delay_alu instid0(VALU_DEP_1) | instskip(NEXT) | instid1(VALU_DEP_1)
	v_alignbit_b32 v49, v45, v44, v47
	v_dual_cndmask_b32 v43, v43, v48, s5 :: v_dual_cndmask_b32 v4, v49, v45, vcc_lo
	s_delay_alu instid0(VALU_DEP_1) | instskip(NEXT) | instid1(VALU_DEP_1)
	v_alignbit_b32 v46, v44, v43, v47
	v_dual_cndmask_b32 v32, v32, v42, s4 :: v_dual_cndmask_b32 v42, v46, v44, vcc_lo
	s_delay_alu instid0(VALU_DEP_3) | instskip(NEXT) | instid1(VALU_DEP_2)
	v_bfe_u32 v44, v4, 29, 1
	v_alignbit_b32 v45, v4, v42, 30
	s_delay_alu instid0(VALU_DEP_2) | instskip(NEXT) | instid1(VALU_DEP_1)
	v_sub_nc_u32_e32 v46, 0, v44
	v_dual_cndmask_b32 v32, v48, v32, s5 :: v_dual_bitop2_b32 v45, v45, v46 bitop3:0x14
	s_delay_alu instid0(VALU_DEP_1) | instskip(NEXT) | instid1(VALU_DEP_1)
	v_alignbit_b32 v47, v43, v32, v47
	v_cndmask_b32_e32 v43, v47, v43, vcc_lo
	s_delay_alu instid0(VALU_DEP_3) | instskip(NEXT) | instid1(VALU_DEP_2)
	v_clz_i32_u32_e32 v47, v45
	v_alignbit_b32 v42, v42, v43, 30
	s_delay_alu instid0(VALU_DEP_2) | instskip(SKIP_1) | instid1(VALU_DEP_2)
	v_min_u32_e32 v47, 32, v47
	v_alignbit_b32 v32, v43, v32, 30
	v_dual_sub_nc_u32 v43, 31, v47 :: v_dual_bitop2_b32 v42, v42, v46 bitop3:0x14
	s_delay_alu instid0(VALU_DEP_2) | instskip(SKIP_1) | instid1(VALU_DEP_3)
	v_dual_lshrrev_b32 v46, 29, v4 :: v_dual_bitop2_b32 v32, v32, v46 bitop3:0x14
	v_lshlrev_b32_e32 v48, 23, v47
	v_alignbit_b32 v45, v45, v42, v43
	s_delay_alu instid0(VALU_DEP_3) | instskip(NEXT) | instid1(VALU_DEP_4)
	v_alignbit_b32 v32, v42, v32, v43
	v_lshlrev_b32_e32 v42, 31, v46
	s_delay_alu instid0(VALU_DEP_2) | instskip(NEXT) | instid1(VALU_DEP_2)
	v_alignbit_b32 v43, v45, v32, 9
	v_dual_lshrrev_b32 v45, 9, v45 :: v_dual_bitop2_b32 v46, 0.5, v42 bitop3:0x54
	v_or_b32_e32 v42, 0x33000000, v42
	s_delay_alu instid0(VALU_DEP_3) | instskip(NEXT) | instid1(VALU_DEP_3)
	v_clz_i32_u32_e32 v49, v43
	v_sub_nc_u32_e32 v46, v46, v48
	s_delay_alu instid0(VALU_DEP_2) | instskip(NEXT) | instid1(VALU_DEP_1)
	v_min_u32_e32 v48, 32, v49
	v_add_lshl_u32 v47, v48, v47, 23
	s_delay_alu instid0(VALU_DEP_3) | instskip(SKIP_1) | instid1(VALU_DEP_2)
	v_or_b32_e32 v45, v45, v46
	v_not_b32_e32 v46, v48
	v_dual_mul_f32 v49, 0x3fc90fda, v45 :: v_dual_sub_nc_u32 v42, v42, v47
	s_delay_alu instid0(VALU_DEP_2) | instskip(NEXT) | instid1(VALU_DEP_2)
	v_alignbit_b32 v32, v43, v32, v46
	v_fma_f32 v43, 0x3fc90fda, v45, -v49
	s_delay_alu instid0(VALU_DEP_1) | instskip(NEXT) | instid1(VALU_DEP_1)
	v_dual_fmac_f32 v43, 0x33a22168, v45 :: v_dual_lshrrev_b32 v32, 9, v32
	v_or_b32_e32 v32, v42, v32
	s_delay_alu instid0(VALU_DEP_1) | instskip(NEXT) | instid1(VALU_DEP_1)
	v_fmac_f32_e32 v43, 0x3fc90fda, v32
	v_dual_lshrrev_b32 v4, 30, v4 :: v_dual_add_f32 v32, v49, v43
	s_delay_alu instid0(VALU_DEP_1)
	v_add_nc_u32_e32 v42, v44, v4
	s_and_not1_saveexec_b32 s4, s27
	s_branch .LBB156_199
.LBB156_197:                            ;   in Loop: Header=BB156_161 Depth=1
	s_or_b32 exec_lo, exec_lo, s25
	s_and_not1_saveexec_b32 s4, s24
	s_cbranch_execnz .LBB156_188
	s_branch .LBB156_189
.LBB156_198:                            ;   in Loop: Header=BB156_161 Depth=1
	s_and_not1_saveexec_b32 s4, s27
.LBB156_199:                            ;   in Loop: Header=BB156_161 Depth=1
	v_mul_f32_e64 v4, 0x3f22f983, |v37|
	s_delay_alu instid0(VALU_DEP_1) | instskip(NEXT) | instid1(VALU_DEP_1)
	v_rndne_f32_e32 v4, v4
	v_fma_f32 v32, 0xbfc90fda, v4, |v37|
	v_cvt_i32_f32_e32 v42, v4
	s_delay_alu instid0(VALU_DEP_2) | instskip(NEXT) | instid1(VALU_DEP_1)
	v_fmac_f32_e32 v32, 0xb3a22168, v4
	v_fmac_f32_e32 v32, 0xa7c234c4, v4
; %bb.200:                              ;   in Loop: Header=BB156_161 Depth=1
	s_or_b32 exec_lo, exec_lo, s4
                                        ; implicit-def: $vgpr43
                                        ; implicit-def: $vgpr4
	s_and_saveexec_b32 s4, s26
	s_delay_alu instid0(SALU_CYCLE_1)
	s_xor_b32 s26, exec_lo, s4
	s_cbranch_execz .LBB156_202
; %bb.201:                              ;   in Loop: Header=BB156_161 Depth=1
	v_and_or_b32 v4, v30, s16, 0x800000
	v_dual_lshrrev_b32 v43, 23, v30 :: v_dual_mov_b32 v55, v5
	s_delay_alu instid0(VALU_DEP_2) | instskip(SKIP_1) | instid1(VALU_DEP_3)
	v_mul_u64_e32 v[44:45], s[14:15], v[4:5]
	v_mov_b32_e32 v47, v5
	v_add_nc_u32_e32 v43, 0xffffff88, v43
	s_delay_alu instid0(VALU_DEP_1) | instskip(NEXT) | instid1(VALU_DEP_4)
	v_cmp_lt_u32_e32 vcc_lo, 63, v43
	v_mov_b32_e32 v46, v45
	v_cndmask_b32_e64 v45, 0, 0xffffffc0, vcc_lo
	s_delay_alu instid0(VALU_DEP_2) | instskip(NEXT) | instid1(VALU_DEP_1)
	v_mad_nc_u64_u32 v[46:47], 0x3c439041, v4, v[46:47]
	v_dual_mov_b32 v49, v5 :: v_dual_mov_b32 v48, v47
	s_delay_alu instid0(VALU_DEP_1) | instskip(NEXT) | instid1(VALU_DEP_1)
	v_mad_nc_u64_u32 v[48:49], 0xdb629599, v4, v[48:49]
	v_dual_mov_b32 v51, v5 :: v_dual_mov_b32 v50, v49
	s_delay_alu instid0(VALU_DEP_2) | instskip(NEXT) | instid1(VALU_DEP_2)
	v_cndmask_b32_e32 v44, v48, v44, vcc_lo
	v_mad_nc_u64_u32 v[50:51], 0xf534ddc0, v4, v[50:51]
	s_delay_alu instid0(VALU_DEP_1) | instskip(NEXT) | instid1(VALU_DEP_1)
	v_dual_mov_b32 v53, v5 :: v_dual_mov_b32 v52, v51
	v_mad_nc_u64_u32 v[52:53], 0xfc2757d1, v4, v[52:53]
	s_delay_alu instid0(VALU_DEP_1) | instskip(NEXT) | instid1(VALU_DEP_1)
	v_dual_mov_b32 v54, v53 :: v_dual_cndmask_b32 v51, v52, v48
	v_mad_nc_u64_u32 v[54:55], 0x4e441529, v4, v[54:55]
	v_add_nc_u32_e32 v43, v45, v43
	s_delay_alu instid0(VALU_DEP_2) | instskip(NEXT) | instid1(VALU_DEP_2)
	v_dual_mov_b32 v57, v5 :: v_dual_mov_b32 v56, v55
	v_cmp_lt_u32_e64 s4, 31, v43
	s_delay_alu instid0(VALU_DEP_2) | instskip(NEXT) | instid1(VALU_DEP_2)
	v_mad_nc_u64_u32 v[56:57], 0xa2f9836e, v4, v[56:57]
	v_cndmask_b32_e64 v45, 0, 0xffffffe0, s4
	s_delay_alu instid0(VALU_DEP_1) | instskip(NEXT) | instid1(VALU_DEP_3)
	v_dual_cndmask_b32 v45, v54, v50 :: v_dual_add_nc_u32 v4, v45, v43
	v_cndmask_b32_e32 v47, v56, v52, vcc_lo
	s_delay_alu instid0(VALU_DEP_2) | instskip(SKIP_1) | instid1(VALU_DEP_2)
	v_cmp_lt_u32_e64 s5, 31, v4
	v_cndmask_b32_e32 v49, v57, v54, vcc_lo
	v_cndmask_b32_e64 v43, 0, 0xffffffe0, s5
	s_delay_alu instid0(VALU_DEP_1) | instskip(NEXT) | instid1(VALU_DEP_3)
	v_dual_cndmask_b32 v43, v50, v46 :: v_dual_add_nc_u32 v4, v43, v4
	v_dual_cndmask_b32 v46, v47, v45, s4 :: v_dual_cndmask_b32 v47, v49, v47, s4
	s_delay_alu instid0(VALU_DEP_2) | instskip(NEXT) | instid1(VALU_DEP_3)
	v_dual_cndmask_b32 v45, v45, v51, s4 :: v_dual_sub_nc_u32 v49, 32, v4
	v_cndmask_b32_e64 v50, v51, v43, s4
	v_cmp_eq_u32_e32 vcc_lo, 0, v4
	s_delay_alu instid0(VALU_DEP_3) | instskip(NEXT) | instid1(VALU_DEP_1)
	v_dual_cndmask_b32 v47, v47, v46, s5 :: v_dual_cndmask_b32 v46, v46, v45, s5
	v_alignbit_b32 v51, v47, v46, v49
	s_delay_alu instid0(VALU_DEP_1) | instskip(NEXT) | instid1(VALU_DEP_1)
	v_dual_cndmask_b32 v45, v45, v50, s5 :: v_dual_cndmask_b32 v4, v51, v47, vcc_lo
	v_alignbit_b32 v48, v46, v45, v49
	s_delay_alu instid0(VALU_DEP_1) | instskip(NEXT) | instid1(VALU_DEP_3)
	v_dual_cndmask_b32 v43, v43, v44, s4 :: v_dual_cndmask_b32 v44, v48, v46, vcc_lo
	v_bfe_u32 v46, v4, 29, 1
	s_delay_alu instid0(VALU_DEP_2) | instskip(NEXT) | instid1(VALU_DEP_3)
	v_cndmask_b32_e64 v43, v50, v43, s5
	v_alignbit_b32 v47, v4, v44, 30
	s_delay_alu instid0(VALU_DEP_3) | instskip(NEXT) | instid1(VALU_DEP_3)
	v_sub_nc_u32_e32 v48, 0, v46
	v_alignbit_b32 v49, v45, v43, v49
	s_delay_alu instid0(VALU_DEP_1) | instskip(NEXT) | instid1(VALU_DEP_1)
	v_dual_cndmask_b32 v45, v49, v45, vcc_lo :: v_dual_bitop2_b32 v47, v47, v48 bitop3:0x14
	v_clz_i32_u32_e32 v49, v47
	s_delay_alu instid0(VALU_DEP_2) | instskip(SKIP_1) | instid1(VALU_DEP_3)
	v_alignbit_b32 v44, v44, v45, 30
	v_alignbit_b32 v43, v45, v43, 30
	v_min_u32_e32 v49, 32, v49
	s_delay_alu instid0(VALU_DEP_3) | instskip(NEXT) | instid1(VALU_DEP_3)
	v_xor_b32_e32 v44, v44, v48
	v_xor_b32_e32 v43, v43, v48
	s_delay_alu instid0(VALU_DEP_3) | instskip(SKIP_1) | instid1(VALU_DEP_1)
	v_dual_lshrrev_b32 v48, 29, v4 :: v_dual_lshlrev_b32 v50, 23, v49
	v_sub_nc_u32_e32 v45, 31, v49
	v_alignbit_b32 v47, v47, v44, v45
	s_delay_alu instid0(VALU_DEP_4) | instskip(NEXT) | instid1(VALU_DEP_4)
	v_alignbit_b32 v43, v44, v43, v45
	v_lshlrev_b32_e32 v44, 31, v48
	s_delay_alu instid0(VALU_DEP_2) | instskip(NEXT) | instid1(VALU_DEP_2)
	v_alignbit_b32 v45, v47, v43, 9
	v_dual_lshrrev_b32 v47, 9, v47 :: v_dual_bitop2_b32 v48, 0.5, v44 bitop3:0x54
	v_or_b32_e32 v44, 0x33000000, v44
	s_delay_alu instid0(VALU_DEP_3) | instskip(NEXT) | instid1(VALU_DEP_3)
	v_clz_i32_u32_e32 v51, v45
	v_sub_nc_u32_e32 v48, v48, v50
	s_delay_alu instid0(VALU_DEP_2) | instskip(NEXT) | instid1(VALU_DEP_1)
	v_min_u32_e32 v50, 32, v51
	v_add_lshl_u32 v49, v50, v49, 23
	s_delay_alu instid0(VALU_DEP_3) | instskip(SKIP_1) | instid1(VALU_DEP_2)
	v_or_b32_e32 v47, v47, v48
	v_not_b32_e32 v48, v50
	v_dual_mul_f32 v51, 0x3fc90fda, v47 :: v_dual_sub_nc_u32 v44, v44, v49
	s_delay_alu instid0(VALU_DEP_2) | instskip(NEXT) | instid1(VALU_DEP_2)
	v_alignbit_b32 v43, v45, v43, v48
	v_fma_f32 v45, 0x3fc90fda, v47, -v51
	s_delay_alu instid0(VALU_DEP_2) | instskip(NEXT) | instid1(VALU_DEP_2)
	v_lshrrev_b32_e32 v43, 9, v43
	v_fmac_f32_e32 v45, 0x33a22168, v47
	s_delay_alu instid0(VALU_DEP_2) | instskip(NEXT) | instid1(VALU_DEP_1)
	v_or_b32_e32 v43, v44, v43
	v_fmac_f32_e32 v45, 0x3fc90fda, v43
	s_delay_alu instid0(VALU_DEP_1) | instskip(NEXT) | instid1(VALU_DEP_1)
	v_dual_add_f32 v4, v51, v45 :: v_dual_lshrrev_b32 v43, 30, v4
	v_add_nc_u32_e32 v43, v46, v43
	s_and_not1_saveexec_b32 s4, s26
	s_cbranch_execnz .LBB156_203
	s_branch .LBB156_204
.LBB156_202:                            ;   in Loop: Header=BB156_161 Depth=1
	s_and_not1_saveexec_b32 s4, s26
.LBB156_203:                            ;   in Loop: Header=BB156_161 Depth=1
	v_mul_f32_e64 v4, 0x3f22f983, |v37|
	s_delay_alu instid0(VALU_DEP_1) | instskip(NEXT) | instid1(VALU_DEP_1)
	v_rndne_f32_e32 v43, v4
	v_fma_f32 v4, 0xbfc90fda, v43, |v37|
	s_delay_alu instid0(VALU_DEP_1) | instskip(NEXT) | instid1(VALU_DEP_1)
	v_fmac_f32_e32 v4, 0xb3a22168, v43
	v_fmac_f32_e32 v4, 0xa7c234c4, v43
	v_cvt_i32_f32_e32 v43, v43
.LBB156_204:                            ;   in Loop: Header=BB156_161 Depth=1
	s_or_b32 exec_lo, exec_lo, s4
	s_delay_alu instid0(VALU_DEP_2) | instskip(SKIP_1) | instid1(VALU_DEP_3)
	v_mul_f32_e32 v45, v4, v4
	v_dual_mul_f32 v44, v32, v32 :: v_dual_bitop2_b32 v46, 1, v42 bitop3:0x40
	v_dual_lshlrev_b32 v42, 30, v42 :: v_dual_bitop2_b32 v51, 1, v43 bitop3:0x40
	s_delay_alu instid0(VALU_DEP_3) | instskip(SKIP_1) | instid1(VALU_DEP_4)
	v_fmaak_f32 v49, s21, v45, 0x3c0881c4
	v_dual_fmaak_f32 v50, s22, v45, 0xbab64f3b :: v_dual_lshlrev_b32 v43, 30, v43
	v_cmp_eq_u32_e32 vcc_lo, 0, v46
	s_delay_alu instid0(VALU_DEP_4) | instskip(NEXT) | instid1(VALU_DEP_4)
	v_bitop3_b32 v30, v30, v42, 0x80000000 bitop3:0x78
	v_fmaak_f32 v49, v45, v49, 0xbe2aaa9d
	s_delay_alu instid0(VALU_DEP_1) | instskip(SKIP_1) | instid1(VALU_DEP_2)
	v_dual_fmaak_f32 v50, v45, v50, 0x3d2aabf7 :: v_dual_mul_f32 v49, v45, v49
	v_fmaak_f32 v47, s21, v44, 0x3c0881c4
	v_fmaak_f32 v50, v45, v50, 0xbf000004
	s_delay_alu instid0(VALU_DEP_3) | instskip(NEXT) | instid1(VALU_DEP_3)
	v_fmac_f32_e32 v4, v4, v49
	v_fmaak_f32 v47, v44, v47, 0xbe2aaa9d
	v_fmaak_f32 v48, s22, v44, 0xbab64f3b
	s_delay_alu instid0(VALU_DEP_4) | instskip(NEXT) | instid1(VALU_DEP_2)
	v_fma_f32 v45, v45, v50, 1.0
	v_dual_mul_f32 v47, v44, v47 :: v_dual_fmaak_f32 v48, v44, v48, 0x3d2aabf7
	s_delay_alu instid0(VALU_DEP_1) | instskip(NEXT) | instid1(VALU_DEP_2)
	v_fmac_f32_e32 v32, v32, v47
	v_fmaak_f32 v48, v44, v48, 0xbf000004
	s_delay_alu instid0(VALU_DEP_1) | instskip(NEXT) | instid1(VALU_DEP_1)
	v_fma_f32 v44, v44, v48, 1.0
	v_cndmask_b32_e32 v32, v44, v32, vcc_lo
	v_cmp_eq_u32_e32 vcc_lo, 0, v51
	s_delay_alu instid0(VALU_DEP_2) | instskip(SKIP_2) | instid1(VALU_DEP_2)
	v_xor3_b32 v30, v30, v32, v37
	v_cndmask_b32_e64 v4, -v4, v45, vcc_lo
	v_cmp_class_f32_e64 vcc_lo, v37, 0x1f8
	v_bitop3_b32 v4, v43, v4, 0x80000000 bitop3:0x6c
	s_delay_alu instid0(VALU_DEP_1) | instskip(NEXT) | instid1(VALU_DEP_1)
	v_mul_f32_e32 v4, v30, v4
	v_cndmask_b32_e32 v37, 0x7fc00000, v4, vcc_lo
.LBB156_205:                            ;   in Loop: Header=BB156_161 Depth=1
	s_or_b32 exec_lo, exec_lo, s25
	v_add_nc_u32_e32 v36, -2.0, v36
	s_delay_alu instid0(VALU_DEP_2)
	v_bfi_b32 v37, 0x7fffffff, 0, v37
.LBB156_206:                            ;   in Loop: Header=BB156_161 Depth=1
	s_or_b32 exec_lo, exec_lo, s24
.LBB156_207:                            ;   in Loop: Header=BB156_161 Depth=1
	s_delay_alu instid0(SALU_CYCLE_1) | instskip(SKIP_2) | instid1(VALU_DEP_1)
	s_or_b32 exec_lo, exec_lo, s23
	v_and_b32_e32 v30, 0x7fffffff, v38
	s_mov_b32 s4, exec_lo
	v_cmpx_gt_u32_e32 0x7f800000, v30
	s_xor_b32 s23, exec_lo, s4
	s_cbranch_execz .LBB156_229
; %bb.208:                              ;   in Loop: Header=BB156_161 Depth=1
	v_cmp_class_f32_e64 s4, v39, 0x1f8
	s_and_saveexec_b32 s5, s4
	s_delay_alu instid0(SALU_CYCLE_1)
	s_xor_b32 s24, exec_lo, s5
	s_cbranch_execz .LBB156_226
; %bb.209:                              ;   in Loop: Header=BB156_161 Depth=1
	v_and_b32_e32 v42, 0x7fffffff, v39
	s_mov_b32 s4, exec_lo
	v_cmpx_gt_u32_e32 0x41300000, v30
	s_xor_b32 s25, exec_lo, s4
	s_cbranch_execz .LBB156_215
; %bb.210:                              ;   in Loop: Header=BB156_161 Depth=1
                                        ; implicit-def: $vgpr4
                                        ; implicit-def: $vgpr43
	s_mov_b32 s5, exec_lo
	v_cmpx_ngt_f32_e64 0x48000000, |v39|
	s_xor_b32 s26, exec_lo, s5
	s_cbranch_execz .LBB156_212
; %bb.211:                              ;   in Loop: Header=BB156_161 Depth=1
	v_and_or_b32 v4, v42, s16, 0x800000
	v_dual_mov_b32 v55, v5 :: v_dual_lshrrev_b32 v32, 23, v42
	v_mov_b32_e32 v57, v5
	s_delay_alu instid0(VALU_DEP_3) | instskip(NEXT) | instid1(VALU_DEP_3)
	v_mul_u64_e32 v[44:45], s[14:15], v[4:5]
	v_dual_mov_b32 v47, v5 :: v_dual_add_nc_u32 v32, 0xffffff88, v32
	s_delay_alu instid0(VALU_DEP_1) | instskip(SKIP_1) | instid1(VALU_DEP_1)
	v_cmp_lt_u32_e32 vcc_lo, 63, v32
	v_cndmask_b32_e64 v43, 0, 0xffffffc0, vcc_lo
	v_add_nc_u32_e32 v32, v43, v32
	s_delay_alu instid0(VALU_DEP_1) | instskip(NEXT) | instid1(VALU_DEP_1)
	v_cmp_lt_u32_e64 s4, 31, v32
	v_cndmask_b32_e64 v43, 0, 0xffffffe0, s4
	v_mov_b32_e32 v46, v45
	s_delay_alu instid0(VALU_DEP_1) | instskip(NEXT) | instid1(VALU_DEP_1)
	v_mad_nc_u64_u32 v[46:47], 0x3c439041, v4, v[46:47]
	v_dual_mov_b32 v49, v5 :: v_dual_mov_b32 v48, v47
	s_delay_alu instid0(VALU_DEP_1) | instskip(NEXT) | instid1(VALU_DEP_1)
	v_mad_nc_u64_u32 v[48:49], 0xdb629599, v4, v[48:49]
	v_dual_mov_b32 v51, v5 :: v_dual_mov_b32 v50, v49
	;; [unrolled: 3-line block ×3, first 2 shown]
	s_delay_alu instid0(VALU_DEP_1) | instskip(NEXT) | instid1(VALU_DEP_1)
	v_mad_nc_u64_u32 v[52:53], 0xfc2757d1, v4, v[52:53]
	v_mov_b32_e32 v54, v53
	s_delay_alu instid0(VALU_DEP_1) | instskip(NEXT) | instid1(VALU_DEP_1)
	v_mad_nc_u64_u32 v[54:55], 0x4e441529, v4, v[54:55]
	v_mov_b32_e32 v56, v55
	s_delay_alu instid0(VALU_DEP_1) | instskip(NEXT) | instid1(VALU_DEP_3)
	v_mad_nc_u64_u32 v[56:57], 0xa2f9836e, v4, v[56:57]
	v_dual_cndmask_b32 v43, v54, v50 :: v_dual_add_nc_u32 v4, v43, v32
	s_delay_alu instid0(VALU_DEP_2) | instskip(NEXT) | instid1(VALU_DEP_2)
	v_cndmask_b32_e32 v47, v57, v54, vcc_lo
	v_cmp_lt_u32_e64 s5, 31, v4
	s_delay_alu instid0(VALU_DEP_4) | instskip(SKIP_1) | instid1(VALU_DEP_3)
	v_cndmask_b32_e32 v45, v56, v52, vcc_lo
	v_cndmask_b32_e32 v49, v52, v48, vcc_lo
	v_cndmask_b32_e64 v32, 0, 0xffffffe0, s5
	s_delay_alu instid0(VALU_DEP_1) | instskip(NEXT) | instid1(VALU_DEP_4)
	v_dual_add_nc_u32 v4, v32, v4 :: v_dual_cndmask_b32 v32, v50, v46, vcc_lo
	v_dual_cndmask_b32 v46, v45, v43, s4 :: v_dual_cndmask_b32 v45, v47, v45, s4
	s_delay_alu instid0(VALU_DEP_2) | instskip(NEXT) | instid1(VALU_DEP_3)
	v_dual_cndmask_b32 v43, v43, v49, s4 :: v_dual_sub_nc_u32 v47, 32, v4
	v_cndmask_b32_e64 v49, v49, v32, s4
	s_delay_alu instid0(VALU_DEP_2) | instskip(NEXT) | instid1(VALU_DEP_2)
	v_dual_cndmask_b32 v45, v45, v46, s5 :: v_dual_cndmask_b32 v46, v46, v43, s5
	v_cndmask_b32_e64 v43, v43, v49, s5
	s_delay_alu instid0(VALU_DEP_2) | instskip(SKIP_2) | instid1(VALU_DEP_4)
	v_alignbit_b32 v50, v45, v46, v47
	v_cndmask_b32_e32 v44, v48, v44, vcc_lo
	v_cmp_eq_u32_e32 vcc_lo, 0, v4
	v_alignbit_b32 v48, v46, v43, v47
	s_delay_alu instid0(VALU_DEP_4) | instskip(NEXT) | instid1(VALU_DEP_1)
	v_cndmask_b32_e32 v4, v50, v45, vcc_lo
	v_bfe_u32 v45, v4, 29, 1
	v_cndmask_b32_e64 v32, v32, v44, s4
	s_delay_alu instid0(VALU_DEP_2) | instskip(NEXT) | instid1(VALU_DEP_2)
	v_dual_cndmask_b32 v44, v48, v46, vcc_lo :: v_dual_sub_nc_u32 v48, 0, v45
	v_cndmask_b32_e64 v32, v49, v32, s5
	s_delay_alu instid0(VALU_DEP_2) | instskip(NEXT) | instid1(VALU_DEP_2)
	v_alignbit_b32 v46, v4, v44, 30
	v_alignbit_b32 v47, v43, v32, v47
	s_delay_alu instid0(VALU_DEP_1) | instskip(NEXT) | instid1(VALU_DEP_1)
	v_dual_cndmask_b32 v43, v47, v43, vcc_lo :: v_dual_bitop2_b32 v46, v46, v48 bitop3:0x14
	v_clz_i32_u32_e32 v47, v46
	s_delay_alu instid0(VALU_DEP_2) | instskip(NEXT) | instid1(VALU_DEP_2)
	v_alignbit_b32 v44, v44, v43, 30
	v_min_u32_e32 v47, 32, v47
	v_alignbit_b32 v32, v43, v32, 30
	s_delay_alu instid0(VALU_DEP_2) | instskip(NEXT) | instid1(VALU_DEP_2)
	v_dual_sub_nc_u32 v44, 31, v47 :: v_dual_bitop2_b32 v43, v44, v48 bitop3:0x14
	v_xor_b32_e32 v32, v32, v48
	v_dual_lshrrev_b32 v48, 29, v4 :: v_dual_lshlrev_b32 v49, 23, v47
	v_lshrrev_b32_e32 v4, 30, v4
	s_delay_alu instid0(VALU_DEP_4) | instskip(NEXT) | instid1(VALU_DEP_4)
	v_alignbit_b32 v46, v46, v43, v44
	v_alignbit_b32 v32, v43, v32, v44
	s_delay_alu instid0(VALU_DEP_4) | instskip(NEXT) | instid1(VALU_DEP_4)
	v_lshlrev_b32_e32 v43, 31, v48
	v_add_nc_u32_e32 v4, v45, v4
	s_delay_alu instid0(VALU_DEP_3) | instskip(NEXT) | instid1(VALU_DEP_3)
	v_alignbit_b32 v44, v46, v32, 9
	v_dual_lshrrev_b32 v46, 9, v46 :: v_dual_bitop2_b32 v48, 0.5, v43 bitop3:0x54
	v_or_b32_e32 v43, 0x33000000, v43
	s_delay_alu instid0(VALU_DEP_3) | instskip(NEXT) | instid1(VALU_DEP_3)
	v_clz_i32_u32_e32 v50, v44
	v_sub_nc_u32_e32 v48, v48, v49
	s_delay_alu instid0(VALU_DEP_2) | instskip(NEXT) | instid1(VALU_DEP_1)
	v_min_u32_e32 v49, 32, v50
	v_add_lshl_u32 v47, v49, v47, 23
	s_delay_alu instid0(VALU_DEP_1) | instskip(SKIP_1) | instid1(VALU_DEP_2)
	v_dual_sub_nc_u32 v43, v43, v47 :: v_dual_bitop2_b32 v46, v46, v48 bitop3:0x54
	v_not_b32_e32 v48, v49
	v_mul_f32_e32 v50, 0x3fc90fda, v46
	s_delay_alu instid0(VALU_DEP_2) | instskip(NEXT) | instid1(VALU_DEP_2)
	v_alignbit_b32 v32, v44, v32, v48
	v_fma_f32 v44, 0x3fc90fda, v46, -v50
	s_delay_alu instid0(VALU_DEP_2) | instskip(NEXT) | instid1(VALU_DEP_2)
	v_lshrrev_b32_e32 v32, 9, v32
	v_fmac_f32_e32 v44, 0x33a22168, v46
	s_delay_alu instid0(VALU_DEP_2) | instskip(NEXT) | instid1(VALU_DEP_1)
	v_or_b32_e32 v32, v43, v32
	v_fmac_f32_e32 v44, 0x3fc90fda, v32
	s_delay_alu instid0(VALU_DEP_1)
	v_add_f32_e32 v43, v50, v44
.LBB156_212:                            ;   in Loop: Header=BB156_161 Depth=1
	s_and_not1_saveexec_b32 s4, s26
; %bb.213:                              ;   in Loop: Header=BB156_161 Depth=1
	v_mul_f32_e64 v4, 0x3f22f983, |v39|
	s_delay_alu instid0(VALU_DEP_1) | instskip(NEXT) | instid1(VALU_DEP_1)
	v_rndne_f32_e32 v4, v4
	v_fma_f32 v43, 0xbfc90fda, v4, |v39|
	s_delay_alu instid0(VALU_DEP_1) | instskip(NEXT) | instid1(VALU_DEP_1)
	v_fmac_f32_e32 v43, 0xb3a22168, v4
	v_fmac_f32_e32 v43, 0xa7c234c4, v4
	v_cvt_i32_f32_e32 v4, v4
; %bb.214:                              ;   in Loop: Header=BB156_161 Depth=1
	s_or_b32 exec_lo, exec_lo, s4
	v_add_f32_e64 v32, 0xbf317218, |v38|
	v_cmp_nlt_f32_e64 vcc_lo, 0x42b2d4fc, |v38|
	v_cmp_gt_f32_e64 s4, 0x39800000, |v38|
	v_and_b32_e32 v4, 1, v4
	s_delay_alu instid0(VALU_DEP_4) | instskip(NEXT) | instid1(VALU_DEP_1)
	v_sub_f32_e64 v45, v32, |v38|
	v_sub_f32_e32 v44, v45, v32
	s_delay_alu instid0(VALU_DEP_1) | instskip(NEXT) | instid1(VALU_DEP_1)
	v_pk_add_f32 v[44:45], v[30:31], v[44:45]
	v_sub_f32_e32 v30, v44, v45
	s_delay_alu instid0(VALU_DEP_1) | instskip(NEXT) | instid1(VALU_DEP_1)
	v_add_f32_e32 v30, 0x3102e308, v30
	v_add_f32_e32 v45, v32, v30
	s_delay_alu instid0(VALU_DEP_1) | instskip(SKIP_1) | instid1(VALU_DEP_2)
	v_mul_f32_e32 v44, 0x3fb8aa3b, v45
	v_sub_f32_e32 v32, v32, v45
	v_rndne_f32_e32 v52, v44
	s_delay_alu instid0(VALU_DEP_2) | instskip(NEXT) | instid1(VALU_DEP_2)
	v_add_f32_e32 v30, v30, v32
	v_fmac_f32_e32 v45, 0xbf317200, v52
	v_mul_f32_e32 v32, 0x35bfbc00, v52
	s_delay_alu instid0(VALU_DEP_2) | instskip(NEXT) | instid1(VALU_DEP_1)
	v_dual_mul_f32 v47, 0x2ea39ef3, v52 :: v_dual_add_f32 v46, v30, v45
	v_dual_sub_f32 v44, v46, v32 :: v_dual_sub_f32 v45, v45, v46
	s_delay_alu instid0(VALU_DEP_1) | instskip(NEXT) | instid1(VALU_DEP_2)
	v_sub_f32_e32 v46, v46, v44
	v_add_f32_e32 v30, v30, v45
	s_delay_alu instid0(VALU_DEP_2) | instskip(NEXT) | instid1(VALU_DEP_1)
	v_sub_f32_e32 v32, v46, v32
	v_add_f32_e32 v30, v30, v32
	s_delay_alu instid0(VALU_DEP_1) | instskip(NEXT) | instid1(VALU_DEP_1)
	v_add_f32_e32 v45, v44, v30
	v_mov_b32_e32 v46, v45
	s_delay_alu instid0(VALU_DEP_1) | instskip(NEXT) | instid1(VALU_DEP_1)
	v_pk_add_f32 v[48:49], v[44:45], v[46:47] neg_lo:[0,1] neg_hi:[0,1]
	v_sub_f32_e32 v32, v45, v49
	s_delay_alu instid0(VALU_DEP_1) | instskip(NEXT) | instid1(VALU_DEP_1)
	v_dual_sub_f32 v32, v32, v47 :: v_dual_add_f32 v30, v30, v48
	v_add_f32_e32 v30, v30, v32
	s_delay_alu instid0(VALU_DEP_1) | instskip(NEXT) | instid1(VALU_DEP_1)
	v_add_f32_e32 v44, v49, v30
	v_sub_f32_e32 v32, v49, v44
	s_delay_alu instid0(VALU_DEP_1) | instskip(SKIP_1) | instid1(VALU_DEP_1)
	v_add_f32_e32 v30, v30, v32
	v_dual_mul_f32 v45, v44, v44 :: v_dual_fmaak_f32 v32, s20, v44, 0x3c091de6
	v_dual_add_f32 v47, v30, v30 :: v_dual_fma_f32 v46, v44, v44, -v45
	s_delay_alu instid0(VALU_DEP_1) | instskip(NEXT) | instid1(VALU_DEP_1)
	v_fmac_f32_e32 v46, v44, v47
	v_dual_add_f32 v47, v45, v46 :: v_dual_fmaak_f32 v32, v44, v32, 0x3d2aadcc
	s_delay_alu instid0(VALU_DEP_1) | instskip(NEXT) | instid1(VALU_DEP_1)
	v_dual_sub_f32 v45, v47, v45 :: v_dual_fmaak_f32 v32, v44, v32, 0x3e2aaa47
	v_dual_sub_f32 v45, v46, v45 :: v_dual_fmaak_f32 v32, v44, v32, 0x3efffffc
	s_delay_alu instid0(VALU_DEP_1) | instskip(NEXT) | instid1(VALU_DEP_1)
	v_mul_f32_e32 v48, v32, v47
	v_fma_f32 v46, v47, v32, -v48
	s_delay_alu instid0(VALU_DEP_1) | instskip(NEXT) | instid1(VALU_DEP_1)
	v_fmac_f32_e32 v46, v45, v32
	v_add_f32_e32 v45, v48, v46
	s_delay_alu instid0(VALU_DEP_1) | instskip(SKIP_1) | instid1(VALU_DEP_2)
	v_sub_f32_e32 v47, v45, v48
	v_mov_b64_e32 v[48:49], s[16:17]
	v_dual_sub_f32 v46, v46, v47 :: v_dual_add_f32 v32, v44, v45
	s_delay_alu instid0(VALU_DEP_1) | instskip(NEXT) | instid1(VALU_DEP_1)
	v_dual_add_f32 v30, v30, v46 :: v_dual_sub_f32 v44, v32, v44
	v_sub_f32_e32 v44, v45, v44
	s_delay_alu instid0(VALU_DEP_1) | instskip(NEXT) | instid1(VALU_DEP_1)
	v_add_f32_e32 v44, v30, v44
	v_add_f32_e32 v46, v32, v44
	s_delay_alu instid0(VALU_DEP_1) | instskip(NEXT) | instid1(VALU_DEP_1)
	v_dual_add_f32 v47, 1.0, v46 :: v_dual_mov_b32 v45, v46
	v_pk_add_f32 v[48:49], v[46:47], v[48:49]
	v_pk_add_f32 v[50:51], v[46:47], v[32:33] neg_lo:[0,1] neg_hi:[0,1]
	v_cvt_i32_f32_e32 v32, v52
	s_delay_alu instid0(VALU_DEP_3) | instskip(NEXT) | instid1(VALU_DEP_1)
	v_mov_b32_e32 v51, v49
	v_pk_add_f32 v[44:45], v[44:45], v[50:51] neg_lo:[0,1] neg_hi:[0,1]
	s_delay_alu instid0(VALU_DEP_1) | instskip(NEXT) | instid1(VALU_DEP_1)
	v_add_f32_e32 v30, v44, v45
	v_add_f32_e32 v44, v47, v30
	s_delay_alu instid0(VALU_DEP_1) | instskip(SKIP_1) | instid1(VALU_DEP_2)
	v_ldexp_f32 v45, v44, v32
	v_sub_f32_e32 v44, v44, v47
	v_rcp_f32_e32 v46, v45
	v_nop
	s_delay_alu instid0(TRANS32_DEP_1) | instskip(NEXT) | instid1(VALU_DEP_1)
	v_dual_sub_f32 v30, v30, v44 :: v_dual_mul_f32 v44, v45, v46
	v_ldexp_f32 v30, v30, v32
	s_delay_alu instid0(VALU_DEP_2) | instskip(NEXT) | instid1(VALU_DEP_1)
	v_fma_f32 v32, v46, v45, -v44
	v_fmac_f32_e32 v32, v46, v30
	s_delay_alu instid0(VALU_DEP_1) | instskip(NEXT) | instid1(VALU_DEP_1)
	v_add_f32_e32 v47, v44, v32
	v_sub_f32_e32 v44, v47, v44
	s_delay_alu instid0(VALU_DEP_1) | instskip(NEXT) | instid1(VALU_DEP_1)
	v_dual_sub_f32 v32, v44, v32 :: v_dual_sub_f32 v48, 1.0, v47
	v_sub_f32_e32 v49, 1.0, v48
	s_delay_alu instid0(VALU_DEP_1) | instskip(NEXT) | instid1(VALU_DEP_1)
	v_sub_f32_e32 v44, v49, v47
	v_add_f32_e32 v32, v32, v44
	s_delay_alu instid0(VALU_DEP_1) | instskip(NEXT) | instid1(VALU_DEP_1)
	v_add_f32_e32 v44, v48, v32
	v_mul_f32_e32 v47, v46, v44
	s_delay_alu instid0(VALU_DEP_1) | instskip(NEXT) | instid1(VALU_DEP_1)
	v_mul_f32_e32 v49, v45, v47
	v_fma_f32 v50, v47, v45, -v49
	s_delay_alu instid0(VALU_DEP_1) | instskip(NEXT) | instid1(VALU_DEP_1)
	v_fmac_f32_e32 v50, v47, v30
	v_dual_add_f32 v51, v49, v50 :: v_dual_sub_f32 v48, v48, v44
	s_delay_alu instid0(VALU_DEP_1) | instskip(NEXT) | instid1(VALU_DEP_2)
	v_sub_f32_e32 v52, v44, v51
	v_dual_add_f32 v32, v32, v48 :: v_dual_sub_f32 v48, v51, v49
	s_delay_alu instid0(VALU_DEP_2) | instskip(NEXT) | instid1(VALU_DEP_2)
	v_sub_f32_e32 v44, v44, v52
	v_sub_f32_e32 v48, v48, v50
	s_delay_alu instid0(VALU_DEP_2) | instskip(NEXT) | instid1(VALU_DEP_1)
	v_sub_f32_e32 v44, v44, v51
	v_dual_add_f32 v32, v32, v44 :: v_dual_add_f32 v44, v46, v47
	s_delay_alu instid0(VALU_DEP_1) | instskip(NEXT) | instid1(VALU_DEP_2)
	v_add_f32_e32 v32, v48, v32
	v_sub_f32_e32 v48, v44, v46
	s_delay_alu instid0(VALU_DEP_2) | instskip(NEXT) | instid1(VALU_DEP_2)
	v_add_f32_e32 v32, v52, v32
	v_sub_f32_e32 v47, v47, v48
	s_delay_alu instid0(VALU_DEP_2) | instskip(NEXT) | instid1(VALU_DEP_1)
	v_mul_f32_e32 v32, v46, v32
	v_add_f32_e32 v32, v47, v32
	s_delay_alu instid0(VALU_DEP_1) | instskip(NEXT) | instid1(VALU_DEP_1)
	v_add_f32_e32 v46, v44, v32
	v_ldexp_f32 v47, v46, -2
	s_delay_alu instid0(VALU_DEP_1) | instskip(NEXT) | instid1(VALU_DEP_1)
	v_dual_sub_f32 v44, v46, v44 :: v_dual_sub_f32 v48, v45, v47
	v_sub_f32_e32 v32, v32, v44
	s_delay_alu instid0(VALU_DEP_2) | instskip(NEXT) | instid1(VALU_DEP_1)
	v_sub_f32_e32 v45, v45, v48
	v_sub_f32_e32 v44, v45, v47
	s_delay_alu instid0(VALU_DEP_1) | instskip(NEXT) | instid1(VALU_DEP_4)
	v_add_f32_e32 v30, v30, v44
	v_ldexp_f32 v32, v32, -2
	s_delay_alu instid0(VALU_DEP_1) | instskip(NEXT) | instid1(VALU_DEP_1)
	v_dual_sub_f32 v30, v30, v32 :: v_dual_mul_f32 v32, v43, v43
	v_add_f32_e32 v30, v48, v30
	s_delay_alu instid0(VALU_DEP_2) | instskip(NEXT) | instid1(VALU_DEP_2)
	v_fmaak_f32 v44, s19, v32, 0xbf039337
	v_cndmask_b32_e32 v30, 0x7f800000, v30, vcc_lo
	s_delay_alu instid0(VALU_DEP_2) | instskip(NEXT) | instid1(VALU_DEP_2)
	v_fmaak_f32 v44, v32, v44, 0x3f93f425
	v_cndmask_b32_e64 v30, v30, |v38|, s4
	s_delay_alu instid0(VALU_DEP_1) | instskip(NEXT) | instid1(VALU_DEP_3)
	v_bfi_b32 v30, 0x7fffffff, v30, v38
	v_rcp_f32_e32 v38, v44
	v_nop
	v_fmaak_f32 v44, s18, v32, 0x3ec54587
	s_delay_alu instid0(VALU_DEP_3)
	v_fma_f32 v45, v30, v30, 1.0
	s_delay_alu instid0(TRANS32_DEP_1) | instid1(VALU_DEP_2)
	v_mul_f32_e32 v38, v44, v38
	s_delay_alu instid0(VALU_DEP_2) | instskip(SKIP_1) | instid1(VALU_DEP_2)
	v_mul_f32_e32 v44, 0x4f800000, v45
	v_cmp_gt_f32_e32 vcc_lo, 0xf800000, v45
	v_dual_mul_f32 v32, v32, v38 :: v_dual_cndmask_b32 v38, v45, v44, vcc_lo
	s_delay_alu instid0(VALU_DEP_1) | instskip(NEXT) | instid1(VALU_DEP_2)
	v_fma_f32 v44, v32, v43, v43
	v_sqrt_f32_e32 v45, v38
	s_delay_alu instid0(VALU_DEP_1) | instskip(NEXT) | instid1(TRANS32_DEP_2)
	v_rcp_f32_e32 v46, v44
	v_dual_sub_f32 v47, v44, v43 :: v_dual_add_nc_u32 v48, -1, v45
	s_delay_alu instid0(VALU_DEP_1) | instskip(NEXT) | instid1(TRANS32_DEP_1)
	v_fma_f32 v32, v32, v43, -v47
	v_fma_f32 v43, v44, -v46, 1.0
	s_delay_alu instid0(VALU_DEP_3) | instskip(NEXT) | instid1(VALU_DEP_1)
	v_dual_add_nc_u32 v47, 1, v45 :: v_dual_fma_f32 v49, -v48, v45, v38
	v_dual_fma_f32 v32, v32, -v46, v43 :: v_dual_fma_f32 v43, -v47, v45, v38
	s_delay_alu instid0(VALU_DEP_2) | instskip(NEXT) | instid1(VALU_DEP_1)
	v_cmp_ge_f32_e64 s4, 0, v49
	v_cndmask_b32_e64 v45, v45, v48, s4
	s_delay_alu instid0(VALU_DEP_3) | instskip(NEXT) | instid1(VALU_DEP_1)
	v_cmp_lt_f32_e64 s4, 0, v43
	v_dual_fma_f32 v32, v32, -v46, -v46 :: v_dual_cndmask_b32 v43, v45, v47, s4
	v_cmp_eq_u32_e64 s4, 0, v4
	s_delay_alu instid0(VALU_DEP_1) | instskip(NEXT) | instid1(VALU_DEP_3)
	v_cndmask_b32_e64 v4, v32, v44, s4
	v_mul_f32_e32 v32, 0x37800000, v43
	s_delay_alu instid0(VALU_DEP_1) | instskip(SKIP_1) | instid1(VALU_DEP_2)
	v_cndmask_b32_e32 v32, v43, v32, vcc_lo
	v_cmp_class_f32_e64 vcc_lo, v38, 0x260
	v_cndmask_b32_e32 v32, v32, v38, vcc_lo
	v_xor3_b32 v4, v42, v4, v39
	s_delay_alu instid0(VALU_DEP_1) | instskip(NEXT) | instid1(VALU_DEP_1)
	v_fma_f32 v39, v4, v4, 1.0
	v_dual_mul_f32 v38, v30, v39 :: v_dual_mul_f32 v32, v32, v39
	s_delay_alu instid0(VALU_DEP_1) | instskip(NEXT) | instid1(VALU_DEP_2)
	v_fma_f32 v39, v30, v38, 1.0
	v_mul_f32_e32 v30, v30, v32
	s_delay_alu instid0(VALU_DEP_2) | instskip(NEXT) | instid1(VALU_DEP_2)
	v_div_scale_f32 v38, null, v39, v39, v4
	v_div_scale_f32 v32, null, v39, v39, v30
	s_delay_alu instid0(VALU_DEP_2) | instskip(NEXT) | instid1(VALU_DEP_1)
	v_rcp_f32_e32 v43, v38
	v_rcp_f32_e32 v42, v32
	s_delay_alu instid0(TRANS32_DEP_2) | instskip(NEXT) | instid1(TRANS32_DEP_1)
	v_fma_f32 v45, -v38, v43, 1.0
	v_fma_f32 v44, -v32, v42, 1.0
	s_delay_alu instid0(VALU_DEP_1) | instskip(SKIP_2) | instid1(VALU_DEP_1)
	v_dual_fmac_f32 v43, v45, v43 :: v_dual_fmac_f32 v42, v44, v42
	v_div_scale_f32 v46, vcc_lo, v30, v39, v30
	v_div_scale_f32 v44, s4, v4, v39, v4
	v_dual_mul_f32 v45, v46, v42 :: v_dual_mul_f32 v47, v44, v43
	s_delay_alu instid0(VALU_DEP_1) | instskip(NEXT) | instid1(VALU_DEP_1)
	v_dual_fma_f32 v48, -v32, v45, v46 :: v_dual_fma_f32 v49, -v38, v47, v44
	v_dual_fmac_f32 v45, v48, v42 :: v_dual_fmac_f32 v47, v49, v43
	s_delay_alu instid0(VALU_DEP_1) | instskip(NEXT) | instid1(VALU_DEP_1)
	v_dual_fma_f32 v32, -v32, v45, v46 :: v_dual_fma_f32 v38, -v38, v47, v44
	v_div_fmas_f32 v32, v32, v42, v45
	s_mov_b32 vcc_lo, s4
	s_delay_alu instid0(VALU_DEP_2) | instskip(NEXT) | instid1(VALU_DEP_2)
	v_div_fmas_f32 v42, v38, v43, v47
	v_div_fixup_f32 v38, v32, v39, v30
	s_delay_alu instid0(VALU_DEP_2)
	v_div_fixup_f32 v39, v42, v39, v4
                                        ; implicit-def: $vgpr42
.LBB156_215:                            ;   in Loop: Header=BB156_161 Depth=1
	s_and_not1_saveexec_b32 s25, s25
	s_cbranch_execz .LBB156_225
; %bb.216:                              ;   in Loop: Header=BB156_161 Depth=1
	s_delay_alu instid0(VALU_DEP_1) | instskip(SKIP_1) | instid1(SALU_CYCLE_1)
	v_cmp_ngt_f32_e64 s26, 0x48000000, |v39|
                                        ; implicit-def: $vgpr32
                                        ; implicit-def: $vgpr30
	s_and_saveexec_b32 s4, s26
	s_xor_b32 s27, exec_lo, s4
	s_cbranch_execz .LBB156_218
; %bb.217:                              ;   in Loop: Header=BB156_161 Depth=1
	v_and_or_b32 v4, v42, s16, 0x800000
	v_dual_mov_b32 v55, v5 :: v_dual_lshrrev_b32 v30, 23, v42
	v_mov_b32_e32 v57, v5
	s_delay_alu instid0(VALU_DEP_3) | instskip(NEXT) | instid1(VALU_DEP_3)
	v_mul_u64_e32 v[44:45], s[14:15], v[4:5]
	v_dual_mov_b32 v47, v5 :: v_dual_add_nc_u32 v30, 0xffffff88, v30
	s_delay_alu instid0(VALU_DEP_1) | instskip(SKIP_1) | instid1(VALU_DEP_1)
	v_cmp_lt_u32_e32 vcc_lo, 63, v30
	v_cndmask_b32_e64 v32, 0, 0xffffffc0, vcc_lo
	v_add_nc_u32_e32 v30, v32, v30
	s_delay_alu instid0(VALU_DEP_1) | instskip(NEXT) | instid1(VALU_DEP_1)
	v_cmp_lt_u32_e64 s4, 31, v30
	v_cndmask_b32_e64 v32, 0, 0xffffffe0, s4
	v_mov_b32_e32 v46, v45
	s_delay_alu instid0(VALU_DEP_1) | instskip(NEXT) | instid1(VALU_DEP_1)
	v_mad_nc_u64_u32 v[46:47], 0x3c439041, v4, v[46:47]
	v_dual_mov_b32 v49, v5 :: v_dual_mov_b32 v48, v47
	s_delay_alu instid0(VALU_DEP_1) | instskip(NEXT) | instid1(VALU_DEP_1)
	v_mad_nc_u64_u32 v[48:49], 0xdb629599, v4, v[48:49]
	v_dual_mov_b32 v51, v5 :: v_dual_mov_b32 v50, v49
	;; [unrolled: 3-line block ×3, first 2 shown]
	s_delay_alu instid0(VALU_DEP_1) | instskip(NEXT) | instid1(VALU_DEP_1)
	v_mad_nc_u64_u32 v[52:53], 0xfc2757d1, v4, v[52:53]
	v_dual_mov_b32 v54, v53 :: v_dual_cndmask_b32 v47, v52, v48
	s_delay_alu instid0(VALU_DEP_1) | instskip(NEXT) | instid1(VALU_DEP_1)
	v_mad_nc_u64_u32 v[54:55], 0x4e441529, v4, v[54:55]
	v_mov_b32_e32 v56, v55
	s_delay_alu instid0(VALU_DEP_1) | instskip(SKIP_1) | instid1(VALU_DEP_4)
	v_mad_nc_u64_u32 v[56:57], 0xa2f9836e, v4, v[56:57]
	v_add_nc_u32_e32 v4, v32, v30
	v_cndmask_b32_e32 v32, v54, v50, vcc_lo
	s_delay_alu instid0(VALU_DEP_2) | instskip(NEXT) | instid1(VALU_DEP_1)
	v_cmp_lt_u32_e64 s5, 31, v4
	v_cndmask_b32_e64 v30, 0, 0xffffffe0, s5
	v_dual_cndmask_b32 v43, v56, v52, vcc_lo :: v_dual_cndmask_b32 v45, v57, v54, vcc_lo
	s_delay_alu instid0(VALU_DEP_2) | instskip(NEXT) | instid1(VALU_DEP_2)
	v_add_nc_u32_e32 v4, v30, v4
	v_dual_cndmask_b32 v30, v50, v46, vcc_lo :: v_dual_cndmask_b32 v46, v43, v32, s4
	s_delay_alu instid0(VALU_DEP_3) | instskip(NEXT) | instid1(VALU_DEP_3)
	v_cndmask_b32_e64 v43, v45, v43, s4
	v_dual_cndmask_b32 v32, v32, v47, s4 :: v_dual_sub_nc_u32 v45, 32, v4
	s_delay_alu instid0(VALU_DEP_3) | instskip(NEXT) | instid1(VALU_DEP_2)
	v_cndmask_b32_e64 v47, v47, v30, s4
	v_dual_cndmask_b32 v43, v43, v46, s5 :: v_dual_cndmask_b32 v46, v46, v32, s5
	s_delay_alu instid0(VALU_DEP_2) | instskip(NEXT) | instid1(VALU_DEP_2)
	v_cndmask_b32_e64 v32, v32, v47, s5
	v_alignbit_b32 v49, v43, v46, v45
	v_cndmask_b32_e32 v44, v48, v44, vcc_lo
	v_cmp_eq_u32_e32 vcc_lo, 0, v4
	s_delay_alu instid0(VALU_DEP_4) | instskip(NEXT) | instid1(VALU_DEP_3)
	v_alignbit_b32 v48, v46, v32, v45
	v_dual_cndmask_b32 v4, v49, v43, vcc_lo :: v_dual_cndmask_b32 v30, v30, v44, s4
	s_delay_alu instid0(VALU_DEP_2) | instskip(NEXT) | instid1(VALU_DEP_2)
	v_cndmask_b32_e32 v43, v48, v46, vcc_lo
	v_bfe_u32 v44, v4, 29, 1
	s_delay_alu instid0(VALU_DEP_3) | instskip(NEXT) | instid1(VALU_DEP_3)
	v_cndmask_b32_e64 v30, v47, v30, s5
	v_alignbit_b32 v46, v4, v43, 30
	s_delay_alu instid0(VALU_DEP_3) | instskip(NEXT) | instid1(VALU_DEP_3)
	v_sub_nc_u32_e32 v47, 0, v44
	v_alignbit_b32 v45, v32, v30, v45
	s_delay_alu instid0(VALU_DEP_1) | instskip(NEXT) | instid1(VALU_DEP_1)
	v_dual_cndmask_b32 v32, v45, v32, vcc_lo :: v_dual_bitop2_b32 v46, v46, v47 bitop3:0x14
	v_clz_i32_u32_e32 v45, v46
	s_delay_alu instid0(VALU_DEP_2) | instskip(SKIP_1) | instid1(VALU_DEP_3)
	v_alignbit_b32 v43, v43, v32, 30
	v_alignbit_b32 v30, v32, v30, 30
	v_min_u32_e32 v45, 32, v45
	s_delay_alu instid0(VALU_DEP_3) | instskip(NEXT) | instid1(VALU_DEP_3)
	v_xor_b32_e32 v32, v43, v47
	v_dual_lshrrev_b32 v47, 29, v4 :: v_dual_bitop2_b32 v30, v30, v47 bitop3:0x14
	s_delay_alu instid0(VALU_DEP_3) | instskip(SKIP_1) | instid1(VALU_DEP_2)
	v_dual_lshrrev_b32 v4, 30, v4 :: v_dual_sub_nc_u32 v43, 31, v45
	v_lshlrev_b32_e32 v48, 23, v45
	v_alignbit_b32 v46, v46, v32, v43
	s_delay_alu instid0(VALU_DEP_4) | instskip(SKIP_1) | instid1(VALU_DEP_2)
	v_alignbit_b32 v30, v32, v30, v43
	v_lshlrev_b32_e32 v32, 31, v47
	v_alignbit_b32 v43, v46, v30, 9
	s_delay_alu instid0(VALU_DEP_2) | instskip(SKIP_1) | instid1(VALU_DEP_3)
	v_dual_lshrrev_b32 v46, 9, v46 :: v_dual_bitop2_b32 v47, 0.5, v32 bitop3:0x54
	v_or_b32_e32 v32, 0x33000000, v32
	v_clz_i32_u32_e32 v49, v43
	s_delay_alu instid0(VALU_DEP_3) | instskip(NEXT) | instid1(VALU_DEP_2)
	v_sub_nc_u32_e32 v47, v47, v48
	v_min_u32_e32 v48, 32, v49
	s_delay_alu instid0(VALU_DEP_1) | instskip(NEXT) | instid1(VALU_DEP_1)
	v_add_lshl_u32 v45, v48, v45, 23
	v_dual_sub_nc_u32 v32, v32, v45 :: v_dual_bitop2_b32 v46, v46, v47 bitop3:0x54
	v_not_b32_e32 v47, v48
	s_delay_alu instid0(VALU_DEP_1) | instskip(NEXT) | instid1(VALU_DEP_1)
	v_alignbit_b32 v30, v43, v30, v47
	v_lshrrev_b32_e32 v30, 9, v30
	s_delay_alu instid0(VALU_DEP_4) | instskip(NEXT) | instid1(VALU_DEP_2)
	v_mul_f32_e32 v49, 0x3fc90fda, v46
	v_or_b32_e32 v30, v32, v30
	s_delay_alu instid0(VALU_DEP_2) | instskip(NEXT) | instid1(VALU_DEP_1)
	v_fma_f32 v43, 0x3fc90fda, v46, -v49
	v_dual_fmac_f32 v43, 0x33a22168, v46 :: v_dual_add_nc_u32 v32, v44, v4
	s_delay_alu instid0(VALU_DEP_1) | instskip(NEXT) | instid1(VALU_DEP_1)
	v_fmac_f32_e32 v43, 0x3fc90fda, v30
	v_add_f32_e32 v30, v49, v43
	s_and_not1_saveexec_b32 s4, s27
	s_branch .LBB156_219
.LBB156_218:                            ;   in Loop: Header=BB156_161 Depth=1
	s_and_not1_saveexec_b32 s4, s27
.LBB156_219:                            ;   in Loop: Header=BB156_161 Depth=1
	v_mul_f32_e64 v4, 0x3f22f983, |v39|
	s_delay_alu instid0(VALU_DEP_1) | instskip(NEXT) | instid1(VALU_DEP_1)
	v_rndne_f32_e32 v4, v4
	v_fma_f32 v30, 0xbfc90fda, v4, |v39|
	v_cvt_i32_f32_e32 v32, v4
	s_delay_alu instid0(VALU_DEP_2) | instskip(NEXT) | instid1(VALU_DEP_1)
	v_fmac_f32_e32 v30, 0xb3a22168, v4
	v_fmac_f32_e32 v30, 0xa7c234c4, v4
; %bb.220:                              ;   in Loop: Header=BB156_161 Depth=1
	s_or_b32 exec_lo, exec_lo, s4
                                        ; implicit-def: $vgpr43
                                        ; implicit-def: $vgpr4
	s_and_saveexec_b32 s4, s26
	s_delay_alu instid0(SALU_CYCLE_1)
	s_xor_b32 s26, exec_lo, s4
	s_cbranch_execz .LBB156_222
; %bb.221:                              ;   in Loop: Header=BB156_161 Depth=1
	v_and_or_b32 v4, v42, s16, 0x800000
	v_dual_lshrrev_b32 v43, 23, v42 :: v_dual_mov_b32 v55, v5
	s_delay_alu instid0(VALU_DEP_2) | instskip(SKIP_1) | instid1(VALU_DEP_3)
	v_mul_u64_e32 v[44:45], s[14:15], v[4:5]
	v_mov_b32_e32 v47, v5
	v_add_nc_u32_e32 v43, 0xffffff88, v43
	s_delay_alu instid0(VALU_DEP_1) | instskip(NEXT) | instid1(VALU_DEP_4)
	v_cmp_lt_u32_e32 vcc_lo, 63, v43
	v_mov_b32_e32 v46, v45
	v_cndmask_b32_e64 v45, 0, 0xffffffc0, vcc_lo
	s_delay_alu instid0(VALU_DEP_2) | instskip(NEXT) | instid1(VALU_DEP_1)
	v_mad_nc_u64_u32 v[46:47], 0x3c439041, v4, v[46:47]
	v_dual_mov_b32 v49, v5 :: v_dual_mov_b32 v48, v47
	s_delay_alu instid0(VALU_DEP_1) | instskip(NEXT) | instid1(VALU_DEP_1)
	v_mad_nc_u64_u32 v[48:49], 0xdb629599, v4, v[48:49]
	v_dual_mov_b32 v51, v5 :: v_dual_mov_b32 v50, v49
	s_delay_alu instid0(VALU_DEP_2) | instskip(NEXT) | instid1(VALU_DEP_2)
	v_cndmask_b32_e32 v44, v48, v44, vcc_lo
	v_mad_nc_u64_u32 v[50:51], 0xf534ddc0, v4, v[50:51]
	s_delay_alu instid0(VALU_DEP_1) | instskip(NEXT) | instid1(VALU_DEP_1)
	v_dual_mov_b32 v53, v5 :: v_dual_mov_b32 v52, v51
	v_mad_nc_u64_u32 v[52:53], 0xfc2757d1, v4, v[52:53]
	s_delay_alu instid0(VALU_DEP_1) | instskip(NEXT) | instid1(VALU_DEP_1)
	v_dual_mov_b32 v54, v53 :: v_dual_cndmask_b32 v51, v52, v48
	v_mad_nc_u64_u32 v[54:55], 0x4e441529, v4, v[54:55]
	v_add_nc_u32_e32 v43, v45, v43
	s_delay_alu instid0(VALU_DEP_2) | instskip(NEXT) | instid1(VALU_DEP_2)
	v_dual_mov_b32 v57, v5 :: v_dual_mov_b32 v56, v55
	v_cmp_lt_u32_e64 s4, 31, v43
	s_delay_alu instid0(VALU_DEP_2) | instskip(NEXT) | instid1(VALU_DEP_2)
	v_mad_nc_u64_u32 v[56:57], 0xa2f9836e, v4, v[56:57]
	v_cndmask_b32_e64 v45, 0, 0xffffffe0, s4
	s_delay_alu instid0(VALU_DEP_1) | instskip(NEXT) | instid1(VALU_DEP_3)
	v_dual_cndmask_b32 v45, v54, v50 :: v_dual_add_nc_u32 v4, v45, v43
	v_cndmask_b32_e32 v47, v56, v52, vcc_lo
	s_delay_alu instid0(VALU_DEP_2) | instskip(SKIP_1) | instid1(VALU_DEP_2)
	v_cmp_lt_u32_e64 s5, 31, v4
	v_cndmask_b32_e32 v49, v57, v54, vcc_lo
	v_cndmask_b32_e64 v43, 0, 0xffffffe0, s5
	s_delay_alu instid0(VALU_DEP_1) | instskip(NEXT) | instid1(VALU_DEP_3)
	v_dual_cndmask_b32 v43, v50, v46 :: v_dual_add_nc_u32 v4, v43, v4
	v_dual_cndmask_b32 v46, v47, v45, s4 :: v_dual_cndmask_b32 v47, v49, v47, s4
	s_delay_alu instid0(VALU_DEP_2) | instskip(NEXT) | instid1(VALU_DEP_3)
	v_dual_cndmask_b32 v45, v45, v51, s4 :: v_dual_sub_nc_u32 v49, 32, v4
	v_cndmask_b32_e64 v50, v51, v43, s4
	v_cmp_eq_u32_e32 vcc_lo, 0, v4
	s_delay_alu instid0(VALU_DEP_3) | instskip(NEXT) | instid1(VALU_DEP_1)
	v_dual_cndmask_b32 v47, v47, v46, s5 :: v_dual_cndmask_b32 v46, v46, v45, s5
	v_alignbit_b32 v51, v47, v46, v49
	s_delay_alu instid0(VALU_DEP_1) | instskip(NEXT) | instid1(VALU_DEP_1)
	v_dual_cndmask_b32 v45, v45, v50, s5 :: v_dual_cndmask_b32 v4, v51, v47, vcc_lo
	v_alignbit_b32 v48, v46, v45, v49
	s_delay_alu instid0(VALU_DEP_1) | instskip(NEXT) | instid1(VALU_DEP_3)
	v_dual_cndmask_b32 v43, v43, v44, s4 :: v_dual_cndmask_b32 v44, v48, v46, vcc_lo
	v_bfe_u32 v46, v4, 29, 1
	s_delay_alu instid0(VALU_DEP_2) | instskip(NEXT) | instid1(VALU_DEP_3)
	v_cndmask_b32_e64 v43, v50, v43, s5
	v_alignbit_b32 v47, v4, v44, 30
	s_delay_alu instid0(VALU_DEP_3) | instskip(NEXT) | instid1(VALU_DEP_3)
	v_sub_nc_u32_e32 v48, 0, v46
	v_alignbit_b32 v49, v45, v43, v49
	s_delay_alu instid0(VALU_DEP_1) | instskip(NEXT) | instid1(VALU_DEP_1)
	v_dual_cndmask_b32 v45, v49, v45, vcc_lo :: v_dual_bitop2_b32 v47, v47, v48 bitop3:0x14
	v_clz_i32_u32_e32 v49, v47
	s_delay_alu instid0(VALU_DEP_2) | instskip(SKIP_1) | instid1(VALU_DEP_3)
	v_alignbit_b32 v44, v44, v45, 30
	v_alignbit_b32 v43, v45, v43, 30
	v_min_u32_e32 v49, 32, v49
	s_delay_alu instid0(VALU_DEP_3) | instskip(NEXT) | instid1(VALU_DEP_3)
	v_xor_b32_e32 v44, v44, v48
	v_xor_b32_e32 v43, v43, v48
	s_delay_alu instid0(VALU_DEP_3) | instskip(SKIP_1) | instid1(VALU_DEP_1)
	v_dual_lshrrev_b32 v48, 29, v4 :: v_dual_lshlrev_b32 v50, 23, v49
	v_sub_nc_u32_e32 v45, 31, v49
	v_alignbit_b32 v47, v47, v44, v45
	s_delay_alu instid0(VALU_DEP_4) | instskip(NEXT) | instid1(VALU_DEP_4)
	v_alignbit_b32 v43, v44, v43, v45
	v_lshlrev_b32_e32 v44, 31, v48
	s_delay_alu instid0(VALU_DEP_2) | instskip(NEXT) | instid1(VALU_DEP_2)
	v_alignbit_b32 v45, v47, v43, 9
	v_dual_lshrrev_b32 v47, 9, v47 :: v_dual_bitop2_b32 v48, 0.5, v44 bitop3:0x54
	v_or_b32_e32 v44, 0x33000000, v44
	s_delay_alu instid0(VALU_DEP_3) | instskip(NEXT) | instid1(VALU_DEP_3)
	v_clz_i32_u32_e32 v51, v45
	v_sub_nc_u32_e32 v48, v48, v50
	s_delay_alu instid0(VALU_DEP_2) | instskip(NEXT) | instid1(VALU_DEP_1)
	v_min_u32_e32 v50, 32, v51
	v_add_lshl_u32 v49, v50, v49, 23
	s_delay_alu instid0(VALU_DEP_3) | instskip(SKIP_1) | instid1(VALU_DEP_2)
	v_or_b32_e32 v47, v47, v48
	v_not_b32_e32 v48, v50
	v_dual_mul_f32 v51, 0x3fc90fda, v47 :: v_dual_sub_nc_u32 v44, v44, v49
	s_delay_alu instid0(VALU_DEP_2) | instskip(NEXT) | instid1(VALU_DEP_2)
	v_alignbit_b32 v43, v45, v43, v48
	v_fma_f32 v45, 0x3fc90fda, v47, -v51
	s_delay_alu instid0(VALU_DEP_2) | instskip(NEXT) | instid1(VALU_DEP_2)
	v_lshrrev_b32_e32 v43, 9, v43
	v_fmac_f32_e32 v45, 0x33a22168, v47
	s_delay_alu instid0(VALU_DEP_2) | instskip(NEXT) | instid1(VALU_DEP_1)
	v_or_b32_e32 v43, v44, v43
	v_fmac_f32_e32 v45, 0x3fc90fda, v43
	s_delay_alu instid0(VALU_DEP_1) | instskip(NEXT) | instid1(VALU_DEP_1)
	v_dual_add_f32 v4, v51, v45 :: v_dual_lshrrev_b32 v43, 30, v4
	v_add_nc_u32_e32 v43, v46, v43
	s_and_not1_saveexec_b32 s4, s26
	s_cbranch_execnz .LBB156_223
	s_branch .LBB156_224
.LBB156_222:                            ;   in Loop: Header=BB156_161 Depth=1
	s_and_not1_saveexec_b32 s4, s26
.LBB156_223:                            ;   in Loop: Header=BB156_161 Depth=1
	v_mul_f32_e64 v4, 0x3f22f983, |v39|
	s_delay_alu instid0(VALU_DEP_1) | instskip(NEXT) | instid1(VALU_DEP_1)
	v_rndne_f32_e32 v43, v4
	v_fma_f32 v4, 0xbfc90fda, v43, |v39|
	s_delay_alu instid0(VALU_DEP_1) | instskip(NEXT) | instid1(VALU_DEP_1)
	v_fmac_f32_e32 v4, 0xb3a22168, v43
	v_fmac_f32_e32 v4, 0xa7c234c4, v43
	v_cvt_i32_f32_e32 v43, v43
.LBB156_224:                            ;   in Loop: Header=BB156_161 Depth=1
	s_or_b32 exec_lo, exec_lo, s4
	v_dual_mul_f32 v44, v30, v30 :: v_dual_bitop2_b32 v45, 1, v32 bitop3:0x40
	v_mul_f32_e64 v46, 0xbfb8aa3b, |v38|
	s_delay_alu instid0(VALU_DEP_2) | instskip(SKIP_1) | instid1(VALU_DEP_3)
	v_fmaak_f32 v47, s21, v44, 0x3c0881c4
	v_lshlrev_b32_e32 v32, 30, v32
	v_fma_f32 v50, 0xbfb8aa3b, |v38|, -v46
	v_cmp_eq_u32_e32 vcc_lo, 0, v45
	s_delay_alu instid0(VALU_DEP_4)
	v_fmaak_f32 v47, v44, v47, 0xbe2aaa9d
	v_fmaak_f32 v48, s22, v44, 0xbab64f3b
	v_bitop3_b32 v32, v42, v32, 0x80000000 bitop3:0x78
	v_rndne_f32_e32 v42, v46
	v_fma_f32 v50, 0xb2a5705f, |v38|, v50
	v_mul_f32_e32 v47, v44, v47
	v_mul_f32_e32 v49, v4, v4
	v_fmaak_f32 v48, v44, v48, 0x3d2aabf7
	v_sub_f32_e32 v46, v46, v42
	v_cvt_i32_f32_e32 v42, v42
	s_delay_alu instid0(VALU_DEP_4) | instskip(NEXT) | instid1(VALU_DEP_4)
	v_dual_fmac_f32 v30, v30, v47 :: v_dual_fmaak_f32 v51, s21, v49, 0x3c0881c4
	v_fmaak_f32 v48, v44, v48, 0xbf000004
	v_fmaak_f32 v52, s22, v49, 0xbab64f3b
	v_add_f32_e32 v46, v46, v50
	s_delay_alu instid0(VALU_DEP_3) | instskip(SKIP_1) | instid1(VALU_DEP_3)
	v_fma_f32 v44, v44, v48, 1.0
	v_fmaak_f32 v51, v49, v51, 0xbe2aaa9d
	v_exp_f32_e32 v45, v46
	s_delay_alu instid0(VALU_DEP_2) | instskip(NEXT) | instid1(VALU_DEP_2)
	v_dual_cndmask_b32 v30, v44, v30, vcc_lo :: v_dual_bitop2_b32 v46, 1, v43 bitop3:0x40
	v_dual_fmaak_f32 v47, v49, v52, 0x3d2aabf7 :: v_dual_mul_f32 v48, v49, v51
	s_delay_alu instid0(VALU_DEP_2) | instskip(NEXT) | instid1(VALU_DEP_3)
	v_cmp_eq_u32_e32 vcc_lo, 0, v46
	v_xor3_b32 v30, v32, v30, v39
	s_delay_alu instid0(VALU_DEP_3) | instskip(NEXT) | instid1(VALU_DEP_4)
	v_fmaak_f32 v44, v49, v47, 0xbf000004
	v_fmac_f32_e32 v4, v4, v48
	v_ldexp_f32 v32, v45, v42
	s_delay_alu instid0(VALU_DEP_4) | instskip(NEXT) | instid1(VALU_DEP_4)
	v_dual_mul_f32 v30, 4.0, v30 :: v_dual_lshlrev_b32 v39, 30, v43
	v_fma_f32 v44, v49, v44, 1.0
	s_delay_alu instid0(VALU_DEP_1) | instskip(SKIP_1) | instid1(VALU_DEP_2)
	v_cndmask_b32_e64 v4, -v4, v44, vcc_lo
	v_cmp_nlt_f32_e64 vcc_lo, 0x42ce8ed0, |v38|
	v_bitop3_b32 v4, v39, v4, 0x80000000 bitop3:0x6c
	v_cndmask_b32_e32 v32, 0, v32, vcc_lo
	v_cmp_ngt_f32_e64 vcc_lo, 0xc2b17218, |v38|
	v_bfi_b32 v38, 0x7fffffff, 1.0, v38
	s_delay_alu instid0(VALU_DEP_4) | instskip(NEXT) | instid1(VALU_DEP_4)
	v_mul_f32_e32 v4, v30, v4
	v_cndmask_b32_e32 v32, 0x7f800000, v32, vcc_lo
	s_delay_alu instid0(VALU_DEP_1) | instskip(NEXT) | instid1(VALU_DEP_1)
	v_mul_f32_e32 v4, v32, v4
	v_mul_f32_e32 v39, v32, v4
.LBB156_225:                            ;   in Loop: Header=BB156_161 Depth=1
	s_or_b32 exec_lo, exec_lo, s25
.LBB156_226:                            ;   in Loop: Header=BB156_161 Depth=1
	s_and_not1_saveexec_b32 s4, s24
; %bb.227:                              ;   in Loop: Header=BB156_161 Depth=1
	s_delay_alu instid0(VALU_DEP_1) | instskip(NEXT) | instid1(VALU_DEP_1)
	v_sub_f32_e32 v39, v39, v39
	v_mov_b32_e32 v38, v39
; %bb.228:                              ;   in Loop: Header=BB156_161 Depth=1
	s_or_b32 exec_lo, exec_lo, s4
.LBB156_229:                            ;   in Loop: Header=BB156_161 Depth=1
	s_and_not1_saveexec_b32 s23, s23
	s_cbranch_execz .LBB156_245
; %bb.230:                              ;   in Loop: Header=BB156_161 Depth=1
	s_delay_alu instid0(VALU_DEP_1) | instskip(SKIP_1) | instid1(VALU_DEP_1)
	v_and_b32_e32 v4, 0x7fffff, v38
	s_mov_b32 s4, exec_lo
	v_cmpx_ne_u32_e32 0, v4
	s_xor_b32 s4, exec_lo, s4
; %bb.231:                              ;   in Loop: Header=BB156_161 Depth=1
	v_mul_f32_e32 v4, v39, v38
	v_cmp_eq_f32_e32 vcc_lo, 0, v39
	s_delay_alu instid0(VALU_DEP_2)
	v_cndmask_b32_e32 v39, v4, v39, vcc_lo
; %bb.232:                              ;   in Loop: Header=BB156_161 Depth=1
	s_and_not1_saveexec_b32 s24, s4
	s_cbranch_execz .LBB156_244
; %bb.233:                              ;   in Loop: Header=BB156_161 Depth=1
	s_mov_b32 s25, exec_lo
	s_delay_alu instid0(VALU_DEP_1)
	v_cmpx_neq_f32_e64 0x7f800000, |v39|
	s_cbranch_execz .LBB156_243
; %bb.234:                              ;   in Loop: Header=BB156_161 Depth=1
	v_and_b32_e32 v30, 0x7fffffff, v39
	v_cmp_ngt_f32_e64 s26, 0x48000000, |v39|
                                        ; implicit-def: $vgpr42
                                        ; implicit-def: $vgpr32
	s_and_saveexec_b32 s4, s26
	s_delay_alu instid0(SALU_CYCLE_1)
	s_xor_b32 s27, exec_lo, s4
	s_cbranch_execz .LBB156_236
; %bb.235:                              ;   in Loop: Header=BB156_161 Depth=1
	v_and_or_b32 v4, v30, s16, 0x800000
	v_dual_mov_b32 v53, v5 :: v_dual_lshrrev_b32 v32, 23, v30
	v_mov_b32_e32 v55, v5
	s_delay_alu instid0(VALU_DEP_3) | instskip(NEXT) | instid1(VALU_DEP_1)
	v_mul_u64_e32 v[42:43], s[14:15], v[4:5]
	v_dual_mov_b32 v45, v5 :: v_dual_mov_b32 v44, v43
	s_delay_alu instid0(VALU_DEP_1) | instskip(NEXT) | instid1(VALU_DEP_1)
	v_mad_nc_u64_u32 v[44:45], 0x3c439041, v4, v[44:45]
	v_dual_mov_b32 v47, v5 :: v_dual_mov_b32 v46, v45
	s_delay_alu instid0(VALU_DEP_1) | instskip(NEXT) | instid1(VALU_DEP_1)
	v_mad_nc_u64_u32 v[46:47], 0xdb629599, v4, v[46:47]
	;; [unrolled: 3-line block ×4, first 2 shown]
	v_mov_b32_e32 v52, v51
	s_delay_alu instid0(VALU_DEP_1) | instskip(NEXT) | instid1(VALU_DEP_1)
	v_mad_nc_u64_u32 v[52:53], 0x4e441529, v4, v[52:53]
	v_mov_b32_e32 v54, v53
	s_delay_alu instid0(VALU_DEP_1) | instskip(SKIP_1) | instid1(VALU_DEP_1)
	v_mad_nc_u64_u32 v[54:55], 0xa2f9836e, v4, v[54:55]
	v_add_nc_u32_e32 v32, 0xffffff88, v32
	v_cmp_lt_u32_e32 vcc_lo, 63, v32
	v_cndmask_b32_e64 v43, 0, 0xffffffc0, vcc_lo
	s_delay_alu instid0(VALU_DEP_4) | instskip(SKIP_1) | instid1(VALU_DEP_3)
	v_cndmask_b32_e32 v45, v54, v50, vcc_lo
	v_cndmask_b32_e32 v49, v50, v46, vcc_lo
	v_dual_cndmask_b32 v42, v46, v42, vcc_lo :: v_dual_add_nc_u32 v32, v43, v32
	s_delay_alu instid0(VALU_DEP_1) | instskip(SKIP_1) | instid1(VALU_DEP_2)
	v_cmp_lt_u32_e64 s4, 31, v32
	v_cndmask_b32_e32 v47, v55, v52, vcc_lo
	v_cndmask_b32_e64 v43, 0, 0xffffffe0, s4
	s_delay_alu instid0(VALU_DEP_1) | instskip(SKIP_1) | instid1(VALU_DEP_2)
	v_add_nc_u32_e32 v4, v43, v32
	v_cndmask_b32_e32 v43, v52, v48, vcc_lo
	v_cmp_lt_u32_e64 s5, 31, v4
	s_delay_alu instid0(VALU_DEP_1) | instskip(NEXT) | instid1(VALU_DEP_1)
	v_cndmask_b32_e64 v32, 0, 0xffffffe0, s5
	v_add_nc_u32_e32 v4, v32, v4
	s_delay_alu instid0(VALU_DEP_4) | instskip(SKIP_1) | instid1(VALU_DEP_3)
	v_dual_cndmask_b32 v32, v48, v44, vcc_lo :: v_dual_cndmask_b32 v44, v45, v43, s4
	v_cndmask_b32_e64 v45, v47, v45, s4
	v_dual_cndmask_b32 v43, v43, v49, s4 :: v_dual_sub_nc_u32 v47, 32, v4
	v_cmp_eq_u32_e32 vcc_lo, 0, v4
	s_delay_alu instid0(VALU_DEP_3) | instskip(NEXT) | instid1(VALU_DEP_3)
	v_cndmask_b32_e64 v45, v45, v44, s5
	v_dual_cndmask_b32 v48, v49, v32, s4 :: v_dual_cndmask_b32 v44, v44, v43, s5
	s_delay_alu instid0(VALU_DEP_1) | instskip(NEXT) | instid1(VALU_DEP_1)
	v_alignbit_b32 v49, v45, v44, v47
	v_dual_cndmask_b32 v43, v43, v48, s5 :: v_dual_cndmask_b32 v4, v49, v45, vcc_lo
	s_delay_alu instid0(VALU_DEP_1) | instskip(NEXT) | instid1(VALU_DEP_1)
	v_alignbit_b32 v46, v44, v43, v47
	v_dual_cndmask_b32 v32, v32, v42, s4 :: v_dual_cndmask_b32 v42, v46, v44, vcc_lo
	s_delay_alu instid0(VALU_DEP_3) | instskip(NEXT) | instid1(VALU_DEP_2)
	v_bfe_u32 v44, v4, 29, 1
	v_alignbit_b32 v45, v4, v42, 30
	s_delay_alu instid0(VALU_DEP_2) | instskip(NEXT) | instid1(VALU_DEP_1)
	v_sub_nc_u32_e32 v46, 0, v44
	v_dual_cndmask_b32 v32, v48, v32, s5 :: v_dual_bitop2_b32 v45, v45, v46 bitop3:0x14
	s_delay_alu instid0(VALU_DEP_1) | instskip(NEXT) | instid1(VALU_DEP_1)
	v_alignbit_b32 v47, v43, v32, v47
	v_cndmask_b32_e32 v43, v47, v43, vcc_lo
	s_delay_alu instid0(VALU_DEP_3) | instskip(NEXT) | instid1(VALU_DEP_2)
	v_clz_i32_u32_e32 v47, v45
	v_alignbit_b32 v42, v42, v43, 30
	s_delay_alu instid0(VALU_DEP_2) | instskip(SKIP_1) | instid1(VALU_DEP_2)
	v_min_u32_e32 v47, 32, v47
	v_alignbit_b32 v32, v43, v32, 30
	v_dual_sub_nc_u32 v43, 31, v47 :: v_dual_bitop2_b32 v42, v42, v46 bitop3:0x14
	s_delay_alu instid0(VALU_DEP_2) | instskip(SKIP_1) | instid1(VALU_DEP_3)
	v_dual_lshrrev_b32 v46, 29, v4 :: v_dual_bitop2_b32 v32, v32, v46 bitop3:0x14
	v_lshlrev_b32_e32 v48, 23, v47
	v_alignbit_b32 v45, v45, v42, v43
	s_delay_alu instid0(VALU_DEP_3) | instskip(NEXT) | instid1(VALU_DEP_4)
	v_alignbit_b32 v32, v42, v32, v43
	v_lshlrev_b32_e32 v42, 31, v46
	s_delay_alu instid0(VALU_DEP_2) | instskip(NEXT) | instid1(VALU_DEP_2)
	v_alignbit_b32 v43, v45, v32, 9
	v_dual_lshrrev_b32 v45, 9, v45 :: v_dual_bitop2_b32 v46, 0.5, v42 bitop3:0x54
	v_or_b32_e32 v42, 0x33000000, v42
	s_delay_alu instid0(VALU_DEP_3) | instskip(NEXT) | instid1(VALU_DEP_3)
	v_clz_i32_u32_e32 v49, v43
	v_sub_nc_u32_e32 v46, v46, v48
	s_delay_alu instid0(VALU_DEP_2) | instskip(NEXT) | instid1(VALU_DEP_1)
	v_min_u32_e32 v48, 32, v49
	v_add_lshl_u32 v47, v48, v47, 23
	s_delay_alu instid0(VALU_DEP_3) | instskip(SKIP_1) | instid1(VALU_DEP_2)
	v_or_b32_e32 v45, v45, v46
	v_not_b32_e32 v46, v48
	v_dual_mul_f32 v49, 0x3fc90fda, v45 :: v_dual_sub_nc_u32 v42, v42, v47
	s_delay_alu instid0(VALU_DEP_2) | instskip(NEXT) | instid1(VALU_DEP_2)
	v_alignbit_b32 v32, v43, v32, v46
	v_fma_f32 v43, 0x3fc90fda, v45, -v49
	s_delay_alu instid0(VALU_DEP_1) | instskip(NEXT) | instid1(VALU_DEP_1)
	v_dual_fmac_f32 v43, 0x33a22168, v45 :: v_dual_lshrrev_b32 v32, 9, v32
	v_or_b32_e32 v32, v42, v32
	s_delay_alu instid0(VALU_DEP_1) | instskip(NEXT) | instid1(VALU_DEP_1)
	v_fmac_f32_e32 v43, 0x3fc90fda, v32
	v_dual_lshrrev_b32 v4, 30, v4 :: v_dual_add_f32 v32, v49, v43
	s_delay_alu instid0(VALU_DEP_1)
	v_add_nc_u32_e32 v42, v44, v4
	s_and_not1_saveexec_b32 s4, s27
	s_branch .LBB156_237
.LBB156_236:                            ;   in Loop: Header=BB156_161 Depth=1
	s_and_not1_saveexec_b32 s4, s27
.LBB156_237:                            ;   in Loop: Header=BB156_161 Depth=1
	v_mul_f32_e64 v4, 0x3f22f983, |v39|
	s_delay_alu instid0(VALU_DEP_1) | instskip(NEXT) | instid1(VALU_DEP_1)
	v_rndne_f32_e32 v4, v4
	v_fma_f32 v32, 0xbfc90fda, v4, |v39|
	v_cvt_i32_f32_e32 v42, v4
	s_delay_alu instid0(VALU_DEP_2) | instskip(NEXT) | instid1(VALU_DEP_1)
	v_fmac_f32_e32 v32, 0xb3a22168, v4
	v_fmac_f32_e32 v32, 0xa7c234c4, v4
; %bb.238:                              ;   in Loop: Header=BB156_161 Depth=1
	s_or_b32 exec_lo, exec_lo, s4
                                        ; implicit-def: $vgpr43
                                        ; implicit-def: $vgpr4
	s_and_saveexec_b32 s4, s26
	s_delay_alu instid0(SALU_CYCLE_1)
	s_xor_b32 s26, exec_lo, s4
	s_cbranch_execz .LBB156_240
; %bb.239:                              ;   in Loop: Header=BB156_161 Depth=1
	v_and_or_b32 v4, v30, s16, 0x800000
	v_dual_lshrrev_b32 v43, 23, v30 :: v_dual_mov_b32 v55, v5
	s_delay_alu instid0(VALU_DEP_2) | instskip(SKIP_1) | instid1(VALU_DEP_3)
	v_mul_u64_e32 v[44:45], s[14:15], v[4:5]
	v_mov_b32_e32 v47, v5
	v_add_nc_u32_e32 v43, 0xffffff88, v43
	s_delay_alu instid0(VALU_DEP_1) | instskip(NEXT) | instid1(VALU_DEP_4)
	v_cmp_lt_u32_e32 vcc_lo, 63, v43
	v_mov_b32_e32 v46, v45
	v_cndmask_b32_e64 v45, 0, 0xffffffc0, vcc_lo
	s_delay_alu instid0(VALU_DEP_2) | instskip(NEXT) | instid1(VALU_DEP_1)
	v_mad_nc_u64_u32 v[46:47], 0x3c439041, v4, v[46:47]
	v_dual_mov_b32 v49, v5 :: v_dual_mov_b32 v48, v47
	s_delay_alu instid0(VALU_DEP_1) | instskip(NEXT) | instid1(VALU_DEP_1)
	v_mad_nc_u64_u32 v[48:49], 0xdb629599, v4, v[48:49]
	v_dual_mov_b32 v51, v5 :: v_dual_mov_b32 v50, v49
	s_delay_alu instid0(VALU_DEP_2) | instskip(NEXT) | instid1(VALU_DEP_2)
	v_cndmask_b32_e32 v44, v48, v44, vcc_lo
	v_mad_nc_u64_u32 v[50:51], 0xf534ddc0, v4, v[50:51]
	s_delay_alu instid0(VALU_DEP_1) | instskip(NEXT) | instid1(VALU_DEP_1)
	v_dual_mov_b32 v53, v5 :: v_dual_mov_b32 v52, v51
	v_mad_nc_u64_u32 v[52:53], 0xfc2757d1, v4, v[52:53]
	s_delay_alu instid0(VALU_DEP_1) | instskip(NEXT) | instid1(VALU_DEP_1)
	v_dual_mov_b32 v54, v53 :: v_dual_cndmask_b32 v51, v52, v48
	v_mad_nc_u64_u32 v[54:55], 0x4e441529, v4, v[54:55]
	v_add_nc_u32_e32 v43, v45, v43
	s_delay_alu instid0(VALU_DEP_2) | instskip(NEXT) | instid1(VALU_DEP_2)
	v_dual_mov_b32 v57, v5 :: v_dual_mov_b32 v56, v55
	v_cmp_lt_u32_e64 s4, 31, v43
	s_delay_alu instid0(VALU_DEP_2) | instskip(NEXT) | instid1(VALU_DEP_2)
	v_mad_nc_u64_u32 v[56:57], 0xa2f9836e, v4, v[56:57]
	v_cndmask_b32_e64 v45, 0, 0xffffffe0, s4
	s_delay_alu instid0(VALU_DEP_1) | instskip(NEXT) | instid1(VALU_DEP_3)
	v_dual_cndmask_b32 v45, v54, v50 :: v_dual_add_nc_u32 v4, v45, v43
	v_cndmask_b32_e32 v47, v56, v52, vcc_lo
	s_delay_alu instid0(VALU_DEP_2) | instskip(SKIP_1) | instid1(VALU_DEP_2)
	v_cmp_lt_u32_e64 s5, 31, v4
	v_cndmask_b32_e32 v49, v57, v54, vcc_lo
	v_cndmask_b32_e64 v43, 0, 0xffffffe0, s5
	s_delay_alu instid0(VALU_DEP_1) | instskip(NEXT) | instid1(VALU_DEP_3)
	v_dual_cndmask_b32 v43, v50, v46 :: v_dual_add_nc_u32 v4, v43, v4
	v_dual_cndmask_b32 v46, v47, v45, s4 :: v_dual_cndmask_b32 v47, v49, v47, s4
	s_delay_alu instid0(VALU_DEP_2) | instskip(NEXT) | instid1(VALU_DEP_3)
	v_dual_cndmask_b32 v45, v45, v51, s4 :: v_dual_sub_nc_u32 v49, 32, v4
	v_cndmask_b32_e64 v50, v51, v43, s4
	v_cmp_eq_u32_e32 vcc_lo, 0, v4
	s_delay_alu instid0(VALU_DEP_3) | instskip(NEXT) | instid1(VALU_DEP_1)
	v_dual_cndmask_b32 v47, v47, v46, s5 :: v_dual_cndmask_b32 v46, v46, v45, s5
	v_alignbit_b32 v51, v47, v46, v49
	s_delay_alu instid0(VALU_DEP_1) | instskip(NEXT) | instid1(VALU_DEP_1)
	v_dual_cndmask_b32 v45, v45, v50, s5 :: v_dual_cndmask_b32 v4, v51, v47, vcc_lo
	v_alignbit_b32 v48, v46, v45, v49
	s_delay_alu instid0(VALU_DEP_1) | instskip(NEXT) | instid1(VALU_DEP_3)
	v_dual_cndmask_b32 v43, v43, v44, s4 :: v_dual_cndmask_b32 v44, v48, v46, vcc_lo
	v_bfe_u32 v46, v4, 29, 1
	s_delay_alu instid0(VALU_DEP_2) | instskip(NEXT) | instid1(VALU_DEP_3)
	v_cndmask_b32_e64 v43, v50, v43, s5
	v_alignbit_b32 v47, v4, v44, 30
	s_delay_alu instid0(VALU_DEP_3) | instskip(NEXT) | instid1(VALU_DEP_3)
	v_sub_nc_u32_e32 v48, 0, v46
	v_alignbit_b32 v49, v45, v43, v49
	s_delay_alu instid0(VALU_DEP_1) | instskip(NEXT) | instid1(VALU_DEP_1)
	v_dual_cndmask_b32 v45, v49, v45, vcc_lo :: v_dual_bitop2_b32 v47, v47, v48 bitop3:0x14
	v_clz_i32_u32_e32 v49, v47
	s_delay_alu instid0(VALU_DEP_2) | instskip(SKIP_1) | instid1(VALU_DEP_3)
	v_alignbit_b32 v44, v44, v45, 30
	v_alignbit_b32 v43, v45, v43, 30
	v_min_u32_e32 v49, 32, v49
	s_delay_alu instid0(VALU_DEP_3) | instskip(NEXT) | instid1(VALU_DEP_3)
	v_xor_b32_e32 v44, v44, v48
	v_xor_b32_e32 v43, v43, v48
	s_delay_alu instid0(VALU_DEP_3) | instskip(SKIP_1) | instid1(VALU_DEP_1)
	v_dual_lshrrev_b32 v48, 29, v4 :: v_dual_lshlrev_b32 v50, 23, v49
	v_sub_nc_u32_e32 v45, 31, v49
	v_alignbit_b32 v47, v47, v44, v45
	s_delay_alu instid0(VALU_DEP_4) | instskip(NEXT) | instid1(VALU_DEP_4)
	v_alignbit_b32 v43, v44, v43, v45
	v_lshlrev_b32_e32 v44, 31, v48
	s_delay_alu instid0(VALU_DEP_2) | instskip(NEXT) | instid1(VALU_DEP_2)
	v_alignbit_b32 v45, v47, v43, 9
	v_dual_lshrrev_b32 v47, 9, v47 :: v_dual_bitop2_b32 v48, 0.5, v44 bitop3:0x54
	v_or_b32_e32 v44, 0x33000000, v44
	s_delay_alu instid0(VALU_DEP_3) | instskip(NEXT) | instid1(VALU_DEP_3)
	v_clz_i32_u32_e32 v51, v45
	v_sub_nc_u32_e32 v48, v48, v50
	s_delay_alu instid0(VALU_DEP_2) | instskip(NEXT) | instid1(VALU_DEP_1)
	v_min_u32_e32 v50, 32, v51
	v_add_lshl_u32 v49, v50, v49, 23
	s_delay_alu instid0(VALU_DEP_3) | instskip(SKIP_1) | instid1(VALU_DEP_2)
	v_or_b32_e32 v47, v47, v48
	v_not_b32_e32 v48, v50
	v_dual_mul_f32 v51, 0x3fc90fda, v47 :: v_dual_sub_nc_u32 v44, v44, v49
	s_delay_alu instid0(VALU_DEP_2) | instskip(NEXT) | instid1(VALU_DEP_2)
	v_alignbit_b32 v43, v45, v43, v48
	v_fma_f32 v45, 0x3fc90fda, v47, -v51
	s_delay_alu instid0(VALU_DEP_2) | instskip(NEXT) | instid1(VALU_DEP_2)
	v_lshrrev_b32_e32 v43, 9, v43
	v_fmac_f32_e32 v45, 0x33a22168, v47
	s_delay_alu instid0(VALU_DEP_2) | instskip(NEXT) | instid1(VALU_DEP_1)
	v_or_b32_e32 v43, v44, v43
	v_fmac_f32_e32 v45, 0x3fc90fda, v43
	s_delay_alu instid0(VALU_DEP_1) | instskip(NEXT) | instid1(VALU_DEP_1)
	v_dual_add_f32 v4, v51, v45 :: v_dual_lshrrev_b32 v43, 30, v4
	v_add_nc_u32_e32 v43, v46, v43
	s_and_not1_saveexec_b32 s4, s26
	s_cbranch_execnz .LBB156_241
	s_branch .LBB156_242
.LBB156_240:                            ;   in Loop: Header=BB156_161 Depth=1
	s_and_not1_saveexec_b32 s4, s26
.LBB156_241:                            ;   in Loop: Header=BB156_161 Depth=1
	v_mul_f32_e64 v4, 0x3f22f983, |v39|
	s_delay_alu instid0(VALU_DEP_1) | instskip(NEXT) | instid1(VALU_DEP_1)
	v_rndne_f32_e32 v43, v4
	v_fma_f32 v4, 0xbfc90fda, v43, |v39|
	s_delay_alu instid0(VALU_DEP_1) | instskip(NEXT) | instid1(VALU_DEP_1)
	v_fmac_f32_e32 v4, 0xb3a22168, v43
	v_fmac_f32_e32 v4, 0xa7c234c4, v43
	v_cvt_i32_f32_e32 v43, v43
.LBB156_242:                            ;   in Loop: Header=BB156_161 Depth=1
	s_or_b32 exec_lo, exec_lo, s4
	s_delay_alu instid0(VALU_DEP_2) | instskip(SKIP_1) | instid1(VALU_DEP_3)
	v_mul_f32_e32 v45, v4, v4
	v_dual_mul_f32 v44, v32, v32 :: v_dual_bitop2_b32 v46, 1, v42 bitop3:0x40
	v_dual_lshlrev_b32 v42, 30, v42 :: v_dual_bitop2_b32 v51, 1, v43 bitop3:0x40
	s_delay_alu instid0(VALU_DEP_3) | instskip(SKIP_1) | instid1(VALU_DEP_4)
	v_fmaak_f32 v49, s21, v45, 0x3c0881c4
	v_dual_fmaak_f32 v50, s22, v45, 0xbab64f3b :: v_dual_lshlrev_b32 v43, 30, v43
	v_cmp_eq_u32_e32 vcc_lo, 0, v46
	s_delay_alu instid0(VALU_DEP_4) | instskip(NEXT) | instid1(VALU_DEP_4)
	v_bitop3_b32 v30, v30, v42, 0x80000000 bitop3:0x78
	v_fmaak_f32 v49, v45, v49, 0xbe2aaa9d
	s_delay_alu instid0(VALU_DEP_1) | instskip(SKIP_1) | instid1(VALU_DEP_2)
	v_dual_fmaak_f32 v50, v45, v50, 0x3d2aabf7 :: v_dual_mul_f32 v49, v45, v49
	v_fmaak_f32 v47, s21, v44, 0x3c0881c4
	v_fmaak_f32 v50, v45, v50, 0xbf000004
	s_delay_alu instid0(VALU_DEP_3) | instskip(NEXT) | instid1(VALU_DEP_3)
	v_fmac_f32_e32 v4, v4, v49
	v_fmaak_f32 v47, v44, v47, 0xbe2aaa9d
	v_fmaak_f32 v48, s22, v44, 0xbab64f3b
	s_delay_alu instid0(VALU_DEP_4) | instskip(NEXT) | instid1(VALU_DEP_2)
	v_fma_f32 v45, v45, v50, 1.0
	v_dual_mul_f32 v47, v44, v47 :: v_dual_fmaak_f32 v48, v44, v48, 0x3d2aabf7
	s_delay_alu instid0(VALU_DEP_1) | instskip(NEXT) | instid1(VALU_DEP_2)
	v_fmac_f32_e32 v32, v32, v47
	v_fmaak_f32 v48, v44, v48, 0xbf000004
	s_delay_alu instid0(VALU_DEP_1) | instskip(NEXT) | instid1(VALU_DEP_1)
	v_fma_f32 v44, v44, v48, 1.0
	v_cndmask_b32_e32 v32, v44, v32, vcc_lo
	v_cmp_eq_u32_e32 vcc_lo, 0, v51
	s_delay_alu instid0(VALU_DEP_2) | instskip(SKIP_2) | instid1(VALU_DEP_2)
	v_xor3_b32 v30, v30, v32, v39
	v_cndmask_b32_e64 v4, -v4, v45, vcc_lo
	v_cmp_class_f32_e64 vcc_lo, v39, 0x1f8
	v_bitop3_b32 v4, v43, v4, 0x80000000 bitop3:0x6c
	s_delay_alu instid0(VALU_DEP_1) | instskip(NEXT) | instid1(VALU_DEP_1)
	v_mul_f32_e32 v4, v30, v4
	v_cndmask_b32_e32 v39, 0x7fc00000, v4, vcc_lo
.LBB156_243:                            ;   in Loop: Header=BB156_161 Depth=1
	s_or_b32 exec_lo, exec_lo, s25
	v_add_nc_u32_e32 v38, -2.0, v38
	s_delay_alu instid0(VALU_DEP_2)
	v_bfi_b32 v39, 0x7fffffff, 0, v39
.LBB156_244:                            ;   in Loop: Header=BB156_161 Depth=1
	s_or_b32 exec_lo, exec_lo, s24
.LBB156_245:                            ;   in Loop: Header=BB156_161 Depth=1
	s_delay_alu instid0(SALU_CYCLE_1) | instskip(SKIP_2) | instid1(VALU_DEP_1)
	s_or_b32 exec_lo, exec_lo, s23
	v_and_b32_e32 v30, 0x7fffffff, v34
	s_mov_b32 s4, exec_lo
	v_cmpx_gt_u32_e32 0x7f800000, v30
	s_xor_b32 s23, exec_lo, s4
	s_cbranch_execz .LBB156_267
; %bb.246:                              ;   in Loop: Header=BB156_161 Depth=1
	v_cmp_class_f32_e64 s4, v35, 0x1f8
	s_and_saveexec_b32 s5, s4
	s_delay_alu instid0(SALU_CYCLE_1)
	s_xor_b32 s24, exec_lo, s5
	s_cbranch_execz .LBB156_264
; %bb.247:                              ;   in Loop: Header=BB156_161 Depth=1
	v_and_b32_e32 v42, 0x7fffffff, v35
	s_mov_b32 s4, exec_lo
	v_cmpx_gt_u32_e32 0x41300000, v30
	s_xor_b32 s25, exec_lo, s4
	s_cbranch_execz .LBB156_253
; %bb.248:                              ;   in Loop: Header=BB156_161 Depth=1
                                        ; implicit-def: $vgpr4
                                        ; implicit-def: $vgpr43
	s_mov_b32 s5, exec_lo
	v_cmpx_ngt_f32_e64 0x48000000, |v35|
	s_xor_b32 s26, exec_lo, s5
	s_cbranch_execz .LBB156_250
; %bb.249:                              ;   in Loop: Header=BB156_161 Depth=1
	v_and_or_b32 v4, v42, s16, 0x800000
	v_dual_mov_b32 v55, v5 :: v_dual_lshrrev_b32 v32, 23, v42
	v_mov_b32_e32 v57, v5
	s_delay_alu instid0(VALU_DEP_3) | instskip(NEXT) | instid1(VALU_DEP_3)
	v_mul_u64_e32 v[44:45], s[14:15], v[4:5]
	v_dual_mov_b32 v47, v5 :: v_dual_add_nc_u32 v32, 0xffffff88, v32
	s_delay_alu instid0(VALU_DEP_1) | instskip(SKIP_1) | instid1(VALU_DEP_1)
	v_cmp_lt_u32_e32 vcc_lo, 63, v32
	v_cndmask_b32_e64 v43, 0, 0xffffffc0, vcc_lo
	v_add_nc_u32_e32 v32, v43, v32
	s_delay_alu instid0(VALU_DEP_1) | instskip(NEXT) | instid1(VALU_DEP_1)
	v_cmp_lt_u32_e64 s4, 31, v32
	v_cndmask_b32_e64 v43, 0, 0xffffffe0, s4
	v_mov_b32_e32 v46, v45
	s_delay_alu instid0(VALU_DEP_1) | instskip(NEXT) | instid1(VALU_DEP_1)
	v_mad_nc_u64_u32 v[46:47], 0x3c439041, v4, v[46:47]
	v_dual_mov_b32 v49, v5 :: v_dual_mov_b32 v48, v47
	s_delay_alu instid0(VALU_DEP_1) | instskip(NEXT) | instid1(VALU_DEP_1)
	v_mad_nc_u64_u32 v[48:49], 0xdb629599, v4, v[48:49]
	v_dual_mov_b32 v51, v5 :: v_dual_mov_b32 v50, v49
	;; [unrolled: 3-line block ×3, first 2 shown]
	s_delay_alu instid0(VALU_DEP_1) | instskip(NEXT) | instid1(VALU_DEP_1)
	v_mad_nc_u64_u32 v[52:53], 0xfc2757d1, v4, v[52:53]
	v_mov_b32_e32 v54, v53
	s_delay_alu instid0(VALU_DEP_1) | instskip(NEXT) | instid1(VALU_DEP_1)
	v_mad_nc_u64_u32 v[54:55], 0x4e441529, v4, v[54:55]
	v_mov_b32_e32 v56, v55
	s_delay_alu instid0(VALU_DEP_1) | instskip(NEXT) | instid1(VALU_DEP_3)
	v_mad_nc_u64_u32 v[56:57], 0xa2f9836e, v4, v[56:57]
	v_dual_cndmask_b32 v43, v54, v50 :: v_dual_add_nc_u32 v4, v43, v32
	s_delay_alu instid0(VALU_DEP_2) | instskip(NEXT) | instid1(VALU_DEP_2)
	v_cndmask_b32_e32 v47, v57, v54, vcc_lo
	v_cmp_lt_u32_e64 s5, 31, v4
	s_delay_alu instid0(VALU_DEP_4) | instskip(SKIP_1) | instid1(VALU_DEP_3)
	v_cndmask_b32_e32 v45, v56, v52, vcc_lo
	v_cndmask_b32_e32 v49, v52, v48, vcc_lo
	v_cndmask_b32_e64 v32, 0, 0xffffffe0, s5
	s_delay_alu instid0(VALU_DEP_1) | instskip(NEXT) | instid1(VALU_DEP_4)
	v_dual_add_nc_u32 v4, v32, v4 :: v_dual_cndmask_b32 v32, v50, v46, vcc_lo
	v_dual_cndmask_b32 v46, v45, v43, s4 :: v_dual_cndmask_b32 v45, v47, v45, s4
	s_delay_alu instid0(VALU_DEP_2) | instskip(NEXT) | instid1(VALU_DEP_3)
	v_dual_cndmask_b32 v43, v43, v49, s4 :: v_dual_sub_nc_u32 v47, 32, v4
	v_cndmask_b32_e64 v49, v49, v32, s4
	s_delay_alu instid0(VALU_DEP_2) | instskip(NEXT) | instid1(VALU_DEP_2)
	v_dual_cndmask_b32 v45, v45, v46, s5 :: v_dual_cndmask_b32 v46, v46, v43, s5
	v_cndmask_b32_e64 v43, v43, v49, s5
	s_delay_alu instid0(VALU_DEP_2) | instskip(SKIP_2) | instid1(VALU_DEP_4)
	v_alignbit_b32 v50, v45, v46, v47
	v_cndmask_b32_e32 v44, v48, v44, vcc_lo
	v_cmp_eq_u32_e32 vcc_lo, 0, v4
	v_alignbit_b32 v48, v46, v43, v47
	s_delay_alu instid0(VALU_DEP_4) | instskip(NEXT) | instid1(VALU_DEP_1)
	v_cndmask_b32_e32 v4, v50, v45, vcc_lo
	v_bfe_u32 v45, v4, 29, 1
	v_cndmask_b32_e64 v32, v32, v44, s4
	s_delay_alu instid0(VALU_DEP_2) | instskip(NEXT) | instid1(VALU_DEP_2)
	v_dual_cndmask_b32 v44, v48, v46, vcc_lo :: v_dual_sub_nc_u32 v48, 0, v45
	v_cndmask_b32_e64 v32, v49, v32, s5
	s_delay_alu instid0(VALU_DEP_2) | instskip(NEXT) | instid1(VALU_DEP_2)
	v_alignbit_b32 v46, v4, v44, 30
	v_alignbit_b32 v47, v43, v32, v47
	s_delay_alu instid0(VALU_DEP_1) | instskip(NEXT) | instid1(VALU_DEP_1)
	v_dual_cndmask_b32 v43, v47, v43, vcc_lo :: v_dual_bitop2_b32 v46, v46, v48 bitop3:0x14
	v_clz_i32_u32_e32 v47, v46
	s_delay_alu instid0(VALU_DEP_2) | instskip(NEXT) | instid1(VALU_DEP_2)
	v_alignbit_b32 v44, v44, v43, 30
	v_min_u32_e32 v47, 32, v47
	v_alignbit_b32 v32, v43, v32, 30
	s_delay_alu instid0(VALU_DEP_2) | instskip(NEXT) | instid1(VALU_DEP_2)
	v_dual_sub_nc_u32 v44, 31, v47 :: v_dual_bitop2_b32 v43, v44, v48 bitop3:0x14
	v_xor_b32_e32 v32, v32, v48
	v_dual_lshrrev_b32 v48, 29, v4 :: v_dual_lshlrev_b32 v49, 23, v47
	v_lshrrev_b32_e32 v4, 30, v4
	s_delay_alu instid0(VALU_DEP_4) | instskip(NEXT) | instid1(VALU_DEP_4)
	v_alignbit_b32 v46, v46, v43, v44
	v_alignbit_b32 v32, v43, v32, v44
	s_delay_alu instid0(VALU_DEP_4) | instskip(NEXT) | instid1(VALU_DEP_4)
	v_lshlrev_b32_e32 v43, 31, v48
	v_add_nc_u32_e32 v4, v45, v4
	s_delay_alu instid0(VALU_DEP_3) | instskip(NEXT) | instid1(VALU_DEP_3)
	v_alignbit_b32 v44, v46, v32, 9
	v_dual_lshrrev_b32 v46, 9, v46 :: v_dual_bitop2_b32 v48, 0.5, v43 bitop3:0x54
	v_or_b32_e32 v43, 0x33000000, v43
	s_delay_alu instid0(VALU_DEP_3) | instskip(NEXT) | instid1(VALU_DEP_3)
	v_clz_i32_u32_e32 v50, v44
	v_sub_nc_u32_e32 v48, v48, v49
	s_delay_alu instid0(VALU_DEP_2) | instskip(NEXT) | instid1(VALU_DEP_1)
	v_min_u32_e32 v49, 32, v50
	v_add_lshl_u32 v47, v49, v47, 23
	s_delay_alu instid0(VALU_DEP_1) | instskip(SKIP_1) | instid1(VALU_DEP_2)
	v_dual_sub_nc_u32 v43, v43, v47 :: v_dual_bitop2_b32 v46, v46, v48 bitop3:0x54
	v_not_b32_e32 v48, v49
	v_mul_f32_e32 v50, 0x3fc90fda, v46
	s_delay_alu instid0(VALU_DEP_2) | instskip(NEXT) | instid1(VALU_DEP_2)
	v_alignbit_b32 v32, v44, v32, v48
	v_fma_f32 v44, 0x3fc90fda, v46, -v50
	s_delay_alu instid0(VALU_DEP_2) | instskip(NEXT) | instid1(VALU_DEP_2)
	v_lshrrev_b32_e32 v32, 9, v32
	v_fmac_f32_e32 v44, 0x33a22168, v46
	s_delay_alu instid0(VALU_DEP_2) | instskip(NEXT) | instid1(VALU_DEP_1)
	v_or_b32_e32 v32, v43, v32
	v_fmac_f32_e32 v44, 0x3fc90fda, v32
	s_delay_alu instid0(VALU_DEP_1)
	v_add_f32_e32 v43, v50, v44
.LBB156_250:                            ;   in Loop: Header=BB156_161 Depth=1
	s_and_not1_saveexec_b32 s4, s26
; %bb.251:                              ;   in Loop: Header=BB156_161 Depth=1
	v_mul_f32_e64 v4, 0x3f22f983, |v35|
	s_delay_alu instid0(VALU_DEP_1) | instskip(NEXT) | instid1(VALU_DEP_1)
	v_rndne_f32_e32 v4, v4
	v_fma_f32 v43, 0xbfc90fda, v4, |v35|
	s_delay_alu instid0(VALU_DEP_1) | instskip(NEXT) | instid1(VALU_DEP_1)
	v_fmac_f32_e32 v43, 0xb3a22168, v4
	v_fmac_f32_e32 v43, 0xa7c234c4, v4
	v_cvt_i32_f32_e32 v4, v4
; %bb.252:                              ;   in Loop: Header=BB156_161 Depth=1
	s_or_b32 exec_lo, exec_lo, s4
	v_add_f32_e64 v32, 0xbf317218, |v34|
	v_cmp_nlt_f32_e64 vcc_lo, 0x42b2d4fc, |v34|
	v_cmp_gt_f32_e64 s4, 0x39800000, |v34|
	v_and_b32_e32 v4, 1, v4
	s_delay_alu instid0(VALU_DEP_4) | instskip(NEXT) | instid1(VALU_DEP_1)
	v_sub_f32_e64 v45, v32, |v34|
	v_sub_f32_e32 v44, v45, v32
	s_delay_alu instid0(VALU_DEP_1) | instskip(NEXT) | instid1(VALU_DEP_1)
	v_pk_add_f32 v[44:45], v[30:31], v[44:45]
	v_sub_f32_e32 v30, v44, v45
	s_delay_alu instid0(VALU_DEP_1) | instskip(NEXT) | instid1(VALU_DEP_1)
	v_add_f32_e32 v30, 0x3102e308, v30
	v_add_f32_e32 v45, v32, v30
	s_delay_alu instid0(VALU_DEP_1) | instskip(SKIP_1) | instid1(VALU_DEP_2)
	v_mul_f32_e32 v44, 0x3fb8aa3b, v45
	v_sub_f32_e32 v32, v32, v45
	v_rndne_f32_e32 v52, v44
	s_delay_alu instid0(VALU_DEP_2) | instskip(NEXT) | instid1(VALU_DEP_2)
	v_add_f32_e32 v30, v30, v32
	v_fmac_f32_e32 v45, 0xbf317200, v52
	v_mul_f32_e32 v32, 0x35bfbc00, v52
	s_delay_alu instid0(VALU_DEP_2) | instskip(NEXT) | instid1(VALU_DEP_1)
	v_dual_mul_f32 v47, 0x2ea39ef3, v52 :: v_dual_add_f32 v46, v30, v45
	v_dual_sub_f32 v44, v46, v32 :: v_dual_sub_f32 v45, v45, v46
	s_delay_alu instid0(VALU_DEP_1) | instskip(NEXT) | instid1(VALU_DEP_2)
	v_sub_f32_e32 v46, v46, v44
	v_add_f32_e32 v30, v30, v45
	s_delay_alu instid0(VALU_DEP_2) | instskip(NEXT) | instid1(VALU_DEP_1)
	v_sub_f32_e32 v32, v46, v32
	v_add_f32_e32 v30, v30, v32
	s_delay_alu instid0(VALU_DEP_1) | instskip(NEXT) | instid1(VALU_DEP_1)
	v_add_f32_e32 v45, v44, v30
	v_mov_b32_e32 v46, v45
	s_delay_alu instid0(VALU_DEP_1) | instskip(NEXT) | instid1(VALU_DEP_1)
	v_pk_add_f32 v[48:49], v[44:45], v[46:47] neg_lo:[0,1] neg_hi:[0,1]
	v_sub_f32_e32 v32, v45, v49
	s_delay_alu instid0(VALU_DEP_1) | instskip(NEXT) | instid1(VALU_DEP_1)
	v_dual_sub_f32 v32, v32, v47 :: v_dual_add_f32 v30, v30, v48
	v_add_f32_e32 v30, v30, v32
	s_delay_alu instid0(VALU_DEP_1) | instskip(NEXT) | instid1(VALU_DEP_1)
	v_add_f32_e32 v44, v49, v30
	v_sub_f32_e32 v32, v49, v44
	s_delay_alu instid0(VALU_DEP_1) | instskip(SKIP_1) | instid1(VALU_DEP_1)
	v_add_f32_e32 v30, v30, v32
	v_dual_mul_f32 v45, v44, v44 :: v_dual_fmaak_f32 v32, s20, v44, 0x3c091de6
	v_dual_add_f32 v47, v30, v30 :: v_dual_fma_f32 v46, v44, v44, -v45
	s_delay_alu instid0(VALU_DEP_1) | instskip(NEXT) | instid1(VALU_DEP_1)
	v_fmac_f32_e32 v46, v44, v47
	v_dual_add_f32 v47, v45, v46 :: v_dual_fmaak_f32 v32, v44, v32, 0x3d2aadcc
	s_delay_alu instid0(VALU_DEP_1) | instskip(NEXT) | instid1(VALU_DEP_1)
	v_dual_sub_f32 v45, v47, v45 :: v_dual_fmaak_f32 v32, v44, v32, 0x3e2aaa47
	v_dual_sub_f32 v45, v46, v45 :: v_dual_fmaak_f32 v32, v44, v32, 0x3efffffc
	s_delay_alu instid0(VALU_DEP_1) | instskip(NEXT) | instid1(VALU_DEP_1)
	v_mul_f32_e32 v48, v32, v47
	v_fma_f32 v46, v47, v32, -v48
	s_delay_alu instid0(VALU_DEP_1) | instskip(NEXT) | instid1(VALU_DEP_1)
	v_fmac_f32_e32 v46, v45, v32
	v_add_f32_e32 v45, v48, v46
	s_delay_alu instid0(VALU_DEP_1) | instskip(SKIP_1) | instid1(VALU_DEP_2)
	v_sub_f32_e32 v47, v45, v48
	v_mov_b64_e32 v[48:49], s[16:17]
	v_dual_sub_f32 v46, v46, v47 :: v_dual_add_f32 v32, v44, v45
	s_delay_alu instid0(VALU_DEP_1) | instskip(NEXT) | instid1(VALU_DEP_1)
	v_dual_add_f32 v30, v30, v46 :: v_dual_sub_f32 v44, v32, v44
	v_sub_f32_e32 v44, v45, v44
	s_delay_alu instid0(VALU_DEP_1) | instskip(NEXT) | instid1(VALU_DEP_1)
	v_add_f32_e32 v44, v30, v44
	v_add_f32_e32 v46, v32, v44
	s_delay_alu instid0(VALU_DEP_1) | instskip(NEXT) | instid1(VALU_DEP_1)
	v_dual_add_f32 v47, 1.0, v46 :: v_dual_mov_b32 v45, v46
	v_pk_add_f32 v[48:49], v[46:47], v[48:49]
	v_pk_add_f32 v[50:51], v[46:47], v[32:33] neg_lo:[0,1] neg_hi:[0,1]
	v_cvt_i32_f32_e32 v32, v52
	s_delay_alu instid0(VALU_DEP_3) | instskip(NEXT) | instid1(VALU_DEP_1)
	v_mov_b32_e32 v51, v49
	v_pk_add_f32 v[44:45], v[44:45], v[50:51] neg_lo:[0,1] neg_hi:[0,1]
	s_delay_alu instid0(VALU_DEP_1) | instskip(NEXT) | instid1(VALU_DEP_1)
	v_add_f32_e32 v30, v44, v45
	v_add_f32_e32 v44, v47, v30
	s_delay_alu instid0(VALU_DEP_1) | instskip(SKIP_1) | instid1(VALU_DEP_2)
	v_ldexp_f32 v45, v44, v32
	v_sub_f32_e32 v44, v44, v47
	v_rcp_f32_e32 v46, v45
	v_nop
	s_delay_alu instid0(TRANS32_DEP_1) | instskip(NEXT) | instid1(VALU_DEP_1)
	v_dual_sub_f32 v30, v30, v44 :: v_dual_mul_f32 v44, v45, v46
	v_ldexp_f32 v30, v30, v32
	s_delay_alu instid0(VALU_DEP_2) | instskip(NEXT) | instid1(VALU_DEP_1)
	v_fma_f32 v32, v46, v45, -v44
	v_fmac_f32_e32 v32, v46, v30
	s_delay_alu instid0(VALU_DEP_1) | instskip(NEXT) | instid1(VALU_DEP_1)
	v_add_f32_e32 v47, v44, v32
	v_sub_f32_e32 v44, v47, v44
	s_delay_alu instid0(VALU_DEP_1) | instskip(NEXT) | instid1(VALU_DEP_1)
	v_dual_sub_f32 v32, v44, v32 :: v_dual_sub_f32 v48, 1.0, v47
	v_sub_f32_e32 v49, 1.0, v48
	s_delay_alu instid0(VALU_DEP_1) | instskip(NEXT) | instid1(VALU_DEP_1)
	v_sub_f32_e32 v44, v49, v47
	v_add_f32_e32 v32, v32, v44
	s_delay_alu instid0(VALU_DEP_1) | instskip(NEXT) | instid1(VALU_DEP_1)
	v_add_f32_e32 v44, v48, v32
	v_mul_f32_e32 v47, v46, v44
	s_delay_alu instid0(VALU_DEP_1) | instskip(NEXT) | instid1(VALU_DEP_1)
	v_mul_f32_e32 v49, v45, v47
	v_fma_f32 v50, v47, v45, -v49
	s_delay_alu instid0(VALU_DEP_1) | instskip(NEXT) | instid1(VALU_DEP_1)
	v_fmac_f32_e32 v50, v47, v30
	v_dual_add_f32 v51, v49, v50 :: v_dual_sub_f32 v48, v48, v44
	s_delay_alu instid0(VALU_DEP_1) | instskip(NEXT) | instid1(VALU_DEP_2)
	v_sub_f32_e32 v52, v44, v51
	v_dual_add_f32 v32, v32, v48 :: v_dual_sub_f32 v48, v51, v49
	s_delay_alu instid0(VALU_DEP_2) | instskip(NEXT) | instid1(VALU_DEP_2)
	v_sub_f32_e32 v44, v44, v52
	v_sub_f32_e32 v48, v48, v50
	s_delay_alu instid0(VALU_DEP_2) | instskip(NEXT) | instid1(VALU_DEP_1)
	v_sub_f32_e32 v44, v44, v51
	v_dual_add_f32 v32, v32, v44 :: v_dual_add_f32 v44, v46, v47
	s_delay_alu instid0(VALU_DEP_1) | instskip(NEXT) | instid1(VALU_DEP_2)
	v_add_f32_e32 v32, v48, v32
	v_sub_f32_e32 v48, v44, v46
	s_delay_alu instid0(VALU_DEP_2) | instskip(NEXT) | instid1(VALU_DEP_2)
	v_add_f32_e32 v32, v52, v32
	v_sub_f32_e32 v47, v47, v48
	s_delay_alu instid0(VALU_DEP_2) | instskip(NEXT) | instid1(VALU_DEP_1)
	v_mul_f32_e32 v32, v46, v32
	v_add_f32_e32 v32, v47, v32
	s_delay_alu instid0(VALU_DEP_1) | instskip(NEXT) | instid1(VALU_DEP_1)
	v_add_f32_e32 v46, v44, v32
	v_ldexp_f32 v47, v46, -2
	s_delay_alu instid0(VALU_DEP_1) | instskip(NEXT) | instid1(VALU_DEP_1)
	v_dual_sub_f32 v44, v46, v44 :: v_dual_sub_f32 v48, v45, v47
	v_sub_f32_e32 v32, v32, v44
	s_delay_alu instid0(VALU_DEP_2) | instskip(NEXT) | instid1(VALU_DEP_1)
	v_sub_f32_e32 v45, v45, v48
	v_sub_f32_e32 v44, v45, v47
	s_delay_alu instid0(VALU_DEP_1) | instskip(NEXT) | instid1(VALU_DEP_4)
	v_add_f32_e32 v30, v30, v44
	v_ldexp_f32 v32, v32, -2
	s_delay_alu instid0(VALU_DEP_1) | instskip(NEXT) | instid1(VALU_DEP_1)
	v_dual_sub_f32 v30, v30, v32 :: v_dual_mul_f32 v32, v43, v43
	v_add_f32_e32 v30, v48, v30
	s_delay_alu instid0(VALU_DEP_2) | instskip(NEXT) | instid1(VALU_DEP_2)
	v_fmaak_f32 v44, s19, v32, 0xbf039337
	v_cndmask_b32_e32 v30, 0x7f800000, v30, vcc_lo
	s_delay_alu instid0(VALU_DEP_2) | instskip(NEXT) | instid1(VALU_DEP_2)
	v_fmaak_f32 v44, v32, v44, 0x3f93f425
	v_cndmask_b32_e64 v30, v30, |v34|, s4
	s_delay_alu instid0(VALU_DEP_1) | instskip(NEXT) | instid1(VALU_DEP_3)
	v_bfi_b32 v30, 0x7fffffff, v30, v34
	v_rcp_f32_e32 v34, v44
	v_nop
	v_fmaak_f32 v44, s18, v32, 0x3ec54587
	s_delay_alu instid0(VALU_DEP_3)
	v_fma_f32 v45, v30, v30, 1.0
	s_delay_alu instid0(TRANS32_DEP_1) | instid1(VALU_DEP_2)
	v_mul_f32_e32 v34, v44, v34
	s_delay_alu instid0(VALU_DEP_2) | instskip(SKIP_1) | instid1(VALU_DEP_2)
	v_mul_f32_e32 v44, 0x4f800000, v45
	v_cmp_gt_f32_e32 vcc_lo, 0xf800000, v45
	v_dual_mul_f32 v32, v32, v34 :: v_dual_cndmask_b32 v34, v45, v44, vcc_lo
	s_delay_alu instid0(VALU_DEP_1) | instskip(NEXT) | instid1(VALU_DEP_2)
	v_fma_f32 v44, v32, v43, v43
	v_sqrt_f32_e32 v45, v34
	s_delay_alu instid0(VALU_DEP_1) | instskip(NEXT) | instid1(TRANS32_DEP_2)
	v_rcp_f32_e32 v46, v44
	v_dual_sub_f32 v47, v44, v43 :: v_dual_add_nc_u32 v48, -1, v45
	s_delay_alu instid0(VALU_DEP_1) | instskip(NEXT) | instid1(TRANS32_DEP_1)
	v_fma_f32 v32, v32, v43, -v47
	v_fma_f32 v43, v44, -v46, 1.0
	s_delay_alu instid0(VALU_DEP_3) | instskip(NEXT) | instid1(VALU_DEP_1)
	v_dual_add_nc_u32 v47, 1, v45 :: v_dual_fma_f32 v49, -v48, v45, v34
	v_dual_fma_f32 v32, v32, -v46, v43 :: v_dual_fma_f32 v43, -v47, v45, v34
	s_delay_alu instid0(VALU_DEP_2) | instskip(NEXT) | instid1(VALU_DEP_1)
	v_cmp_ge_f32_e64 s4, 0, v49
	v_cndmask_b32_e64 v45, v45, v48, s4
	s_delay_alu instid0(VALU_DEP_3) | instskip(NEXT) | instid1(VALU_DEP_1)
	v_cmp_lt_f32_e64 s4, 0, v43
	v_dual_fma_f32 v32, v32, -v46, -v46 :: v_dual_cndmask_b32 v43, v45, v47, s4
	v_cmp_eq_u32_e64 s4, 0, v4
	s_delay_alu instid0(VALU_DEP_1) | instskip(NEXT) | instid1(VALU_DEP_3)
	v_cndmask_b32_e64 v4, v32, v44, s4
	v_mul_f32_e32 v32, 0x37800000, v43
	s_delay_alu instid0(VALU_DEP_1) | instskip(SKIP_1) | instid1(VALU_DEP_2)
	v_cndmask_b32_e32 v32, v43, v32, vcc_lo
	v_cmp_class_f32_e64 vcc_lo, v34, 0x260
	v_cndmask_b32_e32 v32, v32, v34, vcc_lo
	v_xor3_b32 v4, v42, v4, v35
	s_delay_alu instid0(VALU_DEP_1) | instskip(NEXT) | instid1(VALU_DEP_1)
	v_fma_f32 v35, v4, v4, 1.0
	v_dual_mul_f32 v34, v30, v35 :: v_dual_mul_f32 v32, v32, v35
	s_delay_alu instid0(VALU_DEP_1) | instskip(NEXT) | instid1(VALU_DEP_2)
	v_fma_f32 v35, v30, v34, 1.0
	v_mul_f32_e32 v30, v30, v32
	s_delay_alu instid0(VALU_DEP_2) | instskip(NEXT) | instid1(VALU_DEP_2)
	v_div_scale_f32 v34, null, v35, v35, v4
	v_div_scale_f32 v32, null, v35, v35, v30
	s_delay_alu instid0(VALU_DEP_2) | instskip(NEXT) | instid1(VALU_DEP_1)
	v_rcp_f32_e32 v43, v34
	v_rcp_f32_e32 v42, v32
	s_delay_alu instid0(TRANS32_DEP_2) | instskip(NEXT) | instid1(TRANS32_DEP_1)
	v_fma_f32 v45, -v34, v43, 1.0
	v_fma_f32 v44, -v32, v42, 1.0
	s_delay_alu instid0(VALU_DEP_1) | instskip(SKIP_2) | instid1(VALU_DEP_1)
	v_dual_fmac_f32 v43, v45, v43 :: v_dual_fmac_f32 v42, v44, v42
	v_div_scale_f32 v46, vcc_lo, v30, v35, v30
	v_div_scale_f32 v44, s4, v4, v35, v4
	v_dual_mul_f32 v45, v46, v42 :: v_dual_mul_f32 v47, v44, v43
	s_delay_alu instid0(VALU_DEP_1) | instskip(NEXT) | instid1(VALU_DEP_1)
	v_dual_fma_f32 v48, -v32, v45, v46 :: v_dual_fma_f32 v49, -v34, v47, v44
	v_dual_fmac_f32 v45, v48, v42 :: v_dual_fmac_f32 v47, v49, v43
	s_delay_alu instid0(VALU_DEP_1) | instskip(NEXT) | instid1(VALU_DEP_1)
	v_dual_fma_f32 v32, -v32, v45, v46 :: v_dual_fma_f32 v34, -v34, v47, v44
	v_div_fmas_f32 v32, v32, v42, v45
	s_mov_b32 vcc_lo, s4
	s_delay_alu instid0(VALU_DEP_2) | instskip(NEXT) | instid1(VALU_DEP_2)
	v_div_fmas_f32 v42, v34, v43, v47
	v_div_fixup_f32 v34, v32, v35, v30
	s_delay_alu instid0(VALU_DEP_2)
	v_div_fixup_f32 v35, v42, v35, v4
                                        ; implicit-def: $vgpr42
.LBB156_253:                            ;   in Loop: Header=BB156_161 Depth=1
	s_and_not1_saveexec_b32 s25, s25
	s_cbranch_execz .LBB156_263
; %bb.254:                              ;   in Loop: Header=BB156_161 Depth=1
	s_delay_alu instid0(VALU_DEP_1) | instskip(SKIP_1) | instid1(SALU_CYCLE_1)
	v_cmp_ngt_f32_e64 s26, 0x48000000, |v35|
                                        ; implicit-def: $vgpr32
                                        ; implicit-def: $vgpr30
	s_and_saveexec_b32 s4, s26
	s_xor_b32 s27, exec_lo, s4
	s_cbranch_execz .LBB156_256
; %bb.255:                              ;   in Loop: Header=BB156_161 Depth=1
	v_and_or_b32 v4, v42, s16, 0x800000
	v_dual_mov_b32 v55, v5 :: v_dual_lshrrev_b32 v30, 23, v42
	v_mov_b32_e32 v57, v5
	s_delay_alu instid0(VALU_DEP_3) | instskip(NEXT) | instid1(VALU_DEP_3)
	v_mul_u64_e32 v[44:45], s[14:15], v[4:5]
	v_dual_mov_b32 v47, v5 :: v_dual_add_nc_u32 v30, 0xffffff88, v30
	s_delay_alu instid0(VALU_DEP_1) | instskip(SKIP_1) | instid1(VALU_DEP_1)
	v_cmp_lt_u32_e32 vcc_lo, 63, v30
	v_cndmask_b32_e64 v32, 0, 0xffffffc0, vcc_lo
	v_add_nc_u32_e32 v30, v32, v30
	s_delay_alu instid0(VALU_DEP_1) | instskip(NEXT) | instid1(VALU_DEP_1)
	v_cmp_lt_u32_e64 s4, 31, v30
	v_cndmask_b32_e64 v32, 0, 0xffffffe0, s4
	v_mov_b32_e32 v46, v45
	s_delay_alu instid0(VALU_DEP_1) | instskip(NEXT) | instid1(VALU_DEP_1)
	v_mad_nc_u64_u32 v[46:47], 0x3c439041, v4, v[46:47]
	v_dual_mov_b32 v49, v5 :: v_dual_mov_b32 v48, v47
	s_delay_alu instid0(VALU_DEP_1) | instskip(NEXT) | instid1(VALU_DEP_1)
	v_mad_nc_u64_u32 v[48:49], 0xdb629599, v4, v[48:49]
	v_dual_mov_b32 v51, v5 :: v_dual_mov_b32 v50, v49
	;; [unrolled: 3-line block ×3, first 2 shown]
	s_delay_alu instid0(VALU_DEP_1) | instskip(NEXT) | instid1(VALU_DEP_1)
	v_mad_nc_u64_u32 v[52:53], 0xfc2757d1, v4, v[52:53]
	v_dual_mov_b32 v54, v53 :: v_dual_cndmask_b32 v47, v52, v48
	s_delay_alu instid0(VALU_DEP_1) | instskip(NEXT) | instid1(VALU_DEP_1)
	v_mad_nc_u64_u32 v[54:55], 0x4e441529, v4, v[54:55]
	v_mov_b32_e32 v56, v55
	s_delay_alu instid0(VALU_DEP_1) | instskip(SKIP_1) | instid1(VALU_DEP_4)
	v_mad_nc_u64_u32 v[56:57], 0xa2f9836e, v4, v[56:57]
	v_add_nc_u32_e32 v4, v32, v30
	v_cndmask_b32_e32 v32, v54, v50, vcc_lo
	s_delay_alu instid0(VALU_DEP_2) | instskip(NEXT) | instid1(VALU_DEP_1)
	v_cmp_lt_u32_e64 s5, 31, v4
	v_cndmask_b32_e64 v30, 0, 0xffffffe0, s5
	v_dual_cndmask_b32 v43, v56, v52, vcc_lo :: v_dual_cndmask_b32 v45, v57, v54, vcc_lo
	s_delay_alu instid0(VALU_DEP_2) | instskip(NEXT) | instid1(VALU_DEP_2)
	v_add_nc_u32_e32 v4, v30, v4
	v_dual_cndmask_b32 v30, v50, v46, vcc_lo :: v_dual_cndmask_b32 v46, v43, v32, s4
	s_delay_alu instid0(VALU_DEP_3) | instskip(NEXT) | instid1(VALU_DEP_3)
	v_cndmask_b32_e64 v43, v45, v43, s4
	v_dual_cndmask_b32 v32, v32, v47, s4 :: v_dual_sub_nc_u32 v45, 32, v4
	s_delay_alu instid0(VALU_DEP_3) | instskip(NEXT) | instid1(VALU_DEP_2)
	v_cndmask_b32_e64 v47, v47, v30, s4
	v_dual_cndmask_b32 v43, v43, v46, s5 :: v_dual_cndmask_b32 v46, v46, v32, s5
	s_delay_alu instid0(VALU_DEP_2) | instskip(NEXT) | instid1(VALU_DEP_2)
	v_cndmask_b32_e64 v32, v32, v47, s5
	v_alignbit_b32 v49, v43, v46, v45
	v_cndmask_b32_e32 v44, v48, v44, vcc_lo
	v_cmp_eq_u32_e32 vcc_lo, 0, v4
	s_delay_alu instid0(VALU_DEP_4) | instskip(NEXT) | instid1(VALU_DEP_3)
	v_alignbit_b32 v48, v46, v32, v45
	v_dual_cndmask_b32 v4, v49, v43, vcc_lo :: v_dual_cndmask_b32 v30, v30, v44, s4
	s_delay_alu instid0(VALU_DEP_2) | instskip(NEXT) | instid1(VALU_DEP_2)
	v_cndmask_b32_e32 v43, v48, v46, vcc_lo
	v_bfe_u32 v44, v4, 29, 1
	s_delay_alu instid0(VALU_DEP_3) | instskip(NEXT) | instid1(VALU_DEP_3)
	v_cndmask_b32_e64 v30, v47, v30, s5
	v_alignbit_b32 v46, v4, v43, 30
	s_delay_alu instid0(VALU_DEP_3) | instskip(NEXT) | instid1(VALU_DEP_3)
	v_sub_nc_u32_e32 v47, 0, v44
	v_alignbit_b32 v45, v32, v30, v45
	s_delay_alu instid0(VALU_DEP_1) | instskip(NEXT) | instid1(VALU_DEP_1)
	v_dual_cndmask_b32 v32, v45, v32, vcc_lo :: v_dual_bitop2_b32 v46, v46, v47 bitop3:0x14
	v_clz_i32_u32_e32 v45, v46
	s_delay_alu instid0(VALU_DEP_2) | instskip(SKIP_1) | instid1(VALU_DEP_3)
	v_alignbit_b32 v43, v43, v32, 30
	v_alignbit_b32 v30, v32, v30, 30
	v_min_u32_e32 v45, 32, v45
	s_delay_alu instid0(VALU_DEP_3) | instskip(NEXT) | instid1(VALU_DEP_3)
	v_xor_b32_e32 v32, v43, v47
	v_dual_lshrrev_b32 v47, 29, v4 :: v_dual_bitop2_b32 v30, v30, v47 bitop3:0x14
	s_delay_alu instid0(VALU_DEP_3) | instskip(SKIP_1) | instid1(VALU_DEP_2)
	v_dual_lshrrev_b32 v4, 30, v4 :: v_dual_sub_nc_u32 v43, 31, v45
	v_lshlrev_b32_e32 v48, 23, v45
	v_alignbit_b32 v46, v46, v32, v43
	s_delay_alu instid0(VALU_DEP_4) | instskip(SKIP_1) | instid1(VALU_DEP_2)
	v_alignbit_b32 v30, v32, v30, v43
	v_lshlrev_b32_e32 v32, 31, v47
	v_alignbit_b32 v43, v46, v30, 9
	s_delay_alu instid0(VALU_DEP_2) | instskip(SKIP_1) | instid1(VALU_DEP_3)
	v_dual_lshrrev_b32 v46, 9, v46 :: v_dual_bitop2_b32 v47, 0.5, v32 bitop3:0x54
	v_or_b32_e32 v32, 0x33000000, v32
	v_clz_i32_u32_e32 v49, v43
	s_delay_alu instid0(VALU_DEP_3) | instskip(NEXT) | instid1(VALU_DEP_2)
	v_sub_nc_u32_e32 v47, v47, v48
	v_min_u32_e32 v48, 32, v49
	s_delay_alu instid0(VALU_DEP_1) | instskip(NEXT) | instid1(VALU_DEP_1)
	v_add_lshl_u32 v45, v48, v45, 23
	v_dual_sub_nc_u32 v32, v32, v45 :: v_dual_bitop2_b32 v46, v46, v47 bitop3:0x54
	v_not_b32_e32 v47, v48
	s_delay_alu instid0(VALU_DEP_1) | instskip(NEXT) | instid1(VALU_DEP_1)
	v_alignbit_b32 v30, v43, v30, v47
	v_lshrrev_b32_e32 v30, 9, v30
	s_delay_alu instid0(VALU_DEP_4) | instskip(NEXT) | instid1(VALU_DEP_2)
	v_mul_f32_e32 v49, 0x3fc90fda, v46
	v_or_b32_e32 v30, v32, v30
	s_delay_alu instid0(VALU_DEP_2) | instskip(NEXT) | instid1(VALU_DEP_1)
	v_fma_f32 v43, 0x3fc90fda, v46, -v49
	v_dual_fmac_f32 v43, 0x33a22168, v46 :: v_dual_add_nc_u32 v32, v44, v4
	s_delay_alu instid0(VALU_DEP_1) | instskip(NEXT) | instid1(VALU_DEP_1)
	v_fmac_f32_e32 v43, 0x3fc90fda, v30
	v_add_f32_e32 v30, v49, v43
	s_and_not1_saveexec_b32 s4, s27
	s_branch .LBB156_257
.LBB156_256:                            ;   in Loop: Header=BB156_161 Depth=1
	s_and_not1_saveexec_b32 s4, s27
.LBB156_257:                            ;   in Loop: Header=BB156_161 Depth=1
	v_mul_f32_e64 v4, 0x3f22f983, |v35|
	s_delay_alu instid0(VALU_DEP_1) | instskip(NEXT) | instid1(VALU_DEP_1)
	v_rndne_f32_e32 v4, v4
	v_fma_f32 v30, 0xbfc90fda, v4, |v35|
	v_cvt_i32_f32_e32 v32, v4
	s_delay_alu instid0(VALU_DEP_2) | instskip(NEXT) | instid1(VALU_DEP_1)
	v_fmac_f32_e32 v30, 0xb3a22168, v4
	v_fmac_f32_e32 v30, 0xa7c234c4, v4
; %bb.258:                              ;   in Loop: Header=BB156_161 Depth=1
	s_or_b32 exec_lo, exec_lo, s4
                                        ; implicit-def: $vgpr43
                                        ; implicit-def: $vgpr4
	s_and_saveexec_b32 s4, s26
	s_delay_alu instid0(SALU_CYCLE_1)
	s_xor_b32 s26, exec_lo, s4
	s_cbranch_execz .LBB156_260
; %bb.259:                              ;   in Loop: Header=BB156_161 Depth=1
	v_and_or_b32 v4, v42, s16, 0x800000
	v_dual_lshrrev_b32 v43, 23, v42 :: v_dual_mov_b32 v55, v5
	s_delay_alu instid0(VALU_DEP_2) | instskip(SKIP_1) | instid1(VALU_DEP_3)
	v_mul_u64_e32 v[44:45], s[14:15], v[4:5]
	v_mov_b32_e32 v47, v5
	v_add_nc_u32_e32 v43, 0xffffff88, v43
	s_delay_alu instid0(VALU_DEP_1) | instskip(NEXT) | instid1(VALU_DEP_4)
	v_cmp_lt_u32_e32 vcc_lo, 63, v43
	v_mov_b32_e32 v46, v45
	v_cndmask_b32_e64 v45, 0, 0xffffffc0, vcc_lo
	s_delay_alu instid0(VALU_DEP_2) | instskip(NEXT) | instid1(VALU_DEP_1)
	v_mad_nc_u64_u32 v[46:47], 0x3c439041, v4, v[46:47]
	v_dual_mov_b32 v49, v5 :: v_dual_mov_b32 v48, v47
	s_delay_alu instid0(VALU_DEP_1) | instskip(NEXT) | instid1(VALU_DEP_1)
	v_mad_nc_u64_u32 v[48:49], 0xdb629599, v4, v[48:49]
	v_dual_mov_b32 v51, v5 :: v_dual_mov_b32 v50, v49
	s_delay_alu instid0(VALU_DEP_2) | instskip(NEXT) | instid1(VALU_DEP_2)
	v_cndmask_b32_e32 v44, v48, v44, vcc_lo
	v_mad_nc_u64_u32 v[50:51], 0xf534ddc0, v4, v[50:51]
	s_delay_alu instid0(VALU_DEP_1) | instskip(NEXT) | instid1(VALU_DEP_1)
	v_dual_mov_b32 v53, v5 :: v_dual_mov_b32 v52, v51
	v_mad_nc_u64_u32 v[52:53], 0xfc2757d1, v4, v[52:53]
	s_delay_alu instid0(VALU_DEP_1) | instskip(NEXT) | instid1(VALU_DEP_1)
	v_dual_mov_b32 v54, v53 :: v_dual_cndmask_b32 v51, v52, v48
	v_mad_nc_u64_u32 v[54:55], 0x4e441529, v4, v[54:55]
	v_add_nc_u32_e32 v43, v45, v43
	s_delay_alu instid0(VALU_DEP_2) | instskip(NEXT) | instid1(VALU_DEP_2)
	v_dual_mov_b32 v57, v5 :: v_dual_mov_b32 v56, v55
	v_cmp_lt_u32_e64 s4, 31, v43
	s_delay_alu instid0(VALU_DEP_2) | instskip(NEXT) | instid1(VALU_DEP_2)
	v_mad_nc_u64_u32 v[56:57], 0xa2f9836e, v4, v[56:57]
	v_cndmask_b32_e64 v45, 0, 0xffffffe0, s4
	s_delay_alu instid0(VALU_DEP_1) | instskip(NEXT) | instid1(VALU_DEP_3)
	v_dual_cndmask_b32 v45, v54, v50 :: v_dual_add_nc_u32 v4, v45, v43
	v_cndmask_b32_e32 v47, v56, v52, vcc_lo
	s_delay_alu instid0(VALU_DEP_2) | instskip(SKIP_1) | instid1(VALU_DEP_2)
	v_cmp_lt_u32_e64 s5, 31, v4
	v_cndmask_b32_e32 v49, v57, v54, vcc_lo
	v_cndmask_b32_e64 v43, 0, 0xffffffe0, s5
	s_delay_alu instid0(VALU_DEP_1) | instskip(NEXT) | instid1(VALU_DEP_3)
	v_dual_cndmask_b32 v43, v50, v46 :: v_dual_add_nc_u32 v4, v43, v4
	v_dual_cndmask_b32 v46, v47, v45, s4 :: v_dual_cndmask_b32 v47, v49, v47, s4
	s_delay_alu instid0(VALU_DEP_2) | instskip(NEXT) | instid1(VALU_DEP_3)
	v_dual_cndmask_b32 v45, v45, v51, s4 :: v_dual_sub_nc_u32 v49, 32, v4
	v_cndmask_b32_e64 v50, v51, v43, s4
	v_cmp_eq_u32_e32 vcc_lo, 0, v4
	s_delay_alu instid0(VALU_DEP_3) | instskip(NEXT) | instid1(VALU_DEP_1)
	v_dual_cndmask_b32 v47, v47, v46, s5 :: v_dual_cndmask_b32 v46, v46, v45, s5
	v_alignbit_b32 v51, v47, v46, v49
	s_delay_alu instid0(VALU_DEP_1) | instskip(NEXT) | instid1(VALU_DEP_1)
	v_dual_cndmask_b32 v45, v45, v50, s5 :: v_dual_cndmask_b32 v4, v51, v47, vcc_lo
	v_alignbit_b32 v48, v46, v45, v49
	s_delay_alu instid0(VALU_DEP_1) | instskip(NEXT) | instid1(VALU_DEP_3)
	v_dual_cndmask_b32 v43, v43, v44, s4 :: v_dual_cndmask_b32 v44, v48, v46, vcc_lo
	v_bfe_u32 v46, v4, 29, 1
	s_delay_alu instid0(VALU_DEP_2) | instskip(NEXT) | instid1(VALU_DEP_3)
	v_cndmask_b32_e64 v43, v50, v43, s5
	v_alignbit_b32 v47, v4, v44, 30
	s_delay_alu instid0(VALU_DEP_3) | instskip(NEXT) | instid1(VALU_DEP_3)
	v_sub_nc_u32_e32 v48, 0, v46
	v_alignbit_b32 v49, v45, v43, v49
	s_delay_alu instid0(VALU_DEP_1) | instskip(NEXT) | instid1(VALU_DEP_1)
	v_dual_cndmask_b32 v45, v49, v45, vcc_lo :: v_dual_bitop2_b32 v47, v47, v48 bitop3:0x14
	v_clz_i32_u32_e32 v49, v47
	s_delay_alu instid0(VALU_DEP_2) | instskip(SKIP_1) | instid1(VALU_DEP_3)
	v_alignbit_b32 v44, v44, v45, 30
	v_alignbit_b32 v43, v45, v43, 30
	v_min_u32_e32 v49, 32, v49
	s_delay_alu instid0(VALU_DEP_3) | instskip(NEXT) | instid1(VALU_DEP_3)
	v_xor_b32_e32 v44, v44, v48
	v_xor_b32_e32 v43, v43, v48
	s_delay_alu instid0(VALU_DEP_3) | instskip(SKIP_1) | instid1(VALU_DEP_1)
	v_dual_lshrrev_b32 v48, 29, v4 :: v_dual_lshlrev_b32 v50, 23, v49
	v_sub_nc_u32_e32 v45, 31, v49
	v_alignbit_b32 v47, v47, v44, v45
	s_delay_alu instid0(VALU_DEP_4) | instskip(NEXT) | instid1(VALU_DEP_4)
	v_alignbit_b32 v43, v44, v43, v45
	v_lshlrev_b32_e32 v44, 31, v48
	s_delay_alu instid0(VALU_DEP_2) | instskip(NEXT) | instid1(VALU_DEP_2)
	v_alignbit_b32 v45, v47, v43, 9
	v_dual_lshrrev_b32 v47, 9, v47 :: v_dual_bitop2_b32 v48, 0.5, v44 bitop3:0x54
	v_or_b32_e32 v44, 0x33000000, v44
	s_delay_alu instid0(VALU_DEP_3) | instskip(NEXT) | instid1(VALU_DEP_3)
	v_clz_i32_u32_e32 v51, v45
	v_sub_nc_u32_e32 v48, v48, v50
	s_delay_alu instid0(VALU_DEP_2) | instskip(NEXT) | instid1(VALU_DEP_1)
	v_min_u32_e32 v50, 32, v51
	v_add_lshl_u32 v49, v50, v49, 23
	s_delay_alu instid0(VALU_DEP_3) | instskip(SKIP_1) | instid1(VALU_DEP_2)
	v_or_b32_e32 v47, v47, v48
	v_not_b32_e32 v48, v50
	v_dual_mul_f32 v51, 0x3fc90fda, v47 :: v_dual_sub_nc_u32 v44, v44, v49
	s_delay_alu instid0(VALU_DEP_2) | instskip(NEXT) | instid1(VALU_DEP_2)
	v_alignbit_b32 v43, v45, v43, v48
	v_fma_f32 v45, 0x3fc90fda, v47, -v51
	s_delay_alu instid0(VALU_DEP_2) | instskip(NEXT) | instid1(VALU_DEP_2)
	v_lshrrev_b32_e32 v43, 9, v43
	v_fmac_f32_e32 v45, 0x33a22168, v47
	s_delay_alu instid0(VALU_DEP_2) | instskip(NEXT) | instid1(VALU_DEP_1)
	v_or_b32_e32 v43, v44, v43
	v_fmac_f32_e32 v45, 0x3fc90fda, v43
	s_delay_alu instid0(VALU_DEP_1) | instskip(NEXT) | instid1(VALU_DEP_1)
	v_dual_add_f32 v4, v51, v45 :: v_dual_lshrrev_b32 v43, 30, v4
	v_add_nc_u32_e32 v43, v46, v43
	s_and_not1_saveexec_b32 s4, s26
	s_cbranch_execnz .LBB156_261
	s_branch .LBB156_262
.LBB156_260:                            ;   in Loop: Header=BB156_161 Depth=1
	s_and_not1_saveexec_b32 s4, s26
.LBB156_261:                            ;   in Loop: Header=BB156_161 Depth=1
	v_mul_f32_e64 v4, 0x3f22f983, |v35|
	s_delay_alu instid0(VALU_DEP_1) | instskip(NEXT) | instid1(VALU_DEP_1)
	v_rndne_f32_e32 v43, v4
	v_fma_f32 v4, 0xbfc90fda, v43, |v35|
	s_delay_alu instid0(VALU_DEP_1) | instskip(NEXT) | instid1(VALU_DEP_1)
	v_fmac_f32_e32 v4, 0xb3a22168, v43
	v_fmac_f32_e32 v4, 0xa7c234c4, v43
	v_cvt_i32_f32_e32 v43, v43
.LBB156_262:                            ;   in Loop: Header=BB156_161 Depth=1
	s_or_b32 exec_lo, exec_lo, s4
	v_dual_mul_f32 v44, v30, v30 :: v_dual_bitop2_b32 v45, 1, v32 bitop3:0x40
	v_mul_f32_e64 v46, 0xbfb8aa3b, |v34|
	s_delay_alu instid0(VALU_DEP_2) | instskip(SKIP_1) | instid1(VALU_DEP_3)
	v_fmaak_f32 v47, s21, v44, 0x3c0881c4
	v_lshlrev_b32_e32 v32, 30, v32
	v_fma_f32 v50, 0xbfb8aa3b, |v34|, -v46
	v_cmp_eq_u32_e32 vcc_lo, 0, v45
	s_delay_alu instid0(VALU_DEP_4)
	v_fmaak_f32 v47, v44, v47, 0xbe2aaa9d
	v_fmaak_f32 v48, s22, v44, 0xbab64f3b
	v_bitop3_b32 v32, v42, v32, 0x80000000 bitop3:0x78
	v_rndne_f32_e32 v42, v46
	v_fma_f32 v50, 0xb2a5705f, |v34|, v50
	v_mul_f32_e32 v47, v44, v47
	v_mul_f32_e32 v49, v4, v4
	v_fmaak_f32 v48, v44, v48, 0x3d2aabf7
	v_sub_f32_e32 v46, v46, v42
	v_cvt_i32_f32_e32 v42, v42
	s_delay_alu instid0(VALU_DEP_4) | instskip(NEXT) | instid1(VALU_DEP_4)
	v_dual_fmac_f32 v30, v30, v47 :: v_dual_fmaak_f32 v51, s21, v49, 0x3c0881c4
	v_fmaak_f32 v48, v44, v48, 0xbf000004
	v_fmaak_f32 v52, s22, v49, 0xbab64f3b
	v_add_f32_e32 v46, v46, v50
	s_delay_alu instid0(VALU_DEP_3) | instskip(SKIP_1) | instid1(VALU_DEP_3)
	v_fma_f32 v44, v44, v48, 1.0
	v_fmaak_f32 v51, v49, v51, 0xbe2aaa9d
	v_exp_f32_e32 v45, v46
	s_delay_alu instid0(VALU_DEP_2) | instskip(NEXT) | instid1(VALU_DEP_2)
	v_dual_cndmask_b32 v30, v44, v30, vcc_lo :: v_dual_bitop2_b32 v46, 1, v43 bitop3:0x40
	v_dual_fmaak_f32 v47, v49, v52, 0x3d2aabf7 :: v_dual_mul_f32 v48, v49, v51
	s_delay_alu instid0(VALU_DEP_2) | instskip(NEXT) | instid1(VALU_DEP_3)
	v_cmp_eq_u32_e32 vcc_lo, 0, v46
	v_xor3_b32 v30, v32, v30, v35
	s_delay_alu instid0(VALU_DEP_3) | instskip(NEXT) | instid1(VALU_DEP_4)
	v_fmaak_f32 v44, v49, v47, 0xbf000004
	v_fmac_f32_e32 v4, v4, v48
	v_ldexp_f32 v32, v45, v42
	s_delay_alu instid0(VALU_DEP_4) | instskip(NEXT) | instid1(VALU_DEP_4)
	v_dual_mul_f32 v30, 4.0, v30 :: v_dual_lshlrev_b32 v35, 30, v43
	v_fma_f32 v44, v49, v44, 1.0
	s_delay_alu instid0(VALU_DEP_1) | instskip(SKIP_1) | instid1(VALU_DEP_2)
	v_cndmask_b32_e64 v4, -v4, v44, vcc_lo
	v_cmp_nlt_f32_e64 vcc_lo, 0x42ce8ed0, |v34|
	v_bitop3_b32 v4, v35, v4, 0x80000000 bitop3:0x6c
	v_cndmask_b32_e32 v32, 0, v32, vcc_lo
	v_cmp_ngt_f32_e64 vcc_lo, 0xc2b17218, |v34|
	v_bfi_b32 v34, 0x7fffffff, 1.0, v34
	s_delay_alu instid0(VALU_DEP_4) | instskip(NEXT) | instid1(VALU_DEP_4)
	v_mul_f32_e32 v4, v30, v4
	v_cndmask_b32_e32 v32, 0x7f800000, v32, vcc_lo
	s_delay_alu instid0(VALU_DEP_1) | instskip(NEXT) | instid1(VALU_DEP_1)
	v_mul_f32_e32 v4, v32, v4
	v_mul_f32_e32 v35, v32, v4
.LBB156_263:                            ;   in Loop: Header=BB156_161 Depth=1
	s_or_b32 exec_lo, exec_lo, s25
.LBB156_264:                            ;   in Loop: Header=BB156_161 Depth=1
	s_and_not1_saveexec_b32 s4, s24
; %bb.265:                              ;   in Loop: Header=BB156_161 Depth=1
	s_delay_alu instid0(VALU_DEP_1) | instskip(NEXT) | instid1(VALU_DEP_1)
	v_sub_f32_e32 v35, v35, v35
	v_mov_b32_e32 v34, v35
; %bb.266:                              ;   in Loop: Header=BB156_161 Depth=1
	s_or_b32 exec_lo, exec_lo, s4
.LBB156_267:                            ;   in Loop: Header=BB156_161 Depth=1
	s_and_not1_saveexec_b32 s23, s23
	s_cbranch_execz .LBB156_283
; %bb.268:                              ;   in Loop: Header=BB156_161 Depth=1
	s_delay_alu instid0(VALU_DEP_1) | instskip(SKIP_1) | instid1(VALU_DEP_1)
	v_and_b32_e32 v4, 0x7fffff, v34
	s_mov_b32 s4, exec_lo
	v_cmpx_ne_u32_e32 0, v4
	s_xor_b32 s4, exec_lo, s4
; %bb.269:                              ;   in Loop: Header=BB156_161 Depth=1
	v_mul_f32_e32 v4, v35, v34
	v_cmp_eq_f32_e32 vcc_lo, 0, v35
	s_delay_alu instid0(VALU_DEP_2)
	v_cndmask_b32_e32 v35, v4, v35, vcc_lo
; %bb.270:                              ;   in Loop: Header=BB156_161 Depth=1
	s_and_not1_saveexec_b32 s24, s4
	s_cbranch_execz .LBB156_282
; %bb.271:                              ;   in Loop: Header=BB156_161 Depth=1
	s_mov_b32 s25, exec_lo
	s_delay_alu instid0(VALU_DEP_1)
	v_cmpx_neq_f32_e64 0x7f800000, |v35|
	s_cbranch_execz .LBB156_281
; %bb.272:                              ;   in Loop: Header=BB156_161 Depth=1
	v_and_b32_e32 v30, 0x7fffffff, v35
	v_cmp_ngt_f32_e64 s26, 0x48000000, |v35|
                                        ; implicit-def: $vgpr42
                                        ; implicit-def: $vgpr32
	s_and_saveexec_b32 s4, s26
	s_delay_alu instid0(SALU_CYCLE_1)
	s_xor_b32 s27, exec_lo, s4
	s_cbranch_execz .LBB156_274
; %bb.273:                              ;   in Loop: Header=BB156_161 Depth=1
	v_and_or_b32 v4, v30, s16, 0x800000
	v_dual_mov_b32 v53, v5 :: v_dual_lshrrev_b32 v32, 23, v30
	v_mov_b32_e32 v55, v5
	s_delay_alu instid0(VALU_DEP_3) | instskip(NEXT) | instid1(VALU_DEP_1)
	v_mul_u64_e32 v[42:43], s[14:15], v[4:5]
	v_dual_mov_b32 v45, v5 :: v_dual_mov_b32 v44, v43
	s_delay_alu instid0(VALU_DEP_1) | instskip(NEXT) | instid1(VALU_DEP_1)
	v_mad_nc_u64_u32 v[44:45], 0x3c439041, v4, v[44:45]
	v_dual_mov_b32 v47, v5 :: v_dual_mov_b32 v46, v45
	s_delay_alu instid0(VALU_DEP_1) | instskip(NEXT) | instid1(VALU_DEP_1)
	v_mad_nc_u64_u32 v[46:47], 0xdb629599, v4, v[46:47]
	;; [unrolled: 3-line block ×4, first 2 shown]
	v_mov_b32_e32 v52, v51
	s_delay_alu instid0(VALU_DEP_1) | instskip(NEXT) | instid1(VALU_DEP_1)
	v_mad_nc_u64_u32 v[52:53], 0x4e441529, v4, v[52:53]
	v_mov_b32_e32 v54, v53
	s_delay_alu instid0(VALU_DEP_1) | instskip(SKIP_1) | instid1(VALU_DEP_1)
	v_mad_nc_u64_u32 v[54:55], 0xa2f9836e, v4, v[54:55]
	v_add_nc_u32_e32 v32, 0xffffff88, v32
	v_cmp_lt_u32_e32 vcc_lo, 63, v32
	v_cndmask_b32_e64 v43, 0, 0xffffffc0, vcc_lo
	s_delay_alu instid0(VALU_DEP_4) | instskip(SKIP_1) | instid1(VALU_DEP_3)
	v_cndmask_b32_e32 v45, v54, v50, vcc_lo
	v_cndmask_b32_e32 v49, v50, v46, vcc_lo
	v_dual_cndmask_b32 v42, v46, v42, vcc_lo :: v_dual_add_nc_u32 v32, v43, v32
	s_delay_alu instid0(VALU_DEP_1) | instskip(SKIP_1) | instid1(VALU_DEP_2)
	v_cmp_lt_u32_e64 s4, 31, v32
	v_cndmask_b32_e32 v47, v55, v52, vcc_lo
	v_cndmask_b32_e64 v43, 0, 0xffffffe0, s4
	s_delay_alu instid0(VALU_DEP_1) | instskip(SKIP_1) | instid1(VALU_DEP_2)
	v_add_nc_u32_e32 v4, v43, v32
	v_cndmask_b32_e32 v43, v52, v48, vcc_lo
	v_cmp_lt_u32_e64 s5, 31, v4
	s_delay_alu instid0(VALU_DEP_1) | instskip(NEXT) | instid1(VALU_DEP_1)
	v_cndmask_b32_e64 v32, 0, 0xffffffe0, s5
	v_add_nc_u32_e32 v4, v32, v4
	s_delay_alu instid0(VALU_DEP_4) | instskip(SKIP_1) | instid1(VALU_DEP_3)
	v_dual_cndmask_b32 v32, v48, v44, vcc_lo :: v_dual_cndmask_b32 v44, v45, v43, s4
	v_cndmask_b32_e64 v45, v47, v45, s4
	v_dual_cndmask_b32 v43, v43, v49, s4 :: v_dual_sub_nc_u32 v47, 32, v4
	v_cmp_eq_u32_e32 vcc_lo, 0, v4
	s_delay_alu instid0(VALU_DEP_3) | instskip(NEXT) | instid1(VALU_DEP_3)
	v_cndmask_b32_e64 v45, v45, v44, s5
	v_dual_cndmask_b32 v48, v49, v32, s4 :: v_dual_cndmask_b32 v44, v44, v43, s5
	s_delay_alu instid0(VALU_DEP_1) | instskip(NEXT) | instid1(VALU_DEP_1)
	v_alignbit_b32 v49, v45, v44, v47
	v_dual_cndmask_b32 v43, v43, v48, s5 :: v_dual_cndmask_b32 v4, v49, v45, vcc_lo
	s_delay_alu instid0(VALU_DEP_1) | instskip(NEXT) | instid1(VALU_DEP_1)
	v_alignbit_b32 v46, v44, v43, v47
	v_dual_cndmask_b32 v32, v32, v42, s4 :: v_dual_cndmask_b32 v42, v46, v44, vcc_lo
	s_delay_alu instid0(VALU_DEP_3) | instskip(NEXT) | instid1(VALU_DEP_2)
	v_bfe_u32 v44, v4, 29, 1
	v_alignbit_b32 v45, v4, v42, 30
	s_delay_alu instid0(VALU_DEP_2) | instskip(NEXT) | instid1(VALU_DEP_1)
	v_sub_nc_u32_e32 v46, 0, v44
	v_dual_cndmask_b32 v32, v48, v32, s5 :: v_dual_bitop2_b32 v45, v45, v46 bitop3:0x14
	s_delay_alu instid0(VALU_DEP_1) | instskip(NEXT) | instid1(VALU_DEP_1)
	v_alignbit_b32 v47, v43, v32, v47
	v_cndmask_b32_e32 v43, v47, v43, vcc_lo
	s_delay_alu instid0(VALU_DEP_3) | instskip(NEXT) | instid1(VALU_DEP_2)
	v_clz_i32_u32_e32 v47, v45
	v_alignbit_b32 v42, v42, v43, 30
	s_delay_alu instid0(VALU_DEP_2) | instskip(SKIP_1) | instid1(VALU_DEP_2)
	v_min_u32_e32 v47, 32, v47
	v_alignbit_b32 v32, v43, v32, 30
	v_dual_sub_nc_u32 v43, 31, v47 :: v_dual_bitop2_b32 v42, v42, v46 bitop3:0x14
	s_delay_alu instid0(VALU_DEP_2) | instskip(SKIP_1) | instid1(VALU_DEP_3)
	v_dual_lshrrev_b32 v46, 29, v4 :: v_dual_bitop2_b32 v32, v32, v46 bitop3:0x14
	v_lshlrev_b32_e32 v48, 23, v47
	v_alignbit_b32 v45, v45, v42, v43
	s_delay_alu instid0(VALU_DEP_3) | instskip(NEXT) | instid1(VALU_DEP_4)
	v_alignbit_b32 v32, v42, v32, v43
	v_lshlrev_b32_e32 v42, 31, v46
	s_delay_alu instid0(VALU_DEP_2) | instskip(NEXT) | instid1(VALU_DEP_2)
	v_alignbit_b32 v43, v45, v32, 9
	v_dual_lshrrev_b32 v45, 9, v45 :: v_dual_bitop2_b32 v46, 0.5, v42 bitop3:0x54
	v_or_b32_e32 v42, 0x33000000, v42
	s_delay_alu instid0(VALU_DEP_3) | instskip(NEXT) | instid1(VALU_DEP_3)
	v_clz_i32_u32_e32 v49, v43
	v_sub_nc_u32_e32 v46, v46, v48
	s_delay_alu instid0(VALU_DEP_2) | instskip(NEXT) | instid1(VALU_DEP_1)
	v_min_u32_e32 v48, 32, v49
	v_add_lshl_u32 v47, v48, v47, 23
	s_delay_alu instid0(VALU_DEP_3) | instskip(SKIP_1) | instid1(VALU_DEP_2)
	v_or_b32_e32 v45, v45, v46
	v_not_b32_e32 v46, v48
	v_dual_mul_f32 v49, 0x3fc90fda, v45 :: v_dual_sub_nc_u32 v42, v42, v47
	s_delay_alu instid0(VALU_DEP_2) | instskip(NEXT) | instid1(VALU_DEP_2)
	v_alignbit_b32 v32, v43, v32, v46
	v_fma_f32 v43, 0x3fc90fda, v45, -v49
	s_delay_alu instid0(VALU_DEP_1) | instskip(NEXT) | instid1(VALU_DEP_1)
	v_dual_fmac_f32 v43, 0x33a22168, v45 :: v_dual_lshrrev_b32 v32, 9, v32
	v_or_b32_e32 v32, v42, v32
	s_delay_alu instid0(VALU_DEP_1) | instskip(NEXT) | instid1(VALU_DEP_1)
	v_fmac_f32_e32 v43, 0x3fc90fda, v32
	v_dual_lshrrev_b32 v4, 30, v4 :: v_dual_add_f32 v32, v49, v43
	s_delay_alu instid0(VALU_DEP_1)
	v_add_nc_u32_e32 v42, v44, v4
	s_and_not1_saveexec_b32 s4, s27
	s_branch .LBB156_275
.LBB156_274:                            ;   in Loop: Header=BB156_161 Depth=1
	s_and_not1_saveexec_b32 s4, s27
.LBB156_275:                            ;   in Loop: Header=BB156_161 Depth=1
	v_mul_f32_e64 v4, 0x3f22f983, |v35|
	s_delay_alu instid0(VALU_DEP_1) | instskip(NEXT) | instid1(VALU_DEP_1)
	v_rndne_f32_e32 v4, v4
	v_fma_f32 v32, 0xbfc90fda, v4, |v35|
	v_cvt_i32_f32_e32 v42, v4
	s_delay_alu instid0(VALU_DEP_2) | instskip(NEXT) | instid1(VALU_DEP_1)
	v_fmac_f32_e32 v32, 0xb3a22168, v4
	v_fmac_f32_e32 v32, 0xa7c234c4, v4
; %bb.276:                              ;   in Loop: Header=BB156_161 Depth=1
	s_or_b32 exec_lo, exec_lo, s4
                                        ; implicit-def: $vgpr43
                                        ; implicit-def: $vgpr4
	s_and_saveexec_b32 s4, s26
	s_delay_alu instid0(SALU_CYCLE_1)
	s_xor_b32 s26, exec_lo, s4
	s_cbranch_execz .LBB156_278
; %bb.277:                              ;   in Loop: Header=BB156_161 Depth=1
	v_and_or_b32 v4, v30, s16, 0x800000
	v_dual_lshrrev_b32 v43, 23, v30 :: v_dual_mov_b32 v55, v5
	s_delay_alu instid0(VALU_DEP_2) | instskip(SKIP_1) | instid1(VALU_DEP_3)
	v_mul_u64_e32 v[44:45], s[14:15], v[4:5]
	v_mov_b32_e32 v47, v5
	v_add_nc_u32_e32 v43, 0xffffff88, v43
	s_delay_alu instid0(VALU_DEP_1) | instskip(NEXT) | instid1(VALU_DEP_4)
	v_cmp_lt_u32_e32 vcc_lo, 63, v43
	v_mov_b32_e32 v46, v45
	v_cndmask_b32_e64 v45, 0, 0xffffffc0, vcc_lo
	s_delay_alu instid0(VALU_DEP_2) | instskip(NEXT) | instid1(VALU_DEP_1)
	v_mad_nc_u64_u32 v[46:47], 0x3c439041, v4, v[46:47]
	v_dual_mov_b32 v49, v5 :: v_dual_mov_b32 v48, v47
	s_delay_alu instid0(VALU_DEP_1) | instskip(NEXT) | instid1(VALU_DEP_1)
	v_mad_nc_u64_u32 v[48:49], 0xdb629599, v4, v[48:49]
	v_dual_mov_b32 v51, v5 :: v_dual_mov_b32 v50, v49
	s_delay_alu instid0(VALU_DEP_2) | instskip(NEXT) | instid1(VALU_DEP_2)
	v_cndmask_b32_e32 v44, v48, v44, vcc_lo
	v_mad_nc_u64_u32 v[50:51], 0xf534ddc0, v4, v[50:51]
	s_delay_alu instid0(VALU_DEP_1) | instskip(NEXT) | instid1(VALU_DEP_1)
	v_dual_mov_b32 v53, v5 :: v_dual_mov_b32 v52, v51
	v_mad_nc_u64_u32 v[52:53], 0xfc2757d1, v4, v[52:53]
	s_delay_alu instid0(VALU_DEP_1) | instskip(NEXT) | instid1(VALU_DEP_1)
	v_dual_mov_b32 v54, v53 :: v_dual_cndmask_b32 v51, v52, v48
	v_mad_nc_u64_u32 v[54:55], 0x4e441529, v4, v[54:55]
	v_add_nc_u32_e32 v43, v45, v43
	s_delay_alu instid0(VALU_DEP_2) | instskip(NEXT) | instid1(VALU_DEP_2)
	v_dual_mov_b32 v57, v5 :: v_dual_mov_b32 v56, v55
	v_cmp_lt_u32_e64 s4, 31, v43
	s_delay_alu instid0(VALU_DEP_2) | instskip(NEXT) | instid1(VALU_DEP_2)
	v_mad_nc_u64_u32 v[56:57], 0xa2f9836e, v4, v[56:57]
	v_cndmask_b32_e64 v45, 0, 0xffffffe0, s4
	s_delay_alu instid0(VALU_DEP_1) | instskip(NEXT) | instid1(VALU_DEP_3)
	v_dual_cndmask_b32 v45, v54, v50 :: v_dual_add_nc_u32 v4, v45, v43
	v_cndmask_b32_e32 v47, v56, v52, vcc_lo
	s_delay_alu instid0(VALU_DEP_2) | instskip(SKIP_1) | instid1(VALU_DEP_2)
	v_cmp_lt_u32_e64 s5, 31, v4
	v_cndmask_b32_e32 v49, v57, v54, vcc_lo
	v_cndmask_b32_e64 v43, 0, 0xffffffe0, s5
	s_delay_alu instid0(VALU_DEP_1) | instskip(NEXT) | instid1(VALU_DEP_3)
	v_dual_cndmask_b32 v43, v50, v46 :: v_dual_add_nc_u32 v4, v43, v4
	v_dual_cndmask_b32 v46, v47, v45, s4 :: v_dual_cndmask_b32 v47, v49, v47, s4
	s_delay_alu instid0(VALU_DEP_2) | instskip(NEXT) | instid1(VALU_DEP_3)
	v_dual_cndmask_b32 v45, v45, v51, s4 :: v_dual_sub_nc_u32 v49, 32, v4
	v_cndmask_b32_e64 v50, v51, v43, s4
	v_cmp_eq_u32_e32 vcc_lo, 0, v4
	s_delay_alu instid0(VALU_DEP_3) | instskip(NEXT) | instid1(VALU_DEP_1)
	v_dual_cndmask_b32 v47, v47, v46, s5 :: v_dual_cndmask_b32 v46, v46, v45, s5
	v_alignbit_b32 v51, v47, v46, v49
	s_delay_alu instid0(VALU_DEP_1) | instskip(NEXT) | instid1(VALU_DEP_1)
	v_dual_cndmask_b32 v45, v45, v50, s5 :: v_dual_cndmask_b32 v4, v51, v47, vcc_lo
	v_alignbit_b32 v48, v46, v45, v49
	s_delay_alu instid0(VALU_DEP_1) | instskip(NEXT) | instid1(VALU_DEP_3)
	v_dual_cndmask_b32 v43, v43, v44, s4 :: v_dual_cndmask_b32 v44, v48, v46, vcc_lo
	v_bfe_u32 v46, v4, 29, 1
	s_delay_alu instid0(VALU_DEP_2) | instskip(NEXT) | instid1(VALU_DEP_3)
	v_cndmask_b32_e64 v43, v50, v43, s5
	v_alignbit_b32 v47, v4, v44, 30
	s_delay_alu instid0(VALU_DEP_3) | instskip(NEXT) | instid1(VALU_DEP_3)
	v_sub_nc_u32_e32 v48, 0, v46
	v_alignbit_b32 v49, v45, v43, v49
	s_delay_alu instid0(VALU_DEP_1) | instskip(NEXT) | instid1(VALU_DEP_1)
	v_dual_cndmask_b32 v45, v49, v45, vcc_lo :: v_dual_bitop2_b32 v47, v47, v48 bitop3:0x14
	v_clz_i32_u32_e32 v49, v47
	s_delay_alu instid0(VALU_DEP_2) | instskip(SKIP_1) | instid1(VALU_DEP_3)
	v_alignbit_b32 v44, v44, v45, 30
	v_alignbit_b32 v43, v45, v43, 30
	v_min_u32_e32 v49, 32, v49
	s_delay_alu instid0(VALU_DEP_3) | instskip(NEXT) | instid1(VALU_DEP_3)
	v_xor_b32_e32 v44, v44, v48
	v_xor_b32_e32 v43, v43, v48
	s_delay_alu instid0(VALU_DEP_3) | instskip(SKIP_1) | instid1(VALU_DEP_1)
	v_dual_lshrrev_b32 v48, 29, v4 :: v_dual_lshlrev_b32 v50, 23, v49
	v_sub_nc_u32_e32 v45, 31, v49
	v_alignbit_b32 v47, v47, v44, v45
	s_delay_alu instid0(VALU_DEP_4) | instskip(NEXT) | instid1(VALU_DEP_4)
	v_alignbit_b32 v43, v44, v43, v45
	v_lshlrev_b32_e32 v44, 31, v48
	s_delay_alu instid0(VALU_DEP_2) | instskip(NEXT) | instid1(VALU_DEP_2)
	v_alignbit_b32 v45, v47, v43, 9
	v_dual_lshrrev_b32 v47, 9, v47 :: v_dual_bitop2_b32 v48, 0.5, v44 bitop3:0x54
	v_or_b32_e32 v44, 0x33000000, v44
	s_delay_alu instid0(VALU_DEP_3) | instskip(NEXT) | instid1(VALU_DEP_3)
	v_clz_i32_u32_e32 v51, v45
	v_sub_nc_u32_e32 v48, v48, v50
	s_delay_alu instid0(VALU_DEP_2) | instskip(NEXT) | instid1(VALU_DEP_1)
	v_min_u32_e32 v50, 32, v51
	v_add_lshl_u32 v49, v50, v49, 23
	s_delay_alu instid0(VALU_DEP_3) | instskip(SKIP_1) | instid1(VALU_DEP_2)
	v_or_b32_e32 v47, v47, v48
	v_not_b32_e32 v48, v50
	v_dual_mul_f32 v51, 0x3fc90fda, v47 :: v_dual_sub_nc_u32 v44, v44, v49
	s_delay_alu instid0(VALU_DEP_2) | instskip(NEXT) | instid1(VALU_DEP_2)
	v_alignbit_b32 v43, v45, v43, v48
	v_fma_f32 v45, 0x3fc90fda, v47, -v51
	s_delay_alu instid0(VALU_DEP_2) | instskip(NEXT) | instid1(VALU_DEP_2)
	v_lshrrev_b32_e32 v43, 9, v43
	v_fmac_f32_e32 v45, 0x33a22168, v47
	s_delay_alu instid0(VALU_DEP_2) | instskip(NEXT) | instid1(VALU_DEP_1)
	v_or_b32_e32 v43, v44, v43
	v_fmac_f32_e32 v45, 0x3fc90fda, v43
	s_delay_alu instid0(VALU_DEP_1) | instskip(NEXT) | instid1(VALU_DEP_1)
	v_dual_add_f32 v4, v51, v45 :: v_dual_lshrrev_b32 v43, 30, v4
	v_add_nc_u32_e32 v43, v46, v43
	s_and_not1_saveexec_b32 s4, s26
	s_cbranch_execnz .LBB156_279
	s_branch .LBB156_280
.LBB156_278:                            ;   in Loop: Header=BB156_161 Depth=1
	s_and_not1_saveexec_b32 s4, s26
.LBB156_279:                            ;   in Loop: Header=BB156_161 Depth=1
	v_mul_f32_e64 v4, 0x3f22f983, |v35|
	s_delay_alu instid0(VALU_DEP_1) | instskip(NEXT) | instid1(VALU_DEP_1)
	v_rndne_f32_e32 v43, v4
	v_fma_f32 v4, 0xbfc90fda, v43, |v35|
	s_delay_alu instid0(VALU_DEP_1) | instskip(NEXT) | instid1(VALU_DEP_1)
	v_fmac_f32_e32 v4, 0xb3a22168, v43
	v_fmac_f32_e32 v4, 0xa7c234c4, v43
	v_cvt_i32_f32_e32 v43, v43
.LBB156_280:                            ;   in Loop: Header=BB156_161 Depth=1
	s_or_b32 exec_lo, exec_lo, s4
	s_delay_alu instid0(VALU_DEP_2) | instskip(SKIP_1) | instid1(VALU_DEP_3)
	v_mul_f32_e32 v45, v4, v4
	v_dual_mul_f32 v44, v32, v32 :: v_dual_bitop2_b32 v46, 1, v42 bitop3:0x40
	v_dual_lshlrev_b32 v42, 30, v42 :: v_dual_bitop2_b32 v51, 1, v43 bitop3:0x40
	s_delay_alu instid0(VALU_DEP_3) | instskip(SKIP_1) | instid1(VALU_DEP_4)
	v_fmaak_f32 v49, s21, v45, 0x3c0881c4
	v_dual_fmaak_f32 v50, s22, v45, 0xbab64f3b :: v_dual_lshlrev_b32 v43, 30, v43
	v_cmp_eq_u32_e32 vcc_lo, 0, v46
	s_delay_alu instid0(VALU_DEP_4) | instskip(NEXT) | instid1(VALU_DEP_4)
	v_bitop3_b32 v30, v30, v42, 0x80000000 bitop3:0x78
	v_fmaak_f32 v49, v45, v49, 0xbe2aaa9d
	s_delay_alu instid0(VALU_DEP_1) | instskip(SKIP_1) | instid1(VALU_DEP_2)
	v_dual_fmaak_f32 v50, v45, v50, 0x3d2aabf7 :: v_dual_mul_f32 v49, v45, v49
	v_fmaak_f32 v47, s21, v44, 0x3c0881c4
	v_fmaak_f32 v50, v45, v50, 0xbf000004
	s_delay_alu instid0(VALU_DEP_3) | instskip(NEXT) | instid1(VALU_DEP_3)
	v_fmac_f32_e32 v4, v4, v49
	v_fmaak_f32 v47, v44, v47, 0xbe2aaa9d
	v_fmaak_f32 v48, s22, v44, 0xbab64f3b
	s_delay_alu instid0(VALU_DEP_4) | instskip(NEXT) | instid1(VALU_DEP_2)
	v_fma_f32 v45, v45, v50, 1.0
	v_dual_mul_f32 v47, v44, v47 :: v_dual_fmaak_f32 v48, v44, v48, 0x3d2aabf7
	s_delay_alu instid0(VALU_DEP_1) | instskip(NEXT) | instid1(VALU_DEP_2)
	v_fmac_f32_e32 v32, v32, v47
	v_fmaak_f32 v48, v44, v48, 0xbf000004
	s_delay_alu instid0(VALU_DEP_1) | instskip(NEXT) | instid1(VALU_DEP_1)
	v_fma_f32 v44, v44, v48, 1.0
	v_cndmask_b32_e32 v32, v44, v32, vcc_lo
	v_cmp_eq_u32_e32 vcc_lo, 0, v51
	s_delay_alu instid0(VALU_DEP_2) | instskip(SKIP_2) | instid1(VALU_DEP_2)
	v_xor3_b32 v30, v30, v32, v35
	v_cndmask_b32_e64 v4, -v4, v45, vcc_lo
	v_cmp_class_f32_e64 vcc_lo, v35, 0x1f8
	v_bitop3_b32 v4, v43, v4, 0x80000000 bitop3:0x6c
	s_delay_alu instid0(VALU_DEP_1) | instskip(NEXT) | instid1(VALU_DEP_1)
	v_mul_f32_e32 v4, v30, v4
	v_cndmask_b32_e32 v35, 0x7fc00000, v4, vcc_lo
.LBB156_281:                            ;   in Loop: Header=BB156_161 Depth=1
	s_or_b32 exec_lo, exec_lo, s25
	v_add_nc_u32_e32 v34, -2.0, v34
	s_delay_alu instid0(VALU_DEP_2)
	v_bfi_b32 v35, 0x7fffffff, 0, v35
.LBB156_282:                            ;   in Loop: Header=BB156_161 Depth=1
	s_or_b32 exec_lo, exec_lo, s24
.LBB156_283:                            ;   in Loop: Header=BB156_161 Depth=1
	s_delay_alu instid0(SALU_CYCLE_1) | instskip(SKIP_2) | instid1(VALU_DEP_1)
	s_or_b32 exec_lo, exec_lo, s23
	v_and_b32_e32 v30, 0x7fffffff, v40
	s_mov_b32 s4, exec_lo
	v_cmpx_gt_u32_e32 0x7f800000, v30
	s_xor_b32 s23, exec_lo, s4
	s_cbranch_execz .LBB156_294
; %bb.284:                              ;   in Loop: Header=BB156_161 Depth=1
	v_cmp_class_f32_e64 s4, v41, 0x1f8
	s_and_saveexec_b32 s5, s4
	s_delay_alu instid0(SALU_CYCLE_1)
	s_xor_b32 s24, exec_lo, s5
	s_cbranch_execz .LBB156_313
; %bb.285:                              ;   in Loop: Header=BB156_161 Depth=1
	v_and_b32_e32 v42, 0x7fffffff, v41
	s_mov_b32 s4, exec_lo
	v_cmpx_gt_u32_e32 0x41300000, v30
	s_xor_b32 s25, exec_lo, s4
	s_cbranch_execz .LBB156_291
; %bb.286:                              ;   in Loop: Header=BB156_161 Depth=1
                                        ; implicit-def: $vgpr4
                                        ; implicit-def: $vgpr43
	s_mov_b32 s5, exec_lo
	v_cmpx_ngt_f32_e64 0x48000000, |v41|
	s_xor_b32 s26, exec_lo, s5
	s_cbranch_execz .LBB156_288
; %bb.287:                              ;   in Loop: Header=BB156_161 Depth=1
	v_and_or_b32 v4, v42, s16, 0x800000
	v_dual_mov_b32 v55, v5 :: v_dual_lshrrev_b32 v32, 23, v42
	v_mov_b32_e32 v57, v5
	s_delay_alu instid0(VALU_DEP_3) | instskip(NEXT) | instid1(VALU_DEP_3)
	v_mul_u64_e32 v[44:45], s[14:15], v[4:5]
	v_dual_mov_b32 v47, v5 :: v_dual_add_nc_u32 v32, 0xffffff88, v32
	s_delay_alu instid0(VALU_DEP_1) | instskip(SKIP_1) | instid1(VALU_DEP_1)
	v_cmp_lt_u32_e32 vcc_lo, 63, v32
	v_cndmask_b32_e64 v43, 0, 0xffffffc0, vcc_lo
	v_add_nc_u32_e32 v32, v43, v32
	s_delay_alu instid0(VALU_DEP_1) | instskip(NEXT) | instid1(VALU_DEP_1)
	v_cmp_lt_u32_e64 s4, 31, v32
	v_cndmask_b32_e64 v43, 0, 0xffffffe0, s4
	v_mov_b32_e32 v46, v45
	s_delay_alu instid0(VALU_DEP_1) | instskip(NEXT) | instid1(VALU_DEP_1)
	v_mad_nc_u64_u32 v[46:47], 0x3c439041, v4, v[46:47]
	v_dual_mov_b32 v49, v5 :: v_dual_mov_b32 v48, v47
	s_delay_alu instid0(VALU_DEP_1) | instskip(NEXT) | instid1(VALU_DEP_1)
	v_mad_nc_u64_u32 v[48:49], 0xdb629599, v4, v[48:49]
	v_dual_mov_b32 v51, v5 :: v_dual_mov_b32 v50, v49
	;; [unrolled: 3-line block ×3, first 2 shown]
	s_delay_alu instid0(VALU_DEP_1) | instskip(NEXT) | instid1(VALU_DEP_1)
	v_mad_nc_u64_u32 v[52:53], 0xfc2757d1, v4, v[52:53]
	v_mov_b32_e32 v54, v53
	s_delay_alu instid0(VALU_DEP_1) | instskip(NEXT) | instid1(VALU_DEP_1)
	v_mad_nc_u64_u32 v[54:55], 0x4e441529, v4, v[54:55]
	v_mov_b32_e32 v56, v55
	s_delay_alu instid0(VALU_DEP_1) | instskip(NEXT) | instid1(VALU_DEP_3)
	v_mad_nc_u64_u32 v[56:57], 0xa2f9836e, v4, v[56:57]
	v_dual_cndmask_b32 v43, v54, v50 :: v_dual_add_nc_u32 v4, v43, v32
	s_delay_alu instid0(VALU_DEP_2) | instskip(NEXT) | instid1(VALU_DEP_2)
	v_cndmask_b32_e32 v47, v57, v54, vcc_lo
	v_cmp_lt_u32_e64 s5, 31, v4
	s_delay_alu instid0(VALU_DEP_4) | instskip(SKIP_1) | instid1(VALU_DEP_3)
	v_cndmask_b32_e32 v45, v56, v52, vcc_lo
	v_cndmask_b32_e32 v49, v52, v48, vcc_lo
	v_cndmask_b32_e64 v32, 0, 0xffffffe0, s5
	s_delay_alu instid0(VALU_DEP_1) | instskip(NEXT) | instid1(VALU_DEP_4)
	v_dual_add_nc_u32 v4, v32, v4 :: v_dual_cndmask_b32 v32, v50, v46, vcc_lo
	v_dual_cndmask_b32 v46, v45, v43, s4 :: v_dual_cndmask_b32 v45, v47, v45, s4
	s_delay_alu instid0(VALU_DEP_2) | instskip(NEXT) | instid1(VALU_DEP_3)
	v_dual_cndmask_b32 v43, v43, v49, s4 :: v_dual_sub_nc_u32 v47, 32, v4
	v_cndmask_b32_e64 v49, v49, v32, s4
	s_delay_alu instid0(VALU_DEP_2) | instskip(NEXT) | instid1(VALU_DEP_2)
	v_dual_cndmask_b32 v45, v45, v46, s5 :: v_dual_cndmask_b32 v46, v46, v43, s5
	v_cndmask_b32_e64 v43, v43, v49, s5
	s_delay_alu instid0(VALU_DEP_2) | instskip(SKIP_2) | instid1(VALU_DEP_4)
	v_alignbit_b32 v50, v45, v46, v47
	v_cndmask_b32_e32 v44, v48, v44, vcc_lo
	v_cmp_eq_u32_e32 vcc_lo, 0, v4
	v_alignbit_b32 v48, v46, v43, v47
	s_delay_alu instid0(VALU_DEP_4) | instskip(NEXT) | instid1(VALU_DEP_1)
	v_cndmask_b32_e32 v4, v50, v45, vcc_lo
	v_bfe_u32 v45, v4, 29, 1
	v_cndmask_b32_e64 v32, v32, v44, s4
	s_delay_alu instid0(VALU_DEP_2) | instskip(NEXT) | instid1(VALU_DEP_2)
	v_dual_cndmask_b32 v44, v48, v46, vcc_lo :: v_dual_sub_nc_u32 v48, 0, v45
	v_cndmask_b32_e64 v32, v49, v32, s5
	s_delay_alu instid0(VALU_DEP_2) | instskip(NEXT) | instid1(VALU_DEP_2)
	v_alignbit_b32 v46, v4, v44, 30
	v_alignbit_b32 v47, v43, v32, v47
	s_delay_alu instid0(VALU_DEP_1) | instskip(NEXT) | instid1(VALU_DEP_1)
	v_dual_cndmask_b32 v43, v47, v43, vcc_lo :: v_dual_bitop2_b32 v46, v46, v48 bitop3:0x14
	v_clz_i32_u32_e32 v47, v46
	s_delay_alu instid0(VALU_DEP_2) | instskip(NEXT) | instid1(VALU_DEP_2)
	v_alignbit_b32 v44, v44, v43, 30
	v_min_u32_e32 v47, 32, v47
	v_alignbit_b32 v32, v43, v32, 30
	s_delay_alu instid0(VALU_DEP_2) | instskip(NEXT) | instid1(VALU_DEP_2)
	v_dual_sub_nc_u32 v44, 31, v47 :: v_dual_bitop2_b32 v43, v44, v48 bitop3:0x14
	v_xor_b32_e32 v32, v32, v48
	v_dual_lshrrev_b32 v48, 29, v4 :: v_dual_lshlrev_b32 v49, 23, v47
	v_lshrrev_b32_e32 v4, 30, v4
	s_delay_alu instid0(VALU_DEP_4) | instskip(NEXT) | instid1(VALU_DEP_4)
	v_alignbit_b32 v46, v46, v43, v44
	v_alignbit_b32 v32, v43, v32, v44
	s_delay_alu instid0(VALU_DEP_4) | instskip(NEXT) | instid1(VALU_DEP_4)
	v_lshlrev_b32_e32 v43, 31, v48
	v_add_nc_u32_e32 v4, v45, v4
	s_delay_alu instid0(VALU_DEP_3) | instskip(NEXT) | instid1(VALU_DEP_3)
	v_alignbit_b32 v44, v46, v32, 9
	v_dual_lshrrev_b32 v46, 9, v46 :: v_dual_bitop2_b32 v48, 0.5, v43 bitop3:0x54
	v_or_b32_e32 v43, 0x33000000, v43
	s_delay_alu instid0(VALU_DEP_3) | instskip(NEXT) | instid1(VALU_DEP_3)
	v_clz_i32_u32_e32 v50, v44
	v_sub_nc_u32_e32 v48, v48, v49
	s_delay_alu instid0(VALU_DEP_2) | instskip(NEXT) | instid1(VALU_DEP_1)
	v_min_u32_e32 v49, 32, v50
	v_add_lshl_u32 v47, v49, v47, 23
	s_delay_alu instid0(VALU_DEP_1) | instskip(SKIP_1) | instid1(VALU_DEP_2)
	v_dual_sub_nc_u32 v43, v43, v47 :: v_dual_bitop2_b32 v46, v46, v48 bitop3:0x54
	v_not_b32_e32 v48, v49
	v_mul_f32_e32 v50, 0x3fc90fda, v46
	s_delay_alu instid0(VALU_DEP_2) | instskip(NEXT) | instid1(VALU_DEP_2)
	v_alignbit_b32 v32, v44, v32, v48
	v_fma_f32 v44, 0x3fc90fda, v46, -v50
	s_delay_alu instid0(VALU_DEP_2) | instskip(NEXT) | instid1(VALU_DEP_2)
	v_lshrrev_b32_e32 v32, 9, v32
	v_fmac_f32_e32 v44, 0x33a22168, v46
	s_delay_alu instid0(VALU_DEP_2) | instskip(NEXT) | instid1(VALU_DEP_1)
	v_or_b32_e32 v32, v43, v32
	v_fmac_f32_e32 v44, 0x3fc90fda, v32
	s_delay_alu instid0(VALU_DEP_1)
	v_add_f32_e32 v43, v50, v44
.LBB156_288:                            ;   in Loop: Header=BB156_161 Depth=1
	s_and_not1_saveexec_b32 s4, s26
; %bb.289:                              ;   in Loop: Header=BB156_161 Depth=1
	v_mul_f32_e64 v4, 0x3f22f983, |v41|
	s_delay_alu instid0(VALU_DEP_1) | instskip(NEXT) | instid1(VALU_DEP_1)
	v_rndne_f32_e32 v4, v4
	v_fma_f32 v43, 0xbfc90fda, v4, |v41|
	s_delay_alu instid0(VALU_DEP_1) | instskip(NEXT) | instid1(VALU_DEP_1)
	v_fmac_f32_e32 v43, 0xb3a22168, v4
	v_fmac_f32_e32 v43, 0xa7c234c4, v4
	v_cvt_i32_f32_e32 v4, v4
; %bb.290:                              ;   in Loop: Header=BB156_161 Depth=1
	s_or_b32 exec_lo, exec_lo, s4
	v_add_f32_e64 v32, 0xbf317218, |v40|
	v_cmp_nlt_f32_e64 vcc_lo, 0x42b2d4fc, |v40|
	v_cmp_gt_f32_e64 s4, 0x39800000, |v40|
	v_and_b32_e32 v4, 1, v4
	s_delay_alu instid0(VALU_DEP_4) | instskip(NEXT) | instid1(VALU_DEP_1)
	v_sub_f32_e64 v45, v32, |v40|
	v_sub_f32_e32 v44, v45, v32
	s_delay_alu instid0(VALU_DEP_1) | instskip(NEXT) | instid1(VALU_DEP_1)
	v_pk_add_f32 v[44:45], v[30:31], v[44:45]
	v_sub_f32_e32 v30, v44, v45
	s_delay_alu instid0(VALU_DEP_1) | instskip(NEXT) | instid1(VALU_DEP_1)
	v_add_f32_e32 v30, 0x3102e308, v30
	v_add_f32_e32 v45, v32, v30
	s_delay_alu instid0(VALU_DEP_1) | instskip(SKIP_1) | instid1(VALU_DEP_2)
	v_mul_f32_e32 v44, 0x3fb8aa3b, v45
	v_sub_f32_e32 v32, v32, v45
	v_rndne_f32_e32 v52, v44
	s_delay_alu instid0(VALU_DEP_2) | instskip(NEXT) | instid1(VALU_DEP_2)
	v_add_f32_e32 v30, v30, v32
	v_fmac_f32_e32 v45, 0xbf317200, v52
	v_mul_f32_e32 v32, 0x35bfbc00, v52
	s_delay_alu instid0(VALU_DEP_2) | instskip(NEXT) | instid1(VALU_DEP_1)
	v_dual_mul_f32 v47, 0x2ea39ef3, v52 :: v_dual_add_f32 v46, v30, v45
	v_dual_sub_f32 v44, v46, v32 :: v_dual_sub_f32 v45, v45, v46
	s_delay_alu instid0(VALU_DEP_1) | instskip(NEXT) | instid1(VALU_DEP_2)
	v_sub_f32_e32 v46, v46, v44
	v_add_f32_e32 v30, v30, v45
	s_delay_alu instid0(VALU_DEP_2) | instskip(NEXT) | instid1(VALU_DEP_1)
	v_sub_f32_e32 v32, v46, v32
	v_add_f32_e32 v30, v30, v32
	s_delay_alu instid0(VALU_DEP_1) | instskip(NEXT) | instid1(VALU_DEP_1)
	v_add_f32_e32 v45, v44, v30
	v_mov_b32_e32 v46, v45
	s_delay_alu instid0(VALU_DEP_1) | instskip(NEXT) | instid1(VALU_DEP_1)
	v_pk_add_f32 v[48:49], v[44:45], v[46:47] neg_lo:[0,1] neg_hi:[0,1]
	v_sub_f32_e32 v32, v45, v49
	s_delay_alu instid0(VALU_DEP_1) | instskip(NEXT) | instid1(VALU_DEP_1)
	v_dual_sub_f32 v32, v32, v47 :: v_dual_add_f32 v30, v30, v48
	v_add_f32_e32 v30, v30, v32
	s_delay_alu instid0(VALU_DEP_1) | instskip(NEXT) | instid1(VALU_DEP_1)
	v_add_f32_e32 v44, v49, v30
	v_sub_f32_e32 v32, v49, v44
	s_delay_alu instid0(VALU_DEP_1) | instskip(SKIP_1) | instid1(VALU_DEP_1)
	v_add_f32_e32 v30, v30, v32
	v_dual_mul_f32 v45, v44, v44 :: v_dual_fmaak_f32 v32, s20, v44, 0x3c091de6
	v_dual_add_f32 v47, v30, v30 :: v_dual_fma_f32 v46, v44, v44, -v45
	s_delay_alu instid0(VALU_DEP_1) | instskip(NEXT) | instid1(VALU_DEP_1)
	v_fmac_f32_e32 v46, v44, v47
	v_dual_add_f32 v47, v45, v46 :: v_dual_fmaak_f32 v32, v44, v32, 0x3d2aadcc
	s_delay_alu instid0(VALU_DEP_1) | instskip(NEXT) | instid1(VALU_DEP_1)
	v_dual_sub_f32 v45, v47, v45 :: v_dual_fmaak_f32 v32, v44, v32, 0x3e2aaa47
	v_dual_sub_f32 v45, v46, v45 :: v_dual_fmaak_f32 v32, v44, v32, 0x3efffffc
	s_delay_alu instid0(VALU_DEP_1) | instskip(NEXT) | instid1(VALU_DEP_1)
	v_mul_f32_e32 v48, v32, v47
	v_fma_f32 v46, v47, v32, -v48
	s_delay_alu instid0(VALU_DEP_1) | instskip(NEXT) | instid1(VALU_DEP_1)
	v_fmac_f32_e32 v46, v45, v32
	v_add_f32_e32 v45, v48, v46
	s_delay_alu instid0(VALU_DEP_1) | instskip(SKIP_1) | instid1(VALU_DEP_2)
	v_sub_f32_e32 v47, v45, v48
	v_mov_b64_e32 v[48:49], s[16:17]
	v_dual_sub_f32 v46, v46, v47 :: v_dual_add_f32 v32, v44, v45
	s_delay_alu instid0(VALU_DEP_1) | instskip(NEXT) | instid1(VALU_DEP_1)
	v_dual_add_f32 v30, v30, v46 :: v_dual_sub_f32 v44, v32, v44
	v_sub_f32_e32 v44, v45, v44
	s_delay_alu instid0(VALU_DEP_1) | instskip(NEXT) | instid1(VALU_DEP_1)
	v_add_f32_e32 v44, v30, v44
	v_add_f32_e32 v46, v32, v44
	s_delay_alu instid0(VALU_DEP_1) | instskip(NEXT) | instid1(VALU_DEP_1)
	v_dual_add_f32 v47, 1.0, v46 :: v_dual_mov_b32 v45, v46
	v_pk_add_f32 v[48:49], v[46:47], v[48:49]
	v_pk_add_f32 v[50:51], v[46:47], v[32:33] neg_lo:[0,1] neg_hi:[0,1]
	v_cvt_i32_f32_e32 v32, v52
	s_delay_alu instid0(VALU_DEP_3) | instskip(NEXT) | instid1(VALU_DEP_1)
	v_mov_b32_e32 v51, v49
	v_pk_add_f32 v[44:45], v[44:45], v[50:51] neg_lo:[0,1] neg_hi:[0,1]
	s_delay_alu instid0(VALU_DEP_1) | instskip(NEXT) | instid1(VALU_DEP_1)
	v_add_f32_e32 v30, v44, v45
	v_add_f32_e32 v44, v47, v30
	s_delay_alu instid0(VALU_DEP_1) | instskip(SKIP_1) | instid1(VALU_DEP_2)
	v_ldexp_f32 v45, v44, v32
	v_sub_f32_e32 v44, v44, v47
	v_rcp_f32_e32 v46, v45
	v_nop
	s_delay_alu instid0(TRANS32_DEP_1) | instskip(NEXT) | instid1(VALU_DEP_1)
	v_dual_sub_f32 v30, v30, v44 :: v_dual_mul_f32 v44, v45, v46
	v_ldexp_f32 v30, v30, v32
	s_delay_alu instid0(VALU_DEP_2) | instskip(NEXT) | instid1(VALU_DEP_1)
	v_fma_f32 v32, v46, v45, -v44
	v_fmac_f32_e32 v32, v46, v30
	s_delay_alu instid0(VALU_DEP_1) | instskip(NEXT) | instid1(VALU_DEP_1)
	v_add_f32_e32 v47, v44, v32
	v_sub_f32_e32 v44, v47, v44
	s_delay_alu instid0(VALU_DEP_1) | instskip(NEXT) | instid1(VALU_DEP_1)
	v_dual_sub_f32 v32, v44, v32 :: v_dual_sub_f32 v48, 1.0, v47
	v_sub_f32_e32 v49, 1.0, v48
	s_delay_alu instid0(VALU_DEP_1) | instskip(NEXT) | instid1(VALU_DEP_1)
	v_sub_f32_e32 v44, v49, v47
	v_add_f32_e32 v32, v32, v44
	s_delay_alu instid0(VALU_DEP_1) | instskip(NEXT) | instid1(VALU_DEP_1)
	v_add_f32_e32 v44, v48, v32
	v_mul_f32_e32 v47, v46, v44
	s_delay_alu instid0(VALU_DEP_1) | instskip(NEXT) | instid1(VALU_DEP_1)
	v_mul_f32_e32 v49, v45, v47
	v_fma_f32 v50, v47, v45, -v49
	s_delay_alu instid0(VALU_DEP_1) | instskip(NEXT) | instid1(VALU_DEP_1)
	v_fmac_f32_e32 v50, v47, v30
	v_dual_add_f32 v51, v49, v50 :: v_dual_sub_f32 v48, v48, v44
	s_delay_alu instid0(VALU_DEP_1) | instskip(NEXT) | instid1(VALU_DEP_2)
	v_sub_f32_e32 v52, v44, v51
	v_dual_add_f32 v32, v32, v48 :: v_dual_sub_f32 v48, v51, v49
	s_delay_alu instid0(VALU_DEP_2) | instskip(NEXT) | instid1(VALU_DEP_2)
	v_sub_f32_e32 v44, v44, v52
	v_sub_f32_e32 v48, v48, v50
	s_delay_alu instid0(VALU_DEP_2) | instskip(NEXT) | instid1(VALU_DEP_1)
	v_sub_f32_e32 v44, v44, v51
	v_dual_add_f32 v32, v32, v44 :: v_dual_add_f32 v44, v46, v47
	s_delay_alu instid0(VALU_DEP_1) | instskip(NEXT) | instid1(VALU_DEP_2)
	v_add_f32_e32 v32, v48, v32
	v_sub_f32_e32 v48, v44, v46
	s_delay_alu instid0(VALU_DEP_2) | instskip(NEXT) | instid1(VALU_DEP_2)
	v_add_f32_e32 v32, v52, v32
	v_sub_f32_e32 v47, v47, v48
	s_delay_alu instid0(VALU_DEP_2) | instskip(NEXT) | instid1(VALU_DEP_1)
	v_mul_f32_e32 v32, v46, v32
	v_add_f32_e32 v32, v47, v32
	s_delay_alu instid0(VALU_DEP_1) | instskip(NEXT) | instid1(VALU_DEP_1)
	v_add_f32_e32 v46, v44, v32
	v_ldexp_f32 v47, v46, -2
	s_delay_alu instid0(VALU_DEP_1) | instskip(NEXT) | instid1(VALU_DEP_1)
	v_dual_sub_f32 v44, v46, v44 :: v_dual_sub_f32 v48, v45, v47
	v_sub_f32_e32 v32, v32, v44
	s_delay_alu instid0(VALU_DEP_2) | instskip(NEXT) | instid1(VALU_DEP_1)
	v_sub_f32_e32 v45, v45, v48
	v_sub_f32_e32 v44, v45, v47
	s_delay_alu instid0(VALU_DEP_1) | instskip(NEXT) | instid1(VALU_DEP_4)
	v_add_f32_e32 v30, v30, v44
	v_ldexp_f32 v32, v32, -2
	s_delay_alu instid0(VALU_DEP_1) | instskip(NEXT) | instid1(VALU_DEP_1)
	v_dual_sub_f32 v30, v30, v32 :: v_dual_mul_f32 v32, v43, v43
	v_add_f32_e32 v30, v48, v30
	s_delay_alu instid0(VALU_DEP_2) | instskip(NEXT) | instid1(VALU_DEP_2)
	v_fmaak_f32 v44, s19, v32, 0xbf039337
	v_cndmask_b32_e32 v30, 0x7f800000, v30, vcc_lo
	s_delay_alu instid0(VALU_DEP_2) | instskip(NEXT) | instid1(VALU_DEP_2)
	v_fmaak_f32 v44, v32, v44, 0x3f93f425
	v_cndmask_b32_e64 v30, v30, |v40|, s4
	s_delay_alu instid0(VALU_DEP_1) | instskip(NEXT) | instid1(VALU_DEP_3)
	v_bfi_b32 v30, 0x7fffffff, v30, v40
	v_rcp_f32_e32 v40, v44
	v_nop
	v_fmaak_f32 v44, s18, v32, 0x3ec54587
	s_delay_alu instid0(VALU_DEP_3)
	v_fma_f32 v45, v30, v30, 1.0
	s_delay_alu instid0(TRANS32_DEP_1) | instid1(VALU_DEP_2)
	v_mul_f32_e32 v40, v44, v40
	s_delay_alu instid0(VALU_DEP_2) | instskip(SKIP_1) | instid1(VALU_DEP_3)
	v_mul_f32_e32 v44, 0x4f800000, v45
	v_cmp_gt_f32_e32 vcc_lo, 0xf800000, v45
	v_mul_f32_e32 v32, v32, v40
	s_delay_alu instid0(VALU_DEP_1) | instskip(NEXT) | instid1(VALU_DEP_1)
	v_dual_cndmask_b32 v40, v45, v44, vcc_lo :: v_dual_fma_f32 v44, v32, v43, v43
	v_sqrt_f32_e32 v45, v40
	s_delay_alu instid0(VALU_DEP_1) | instskip(NEXT) | instid1(TRANS32_DEP_2)
	v_rcp_f32_e32 v46, v44
	v_dual_sub_f32 v47, v44, v43 :: v_dual_add_nc_u32 v48, -1, v45
	s_delay_alu instid0(VALU_DEP_1) | instskip(NEXT) | instid1(VALU_DEP_1)
	v_fma_f32 v49, -v48, v45, v40
	v_cmp_ge_f32_e64 s4, 0, v49
	s_delay_alu instid0(VALU_DEP_3) | instskip(NEXT) | instid1(TRANS32_DEP_1)
	v_fma_f32 v32, v32, v43, -v47
	v_fma_f32 v43, v44, -v46, 1.0
	s_delay_alu instid0(VALU_DEP_1) | instskip(NEXT) | instid1(VALU_DEP_1)
	v_dual_add_nc_u32 v47, 1, v45 :: v_dual_fma_f32 v32, v32, -v46, v43
	v_dual_fma_f32 v43, -v47, v45, v40 :: v_dual_cndmask_b32 v45, v45, v48, s4
	s_delay_alu instid0(VALU_DEP_2) | instskip(NEXT) | instid1(VALU_DEP_2)
	v_fma_f32 v32, v32, -v46, -v46
	v_cmp_lt_f32_e64 s4, 0, v43
	s_delay_alu instid0(VALU_DEP_1) | instskip(SKIP_1) | instid1(VALU_DEP_1)
	v_cndmask_b32_e64 v43, v45, v47, s4
	v_cmp_eq_u32_e64 s4, 0, v4
	v_cndmask_b32_e64 v4, v32, v44, s4
	s_delay_alu instid0(VALU_DEP_3) | instskip(NEXT) | instid1(VALU_DEP_2)
	v_mul_f32_e32 v32, 0x37800000, v43
	v_xor3_b32 v4, v42, v4, v41
	s_delay_alu instid0(VALU_DEP_2) | instskip(SKIP_1) | instid1(VALU_DEP_3)
	v_cndmask_b32_e32 v32, v43, v32, vcc_lo
	v_cmp_class_f32_e64 vcc_lo, v40, 0x260
	v_fma_f32 v41, v4, v4, 1.0
	s_delay_alu instid0(VALU_DEP_1) | instskip(NEXT) | instid1(VALU_DEP_1)
	v_dual_cndmask_b32 v32, v32, v40, vcc_lo :: v_dual_mul_f32 v40, v30, v41
	v_mul_f32_e32 v32, v32, v41
	s_delay_alu instid0(VALU_DEP_2) | instskip(NEXT) | instid1(VALU_DEP_2)
	v_fma_f32 v41, v30, v40, 1.0
	v_mul_f32_e32 v30, v30, v32
	s_delay_alu instid0(VALU_DEP_2) | instskip(NEXT) | instid1(VALU_DEP_2)
	v_div_scale_f32 v40, null, v41, v41, v4
	v_div_scale_f32 v32, null, v41, v41, v30
	v_div_scale_f32 v46, vcc_lo, v30, v41, v30
	s_delay_alu instid0(VALU_DEP_3) | instskip(NEXT) | instid1(VALU_DEP_2)
	v_rcp_f32_e32 v43, v40
	v_rcp_f32_e32 v42, v32
	s_delay_alu instid0(TRANS32_DEP_2) | instskip(NEXT) | instid1(TRANS32_DEP_1)
	v_fma_f32 v45, -v40, v43, 1.0
	v_fma_f32 v44, -v32, v42, 1.0
	s_delay_alu instid0(VALU_DEP_1) | instskip(SKIP_1) | instid1(VALU_DEP_1)
	v_dual_fmac_f32 v43, v45, v43 :: v_dual_fmac_f32 v42, v44, v42
	v_div_scale_f32 v44, s4, v4, v41, v4
	v_dual_mul_f32 v45, v46, v42 :: v_dual_mul_f32 v47, v44, v43
	s_delay_alu instid0(VALU_DEP_1) | instskip(NEXT) | instid1(VALU_DEP_2)
	v_fma_f32 v48, -v32, v45, v46
	v_fma_f32 v49, -v40, v47, v44
	s_delay_alu instid0(VALU_DEP_1) | instskip(NEXT) | instid1(VALU_DEP_1)
	v_dual_fmac_f32 v45, v48, v42 :: v_dual_fmac_f32 v47, v49, v43
	v_fma_f32 v32, -v32, v45, v46
	s_delay_alu instid0(VALU_DEP_2) | instskip(NEXT) | instid1(VALU_DEP_2)
	v_fma_f32 v40, -v40, v47, v44
	v_div_fmas_f32 v32, v32, v42, v45
	s_mov_b32 vcc_lo, s4
	s_delay_alu instid0(VALU_DEP_2) | instskip(NEXT) | instid1(VALU_DEP_2)
	v_div_fmas_f32 v42, v40, v43, v47
	v_div_fixup_f32 v40, v32, v41, v30
	s_delay_alu instid0(VALU_DEP_2)
	v_div_fixup_f32 v41, v42, v41, v4
                                        ; implicit-def: $vgpr42
.LBB156_291:                            ;   in Loop: Header=BB156_161 Depth=1
	s_and_not1_saveexec_b32 s25, s25
	s_cbranch_execz .LBB156_312
; %bb.292:                              ;   in Loop: Header=BB156_161 Depth=1
	s_delay_alu instid0(VALU_DEP_1) | instskip(SKIP_1) | instid1(SALU_CYCLE_1)
	v_cmp_ngt_f32_e64 s26, 0x48000000, |v41|
                                        ; implicit-def: $vgpr32
                                        ; implicit-def: $vgpr30
	s_and_saveexec_b32 s4, s26
	s_xor_b32 s27, exec_lo, s4
	s_cbranch_execz .LBB156_301
; %bb.293:                              ;   in Loop: Header=BB156_161 Depth=1
	v_and_or_b32 v4, v42, s16, 0x800000
	v_dual_mov_b32 v55, v5 :: v_dual_lshrrev_b32 v30, 23, v42
	v_mov_b32_e32 v57, v5
	s_delay_alu instid0(VALU_DEP_3) | instskip(NEXT) | instid1(VALU_DEP_3)
	v_mul_u64_e32 v[44:45], s[14:15], v[4:5]
	v_dual_mov_b32 v47, v5 :: v_dual_add_nc_u32 v30, 0xffffff88, v30
	s_delay_alu instid0(VALU_DEP_1) | instskip(SKIP_1) | instid1(VALU_DEP_1)
	v_cmp_lt_u32_e32 vcc_lo, 63, v30
	v_cndmask_b32_e64 v32, 0, 0xffffffc0, vcc_lo
	v_add_nc_u32_e32 v30, v32, v30
	s_delay_alu instid0(VALU_DEP_1) | instskip(NEXT) | instid1(VALU_DEP_1)
	v_cmp_lt_u32_e64 s4, 31, v30
	v_cndmask_b32_e64 v32, 0, 0xffffffe0, s4
	v_mov_b32_e32 v46, v45
	s_delay_alu instid0(VALU_DEP_1) | instskip(NEXT) | instid1(VALU_DEP_1)
	v_mad_nc_u64_u32 v[46:47], 0x3c439041, v4, v[46:47]
	v_dual_mov_b32 v49, v5 :: v_dual_mov_b32 v48, v47
	s_delay_alu instid0(VALU_DEP_1) | instskip(NEXT) | instid1(VALU_DEP_1)
	v_mad_nc_u64_u32 v[48:49], 0xdb629599, v4, v[48:49]
	v_dual_mov_b32 v51, v5 :: v_dual_mov_b32 v50, v49
	;; [unrolled: 3-line block ×3, first 2 shown]
	s_delay_alu instid0(VALU_DEP_1) | instskip(NEXT) | instid1(VALU_DEP_1)
	v_mad_nc_u64_u32 v[52:53], 0xfc2757d1, v4, v[52:53]
	v_dual_mov_b32 v54, v53 :: v_dual_cndmask_b32 v47, v52, v48
	s_delay_alu instid0(VALU_DEP_1) | instskip(NEXT) | instid1(VALU_DEP_1)
	v_mad_nc_u64_u32 v[54:55], 0x4e441529, v4, v[54:55]
	v_mov_b32_e32 v56, v55
	s_delay_alu instid0(VALU_DEP_1) | instskip(SKIP_1) | instid1(VALU_DEP_4)
	v_mad_nc_u64_u32 v[56:57], 0xa2f9836e, v4, v[56:57]
	v_add_nc_u32_e32 v4, v32, v30
	v_cndmask_b32_e32 v32, v54, v50, vcc_lo
	s_delay_alu instid0(VALU_DEP_2) | instskip(NEXT) | instid1(VALU_DEP_1)
	v_cmp_lt_u32_e64 s5, 31, v4
	v_cndmask_b32_e64 v30, 0, 0xffffffe0, s5
	v_dual_cndmask_b32 v43, v56, v52, vcc_lo :: v_dual_cndmask_b32 v45, v57, v54, vcc_lo
	s_delay_alu instid0(VALU_DEP_2) | instskip(NEXT) | instid1(VALU_DEP_2)
	v_add_nc_u32_e32 v4, v30, v4
	v_dual_cndmask_b32 v30, v50, v46, vcc_lo :: v_dual_cndmask_b32 v46, v43, v32, s4
	s_delay_alu instid0(VALU_DEP_3) | instskip(NEXT) | instid1(VALU_DEP_3)
	v_cndmask_b32_e64 v43, v45, v43, s4
	v_dual_cndmask_b32 v32, v32, v47, s4 :: v_dual_sub_nc_u32 v45, 32, v4
	s_delay_alu instid0(VALU_DEP_3) | instskip(NEXT) | instid1(VALU_DEP_2)
	v_cndmask_b32_e64 v47, v47, v30, s4
	v_dual_cndmask_b32 v43, v43, v46, s5 :: v_dual_cndmask_b32 v46, v46, v32, s5
	s_delay_alu instid0(VALU_DEP_2) | instskip(NEXT) | instid1(VALU_DEP_2)
	v_cndmask_b32_e64 v32, v32, v47, s5
	v_alignbit_b32 v49, v43, v46, v45
	v_cndmask_b32_e32 v44, v48, v44, vcc_lo
	v_cmp_eq_u32_e32 vcc_lo, 0, v4
	s_delay_alu instid0(VALU_DEP_4) | instskip(NEXT) | instid1(VALU_DEP_3)
	v_alignbit_b32 v48, v46, v32, v45
	v_dual_cndmask_b32 v4, v49, v43, vcc_lo :: v_dual_cndmask_b32 v30, v30, v44, s4
	s_delay_alu instid0(VALU_DEP_2) | instskip(NEXT) | instid1(VALU_DEP_2)
	v_cndmask_b32_e32 v43, v48, v46, vcc_lo
	v_bfe_u32 v44, v4, 29, 1
	s_delay_alu instid0(VALU_DEP_3) | instskip(NEXT) | instid1(VALU_DEP_3)
	v_cndmask_b32_e64 v30, v47, v30, s5
	v_alignbit_b32 v46, v4, v43, 30
	s_delay_alu instid0(VALU_DEP_3) | instskip(NEXT) | instid1(VALU_DEP_3)
	v_sub_nc_u32_e32 v47, 0, v44
	v_alignbit_b32 v45, v32, v30, v45
	s_delay_alu instid0(VALU_DEP_1) | instskip(NEXT) | instid1(VALU_DEP_1)
	v_dual_cndmask_b32 v32, v45, v32, vcc_lo :: v_dual_bitop2_b32 v46, v46, v47 bitop3:0x14
	v_clz_i32_u32_e32 v45, v46
	s_delay_alu instid0(VALU_DEP_2) | instskip(SKIP_1) | instid1(VALU_DEP_3)
	v_alignbit_b32 v43, v43, v32, 30
	v_alignbit_b32 v30, v32, v30, 30
	v_min_u32_e32 v45, 32, v45
	s_delay_alu instid0(VALU_DEP_3) | instskip(NEXT) | instid1(VALU_DEP_3)
	v_xor_b32_e32 v32, v43, v47
	v_dual_lshrrev_b32 v47, 29, v4 :: v_dual_bitop2_b32 v30, v30, v47 bitop3:0x14
	s_delay_alu instid0(VALU_DEP_3) | instskip(SKIP_1) | instid1(VALU_DEP_2)
	v_dual_lshrrev_b32 v4, 30, v4 :: v_dual_sub_nc_u32 v43, 31, v45
	v_lshlrev_b32_e32 v48, 23, v45
	v_alignbit_b32 v46, v46, v32, v43
	s_delay_alu instid0(VALU_DEP_4) | instskip(SKIP_1) | instid1(VALU_DEP_2)
	v_alignbit_b32 v30, v32, v30, v43
	v_lshlrev_b32_e32 v32, 31, v47
	v_alignbit_b32 v43, v46, v30, 9
	s_delay_alu instid0(VALU_DEP_2) | instskip(SKIP_1) | instid1(VALU_DEP_3)
	v_dual_lshrrev_b32 v46, 9, v46 :: v_dual_bitop2_b32 v47, 0.5, v32 bitop3:0x54
	v_or_b32_e32 v32, 0x33000000, v32
	v_clz_i32_u32_e32 v49, v43
	s_delay_alu instid0(VALU_DEP_3) | instskip(NEXT) | instid1(VALU_DEP_2)
	v_sub_nc_u32_e32 v47, v47, v48
	v_min_u32_e32 v48, 32, v49
	s_delay_alu instid0(VALU_DEP_1) | instskip(NEXT) | instid1(VALU_DEP_1)
	v_add_lshl_u32 v45, v48, v45, 23
	v_dual_sub_nc_u32 v32, v32, v45 :: v_dual_bitop2_b32 v46, v46, v47 bitop3:0x54
	v_not_b32_e32 v47, v48
	s_delay_alu instid0(VALU_DEP_1) | instskip(NEXT) | instid1(VALU_DEP_1)
	v_alignbit_b32 v30, v43, v30, v47
	v_lshrrev_b32_e32 v30, 9, v30
	s_delay_alu instid0(VALU_DEP_4) | instskip(NEXT) | instid1(VALU_DEP_2)
	v_mul_f32_e32 v49, 0x3fc90fda, v46
	v_or_b32_e32 v30, v32, v30
	s_delay_alu instid0(VALU_DEP_2) | instskip(NEXT) | instid1(VALU_DEP_1)
	v_fma_f32 v43, 0x3fc90fda, v46, -v49
	v_dual_fmac_f32 v43, 0x33a22168, v46 :: v_dual_add_nc_u32 v32, v44, v4
	s_delay_alu instid0(VALU_DEP_1) | instskip(NEXT) | instid1(VALU_DEP_1)
	v_fmac_f32_e32 v43, 0x3fc90fda, v30
	v_add_f32_e32 v30, v49, v43
	s_and_not1_saveexec_b32 s4, s27
	s_branch .LBB156_302
.LBB156_294:                            ;   in Loop: Header=BB156_161 Depth=1
	s_and_not1_saveexec_b32 s23, s23
	s_cbranch_execz .LBB156_316
.LBB156_295:                            ;   in Loop: Header=BB156_161 Depth=1
	s_delay_alu instid0(VALU_DEP_1) | instskip(SKIP_1) | instid1(VALU_DEP_1)
	v_and_b32_e32 v4, 0x7fffff, v40
	s_mov_b32 s4, exec_lo
	v_cmpx_ne_u32_e32 0, v4
	s_xor_b32 s4, exec_lo, s4
; %bb.296:                              ;   in Loop: Header=BB156_161 Depth=1
	v_mul_f32_e32 v4, v41, v40
	v_cmp_eq_f32_e32 vcc_lo, 0, v41
	s_delay_alu instid0(VALU_DEP_2)
	v_cndmask_b32_e32 v41, v4, v41, vcc_lo
; %bb.297:                              ;   in Loop: Header=BB156_161 Depth=1
	s_and_not1_saveexec_b32 s24, s4
	s_cbranch_execz .LBB156_324
; %bb.298:                              ;   in Loop: Header=BB156_161 Depth=1
	s_mov_b32 s25, exec_lo
	s_delay_alu instid0(VALU_DEP_1)
	v_cmpx_neq_f32_e64 0x7f800000, |v41|
	s_cbranch_execz .LBB156_323
; %bb.299:                              ;   in Loop: Header=BB156_161 Depth=1
	v_and_b32_e32 v30, 0x7fffffff, v41
	v_cmp_ngt_f32_e64 s26, 0x48000000, |v41|
                                        ; implicit-def: $vgpr42
                                        ; implicit-def: $vgpr32
	s_and_saveexec_b32 s4, s26
	s_delay_alu instid0(SALU_CYCLE_1)
	s_xor_b32 s27, exec_lo, s4
	s_cbranch_execz .LBB156_305
; %bb.300:                              ;   in Loop: Header=BB156_161 Depth=1
	v_and_or_b32 v4, v30, s16, 0x800000
	v_dual_mov_b32 v53, v5 :: v_dual_lshrrev_b32 v32, 23, v30
	v_mov_b32_e32 v55, v5
	s_delay_alu instid0(VALU_DEP_3) | instskip(NEXT) | instid1(VALU_DEP_1)
	v_mul_u64_e32 v[42:43], s[14:15], v[4:5]
	v_dual_mov_b32 v45, v5 :: v_dual_mov_b32 v44, v43
	s_delay_alu instid0(VALU_DEP_1) | instskip(NEXT) | instid1(VALU_DEP_1)
	v_mad_nc_u64_u32 v[44:45], 0x3c439041, v4, v[44:45]
	v_dual_mov_b32 v47, v5 :: v_dual_mov_b32 v46, v45
	s_delay_alu instid0(VALU_DEP_1) | instskip(NEXT) | instid1(VALU_DEP_1)
	v_mad_nc_u64_u32 v[46:47], 0xdb629599, v4, v[46:47]
	;; [unrolled: 3-line block ×4, first 2 shown]
	v_mov_b32_e32 v52, v51
	s_delay_alu instid0(VALU_DEP_1) | instskip(NEXT) | instid1(VALU_DEP_1)
	v_mad_nc_u64_u32 v[52:53], 0x4e441529, v4, v[52:53]
	v_mov_b32_e32 v54, v53
	s_delay_alu instid0(VALU_DEP_1) | instskip(SKIP_1) | instid1(VALU_DEP_1)
	v_mad_nc_u64_u32 v[54:55], 0xa2f9836e, v4, v[54:55]
	v_add_nc_u32_e32 v32, 0xffffff88, v32
	v_cmp_lt_u32_e32 vcc_lo, 63, v32
	v_cndmask_b32_e64 v43, 0, 0xffffffc0, vcc_lo
	s_delay_alu instid0(VALU_DEP_4) | instskip(SKIP_1) | instid1(VALU_DEP_3)
	v_cndmask_b32_e32 v45, v54, v50, vcc_lo
	v_cndmask_b32_e32 v49, v50, v46, vcc_lo
	v_dual_cndmask_b32 v42, v46, v42, vcc_lo :: v_dual_add_nc_u32 v32, v43, v32
	s_delay_alu instid0(VALU_DEP_1) | instskip(SKIP_1) | instid1(VALU_DEP_2)
	v_cmp_lt_u32_e64 s4, 31, v32
	v_cndmask_b32_e32 v47, v55, v52, vcc_lo
	v_cndmask_b32_e64 v43, 0, 0xffffffe0, s4
	s_delay_alu instid0(VALU_DEP_1) | instskip(SKIP_1) | instid1(VALU_DEP_2)
	v_add_nc_u32_e32 v4, v43, v32
	v_cndmask_b32_e32 v43, v52, v48, vcc_lo
	v_cmp_lt_u32_e64 s5, 31, v4
	s_delay_alu instid0(VALU_DEP_1) | instskip(NEXT) | instid1(VALU_DEP_1)
	v_cndmask_b32_e64 v32, 0, 0xffffffe0, s5
	v_add_nc_u32_e32 v4, v32, v4
	s_delay_alu instid0(VALU_DEP_4) | instskip(SKIP_1) | instid1(VALU_DEP_3)
	v_dual_cndmask_b32 v32, v48, v44, vcc_lo :: v_dual_cndmask_b32 v44, v45, v43, s4
	v_cndmask_b32_e64 v45, v47, v45, s4
	v_dual_cndmask_b32 v43, v43, v49, s4 :: v_dual_sub_nc_u32 v47, 32, v4
	v_cmp_eq_u32_e32 vcc_lo, 0, v4
	s_delay_alu instid0(VALU_DEP_3) | instskip(NEXT) | instid1(VALU_DEP_3)
	v_cndmask_b32_e64 v45, v45, v44, s5
	v_dual_cndmask_b32 v48, v49, v32, s4 :: v_dual_cndmask_b32 v44, v44, v43, s5
	s_delay_alu instid0(VALU_DEP_1) | instskip(NEXT) | instid1(VALU_DEP_1)
	v_alignbit_b32 v49, v45, v44, v47
	v_dual_cndmask_b32 v43, v43, v48, s5 :: v_dual_cndmask_b32 v4, v49, v45, vcc_lo
	s_delay_alu instid0(VALU_DEP_1) | instskip(NEXT) | instid1(VALU_DEP_1)
	v_alignbit_b32 v46, v44, v43, v47
	v_dual_cndmask_b32 v32, v32, v42, s4 :: v_dual_cndmask_b32 v42, v46, v44, vcc_lo
	s_delay_alu instid0(VALU_DEP_3) | instskip(NEXT) | instid1(VALU_DEP_2)
	v_bfe_u32 v44, v4, 29, 1
	v_alignbit_b32 v45, v4, v42, 30
	s_delay_alu instid0(VALU_DEP_2) | instskip(NEXT) | instid1(VALU_DEP_1)
	v_sub_nc_u32_e32 v46, 0, v44
	v_dual_cndmask_b32 v32, v48, v32, s5 :: v_dual_bitop2_b32 v45, v45, v46 bitop3:0x14
	s_delay_alu instid0(VALU_DEP_1) | instskip(NEXT) | instid1(VALU_DEP_1)
	v_alignbit_b32 v47, v43, v32, v47
	v_cndmask_b32_e32 v43, v47, v43, vcc_lo
	s_delay_alu instid0(VALU_DEP_3) | instskip(NEXT) | instid1(VALU_DEP_2)
	v_clz_i32_u32_e32 v47, v45
	v_alignbit_b32 v42, v42, v43, 30
	s_delay_alu instid0(VALU_DEP_2) | instskip(SKIP_1) | instid1(VALU_DEP_2)
	v_min_u32_e32 v47, 32, v47
	v_alignbit_b32 v32, v43, v32, 30
	v_dual_sub_nc_u32 v43, 31, v47 :: v_dual_bitop2_b32 v42, v42, v46 bitop3:0x14
	s_delay_alu instid0(VALU_DEP_2) | instskip(SKIP_1) | instid1(VALU_DEP_3)
	v_dual_lshrrev_b32 v46, 29, v4 :: v_dual_bitop2_b32 v32, v32, v46 bitop3:0x14
	v_lshlrev_b32_e32 v48, 23, v47
	v_alignbit_b32 v45, v45, v42, v43
	s_delay_alu instid0(VALU_DEP_3) | instskip(NEXT) | instid1(VALU_DEP_4)
	v_alignbit_b32 v32, v42, v32, v43
	v_lshlrev_b32_e32 v42, 31, v46
	s_delay_alu instid0(VALU_DEP_2) | instskip(NEXT) | instid1(VALU_DEP_2)
	v_alignbit_b32 v43, v45, v32, 9
	v_dual_lshrrev_b32 v45, 9, v45 :: v_dual_bitop2_b32 v46, 0.5, v42 bitop3:0x54
	v_or_b32_e32 v42, 0x33000000, v42
	s_delay_alu instid0(VALU_DEP_3) | instskip(NEXT) | instid1(VALU_DEP_3)
	v_clz_i32_u32_e32 v49, v43
	v_sub_nc_u32_e32 v46, v46, v48
	s_delay_alu instid0(VALU_DEP_2) | instskip(NEXT) | instid1(VALU_DEP_1)
	v_min_u32_e32 v48, 32, v49
	v_add_lshl_u32 v47, v48, v47, 23
	s_delay_alu instid0(VALU_DEP_3) | instskip(SKIP_1) | instid1(VALU_DEP_2)
	v_or_b32_e32 v45, v45, v46
	v_not_b32_e32 v46, v48
	v_dual_mul_f32 v49, 0x3fc90fda, v45 :: v_dual_sub_nc_u32 v42, v42, v47
	s_delay_alu instid0(VALU_DEP_2) | instskip(NEXT) | instid1(VALU_DEP_2)
	v_alignbit_b32 v32, v43, v32, v46
	v_fma_f32 v43, 0x3fc90fda, v45, -v49
	s_delay_alu instid0(VALU_DEP_1) | instskip(NEXT) | instid1(VALU_DEP_1)
	v_dual_fmac_f32 v43, 0x33a22168, v45 :: v_dual_lshrrev_b32 v32, 9, v32
	v_or_b32_e32 v32, v42, v32
	s_delay_alu instid0(VALU_DEP_1) | instskip(NEXT) | instid1(VALU_DEP_1)
	v_fmac_f32_e32 v43, 0x3fc90fda, v32
	v_dual_lshrrev_b32 v4, 30, v4 :: v_dual_add_f32 v32, v49, v43
	s_delay_alu instid0(VALU_DEP_1)
	v_add_nc_u32_e32 v42, v44, v4
	s_and_not1_saveexec_b32 s4, s27
	s_branch .LBB156_306
.LBB156_301:                            ;   in Loop: Header=BB156_161 Depth=1
	s_and_not1_saveexec_b32 s4, s27
.LBB156_302:                            ;   in Loop: Header=BB156_161 Depth=1
	v_mul_f32_e64 v4, 0x3f22f983, |v41|
	s_delay_alu instid0(VALU_DEP_1) | instskip(NEXT) | instid1(VALU_DEP_1)
	v_rndne_f32_e32 v4, v4
	v_fma_f32 v30, 0xbfc90fda, v4, |v41|
	v_cvt_i32_f32_e32 v32, v4
	s_delay_alu instid0(VALU_DEP_2) | instskip(NEXT) | instid1(VALU_DEP_1)
	v_fmac_f32_e32 v30, 0xb3a22168, v4
	v_fmac_f32_e32 v30, 0xa7c234c4, v4
; %bb.303:                              ;   in Loop: Header=BB156_161 Depth=1
	s_or_b32 exec_lo, exec_lo, s4
                                        ; implicit-def: $vgpr43
                                        ; implicit-def: $vgpr4
	s_and_saveexec_b32 s4, s26
	s_delay_alu instid0(SALU_CYCLE_1)
	s_xor_b32 s26, exec_lo, s4
	s_cbranch_execz .LBB156_309
; %bb.304:                              ;   in Loop: Header=BB156_161 Depth=1
	v_and_or_b32 v4, v42, s16, 0x800000
	v_dual_lshrrev_b32 v43, 23, v42 :: v_dual_mov_b32 v55, v5
	s_delay_alu instid0(VALU_DEP_2) | instskip(SKIP_1) | instid1(VALU_DEP_3)
	v_mul_u64_e32 v[44:45], s[14:15], v[4:5]
	v_mov_b32_e32 v47, v5
	v_add_nc_u32_e32 v43, 0xffffff88, v43
	s_delay_alu instid0(VALU_DEP_1) | instskip(NEXT) | instid1(VALU_DEP_4)
	v_cmp_lt_u32_e32 vcc_lo, 63, v43
	v_mov_b32_e32 v46, v45
	v_cndmask_b32_e64 v45, 0, 0xffffffc0, vcc_lo
	s_delay_alu instid0(VALU_DEP_2) | instskip(NEXT) | instid1(VALU_DEP_1)
	v_mad_nc_u64_u32 v[46:47], 0x3c439041, v4, v[46:47]
	v_dual_mov_b32 v49, v5 :: v_dual_mov_b32 v48, v47
	s_delay_alu instid0(VALU_DEP_1) | instskip(NEXT) | instid1(VALU_DEP_1)
	v_mad_nc_u64_u32 v[48:49], 0xdb629599, v4, v[48:49]
	v_dual_mov_b32 v51, v5 :: v_dual_mov_b32 v50, v49
	s_delay_alu instid0(VALU_DEP_2) | instskip(NEXT) | instid1(VALU_DEP_2)
	v_cndmask_b32_e32 v44, v48, v44, vcc_lo
	v_mad_nc_u64_u32 v[50:51], 0xf534ddc0, v4, v[50:51]
	s_delay_alu instid0(VALU_DEP_1) | instskip(NEXT) | instid1(VALU_DEP_1)
	v_dual_mov_b32 v53, v5 :: v_dual_mov_b32 v52, v51
	v_mad_nc_u64_u32 v[52:53], 0xfc2757d1, v4, v[52:53]
	s_delay_alu instid0(VALU_DEP_1) | instskip(NEXT) | instid1(VALU_DEP_1)
	v_dual_mov_b32 v54, v53 :: v_dual_cndmask_b32 v51, v52, v48
	v_mad_nc_u64_u32 v[54:55], 0x4e441529, v4, v[54:55]
	v_add_nc_u32_e32 v43, v45, v43
	s_delay_alu instid0(VALU_DEP_2) | instskip(NEXT) | instid1(VALU_DEP_2)
	v_dual_mov_b32 v57, v5 :: v_dual_mov_b32 v56, v55
	v_cmp_lt_u32_e64 s4, 31, v43
	s_delay_alu instid0(VALU_DEP_2) | instskip(NEXT) | instid1(VALU_DEP_2)
	v_mad_nc_u64_u32 v[56:57], 0xa2f9836e, v4, v[56:57]
	v_cndmask_b32_e64 v45, 0, 0xffffffe0, s4
	s_delay_alu instid0(VALU_DEP_1) | instskip(NEXT) | instid1(VALU_DEP_3)
	v_dual_cndmask_b32 v45, v54, v50 :: v_dual_add_nc_u32 v4, v45, v43
	v_cndmask_b32_e32 v47, v56, v52, vcc_lo
	s_delay_alu instid0(VALU_DEP_2) | instskip(SKIP_1) | instid1(VALU_DEP_2)
	v_cmp_lt_u32_e64 s5, 31, v4
	v_cndmask_b32_e32 v49, v57, v54, vcc_lo
	v_cndmask_b32_e64 v43, 0, 0xffffffe0, s5
	s_delay_alu instid0(VALU_DEP_1) | instskip(NEXT) | instid1(VALU_DEP_3)
	v_dual_cndmask_b32 v43, v50, v46 :: v_dual_add_nc_u32 v4, v43, v4
	v_dual_cndmask_b32 v46, v47, v45, s4 :: v_dual_cndmask_b32 v47, v49, v47, s4
	s_delay_alu instid0(VALU_DEP_2) | instskip(NEXT) | instid1(VALU_DEP_3)
	v_dual_cndmask_b32 v45, v45, v51, s4 :: v_dual_sub_nc_u32 v49, 32, v4
	v_cndmask_b32_e64 v50, v51, v43, s4
	v_cmp_eq_u32_e32 vcc_lo, 0, v4
	s_delay_alu instid0(VALU_DEP_3) | instskip(NEXT) | instid1(VALU_DEP_1)
	v_dual_cndmask_b32 v47, v47, v46, s5 :: v_dual_cndmask_b32 v46, v46, v45, s5
	v_alignbit_b32 v51, v47, v46, v49
	s_delay_alu instid0(VALU_DEP_1) | instskip(NEXT) | instid1(VALU_DEP_1)
	v_dual_cndmask_b32 v45, v45, v50, s5 :: v_dual_cndmask_b32 v4, v51, v47, vcc_lo
	v_alignbit_b32 v48, v46, v45, v49
	s_delay_alu instid0(VALU_DEP_1) | instskip(NEXT) | instid1(VALU_DEP_3)
	v_dual_cndmask_b32 v43, v43, v44, s4 :: v_dual_cndmask_b32 v44, v48, v46, vcc_lo
	v_bfe_u32 v46, v4, 29, 1
	s_delay_alu instid0(VALU_DEP_2) | instskip(NEXT) | instid1(VALU_DEP_3)
	v_cndmask_b32_e64 v43, v50, v43, s5
	v_alignbit_b32 v47, v4, v44, 30
	s_delay_alu instid0(VALU_DEP_3) | instskip(NEXT) | instid1(VALU_DEP_3)
	v_sub_nc_u32_e32 v48, 0, v46
	v_alignbit_b32 v49, v45, v43, v49
	s_delay_alu instid0(VALU_DEP_1) | instskip(NEXT) | instid1(VALU_DEP_1)
	v_dual_cndmask_b32 v45, v49, v45, vcc_lo :: v_dual_bitop2_b32 v47, v47, v48 bitop3:0x14
	v_clz_i32_u32_e32 v49, v47
	s_delay_alu instid0(VALU_DEP_2) | instskip(SKIP_1) | instid1(VALU_DEP_3)
	v_alignbit_b32 v44, v44, v45, 30
	v_alignbit_b32 v43, v45, v43, 30
	v_min_u32_e32 v49, 32, v49
	s_delay_alu instid0(VALU_DEP_3) | instskip(NEXT) | instid1(VALU_DEP_3)
	v_xor_b32_e32 v44, v44, v48
	v_xor_b32_e32 v43, v43, v48
	s_delay_alu instid0(VALU_DEP_3) | instskip(SKIP_1) | instid1(VALU_DEP_1)
	v_dual_lshrrev_b32 v48, 29, v4 :: v_dual_lshlrev_b32 v50, 23, v49
	v_sub_nc_u32_e32 v45, 31, v49
	v_alignbit_b32 v47, v47, v44, v45
	s_delay_alu instid0(VALU_DEP_4) | instskip(NEXT) | instid1(VALU_DEP_4)
	v_alignbit_b32 v43, v44, v43, v45
	v_lshlrev_b32_e32 v44, 31, v48
	s_delay_alu instid0(VALU_DEP_2) | instskip(NEXT) | instid1(VALU_DEP_2)
	v_alignbit_b32 v45, v47, v43, 9
	v_dual_lshrrev_b32 v47, 9, v47 :: v_dual_bitop2_b32 v48, 0.5, v44 bitop3:0x54
	v_or_b32_e32 v44, 0x33000000, v44
	s_delay_alu instid0(VALU_DEP_3) | instskip(NEXT) | instid1(VALU_DEP_3)
	v_clz_i32_u32_e32 v51, v45
	v_sub_nc_u32_e32 v48, v48, v50
	s_delay_alu instid0(VALU_DEP_2) | instskip(NEXT) | instid1(VALU_DEP_1)
	v_min_u32_e32 v50, 32, v51
	v_add_lshl_u32 v49, v50, v49, 23
	s_delay_alu instid0(VALU_DEP_3) | instskip(SKIP_1) | instid1(VALU_DEP_2)
	v_or_b32_e32 v47, v47, v48
	v_not_b32_e32 v48, v50
	v_dual_mul_f32 v51, 0x3fc90fda, v47 :: v_dual_sub_nc_u32 v44, v44, v49
	s_delay_alu instid0(VALU_DEP_2) | instskip(NEXT) | instid1(VALU_DEP_2)
	v_alignbit_b32 v43, v45, v43, v48
	v_fma_f32 v45, 0x3fc90fda, v47, -v51
	s_delay_alu instid0(VALU_DEP_2) | instskip(NEXT) | instid1(VALU_DEP_2)
	v_lshrrev_b32_e32 v43, 9, v43
	v_fmac_f32_e32 v45, 0x33a22168, v47
	s_delay_alu instid0(VALU_DEP_2) | instskip(NEXT) | instid1(VALU_DEP_1)
	v_or_b32_e32 v43, v44, v43
	v_fmac_f32_e32 v45, 0x3fc90fda, v43
	s_delay_alu instid0(VALU_DEP_1) | instskip(NEXT) | instid1(VALU_DEP_1)
	v_dual_add_f32 v4, v51, v45 :: v_dual_lshrrev_b32 v43, 30, v4
	v_add_nc_u32_e32 v43, v46, v43
	s_and_not1_saveexec_b32 s4, s26
	s_cbranch_execnz .LBB156_310
	s_branch .LBB156_311
.LBB156_305:                            ;   in Loop: Header=BB156_161 Depth=1
	s_and_not1_saveexec_b32 s4, s27
.LBB156_306:                            ;   in Loop: Header=BB156_161 Depth=1
	v_mul_f32_e64 v4, 0x3f22f983, |v41|
	s_delay_alu instid0(VALU_DEP_1) | instskip(NEXT) | instid1(VALU_DEP_1)
	v_rndne_f32_e32 v4, v4
	v_fma_f32 v32, 0xbfc90fda, v4, |v41|
	v_cvt_i32_f32_e32 v42, v4
	s_delay_alu instid0(VALU_DEP_2) | instskip(NEXT) | instid1(VALU_DEP_1)
	v_fmac_f32_e32 v32, 0xb3a22168, v4
	v_fmac_f32_e32 v32, 0xa7c234c4, v4
; %bb.307:                              ;   in Loop: Header=BB156_161 Depth=1
	s_or_b32 exec_lo, exec_lo, s4
                                        ; implicit-def: $vgpr43
                                        ; implicit-def: $vgpr4
	s_and_saveexec_b32 s4, s26
	s_delay_alu instid0(SALU_CYCLE_1)
	s_xor_b32 s26, exec_lo, s4
	s_cbranch_execz .LBB156_320
; %bb.308:                              ;   in Loop: Header=BB156_161 Depth=1
	v_and_or_b32 v4, v30, s16, 0x800000
	v_dual_lshrrev_b32 v43, 23, v30 :: v_dual_mov_b32 v55, v5
	s_delay_alu instid0(VALU_DEP_2) | instskip(SKIP_1) | instid1(VALU_DEP_3)
	v_mul_u64_e32 v[44:45], s[14:15], v[4:5]
	v_mov_b32_e32 v47, v5
	v_add_nc_u32_e32 v43, 0xffffff88, v43
	s_delay_alu instid0(VALU_DEP_1) | instskip(NEXT) | instid1(VALU_DEP_4)
	v_cmp_lt_u32_e32 vcc_lo, 63, v43
	v_mov_b32_e32 v46, v45
	v_cndmask_b32_e64 v45, 0, 0xffffffc0, vcc_lo
	s_delay_alu instid0(VALU_DEP_2) | instskip(NEXT) | instid1(VALU_DEP_1)
	v_mad_nc_u64_u32 v[46:47], 0x3c439041, v4, v[46:47]
	v_dual_mov_b32 v49, v5 :: v_dual_mov_b32 v48, v47
	s_delay_alu instid0(VALU_DEP_1) | instskip(NEXT) | instid1(VALU_DEP_1)
	v_mad_nc_u64_u32 v[48:49], 0xdb629599, v4, v[48:49]
	v_dual_mov_b32 v51, v5 :: v_dual_mov_b32 v50, v49
	s_delay_alu instid0(VALU_DEP_2) | instskip(NEXT) | instid1(VALU_DEP_2)
	v_cndmask_b32_e32 v44, v48, v44, vcc_lo
	v_mad_nc_u64_u32 v[50:51], 0xf534ddc0, v4, v[50:51]
	s_delay_alu instid0(VALU_DEP_1) | instskip(NEXT) | instid1(VALU_DEP_1)
	v_dual_mov_b32 v53, v5 :: v_dual_mov_b32 v52, v51
	v_mad_nc_u64_u32 v[52:53], 0xfc2757d1, v4, v[52:53]
	s_delay_alu instid0(VALU_DEP_1) | instskip(NEXT) | instid1(VALU_DEP_1)
	v_dual_mov_b32 v54, v53 :: v_dual_cndmask_b32 v51, v52, v48
	v_mad_nc_u64_u32 v[54:55], 0x4e441529, v4, v[54:55]
	v_add_nc_u32_e32 v43, v45, v43
	s_delay_alu instid0(VALU_DEP_2) | instskip(NEXT) | instid1(VALU_DEP_2)
	v_dual_mov_b32 v57, v5 :: v_dual_mov_b32 v56, v55
	v_cmp_lt_u32_e64 s4, 31, v43
	s_delay_alu instid0(VALU_DEP_2) | instskip(NEXT) | instid1(VALU_DEP_2)
	v_mad_nc_u64_u32 v[56:57], 0xa2f9836e, v4, v[56:57]
	v_cndmask_b32_e64 v45, 0, 0xffffffe0, s4
	s_delay_alu instid0(VALU_DEP_1) | instskip(NEXT) | instid1(VALU_DEP_3)
	v_dual_cndmask_b32 v45, v54, v50 :: v_dual_add_nc_u32 v4, v45, v43
	v_cndmask_b32_e32 v47, v56, v52, vcc_lo
	s_delay_alu instid0(VALU_DEP_2) | instskip(SKIP_1) | instid1(VALU_DEP_2)
	v_cmp_lt_u32_e64 s5, 31, v4
	v_cndmask_b32_e32 v49, v57, v54, vcc_lo
	v_cndmask_b32_e64 v43, 0, 0xffffffe0, s5
	s_delay_alu instid0(VALU_DEP_1) | instskip(NEXT) | instid1(VALU_DEP_3)
	v_dual_cndmask_b32 v43, v50, v46 :: v_dual_add_nc_u32 v4, v43, v4
	v_dual_cndmask_b32 v46, v47, v45, s4 :: v_dual_cndmask_b32 v47, v49, v47, s4
	s_delay_alu instid0(VALU_DEP_2) | instskip(NEXT) | instid1(VALU_DEP_3)
	v_dual_cndmask_b32 v45, v45, v51, s4 :: v_dual_sub_nc_u32 v49, 32, v4
	v_cndmask_b32_e64 v50, v51, v43, s4
	v_cmp_eq_u32_e32 vcc_lo, 0, v4
	s_delay_alu instid0(VALU_DEP_3) | instskip(NEXT) | instid1(VALU_DEP_1)
	v_dual_cndmask_b32 v47, v47, v46, s5 :: v_dual_cndmask_b32 v46, v46, v45, s5
	v_alignbit_b32 v51, v47, v46, v49
	s_delay_alu instid0(VALU_DEP_1) | instskip(NEXT) | instid1(VALU_DEP_1)
	v_dual_cndmask_b32 v45, v45, v50, s5 :: v_dual_cndmask_b32 v4, v51, v47, vcc_lo
	v_alignbit_b32 v48, v46, v45, v49
	s_delay_alu instid0(VALU_DEP_1) | instskip(NEXT) | instid1(VALU_DEP_3)
	v_dual_cndmask_b32 v43, v43, v44, s4 :: v_dual_cndmask_b32 v44, v48, v46, vcc_lo
	v_bfe_u32 v46, v4, 29, 1
	s_delay_alu instid0(VALU_DEP_2) | instskip(NEXT) | instid1(VALU_DEP_3)
	v_cndmask_b32_e64 v43, v50, v43, s5
	v_alignbit_b32 v47, v4, v44, 30
	s_delay_alu instid0(VALU_DEP_3) | instskip(NEXT) | instid1(VALU_DEP_3)
	v_sub_nc_u32_e32 v48, 0, v46
	v_alignbit_b32 v49, v45, v43, v49
	s_delay_alu instid0(VALU_DEP_1) | instskip(NEXT) | instid1(VALU_DEP_1)
	v_dual_cndmask_b32 v45, v49, v45, vcc_lo :: v_dual_bitop2_b32 v47, v47, v48 bitop3:0x14
	v_clz_i32_u32_e32 v49, v47
	s_delay_alu instid0(VALU_DEP_2) | instskip(SKIP_1) | instid1(VALU_DEP_3)
	v_alignbit_b32 v44, v44, v45, 30
	v_alignbit_b32 v43, v45, v43, 30
	v_min_u32_e32 v49, 32, v49
	s_delay_alu instid0(VALU_DEP_3) | instskip(NEXT) | instid1(VALU_DEP_3)
	v_xor_b32_e32 v44, v44, v48
	v_xor_b32_e32 v43, v43, v48
	s_delay_alu instid0(VALU_DEP_3) | instskip(SKIP_1) | instid1(VALU_DEP_1)
	v_dual_lshrrev_b32 v48, 29, v4 :: v_dual_lshlrev_b32 v50, 23, v49
	v_sub_nc_u32_e32 v45, 31, v49
	v_alignbit_b32 v47, v47, v44, v45
	s_delay_alu instid0(VALU_DEP_4) | instskip(NEXT) | instid1(VALU_DEP_4)
	v_alignbit_b32 v43, v44, v43, v45
	v_lshlrev_b32_e32 v44, 31, v48
	s_delay_alu instid0(VALU_DEP_2) | instskip(NEXT) | instid1(VALU_DEP_2)
	v_alignbit_b32 v45, v47, v43, 9
	v_dual_lshrrev_b32 v47, 9, v47 :: v_dual_bitop2_b32 v48, 0.5, v44 bitop3:0x54
	v_or_b32_e32 v44, 0x33000000, v44
	s_delay_alu instid0(VALU_DEP_3) | instskip(NEXT) | instid1(VALU_DEP_3)
	v_clz_i32_u32_e32 v51, v45
	v_sub_nc_u32_e32 v48, v48, v50
	s_delay_alu instid0(VALU_DEP_2) | instskip(NEXT) | instid1(VALU_DEP_1)
	v_min_u32_e32 v50, 32, v51
	v_add_lshl_u32 v49, v50, v49, 23
	s_delay_alu instid0(VALU_DEP_3) | instskip(SKIP_1) | instid1(VALU_DEP_2)
	v_or_b32_e32 v47, v47, v48
	v_not_b32_e32 v48, v50
	v_dual_mul_f32 v51, 0x3fc90fda, v47 :: v_dual_sub_nc_u32 v44, v44, v49
	s_delay_alu instid0(VALU_DEP_2) | instskip(NEXT) | instid1(VALU_DEP_2)
	v_alignbit_b32 v43, v45, v43, v48
	v_fma_f32 v45, 0x3fc90fda, v47, -v51
	s_delay_alu instid0(VALU_DEP_2) | instskip(NEXT) | instid1(VALU_DEP_2)
	v_lshrrev_b32_e32 v43, 9, v43
	v_fmac_f32_e32 v45, 0x33a22168, v47
	s_delay_alu instid0(VALU_DEP_2) | instskip(NEXT) | instid1(VALU_DEP_1)
	v_or_b32_e32 v43, v44, v43
	v_fmac_f32_e32 v45, 0x3fc90fda, v43
	s_delay_alu instid0(VALU_DEP_1) | instskip(NEXT) | instid1(VALU_DEP_1)
	v_dual_add_f32 v4, v51, v45 :: v_dual_lshrrev_b32 v43, 30, v4
	v_add_nc_u32_e32 v43, v46, v43
	s_and_not1_saveexec_b32 s4, s26
	s_cbranch_execnz .LBB156_321
	s_branch .LBB156_322
.LBB156_309:                            ;   in Loop: Header=BB156_161 Depth=1
	s_and_not1_saveexec_b32 s4, s26
.LBB156_310:                            ;   in Loop: Header=BB156_161 Depth=1
	v_mul_f32_e64 v4, 0x3f22f983, |v41|
	s_delay_alu instid0(VALU_DEP_1) | instskip(NEXT) | instid1(VALU_DEP_1)
	v_rndne_f32_e32 v43, v4
	v_fma_f32 v4, 0xbfc90fda, v43, |v41|
	s_delay_alu instid0(VALU_DEP_1) | instskip(NEXT) | instid1(VALU_DEP_1)
	v_fmac_f32_e32 v4, 0xb3a22168, v43
	v_fmac_f32_e32 v4, 0xa7c234c4, v43
	v_cvt_i32_f32_e32 v43, v43
.LBB156_311:                            ;   in Loop: Header=BB156_161 Depth=1
	s_or_b32 exec_lo, exec_lo, s4
	v_dual_mul_f32 v44, v30, v30 :: v_dual_bitop2_b32 v45, 1, v32 bitop3:0x40
	v_mul_f32_e64 v46, 0xbfb8aa3b, |v40|
	s_delay_alu instid0(VALU_DEP_2) | instskip(SKIP_1) | instid1(VALU_DEP_3)
	v_fmaak_f32 v47, s21, v44, 0x3c0881c4
	v_lshlrev_b32_e32 v32, 30, v32
	v_fma_f32 v50, 0xbfb8aa3b, |v40|, -v46
	v_cmp_eq_u32_e32 vcc_lo, 0, v45
	s_delay_alu instid0(VALU_DEP_4)
	v_fmaak_f32 v47, v44, v47, 0xbe2aaa9d
	v_fmaak_f32 v48, s22, v44, 0xbab64f3b
	v_bitop3_b32 v32, v42, v32, 0x80000000 bitop3:0x78
	v_rndne_f32_e32 v42, v46
	v_fma_f32 v50, 0xb2a5705f, |v40|, v50
	v_mul_f32_e32 v47, v44, v47
	v_mul_f32_e32 v49, v4, v4
	v_fmaak_f32 v48, v44, v48, 0x3d2aabf7
	v_sub_f32_e32 v46, v46, v42
	v_cvt_i32_f32_e32 v42, v42
	s_delay_alu instid0(VALU_DEP_4) | instskip(NEXT) | instid1(VALU_DEP_4)
	v_dual_fmac_f32 v30, v30, v47 :: v_dual_fmaak_f32 v51, s21, v49, 0x3c0881c4
	v_fmaak_f32 v48, v44, v48, 0xbf000004
	v_fmaak_f32 v52, s22, v49, 0xbab64f3b
	v_add_f32_e32 v46, v46, v50
	s_delay_alu instid0(VALU_DEP_3) | instskip(SKIP_1) | instid1(VALU_DEP_3)
	v_fma_f32 v44, v44, v48, 1.0
	v_fmaak_f32 v51, v49, v51, 0xbe2aaa9d
	v_exp_f32_e32 v45, v46
	s_delay_alu instid0(VALU_DEP_2) | instskip(NEXT) | instid1(VALU_DEP_2)
	v_dual_cndmask_b32 v30, v44, v30, vcc_lo :: v_dual_bitop2_b32 v46, 1, v43 bitop3:0x40
	v_dual_fmaak_f32 v47, v49, v52, 0x3d2aabf7 :: v_dual_mul_f32 v48, v49, v51
	s_delay_alu instid0(VALU_DEP_2) | instskip(NEXT) | instid1(VALU_DEP_3)
	v_cmp_eq_u32_e32 vcc_lo, 0, v46
	v_xor3_b32 v30, v32, v30, v41
	s_delay_alu instid0(VALU_DEP_3) | instskip(NEXT) | instid1(VALU_DEP_4)
	v_fmaak_f32 v44, v49, v47, 0xbf000004
	v_fmac_f32_e32 v4, v4, v48
	v_ldexp_f32 v32, v45, v42
	s_delay_alu instid0(VALU_DEP_4) | instskip(NEXT) | instid1(VALU_DEP_4)
	v_dual_mul_f32 v30, 4.0, v30 :: v_dual_lshlrev_b32 v41, 30, v43
	v_fma_f32 v44, v49, v44, 1.0
	s_delay_alu instid0(VALU_DEP_1) | instskip(SKIP_1) | instid1(VALU_DEP_2)
	v_cndmask_b32_e64 v4, -v4, v44, vcc_lo
	v_cmp_nlt_f32_e64 vcc_lo, 0x42ce8ed0, |v40|
	v_bitop3_b32 v4, v41, v4, 0x80000000 bitop3:0x6c
	v_cndmask_b32_e32 v32, 0, v32, vcc_lo
	v_cmp_ngt_f32_e64 vcc_lo, 0xc2b17218, |v40|
	v_bfi_b32 v40, 0x7fffffff, 1.0, v40
	s_delay_alu instid0(VALU_DEP_4) | instskip(NEXT) | instid1(VALU_DEP_4)
	v_mul_f32_e32 v4, v30, v4
	v_cndmask_b32_e32 v32, 0x7f800000, v32, vcc_lo
	s_delay_alu instid0(VALU_DEP_1) | instskip(NEXT) | instid1(VALU_DEP_1)
	v_mul_f32_e32 v4, v32, v4
	v_mul_f32_e32 v41, v32, v4
.LBB156_312:                            ;   in Loop: Header=BB156_161 Depth=1
	s_or_b32 exec_lo, exec_lo, s25
.LBB156_313:                            ;   in Loop: Header=BB156_161 Depth=1
	s_and_not1_saveexec_b32 s4, s24
; %bb.314:                              ;   in Loop: Header=BB156_161 Depth=1
	s_delay_alu instid0(VALU_DEP_1) | instskip(NEXT) | instid1(VALU_DEP_1)
	v_sub_f32_e32 v41, v41, v41
	v_mov_b32_e32 v40, v41
; %bb.315:                              ;   in Loop: Header=BB156_161 Depth=1
	s_or_b32 exec_lo, exec_lo, s4
	s_and_not1_saveexec_b32 s23, s23
	s_cbranch_execnz .LBB156_295
.LBB156_316:                            ;   in Loop: Header=BB156_161 Depth=1
	s_or_b32 exec_lo, exec_lo, s23
	s_and_saveexec_b32 s4, s0
	s_delay_alu instid0(SALU_CYCLE_1)
	s_xor_b32 s0, exec_lo, s4
	s_cbranch_execz .LBB156_325
.LBB156_317:                            ;   in Loop: Header=BB156_161 Depth=1
	v_add_nc_u64_e32 v[42:43], s[6:7], v[10:11]
	global_store_b64 v[42:43], v[36:37], off
	s_wait_xcnt 0x0
	s_or_b32 exec_lo, exec_lo, s0
	s_and_saveexec_b32 s0, s1
	s_cbranch_execnz .LBB156_326
.LBB156_318:                            ;   in Loop: Header=BB156_161 Depth=1
	s_or_b32 exec_lo, exec_lo, s0
	s_and_saveexec_b32 s0, s2
	s_cbranch_execz .LBB156_327
.LBB156_319:                            ;   in Loop: Header=BB156_161 Depth=1
	v_add_nc_u64_e32 v[36:37], s[6:7], v[20:21]
	global_store_b64 v[36:37], v[34:35], off
	s_wait_xcnt 0x0
	s_or_b32 exec_lo, exec_lo, s0
	s_and_saveexec_b32 s0, s3
	s_cbranch_execz .LBB156_160
	s_branch .LBB156_328
.LBB156_320:                            ;   in Loop: Header=BB156_161 Depth=1
	s_and_not1_saveexec_b32 s4, s26
.LBB156_321:                            ;   in Loop: Header=BB156_161 Depth=1
	v_mul_f32_e64 v4, 0x3f22f983, |v41|
	s_delay_alu instid0(VALU_DEP_1) | instskip(NEXT) | instid1(VALU_DEP_1)
	v_rndne_f32_e32 v43, v4
	v_fma_f32 v4, 0xbfc90fda, v43, |v41|
	s_delay_alu instid0(VALU_DEP_1) | instskip(NEXT) | instid1(VALU_DEP_1)
	v_fmac_f32_e32 v4, 0xb3a22168, v43
	v_fmac_f32_e32 v4, 0xa7c234c4, v43
	v_cvt_i32_f32_e32 v43, v43
.LBB156_322:                            ;   in Loop: Header=BB156_161 Depth=1
	s_or_b32 exec_lo, exec_lo, s4
	s_delay_alu instid0(VALU_DEP_2) | instskip(SKIP_1) | instid1(VALU_DEP_3)
	v_mul_f32_e32 v45, v4, v4
	v_dual_mul_f32 v44, v32, v32 :: v_dual_bitop2_b32 v46, 1, v42 bitop3:0x40
	v_dual_lshlrev_b32 v42, 30, v42 :: v_dual_bitop2_b32 v51, 1, v43 bitop3:0x40
	s_delay_alu instid0(VALU_DEP_3) | instskip(SKIP_1) | instid1(VALU_DEP_4)
	v_fmaak_f32 v49, s21, v45, 0x3c0881c4
	v_dual_fmaak_f32 v50, s22, v45, 0xbab64f3b :: v_dual_lshlrev_b32 v43, 30, v43
	v_cmp_eq_u32_e32 vcc_lo, 0, v46
	s_delay_alu instid0(VALU_DEP_4) | instskip(NEXT) | instid1(VALU_DEP_4)
	v_bitop3_b32 v30, v30, v42, 0x80000000 bitop3:0x78
	v_fmaak_f32 v49, v45, v49, 0xbe2aaa9d
	s_delay_alu instid0(VALU_DEP_1) | instskip(SKIP_1) | instid1(VALU_DEP_2)
	v_dual_fmaak_f32 v50, v45, v50, 0x3d2aabf7 :: v_dual_mul_f32 v49, v45, v49
	v_fmaak_f32 v47, s21, v44, 0x3c0881c4
	v_fmaak_f32 v50, v45, v50, 0xbf000004
	s_delay_alu instid0(VALU_DEP_3) | instskip(NEXT) | instid1(VALU_DEP_3)
	v_fmac_f32_e32 v4, v4, v49
	v_fmaak_f32 v47, v44, v47, 0xbe2aaa9d
	v_fmaak_f32 v48, s22, v44, 0xbab64f3b
	s_delay_alu instid0(VALU_DEP_4) | instskip(NEXT) | instid1(VALU_DEP_2)
	v_fma_f32 v45, v45, v50, 1.0
	v_dual_mul_f32 v47, v44, v47 :: v_dual_fmaak_f32 v48, v44, v48, 0x3d2aabf7
	s_delay_alu instid0(VALU_DEP_1) | instskip(NEXT) | instid1(VALU_DEP_2)
	v_fmac_f32_e32 v32, v32, v47
	v_fmaak_f32 v48, v44, v48, 0xbf000004
	s_delay_alu instid0(VALU_DEP_1) | instskip(NEXT) | instid1(VALU_DEP_1)
	v_fma_f32 v44, v44, v48, 1.0
	v_cndmask_b32_e32 v32, v44, v32, vcc_lo
	v_cmp_eq_u32_e32 vcc_lo, 0, v51
	s_delay_alu instid0(VALU_DEP_2) | instskip(SKIP_2) | instid1(VALU_DEP_2)
	v_xor3_b32 v30, v30, v32, v41
	v_cndmask_b32_e64 v4, -v4, v45, vcc_lo
	v_cmp_class_f32_e64 vcc_lo, v41, 0x1f8
	v_bitop3_b32 v4, v43, v4, 0x80000000 bitop3:0x6c
	s_delay_alu instid0(VALU_DEP_1) | instskip(NEXT) | instid1(VALU_DEP_1)
	v_mul_f32_e32 v4, v30, v4
	v_cndmask_b32_e32 v41, 0x7fc00000, v4, vcc_lo
.LBB156_323:                            ;   in Loop: Header=BB156_161 Depth=1
	s_or_b32 exec_lo, exec_lo, s25
	v_add_nc_u32_e32 v40, -2.0, v40
	s_delay_alu instid0(VALU_DEP_2)
	v_bfi_b32 v41, 0x7fffffff, 0, v41
.LBB156_324:                            ;   in Loop: Header=BB156_161 Depth=1
	s_or_b32 exec_lo, exec_lo, s24
	s_delay_alu instid0(SALU_CYCLE_1) | instskip(SKIP_1) | instid1(SALU_CYCLE_1)
	s_or_b32 exec_lo, exec_lo, s23
	s_and_saveexec_b32 s4, s0
	s_xor_b32 s0, exec_lo, s4
	s_cbranch_execnz .LBB156_317
.LBB156_325:                            ;   in Loop: Header=BB156_161 Depth=1
	s_or_b32 exec_lo, exec_lo, s0
	s_and_saveexec_b32 s0, s1
	s_cbranch_execz .LBB156_318
.LBB156_326:                            ;   in Loop: Header=BB156_161 Depth=1
	v_add_nc_u64_e32 v[36:37], s[6:7], v[28:29]
	global_store_b64 v[36:37], v[38:39], off
	s_wait_xcnt 0x0
	s_or_b32 exec_lo, exec_lo, s0
	s_and_saveexec_b32 s0, s2
	s_cbranch_execnz .LBB156_319
.LBB156_327:                            ;   in Loop: Header=BB156_161 Depth=1
	s_or_b32 exec_lo, exec_lo, s0
	s_and_saveexec_b32 s0, s3
	s_cbranch_execz .LBB156_160
.LBB156_328:                            ;   in Loop: Header=BB156_161 Depth=1
	v_add_nc_u64_e32 v[34:35], s[6:7], v[24:25]
	global_store_b64 v[34:35], v[40:41], off
	s_branch .LBB156_160
.LBB156_329:
	s_endpgm
	.section	.rodata,"a",@progbits
	.p2align	6, 0x0
	.amdhsa_kernel _ZN2at6native12_GLOBAL__N_125multi_tensor_apply_kernelINS1_18TensorListMetadataILi2EEENS1_14UnaryOpFunctorIN3c107complexIfEELi2ELi1ELi1EEEJNS0_4TanhIS8_EEEEEvT_T0_DpT1_
		.amdhsa_group_segment_fixed_size 0
		.amdhsa_private_segment_fixed_size 0
		.amdhsa_kernarg_size 3408
		.amdhsa_user_sgpr_count 2
		.amdhsa_user_sgpr_dispatch_ptr 0
		.amdhsa_user_sgpr_queue_ptr 0
		.amdhsa_user_sgpr_kernarg_segment_ptr 1
		.amdhsa_user_sgpr_dispatch_id 0
		.amdhsa_user_sgpr_kernarg_preload_length 0
		.amdhsa_user_sgpr_kernarg_preload_offset 0
		.amdhsa_user_sgpr_private_segment_size 0
		.amdhsa_wavefront_size32 1
		.amdhsa_uses_dynamic_stack 0
		.amdhsa_enable_private_segment 0
		.amdhsa_system_sgpr_workgroup_id_x 1
		.amdhsa_system_sgpr_workgroup_id_y 0
		.amdhsa_system_sgpr_workgroup_id_z 0
		.amdhsa_system_sgpr_workgroup_info 0
		.amdhsa_system_vgpr_workitem_id 0
		.amdhsa_next_free_vgpr 58
		.amdhsa_next_free_sgpr 37
		.amdhsa_named_barrier_count 0
		.amdhsa_reserve_vcc 1
		.amdhsa_float_round_mode_32 0
		.amdhsa_float_round_mode_16_64 0
		.amdhsa_float_denorm_mode_32 3
		.amdhsa_float_denorm_mode_16_64 3
		.amdhsa_fp16_overflow 0
		.amdhsa_memory_ordered 1
		.amdhsa_forward_progress 1
		.amdhsa_inst_pref_size 255
		.amdhsa_round_robin_scheduling 0
		.amdhsa_exception_fp_ieee_invalid_op 0
		.amdhsa_exception_fp_denorm_src 0
		.amdhsa_exception_fp_ieee_div_zero 0
		.amdhsa_exception_fp_ieee_overflow 0
		.amdhsa_exception_fp_ieee_underflow 0
		.amdhsa_exception_fp_ieee_inexact 0
		.amdhsa_exception_int_div_zero 0
	.end_amdhsa_kernel
	.section	.text._ZN2at6native12_GLOBAL__N_125multi_tensor_apply_kernelINS1_18TensorListMetadataILi2EEENS1_14UnaryOpFunctorIN3c107complexIfEELi2ELi1ELi1EEEJNS0_4TanhIS8_EEEEEvT_T0_DpT1_,"axG",@progbits,_ZN2at6native12_GLOBAL__N_125multi_tensor_apply_kernelINS1_18TensorListMetadataILi2EEENS1_14UnaryOpFunctorIN3c107complexIfEELi2ELi1ELi1EEEJNS0_4TanhIS8_EEEEEvT_T0_DpT1_,comdat
.Lfunc_end156:
	.size	_ZN2at6native12_GLOBAL__N_125multi_tensor_apply_kernelINS1_18TensorListMetadataILi2EEENS1_14UnaryOpFunctorIN3c107complexIfEELi2ELi1ELi1EEEJNS0_4TanhIS8_EEEEEvT_T0_DpT1_, .Lfunc_end156-_ZN2at6native12_GLOBAL__N_125multi_tensor_apply_kernelINS1_18TensorListMetadataILi2EEENS1_14UnaryOpFunctorIN3c107complexIfEELi2ELi1ELi1EEEJNS0_4TanhIS8_EEEEEvT_T0_DpT1_
                                        ; -- End function
	.set _ZN2at6native12_GLOBAL__N_125multi_tensor_apply_kernelINS1_18TensorListMetadataILi2EEENS1_14UnaryOpFunctorIN3c107complexIfEELi2ELi1ELi1EEEJNS0_4TanhIS8_EEEEEvT_T0_DpT1_.num_vgpr, 58
	.set _ZN2at6native12_GLOBAL__N_125multi_tensor_apply_kernelINS1_18TensorListMetadataILi2EEENS1_14UnaryOpFunctorIN3c107complexIfEELi2ELi1ELi1EEEJNS0_4TanhIS8_EEEEEvT_T0_DpT1_.num_agpr, 0
	.set _ZN2at6native12_GLOBAL__N_125multi_tensor_apply_kernelINS1_18TensorListMetadataILi2EEENS1_14UnaryOpFunctorIN3c107complexIfEELi2ELi1ELi1EEEJNS0_4TanhIS8_EEEEEvT_T0_DpT1_.numbered_sgpr, 37
	.set _ZN2at6native12_GLOBAL__N_125multi_tensor_apply_kernelINS1_18TensorListMetadataILi2EEENS1_14UnaryOpFunctorIN3c107complexIfEELi2ELi1ELi1EEEJNS0_4TanhIS8_EEEEEvT_T0_DpT1_.num_named_barrier, 0
	.set _ZN2at6native12_GLOBAL__N_125multi_tensor_apply_kernelINS1_18TensorListMetadataILi2EEENS1_14UnaryOpFunctorIN3c107complexIfEELi2ELi1ELi1EEEJNS0_4TanhIS8_EEEEEvT_T0_DpT1_.private_seg_size, 0
	.set _ZN2at6native12_GLOBAL__N_125multi_tensor_apply_kernelINS1_18TensorListMetadataILi2EEENS1_14UnaryOpFunctorIN3c107complexIfEELi2ELi1ELi1EEEJNS0_4TanhIS8_EEEEEvT_T0_DpT1_.uses_vcc, 1
	.set _ZN2at6native12_GLOBAL__N_125multi_tensor_apply_kernelINS1_18TensorListMetadataILi2EEENS1_14UnaryOpFunctorIN3c107complexIfEELi2ELi1ELi1EEEJNS0_4TanhIS8_EEEEEvT_T0_DpT1_.uses_flat_scratch, 0
	.set _ZN2at6native12_GLOBAL__N_125multi_tensor_apply_kernelINS1_18TensorListMetadataILi2EEENS1_14UnaryOpFunctorIN3c107complexIfEELi2ELi1ELi1EEEJNS0_4TanhIS8_EEEEEvT_T0_DpT1_.has_dyn_sized_stack, 0
	.set _ZN2at6native12_GLOBAL__N_125multi_tensor_apply_kernelINS1_18TensorListMetadataILi2EEENS1_14UnaryOpFunctorIN3c107complexIfEELi2ELi1ELi1EEEJNS0_4TanhIS8_EEEEEvT_T0_DpT1_.has_recursion, 0
	.set _ZN2at6native12_GLOBAL__N_125multi_tensor_apply_kernelINS1_18TensorListMetadataILi2EEENS1_14UnaryOpFunctorIN3c107complexIfEELi2ELi1ELi1EEEJNS0_4TanhIS8_EEEEEvT_T0_DpT1_.has_indirect_call, 0
	.section	.AMDGPU.csdata,"",@progbits
; Kernel info:
; codeLenInByte = 50176
; TotalNumSgprs: 39
; NumVgprs: 58
; ScratchSize: 0
; MemoryBound: 0
; FloatMode: 240
; IeeeMode: 1
; LDSByteSize: 0 bytes/workgroup (compile time only)
; SGPRBlocks: 0
; VGPRBlocks: 3
; NumSGPRsForWavesPerEU: 39
; NumVGPRsForWavesPerEU: 58
; NamedBarCnt: 0
; Occupancy: 16
; WaveLimiterHint : 0
; COMPUTE_PGM_RSRC2:SCRATCH_EN: 0
; COMPUTE_PGM_RSRC2:USER_SGPR: 2
; COMPUTE_PGM_RSRC2:TRAP_HANDLER: 0
; COMPUTE_PGM_RSRC2:TGID_X_EN: 1
; COMPUTE_PGM_RSRC2:TGID_Y_EN: 0
; COMPUTE_PGM_RSRC2:TGID_Z_EN: 0
; COMPUTE_PGM_RSRC2:TIDIG_COMP_CNT: 0
	.section	.text._ZN2at6native12_GLOBAL__N_125multi_tensor_apply_kernelINS1_18TensorListMetadataILi2EEENS1_14UnaryOpFunctorIN3c104HalfELi2ELi1ELi1EEEJNS0_4TanhIfEEEEEvT_T0_DpT1_,"axG",@progbits,_ZN2at6native12_GLOBAL__N_125multi_tensor_apply_kernelINS1_18TensorListMetadataILi2EEENS1_14UnaryOpFunctorIN3c104HalfELi2ELi1ELi1EEEJNS0_4TanhIfEEEEEvT_T0_DpT1_,comdat
	.globl	_ZN2at6native12_GLOBAL__N_125multi_tensor_apply_kernelINS1_18TensorListMetadataILi2EEENS1_14UnaryOpFunctorIN3c104HalfELi2ELi1ELi1EEEJNS0_4TanhIfEEEEEvT_T0_DpT1_ ; -- Begin function _ZN2at6native12_GLOBAL__N_125multi_tensor_apply_kernelINS1_18TensorListMetadataILi2EEENS1_14UnaryOpFunctorIN3c104HalfELi2ELi1ELi1EEEJNS0_4TanhIfEEEEEvT_T0_DpT1_
	.p2align	8
	.type	_ZN2at6native12_GLOBAL__N_125multi_tensor_apply_kernelINS1_18TensorListMetadataILi2EEENS1_14UnaryOpFunctorIN3c104HalfELi2ELi1ELi1EEEJNS0_4TanhIfEEEEEvT_T0_DpT1_,@function
_ZN2at6native12_GLOBAL__N_125multi_tensor_apply_kernelINS1_18TensorListMetadataILi2EEENS1_14UnaryOpFunctorIN3c104HalfELi2ELi1ELi1EEEJNS0_4TanhIfEEEEEvT_T0_DpT1_: ; @_ZN2at6native12_GLOBAL__N_125multi_tensor_apply_kernelINS1_18TensorListMetadataILi2EEENS1_14UnaryOpFunctorIN3c104HalfELi2ELi1ELi1EEEJNS0_4TanhIfEEEEEvT_T0_DpT1_
; %bb.0:
	s_bfe_u32 s2, ttmp6, 0x4000c
	s_and_b32 s3, ttmp6, 15
	s_add_co_i32 s2, s2, 1
	s_getreg_b32 s4, hwreg(HW_REG_IB_STS2, 6, 4)
	s_mul_i32 s2, ttmp9, s2
	s_mov_b32 s7, 0
	s_add_co_i32 s3, s3, s2
	s_cmp_eq_u32 s4, 0
	s_mov_b32 s15, s7
	s_cselect_b32 s6, ttmp9, s3
	s_load_u8 s11, s[0:1], s6 offset:0x600
	s_add_nc_u64 s[2:3], s[0:1], s[6:7]
	s_mul_u64 s[4:5], s[6:7], 3
	s_delay_alu instid0(SALU_CYCLE_1)
	s_add_nc_u64 s[4:5], s[2:3], s[4:5]
	s_load_b32 s10, s[4:5], 0x740
	s_wait_kmcnt 0x0
	s_clause 0x2
	s_load_b64 s[2:3], s[0:1], s11 offset:0x0 scale_offset
	s_load_b64 s[8:9], s[0:1], s11 offset:0x200 scale_offset
	;; [unrolled: 1-line block ×3, first 2 shown]
	s_wait_xcnt 0x0
	s_ashr_i32 s11, s10, 31
	s_delay_alu instid0(SALU_CYCLE_1)
	s_lshl_b64 s[4:5], s[10:11], 17
	s_wait_kmcnt 0x0
	s_and_b64 s[18:19], s[8:9], 7
	s_add_nc_u64 s[16:17], s[2:3], s[4:5]
	s_and_b32 s14, s12, 3
	s_and_b32 s6, s16, 7
	s_or_b64 s[14:15], s[18:19], s[14:15]
	s_lshl_b64 s[10:11], s[10:11], 16
	s_or_b64 s[14:15], s[14:15], s[6:7]
	s_sub_nc_u64 s[6:7], s[12:13], s[10:11]
	s_cmp_eq_u64 s[14:15], 0
	s_mov_b32 s10, -1
	s_cbranch_scc0 .LBB157_21
; %bb.1:
	v_min_i64 v[2:3], 0x10000, s[6:7]
	v_dual_mov_b32 v5, 0 :: v_dual_lshlrev_b32 v4, 2, v0
	s_mov_b32 s14, exec_lo
	s_delay_alu instid0(VALU_DEP_1)
	v_cmpx_lt_i64_e64 v[4:5], v[2:3]
	s_cbranch_execz .LBB157_20
; %bb.2:
	s_load_b32 s10, s[0:1], 0xc5c
	v_dual_mov_b32 v1, v5 :: v_dual_lshlrev_b32 v4, 3, v0
	s_mov_b32 s11, 0
	s_mov_b32 s15, 0xbbbac73d
	;; [unrolled: 1-line block ×3, first 2 shown]
	s_delay_alu instid0(VALU_DEP_1) | instskip(SKIP_4) | instid1(SALU_CYCLE_1)
	v_add_nc_u64_e32 v[4:5], s[4:5], v[4:5]
	v_mov_b64_e32 v[6:7], v[0:1]
	s_mov_b32 s16, s11
	s_wait_kmcnt 0x0
	s_and_b32 s10, s10, 0xffff
	s_lshl_b32 s12, s10, 3
	s_branch .LBB157_4
.LBB157_3:                              ;   in Loop: Header=BB157_4 Depth=1
	s_or_b32 exec_lo, exec_lo, s17
	v_add_nc_u64_e32 v[6:7], s[10:11], v[6:7]
	v_dual_lshrrev_b32 v12, 16, v12 :: v_dual_lshrrev_b32 v16, 16, v9
	v_dual_lshrrev_b32 v15, 16, v8 :: v_dual_lshrrev_b32 v1, 16, v1
	v_cvt_f16_f32_e32 v13, v13
	v_cvt_f16_f32_e32 v11, v11
	v_lshlrev_b64_e32 v[8:9], 2, v[6:7]
	v_cvt_f16_f32_e32 v10, v10
	v_cvt_f16_f32_e32 v14, v14
	v_bfi_b32 v12, 0x7fff, v13, v12
	s_delay_alu instid0(VALU_DEP_3) | instskip(NEXT) | instid1(VALU_DEP_3)
	v_bfi_b32 v1, 0x7fff, v10, v1
	v_bfi_b32 v13, 0x7fff, v14, v16
	;; [unrolled: 1-line block ×3, first 2 shown]
	v_cmp_ge_i64_e32 vcc_lo, v[8:9], v[2:3]
	v_add_nc_u64_e32 v[8:9], s[8:9], v[4:5]
	v_add_nc_u64_e32 v[4:5], s[12:13], v[4:5]
	v_pack_b32_f16 v11, v12, v13
	v_pack_b32_f16 v10, v1, v14
	s_or_b32 s16, vcc_lo, s16
	global_store_b64 v[8:9], v[10:11], off
	s_wait_xcnt 0x0
	s_and_not1_b32 exec_lo, exec_lo, s16
	s_cbranch_execz .LBB157_20
.LBB157_4:                              ; =>This Inner Loop Header: Depth=1
	v_add_nc_u64_e32 v[8:9], s[2:3], v[4:5]
                                        ; implicit-def: $vgpr10
	global_load_b64 v[8:9], v[8:9], off
	s_wait_loadcnt 0x0
	v_cvt_f32_f16_e32 v1, v8
	s_delay_alu instid0(VALU_DEP_1) | instskip(SKIP_2) | instid1(SALU_CYCLE_1)
	v_cmp_ngt_f32_e64 s17, 0x3f200000, |v1|
	s_wait_xcnt 0x0
	s_and_saveexec_b32 s18, s17
	s_xor_b32 s17, exec_lo, s18
	s_cbranch_execz .LBB157_6
; %bb.5:                                ;   in Loop: Header=BB157_4 Depth=1
	v_add_f32_e64 v10, |v1|, |v1|
	s_delay_alu instid0(VALU_DEP_1) | instskip(SKIP_1) | instid1(VALU_DEP_2)
	v_mul_f32_e32 v11, 0x3fb8aa3b, v10
	v_cmp_ngt_f32_e32 vcc_lo, 0xc2ce8ed0, v10
	v_rndne_f32_e32 v12, v11
	v_fma_f32 v13, 0x3fb8aa3b, v10, -v11
	s_delay_alu instid0(VALU_DEP_2) | instskip(NEXT) | instid1(VALU_DEP_2)
	v_sub_f32_e32 v11, v11, v12
	v_fmac_f32_e32 v13, 0x32a5705f, v10
	v_cvt_i32_f32_e32 v12, v12
	s_delay_alu instid0(VALU_DEP_2) | instskip(NEXT) | instid1(VALU_DEP_1)
	v_add_f32_e32 v11, v11, v13
	v_exp_f32_e32 v11, v11
	v_nop
	s_delay_alu instid0(TRANS32_DEP_1) | instskip(NEXT) | instid1(VALU_DEP_1)
	v_ldexp_f32 v11, v11, v12
	v_cndmask_b32_e32 v11, 0, v11, vcc_lo
	v_cmp_nlt_f32_e32 vcc_lo, 0x42b17218, v10
	s_delay_alu instid0(VALU_DEP_2) | instskip(NEXT) | instid1(VALU_DEP_1)
	v_cndmask_b32_e32 v10, 0x7f800000, v11, vcc_lo
	v_add_f32_e32 v10, 1.0, v10
	s_delay_alu instid0(VALU_DEP_1) | instskip(SKIP_1) | instid1(TRANS32_DEP_1)
	v_rcp_f32_e32 v10, v10
	v_nop
	v_fma_f32 v10, v10, -2.0, 1.0
.LBB157_6:                              ;   in Loop: Header=BB157_4 Depth=1
	s_and_not1_saveexec_b32 s17, s17
	s_cbranch_execz .LBB157_8
; %bb.7:                                ;   in Loop: Header=BB157_4 Depth=1
	v_mul_f32_e32 v10, v1, v1
	s_delay_alu instid0(VALU_DEP_1) | instskip(NEXT) | instid1(VALU_DEP_1)
	v_fmaak_f32 v11, s15, v10, 0x3ca908c9
	v_fmaak_f32 v11, v10, v11, 0xbd5c1c4e
	s_delay_alu instid0(VALU_DEP_1) | instskip(NEXT) | instid1(VALU_DEP_1)
	v_fmaak_f32 v11, v10, v11, 0x3e088382
	v_fmaak_f32 v11, v10, v11, 0xbeaaaa99
	s_delay_alu instid0(VALU_DEP_1) | instskip(NEXT) | instid1(VALU_DEP_1)
	v_mul_f32_e64 v11, |v1|, v11
	v_fma_f32 v10, v10, v11, |v1|
.LBB157_8:                              ;   in Loop: Header=BB157_4 Depth=1
	s_or_b32 exec_lo, exec_lo, s17
	v_lshrrev_b32_e32 v8, 16, v8
                                        ; implicit-def: $vgpr11
	s_delay_alu instid0(VALU_DEP_1) | instskip(NEXT) | instid1(VALU_DEP_1)
	v_cvt_f32_f16_e32 v8, v8
	v_cmp_ngt_f32_e64 s17, 0x3f200000, |v8|
	s_and_saveexec_b32 s18, s17
	s_delay_alu instid0(SALU_CYCLE_1)
	s_xor_b32 s17, exec_lo, s18
	s_cbranch_execz .LBB157_10
; %bb.9:                                ;   in Loop: Header=BB157_4 Depth=1
	v_add_f32_e64 v11, |v8|, |v8|
	s_delay_alu instid0(VALU_DEP_1) | instskip(SKIP_1) | instid1(VALU_DEP_2)
	v_mul_f32_e32 v12, 0x3fb8aa3b, v11
	v_cmp_ngt_f32_e32 vcc_lo, 0xc2ce8ed0, v11
	v_rndne_f32_e32 v13, v12
	v_fma_f32 v14, 0x3fb8aa3b, v11, -v12
	s_delay_alu instid0(VALU_DEP_2) | instskip(NEXT) | instid1(VALU_DEP_2)
	v_sub_f32_e32 v12, v12, v13
	v_fmac_f32_e32 v14, 0x32a5705f, v11
	v_cvt_i32_f32_e32 v13, v13
	s_delay_alu instid0(VALU_DEP_2) | instskip(NEXT) | instid1(VALU_DEP_1)
	v_add_f32_e32 v12, v12, v14
	v_exp_f32_e32 v12, v12
	v_nop
	s_delay_alu instid0(TRANS32_DEP_1) | instskip(NEXT) | instid1(VALU_DEP_1)
	v_ldexp_f32 v12, v12, v13
	v_cndmask_b32_e32 v12, 0, v12, vcc_lo
	v_cmp_nlt_f32_e32 vcc_lo, 0x42b17218, v11
	s_delay_alu instid0(VALU_DEP_2) | instskip(NEXT) | instid1(VALU_DEP_1)
	v_cndmask_b32_e32 v11, 0x7f800000, v12, vcc_lo
	v_add_f32_e32 v11, 1.0, v11
	s_delay_alu instid0(VALU_DEP_1) | instskip(SKIP_1) | instid1(TRANS32_DEP_1)
	v_rcp_f32_e32 v11, v11
	v_nop
	v_fma_f32 v11, v11, -2.0, 1.0
.LBB157_10:                             ;   in Loop: Header=BB157_4 Depth=1
	s_and_not1_saveexec_b32 s17, s17
	s_cbranch_execz .LBB157_12
; %bb.11:                               ;   in Loop: Header=BB157_4 Depth=1
	v_mul_f32_e32 v11, v8, v8
	s_delay_alu instid0(VALU_DEP_1) | instskip(NEXT) | instid1(VALU_DEP_1)
	v_fmaak_f32 v12, s15, v11, 0x3ca908c9
	v_fmaak_f32 v12, v11, v12, 0xbd5c1c4e
	s_delay_alu instid0(VALU_DEP_1) | instskip(NEXT) | instid1(VALU_DEP_1)
	v_fmaak_f32 v12, v11, v12, 0x3e088382
	v_fmaak_f32 v12, v11, v12, 0xbeaaaa99
	s_delay_alu instid0(VALU_DEP_1) | instskip(NEXT) | instid1(VALU_DEP_1)
	v_mul_f32_e64 v12, |v8|, v12
	v_fma_f32 v11, v11, v12, |v8|
.LBB157_12:                             ;   in Loop: Header=BB157_4 Depth=1
	s_or_b32 exec_lo, exec_lo, s17
	v_cvt_f32_f16_e32 v12, v9
                                        ; implicit-def: $vgpr13
	s_delay_alu instid0(VALU_DEP_1) | instskip(SKIP_1) | instid1(SALU_CYCLE_1)
	v_cmp_ngt_f32_e64 s17, 0x3f200000, |v12|
	s_and_saveexec_b32 s18, s17
	s_xor_b32 s17, exec_lo, s18
	s_cbranch_execz .LBB157_14
; %bb.13:                               ;   in Loop: Header=BB157_4 Depth=1
	v_add_f32_e64 v13, |v12|, |v12|
	s_delay_alu instid0(VALU_DEP_1) | instskip(SKIP_1) | instid1(VALU_DEP_2)
	v_mul_f32_e32 v14, 0x3fb8aa3b, v13
	v_cmp_ngt_f32_e32 vcc_lo, 0xc2ce8ed0, v13
	v_rndne_f32_e32 v15, v14
	v_fma_f32 v16, 0x3fb8aa3b, v13, -v14
	s_delay_alu instid0(VALU_DEP_2) | instskip(NEXT) | instid1(VALU_DEP_2)
	v_sub_f32_e32 v14, v14, v15
	v_fmac_f32_e32 v16, 0x32a5705f, v13
	v_cvt_i32_f32_e32 v15, v15
	s_delay_alu instid0(VALU_DEP_2) | instskip(NEXT) | instid1(VALU_DEP_1)
	v_add_f32_e32 v14, v14, v16
	v_exp_f32_e32 v14, v14
	v_nop
	s_delay_alu instid0(TRANS32_DEP_1) | instskip(NEXT) | instid1(VALU_DEP_1)
	v_ldexp_f32 v14, v14, v15
	v_cndmask_b32_e32 v14, 0, v14, vcc_lo
	v_cmp_nlt_f32_e32 vcc_lo, 0x42b17218, v13
	s_delay_alu instid0(VALU_DEP_2) | instskip(NEXT) | instid1(VALU_DEP_1)
	v_cndmask_b32_e32 v13, 0x7f800000, v14, vcc_lo
	v_add_f32_e32 v13, 1.0, v13
	s_delay_alu instid0(VALU_DEP_1) | instskip(SKIP_1) | instid1(TRANS32_DEP_1)
	v_rcp_f32_e32 v13, v13
	v_nop
	v_fma_f32 v13, v13, -2.0, 1.0
.LBB157_14:                             ;   in Loop: Header=BB157_4 Depth=1
	s_and_not1_saveexec_b32 s17, s17
	s_cbranch_execz .LBB157_16
; %bb.15:                               ;   in Loop: Header=BB157_4 Depth=1
	v_mul_f32_e32 v13, v12, v12
	s_delay_alu instid0(VALU_DEP_1) | instskip(NEXT) | instid1(VALU_DEP_1)
	v_fmaak_f32 v14, s15, v13, 0x3ca908c9
	v_fmaak_f32 v14, v13, v14, 0xbd5c1c4e
	s_delay_alu instid0(VALU_DEP_1) | instskip(NEXT) | instid1(VALU_DEP_1)
	v_fmaak_f32 v14, v13, v14, 0x3e088382
	v_fmaak_f32 v14, v13, v14, 0xbeaaaa99
	s_delay_alu instid0(VALU_DEP_1) | instskip(NEXT) | instid1(VALU_DEP_1)
	v_mul_f32_e64 v14, |v12|, v14
	v_fma_f32 v13, v13, v14, |v12|
.LBB157_16:                             ;   in Loop: Header=BB157_4 Depth=1
	s_or_b32 exec_lo, exec_lo, s17
	v_lshrrev_b32_e32 v9, 16, v9
                                        ; implicit-def: $vgpr14
	s_delay_alu instid0(VALU_DEP_1) | instskip(NEXT) | instid1(VALU_DEP_1)
	v_cvt_f32_f16_e32 v9, v9
	v_cmp_ngt_f32_e64 s17, 0x3f200000, |v9|
	s_and_saveexec_b32 s18, s17
	s_delay_alu instid0(SALU_CYCLE_1)
	s_xor_b32 s17, exec_lo, s18
	s_cbranch_execz .LBB157_18
; %bb.17:                               ;   in Loop: Header=BB157_4 Depth=1
	v_add_f32_e64 v14, |v9|, |v9|
	s_delay_alu instid0(VALU_DEP_1) | instskip(SKIP_1) | instid1(VALU_DEP_2)
	v_mul_f32_e32 v15, 0x3fb8aa3b, v14
	v_cmp_ngt_f32_e32 vcc_lo, 0xc2ce8ed0, v14
	v_rndne_f32_e32 v16, v15
	v_fma_f32 v17, 0x3fb8aa3b, v14, -v15
	s_delay_alu instid0(VALU_DEP_2) | instskip(NEXT) | instid1(VALU_DEP_2)
	v_sub_f32_e32 v15, v15, v16
	v_fmac_f32_e32 v17, 0x32a5705f, v14
	v_cvt_i32_f32_e32 v16, v16
	s_delay_alu instid0(VALU_DEP_2) | instskip(NEXT) | instid1(VALU_DEP_1)
	v_add_f32_e32 v15, v15, v17
	v_exp_f32_e32 v15, v15
	v_nop
	s_delay_alu instid0(TRANS32_DEP_1) | instskip(NEXT) | instid1(VALU_DEP_1)
	v_ldexp_f32 v15, v15, v16
	v_cndmask_b32_e32 v15, 0, v15, vcc_lo
	v_cmp_nlt_f32_e32 vcc_lo, 0x42b17218, v14
	s_delay_alu instid0(VALU_DEP_2) | instskip(NEXT) | instid1(VALU_DEP_1)
	v_cndmask_b32_e32 v14, 0x7f800000, v15, vcc_lo
	v_add_f32_e32 v14, 1.0, v14
	s_delay_alu instid0(VALU_DEP_1) | instskip(SKIP_1) | instid1(TRANS32_DEP_1)
	v_rcp_f32_e32 v14, v14
	v_nop
	v_fma_f32 v14, v14, -2.0, 1.0
.LBB157_18:                             ;   in Loop: Header=BB157_4 Depth=1
	s_and_not1_saveexec_b32 s17, s17
	s_cbranch_execz .LBB157_3
; %bb.19:                               ;   in Loop: Header=BB157_4 Depth=1
	v_mul_f32_e32 v14, v9, v9
	s_delay_alu instid0(VALU_DEP_1) | instskip(NEXT) | instid1(VALU_DEP_1)
	v_fmaak_f32 v15, s15, v14, 0x3ca908c9
	v_fmaak_f32 v15, v14, v15, 0xbd5c1c4e
	s_delay_alu instid0(VALU_DEP_1) | instskip(NEXT) | instid1(VALU_DEP_1)
	v_fmaak_f32 v15, v14, v15, 0x3e088382
	v_fmaak_f32 v15, v14, v15, 0xbeaaaa99
	s_delay_alu instid0(VALU_DEP_1) | instskip(NEXT) | instid1(VALU_DEP_1)
	v_mul_f32_e64 v15, |v9|, v15
	v_fma_f32 v14, v14, v15, |v9|
	s_branch .LBB157_3
.LBB157_20:
	s_or_b32 exec_lo, exec_lo, s14
	s_mov_b32 s10, 0
.LBB157_21:
	s_delay_alu instid0(SALU_CYCLE_1)
	s_and_not1_b32 vcc_lo, exec_lo, s10
	s_cbranch_vccnz .LBB157_57
; %bb.22:
	v_cmp_lt_i64_e64 s10, s[6:7], 1
	s_and_b32 vcc_lo, exec_lo, s10
	s_cbranch_vccnz .LBB157_57
; %bb.23:
	s_load_b32 s0, s[0:1], 0xc5c
	v_min_i64 v[2:3], 0x10000, s[6:7]
	v_min_u64 v[4:5], 0x10000, s[6:7]
	v_dual_mov_b32 v1, 0 :: v_dual_lshlrev_b32 v10, 1, v0
	s_wait_xcnt 0x0
	s_mov_b32 s1, 0
	s_delay_alu instid0(SALU_CYCLE_1) | instskip(NEXT) | instid1(VALU_DEP_1)
	s_mov_b32 s7, s1
	v_dual_mov_b32 v11, v1 :: v_dual_mov_b32 v27, v1
	s_mov_b32 s11, s1
	s_mov_b32 s13, s1
	s_delay_alu instid0(VALU_DEP_1) | instskip(SKIP_2) | instid1(SALU_CYCLE_1)
	v_add_nc_u64_e32 v[6:7], s[2:3], v[10:11]
	s_wait_kmcnt 0x0
	s_and_b32 s0, s0, 0xffff
	v_add_nc_u64_e32 v[8:9], s[0:1], v[0:1]
	v_mad_nc_u64_u32 v[22:23], s0, 6, v[10:11]
	s_lshl_b32 s6, s0, 2
	s_mul_i32 s12, s0, 3
	v_add_nc_u64_e32 v[18:19], s[6:7], v[10:11]
	s_lshl_b32 s10, s0, 1
	v_add_nc_u64_e32 v[10:11], s[8:9], v[10:11]
	v_lshlrev_b32_e32 v26, 1, v8
	v_add_nc_u64_e32 v[12:13], s[12:13], v[0:1]
	v_add_nc_u64_e32 v[14:15], s[10:11], v[0:1]
	s_mov_b64 s[10:11], 0
	v_add_nc_u64_e32 v[16:17], s[2:3], v[18:19]
	v_add_nc_u64_e32 v[18:19], s[8:9], v[18:19]
	;; [unrolled: 1-line block ×6, first 2 shown]
	s_lshl_b32 s8, s0, 3
	s_mov_b32 s9, s1
	s_mov_b32 s12, 0xbbbac73d
	s_branch .LBB157_25
.LBB157_24:                             ;   in Loop: Header=BB157_25 Depth=1
	s_wait_xcnt 0x0
	s_or_b32 exec_lo, exec_lo, s0
	s_add_nc_u64 s[10:11], s[10:11], s[6:7]
	v_add_nc_u64_e32 v[6:7], s[8:9], v[6:7]
	v_cmp_ge_i64_e32 vcc_lo, s[10:11], v[2:3]
	v_add_nc_u64_e32 v[10:11], s[8:9], v[10:11]
	v_add_nc_u64_e32 v[20:21], s[8:9], v[20:21]
	;; [unrolled: 1-line block ×7, first 2 shown]
	s_cbranch_vccnz .LBB157_57
.LBB157_25:                             ; =>This Inner Loop Header: Depth=1
	v_add_nc_u64_e32 v[28:29], s[10:11], v[0:1]
	s_delay_alu instid0(VALU_DEP_1)
	v_cmp_lt_u64_e32 vcc_lo, v[28:29], v[4:5]
	v_mov_b32_e32 v29, 0
	s_and_saveexec_b32 s0, vcc_lo
	s_cbranch_execz .LBB157_27
; %bb.26:                               ;   in Loop: Header=BB157_25 Depth=1
	v_add_nc_u64_e32 v[28:29], s[4:5], v[6:7]
	global_load_u16 v28, v[28:29], off
	s_wait_loadcnt 0x0
	v_cvt_f32_f16_e32 v29, v28
.LBB157_27:                             ;   in Loop: Header=BB157_25 Depth=1
	s_or_b32 exec_lo, exec_lo, s0
	v_add_nc_u64_e32 v[30:31], s[10:11], v[8:9]
	v_mov_b32_e32 v28, 0
	s_delay_alu instid0(VALU_DEP_2)
	v_cmp_lt_u64_e64 s0, v[30:31], v[4:5]
	v_mov_b32_e32 v30, 0
	s_and_saveexec_b32 s1, s0
	s_cbranch_execz .LBB157_29
; %bb.28:                               ;   in Loop: Header=BB157_25 Depth=1
	v_add_nc_u64_e32 v[30:31], s[4:5], v[24:25]
	global_load_u16 v30, v[30:31], off
	s_wait_loadcnt 0x0
	v_cvt_f32_f16_e32 v30, v30
.LBB157_29:                             ;   in Loop: Header=BB157_25 Depth=1
	s_or_b32 exec_lo, exec_lo, s1
	v_add_nc_u64_e32 v[32:33], s[10:11], v[14:15]
	s_delay_alu instid0(VALU_DEP_1)
	v_cmp_lt_u64_e64 s1, v[32:33], v[4:5]
	s_and_saveexec_b32 s2, s1
	s_cbranch_execz .LBB157_31
; %bb.30:                               ;   in Loop: Header=BB157_25 Depth=1
	v_add_nc_u64_e32 v[32:33], s[4:5], v[16:17]
	global_load_u16 v28, v[32:33], off
	s_wait_loadcnt 0x0
	v_cvt_f32_f16_e32 v28, v28
.LBB157_31:                             ;   in Loop: Header=BB157_25 Depth=1
	s_wait_xcnt 0x0
	s_or_b32 exec_lo, exec_lo, s2
	v_add_nc_u64_e32 v[32:33], s[10:11], v[12:13]
	v_mov_b32_e32 v31, 0
	s_delay_alu instid0(VALU_DEP_2)
	v_cmp_lt_u64_e64 s2, v[32:33], v[4:5]
	s_and_saveexec_b32 s3, s2
	s_cbranch_execz .LBB157_33
; %bb.32:                               ;   in Loop: Header=BB157_25 Depth=1
	v_add_nc_u64_e32 v[32:33], s[4:5], v[20:21]
	global_load_u16 v31, v[32:33], off
	s_wait_loadcnt 0x0
	v_cvt_f32_f16_e32 v31, v31
.LBB157_33:                             ;   in Loop: Header=BB157_25 Depth=1
	s_wait_xcnt 0x0
	s_or_b32 exec_lo, exec_lo, s3
	s_delay_alu instid0(SALU_CYCLE_1)
	s_mov_b32 s13, exec_lo
                                        ; implicit-def: $vgpr32
	v_cmpx_ngt_f32_e64 0x3f200000, |v29|
	s_xor_b32 s13, exec_lo, s13
	s_cbranch_execz .LBB157_35
; %bb.34:                               ;   in Loop: Header=BB157_25 Depth=1
	v_add_f32_e64 v32, |v29|, |v29|
	s_delay_alu instid0(VALU_DEP_1) | instskip(SKIP_1) | instid1(VALU_DEP_2)
	v_mul_f32_e32 v33, 0x3fb8aa3b, v32
	v_cmp_ngt_f32_e64 s3, 0xc2ce8ed0, v32
	v_rndne_f32_e32 v34, v33
	v_fma_f32 v35, 0x3fb8aa3b, v32, -v33
	s_delay_alu instid0(VALU_DEP_2) | instskip(NEXT) | instid1(VALU_DEP_2)
	v_sub_f32_e32 v33, v33, v34
	v_fmac_f32_e32 v35, 0x32a5705f, v32
	v_cvt_i32_f32_e32 v34, v34
	s_delay_alu instid0(VALU_DEP_2) | instskip(NEXT) | instid1(VALU_DEP_1)
	v_add_f32_e32 v33, v33, v35
	v_exp_f32_e32 v33, v33
	v_nop
	s_delay_alu instid0(TRANS32_DEP_1) | instskip(NEXT) | instid1(VALU_DEP_1)
	v_ldexp_f32 v33, v33, v34
	v_cndmask_b32_e64 v33, 0, v33, s3
	v_cmp_nlt_f32_e64 s3, 0x42b17218, v32
	s_delay_alu instid0(VALU_DEP_1) | instskip(NEXT) | instid1(VALU_DEP_1)
	v_cndmask_b32_e64 v32, 0x7f800000, v33, s3
	v_add_f32_e32 v32, 1.0, v32
	s_delay_alu instid0(VALU_DEP_1) | instskip(SKIP_1) | instid1(TRANS32_DEP_1)
	v_rcp_f32_e32 v32, v32
	v_nop
	v_fma_f32 v32, v32, -2.0, 1.0
.LBB157_35:                             ;   in Loop: Header=BB157_25 Depth=1
	s_and_not1_saveexec_b32 s3, s13
	s_cbranch_execz .LBB157_37
; %bb.36:                               ;   in Loop: Header=BB157_25 Depth=1
	v_mul_f32_e32 v32, v29, v29
	s_delay_alu instid0(VALU_DEP_1) | instskip(NEXT) | instid1(VALU_DEP_1)
	v_fmaak_f32 v33, s12, v32, 0x3ca908c9
	v_fmaak_f32 v33, v32, v33, 0xbd5c1c4e
	s_delay_alu instid0(VALU_DEP_1) | instskip(NEXT) | instid1(VALU_DEP_1)
	v_fmaak_f32 v33, v32, v33, 0x3e088382
	v_fmaak_f32 v33, v32, v33, 0xbeaaaa99
	s_delay_alu instid0(VALU_DEP_1) | instskip(NEXT) | instid1(VALU_DEP_1)
	v_mul_f32_e64 v33, |v29|, v33
	v_fma_f32 v32, v32, v33, |v29|
.LBB157_37:                             ;   in Loop: Header=BB157_25 Depth=1
	s_or_b32 exec_lo, exec_lo, s3
	s_delay_alu instid0(SALU_CYCLE_1)
	s_mov_b32 s13, exec_lo
                                        ; implicit-def: $vgpr33
	v_cmpx_ngt_f32_e64 0x3f200000, |v30|
	s_xor_b32 s13, exec_lo, s13
	s_cbranch_execz .LBB157_39
; %bb.38:                               ;   in Loop: Header=BB157_25 Depth=1
	v_add_f32_e64 v33, |v30|, |v30|
	s_delay_alu instid0(VALU_DEP_1) | instskip(SKIP_1) | instid1(VALU_DEP_2)
	v_mul_f32_e32 v34, 0x3fb8aa3b, v33
	v_cmp_ngt_f32_e64 s3, 0xc2ce8ed0, v33
	v_rndne_f32_e32 v35, v34
	v_fma_f32 v36, 0x3fb8aa3b, v33, -v34
	s_delay_alu instid0(VALU_DEP_2) | instskip(NEXT) | instid1(VALU_DEP_2)
	v_sub_f32_e32 v34, v34, v35
	v_fmac_f32_e32 v36, 0x32a5705f, v33
	v_cvt_i32_f32_e32 v35, v35
	s_delay_alu instid0(VALU_DEP_2) | instskip(NEXT) | instid1(VALU_DEP_1)
	v_add_f32_e32 v34, v34, v36
	v_exp_f32_e32 v34, v34
	v_nop
	s_delay_alu instid0(TRANS32_DEP_1) | instskip(NEXT) | instid1(VALU_DEP_1)
	v_ldexp_f32 v34, v34, v35
	v_cndmask_b32_e64 v34, 0, v34, s3
	v_cmp_nlt_f32_e64 s3, 0x42b17218, v33
	s_delay_alu instid0(VALU_DEP_1) | instskip(NEXT) | instid1(VALU_DEP_1)
	v_cndmask_b32_e64 v33, 0x7f800000, v34, s3
	v_add_f32_e32 v33, 1.0, v33
	s_delay_alu instid0(VALU_DEP_1) | instskip(SKIP_1) | instid1(TRANS32_DEP_1)
	v_rcp_f32_e32 v33, v33
	v_nop
	v_fma_f32 v33, v33, -2.0, 1.0
.LBB157_39:                             ;   in Loop: Header=BB157_25 Depth=1
	s_and_not1_saveexec_b32 s3, s13
	s_cbranch_execz .LBB157_41
; %bb.40:                               ;   in Loop: Header=BB157_25 Depth=1
	v_mul_f32_e32 v33, v30, v30
	s_delay_alu instid0(VALU_DEP_1) | instskip(NEXT) | instid1(VALU_DEP_1)
	v_fmaak_f32 v34, s12, v33, 0x3ca908c9
	v_fmaak_f32 v34, v33, v34, 0xbd5c1c4e
	s_delay_alu instid0(VALU_DEP_1) | instskip(NEXT) | instid1(VALU_DEP_1)
	v_fmaak_f32 v34, v33, v34, 0x3e088382
	v_fmaak_f32 v34, v33, v34, 0xbeaaaa99
	s_delay_alu instid0(VALU_DEP_1) | instskip(NEXT) | instid1(VALU_DEP_1)
	v_mul_f32_e64 v34, |v30|, v34
	v_fma_f32 v33, v33, v34, |v30|
.LBB157_41:                             ;   in Loop: Header=BB157_25 Depth=1
	s_or_b32 exec_lo, exec_lo, s3
	s_delay_alu instid0(SALU_CYCLE_1)
	s_mov_b32 s13, exec_lo
                                        ; implicit-def: $vgpr34
	v_cmpx_ngt_f32_e64 0x3f200000, |v28|
	s_xor_b32 s13, exec_lo, s13
	s_cbranch_execz .LBB157_43
; %bb.42:                               ;   in Loop: Header=BB157_25 Depth=1
	v_add_f32_e64 v34, |v28|, |v28|
	s_delay_alu instid0(VALU_DEP_1) | instskip(SKIP_1) | instid1(VALU_DEP_2)
	v_mul_f32_e32 v35, 0x3fb8aa3b, v34
	v_cmp_ngt_f32_e64 s3, 0xc2ce8ed0, v34
	v_rndne_f32_e32 v36, v35
	v_fma_f32 v37, 0x3fb8aa3b, v34, -v35
	s_delay_alu instid0(VALU_DEP_2) | instskip(NEXT) | instid1(VALU_DEP_2)
	v_sub_f32_e32 v35, v35, v36
	v_fmac_f32_e32 v37, 0x32a5705f, v34
	v_cvt_i32_f32_e32 v36, v36
	s_delay_alu instid0(VALU_DEP_2) | instskip(NEXT) | instid1(VALU_DEP_1)
	v_add_f32_e32 v35, v35, v37
	v_exp_f32_e32 v35, v35
	v_nop
	s_delay_alu instid0(TRANS32_DEP_1) | instskip(NEXT) | instid1(VALU_DEP_1)
	v_ldexp_f32 v35, v35, v36
	v_cndmask_b32_e64 v35, 0, v35, s3
	v_cmp_nlt_f32_e64 s3, 0x42b17218, v34
	s_delay_alu instid0(VALU_DEP_1) | instskip(NEXT) | instid1(VALU_DEP_1)
	v_cndmask_b32_e64 v34, 0x7f800000, v35, s3
	v_add_f32_e32 v34, 1.0, v34
	s_delay_alu instid0(VALU_DEP_1) | instskip(SKIP_1) | instid1(TRANS32_DEP_1)
	v_rcp_f32_e32 v34, v34
	v_nop
	v_fma_f32 v34, v34, -2.0, 1.0
.LBB157_43:                             ;   in Loop: Header=BB157_25 Depth=1
	s_and_not1_saveexec_b32 s3, s13
	s_cbranch_execz .LBB157_45
; %bb.44:                               ;   in Loop: Header=BB157_25 Depth=1
	v_mul_f32_e32 v34, v28, v28
	s_delay_alu instid0(VALU_DEP_1) | instskip(NEXT) | instid1(VALU_DEP_1)
	v_fmaak_f32 v35, s12, v34, 0x3ca908c9
	v_fmaak_f32 v35, v34, v35, 0xbd5c1c4e
	s_delay_alu instid0(VALU_DEP_1) | instskip(NEXT) | instid1(VALU_DEP_1)
	v_fmaak_f32 v35, v34, v35, 0x3e088382
	v_fmaak_f32 v35, v34, v35, 0xbeaaaa99
	s_delay_alu instid0(VALU_DEP_1) | instskip(NEXT) | instid1(VALU_DEP_1)
	v_mul_f32_e64 v35, |v28|, v35
	v_fma_f32 v34, v34, v35, |v28|
.LBB157_45:                             ;   in Loop: Header=BB157_25 Depth=1
	s_or_b32 exec_lo, exec_lo, s3
	s_delay_alu instid0(SALU_CYCLE_1)
	s_mov_b32 s13, exec_lo
                                        ; implicit-def: $vgpr35
	v_cmpx_ngt_f32_e64 0x3f200000, |v31|
	s_xor_b32 s13, exec_lo, s13
	s_cbranch_execnz .LBB157_51
; %bb.46:                               ;   in Loop: Header=BB157_25 Depth=1
	s_and_not1_saveexec_b32 s3, s13
	s_cbranch_execnz .LBB157_52
.LBB157_47:                             ;   in Loop: Header=BB157_25 Depth=1
	s_or_b32 exec_lo, exec_lo, s3
	s_and_saveexec_b32 s3, vcc_lo
	s_delay_alu instid0(SALU_CYCLE_1)
	s_xor_b32 s3, exec_lo, s3
	s_cbranch_execnz .LBB157_53
.LBB157_48:                             ;   in Loop: Header=BB157_25 Depth=1
	s_or_b32 exec_lo, exec_lo, s3
	s_and_saveexec_b32 s3, s0
	s_cbranch_execnz .LBB157_54
.LBB157_49:                             ;   in Loop: Header=BB157_25 Depth=1
	s_or_b32 exec_lo, exec_lo, s3
	s_and_saveexec_b32 s0, s1
	s_cbranch_execnz .LBB157_55
.LBB157_50:                             ;   in Loop: Header=BB157_25 Depth=1
	s_or_b32 exec_lo, exec_lo, s0
	s_and_saveexec_b32 s0, s2
	s_cbranch_execz .LBB157_24
	s_branch .LBB157_56
.LBB157_51:                             ;   in Loop: Header=BB157_25 Depth=1
	v_add_f32_e64 v35, |v31|, |v31|
	s_delay_alu instid0(VALU_DEP_1) | instskip(SKIP_1) | instid1(VALU_DEP_2)
	v_mul_f32_e32 v36, 0x3fb8aa3b, v35
	v_cmp_ngt_f32_e64 s3, 0xc2ce8ed0, v35
	v_rndne_f32_e32 v37, v36
	v_fma_f32 v38, 0x3fb8aa3b, v35, -v36
	s_delay_alu instid0(VALU_DEP_2) | instskip(NEXT) | instid1(VALU_DEP_2)
	v_sub_f32_e32 v36, v36, v37
	v_fmac_f32_e32 v38, 0x32a5705f, v35
	v_cvt_i32_f32_e32 v37, v37
	s_delay_alu instid0(VALU_DEP_2) | instskip(NEXT) | instid1(VALU_DEP_1)
	v_add_f32_e32 v36, v36, v38
	v_exp_f32_e32 v36, v36
	v_nop
	s_delay_alu instid0(TRANS32_DEP_1) | instskip(NEXT) | instid1(VALU_DEP_1)
	v_ldexp_f32 v36, v36, v37
	v_cndmask_b32_e64 v36, 0, v36, s3
	v_cmp_nlt_f32_e64 s3, 0x42b17218, v35
	s_delay_alu instid0(VALU_DEP_1) | instskip(NEXT) | instid1(VALU_DEP_1)
	v_cndmask_b32_e64 v35, 0x7f800000, v36, s3
	v_add_f32_e32 v35, 1.0, v35
	s_delay_alu instid0(VALU_DEP_1) | instskip(SKIP_1) | instid1(TRANS32_DEP_1)
	v_rcp_f32_e32 v35, v35
	v_nop
	v_fma_f32 v35, v35, -2.0, 1.0
	s_and_not1_saveexec_b32 s3, s13
	s_cbranch_execz .LBB157_47
.LBB157_52:                             ;   in Loop: Header=BB157_25 Depth=1
	v_mul_f32_e32 v35, v31, v31
	s_delay_alu instid0(VALU_DEP_1) | instskip(NEXT) | instid1(VALU_DEP_1)
	v_fmaak_f32 v36, s12, v35, 0x3ca908c9
	v_fmaak_f32 v36, v35, v36, 0xbd5c1c4e
	s_delay_alu instid0(VALU_DEP_1) | instskip(NEXT) | instid1(VALU_DEP_1)
	v_fmaak_f32 v36, v35, v36, 0x3e088382
	v_fmaak_f32 v36, v35, v36, 0xbeaaaa99
	s_delay_alu instid0(VALU_DEP_1) | instskip(NEXT) | instid1(VALU_DEP_1)
	v_mul_f32_e64 v36, |v31|, v36
	v_fma_f32 v35, v35, v36, |v31|
	s_or_b32 exec_lo, exec_lo, s3
	s_and_saveexec_b32 s3, vcc_lo
	s_delay_alu instid0(SALU_CYCLE_1)
	s_xor_b32 s3, exec_lo, s3
	s_cbranch_execz .LBB157_48
.LBB157_53:                             ;   in Loop: Header=BB157_25 Depth=1
	v_cvt_f16_f32_e32 v32, v32
	v_lshrrev_b32_e32 v29, 16, v29
	v_add_nc_u64_e32 v[36:37], s[4:5], v[10:11]
	s_delay_alu instid0(VALU_DEP_2)
	v_bfi_b32 v29, 0x7fff, v32, v29
	global_store_b16 v[36:37], v29, off
	s_wait_xcnt 0x0
	s_or_b32 exec_lo, exec_lo, s3
	s_and_saveexec_b32 s3, s0
	s_cbranch_execz .LBB157_49
.LBB157_54:                             ;   in Loop: Header=BB157_25 Depth=1
	v_cvt_f16_f32_e32 v29, v33
	v_lshrrev_b32_e32 v30, 16, v30
	v_add_nc_u64_e32 v[32:33], s[4:5], v[26:27]
	s_delay_alu instid0(VALU_DEP_2)
	v_bfi_b32 v29, 0x7fff, v29, v30
	global_store_b16 v[32:33], v29, off
	s_wait_xcnt 0x0
	s_or_b32 exec_lo, exec_lo, s3
	s_and_saveexec_b32 s0, s1
	s_cbranch_execz .LBB157_50
.LBB157_55:                             ;   in Loop: Header=BB157_25 Depth=1
	v_cvt_f16_f32_e32 v30, v34
	v_lshrrev_b32_e32 v32, 16, v28
	v_add_nc_u64_e32 v[28:29], s[4:5], v[18:19]
	s_delay_alu instid0(VALU_DEP_2)
	v_bfi_b32 v30, 0x7fff, v30, v32
	global_store_b16 v[28:29], v30, off
	s_wait_xcnt 0x0
	s_or_b32 exec_lo, exec_lo, s0
	s_and_saveexec_b32 s0, s2
	s_cbranch_execz .LBB157_24
.LBB157_56:                             ;   in Loop: Header=BB157_25 Depth=1
	v_cvt_f16_f32_e32 v30, v35
	v_lshrrev_b32_e32 v31, 16, v31
	v_add_nc_u64_e32 v[28:29], s[4:5], v[22:23]
	s_delay_alu instid0(VALU_DEP_2)
	v_bfi_b32 v30, 0x7fff, v30, v31
	global_store_b16 v[28:29], v30, off
	s_branch .LBB157_24
.LBB157_57:
	s_endpgm
	.section	.rodata,"a",@progbits
	.p2align	6, 0x0
	.amdhsa_kernel _ZN2at6native12_GLOBAL__N_125multi_tensor_apply_kernelINS1_18TensorListMetadataILi2EEENS1_14UnaryOpFunctorIN3c104HalfELi2ELi1ELi1EEEJNS0_4TanhIfEEEEEvT_T0_DpT1_
		.amdhsa_group_segment_fixed_size 0
		.amdhsa_private_segment_fixed_size 0
		.amdhsa_kernarg_size 3408
		.amdhsa_user_sgpr_count 2
		.amdhsa_user_sgpr_dispatch_ptr 0
		.amdhsa_user_sgpr_queue_ptr 0
		.amdhsa_user_sgpr_kernarg_segment_ptr 1
		.amdhsa_user_sgpr_dispatch_id 0
		.amdhsa_user_sgpr_kernarg_preload_length 0
		.amdhsa_user_sgpr_kernarg_preload_offset 0
		.amdhsa_user_sgpr_private_segment_size 0
		.amdhsa_wavefront_size32 1
		.amdhsa_uses_dynamic_stack 0
		.amdhsa_enable_private_segment 0
		.amdhsa_system_sgpr_workgroup_id_x 1
		.amdhsa_system_sgpr_workgroup_id_y 0
		.amdhsa_system_sgpr_workgroup_id_z 0
		.amdhsa_system_sgpr_workgroup_info 0
		.amdhsa_system_vgpr_workitem_id 0
		.amdhsa_next_free_vgpr 39
		.amdhsa_next_free_sgpr 20
		.amdhsa_named_barrier_count 0
		.amdhsa_reserve_vcc 1
		.amdhsa_float_round_mode_32 0
		.amdhsa_float_round_mode_16_64 0
		.amdhsa_float_denorm_mode_32 3
		.amdhsa_float_denorm_mode_16_64 3
		.amdhsa_fp16_overflow 0
		.amdhsa_memory_ordered 1
		.amdhsa_forward_progress 1
		.amdhsa_inst_pref_size 26
		.amdhsa_round_robin_scheduling 0
		.amdhsa_exception_fp_ieee_invalid_op 0
		.amdhsa_exception_fp_denorm_src 0
		.amdhsa_exception_fp_ieee_div_zero 0
		.amdhsa_exception_fp_ieee_overflow 0
		.amdhsa_exception_fp_ieee_underflow 0
		.amdhsa_exception_fp_ieee_inexact 0
		.amdhsa_exception_int_div_zero 0
	.end_amdhsa_kernel
	.section	.text._ZN2at6native12_GLOBAL__N_125multi_tensor_apply_kernelINS1_18TensorListMetadataILi2EEENS1_14UnaryOpFunctorIN3c104HalfELi2ELi1ELi1EEEJNS0_4TanhIfEEEEEvT_T0_DpT1_,"axG",@progbits,_ZN2at6native12_GLOBAL__N_125multi_tensor_apply_kernelINS1_18TensorListMetadataILi2EEENS1_14UnaryOpFunctorIN3c104HalfELi2ELi1ELi1EEEJNS0_4TanhIfEEEEEvT_T0_DpT1_,comdat
.Lfunc_end157:
	.size	_ZN2at6native12_GLOBAL__N_125multi_tensor_apply_kernelINS1_18TensorListMetadataILi2EEENS1_14UnaryOpFunctorIN3c104HalfELi2ELi1ELi1EEEJNS0_4TanhIfEEEEEvT_T0_DpT1_, .Lfunc_end157-_ZN2at6native12_GLOBAL__N_125multi_tensor_apply_kernelINS1_18TensorListMetadataILi2EEENS1_14UnaryOpFunctorIN3c104HalfELi2ELi1ELi1EEEJNS0_4TanhIfEEEEEvT_T0_DpT1_
                                        ; -- End function
	.set _ZN2at6native12_GLOBAL__N_125multi_tensor_apply_kernelINS1_18TensorListMetadataILi2EEENS1_14UnaryOpFunctorIN3c104HalfELi2ELi1ELi1EEEJNS0_4TanhIfEEEEEvT_T0_DpT1_.num_vgpr, 39
	.set _ZN2at6native12_GLOBAL__N_125multi_tensor_apply_kernelINS1_18TensorListMetadataILi2EEENS1_14UnaryOpFunctorIN3c104HalfELi2ELi1ELi1EEEJNS0_4TanhIfEEEEEvT_T0_DpT1_.num_agpr, 0
	.set _ZN2at6native12_GLOBAL__N_125multi_tensor_apply_kernelINS1_18TensorListMetadataILi2EEENS1_14UnaryOpFunctorIN3c104HalfELi2ELi1ELi1EEEJNS0_4TanhIfEEEEEvT_T0_DpT1_.numbered_sgpr, 20
	.set _ZN2at6native12_GLOBAL__N_125multi_tensor_apply_kernelINS1_18TensorListMetadataILi2EEENS1_14UnaryOpFunctorIN3c104HalfELi2ELi1ELi1EEEJNS0_4TanhIfEEEEEvT_T0_DpT1_.num_named_barrier, 0
	.set _ZN2at6native12_GLOBAL__N_125multi_tensor_apply_kernelINS1_18TensorListMetadataILi2EEENS1_14UnaryOpFunctorIN3c104HalfELi2ELi1ELi1EEEJNS0_4TanhIfEEEEEvT_T0_DpT1_.private_seg_size, 0
	.set _ZN2at6native12_GLOBAL__N_125multi_tensor_apply_kernelINS1_18TensorListMetadataILi2EEENS1_14UnaryOpFunctorIN3c104HalfELi2ELi1ELi1EEEJNS0_4TanhIfEEEEEvT_T0_DpT1_.uses_vcc, 1
	.set _ZN2at6native12_GLOBAL__N_125multi_tensor_apply_kernelINS1_18TensorListMetadataILi2EEENS1_14UnaryOpFunctorIN3c104HalfELi2ELi1ELi1EEEJNS0_4TanhIfEEEEEvT_T0_DpT1_.uses_flat_scratch, 0
	.set _ZN2at6native12_GLOBAL__N_125multi_tensor_apply_kernelINS1_18TensorListMetadataILi2EEENS1_14UnaryOpFunctorIN3c104HalfELi2ELi1ELi1EEEJNS0_4TanhIfEEEEEvT_T0_DpT1_.has_dyn_sized_stack, 0
	.set _ZN2at6native12_GLOBAL__N_125multi_tensor_apply_kernelINS1_18TensorListMetadataILi2EEENS1_14UnaryOpFunctorIN3c104HalfELi2ELi1ELi1EEEJNS0_4TanhIfEEEEEvT_T0_DpT1_.has_recursion, 0
	.set _ZN2at6native12_GLOBAL__N_125multi_tensor_apply_kernelINS1_18TensorListMetadataILi2EEENS1_14UnaryOpFunctorIN3c104HalfELi2ELi1ELi1EEEJNS0_4TanhIfEEEEEvT_T0_DpT1_.has_indirect_call, 0
	.section	.AMDGPU.csdata,"",@progbits
; Kernel info:
; codeLenInByte = 3316
; TotalNumSgprs: 22
; NumVgprs: 39
; ScratchSize: 0
; MemoryBound: 0
; FloatMode: 240
; IeeeMode: 1
; LDSByteSize: 0 bytes/workgroup (compile time only)
; SGPRBlocks: 0
; VGPRBlocks: 2
; NumSGPRsForWavesPerEU: 22
; NumVGPRsForWavesPerEU: 39
; NamedBarCnt: 0
; Occupancy: 16
; WaveLimiterHint : 0
; COMPUTE_PGM_RSRC2:SCRATCH_EN: 0
; COMPUTE_PGM_RSRC2:USER_SGPR: 2
; COMPUTE_PGM_RSRC2:TRAP_HANDLER: 0
; COMPUTE_PGM_RSRC2:TGID_X_EN: 1
; COMPUTE_PGM_RSRC2:TGID_Y_EN: 0
; COMPUTE_PGM_RSRC2:TGID_Z_EN: 0
; COMPUTE_PGM_RSRC2:TIDIG_COMP_CNT: 0
	.section	.text._ZN2at6native12_GLOBAL__N_125multi_tensor_apply_kernelINS1_18TensorListMetadataILi2EEENS1_14UnaryOpFunctorIN3c108BFloat16ELi2ELi1ELi1EEEJNS0_4TanhIfEEEEEvT_T0_DpT1_,"axG",@progbits,_ZN2at6native12_GLOBAL__N_125multi_tensor_apply_kernelINS1_18TensorListMetadataILi2EEENS1_14UnaryOpFunctorIN3c108BFloat16ELi2ELi1ELi1EEEJNS0_4TanhIfEEEEEvT_T0_DpT1_,comdat
	.globl	_ZN2at6native12_GLOBAL__N_125multi_tensor_apply_kernelINS1_18TensorListMetadataILi2EEENS1_14UnaryOpFunctorIN3c108BFloat16ELi2ELi1ELi1EEEJNS0_4TanhIfEEEEEvT_T0_DpT1_ ; -- Begin function _ZN2at6native12_GLOBAL__N_125multi_tensor_apply_kernelINS1_18TensorListMetadataILi2EEENS1_14UnaryOpFunctorIN3c108BFloat16ELi2ELi1ELi1EEEJNS0_4TanhIfEEEEEvT_T0_DpT1_
	.p2align	8
	.type	_ZN2at6native12_GLOBAL__N_125multi_tensor_apply_kernelINS1_18TensorListMetadataILi2EEENS1_14UnaryOpFunctorIN3c108BFloat16ELi2ELi1ELi1EEEJNS0_4TanhIfEEEEEvT_T0_DpT1_,@function
_ZN2at6native12_GLOBAL__N_125multi_tensor_apply_kernelINS1_18TensorListMetadataILi2EEENS1_14UnaryOpFunctorIN3c108BFloat16ELi2ELi1ELi1EEEJNS0_4TanhIfEEEEEvT_T0_DpT1_: ; @_ZN2at6native12_GLOBAL__N_125multi_tensor_apply_kernelINS1_18TensorListMetadataILi2EEENS1_14UnaryOpFunctorIN3c108BFloat16ELi2ELi1ELi1EEEJNS0_4TanhIfEEEEEvT_T0_DpT1_
; %bb.0:
	s_bfe_u32 s2, ttmp6, 0x4000c
	s_and_b32 s3, ttmp6, 15
	s_add_co_i32 s2, s2, 1
	s_getreg_b32 s4, hwreg(HW_REG_IB_STS2, 6, 4)
	s_mul_i32 s2, ttmp9, s2
	s_mov_b32 s7, 0
	s_add_co_i32 s3, s3, s2
	s_cmp_eq_u32 s4, 0
	s_mov_b32 s15, s7
	s_cselect_b32 s6, ttmp9, s3
	s_load_u8 s11, s[0:1], s6 offset:0x600
	s_add_nc_u64 s[2:3], s[0:1], s[6:7]
	s_mul_u64 s[4:5], s[6:7], 3
	s_delay_alu instid0(SALU_CYCLE_1)
	s_add_nc_u64 s[4:5], s[2:3], s[4:5]
	s_load_b32 s10, s[4:5], 0x740
	s_wait_kmcnt 0x0
	s_clause 0x2
	s_load_b64 s[2:3], s[0:1], s11 offset:0x0 scale_offset
	s_load_b64 s[8:9], s[0:1], s11 offset:0x200 scale_offset
	;; [unrolled: 1-line block ×3, first 2 shown]
	s_wait_xcnt 0x0
	s_ashr_i32 s11, s10, 31
	s_delay_alu instid0(SALU_CYCLE_1)
	s_lshl_b64 s[4:5], s[10:11], 17
	s_wait_kmcnt 0x0
	s_and_b64 s[18:19], s[8:9], 7
	s_add_nc_u64 s[16:17], s[2:3], s[4:5]
	s_and_b32 s14, s12, 3
	s_and_b32 s6, s16, 7
	s_or_b64 s[14:15], s[18:19], s[14:15]
	s_lshl_b64 s[10:11], s[10:11], 16
	s_or_b64 s[14:15], s[14:15], s[6:7]
	s_sub_nc_u64 s[6:7], s[12:13], s[10:11]
	s_cmp_eq_u64 s[14:15], 0
	s_mov_b32 s10, -1
	s_cbranch_scc0 .LBB158_21
; %bb.1:
	v_min_i64 v[2:3], 0x10000, s[6:7]
	v_dual_mov_b32 v5, 0 :: v_dual_lshlrev_b32 v4, 2, v0
	s_mov_b32 s14, exec_lo
	s_delay_alu instid0(VALU_DEP_1)
	v_cmpx_lt_i64_e64 v[4:5], v[2:3]
	s_cbranch_execz .LBB158_20
; %bb.2:
	s_load_b32 s10, s[0:1], 0xc5c
	v_dual_mov_b32 v1, v5 :: v_dual_lshlrev_b32 v4, 3, v0
	s_mov_b32 s11, 0
	s_mov_b32 s15, 0xbbbac73d
	;; [unrolled: 1-line block ×3, first 2 shown]
	s_delay_alu instid0(VALU_DEP_1) | instskip(SKIP_4) | instid1(SALU_CYCLE_1)
	v_add_nc_u64_e32 v[4:5], s[4:5], v[4:5]
	v_mov_b64_e32 v[6:7], v[0:1]
	s_mov_b32 s16, s11
	s_wait_kmcnt 0x0
	s_and_b32 s10, s10, 0xffff
	s_lshl_b32 s12, s10, 3
	s_branch .LBB158_4
.LBB158_3:                              ;   in Loop: Header=BB158_4 Depth=1
	s_or_b32 exec_lo, exec_lo, s17
	v_bfi_b32 v11, 0x7fffffff, v12, v11
	v_bfi_b32 v12, 0x7fffffff, v13, v8
	;; [unrolled: 1-line block ×4, first 2 shown]
	v_add_nc_u64_e32 v[6:7], s[10:11], v[6:7]
	v_bfe_u32 v8, v11, 16, 1
	v_bfe_u32 v9, v12, 16, 1
	;; [unrolled: 1-line block ×4, first 2 shown]
	v_cmp_o_f32_e32 vcc_lo, v11, v11
	v_add3_u32 v8, v11, v8, 0x7fff
	v_add3_u32 v9, v12, v9, 0x7fff
	;; [unrolled: 1-line block ×4, first 2 shown]
	s_delay_alu instid0(VALU_DEP_4) | instskip(NEXT) | instid1(VALU_DEP_4)
	v_and_b32_e32 v8, 0xffff0000, v8
	v_lshrrev_b32_e32 v15, 16, v9
	s_delay_alu instid0(VALU_DEP_4) | instskip(NEXT) | instid1(VALU_DEP_4)
	v_lshrrev_b32_e32 v9, 16, v13
	v_and_b32_e32 v13, 0xffff0000, v14
	s_delay_alu instid0(VALU_DEP_4) | instskip(SKIP_1) | instid1(VALU_DEP_4)
	v_cndmask_b32_e32 v11, 0x7fc00000, v8, vcc_lo
	v_cmp_o_f32_e32 vcc_lo, v1, v1
	v_cndmask_b32_e32 v1, 0x7fc0, v9, vcc_lo
	v_cmp_o_f32_e32 vcc_lo, v10, v10
	v_lshlrev_b64_e32 v[8:9], 2, v[6:7]
	s_delay_alu instid0(VALU_DEP_3)
	v_or_b32_e32 v1, v11, v1
	v_cndmask_b32_e32 v10, 0x7fc00000, v13, vcc_lo
	v_cmp_o_f32_e32 vcc_lo, v12, v12
	v_cndmask_b32_e32 v12, 0x7fc0, v15, vcc_lo
	v_cmp_ge_i64_e32 vcc_lo, v[8:9], v[2:3]
	v_add_nc_u64_e32 v[8:9], s[8:9], v[4:5]
	v_add_nc_u64_e32 v[4:5], s[12:13], v[4:5]
	s_delay_alu instid0(VALU_DEP_4)
	v_or3_b32 v11, 0, v12, v10
	v_or3_b32 v10, v1, 0, 0
	s_or_b32 s16, vcc_lo, s16
	global_store_b64 v[8:9], v[10:11], off
	s_wait_xcnt 0x0
	s_and_not1_b32 exec_lo, exec_lo, s16
	s_cbranch_execz .LBB158_20
.LBB158_4:                              ; =>This Inner Loop Header: Depth=1
	v_add_nc_u64_e32 v[8:9], s[2:3], v[4:5]
                                        ; implicit-def: $vgpr10
	global_load_b64 v[8:9], v[8:9], off
	s_wait_loadcnt 0x0
	v_lshlrev_b32_e32 v1, 16, v8
	s_delay_alu instid0(VALU_DEP_1) | instskip(SKIP_2) | instid1(SALU_CYCLE_1)
	v_cmp_ngt_f32_e64 s17, 0x3f200000, |v1|
	s_wait_xcnt 0x0
	s_and_saveexec_b32 s18, s17
	s_xor_b32 s17, exec_lo, s18
	s_cbranch_execz .LBB158_6
; %bb.5:                                ;   in Loop: Header=BB158_4 Depth=1
	v_add_f32_e64 v10, |v1|, |v1|
	s_delay_alu instid0(VALU_DEP_1) | instskip(SKIP_1) | instid1(VALU_DEP_2)
	v_mul_f32_e32 v11, 0x3fb8aa3b, v10
	v_cmp_ngt_f32_e32 vcc_lo, 0xc2ce8ed0, v10
	v_rndne_f32_e32 v12, v11
	v_fma_f32 v13, 0x3fb8aa3b, v10, -v11
	s_delay_alu instid0(VALU_DEP_2) | instskip(NEXT) | instid1(VALU_DEP_2)
	v_sub_f32_e32 v11, v11, v12
	v_fmac_f32_e32 v13, 0x32a5705f, v10
	v_cvt_i32_f32_e32 v12, v12
	s_delay_alu instid0(VALU_DEP_2) | instskip(NEXT) | instid1(VALU_DEP_1)
	v_add_f32_e32 v11, v11, v13
	v_exp_f32_e32 v11, v11
	v_nop
	s_delay_alu instid0(TRANS32_DEP_1) | instskip(NEXT) | instid1(VALU_DEP_1)
	v_ldexp_f32 v11, v11, v12
	v_cndmask_b32_e32 v11, 0, v11, vcc_lo
	v_cmp_nlt_f32_e32 vcc_lo, 0x42b17218, v10
	s_delay_alu instid0(VALU_DEP_2) | instskip(NEXT) | instid1(VALU_DEP_1)
	v_cndmask_b32_e32 v10, 0x7f800000, v11, vcc_lo
	v_add_f32_e32 v10, 1.0, v10
	s_delay_alu instid0(VALU_DEP_1) | instskip(SKIP_1) | instid1(TRANS32_DEP_1)
	v_rcp_f32_e32 v10, v10
	v_nop
	v_fma_f32 v10, v10, -2.0, 1.0
.LBB158_6:                              ;   in Loop: Header=BB158_4 Depth=1
	s_and_not1_saveexec_b32 s17, s17
	s_cbranch_execz .LBB158_8
; %bb.7:                                ;   in Loop: Header=BB158_4 Depth=1
	v_mul_f32_e32 v10, v1, v1
	s_delay_alu instid0(VALU_DEP_1) | instskip(NEXT) | instid1(VALU_DEP_1)
	v_fmaak_f32 v11, s15, v10, 0x3ca908c9
	v_fmaak_f32 v11, v10, v11, 0xbd5c1c4e
	s_delay_alu instid0(VALU_DEP_1) | instskip(NEXT) | instid1(VALU_DEP_1)
	v_fmaak_f32 v11, v10, v11, 0x3e088382
	v_fmaak_f32 v11, v10, v11, 0xbeaaaa99
	s_delay_alu instid0(VALU_DEP_1) | instskip(NEXT) | instid1(VALU_DEP_1)
	v_mul_f32_e64 v11, |v1|, v11
	v_fma_f32 v10, v10, v11, |v1|
.LBB158_8:                              ;   in Loop: Header=BB158_4 Depth=1
	s_or_b32 exec_lo, exec_lo, s17
	v_and_b32_e32 v11, 0xffff0000, v8
                                        ; implicit-def: $vgpr12
	s_delay_alu instid0(VALU_DEP_1) | instskip(SKIP_1) | instid1(SALU_CYCLE_1)
	v_cmp_ngt_f32_e64 s17, 0x3f200000, |v11|
	s_and_saveexec_b32 s18, s17
	s_xor_b32 s17, exec_lo, s18
	s_cbranch_execz .LBB158_10
; %bb.9:                                ;   in Loop: Header=BB158_4 Depth=1
	v_add_f32_e64 v12, |v11|, |v11|
	s_delay_alu instid0(VALU_DEP_1) | instskip(SKIP_1) | instid1(VALU_DEP_2)
	v_mul_f32_e32 v13, 0x3fb8aa3b, v12
	v_cmp_ngt_f32_e32 vcc_lo, 0xc2ce8ed0, v12
	v_rndne_f32_e32 v14, v13
	v_fma_f32 v15, 0x3fb8aa3b, v12, -v13
	s_delay_alu instid0(VALU_DEP_2) | instskip(NEXT) | instid1(VALU_DEP_2)
	v_sub_f32_e32 v13, v13, v14
	v_fmac_f32_e32 v15, 0x32a5705f, v12
	v_cvt_i32_f32_e32 v14, v14
	s_delay_alu instid0(VALU_DEP_2) | instskip(NEXT) | instid1(VALU_DEP_1)
	v_add_f32_e32 v13, v13, v15
	v_exp_f32_e32 v13, v13
	v_nop
	s_delay_alu instid0(TRANS32_DEP_1) | instskip(NEXT) | instid1(VALU_DEP_1)
	v_ldexp_f32 v13, v13, v14
	v_cndmask_b32_e32 v13, 0, v13, vcc_lo
	v_cmp_nlt_f32_e32 vcc_lo, 0x42b17218, v12
	s_delay_alu instid0(VALU_DEP_2) | instskip(NEXT) | instid1(VALU_DEP_1)
	v_cndmask_b32_e32 v12, 0x7f800000, v13, vcc_lo
	v_add_f32_e32 v12, 1.0, v12
	s_delay_alu instid0(VALU_DEP_1) | instskip(SKIP_1) | instid1(TRANS32_DEP_1)
	v_rcp_f32_e32 v12, v12
	v_nop
	v_fma_f32 v12, v12, -2.0, 1.0
.LBB158_10:                             ;   in Loop: Header=BB158_4 Depth=1
	s_and_not1_saveexec_b32 s17, s17
	s_cbranch_execz .LBB158_12
; %bb.11:                               ;   in Loop: Header=BB158_4 Depth=1
	v_mul_f32_e32 v12, v11, v11
	s_delay_alu instid0(VALU_DEP_1) | instskip(NEXT) | instid1(VALU_DEP_1)
	v_fmaak_f32 v13, s15, v12, 0x3ca908c9
	v_fmaak_f32 v13, v12, v13, 0xbd5c1c4e
	s_delay_alu instid0(VALU_DEP_1) | instskip(NEXT) | instid1(VALU_DEP_1)
	v_fmaak_f32 v13, v12, v13, 0x3e088382
	v_fmaak_f32 v13, v12, v13, 0xbeaaaa99
	s_delay_alu instid0(VALU_DEP_1) | instskip(NEXT) | instid1(VALU_DEP_1)
	v_mul_f32_e64 v13, |v11|, v13
	v_fma_f32 v12, v12, v13, |v11|
.LBB158_12:                             ;   in Loop: Header=BB158_4 Depth=1
	s_or_b32 exec_lo, exec_lo, s17
	v_alignbit_b32 v8, v9, v8, 16
                                        ; implicit-def: $vgpr13
	s_delay_alu instid0(VALU_DEP_1) | instskip(NEXT) | instid1(VALU_DEP_1)
	v_and_b32_e32 v8, 0xffff0000, v8
	v_cmp_ngt_f32_e64 s17, 0x3f200000, |v8|
	s_and_saveexec_b32 s18, s17
	s_delay_alu instid0(SALU_CYCLE_1)
	s_xor_b32 s17, exec_lo, s18
	s_cbranch_execz .LBB158_14
; %bb.13:                               ;   in Loop: Header=BB158_4 Depth=1
	v_add_f32_e64 v13, |v8|, |v8|
	s_delay_alu instid0(VALU_DEP_1) | instskip(SKIP_1) | instid1(VALU_DEP_2)
	v_mul_f32_e32 v14, 0x3fb8aa3b, v13
	v_cmp_ngt_f32_e32 vcc_lo, 0xc2ce8ed0, v13
	v_rndne_f32_e32 v15, v14
	v_fma_f32 v16, 0x3fb8aa3b, v13, -v14
	s_delay_alu instid0(VALU_DEP_2) | instskip(NEXT) | instid1(VALU_DEP_2)
	v_sub_f32_e32 v14, v14, v15
	v_fmac_f32_e32 v16, 0x32a5705f, v13
	v_cvt_i32_f32_e32 v15, v15
	s_delay_alu instid0(VALU_DEP_2) | instskip(NEXT) | instid1(VALU_DEP_1)
	v_add_f32_e32 v14, v14, v16
	v_exp_f32_e32 v14, v14
	v_nop
	s_delay_alu instid0(TRANS32_DEP_1) | instskip(NEXT) | instid1(VALU_DEP_1)
	v_ldexp_f32 v14, v14, v15
	v_cndmask_b32_e32 v14, 0, v14, vcc_lo
	v_cmp_nlt_f32_e32 vcc_lo, 0x42b17218, v13
	s_delay_alu instid0(VALU_DEP_2) | instskip(NEXT) | instid1(VALU_DEP_1)
	v_cndmask_b32_e32 v13, 0x7f800000, v14, vcc_lo
	v_add_f32_e32 v13, 1.0, v13
	s_delay_alu instid0(VALU_DEP_1) | instskip(SKIP_1) | instid1(TRANS32_DEP_1)
	v_rcp_f32_e32 v13, v13
	v_nop
	v_fma_f32 v13, v13, -2.0, 1.0
.LBB158_14:                             ;   in Loop: Header=BB158_4 Depth=1
	s_and_not1_saveexec_b32 s17, s17
	s_cbranch_execz .LBB158_16
; %bb.15:                               ;   in Loop: Header=BB158_4 Depth=1
	v_mul_f32_e32 v13, v8, v8
	s_delay_alu instid0(VALU_DEP_1) | instskip(NEXT) | instid1(VALU_DEP_1)
	v_fmaak_f32 v14, s15, v13, 0x3ca908c9
	v_fmaak_f32 v14, v13, v14, 0xbd5c1c4e
	s_delay_alu instid0(VALU_DEP_1) | instskip(NEXT) | instid1(VALU_DEP_1)
	v_fmaak_f32 v14, v13, v14, 0x3e088382
	v_fmaak_f32 v14, v13, v14, 0xbeaaaa99
	s_delay_alu instid0(VALU_DEP_1) | instskip(NEXT) | instid1(VALU_DEP_1)
	v_mul_f32_e64 v14, |v8|, v14
	v_fma_f32 v13, v13, v14, |v8|
.LBB158_16:                             ;   in Loop: Header=BB158_4 Depth=1
	s_or_b32 exec_lo, exec_lo, s17
	v_and_b32_e32 v9, 0xffff0000, v9
                                        ; implicit-def: $vgpr14
	s_delay_alu instid0(VALU_DEP_1) | instskip(SKIP_1) | instid1(SALU_CYCLE_1)
	v_cmp_ngt_f32_e64 s17, 0x3f200000, |v9|
	s_and_saveexec_b32 s18, s17
	s_xor_b32 s17, exec_lo, s18
	s_cbranch_execz .LBB158_18
; %bb.17:                               ;   in Loop: Header=BB158_4 Depth=1
	v_add_f32_e64 v14, |v9|, |v9|
	s_delay_alu instid0(VALU_DEP_1) | instskip(SKIP_1) | instid1(VALU_DEP_2)
	v_mul_f32_e32 v15, 0x3fb8aa3b, v14
	v_cmp_ngt_f32_e32 vcc_lo, 0xc2ce8ed0, v14
	v_rndne_f32_e32 v16, v15
	v_fma_f32 v17, 0x3fb8aa3b, v14, -v15
	s_delay_alu instid0(VALU_DEP_2) | instskip(NEXT) | instid1(VALU_DEP_2)
	v_sub_f32_e32 v15, v15, v16
	v_fmac_f32_e32 v17, 0x32a5705f, v14
	v_cvt_i32_f32_e32 v16, v16
	s_delay_alu instid0(VALU_DEP_2) | instskip(NEXT) | instid1(VALU_DEP_1)
	v_add_f32_e32 v15, v15, v17
	v_exp_f32_e32 v15, v15
	v_nop
	s_delay_alu instid0(TRANS32_DEP_1) | instskip(NEXT) | instid1(VALU_DEP_1)
	v_ldexp_f32 v15, v15, v16
	v_cndmask_b32_e32 v15, 0, v15, vcc_lo
	v_cmp_nlt_f32_e32 vcc_lo, 0x42b17218, v14
	s_delay_alu instid0(VALU_DEP_2) | instskip(NEXT) | instid1(VALU_DEP_1)
	v_cndmask_b32_e32 v14, 0x7f800000, v15, vcc_lo
	v_add_f32_e32 v14, 1.0, v14
	s_delay_alu instid0(VALU_DEP_1) | instskip(SKIP_1) | instid1(TRANS32_DEP_1)
	v_rcp_f32_e32 v14, v14
	v_nop
	v_fma_f32 v14, v14, -2.0, 1.0
.LBB158_18:                             ;   in Loop: Header=BB158_4 Depth=1
	s_and_not1_saveexec_b32 s17, s17
	s_cbranch_execz .LBB158_3
; %bb.19:                               ;   in Loop: Header=BB158_4 Depth=1
	v_mul_f32_e32 v14, v9, v9
	s_delay_alu instid0(VALU_DEP_1) | instskip(NEXT) | instid1(VALU_DEP_1)
	v_fmaak_f32 v15, s15, v14, 0x3ca908c9
	v_fmaak_f32 v15, v14, v15, 0xbd5c1c4e
	s_delay_alu instid0(VALU_DEP_1) | instskip(NEXT) | instid1(VALU_DEP_1)
	v_fmaak_f32 v15, v14, v15, 0x3e088382
	v_fmaak_f32 v15, v14, v15, 0xbeaaaa99
	s_delay_alu instid0(VALU_DEP_1) | instskip(NEXT) | instid1(VALU_DEP_1)
	v_mul_f32_e64 v15, |v9|, v15
	v_fma_f32 v14, v14, v15, |v9|
	s_branch .LBB158_3
.LBB158_20:
	s_or_b32 exec_lo, exec_lo, s14
	s_mov_b32 s10, 0
.LBB158_21:
	s_delay_alu instid0(SALU_CYCLE_1)
	s_and_not1_b32 vcc_lo, exec_lo, s10
	s_cbranch_vccnz .LBB158_57
; %bb.22:
	v_cmp_lt_i64_e64 s10, s[6:7], 1
	s_and_b32 vcc_lo, exec_lo, s10
	s_cbranch_vccnz .LBB158_57
; %bb.23:
	s_load_b32 s0, s[0:1], 0xc5c
	v_min_i64 v[2:3], 0x10000, s[6:7]
	v_min_u64 v[4:5], 0x10000, s[6:7]
	v_dual_mov_b32 v1, 0 :: v_dual_lshlrev_b32 v10, 1, v0
	s_wait_xcnt 0x0
	s_mov_b32 s1, 0
	s_delay_alu instid0(SALU_CYCLE_1) | instskip(NEXT) | instid1(VALU_DEP_1)
	s_mov_b32 s7, s1
	v_dual_mov_b32 v11, v1 :: v_dual_mov_b32 v27, v1
	s_mov_b32 s11, s1
	s_mov_b32 s13, s1
	s_delay_alu instid0(VALU_DEP_1) | instskip(SKIP_2) | instid1(SALU_CYCLE_1)
	v_add_nc_u64_e32 v[6:7], s[2:3], v[10:11]
	s_wait_kmcnt 0x0
	s_and_b32 s0, s0, 0xffff
	v_add_nc_u64_e32 v[8:9], s[0:1], v[0:1]
	v_mad_nc_u64_u32 v[22:23], s0, 6, v[10:11]
	s_lshl_b32 s6, s0, 2
	s_mul_i32 s12, s0, 3
	v_add_nc_u64_e32 v[18:19], s[6:7], v[10:11]
	s_lshl_b32 s10, s0, 1
	v_add_nc_u64_e32 v[10:11], s[8:9], v[10:11]
	v_lshlrev_b32_e32 v26, 1, v8
	v_add_nc_u64_e32 v[12:13], s[12:13], v[0:1]
	v_add_nc_u64_e32 v[14:15], s[10:11], v[0:1]
	s_mov_b64 s[10:11], 0
	v_add_nc_u64_e32 v[16:17], s[2:3], v[18:19]
	v_add_nc_u64_e32 v[18:19], s[8:9], v[18:19]
	;; [unrolled: 1-line block ×6, first 2 shown]
	s_lshl_b32 s8, s0, 3
	s_mov_b32 s9, s1
	s_mov_b32 s12, 0xbbbac73d
	s_branch .LBB158_25
.LBB158_24:                             ;   in Loop: Header=BB158_25 Depth=1
	s_wait_xcnt 0x0
	s_or_b32 exec_lo, exec_lo, s0
	s_add_nc_u64 s[10:11], s[10:11], s[6:7]
	v_add_nc_u64_e32 v[6:7], s[8:9], v[6:7]
	v_cmp_ge_i64_e32 vcc_lo, s[10:11], v[2:3]
	v_add_nc_u64_e32 v[10:11], s[8:9], v[10:11]
	v_add_nc_u64_e32 v[20:21], s[8:9], v[20:21]
	;; [unrolled: 1-line block ×7, first 2 shown]
	s_cbranch_vccnz .LBB158_57
.LBB158_25:                             ; =>This Inner Loop Header: Depth=1
	v_add_nc_u64_e32 v[28:29], s[10:11], v[0:1]
	v_mov_b32_e32 v31, 0
	s_delay_alu instid0(VALU_DEP_2)
	v_cmp_lt_u64_e64 s2, v[28:29], v[4:5]
	s_and_saveexec_b32 s0, s2
	s_cbranch_execz .LBB158_27
; %bb.26:                               ;   in Loop: Header=BB158_25 Depth=1
	v_add_nc_u64_e32 v[28:29], s[4:5], v[6:7]
	global_load_u16 v28, v[28:29], off
	s_wait_loadcnt 0x0
	v_lshlrev_b32_e32 v31, 16, v28
.LBB158_27:                             ;   in Loop: Header=BB158_25 Depth=1
	s_wait_xcnt 0x0
	s_or_b32 exec_lo, exec_lo, s0
	v_add_nc_u64_e32 v[28:29], s[10:11], v[8:9]
	v_mov_b32_e32 v30, 0
	s_delay_alu instid0(VALU_DEP_2)
	v_cmp_lt_u64_e64 s1, v[28:29], v[4:5]
	v_mov_b32_e32 v28, 0
	s_and_saveexec_b32 s0, s1
	s_cbranch_execz .LBB158_29
; %bb.28:                               ;   in Loop: Header=BB158_25 Depth=1
	v_add_nc_u64_e32 v[32:33], s[4:5], v[24:25]
	global_load_u16 v29, v[32:33], off
	s_wait_loadcnt 0x0
	v_lshlrev_b32_e32 v30, 16, v29
.LBB158_29:                             ;   in Loop: Header=BB158_25 Depth=1
	s_wait_xcnt 0x0
	s_or_b32 exec_lo, exec_lo, s0
	v_add_nc_u64_e32 v[32:33], s[10:11], v[14:15]
	s_delay_alu instid0(VALU_DEP_1)
	v_cmp_lt_u64_e64 s0, v[32:33], v[4:5]
	s_and_saveexec_b32 s3, s0
	s_cbranch_execz .LBB158_31
; %bb.30:                               ;   in Loop: Header=BB158_25 Depth=1
	v_add_nc_u64_e32 v[28:29], s[4:5], v[16:17]
	global_load_u16 v28, v[28:29], off
	s_wait_loadcnt 0x0
	v_lshlrev_b32_e32 v28, 16, v28
.LBB158_31:                             ;   in Loop: Header=BB158_25 Depth=1
	s_or_b32 exec_lo, exec_lo, s3
	v_add_nc_u64_e32 v[32:33], s[10:11], v[12:13]
	v_mov_b32_e32 v29, 0
	s_delay_alu instid0(VALU_DEP_2)
	v_cmp_lt_u64_e32 vcc_lo, v[32:33], v[4:5]
	s_and_saveexec_b32 s3, vcc_lo
	s_cbranch_execz .LBB158_33
; %bb.32:                               ;   in Loop: Header=BB158_25 Depth=1
	v_add_nc_u64_e32 v[32:33], s[4:5], v[20:21]
	global_load_u16 v29, v[32:33], off
	s_wait_loadcnt 0x0
	v_lshlrev_b32_e32 v29, 16, v29
.LBB158_33:                             ;   in Loop: Header=BB158_25 Depth=1
	s_wait_xcnt 0x0
	s_or_b32 exec_lo, exec_lo, s3
	s_delay_alu instid0(SALU_CYCLE_1)
	s_mov_b32 s13, exec_lo
                                        ; implicit-def: $vgpr32
	v_cmpx_ngt_f32_e64 0x3f200000, |v31|
	s_xor_b32 s13, exec_lo, s13
	s_cbranch_execz .LBB158_35
; %bb.34:                               ;   in Loop: Header=BB158_25 Depth=1
	v_add_f32_e64 v32, |v31|, |v31|
	s_delay_alu instid0(VALU_DEP_1) | instskip(SKIP_1) | instid1(VALU_DEP_2)
	v_mul_f32_e32 v33, 0x3fb8aa3b, v32
	v_cmp_ngt_f32_e64 s3, 0xc2ce8ed0, v32
	v_rndne_f32_e32 v34, v33
	v_fma_f32 v35, 0x3fb8aa3b, v32, -v33
	s_delay_alu instid0(VALU_DEP_2) | instskip(NEXT) | instid1(VALU_DEP_2)
	v_sub_f32_e32 v33, v33, v34
	v_fmac_f32_e32 v35, 0x32a5705f, v32
	v_cvt_i32_f32_e32 v34, v34
	s_delay_alu instid0(VALU_DEP_2) | instskip(NEXT) | instid1(VALU_DEP_1)
	v_add_f32_e32 v33, v33, v35
	v_exp_f32_e32 v33, v33
	v_nop
	s_delay_alu instid0(TRANS32_DEP_1) | instskip(NEXT) | instid1(VALU_DEP_1)
	v_ldexp_f32 v33, v33, v34
	v_cndmask_b32_e64 v33, 0, v33, s3
	v_cmp_nlt_f32_e64 s3, 0x42b17218, v32
	s_delay_alu instid0(VALU_DEP_1) | instskip(NEXT) | instid1(VALU_DEP_1)
	v_cndmask_b32_e64 v32, 0x7f800000, v33, s3
	v_add_f32_e32 v32, 1.0, v32
	s_delay_alu instid0(VALU_DEP_1) | instskip(SKIP_1) | instid1(TRANS32_DEP_1)
	v_rcp_f32_e32 v32, v32
	v_nop
	v_fma_f32 v32, v32, -2.0, 1.0
.LBB158_35:                             ;   in Loop: Header=BB158_25 Depth=1
	s_and_not1_saveexec_b32 s3, s13
	s_cbranch_execz .LBB158_37
; %bb.36:                               ;   in Loop: Header=BB158_25 Depth=1
	v_mul_f32_e32 v32, v31, v31
	s_delay_alu instid0(VALU_DEP_1) | instskip(NEXT) | instid1(VALU_DEP_1)
	v_fmaak_f32 v33, s12, v32, 0x3ca908c9
	v_fmaak_f32 v33, v32, v33, 0xbd5c1c4e
	s_delay_alu instid0(VALU_DEP_1) | instskip(NEXT) | instid1(VALU_DEP_1)
	v_fmaak_f32 v33, v32, v33, 0x3e088382
	v_fmaak_f32 v33, v32, v33, 0xbeaaaa99
	s_delay_alu instid0(VALU_DEP_1) | instskip(NEXT) | instid1(VALU_DEP_1)
	v_mul_f32_e64 v33, |v31|, v33
	v_fma_f32 v32, v32, v33, |v31|
.LBB158_37:                             ;   in Loop: Header=BB158_25 Depth=1
	s_or_b32 exec_lo, exec_lo, s3
	s_delay_alu instid0(SALU_CYCLE_1)
	s_mov_b32 s13, exec_lo
                                        ; implicit-def: $vgpr33
	v_cmpx_ngt_f32_e64 0x3f200000, |v30|
	s_xor_b32 s13, exec_lo, s13
	s_cbranch_execz .LBB158_39
; %bb.38:                               ;   in Loop: Header=BB158_25 Depth=1
	v_add_f32_e64 v33, |v30|, |v30|
	s_delay_alu instid0(VALU_DEP_1) | instskip(SKIP_1) | instid1(VALU_DEP_2)
	v_mul_f32_e32 v34, 0x3fb8aa3b, v33
	v_cmp_ngt_f32_e64 s3, 0xc2ce8ed0, v33
	v_rndne_f32_e32 v35, v34
	v_fma_f32 v36, 0x3fb8aa3b, v33, -v34
	s_delay_alu instid0(VALU_DEP_2) | instskip(NEXT) | instid1(VALU_DEP_2)
	v_sub_f32_e32 v34, v34, v35
	v_fmac_f32_e32 v36, 0x32a5705f, v33
	v_cvt_i32_f32_e32 v35, v35
	s_delay_alu instid0(VALU_DEP_2) | instskip(NEXT) | instid1(VALU_DEP_1)
	v_add_f32_e32 v34, v34, v36
	v_exp_f32_e32 v34, v34
	v_nop
	s_delay_alu instid0(TRANS32_DEP_1) | instskip(NEXT) | instid1(VALU_DEP_1)
	v_ldexp_f32 v34, v34, v35
	v_cndmask_b32_e64 v34, 0, v34, s3
	v_cmp_nlt_f32_e64 s3, 0x42b17218, v33
	s_delay_alu instid0(VALU_DEP_1) | instskip(NEXT) | instid1(VALU_DEP_1)
	v_cndmask_b32_e64 v33, 0x7f800000, v34, s3
	v_add_f32_e32 v33, 1.0, v33
	s_delay_alu instid0(VALU_DEP_1) | instskip(SKIP_1) | instid1(TRANS32_DEP_1)
	v_rcp_f32_e32 v33, v33
	v_nop
	v_fma_f32 v33, v33, -2.0, 1.0
.LBB158_39:                             ;   in Loop: Header=BB158_25 Depth=1
	s_and_not1_saveexec_b32 s3, s13
	s_cbranch_execz .LBB158_41
; %bb.40:                               ;   in Loop: Header=BB158_25 Depth=1
	v_mul_f32_e32 v33, v30, v30
	s_delay_alu instid0(VALU_DEP_1) | instskip(NEXT) | instid1(VALU_DEP_1)
	v_fmaak_f32 v34, s12, v33, 0x3ca908c9
	v_fmaak_f32 v34, v33, v34, 0xbd5c1c4e
	s_delay_alu instid0(VALU_DEP_1) | instskip(NEXT) | instid1(VALU_DEP_1)
	v_fmaak_f32 v34, v33, v34, 0x3e088382
	v_fmaak_f32 v34, v33, v34, 0xbeaaaa99
	s_delay_alu instid0(VALU_DEP_1) | instskip(NEXT) | instid1(VALU_DEP_1)
	v_mul_f32_e64 v34, |v30|, v34
	v_fma_f32 v33, v33, v34, |v30|
.LBB158_41:                             ;   in Loop: Header=BB158_25 Depth=1
	s_or_b32 exec_lo, exec_lo, s3
	s_delay_alu instid0(SALU_CYCLE_1)
	s_mov_b32 s13, exec_lo
                                        ; implicit-def: $vgpr34
	v_cmpx_ngt_f32_e64 0x3f200000, |v28|
	s_xor_b32 s13, exec_lo, s13
	s_cbranch_execz .LBB158_43
; %bb.42:                               ;   in Loop: Header=BB158_25 Depth=1
	v_add_f32_e64 v34, |v28|, |v28|
	s_delay_alu instid0(VALU_DEP_1) | instskip(SKIP_1) | instid1(VALU_DEP_2)
	v_mul_f32_e32 v35, 0x3fb8aa3b, v34
	v_cmp_ngt_f32_e64 s3, 0xc2ce8ed0, v34
	v_rndne_f32_e32 v36, v35
	v_fma_f32 v37, 0x3fb8aa3b, v34, -v35
	s_delay_alu instid0(VALU_DEP_2) | instskip(NEXT) | instid1(VALU_DEP_2)
	v_sub_f32_e32 v35, v35, v36
	v_fmac_f32_e32 v37, 0x32a5705f, v34
	v_cvt_i32_f32_e32 v36, v36
	s_delay_alu instid0(VALU_DEP_2) | instskip(NEXT) | instid1(VALU_DEP_1)
	v_add_f32_e32 v35, v35, v37
	v_exp_f32_e32 v35, v35
	v_nop
	s_delay_alu instid0(TRANS32_DEP_1) | instskip(NEXT) | instid1(VALU_DEP_1)
	v_ldexp_f32 v35, v35, v36
	v_cndmask_b32_e64 v35, 0, v35, s3
	v_cmp_nlt_f32_e64 s3, 0x42b17218, v34
	s_delay_alu instid0(VALU_DEP_1) | instskip(NEXT) | instid1(VALU_DEP_1)
	v_cndmask_b32_e64 v34, 0x7f800000, v35, s3
	v_add_f32_e32 v34, 1.0, v34
	s_delay_alu instid0(VALU_DEP_1) | instskip(SKIP_1) | instid1(TRANS32_DEP_1)
	v_rcp_f32_e32 v34, v34
	v_nop
	v_fma_f32 v34, v34, -2.0, 1.0
.LBB158_43:                             ;   in Loop: Header=BB158_25 Depth=1
	s_and_not1_saveexec_b32 s3, s13
	s_cbranch_execz .LBB158_45
; %bb.44:                               ;   in Loop: Header=BB158_25 Depth=1
	v_mul_f32_e32 v34, v28, v28
	s_delay_alu instid0(VALU_DEP_1) | instskip(NEXT) | instid1(VALU_DEP_1)
	v_fmaak_f32 v35, s12, v34, 0x3ca908c9
	v_fmaak_f32 v35, v34, v35, 0xbd5c1c4e
	s_delay_alu instid0(VALU_DEP_1) | instskip(NEXT) | instid1(VALU_DEP_1)
	v_fmaak_f32 v35, v34, v35, 0x3e088382
	v_fmaak_f32 v35, v34, v35, 0xbeaaaa99
	s_delay_alu instid0(VALU_DEP_1) | instskip(NEXT) | instid1(VALU_DEP_1)
	v_mul_f32_e64 v35, |v28|, v35
	v_fma_f32 v34, v34, v35, |v28|
.LBB158_45:                             ;   in Loop: Header=BB158_25 Depth=1
	s_or_b32 exec_lo, exec_lo, s3
	s_delay_alu instid0(SALU_CYCLE_1)
	s_mov_b32 s13, exec_lo
                                        ; implicit-def: $vgpr35
	v_cmpx_ngt_f32_e64 0x3f200000, |v29|
	s_xor_b32 s13, exec_lo, s13
	s_cbranch_execnz .LBB158_51
; %bb.46:                               ;   in Loop: Header=BB158_25 Depth=1
	s_and_not1_saveexec_b32 s3, s13
	s_cbranch_execnz .LBB158_52
.LBB158_47:                             ;   in Loop: Header=BB158_25 Depth=1
	s_or_b32 exec_lo, exec_lo, s3
	s_and_saveexec_b32 s3, s2
	s_delay_alu instid0(SALU_CYCLE_1)
	s_xor_b32 s3, exec_lo, s3
	s_cbranch_execnz .LBB158_53
.LBB158_48:                             ;   in Loop: Header=BB158_25 Depth=1
	s_or_b32 exec_lo, exec_lo, s3
	s_and_saveexec_b32 s2, s1
	s_cbranch_execnz .LBB158_54
.LBB158_49:                             ;   in Loop: Header=BB158_25 Depth=1
	s_or_b32 exec_lo, exec_lo, s2
	s_and_saveexec_b32 s1, s0
	s_cbranch_execnz .LBB158_55
.LBB158_50:                             ;   in Loop: Header=BB158_25 Depth=1
	s_or_b32 exec_lo, exec_lo, s1
	s_and_saveexec_b32 s0, vcc_lo
	s_cbranch_execz .LBB158_24
	s_branch .LBB158_56
.LBB158_51:                             ;   in Loop: Header=BB158_25 Depth=1
	v_add_f32_e64 v35, |v29|, |v29|
	s_delay_alu instid0(VALU_DEP_1) | instskip(SKIP_1) | instid1(VALU_DEP_2)
	v_mul_f32_e32 v36, 0x3fb8aa3b, v35
	v_cmp_ngt_f32_e64 s3, 0xc2ce8ed0, v35
	v_rndne_f32_e32 v37, v36
	v_fma_f32 v38, 0x3fb8aa3b, v35, -v36
	s_delay_alu instid0(VALU_DEP_2) | instskip(NEXT) | instid1(VALU_DEP_2)
	v_sub_f32_e32 v36, v36, v37
	v_fmac_f32_e32 v38, 0x32a5705f, v35
	v_cvt_i32_f32_e32 v37, v37
	s_delay_alu instid0(VALU_DEP_2) | instskip(NEXT) | instid1(VALU_DEP_1)
	v_add_f32_e32 v36, v36, v38
	v_exp_f32_e32 v36, v36
	v_nop
	s_delay_alu instid0(TRANS32_DEP_1) | instskip(NEXT) | instid1(VALU_DEP_1)
	v_ldexp_f32 v36, v36, v37
	v_cndmask_b32_e64 v36, 0, v36, s3
	v_cmp_nlt_f32_e64 s3, 0x42b17218, v35
	s_delay_alu instid0(VALU_DEP_1) | instskip(NEXT) | instid1(VALU_DEP_1)
	v_cndmask_b32_e64 v35, 0x7f800000, v36, s3
	v_add_f32_e32 v35, 1.0, v35
	s_delay_alu instid0(VALU_DEP_1) | instskip(SKIP_1) | instid1(TRANS32_DEP_1)
	v_rcp_f32_e32 v35, v35
	v_nop
	v_fma_f32 v35, v35, -2.0, 1.0
	s_and_not1_saveexec_b32 s3, s13
	s_cbranch_execz .LBB158_47
.LBB158_52:                             ;   in Loop: Header=BB158_25 Depth=1
	v_mul_f32_e32 v35, v29, v29
	s_delay_alu instid0(VALU_DEP_1) | instskip(NEXT) | instid1(VALU_DEP_1)
	v_fmaak_f32 v36, s12, v35, 0x3ca908c9
	v_fmaak_f32 v36, v35, v36, 0xbd5c1c4e
	s_delay_alu instid0(VALU_DEP_1) | instskip(NEXT) | instid1(VALU_DEP_1)
	v_fmaak_f32 v36, v35, v36, 0x3e088382
	v_fmaak_f32 v36, v35, v36, 0xbeaaaa99
	s_delay_alu instid0(VALU_DEP_1) | instskip(NEXT) | instid1(VALU_DEP_1)
	v_mul_f32_e64 v36, |v29|, v36
	v_fma_f32 v35, v35, v36, |v29|
	s_or_b32 exec_lo, exec_lo, s3
	s_and_saveexec_b32 s3, s2
	s_delay_alu instid0(SALU_CYCLE_1)
	s_xor_b32 s3, exec_lo, s3
	s_cbranch_execz .LBB158_48
.LBB158_53:                             ;   in Loop: Header=BB158_25 Depth=1
	v_bfi_b32 v31, 0x7fffffff, v32, v31
	v_add_nc_u64_e32 v[36:37], s[4:5], v[10:11]
	s_delay_alu instid0(VALU_DEP_2) | instskip(SKIP_1) | instid1(VALU_DEP_2)
	v_bfe_u32 v32, v31, 16, 1
	v_cmp_o_f32_e64 s2, v31, v31
	v_add3_u32 v32, v31, v32, 0x7fff
	s_delay_alu instid0(VALU_DEP_1) | instskip(NEXT) | instid1(VALU_DEP_1)
	v_lshrrev_b32_e32 v32, 16, v32
	v_cndmask_b32_e64 v31, 0x7fc0, v32, s2
	global_store_b16 v[36:37], v31, off
	s_wait_xcnt 0x0
	s_or_b32 exec_lo, exec_lo, s3
	s_and_saveexec_b32 s2, s1
	s_cbranch_execz .LBB158_49
.LBB158_54:                             ;   in Loop: Header=BB158_25 Depth=1
	v_bfi_b32 v32, 0x7fffffff, v33, v30
	s_delay_alu instid0(VALU_DEP_1) | instskip(SKIP_1) | instid1(VALU_DEP_2)
	v_bfe_u32 v30, v32, 16, 1
	v_cmp_o_f32_e64 s1, v32, v32
	v_add3_u32 v30, v32, v30, 0x7fff
	s_delay_alu instid0(VALU_DEP_1) | instskip(SKIP_1) | instid1(VALU_DEP_2)
	v_lshrrev_b32_e32 v33, 16, v30
	v_add_nc_u64_e32 v[30:31], s[4:5], v[26:27]
	v_cndmask_b32_e64 v32, 0x7fc0, v33, s1
	global_store_b16 v[30:31], v32, off
	s_wait_xcnt 0x0
	s_or_b32 exec_lo, exec_lo, s2
	s_and_saveexec_b32 s1, s0
	s_cbranch_execz .LBB158_50
.LBB158_55:                             ;   in Loop: Header=BB158_25 Depth=1
	v_bfi_b32 v28, 0x7fffffff, v34, v28
	s_delay_alu instid0(VALU_DEP_1) | instskip(SKIP_1) | instid1(VALU_DEP_2)
	v_bfe_u32 v30, v28, 16, 1
	v_cmp_o_f32_e64 s0, v28, v28
	v_add3_u32 v30, v28, v30, 0x7fff
	s_delay_alu instid0(VALU_DEP_1) | instskip(SKIP_1) | instid1(VALU_DEP_2)
	v_lshrrev_b32_e32 v32, 16, v30
	v_add_nc_u64_e32 v[30:31], s[4:5], v[18:19]
	v_cndmask_b32_e64 v28, 0x7fc0, v32, s0
	global_store_b16 v[30:31], v28, off
	s_wait_xcnt 0x0
	s_or_b32 exec_lo, exec_lo, s1
	s_and_saveexec_b32 s0, vcc_lo
	s_cbranch_execz .LBB158_24
.LBB158_56:                             ;   in Loop: Header=BB158_25 Depth=1
	v_bfi_b32 v30, 0x7fffffff, v35, v29
	s_delay_alu instid0(VALU_DEP_1) | instskip(SKIP_1) | instid1(VALU_DEP_2)
	v_bfe_u32 v28, v30, 16, 1
	v_cmp_o_f32_e32 vcc_lo, v30, v30
	v_add3_u32 v28, v30, v28, 0x7fff
	s_delay_alu instid0(VALU_DEP_1) | instskip(SKIP_1) | instid1(VALU_DEP_2)
	v_lshrrev_b32_e32 v31, 16, v28
	v_add_nc_u64_e32 v[28:29], s[4:5], v[22:23]
	v_cndmask_b32_e32 v30, 0x7fc0, v31, vcc_lo
	global_store_b16 v[28:29], v30, off
	s_branch .LBB158_24
.LBB158_57:
	s_endpgm
	.section	.rodata,"a",@progbits
	.p2align	6, 0x0
	.amdhsa_kernel _ZN2at6native12_GLOBAL__N_125multi_tensor_apply_kernelINS1_18TensorListMetadataILi2EEENS1_14UnaryOpFunctorIN3c108BFloat16ELi2ELi1ELi1EEEJNS0_4TanhIfEEEEEvT_T0_DpT1_
		.amdhsa_group_segment_fixed_size 0
		.amdhsa_private_segment_fixed_size 0
		.amdhsa_kernarg_size 3408
		.amdhsa_user_sgpr_count 2
		.amdhsa_user_sgpr_dispatch_ptr 0
		.amdhsa_user_sgpr_queue_ptr 0
		.amdhsa_user_sgpr_kernarg_segment_ptr 1
		.amdhsa_user_sgpr_dispatch_id 0
		.amdhsa_user_sgpr_kernarg_preload_length 0
		.amdhsa_user_sgpr_kernarg_preload_offset 0
		.amdhsa_user_sgpr_private_segment_size 0
		.amdhsa_wavefront_size32 1
		.amdhsa_uses_dynamic_stack 0
		.amdhsa_enable_private_segment 0
		.amdhsa_system_sgpr_workgroup_id_x 1
		.amdhsa_system_sgpr_workgroup_id_y 0
		.amdhsa_system_sgpr_workgroup_id_z 0
		.amdhsa_system_sgpr_workgroup_info 0
		.amdhsa_system_vgpr_workitem_id 0
		.amdhsa_next_free_vgpr 39
		.amdhsa_next_free_sgpr 20
		.amdhsa_named_barrier_count 0
		.amdhsa_reserve_vcc 1
		.amdhsa_float_round_mode_32 0
		.amdhsa_float_round_mode_16_64 0
		.amdhsa_float_denorm_mode_32 3
		.amdhsa_float_denorm_mode_16_64 3
		.amdhsa_fp16_overflow 0
		.amdhsa_memory_ordered 1
		.amdhsa_forward_progress 1
		.amdhsa_inst_pref_size 29
		.amdhsa_round_robin_scheduling 0
		.amdhsa_exception_fp_ieee_invalid_op 0
		.amdhsa_exception_fp_denorm_src 0
		.amdhsa_exception_fp_ieee_div_zero 0
		.amdhsa_exception_fp_ieee_overflow 0
		.amdhsa_exception_fp_ieee_underflow 0
		.amdhsa_exception_fp_ieee_inexact 0
		.amdhsa_exception_int_div_zero 0
	.end_amdhsa_kernel
	.section	.text._ZN2at6native12_GLOBAL__N_125multi_tensor_apply_kernelINS1_18TensorListMetadataILi2EEENS1_14UnaryOpFunctorIN3c108BFloat16ELi2ELi1ELi1EEEJNS0_4TanhIfEEEEEvT_T0_DpT1_,"axG",@progbits,_ZN2at6native12_GLOBAL__N_125multi_tensor_apply_kernelINS1_18TensorListMetadataILi2EEENS1_14UnaryOpFunctorIN3c108BFloat16ELi2ELi1ELi1EEEJNS0_4TanhIfEEEEEvT_T0_DpT1_,comdat
.Lfunc_end158:
	.size	_ZN2at6native12_GLOBAL__N_125multi_tensor_apply_kernelINS1_18TensorListMetadataILi2EEENS1_14UnaryOpFunctorIN3c108BFloat16ELi2ELi1ELi1EEEJNS0_4TanhIfEEEEEvT_T0_DpT1_, .Lfunc_end158-_ZN2at6native12_GLOBAL__N_125multi_tensor_apply_kernelINS1_18TensorListMetadataILi2EEENS1_14UnaryOpFunctorIN3c108BFloat16ELi2ELi1ELi1EEEJNS0_4TanhIfEEEEEvT_T0_DpT1_
                                        ; -- End function
	.set _ZN2at6native12_GLOBAL__N_125multi_tensor_apply_kernelINS1_18TensorListMetadataILi2EEENS1_14UnaryOpFunctorIN3c108BFloat16ELi2ELi1ELi1EEEJNS0_4TanhIfEEEEEvT_T0_DpT1_.num_vgpr, 39
	.set _ZN2at6native12_GLOBAL__N_125multi_tensor_apply_kernelINS1_18TensorListMetadataILi2EEENS1_14UnaryOpFunctorIN3c108BFloat16ELi2ELi1ELi1EEEJNS0_4TanhIfEEEEEvT_T0_DpT1_.num_agpr, 0
	.set _ZN2at6native12_GLOBAL__N_125multi_tensor_apply_kernelINS1_18TensorListMetadataILi2EEENS1_14UnaryOpFunctorIN3c108BFloat16ELi2ELi1ELi1EEEJNS0_4TanhIfEEEEEvT_T0_DpT1_.numbered_sgpr, 20
	.set _ZN2at6native12_GLOBAL__N_125multi_tensor_apply_kernelINS1_18TensorListMetadataILi2EEENS1_14UnaryOpFunctorIN3c108BFloat16ELi2ELi1ELi1EEEJNS0_4TanhIfEEEEEvT_T0_DpT1_.num_named_barrier, 0
	.set _ZN2at6native12_GLOBAL__N_125multi_tensor_apply_kernelINS1_18TensorListMetadataILi2EEENS1_14UnaryOpFunctorIN3c108BFloat16ELi2ELi1ELi1EEEJNS0_4TanhIfEEEEEvT_T0_DpT1_.private_seg_size, 0
	.set _ZN2at6native12_GLOBAL__N_125multi_tensor_apply_kernelINS1_18TensorListMetadataILi2EEENS1_14UnaryOpFunctorIN3c108BFloat16ELi2ELi1ELi1EEEJNS0_4TanhIfEEEEEvT_T0_DpT1_.uses_vcc, 1
	.set _ZN2at6native12_GLOBAL__N_125multi_tensor_apply_kernelINS1_18TensorListMetadataILi2EEENS1_14UnaryOpFunctorIN3c108BFloat16ELi2ELi1ELi1EEEJNS0_4TanhIfEEEEEvT_T0_DpT1_.uses_flat_scratch, 0
	.set _ZN2at6native12_GLOBAL__N_125multi_tensor_apply_kernelINS1_18TensorListMetadataILi2EEENS1_14UnaryOpFunctorIN3c108BFloat16ELi2ELi1ELi1EEEJNS0_4TanhIfEEEEEvT_T0_DpT1_.has_dyn_sized_stack, 0
	.set _ZN2at6native12_GLOBAL__N_125multi_tensor_apply_kernelINS1_18TensorListMetadataILi2EEENS1_14UnaryOpFunctorIN3c108BFloat16ELi2ELi1ELi1EEEJNS0_4TanhIfEEEEEvT_T0_DpT1_.has_recursion, 0
	.set _ZN2at6native12_GLOBAL__N_125multi_tensor_apply_kernelINS1_18TensorListMetadataILi2EEENS1_14UnaryOpFunctorIN3c108BFloat16ELi2ELi1ELi1EEEJNS0_4TanhIfEEEEEvT_T0_DpT1_.has_indirect_call, 0
	.section	.AMDGPU.csdata,"",@progbits
; Kernel info:
; codeLenInByte = 3612
; TotalNumSgprs: 22
; NumVgprs: 39
; ScratchSize: 0
; MemoryBound: 0
; FloatMode: 240
; IeeeMode: 1
; LDSByteSize: 0 bytes/workgroup (compile time only)
; SGPRBlocks: 0
; VGPRBlocks: 2
; NumSGPRsForWavesPerEU: 22
; NumVGPRsForWavesPerEU: 39
; NamedBarCnt: 0
; Occupancy: 16
; WaveLimiterHint : 0
; COMPUTE_PGM_RSRC2:SCRATCH_EN: 0
; COMPUTE_PGM_RSRC2:USER_SGPR: 2
; COMPUTE_PGM_RSRC2:TRAP_HANDLER: 0
; COMPUTE_PGM_RSRC2:TGID_X_EN: 1
; COMPUTE_PGM_RSRC2:TGID_Y_EN: 0
; COMPUTE_PGM_RSRC2:TGID_Z_EN: 0
; COMPUTE_PGM_RSRC2:TIDIG_COMP_CNT: 0
	.section	.text._ZN2at6native12_GLOBAL__N_125multi_tensor_apply_kernelINS1_18TensorListMetadataILi1EEENS1_14UnaryOpFunctorIdLi1ELi1ELi0EEEJNS0_4TanhIdEEEEEvT_T0_DpT1_,"axG",@progbits,_ZN2at6native12_GLOBAL__N_125multi_tensor_apply_kernelINS1_18TensorListMetadataILi1EEENS1_14UnaryOpFunctorIdLi1ELi1ELi0EEEJNS0_4TanhIdEEEEEvT_T0_DpT1_,comdat
	.globl	_ZN2at6native12_GLOBAL__N_125multi_tensor_apply_kernelINS1_18TensorListMetadataILi1EEENS1_14UnaryOpFunctorIdLi1ELi1ELi0EEEJNS0_4TanhIdEEEEEvT_T0_DpT1_ ; -- Begin function _ZN2at6native12_GLOBAL__N_125multi_tensor_apply_kernelINS1_18TensorListMetadataILi1EEENS1_14UnaryOpFunctorIdLi1ELi1ELi0EEEJNS0_4TanhIdEEEEEvT_T0_DpT1_
	.p2align	8
	.type	_ZN2at6native12_GLOBAL__N_125multi_tensor_apply_kernelINS1_18TensorListMetadataILi1EEENS1_14UnaryOpFunctorIdLi1ELi1ELi0EEEJNS0_4TanhIdEEEEEvT_T0_DpT1_,@function
_ZN2at6native12_GLOBAL__N_125multi_tensor_apply_kernelINS1_18TensorListMetadataILi1EEENS1_14UnaryOpFunctorIdLi1ELi1ELi0EEEJNS0_4TanhIdEEEEEvT_T0_DpT1_: ; @_ZN2at6native12_GLOBAL__N_125multi_tensor_apply_kernelINS1_18TensorListMetadataILi1EEENS1_14UnaryOpFunctorIdLi1ELi1ELi0EEEJNS0_4TanhIdEEEEEvT_T0_DpT1_
; %bb.0:
	s_bfe_u32 s2, ttmp6, 0x4000c
	s_and_b32 s3, ttmp6, 15
	s_add_co_i32 s2, s2, 1
	s_getreg_b32 s4, hwreg(HW_REG_IB_STS2, 6, 4)
	s_mul_i32 s2, ttmp9, s2
	s_delay_alu instid0(SALU_CYCLE_1)
	s_add_co_i32 s3, s3, s2
	s_cmp_eq_u32 s4, 0
	s_cselect_b32 s2, ttmp9, s3
	s_mov_b32 s3, 0
	s_load_u8 s8, s[0:1], s2 offset:0x6e0
	s_add_nc_u64 s[4:5], s[0:1], s[2:3]
	s_mul_u64 s[6:7], s[2:3], 3
	s_delay_alu instid0(SALU_CYCLE_1)
	s_add_nc_u64 s[4:5], s[4:5], s[6:7]
	s_load_b32 s10, s[4:5], 0x820
	s_wait_kmcnt 0x0
	s_clause 0x1
	s_load_b64 s[6:7], s[0:1], s8 offset:0x0 scale_offset
	s_load_b64 s[12:13], s[0:1], s8 offset:0x370 scale_offset
	s_ashr_i32 s11, s10, 31
	s_wait_kmcnt 0x0
	s_and_b64 s[4:5], s[6:7], 31
	s_and_b32 s2, s12, 3
	s_lshl_b64 s[8:9], s[10:11], 19
	s_or_b64 s[2:3], s[4:5], s[2:3]
	s_lshl_b64 s[4:5], s[10:11], 16
	s_cmp_eq_u64 s[2:3], 0
	s_sub_nc_u64 s[10:11], s[12:13], s[4:5]
	s_cbranch_scc1 .LBB159_21
; %bb.1:
	v_cmp_lt_i64_e64 s2, s[10:11], 1
	s_and_b32 vcc_lo, exec_lo, s2
	s_cbranch_vccnz .LBB159_20
; %bb.2:
	s_load_b32 s4, s[0:1], 0xd3c
	v_min_i64 v[2:3], 0x10000, s[10:11]
	v_min_u64 v[4:5], 0x10000, s[10:11]
	v_dual_mov_b32 v1, 0 :: v_dual_lshlrev_b32 v8, 3, v0
	s_mov_b32 s23, 0
	s_add_nc_u64 s[2:3], s[6:7], s[8:9]
	s_mov_b32 s5, s23
	s_delay_alu instid0(VALU_DEP_1) | instskip(SKIP_3) | instid1(VALU_DEP_2)
	v_dual_mov_b32 v9, v1 :: v_dual_mov_b32 v15, v1
	s_mov_b32 s21, s23
	v_mov_b64_e32 v[16:17], 0x3e928af3fca7ab0c
	s_mov_b64 s[12:13], 0x3ff71547652b82fe
	v_add_nc_u64_e32 v[8:9], s[2:3], v[8:9]
	s_mov_b64 s[14:15], 0xbfe62e42fefa3000
	s_mov_b32 s17, s23
	s_mov_b32 s19, s23
	s_mov_b64 s[24:25], 0
                                        ; implicit-def: $vgpr18_vgpr19
                                        ; implicit-def: $vgpr18_vgpr19
	;; [unrolled: 1-line block ×8, first 2 shown]
	s_wait_kmcnt 0x0
	s_and_b32 s22, s4, 0xffff
	s_delay_alu instid0(SALU_CYCLE_1)
	v_add_nc_u64_e32 v[6:7], s[22:23], v[0:1]
	s_lshl_b32 s4, s22, 1
	s_mul_i32 s20, s22, 3
	v_add_nc_u64_e32 v[12:13], s[4:5], v[0:1]
	v_add_nc_u64_e32 v[10:11], s[20:21], v[0:1]
	s_lshl_b32 s16, s22, 2
	s_lshl_b32 s18, s22, 5
	v_lshlrev_b32_e32 v14, 3, v6
	s_mul_u64 s[20:21], s[22:23], 24
	s_lshl_b32 s22, s22, 4
	s_delay_alu instid0(VALU_DEP_1)
	v_add_nc_u64_e32 v[14:15], s[2:3], v[14:15]
	s_branch .LBB159_4
.LBB159_3:                              ;   in Loop: Header=BB159_4 Depth=1
	s_wait_xcnt 0x0
	s_or_b32 exec_lo, exec_lo, s2
	s_add_nc_u64 s[24:25], s[24:25], s[16:17]
	v_add_nc_u64_e32 v[8:9], s[18:19], v[8:9]
	v_cmp_lt_i64_e32 vcc_lo, s[24:25], v[2:3]
	v_add_nc_u64_e32 v[14:15], s[18:19], v[14:15]
	s_cbranch_vccz .LBB159_20
.LBB159_4:                              ; =>This Inner Loop Header: Depth=1
	s_wait_loadcnt 0x0
	v_add_nc_u64_e32 v[18:19], s[24:25], v[0:1]
	v_mov_b64_e32 v[26:27], 0
	v_mov_b64_e32 v[28:29], 0
	s_delay_alu instid0(VALU_DEP_3)
	v_cmp_lt_u64_e64 s4, v[18:19], v[4:5]
	s_and_saveexec_b32 s2, s4
	s_cbranch_execz .LBB159_6
; %bb.5:                                ;   in Loop: Header=BB159_4 Depth=1
	global_load_b64 v[28:29], v[8:9], off
.LBB159_6:                              ;   in Loop: Header=BB159_4 Depth=1
	s_wait_xcnt 0x0
	s_or_b32 exec_lo, exec_lo, s2
	v_add_nc_u64_e32 v[18:19], s[24:25], v[6:7]
	s_delay_alu instid0(VALU_DEP_1)
	v_cmp_lt_u64_e64 s3, v[18:19], v[4:5]
	s_and_saveexec_b32 s2, s3
	s_cbranch_execz .LBB159_8
; %bb.7:                                ;   in Loop: Header=BB159_4 Depth=1
	global_load_b64 v[26:27], v[14:15], off
.LBB159_8:                              ;   in Loop: Header=BB159_4 Depth=1
	s_wait_xcnt 0x0
	s_or_b32 exec_lo, exec_lo, s2
	v_add_nc_u64_e32 v[20:21], s[24:25], v[12:13]
	v_mov_b64_e32 v[18:19], 0
	v_add_nc_u64_e32 v[22:23], s[22:23], v[8:9]
	v_mov_b64_e32 v[24:25], 0
	s_delay_alu instid0(VALU_DEP_4)
	v_cmp_lt_u64_e64 s2, v[20:21], v[4:5]
	s_and_saveexec_b32 s5, s2
	s_cbranch_execz .LBB159_10
; %bb.9:                                ;   in Loop: Header=BB159_4 Depth=1
	global_load_b64 v[24:25], v[22:23], off
.LBB159_10:                             ;   in Loop: Header=BB159_4 Depth=1
	s_wait_xcnt 0x0
	s_or_b32 exec_lo, exec_lo, s5
	v_add_nc_u64_e32 v[20:21], s[24:25], v[10:11]
	s_delay_alu instid0(VALU_DEP_1)
	v_cmp_lt_u64_e32 vcc_lo, v[20:21], v[4:5]
	v_add_nc_u64_e32 v[20:21], s[20:21], v[8:9]
	s_and_saveexec_b32 s5, vcc_lo
	s_cbranch_execnz .LBB159_15
; %bb.11:                               ;   in Loop: Header=BB159_4 Depth=1
	s_or_b32 exec_lo, exec_lo, s5
	s_and_saveexec_b32 s5, s4
	s_cbranch_execnz .LBB159_16
.LBB159_12:                             ;   in Loop: Header=BB159_4 Depth=1
	s_or_b32 exec_lo, exec_lo, s5
	s_and_saveexec_b32 s4, s3
	s_cbranch_execnz .LBB159_17
.LBB159_13:                             ;   in Loop: Header=BB159_4 Depth=1
	s_or_b32 exec_lo, exec_lo, s4
	s_and_saveexec_b32 s3, s2
	s_cbranch_execnz .LBB159_18
.LBB159_14:                             ;   in Loop: Header=BB159_4 Depth=1
	s_or_b32 exec_lo, exec_lo, s3
	s_and_saveexec_b32 s2, vcc_lo
	s_cbranch_execz .LBB159_3
	s_branch .LBB159_19
.LBB159_15:                             ;   in Loop: Header=BB159_4 Depth=1
	global_load_b64 v[18:19], v[20:21], off
	s_wait_xcnt 0x0
	s_or_b32 exec_lo, exec_lo, s5
	s_and_saveexec_b32 s5, s4
	s_cbranch_execz .LBB159_12
.LBB159_16:                             ;   in Loop: Header=BB159_4 Depth=1
	s_wait_loadcnt 0x0
	v_mul_f64_e64 v[30:31], |v[28:29]|, s[12:13]
	v_cmp_nlt_f64_e64 s4, 0x40331000, |v[28:29]|
	s_delay_alu instid0(VALU_DEP_2) | instskip(NEXT) | instid1(VALU_DEP_1)
	v_rndne_f64_e32 v[30:31], v[30:31]
	v_fma_f64 v[32:33], v[30:31], s[14:15], |v[28:29]|
	v_mul_f64_e32 v[34:35], 0xbd53de6af278e000, v[30:31]
	s_delay_alu instid0(VALU_DEP_2) | instskip(NEXT) | instid1(VALU_DEP_1)
	v_add_f64_e32 v[36:37], 0, v[32:33]
	v_add_f64_e32 v[38:39], v[36:37], v[34:35]
	v_add_f64_e64 v[32:33], v[32:33], -v[36:37]
	s_delay_alu instid0(VALU_DEP_2) | instskip(NEXT) | instid1(VALU_DEP_2)
	v_add_f64_e64 v[36:37], v[36:37], -v[38:39]
	v_add_f64_e32 v[32:33], 0, v[32:33]
	s_delay_alu instid0(VALU_DEP_2) | instskip(NEXT) | instid1(VALU_DEP_1)
	v_add_f64_e32 v[34:35], v[36:37], v[34:35]
	v_add_f64_e32 v[32:33], v[32:33], v[34:35]
	v_mul_f64_e32 v[34:35], 0xbac9cc01f97b57a0, v[30:31]
	s_delay_alu instid0(VALU_DEP_2) | instskip(NEXT) | instid1(VALU_DEP_1)
	v_add_f64_e32 v[36:37], v[38:39], v[32:33]
	v_add_f64_e32 v[40:41], v[36:37], v[34:35]
	v_add_f64_e64 v[38:39], v[38:39], -v[36:37]
	s_delay_alu instid0(VALU_DEP_2) | instskip(NEXT) | instid1(VALU_DEP_2)
	v_add_f64_e64 v[36:37], v[36:37], -v[40:41]
	v_add_f64_e32 v[32:33], v[32:33], v[38:39]
	s_delay_alu instid0(VALU_DEP_2) | instskip(NEXT) | instid1(VALU_DEP_1)
	v_add_f64_e32 v[34:35], v[36:37], v[34:35]
	v_add_f64_e32 v[32:33], v[32:33], v[34:35]
	s_delay_alu instid0(VALU_DEP_1) | instskip(NEXT) | instid1(VALU_DEP_1)
	v_add_f64_e32 v[34:35], v[40:41], v[32:33]
	v_add_f64_e64 v[36:37], v[40:41], -v[34:35]
	v_mul_f64_e32 v[38:39], v[34:35], v[34:35]
	s_delay_alu instid0(VALU_DEP_2) | instskip(NEXT) | instid1(VALU_DEP_2)
	v_add_f64_e32 v[32:33], v[32:33], v[36:37]
	v_fma_f64 v[36:37], v[34:35], v[34:35], -v[38:39]
	s_delay_alu instid0(VALU_DEP_2) | instskip(NEXT) | instid1(VALU_DEP_1)
	v_add_f64_e32 v[40:41], v[32:33], v[32:33]
	v_fmac_f64_e32 v[36:37], v[34:35], v[40:41]
	v_fmamk_f64 v[40:41], v[34:35], 0x3e5ade156a5dcb37, v[16:17]
	s_delay_alu instid0(VALU_DEP_1) | instskip(NEXT) | instid1(VALU_DEP_1)
	v_fmaak_f64 v[40:41], v[34:35], v[40:41], 0x3ec71dee623fde64
	v_fmaak_f64 v[40:41], v[34:35], v[40:41], 0x3efa01997c89e6b0
	s_delay_alu instid0(VALU_DEP_1) | instskip(NEXT) | instid1(VALU_DEP_1)
	v_fmaak_f64 v[40:41], v[34:35], v[40:41], 0x3f2a01a014761f6e
	v_fmaak_f64 v[40:41], v[34:35], v[40:41], 0x3f56c16c1852b7b0
	v_add_f64_e32 v[42:43], v[38:39], v[36:37]
	s_delay_alu instid0(VALU_DEP_2) | instskip(NEXT) | instid1(VALU_DEP_1)
	v_fmaak_f64 v[40:41], v[34:35], v[40:41], 0x3f81111111122322
	v_fmaak_f64 v[40:41], v[34:35], v[40:41], 0x3fa55555555502a1
	s_delay_alu instid0(VALU_DEP_1) | instskip(NEXT) | instid1(VALU_DEP_1)
	v_fmaak_f64 v[40:41], v[34:35], v[40:41], 0x3fc5555555555511
	v_fmaak_f64 v[40:41], v[34:35], v[40:41], 0x3fe000000000000b
	v_add_f64_e64 v[38:39], v[42:43], -v[38:39]
	s_delay_alu instid0(VALU_DEP_2) | instskip(NEXT) | instid1(VALU_DEP_2)
	v_mul_f64_e32 v[44:45], v[42:43], v[40:41]
	v_add_f64_e64 v[36:37], v[36:37], -v[38:39]
	s_delay_alu instid0(VALU_DEP_2) | instskip(NEXT) | instid1(VALU_DEP_1)
	v_fma_f64 v[38:39], v[42:43], v[40:41], -v[44:45]
	v_fmac_f64_e32 v[38:39], v[36:37], v[40:41]
	s_delay_alu instid0(VALU_DEP_1) | instskip(NEXT) | instid1(VALU_DEP_1)
	v_add_f64_e32 v[36:37], v[44:45], v[38:39]
	v_add_f64_e64 v[40:41], v[36:37], -v[44:45]
	v_add_f64_e32 v[42:43], v[34:35], v[36:37]
	s_delay_alu instid0(VALU_DEP_2) | instskip(NEXT) | instid1(VALU_DEP_2)
	v_add_f64_e64 v[38:39], v[38:39], -v[40:41]
	v_add_f64_e64 v[34:35], v[42:43], -v[34:35]
	s_delay_alu instid0(VALU_DEP_2) | instskip(NEXT) | instid1(VALU_DEP_2)
	v_add_f64_e32 v[32:33], v[32:33], v[38:39]
	v_add_f64_e64 v[34:35], v[36:37], -v[34:35]
	s_delay_alu instid0(VALU_DEP_1) | instskip(NEXT) | instid1(VALU_DEP_1)
	v_add_f64_e32 v[32:33], v[32:33], v[34:35]
	v_add_f64_e32 v[34:35], v[42:43], v[32:33]
	s_delay_alu instid0(VALU_DEP_1) | instskip(SKIP_2) | instid1(VALU_DEP_3)
	v_add_f64_e32 v[36:37], 1.0, v[34:35]
	v_add_f64_e64 v[38:39], v[34:35], -v[42:43]
	v_cvt_i32_f64_e32 v42, v[30:31]
	v_add_f64_e32 v[40:41], -1.0, v[36:37]
	s_delay_alu instid0(VALU_DEP_3) | instskip(NEXT) | instid1(VALU_DEP_2)
	v_add_f64_e64 v[32:33], v[32:33], -v[38:39]
	v_add_f64_e64 v[34:35], v[34:35], -v[40:41]
	s_delay_alu instid0(VALU_DEP_1) | instskip(NEXT) | instid1(VALU_DEP_1)
	v_add_f64_e32 v[32:33], v[32:33], v[34:35]
	v_add_f64_e32 v[30:31], v[36:37], v[32:33]
	s_delay_alu instid0(VALU_DEP_1) | instskip(SKIP_1) | instid1(VALU_DEP_2)
	v_ldexp_f64 v[34:35], v[30:31], v42
	v_add_f64_e64 v[30:31], v[30:31], -v[36:37]
	v_rcp_f64_e32 v[38:39], v[34:35]
	s_delay_alu instid0(VALU_DEP_1) | instskip(NEXT) | instid1(VALU_DEP_1)
	v_add_f64_e64 v[30:31], v[32:33], -v[30:31]
	v_ldexp_f64 v[30:31], v[30:31], v42
	s_delay_alu instid0(TRANS32_DEP_1) | instskip(NEXT) | instid1(VALU_DEP_1)
	v_fma_f64 v[40:41], -v[34:35], v[38:39], 1.0
	v_fmac_f64_e32 v[38:39], v[40:41], v[38:39]
	s_delay_alu instid0(VALU_DEP_1) | instskip(NEXT) | instid1(VALU_DEP_1)
	v_fma_f64 v[40:41], -v[34:35], v[38:39], 1.0
	v_fmac_f64_e32 v[38:39], v[40:41], v[38:39]
	s_delay_alu instid0(VALU_DEP_1) | instskip(NEXT) | instid1(VALU_DEP_1)
	v_mul_f64_e32 v[32:33], v[34:35], v[38:39]
	v_fma_f64 v[36:37], v[38:39], v[34:35], -v[32:33]
	s_delay_alu instid0(VALU_DEP_1) | instskip(NEXT) | instid1(VALU_DEP_1)
	v_fmac_f64_e32 v[36:37], v[38:39], v[30:31]
	v_add_f64_e32 v[40:41], v[32:33], v[36:37]
	s_delay_alu instid0(VALU_DEP_1) | instskip(SKIP_1) | instid1(VALU_DEP_2)
	v_add_f64_e64 v[42:43], -v[40:41], 1.0
	v_add_f64_e64 v[32:33], v[40:41], -v[32:33]
	v_add_f64_e64 v[44:45], -v[42:43], 1.0
	s_delay_alu instid0(VALU_DEP_2) | instskip(NEXT) | instid1(VALU_DEP_2)
	v_add_f64_e64 v[32:33], v[32:33], -v[36:37]
	v_add_f64_e64 v[36:37], v[44:45], -v[40:41]
	s_delay_alu instid0(VALU_DEP_1) | instskip(NEXT) | instid1(VALU_DEP_1)
	v_add_f64_e32 v[32:33], v[32:33], v[36:37]
	v_add_f64_e32 v[36:37], v[42:43], v[32:33]
	s_delay_alu instid0(VALU_DEP_1) | instskip(SKIP_1) | instid1(VALU_DEP_2)
	v_mul_f64_e32 v[40:41], v[38:39], v[36:37]
	v_add_f64_e64 v[42:43], v[42:43], -v[36:37]
	v_mul_f64_e32 v[44:45], v[34:35], v[40:41]
	s_delay_alu instid0(VALU_DEP_2) | instskip(NEXT) | instid1(VALU_DEP_2)
	v_add_f64_e32 v[32:33], v[32:33], v[42:43]
	v_fma_f64 v[46:47], v[40:41], v[34:35], -v[44:45]
	s_delay_alu instid0(VALU_DEP_1) | instskip(NEXT) | instid1(VALU_DEP_1)
	v_fmac_f64_e32 v[46:47], v[40:41], v[30:31]
	v_add_f64_e32 v[48:49], v[44:45], v[46:47]
	s_delay_alu instid0(VALU_DEP_1) | instskip(SKIP_1) | instid1(VALU_DEP_2)
	v_add_f64_e64 v[50:51], v[36:37], -v[48:49]
	v_add_f64_e64 v[42:43], v[48:49], -v[44:45]
	;; [unrolled: 1-line block ×3, first 2 shown]
	s_delay_alu instid0(VALU_DEP_2) | instskip(NEXT) | instid1(VALU_DEP_2)
	v_add_f64_e64 v[42:43], v[42:43], -v[46:47]
	v_add_f64_e64 v[36:37], v[36:37], -v[48:49]
	s_delay_alu instid0(VALU_DEP_1) | instskip(SKIP_1) | instid1(VALU_DEP_2)
	v_add_f64_e32 v[32:33], v[32:33], v[36:37]
	v_add_f64_e32 v[36:37], v[38:39], v[40:41]
	v_add_f64_e32 v[32:33], v[42:43], v[32:33]
	s_delay_alu instid0(VALU_DEP_2) | instskip(NEXT) | instid1(VALU_DEP_2)
	v_add_f64_e64 v[42:43], v[36:37], -v[38:39]
	v_add_f64_e32 v[32:33], v[50:51], v[32:33]
	s_delay_alu instid0(VALU_DEP_2) | instskip(NEXT) | instid1(VALU_DEP_2)
	v_add_f64_e64 v[40:41], v[40:41], -v[42:43]
	v_mul_f64_e32 v[32:33], v[38:39], v[32:33]
	s_delay_alu instid0(VALU_DEP_1) | instskip(NEXT) | instid1(VALU_DEP_1)
	v_add_f64_e32 v[32:33], v[40:41], v[32:33]
	v_add_f64_e32 v[38:39], v[36:37], v[32:33]
	s_delay_alu instid0(VALU_DEP_1) | instskip(SKIP_2) | instid1(VALU_DEP_3)
	v_add_f64_e64 v[36:37], v[38:39], -v[36:37]
	v_add_f64_e32 v[40:41], v[34:35], v[38:39]
	v_add_f64_e64 v[44:45], v[34:35], -v[38:39]
	v_add_f64_e64 v[32:33], v[32:33], -v[36:37]
	s_delay_alu instid0(VALU_DEP_3) | instskip(NEXT) | instid1(VALU_DEP_3)
	v_add_f64_e64 v[36:37], v[40:41], -v[34:35]
	v_add_f64_e64 v[34:35], v[34:35], -v[44:45]
	s_delay_alu instid0(VALU_DEP_3) | instskip(NEXT) | instid1(VALU_DEP_3)
	v_add_f64_e32 v[42:43], v[30:31], v[32:33]
	v_add_f64_e64 v[36:37], v[38:39], -v[36:37]
	s_delay_alu instid0(VALU_DEP_3) | instskip(NEXT) | instid1(VALU_DEP_2)
	v_add_f64_e64 v[34:35], v[34:35], -v[38:39]
	v_add_f64_e32 v[36:37], v[42:43], v[36:37]
	s_delay_alu instid0(VALU_DEP_2) | instskip(NEXT) | instid1(VALU_DEP_2)
	v_add_f64_e32 v[30:31], v[30:31], v[34:35]
	v_add_f64_e32 v[42:43], v[40:41], v[36:37]
	s_delay_alu instid0(VALU_DEP_2) | instskip(NEXT) | instid1(VALU_DEP_2)
	v_add_f64_e64 v[30:31], v[30:31], -v[32:33]
	v_rcp_f64_e32 v[46:47], v[42:43]
	s_delay_alu instid0(VALU_DEP_1) | instskip(NEXT) | instid1(TRANS32_DEP_1)
	v_add_f64_e32 v[34:35], v[44:45], v[30:31]
	v_fma_f64 v[38:39], -v[42:43], v[46:47], 1.0
	s_delay_alu instid0(VALU_DEP_1) | instskip(SKIP_1) | instid1(VALU_DEP_2)
	v_fmac_f64_e32 v[46:47], v[38:39], v[46:47]
	v_add_f64_e64 v[38:39], v[42:43], -v[40:41]
	v_fma_f64 v[32:33], -v[42:43], v[46:47], 1.0
	s_delay_alu instid0(VALU_DEP_2) | instskip(NEXT) | instid1(VALU_DEP_2)
	v_add_f64_e64 v[36:37], v[36:37], -v[38:39]
	v_fmac_f64_e32 v[46:47], v[32:33], v[46:47]
	s_delay_alu instid0(VALU_DEP_1) | instskip(NEXT) | instid1(VALU_DEP_1)
	v_mul_f64_e32 v[32:33], v[34:35], v[46:47]
	v_mul_f64_e32 v[40:41], v[42:43], v[32:33]
	s_delay_alu instid0(VALU_DEP_1) | instskip(NEXT) | instid1(VALU_DEP_1)
	v_fma_f64 v[38:39], v[32:33], v[42:43], -v[40:41]
	v_fmac_f64_e32 v[38:39], v[32:33], v[36:37]
	s_delay_alu instid0(VALU_DEP_1) | instskip(NEXT) | instid1(VALU_DEP_1)
	v_add_f64_e32 v[36:37], v[40:41], v[38:39]
	v_add_f64_e64 v[42:43], v[34:35], -v[36:37]
	v_add_f64_e64 v[40:41], v[36:37], -v[40:41]
	s_delay_alu instid0(VALU_DEP_2) | instskip(SKIP_1) | instid1(VALU_DEP_3)
	v_add_f64_e64 v[48:49], v[34:35], -v[42:43]
	v_add_f64_e64 v[34:35], v[34:35], -v[44:45]
	;; [unrolled: 1-line block ×3, first 2 shown]
	s_delay_alu instid0(VALU_DEP_3) | instskip(NEXT) | instid1(VALU_DEP_3)
	v_add_f64_e64 v[36:37], v[48:49], -v[36:37]
	v_add_f64_e64 v[30:31], v[30:31], -v[34:35]
	s_delay_alu instid0(VALU_DEP_2) | instskip(NEXT) | instid1(VALU_DEP_1)
	v_add_f64_e64 v[34:35], v[36:37], -v[38:39]
	v_add_f64_e32 v[30:31], v[30:31], v[34:35]
	s_delay_alu instid0(VALU_DEP_1) | instskip(NEXT) | instid1(VALU_DEP_1)
	v_add_f64_e32 v[30:31], v[42:43], v[30:31]
	v_mul_f64_e32 v[30:31], v[46:47], v[30:31]
	s_delay_alu instid0(VALU_DEP_1) | instskip(SKIP_1) | instid1(VALU_DEP_2)
	v_add_f64_e32 v[30:31], v[32:33], v[30:31]
	v_and_b32_e32 v32, 0x7fffffff, v29
	v_cndmask_b32_e64 v31, 0x3ff00000, v31, s4
	s_delay_alu instid0(VALU_DEP_3) | instskip(SKIP_1) | instid1(VALU_DEP_1)
	v_cndmask_b32_e64 v30, 0, v30, s4
	v_cmp_gt_f64_e64 s4, 0x3e400000, |v[28:29]|
	v_cndmask_b32_e64 v28, v30, v28, s4
	s_delay_alu instid0(VALU_DEP_4) | instskip(NEXT) | instid1(VALU_DEP_1)
	v_cndmask_b32_e64 v30, v31, v32, s4
	v_bfi_b32 v29, 0x7fffffff, v30, v29
	global_store_b64 v[8:9], v[28:29], off
	s_wait_xcnt 0x0
	s_or_b32 exec_lo, exec_lo, s5
	s_and_saveexec_b32 s4, s3
	s_cbranch_execz .LBB159_13
.LBB159_17:                             ;   in Loop: Header=BB159_4 Depth=1
	s_wait_loadcnt 0x0
	v_mul_f64_e64 v[28:29], |v[26:27]|, s[12:13]
	v_cmp_nlt_f64_e64 s3, 0x40331000, |v[26:27]|
	s_delay_alu instid0(VALU_DEP_2) | instskip(NEXT) | instid1(VALU_DEP_1)
	v_rndne_f64_e32 v[28:29], v[28:29]
	v_fma_f64 v[30:31], v[28:29], s[14:15], |v[26:27]|
	v_mul_f64_e32 v[32:33], 0xbd53de6af278e000, v[28:29]
	s_delay_alu instid0(VALU_DEP_2) | instskip(NEXT) | instid1(VALU_DEP_1)
	v_add_f64_e32 v[34:35], 0, v[30:31]
	v_add_f64_e32 v[36:37], v[34:35], v[32:33]
	v_add_f64_e64 v[30:31], v[30:31], -v[34:35]
	s_delay_alu instid0(VALU_DEP_2) | instskip(NEXT) | instid1(VALU_DEP_2)
	v_add_f64_e64 v[34:35], v[34:35], -v[36:37]
	v_add_f64_e32 v[30:31], 0, v[30:31]
	s_delay_alu instid0(VALU_DEP_2) | instskip(NEXT) | instid1(VALU_DEP_1)
	v_add_f64_e32 v[32:33], v[34:35], v[32:33]
	v_add_f64_e32 v[30:31], v[30:31], v[32:33]
	v_mul_f64_e32 v[32:33], 0xbac9cc01f97b57a0, v[28:29]
	s_delay_alu instid0(VALU_DEP_2) | instskip(NEXT) | instid1(VALU_DEP_1)
	v_add_f64_e32 v[34:35], v[36:37], v[30:31]
	v_add_f64_e32 v[38:39], v[34:35], v[32:33]
	v_add_f64_e64 v[36:37], v[36:37], -v[34:35]
	s_delay_alu instid0(VALU_DEP_2) | instskip(NEXT) | instid1(VALU_DEP_2)
	v_add_f64_e64 v[34:35], v[34:35], -v[38:39]
	v_add_f64_e32 v[30:31], v[30:31], v[36:37]
	s_delay_alu instid0(VALU_DEP_2) | instskip(NEXT) | instid1(VALU_DEP_1)
	v_add_f64_e32 v[32:33], v[34:35], v[32:33]
	v_add_f64_e32 v[30:31], v[30:31], v[32:33]
	s_delay_alu instid0(VALU_DEP_1) | instskip(NEXT) | instid1(VALU_DEP_1)
	v_add_f64_e32 v[32:33], v[38:39], v[30:31]
	v_add_f64_e64 v[34:35], v[38:39], -v[32:33]
	v_mul_f64_e32 v[36:37], v[32:33], v[32:33]
	s_delay_alu instid0(VALU_DEP_2) | instskip(NEXT) | instid1(VALU_DEP_2)
	v_add_f64_e32 v[30:31], v[30:31], v[34:35]
	v_fma_f64 v[34:35], v[32:33], v[32:33], -v[36:37]
	s_delay_alu instid0(VALU_DEP_2) | instskip(NEXT) | instid1(VALU_DEP_1)
	v_add_f64_e32 v[38:39], v[30:31], v[30:31]
	v_fmac_f64_e32 v[34:35], v[32:33], v[38:39]
	v_fmamk_f64 v[38:39], v[32:33], 0x3e5ade156a5dcb37, v[16:17]
	s_delay_alu instid0(VALU_DEP_1) | instskip(NEXT) | instid1(VALU_DEP_1)
	v_fmaak_f64 v[38:39], v[32:33], v[38:39], 0x3ec71dee623fde64
	v_fmaak_f64 v[38:39], v[32:33], v[38:39], 0x3efa01997c89e6b0
	s_delay_alu instid0(VALU_DEP_1) | instskip(NEXT) | instid1(VALU_DEP_1)
	v_fmaak_f64 v[38:39], v[32:33], v[38:39], 0x3f2a01a014761f6e
	v_fmaak_f64 v[38:39], v[32:33], v[38:39], 0x3f56c16c1852b7b0
	v_add_f64_e32 v[40:41], v[36:37], v[34:35]
	s_delay_alu instid0(VALU_DEP_2) | instskip(NEXT) | instid1(VALU_DEP_1)
	v_fmaak_f64 v[38:39], v[32:33], v[38:39], 0x3f81111111122322
	v_fmaak_f64 v[38:39], v[32:33], v[38:39], 0x3fa55555555502a1
	s_delay_alu instid0(VALU_DEP_1) | instskip(NEXT) | instid1(VALU_DEP_1)
	v_fmaak_f64 v[38:39], v[32:33], v[38:39], 0x3fc5555555555511
	v_fmaak_f64 v[38:39], v[32:33], v[38:39], 0x3fe000000000000b
	v_add_f64_e64 v[36:37], v[40:41], -v[36:37]
	s_delay_alu instid0(VALU_DEP_2) | instskip(NEXT) | instid1(VALU_DEP_2)
	v_mul_f64_e32 v[42:43], v[40:41], v[38:39]
	v_add_f64_e64 v[34:35], v[34:35], -v[36:37]
	s_delay_alu instid0(VALU_DEP_2) | instskip(NEXT) | instid1(VALU_DEP_1)
	v_fma_f64 v[36:37], v[40:41], v[38:39], -v[42:43]
	v_fmac_f64_e32 v[36:37], v[34:35], v[38:39]
	s_delay_alu instid0(VALU_DEP_1) | instskip(NEXT) | instid1(VALU_DEP_1)
	v_add_f64_e32 v[34:35], v[42:43], v[36:37]
	v_add_f64_e32 v[38:39], v[32:33], v[34:35]
	v_add_f64_e64 v[40:41], v[34:35], -v[42:43]
	s_delay_alu instid0(VALU_DEP_2) | instskip(NEXT) | instid1(VALU_DEP_2)
	v_add_f64_e64 v[32:33], v[38:39], -v[32:33]
	v_add_f64_e64 v[36:37], v[36:37], -v[40:41]
	v_cvt_i32_f64_e32 v40, v[28:29]
	s_delay_alu instid0(VALU_DEP_3) | instskip(NEXT) | instid1(VALU_DEP_3)
	v_add_f64_e64 v[32:33], v[34:35], -v[32:33]
	v_add_f64_e32 v[30:31], v[30:31], v[36:37]
	s_delay_alu instid0(VALU_DEP_1) | instskip(NEXT) | instid1(VALU_DEP_1)
	v_add_f64_e32 v[30:31], v[30:31], v[32:33]
	v_add_f64_e32 v[32:33], v[38:39], v[30:31]
	s_delay_alu instid0(VALU_DEP_1) | instskip(SKIP_1) | instid1(VALU_DEP_2)
	v_add_f64_e32 v[34:35], 1.0, v[32:33]
	v_add_f64_e64 v[36:37], v[32:33], -v[38:39]
	v_add_f64_e32 v[38:39], -1.0, v[34:35]
	s_delay_alu instid0(VALU_DEP_2) | instskip(NEXT) | instid1(VALU_DEP_2)
	v_add_f64_e64 v[30:31], v[30:31], -v[36:37]
	v_add_f64_e64 v[32:33], v[32:33], -v[38:39]
	s_delay_alu instid0(VALU_DEP_1) | instskip(NEXT) | instid1(VALU_DEP_1)
	v_add_f64_e32 v[30:31], v[30:31], v[32:33]
	v_add_f64_e32 v[28:29], v[34:35], v[30:31]
	s_delay_alu instid0(VALU_DEP_1) | instskip(SKIP_1) | instid1(VALU_DEP_2)
	v_ldexp_f64 v[32:33], v[28:29], v40
	v_add_f64_e64 v[28:29], v[28:29], -v[34:35]
	v_rcp_f64_e32 v[36:37], v[32:33]
	s_delay_alu instid0(VALU_DEP_1) | instskip(NEXT) | instid1(VALU_DEP_1)
	v_add_f64_e64 v[28:29], v[30:31], -v[28:29]
	v_ldexp_f64 v[28:29], v[28:29], v40
	s_delay_alu instid0(TRANS32_DEP_1) | instskip(NEXT) | instid1(VALU_DEP_1)
	v_fma_f64 v[38:39], -v[32:33], v[36:37], 1.0
	v_fmac_f64_e32 v[36:37], v[38:39], v[36:37]
	s_delay_alu instid0(VALU_DEP_1) | instskip(NEXT) | instid1(VALU_DEP_1)
	v_fma_f64 v[38:39], -v[32:33], v[36:37], 1.0
	v_fmac_f64_e32 v[36:37], v[38:39], v[36:37]
	s_delay_alu instid0(VALU_DEP_1) | instskip(NEXT) | instid1(VALU_DEP_1)
	v_mul_f64_e32 v[30:31], v[32:33], v[36:37]
	v_fma_f64 v[34:35], v[36:37], v[32:33], -v[30:31]
	s_delay_alu instid0(VALU_DEP_1) | instskip(NEXT) | instid1(VALU_DEP_1)
	v_fmac_f64_e32 v[34:35], v[36:37], v[28:29]
	v_add_f64_e32 v[38:39], v[30:31], v[34:35]
	s_delay_alu instid0(VALU_DEP_1) | instskip(SKIP_1) | instid1(VALU_DEP_2)
	v_add_f64_e64 v[40:41], -v[38:39], 1.0
	v_add_f64_e64 v[30:31], v[38:39], -v[30:31]
	v_add_f64_e64 v[42:43], -v[40:41], 1.0
	s_delay_alu instid0(VALU_DEP_2) | instskip(NEXT) | instid1(VALU_DEP_2)
	v_add_f64_e64 v[30:31], v[30:31], -v[34:35]
	v_add_f64_e64 v[34:35], v[42:43], -v[38:39]
	s_delay_alu instid0(VALU_DEP_1) | instskip(NEXT) | instid1(VALU_DEP_1)
	v_add_f64_e32 v[30:31], v[30:31], v[34:35]
	v_add_f64_e32 v[34:35], v[40:41], v[30:31]
	s_delay_alu instid0(VALU_DEP_1) | instskip(SKIP_1) | instid1(VALU_DEP_2)
	v_mul_f64_e32 v[38:39], v[36:37], v[34:35]
	v_add_f64_e64 v[40:41], v[40:41], -v[34:35]
	v_mul_f64_e32 v[42:43], v[32:33], v[38:39]
	s_delay_alu instid0(VALU_DEP_2) | instskip(NEXT) | instid1(VALU_DEP_2)
	v_add_f64_e32 v[30:31], v[30:31], v[40:41]
	v_fma_f64 v[44:45], v[38:39], v[32:33], -v[42:43]
	s_delay_alu instid0(VALU_DEP_1) | instskip(NEXT) | instid1(VALU_DEP_1)
	v_fmac_f64_e32 v[44:45], v[38:39], v[28:29]
	v_add_f64_e32 v[46:47], v[42:43], v[44:45]
	s_delay_alu instid0(VALU_DEP_1) | instskip(SKIP_1) | instid1(VALU_DEP_2)
	v_add_f64_e64 v[48:49], v[34:35], -v[46:47]
	v_add_f64_e64 v[40:41], v[46:47], -v[42:43]
	;; [unrolled: 1-line block ×3, first 2 shown]
	s_delay_alu instid0(VALU_DEP_2) | instskip(NEXT) | instid1(VALU_DEP_2)
	v_add_f64_e64 v[40:41], v[40:41], -v[44:45]
	v_add_f64_e64 v[34:35], v[34:35], -v[46:47]
	s_delay_alu instid0(VALU_DEP_1) | instskip(SKIP_1) | instid1(VALU_DEP_2)
	v_add_f64_e32 v[30:31], v[30:31], v[34:35]
	v_add_f64_e32 v[34:35], v[36:37], v[38:39]
	;; [unrolled: 1-line block ×3, first 2 shown]
	s_delay_alu instid0(VALU_DEP_2) | instskip(NEXT) | instid1(VALU_DEP_2)
	v_add_f64_e64 v[40:41], v[34:35], -v[36:37]
	v_add_f64_e32 v[30:31], v[48:49], v[30:31]
	s_delay_alu instid0(VALU_DEP_2) | instskip(NEXT) | instid1(VALU_DEP_2)
	v_add_f64_e64 v[38:39], v[38:39], -v[40:41]
	v_mul_f64_e32 v[30:31], v[36:37], v[30:31]
	s_delay_alu instid0(VALU_DEP_1) | instskip(NEXT) | instid1(VALU_DEP_1)
	v_add_f64_e32 v[30:31], v[38:39], v[30:31]
	v_add_f64_e32 v[36:37], v[34:35], v[30:31]
	s_delay_alu instid0(VALU_DEP_1) | instskip(SKIP_2) | instid1(VALU_DEP_3)
	v_add_f64_e32 v[38:39], v[32:33], v[36:37]
	v_add_f64_e64 v[34:35], v[36:37], -v[34:35]
	v_add_f64_e64 v[42:43], v[32:33], -v[36:37]
	;; [unrolled: 1-line block ×3, first 2 shown]
	s_delay_alu instid0(VALU_DEP_3) | instskip(NEXT) | instid1(VALU_DEP_3)
	v_add_f64_e64 v[30:31], v[30:31], -v[34:35]
	v_add_f64_e64 v[32:33], v[32:33], -v[42:43]
	s_delay_alu instid0(VALU_DEP_3) | instskip(NEXT) | instid1(VALU_DEP_3)
	v_add_f64_e64 v[34:35], v[36:37], -v[40:41]
	v_add_f64_e32 v[40:41], v[28:29], v[30:31]
	s_delay_alu instid0(VALU_DEP_3) | instskip(NEXT) | instid1(VALU_DEP_2)
	v_add_f64_e64 v[32:33], v[32:33], -v[36:37]
	v_add_f64_e32 v[34:35], v[40:41], v[34:35]
	s_delay_alu instid0(VALU_DEP_2) | instskip(NEXT) | instid1(VALU_DEP_2)
	v_add_f64_e32 v[28:29], v[28:29], v[32:33]
	v_add_f64_e32 v[40:41], v[38:39], v[34:35]
	s_delay_alu instid0(VALU_DEP_2) | instskip(NEXT) | instid1(VALU_DEP_2)
	v_add_f64_e64 v[28:29], v[28:29], -v[30:31]
	v_rcp_f64_e32 v[44:45], v[40:41]
	s_delay_alu instid0(VALU_DEP_1) | instskip(NEXT) | instid1(TRANS32_DEP_1)
	v_add_f64_e32 v[32:33], v[42:43], v[28:29]
	v_fma_f64 v[36:37], -v[40:41], v[44:45], 1.0
	s_delay_alu instid0(VALU_DEP_1) | instskip(SKIP_1) | instid1(VALU_DEP_2)
	v_fmac_f64_e32 v[44:45], v[36:37], v[44:45]
	v_add_f64_e64 v[36:37], v[40:41], -v[38:39]
	v_fma_f64 v[30:31], -v[40:41], v[44:45], 1.0
	s_delay_alu instid0(VALU_DEP_2) | instskip(NEXT) | instid1(VALU_DEP_2)
	v_add_f64_e64 v[34:35], v[34:35], -v[36:37]
	v_fmac_f64_e32 v[44:45], v[30:31], v[44:45]
	s_delay_alu instid0(VALU_DEP_1) | instskip(NEXT) | instid1(VALU_DEP_1)
	v_mul_f64_e32 v[30:31], v[32:33], v[44:45]
	v_mul_f64_e32 v[38:39], v[40:41], v[30:31]
	s_delay_alu instid0(VALU_DEP_1) | instskip(NEXT) | instid1(VALU_DEP_1)
	v_fma_f64 v[36:37], v[30:31], v[40:41], -v[38:39]
	v_fmac_f64_e32 v[36:37], v[30:31], v[34:35]
	s_delay_alu instid0(VALU_DEP_1) | instskip(NEXT) | instid1(VALU_DEP_1)
	v_add_f64_e32 v[34:35], v[38:39], v[36:37]
	v_add_f64_e64 v[40:41], v[32:33], -v[34:35]
	v_add_f64_e64 v[38:39], v[34:35], -v[38:39]
	s_delay_alu instid0(VALU_DEP_2) | instskip(SKIP_1) | instid1(VALU_DEP_3)
	v_add_f64_e64 v[46:47], v[32:33], -v[40:41]
	v_add_f64_e64 v[32:33], v[32:33], -v[42:43]
	;; [unrolled: 1-line block ×3, first 2 shown]
	s_delay_alu instid0(VALU_DEP_3) | instskip(NEXT) | instid1(VALU_DEP_3)
	v_add_f64_e64 v[34:35], v[46:47], -v[34:35]
	v_add_f64_e64 v[28:29], v[28:29], -v[32:33]
	s_delay_alu instid0(VALU_DEP_2) | instskip(NEXT) | instid1(VALU_DEP_1)
	v_add_f64_e64 v[32:33], v[34:35], -v[36:37]
	v_add_f64_e32 v[28:29], v[28:29], v[32:33]
	s_delay_alu instid0(VALU_DEP_1) | instskip(NEXT) | instid1(VALU_DEP_1)
	v_add_f64_e32 v[28:29], v[40:41], v[28:29]
	v_mul_f64_e32 v[28:29], v[44:45], v[28:29]
	s_delay_alu instid0(VALU_DEP_1) | instskip(SKIP_1) | instid1(VALU_DEP_2)
	v_add_f64_e32 v[28:29], v[30:31], v[28:29]
	v_and_b32_e32 v30, 0x7fffffff, v27
	v_cndmask_b32_e64 v29, 0x3ff00000, v29, s3
	s_delay_alu instid0(VALU_DEP_3) | instskip(SKIP_1) | instid1(VALU_DEP_1)
	v_cndmask_b32_e64 v28, 0, v28, s3
	v_cmp_gt_f64_e64 s3, 0x3e400000, |v[26:27]|
	v_cndmask_b32_e64 v26, v28, v26, s3
	s_delay_alu instid0(VALU_DEP_4) | instskip(NEXT) | instid1(VALU_DEP_1)
	v_cndmask_b32_e64 v28, v29, v30, s3
	v_bfi_b32 v27, 0x7fffffff, v28, v27
	global_store_b64 v[14:15], v[26:27], off
	s_wait_xcnt 0x0
	s_or_b32 exec_lo, exec_lo, s4
	s_and_saveexec_b32 s3, s2
	s_cbranch_execz .LBB159_14
.LBB159_18:                             ;   in Loop: Header=BB159_4 Depth=1
	s_wait_loadcnt 0x0
	v_mul_f64_e64 v[26:27], |v[24:25]|, s[12:13]
	v_cmp_nlt_f64_e64 s2, 0x40331000, |v[24:25]|
	s_delay_alu instid0(VALU_DEP_2) | instskip(NEXT) | instid1(VALU_DEP_1)
	v_rndne_f64_e32 v[26:27], v[26:27]
	v_fma_f64 v[28:29], v[26:27], s[14:15], |v[24:25]|
	v_mul_f64_e32 v[30:31], 0xbd53de6af278e000, v[26:27]
	s_delay_alu instid0(VALU_DEP_2) | instskip(NEXT) | instid1(VALU_DEP_1)
	v_add_f64_e32 v[32:33], 0, v[28:29]
	v_add_f64_e32 v[34:35], v[32:33], v[30:31]
	v_add_f64_e64 v[28:29], v[28:29], -v[32:33]
	s_delay_alu instid0(VALU_DEP_2) | instskip(NEXT) | instid1(VALU_DEP_2)
	v_add_f64_e64 v[32:33], v[32:33], -v[34:35]
	v_add_f64_e32 v[28:29], 0, v[28:29]
	s_delay_alu instid0(VALU_DEP_2) | instskip(NEXT) | instid1(VALU_DEP_1)
	v_add_f64_e32 v[30:31], v[32:33], v[30:31]
	v_add_f64_e32 v[28:29], v[28:29], v[30:31]
	v_mul_f64_e32 v[30:31], 0xbac9cc01f97b57a0, v[26:27]
	s_delay_alu instid0(VALU_DEP_2) | instskip(NEXT) | instid1(VALU_DEP_1)
	v_add_f64_e32 v[32:33], v[34:35], v[28:29]
	v_add_f64_e32 v[36:37], v[32:33], v[30:31]
	v_add_f64_e64 v[34:35], v[34:35], -v[32:33]
	s_delay_alu instid0(VALU_DEP_2) | instskip(NEXT) | instid1(VALU_DEP_2)
	v_add_f64_e64 v[32:33], v[32:33], -v[36:37]
	v_add_f64_e32 v[28:29], v[28:29], v[34:35]
	s_delay_alu instid0(VALU_DEP_2) | instskip(NEXT) | instid1(VALU_DEP_1)
	v_add_f64_e32 v[30:31], v[32:33], v[30:31]
	v_add_f64_e32 v[28:29], v[28:29], v[30:31]
	s_delay_alu instid0(VALU_DEP_1) | instskip(NEXT) | instid1(VALU_DEP_1)
	v_add_f64_e32 v[30:31], v[36:37], v[28:29]
	v_add_f64_e64 v[32:33], v[36:37], -v[30:31]
	v_mul_f64_e32 v[34:35], v[30:31], v[30:31]
	s_delay_alu instid0(VALU_DEP_2) | instskip(NEXT) | instid1(VALU_DEP_2)
	v_add_f64_e32 v[28:29], v[28:29], v[32:33]
	v_fma_f64 v[32:33], v[30:31], v[30:31], -v[34:35]
	s_delay_alu instid0(VALU_DEP_2) | instskip(NEXT) | instid1(VALU_DEP_1)
	v_add_f64_e32 v[36:37], v[28:29], v[28:29]
	v_fmac_f64_e32 v[32:33], v[30:31], v[36:37]
	v_fmamk_f64 v[36:37], v[30:31], 0x3e5ade156a5dcb37, v[16:17]
	s_delay_alu instid0(VALU_DEP_1) | instskip(NEXT) | instid1(VALU_DEP_1)
	v_fmaak_f64 v[36:37], v[30:31], v[36:37], 0x3ec71dee623fde64
	v_fmaak_f64 v[36:37], v[30:31], v[36:37], 0x3efa01997c89e6b0
	s_delay_alu instid0(VALU_DEP_1) | instskip(NEXT) | instid1(VALU_DEP_1)
	v_fmaak_f64 v[36:37], v[30:31], v[36:37], 0x3f2a01a014761f6e
	v_fmaak_f64 v[36:37], v[30:31], v[36:37], 0x3f56c16c1852b7b0
	v_add_f64_e32 v[38:39], v[34:35], v[32:33]
	s_delay_alu instid0(VALU_DEP_2) | instskip(NEXT) | instid1(VALU_DEP_1)
	v_fmaak_f64 v[36:37], v[30:31], v[36:37], 0x3f81111111122322
	v_fmaak_f64 v[36:37], v[30:31], v[36:37], 0x3fa55555555502a1
	s_delay_alu instid0(VALU_DEP_1) | instskip(NEXT) | instid1(VALU_DEP_1)
	v_fmaak_f64 v[36:37], v[30:31], v[36:37], 0x3fc5555555555511
	v_fmaak_f64 v[36:37], v[30:31], v[36:37], 0x3fe000000000000b
	v_add_f64_e64 v[34:35], v[38:39], -v[34:35]
	s_delay_alu instid0(VALU_DEP_2) | instskip(NEXT) | instid1(VALU_DEP_2)
	v_mul_f64_e32 v[40:41], v[38:39], v[36:37]
	v_add_f64_e64 v[32:33], v[32:33], -v[34:35]
	s_delay_alu instid0(VALU_DEP_2) | instskip(NEXT) | instid1(VALU_DEP_1)
	v_fma_f64 v[34:35], v[38:39], v[36:37], -v[40:41]
	v_fmac_f64_e32 v[34:35], v[32:33], v[36:37]
	s_delay_alu instid0(VALU_DEP_1) | instskip(NEXT) | instid1(VALU_DEP_1)
	v_add_f64_e32 v[32:33], v[40:41], v[34:35]
	v_add_f64_e32 v[36:37], v[30:31], v[32:33]
	v_add_f64_e64 v[38:39], v[32:33], -v[40:41]
	s_delay_alu instid0(VALU_DEP_2) | instskip(NEXT) | instid1(VALU_DEP_2)
	v_add_f64_e64 v[30:31], v[36:37], -v[30:31]
	v_add_f64_e64 v[34:35], v[34:35], -v[38:39]
	v_cvt_i32_f64_e32 v38, v[26:27]
	s_delay_alu instid0(VALU_DEP_3) | instskip(NEXT) | instid1(VALU_DEP_3)
	v_add_f64_e64 v[30:31], v[32:33], -v[30:31]
	v_add_f64_e32 v[28:29], v[28:29], v[34:35]
	s_delay_alu instid0(VALU_DEP_1) | instskip(NEXT) | instid1(VALU_DEP_1)
	v_add_f64_e32 v[28:29], v[28:29], v[30:31]
	v_add_f64_e32 v[30:31], v[36:37], v[28:29]
	s_delay_alu instid0(VALU_DEP_1) | instskip(SKIP_1) | instid1(VALU_DEP_2)
	v_add_f64_e32 v[32:33], 1.0, v[30:31]
	v_add_f64_e64 v[34:35], v[30:31], -v[36:37]
	v_add_f64_e32 v[36:37], -1.0, v[32:33]
	s_delay_alu instid0(VALU_DEP_2) | instskip(NEXT) | instid1(VALU_DEP_2)
	v_add_f64_e64 v[28:29], v[28:29], -v[34:35]
	v_add_f64_e64 v[30:31], v[30:31], -v[36:37]
	s_delay_alu instid0(VALU_DEP_1) | instskip(NEXT) | instid1(VALU_DEP_1)
	v_add_f64_e32 v[28:29], v[28:29], v[30:31]
	v_add_f64_e32 v[26:27], v[32:33], v[28:29]
	s_delay_alu instid0(VALU_DEP_1) | instskip(SKIP_1) | instid1(VALU_DEP_2)
	v_ldexp_f64 v[30:31], v[26:27], v38
	v_add_f64_e64 v[26:27], v[26:27], -v[32:33]
	v_rcp_f64_e32 v[34:35], v[30:31]
	s_delay_alu instid0(VALU_DEP_1) | instskip(NEXT) | instid1(VALU_DEP_1)
	v_add_f64_e64 v[26:27], v[28:29], -v[26:27]
	v_ldexp_f64 v[26:27], v[26:27], v38
	s_delay_alu instid0(TRANS32_DEP_1) | instskip(NEXT) | instid1(VALU_DEP_1)
	v_fma_f64 v[36:37], -v[30:31], v[34:35], 1.0
	v_fmac_f64_e32 v[34:35], v[36:37], v[34:35]
	s_delay_alu instid0(VALU_DEP_1) | instskip(NEXT) | instid1(VALU_DEP_1)
	v_fma_f64 v[36:37], -v[30:31], v[34:35], 1.0
	v_fmac_f64_e32 v[34:35], v[36:37], v[34:35]
	s_delay_alu instid0(VALU_DEP_1) | instskip(NEXT) | instid1(VALU_DEP_1)
	v_mul_f64_e32 v[28:29], v[30:31], v[34:35]
	v_fma_f64 v[32:33], v[34:35], v[30:31], -v[28:29]
	s_delay_alu instid0(VALU_DEP_1) | instskip(NEXT) | instid1(VALU_DEP_1)
	v_fmac_f64_e32 v[32:33], v[34:35], v[26:27]
	v_add_f64_e32 v[36:37], v[28:29], v[32:33]
	s_delay_alu instid0(VALU_DEP_1) | instskip(SKIP_1) | instid1(VALU_DEP_2)
	v_add_f64_e64 v[38:39], -v[36:37], 1.0
	v_add_f64_e64 v[28:29], v[36:37], -v[28:29]
	v_add_f64_e64 v[40:41], -v[38:39], 1.0
	s_delay_alu instid0(VALU_DEP_2) | instskip(NEXT) | instid1(VALU_DEP_2)
	v_add_f64_e64 v[28:29], v[28:29], -v[32:33]
	v_add_f64_e64 v[32:33], v[40:41], -v[36:37]
	s_delay_alu instid0(VALU_DEP_1) | instskip(NEXT) | instid1(VALU_DEP_1)
	v_add_f64_e32 v[28:29], v[28:29], v[32:33]
	v_add_f64_e32 v[32:33], v[38:39], v[28:29]
	s_delay_alu instid0(VALU_DEP_1) | instskip(SKIP_1) | instid1(VALU_DEP_2)
	v_mul_f64_e32 v[36:37], v[34:35], v[32:33]
	v_add_f64_e64 v[38:39], v[38:39], -v[32:33]
	v_mul_f64_e32 v[40:41], v[30:31], v[36:37]
	s_delay_alu instid0(VALU_DEP_2) | instskip(NEXT) | instid1(VALU_DEP_2)
	v_add_f64_e32 v[28:29], v[28:29], v[38:39]
	v_fma_f64 v[42:43], v[36:37], v[30:31], -v[40:41]
	s_delay_alu instid0(VALU_DEP_1) | instskip(NEXT) | instid1(VALU_DEP_1)
	v_fmac_f64_e32 v[42:43], v[36:37], v[26:27]
	v_add_f64_e32 v[44:45], v[40:41], v[42:43]
	s_delay_alu instid0(VALU_DEP_1) | instskip(SKIP_1) | instid1(VALU_DEP_2)
	v_add_f64_e64 v[46:47], v[32:33], -v[44:45]
	v_add_f64_e64 v[38:39], v[44:45], -v[40:41]
	;; [unrolled: 1-line block ×3, first 2 shown]
	s_delay_alu instid0(VALU_DEP_2) | instskip(NEXT) | instid1(VALU_DEP_2)
	v_add_f64_e64 v[38:39], v[38:39], -v[42:43]
	v_add_f64_e64 v[32:33], v[32:33], -v[44:45]
	s_delay_alu instid0(VALU_DEP_1) | instskip(SKIP_1) | instid1(VALU_DEP_2)
	v_add_f64_e32 v[28:29], v[28:29], v[32:33]
	v_add_f64_e32 v[32:33], v[34:35], v[36:37]
	;; [unrolled: 1-line block ×3, first 2 shown]
	s_delay_alu instid0(VALU_DEP_2) | instskip(NEXT) | instid1(VALU_DEP_2)
	v_add_f64_e64 v[38:39], v[32:33], -v[34:35]
	v_add_f64_e32 v[28:29], v[46:47], v[28:29]
	s_delay_alu instid0(VALU_DEP_2) | instskip(NEXT) | instid1(VALU_DEP_2)
	v_add_f64_e64 v[36:37], v[36:37], -v[38:39]
	v_mul_f64_e32 v[28:29], v[34:35], v[28:29]
	s_delay_alu instid0(VALU_DEP_1) | instskip(NEXT) | instid1(VALU_DEP_1)
	v_add_f64_e32 v[28:29], v[36:37], v[28:29]
	v_add_f64_e32 v[34:35], v[32:33], v[28:29]
	s_delay_alu instid0(VALU_DEP_1) | instskip(SKIP_2) | instid1(VALU_DEP_3)
	v_add_f64_e32 v[36:37], v[30:31], v[34:35]
	v_add_f64_e64 v[32:33], v[34:35], -v[32:33]
	v_add_f64_e64 v[40:41], v[30:31], -v[34:35]
	;; [unrolled: 1-line block ×3, first 2 shown]
	s_delay_alu instid0(VALU_DEP_3) | instskip(NEXT) | instid1(VALU_DEP_3)
	v_add_f64_e64 v[28:29], v[28:29], -v[32:33]
	v_add_f64_e64 v[30:31], v[30:31], -v[40:41]
	s_delay_alu instid0(VALU_DEP_3) | instskip(NEXT) | instid1(VALU_DEP_3)
	v_add_f64_e64 v[32:33], v[34:35], -v[38:39]
	v_add_f64_e32 v[38:39], v[26:27], v[28:29]
	s_delay_alu instid0(VALU_DEP_3) | instskip(NEXT) | instid1(VALU_DEP_2)
	v_add_f64_e64 v[30:31], v[30:31], -v[34:35]
	v_add_f64_e32 v[32:33], v[38:39], v[32:33]
	s_delay_alu instid0(VALU_DEP_2) | instskip(NEXT) | instid1(VALU_DEP_2)
	v_add_f64_e32 v[26:27], v[26:27], v[30:31]
	v_add_f64_e32 v[38:39], v[36:37], v[32:33]
	s_delay_alu instid0(VALU_DEP_2) | instskip(NEXT) | instid1(VALU_DEP_2)
	v_add_f64_e64 v[26:27], v[26:27], -v[28:29]
	v_rcp_f64_e32 v[42:43], v[38:39]
	s_delay_alu instid0(VALU_DEP_1) | instskip(NEXT) | instid1(TRANS32_DEP_1)
	v_add_f64_e32 v[30:31], v[40:41], v[26:27]
	v_fma_f64 v[34:35], -v[38:39], v[42:43], 1.0
	s_delay_alu instid0(VALU_DEP_1) | instskip(SKIP_1) | instid1(VALU_DEP_2)
	v_fmac_f64_e32 v[42:43], v[34:35], v[42:43]
	v_add_f64_e64 v[34:35], v[38:39], -v[36:37]
	v_fma_f64 v[28:29], -v[38:39], v[42:43], 1.0
	s_delay_alu instid0(VALU_DEP_2) | instskip(NEXT) | instid1(VALU_DEP_2)
	v_add_f64_e64 v[32:33], v[32:33], -v[34:35]
	v_fmac_f64_e32 v[42:43], v[28:29], v[42:43]
	s_delay_alu instid0(VALU_DEP_1) | instskip(NEXT) | instid1(VALU_DEP_1)
	v_mul_f64_e32 v[28:29], v[30:31], v[42:43]
	v_mul_f64_e32 v[36:37], v[38:39], v[28:29]
	s_delay_alu instid0(VALU_DEP_1) | instskip(NEXT) | instid1(VALU_DEP_1)
	v_fma_f64 v[34:35], v[28:29], v[38:39], -v[36:37]
	v_fmac_f64_e32 v[34:35], v[28:29], v[32:33]
	s_delay_alu instid0(VALU_DEP_1) | instskip(NEXT) | instid1(VALU_DEP_1)
	v_add_f64_e32 v[32:33], v[36:37], v[34:35]
	v_add_f64_e64 v[38:39], v[30:31], -v[32:33]
	v_add_f64_e64 v[36:37], v[32:33], -v[36:37]
	s_delay_alu instid0(VALU_DEP_2) | instskip(SKIP_1) | instid1(VALU_DEP_3)
	v_add_f64_e64 v[44:45], v[30:31], -v[38:39]
	v_add_f64_e64 v[30:31], v[30:31], -v[40:41]
	;; [unrolled: 1-line block ×3, first 2 shown]
	s_delay_alu instid0(VALU_DEP_3) | instskip(NEXT) | instid1(VALU_DEP_3)
	v_add_f64_e64 v[32:33], v[44:45], -v[32:33]
	v_add_f64_e64 v[26:27], v[26:27], -v[30:31]
	s_delay_alu instid0(VALU_DEP_2) | instskip(NEXT) | instid1(VALU_DEP_1)
	v_add_f64_e64 v[30:31], v[32:33], -v[34:35]
	v_add_f64_e32 v[26:27], v[26:27], v[30:31]
	s_delay_alu instid0(VALU_DEP_1) | instskip(NEXT) | instid1(VALU_DEP_1)
	v_add_f64_e32 v[26:27], v[38:39], v[26:27]
	v_mul_f64_e32 v[26:27], v[42:43], v[26:27]
	s_delay_alu instid0(VALU_DEP_1) | instskip(SKIP_1) | instid1(VALU_DEP_2)
	v_add_f64_e32 v[26:27], v[28:29], v[26:27]
	v_and_b32_e32 v28, 0x7fffffff, v25
	v_cndmask_b32_e64 v27, 0x3ff00000, v27, s2
	s_delay_alu instid0(VALU_DEP_3) | instskip(SKIP_1) | instid1(VALU_DEP_1)
	v_cndmask_b32_e64 v26, 0, v26, s2
	v_cmp_gt_f64_e64 s2, 0x3e400000, |v[24:25]|
	v_cndmask_b32_e64 v24, v26, v24, s2
	s_delay_alu instid0(VALU_DEP_4) | instskip(NEXT) | instid1(VALU_DEP_1)
	v_cndmask_b32_e64 v26, v27, v28, s2
	v_bfi_b32 v25, 0x7fffffff, v26, v25
	global_store_b64 v[22:23], v[24:25], off
	s_wait_xcnt 0x0
	s_or_b32 exec_lo, exec_lo, s3
	s_and_saveexec_b32 s2, vcc_lo
	s_cbranch_execz .LBB159_3
.LBB159_19:                             ;   in Loop: Header=BB159_4 Depth=1
	s_wait_loadcnt 0x0
	v_mul_f64_e64 v[22:23], |v[18:19]|, s[12:13]
	v_cmp_nlt_f64_e64 vcc_lo, 0x40331000, |v[18:19]|
	s_delay_alu instid0(VALU_DEP_2) | instskip(NEXT) | instid1(VALU_DEP_1)
	v_rndne_f64_e32 v[22:23], v[22:23]
	v_fma_f64 v[24:25], v[22:23], s[14:15], |v[18:19]|
	v_mul_f64_e32 v[26:27], 0xbd53de6af278e000, v[22:23]
	s_delay_alu instid0(VALU_DEP_2) | instskip(NEXT) | instid1(VALU_DEP_1)
	v_add_f64_e32 v[28:29], 0, v[24:25]
	v_add_f64_e32 v[30:31], v[28:29], v[26:27]
	v_add_f64_e64 v[24:25], v[24:25], -v[28:29]
	s_delay_alu instid0(VALU_DEP_2) | instskip(NEXT) | instid1(VALU_DEP_2)
	v_add_f64_e64 v[28:29], v[28:29], -v[30:31]
	v_add_f64_e32 v[24:25], 0, v[24:25]
	s_delay_alu instid0(VALU_DEP_2) | instskip(NEXT) | instid1(VALU_DEP_1)
	v_add_f64_e32 v[26:27], v[28:29], v[26:27]
	v_add_f64_e32 v[24:25], v[24:25], v[26:27]
	v_mul_f64_e32 v[26:27], 0xbac9cc01f97b57a0, v[22:23]
	s_delay_alu instid0(VALU_DEP_2) | instskip(NEXT) | instid1(VALU_DEP_1)
	v_add_f64_e32 v[28:29], v[30:31], v[24:25]
	v_add_f64_e32 v[32:33], v[28:29], v[26:27]
	v_add_f64_e64 v[30:31], v[30:31], -v[28:29]
	s_delay_alu instid0(VALU_DEP_2) | instskip(NEXT) | instid1(VALU_DEP_2)
	v_add_f64_e64 v[28:29], v[28:29], -v[32:33]
	v_add_f64_e32 v[24:25], v[24:25], v[30:31]
	s_delay_alu instid0(VALU_DEP_2) | instskip(NEXT) | instid1(VALU_DEP_1)
	v_add_f64_e32 v[26:27], v[28:29], v[26:27]
	v_add_f64_e32 v[24:25], v[24:25], v[26:27]
	s_delay_alu instid0(VALU_DEP_1) | instskip(NEXT) | instid1(VALU_DEP_1)
	v_add_f64_e32 v[26:27], v[32:33], v[24:25]
	v_add_f64_e64 v[28:29], v[32:33], -v[26:27]
	v_mul_f64_e32 v[30:31], v[26:27], v[26:27]
	s_delay_alu instid0(VALU_DEP_2) | instskip(NEXT) | instid1(VALU_DEP_2)
	v_add_f64_e32 v[24:25], v[24:25], v[28:29]
	v_fma_f64 v[28:29], v[26:27], v[26:27], -v[30:31]
	s_delay_alu instid0(VALU_DEP_2) | instskip(NEXT) | instid1(VALU_DEP_1)
	v_add_f64_e32 v[32:33], v[24:25], v[24:25]
	v_fmac_f64_e32 v[28:29], v[26:27], v[32:33]
	v_fmamk_f64 v[32:33], v[26:27], 0x3e5ade156a5dcb37, v[16:17]
	s_delay_alu instid0(VALU_DEP_1) | instskip(NEXT) | instid1(VALU_DEP_1)
	v_fmaak_f64 v[32:33], v[26:27], v[32:33], 0x3ec71dee623fde64
	v_fmaak_f64 v[32:33], v[26:27], v[32:33], 0x3efa01997c89e6b0
	s_delay_alu instid0(VALU_DEP_1) | instskip(NEXT) | instid1(VALU_DEP_1)
	v_fmaak_f64 v[32:33], v[26:27], v[32:33], 0x3f2a01a014761f6e
	v_fmaak_f64 v[32:33], v[26:27], v[32:33], 0x3f56c16c1852b7b0
	v_add_f64_e32 v[34:35], v[30:31], v[28:29]
	s_delay_alu instid0(VALU_DEP_2) | instskip(NEXT) | instid1(VALU_DEP_1)
	v_fmaak_f64 v[32:33], v[26:27], v[32:33], 0x3f81111111122322
	v_fmaak_f64 v[32:33], v[26:27], v[32:33], 0x3fa55555555502a1
	s_delay_alu instid0(VALU_DEP_1) | instskip(NEXT) | instid1(VALU_DEP_1)
	v_fmaak_f64 v[32:33], v[26:27], v[32:33], 0x3fc5555555555511
	v_fmaak_f64 v[32:33], v[26:27], v[32:33], 0x3fe000000000000b
	v_add_f64_e64 v[30:31], v[34:35], -v[30:31]
	s_delay_alu instid0(VALU_DEP_2) | instskip(NEXT) | instid1(VALU_DEP_2)
	v_mul_f64_e32 v[36:37], v[34:35], v[32:33]
	v_add_f64_e64 v[28:29], v[28:29], -v[30:31]
	s_delay_alu instid0(VALU_DEP_2) | instskip(NEXT) | instid1(VALU_DEP_1)
	v_fma_f64 v[30:31], v[34:35], v[32:33], -v[36:37]
	v_fmac_f64_e32 v[30:31], v[28:29], v[32:33]
	s_delay_alu instid0(VALU_DEP_1) | instskip(NEXT) | instid1(VALU_DEP_1)
	v_add_f64_e32 v[28:29], v[36:37], v[30:31]
	v_add_f64_e32 v[32:33], v[26:27], v[28:29]
	v_add_f64_e64 v[34:35], v[28:29], -v[36:37]
	s_delay_alu instid0(VALU_DEP_2) | instskip(NEXT) | instid1(VALU_DEP_2)
	v_add_f64_e64 v[26:27], v[32:33], -v[26:27]
	v_add_f64_e64 v[30:31], v[30:31], -v[34:35]
	v_cvt_i32_f64_e32 v34, v[22:23]
	s_delay_alu instid0(VALU_DEP_3) | instskip(NEXT) | instid1(VALU_DEP_3)
	v_add_f64_e64 v[26:27], v[28:29], -v[26:27]
	v_add_f64_e32 v[24:25], v[24:25], v[30:31]
	s_delay_alu instid0(VALU_DEP_1) | instskip(NEXT) | instid1(VALU_DEP_1)
	v_add_f64_e32 v[24:25], v[24:25], v[26:27]
	v_add_f64_e32 v[26:27], v[32:33], v[24:25]
	s_delay_alu instid0(VALU_DEP_1) | instskip(SKIP_1) | instid1(VALU_DEP_2)
	v_add_f64_e32 v[28:29], 1.0, v[26:27]
	v_add_f64_e64 v[30:31], v[26:27], -v[32:33]
	v_add_f64_e32 v[32:33], -1.0, v[28:29]
	s_delay_alu instid0(VALU_DEP_2) | instskip(NEXT) | instid1(VALU_DEP_2)
	v_add_f64_e64 v[24:25], v[24:25], -v[30:31]
	v_add_f64_e64 v[26:27], v[26:27], -v[32:33]
	s_delay_alu instid0(VALU_DEP_1) | instskip(NEXT) | instid1(VALU_DEP_1)
	v_add_f64_e32 v[24:25], v[24:25], v[26:27]
	v_add_f64_e32 v[22:23], v[28:29], v[24:25]
	s_delay_alu instid0(VALU_DEP_1) | instskip(SKIP_1) | instid1(VALU_DEP_2)
	v_ldexp_f64 v[26:27], v[22:23], v34
	v_add_f64_e64 v[22:23], v[22:23], -v[28:29]
	v_rcp_f64_e32 v[30:31], v[26:27]
	s_delay_alu instid0(VALU_DEP_1) | instskip(NEXT) | instid1(VALU_DEP_1)
	v_add_f64_e64 v[22:23], v[24:25], -v[22:23]
	v_ldexp_f64 v[22:23], v[22:23], v34
	s_delay_alu instid0(TRANS32_DEP_1) | instskip(NEXT) | instid1(VALU_DEP_1)
	v_fma_f64 v[32:33], -v[26:27], v[30:31], 1.0
	v_fmac_f64_e32 v[30:31], v[32:33], v[30:31]
	s_delay_alu instid0(VALU_DEP_1) | instskip(NEXT) | instid1(VALU_DEP_1)
	v_fma_f64 v[32:33], -v[26:27], v[30:31], 1.0
	v_fmac_f64_e32 v[30:31], v[32:33], v[30:31]
	s_delay_alu instid0(VALU_DEP_1) | instskip(NEXT) | instid1(VALU_DEP_1)
	v_mul_f64_e32 v[24:25], v[26:27], v[30:31]
	v_fma_f64 v[28:29], v[30:31], v[26:27], -v[24:25]
	s_delay_alu instid0(VALU_DEP_1) | instskip(NEXT) | instid1(VALU_DEP_1)
	v_fmac_f64_e32 v[28:29], v[30:31], v[22:23]
	v_add_f64_e32 v[32:33], v[24:25], v[28:29]
	s_delay_alu instid0(VALU_DEP_1) | instskip(SKIP_1) | instid1(VALU_DEP_2)
	v_add_f64_e64 v[34:35], -v[32:33], 1.0
	v_add_f64_e64 v[24:25], v[32:33], -v[24:25]
	v_add_f64_e64 v[36:37], -v[34:35], 1.0
	s_delay_alu instid0(VALU_DEP_2) | instskip(NEXT) | instid1(VALU_DEP_2)
	v_add_f64_e64 v[24:25], v[24:25], -v[28:29]
	v_add_f64_e64 v[28:29], v[36:37], -v[32:33]
	s_delay_alu instid0(VALU_DEP_1) | instskip(NEXT) | instid1(VALU_DEP_1)
	v_add_f64_e32 v[24:25], v[24:25], v[28:29]
	v_add_f64_e32 v[28:29], v[34:35], v[24:25]
	s_delay_alu instid0(VALU_DEP_1) | instskip(SKIP_1) | instid1(VALU_DEP_2)
	v_mul_f64_e32 v[32:33], v[30:31], v[28:29]
	v_add_f64_e64 v[34:35], v[34:35], -v[28:29]
	v_mul_f64_e32 v[36:37], v[26:27], v[32:33]
	s_delay_alu instid0(VALU_DEP_2) | instskip(NEXT) | instid1(VALU_DEP_2)
	v_add_f64_e32 v[24:25], v[24:25], v[34:35]
	v_fma_f64 v[38:39], v[32:33], v[26:27], -v[36:37]
	s_delay_alu instid0(VALU_DEP_1) | instskip(NEXT) | instid1(VALU_DEP_1)
	v_fmac_f64_e32 v[38:39], v[32:33], v[22:23]
	v_add_f64_e32 v[40:41], v[36:37], v[38:39]
	s_delay_alu instid0(VALU_DEP_1) | instskip(SKIP_1) | instid1(VALU_DEP_2)
	v_add_f64_e64 v[42:43], v[28:29], -v[40:41]
	v_add_f64_e64 v[34:35], v[40:41], -v[36:37]
	;; [unrolled: 1-line block ×3, first 2 shown]
	s_delay_alu instid0(VALU_DEP_2) | instskip(NEXT) | instid1(VALU_DEP_2)
	v_add_f64_e64 v[34:35], v[34:35], -v[38:39]
	v_add_f64_e64 v[28:29], v[28:29], -v[40:41]
	s_delay_alu instid0(VALU_DEP_1) | instskip(SKIP_1) | instid1(VALU_DEP_2)
	v_add_f64_e32 v[24:25], v[24:25], v[28:29]
	v_add_f64_e32 v[28:29], v[30:31], v[32:33]
	;; [unrolled: 1-line block ×3, first 2 shown]
	s_delay_alu instid0(VALU_DEP_2) | instskip(NEXT) | instid1(VALU_DEP_2)
	v_add_f64_e64 v[34:35], v[28:29], -v[30:31]
	v_add_f64_e32 v[24:25], v[42:43], v[24:25]
	s_delay_alu instid0(VALU_DEP_2) | instskip(NEXT) | instid1(VALU_DEP_2)
	v_add_f64_e64 v[32:33], v[32:33], -v[34:35]
	v_mul_f64_e32 v[24:25], v[30:31], v[24:25]
	s_delay_alu instid0(VALU_DEP_1) | instskip(NEXT) | instid1(VALU_DEP_1)
	v_add_f64_e32 v[24:25], v[32:33], v[24:25]
	v_add_f64_e32 v[30:31], v[28:29], v[24:25]
	s_delay_alu instid0(VALU_DEP_1) | instskip(SKIP_2) | instid1(VALU_DEP_3)
	v_add_f64_e32 v[32:33], v[26:27], v[30:31]
	v_add_f64_e64 v[28:29], v[30:31], -v[28:29]
	v_add_f64_e64 v[36:37], v[26:27], -v[30:31]
	;; [unrolled: 1-line block ×3, first 2 shown]
	s_delay_alu instid0(VALU_DEP_3) | instskip(NEXT) | instid1(VALU_DEP_3)
	v_add_f64_e64 v[24:25], v[24:25], -v[28:29]
	v_add_f64_e64 v[26:27], v[26:27], -v[36:37]
	s_delay_alu instid0(VALU_DEP_3) | instskip(NEXT) | instid1(VALU_DEP_3)
	v_add_f64_e64 v[28:29], v[30:31], -v[34:35]
	v_add_f64_e32 v[34:35], v[22:23], v[24:25]
	s_delay_alu instid0(VALU_DEP_3) | instskip(NEXT) | instid1(VALU_DEP_2)
	v_add_f64_e64 v[26:27], v[26:27], -v[30:31]
	v_add_f64_e32 v[28:29], v[34:35], v[28:29]
	s_delay_alu instid0(VALU_DEP_2) | instskip(NEXT) | instid1(VALU_DEP_2)
	v_add_f64_e32 v[22:23], v[22:23], v[26:27]
	v_add_f64_e32 v[34:35], v[32:33], v[28:29]
	s_delay_alu instid0(VALU_DEP_2) | instskip(NEXT) | instid1(VALU_DEP_2)
	v_add_f64_e64 v[22:23], v[22:23], -v[24:25]
	v_rcp_f64_e32 v[38:39], v[34:35]
	s_delay_alu instid0(VALU_DEP_1) | instskip(NEXT) | instid1(TRANS32_DEP_1)
	v_add_f64_e32 v[26:27], v[36:37], v[22:23]
	v_fma_f64 v[30:31], -v[34:35], v[38:39], 1.0
	s_delay_alu instid0(VALU_DEP_1) | instskip(SKIP_1) | instid1(VALU_DEP_2)
	v_fmac_f64_e32 v[38:39], v[30:31], v[38:39]
	v_add_f64_e64 v[30:31], v[34:35], -v[32:33]
	v_fma_f64 v[24:25], -v[34:35], v[38:39], 1.0
	s_delay_alu instid0(VALU_DEP_2) | instskip(NEXT) | instid1(VALU_DEP_2)
	v_add_f64_e64 v[28:29], v[28:29], -v[30:31]
	v_fmac_f64_e32 v[38:39], v[24:25], v[38:39]
	s_delay_alu instid0(VALU_DEP_1) | instskip(NEXT) | instid1(VALU_DEP_1)
	v_mul_f64_e32 v[24:25], v[26:27], v[38:39]
	v_mul_f64_e32 v[32:33], v[34:35], v[24:25]
	s_delay_alu instid0(VALU_DEP_1) | instskip(NEXT) | instid1(VALU_DEP_1)
	v_fma_f64 v[30:31], v[24:25], v[34:35], -v[32:33]
	v_fmac_f64_e32 v[30:31], v[24:25], v[28:29]
	s_delay_alu instid0(VALU_DEP_1) | instskip(NEXT) | instid1(VALU_DEP_1)
	v_add_f64_e32 v[28:29], v[32:33], v[30:31]
	v_add_f64_e64 v[34:35], v[26:27], -v[28:29]
	v_add_f64_e64 v[32:33], v[28:29], -v[32:33]
	s_delay_alu instid0(VALU_DEP_2) | instskip(SKIP_1) | instid1(VALU_DEP_3)
	v_add_f64_e64 v[40:41], v[26:27], -v[34:35]
	v_add_f64_e64 v[26:27], v[26:27], -v[36:37]
	;; [unrolled: 1-line block ×3, first 2 shown]
	s_delay_alu instid0(VALU_DEP_3) | instskip(NEXT) | instid1(VALU_DEP_3)
	v_add_f64_e64 v[28:29], v[40:41], -v[28:29]
	v_add_f64_e64 v[22:23], v[22:23], -v[26:27]
	s_delay_alu instid0(VALU_DEP_2) | instskip(NEXT) | instid1(VALU_DEP_1)
	v_add_f64_e64 v[26:27], v[28:29], -v[30:31]
	v_add_f64_e32 v[22:23], v[22:23], v[26:27]
	s_delay_alu instid0(VALU_DEP_1) | instskip(NEXT) | instid1(VALU_DEP_1)
	v_add_f64_e32 v[22:23], v[34:35], v[22:23]
	v_mul_f64_e32 v[22:23], v[38:39], v[22:23]
	s_delay_alu instid0(VALU_DEP_1) | instskip(SKIP_1) | instid1(VALU_DEP_2)
	v_add_f64_e32 v[22:23], v[24:25], v[22:23]
	v_and_b32_e32 v24, 0x7fffffff, v19
	v_cndmask_b32_e32 v23, 0x3ff00000, v23, vcc_lo
	s_delay_alu instid0(VALU_DEP_3) | instskip(SKIP_1) | instid1(VALU_DEP_1)
	v_cndmask_b32_e32 v22, 0, v22, vcc_lo
	v_cmp_gt_f64_e64 vcc_lo, 0x3e400000, |v[18:19]|
	v_dual_cndmask_b32 v18, v22, v18, vcc_lo :: v_dual_cndmask_b32 v22, v23, v24, vcc_lo
	s_delay_alu instid0(VALU_DEP_1)
	v_bfi_b32 v19, 0x7fffffff, v22, v19
	global_store_b64 v[20:21], v[18:19], off
	s_branch .LBB159_3
.LBB159_20:
	s_cbranch_execz .LBB159_22
	s_branch .LBB159_25
.LBB159_21:
.LBB159_22:
	v_min_i64 v[10:11], 0x10000, s[10:11]
	v_dual_mov_b32 v3, 0 :: v_dual_lshlrev_b32 v2, 2, v0
	s_mov_b32 s2, exec_lo
	s_delay_alu instid0(VALU_DEP_1)
	v_cmpx_lt_i64_e64 v[2:3], v[10:11]
	s_cbranch_execz .LBB159_25
; %bb.23:
	s_load_b32 s4, s[0:1], 0xd3c
	v_dual_mov_b32 v1, v3 :: v_dual_lshlrev_b32 v2, 5, v0
	s_wait_xcnt 0x0
	s_add_nc_u64 s[0:1], s[6:7], s[8:9]
	v_mov_b64_e32 v[12:13], 0x3e928af3fca7ab0c
	s_mov_b32 s5, 0
	v_add_nc_u64_e32 v[4:5], s[0:1], v[2:3]
	s_mov_b64 s[0:1], 0x3ff71547652b82fe
	s_mov_b64 s[2:3], 0xbfe62e42fefa3000
	s_mov_b32 s7, s5
	s_mov_b32 s8, s5
                                        ; implicit-def: $vgpr2_vgpr3
                                        ; implicit-def: $vgpr2_vgpr3
	;; [unrolled: 1-line block ×8, first 2 shown]
	s_delay_alu instid0(VALU_DEP_1) | instskip(SKIP_2) | instid1(SALU_CYCLE_1)
	v_add_nc_u64_e32 v[14:15], 16, v[4:5]
	s_wait_kmcnt 0x0
	s_and_b32 s4, s4, 0xffff
	s_lshl_b32 s6, s4, 5
.LBB159_24:                             ; =>This Inner Loop Header: Depth=1
	s_clause 0x1
	global_load_b128 v[2:5], v[14:15], off
	global_load_b128 v[6:9], v[14:15], off offset:-16
	v_add_nc_u64_e32 v[0:1], s[4:5], v[0:1]
	s_wait_loadcnt 0x0
	v_mul_f64_e64 v[16:17], |v[6:7]|, s[0:1]
	v_cmp_nlt_f64_e64 vcc_lo, 0x40331000, |v[6:7]|
	v_and_b32_e32 v36, 0x7fffffff, v7
	s_delay_alu instid0(VALU_DEP_3) | instskip(NEXT) | instid1(VALU_DEP_1)
	v_rndne_f64_e32 v[16:17], v[16:17]
	v_fma_f64 v[18:19], v[16:17], s[2:3], |v[6:7]|
	v_mul_f64_e32 v[22:23], 0x3d53de6af278e000, v[16:17]
	s_delay_alu instid0(VALU_DEP_2) | instskip(NEXT) | instid1(VALU_DEP_1)
	v_add_f64_e32 v[20:21], 0, v[18:19]
	v_add_f64_e64 v[24:25], v[20:21], -v[22:23]
	v_add_f64_e64 v[18:19], v[18:19], -v[20:21]
	s_delay_alu instid0(VALU_DEP_2) | instskip(NEXT) | instid1(VALU_DEP_2)
	v_add_f64_e64 v[20:21], v[20:21], -v[24:25]
	v_add_f64_e32 v[18:19], 0, v[18:19]
	s_delay_alu instid0(VALU_DEP_2) | instskip(NEXT) | instid1(VALU_DEP_1)
	v_add_f64_e64 v[20:21], v[20:21], -v[22:23]
	v_add_f64_e32 v[18:19], v[18:19], v[20:21]
	s_delay_alu instid0(VALU_DEP_1) | instskip(NEXT) | instid1(VALU_DEP_1)
	v_add_f64_e32 v[20:21], v[24:25], v[18:19]
	v_add_f64_e64 v[22:23], v[24:25], -v[20:21]
	s_delay_alu instid0(VALU_DEP_1) | instskip(SKIP_1) | instid1(VALU_DEP_1)
	v_add_f64_e32 v[18:19], v[18:19], v[22:23]
	v_mul_f64_e32 v[22:23], 0x3ac9cc01f97b57a0, v[16:17]
	v_add_f64_e64 v[24:25], v[20:21], -v[22:23]
	s_delay_alu instid0(VALU_DEP_1) | instskip(NEXT) | instid1(VALU_DEP_1)
	v_add_f64_e64 v[20:21], v[20:21], -v[24:25]
	v_add_f64_e64 v[20:21], v[20:21], -v[22:23]
	s_delay_alu instid0(VALU_DEP_1) | instskip(NEXT) | instid1(VALU_DEP_1)
	v_add_f64_e32 v[18:19], v[18:19], v[20:21]
	v_add_f64_e32 v[20:21], v[24:25], v[18:19]
	s_delay_alu instid0(VALU_DEP_1) | instskip(SKIP_1) | instid1(VALU_DEP_2)
	v_add_f64_e64 v[22:23], v[24:25], -v[20:21]
	v_mul_f64_e32 v[24:25], v[20:21], v[20:21]
	v_add_f64_e32 v[18:19], v[18:19], v[22:23]
	s_delay_alu instid0(VALU_DEP_2) | instskip(SKIP_1) | instid1(VALU_DEP_1)
	v_fma_f64 v[26:27], v[20:21], v[20:21], -v[24:25]
	v_fmamk_f64 v[22:23], v[20:21], 0x3e5ade156a5dcb37, v[12:13]
	v_fmaak_f64 v[22:23], v[20:21], v[22:23], 0x3ec71dee623fde64
	s_delay_alu instid0(VALU_DEP_1) | instskip(NEXT) | instid1(VALU_DEP_1)
	v_fmaak_f64 v[22:23], v[20:21], v[22:23], 0x3efa01997c89e6b0
	v_fmaak_f64 v[22:23], v[20:21], v[22:23], 0x3f2a01a014761f6e
	s_delay_alu instid0(VALU_DEP_1) | instskip(SKIP_1) | instid1(VALU_DEP_2)
	v_fmaak_f64 v[22:23], v[20:21], v[22:23], 0x3f56c16c1852b7b0
	v_add_f64_e32 v[28:29], v[18:19], v[18:19]
	v_fmaak_f64 v[22:23], v[20:21], v[22:23], 0x3f81111111122322
	s_delay_alu instid0(VALU_DEP_1) | instskip(NEXT) | instid1(VALU_DEP_1)
	v_fmaak_f64 v[22:23], v[20:21], v[22:23], 0x3fa55555555502a1
	v_fmaak_f64 v[22:23], v[20:21], v[22:23], 0x3fc5555555555511
	s_delay_alu instid0(VALU_DEP_1) | instskip(SKIP_1) | instid1(VALU_DEP_1)
	v_fmaak_f64 v[22:23], v[20:21], v[22:23], 0x3fe000000000000b
	v_fmac_f64_e32 v[26:27], v[20:21], v[28:29]
	v_add_f64_e32 v[28:29], v[24:25], v[26:27]
	s_delay_alu instid0(VALU_DEP_1) | instskip(NEXT) | instid1(VALU_DEP_1)
	v_add_f64_e64 v[24:25], v[28:29], -v[24:25]
	v_add_f64_e64 v[24:25], v[26:27], -v[24:25]
	v_mul_f64_e32 v[26:27], v[28:29], v[22:23]
	s_delay_alu instid0(VALU_DEP_1) | instskip(NEXT) | instid1(VALU_DEP_1)
	v_fma_f64 v[28:29], v[28:29], v[22:23], -v[26:27]
	v_fmac_f64_e32 v[28:29], v[24:25], v[22:23]
	s_delay_alu instid0(VALU_DEP_1) | instskip(NEXT) | instid1(VALU_DEP_1)
	v_add_f64_e32 v[22:23], v[26:27], v[28:29]
	v_add_f64_e64 v[24:25], v[22:23], -v[26:27]
	v_add_f64_e32 v[26:27], v[20:21], v[22:23]
	s_delay_alu instid0(VALU_DEP_2) | instskip(NEXT) | instid1(VALU_DEP_2)
	v_add_f64_e64 v[24:25], v[28:29], -v[24:25]
	v_add_f64_e64 v[20:21], v[26:27], -v[20:21]
	s_delay_alu instid0(VALU_DEP_2) | instskip(NEXT) | instid1(VALU_DEP_2)
	v_add_f64_e32 v[18:19], v[18:19], v[24:25]
	v_add_f64_e64 v[20:21], v[22:23], -v[20:21]
	s_delay_alu instid0(VALU_DEP_1) | instskip(NEXT) | instid1(VALU_DEP_1)
	v_add_f64_e32 v[18:19], v[18:19], v[20:21]
	v_add_f64_e32 v[20:21], v[26:27], v[18:19]
	s_delay_alu instid0(VALU_DEP_1) | instskip(NEXT) | instid1(VALU_DEP_1)
	v_add_f64_e64 v[22:23], v[20:21], -v[26:27]
	v_add_f64_e64 v[18:19], v[18:19], -v[22:23]
	v_add_f64_e32 v[22:23], 1.0, v[20:21]
	s_delay_alu instid0(VALU_DEP_1) | instskip(NEXT) | instid1(VALU_DEP_1)
	v_add_f64_e32 v[24:25], -1.0, v[22:23]
	v_add_f64_e64 v[20:21], v[20:21], -v[24:25]
	s_delay_alu instid0(VALU_DEP_1) | instskip(NEXT) | instid1(VALU_DEP_1)
	v_add_f64_e32 v[18:19], v[18:19], v[20:21]
	v_add_f64_e32 v[20:21], v[22:23], v[18:19]
	s_delay_alu instid0(VALU_DEP_1) | instskip(NEXT) | instid1(VALU_DEP_1)
	v_add_f64_e64 v[22:23], v[20:21], -v[22:23]
	v_add_f64_e64 v[18:19], v[18:19], -v[22:23]
	v_cvt_i32_f64_e32 v22, v[16:17]
	s_delay_alu instid0(VALU_DEP_1) | instskip(NEXT) | instid1(VALU_DEP_3)
	v_ldexp_f64 v[16:17], v[20:21], v22
	v_ldexp_f64 v[18:19], v[18:19], v22
	s_delay_alu instid0(VALU_DEP_2) | instskip(SKIP_1) | instid1(TRANS32_DEP_1)
	v_rcp_f64_e32 v[20:21], v[16:17]
	v_nop
	v_fma_f64 v[22:23], -v[16:17], v[20:21], 1.0
	s_delay_alu instid0(VALU_DEP_1) | instskip(NEXT) | instid1(VALU_DEP_1)
	v_fmac_f64_e32 v[20:21], v[22:23], v[20:21]
	v_fma_f64 v[22:23], -v[16:17], v[20:21], 1.0
	s_delay_alu instid0(VALU_DEP_1) | instskip(NEXT) | instid1(VALU_DEP_1)
	v_fmac_f64_e32 v[20:21], v[22:23], v[20:21]
	v_mul_f64_e32 v[22:23], v[16:17], v[20:21]
	s_delay_alu instid0(VALU_DEP_1) | instskip(NEXT) | instid1(VALU_DEP_1)
	v_fma_f64 v[24:25], v[20:21], v[16:17], -v[22:23]
	v_fmac_f64_e32 v[24:25], v[20:21], v[18:19]
	s_delay_alu instid0(VALU_DEP_1) | instskip(NEXT) | instid1(VALU_DEP_1)
	v_add_f64_e32 v[26:27], v[22:23], v[24:25]
	v_add_f64_e64 v[28:29], -v[26:27], 1.0
	v_add_f64_e64 v[22:23], v[26:27], -v[22:23]
	s_delay_alu instid0(VALU_DEP_2) | instskip(NEXT) | instid1(VALU_DEP_2)
	v_add_f64_e64 v[30:31], -v[28:29], 1.0
	v_add_f64_e64 v[22:23], v[22:23], -v[24:25]
	s_delay_alu instid0(VALU_DEP_2) | instskip(NEXT) | instid1(VALU_DEP_1)
	v_add_f64_e64 v[26:27], v[30:31], -v[26:27]
	v_add_f64_e32 v[22:23], v[22:23], v[26:27]
	s_delay_alu instid0(VALU_DEP_1) | instskip(NEXT) | instid1(VALU_DEP_1)
	v_add_f64_e32 v[24:25], v[28:29], v[22:23]
	v_add_f64_e64 v[26:27], v[28:29], -v[24:25]
	s_delay_alu instid0(VALU_DEP_1) | instskip(SKIP_1) | instid1(VALU_DEP_1)
	v_add_f64_e32 v[22:23], v[22:23], v[26:27]
	v_mul_f64_e32 v[26:27], v[20:21], v[24:25]
	v_mul_f64_e32 v[28:29], v[16:17], v[26:27]
	s_delay_alu instid0(VALU_DEP_1) | instskip(NEXT) | instid1(VALU_DEP_1)
	v_fma_f64 v[30:31], v[26:27], v[16:17], -v[28:29]
	v_fmac_f64_e32 v[30:31], v[26:27], v[18:19]
	s_delay_alu instid0(VALU_DEP_1) | instskip(NEXT) | instid1(VALU_DEP_1)
	v_add_f64_e32 v[32:33], v[28:29], v[30:31]
	v_add_f64_e64 v[34:35], v[24:25], -v[32:33]
	v_add_f64_e64 v[28:29], v[32:33], -v[28:29]
	s_delay_alu instid0(VALU_DEP_2) | instskip(NEXT) | instid1(VALU_DEP_1)
	v_add_f64_e64 v[24:25], v[24:25], -v[34:35]
	v_add_f64_e64 v[24:25], v[24:25], -v[32:33]
	s_delay_alu instid0(VALU_DEP_1) | instskip(NEXT) | instid1(VALU_DEP_4)
	v_add_f64_e32 v[22:23], v[22:23], v[24:25]
	v_add_f64_e64 v[24:25], v[28:29], -v[30:31]
	s_delay_alu instid0(VALU_DEP_1) | instskip(SKIP_1) | instid1(VALU_DEP_2)
	v_add_f64_e32 v[22:23], v[24:25], v[22:23]
	v_add_f64_e32 v[24:25], v[20:21], v[26:27]
	;; [unrolled: 1-line block ×3, first 2 shown]
	s_delay_alu instid0(VALU_DEP_1) | instskip(NEXT) | instid1(VALU_DEP_3)
	v_mul_f64_e32 v[22:23], v[20:21], v[22:23]
	v_add_f64_e64 v[20:21], v[24:25], -v[20:21]
	s_delay_alu instid0(VALU_DEP_1) | instskip(NEXT) | instid1(VALU_DEP_1)
	v_add_f64_e64 v[20:21], v[26:27], -v[20:21]
	v_add_f64_e32 v[20:21], v[20:21], v[22:23]
	s_delay_alu instid0(VALU_DEP_1) | instskip(NEXT) | instid1(VALU_DEP_1)
	v_add_f64_e32 v[22:23], v[24:25], v[20:21]
	v_add_f64_e64 v[24:25], v[22:23], -v[24:25]
	s_delay_alu instid0(VALU_DEP_1) | instskip(SKIP_1) | instid1(VALU_DEP_1)
	v_add_f64_e64 v[20:21], v[20:21], -v[24:25]
	v_add_f64_e64 v[24:25], v[16:17], -v[22:23]
	;; [unrolled: 1-line block ×3, first 2 shown]
	s_delay_alu instid0(VALU_DEP_1) | instskip(NEXT) | instid1(VALU_DEP_1)
	v_add_f64_e64 v[26:27], v[26:27], -v[22:23]
	v_add_f64_e32 v[26:27], v[18:19], v[26:27]
	v_add_f64_e32 v[18:19], v[18:19], v[20:21]
	s_delay_alu instid0(VALU_DEP_2) | instskip(NEXT) | instid1(VALU_DEP_1)
	v_add_f64_e64 v[26:27], v[26:27], -v[20:21]
	v_add_f64_e32 v[28:29], v[24:25], v[26:27]
	s_delay_alu instid0(VALU_DEP_1) | instskip(NEXT) | instid1(VALU_DEP_1)
	v_add_f64_e64 v[24:25], v[28:29], -v[24:25]
	v_add_f64_e64 v[24:25], v[26:27], -v[24:25]
	v_add_f64_e32 v[26:27], v[16:17], v[22:23]
	s_delay_alu instid0(VALU_DEP_1) | instskip(NEXT) | instid1(VALU_DEP_1)
	v_add_f64_e64 v[16:17], v[26:27], -v[16:17]
	v_add_f64_e64 v[16:17], v[22:23], -v[16:17]
	s_delay_alu instid0(VALU_DEP_1) | instskip(NEXT) | instid1(VALU_DEP_1)
	v_add_f64_e32 v[16:17], v[18:19], v[16:17]
	v_add_f64_e32 v[18:19], v[26:27], v[16:17]
	s_delay_alu instid0(VALU_DEP_1) | instskip(NEXT) | instid1(VALU_DEP_1)
	v_add_f64_e64 v[20:21], v[18:19], -v[26:27]
	v_add_f64_e64 v[16:17], v[16:17], -v[20:21]
	v_rcp_f64_e32 v[20:21], v[18:19]
	v_nop
	s_delay_alu instid0(TRANS32_DEP_1) | instskip(NEXT) | instid1(VALU_DEP_1)
	v_fma_f64 v[22:23], -v[18:19], v[20:21], 1.0
	v_fmac_f64_e32 v[20:21], v[22:23], v[20:21]
	s_delay_alu instid0(VALU_DEP_1) | instskip(NEXT) | instid1(VALU_DEP_1)
	v_fma_f64 v[22:23], -v[18:19], v[20:21], 1.0
	v_fmac_f64_e32 v[20:21], v[22:23], v[20:21]
	s_delay_alu instid0(VALU_DEP_1) | instskip(NEXT) | instid1(VALU_DEP_1)
	v_mul_f64_e32 v[22:23], v[28:29], v[20:21]
	v_mul_f64_e32 v[26:27], v[18:19], v[22:23]
	s_delay_alu instid0(VALU_DEP_1) | instskip(NEXT) | instid1(VALU_DEP_1)
	v_fma_f64 v[18:19], v[22:23], v[18:19], -v[26:27]
	v_fmac_f64_e32 v[18:19], v[22:23], v[16:17]
	s_delay_alu instid0(VALU_DEP_1) | instskip(NEXT) | instid1(VALU_DEP_1)
	v_add_f64_e32 v[16:17], v[26:27], v[18:19]
	v_add_f64_e64 v[26:27], v[16:17], -v[26:27]
	s_delay_alu instid0(VALU_DEP_1) | instskip(SKIP_1) | instid1(VALU_DEP_1)
	v_add_f64_e64 v[18:19], v[18:19], -v[26:27]
	v_add_f64_e64 v[26:27], v[28:29], -v[16:17]
	v_add_f64_e64 v[28:29], v[28:29], -v[26:27]
	s_delay_alu instid0(VALU_DEP_1) | instskip(NEXT) | instid1(VALU_DEP_1)
	v_add_f64_e64 v[16:17], v[28:29], -v[16:17]
	v_add_f64_e64 v[16:17], v[16:17], -v[18:19]
	s_delay_alu instid0(VALU_DEP_1) | instskip(NEXT) | instid1(VALU_DEP_1)
	v_add_f64_e32 v[16:17], v[24:25], v[16:17]
	v_add_f64_e32 v[16:17], v[26:27], v[16:17]
	s_delay_alu instid0(VALU_DEP_1) | instskip(NEXT) | instid1(VALU_DEP_1)
	v_mul_f64_e32 v[16:17], v[20:21], v[16:17]
	v_add_f64_e32 v[16:17], v[22:23], v[16:17]
	s_delay_alu instid0(VALU_DEP_1) | instskip(NEXT) | instid1(VALU_DEP_2)
	v_cndmask_b32_e32 v17, 0x3ff00000, v17, vcc_lo
	v_cndmask_b32_e32 v16, 0, v16, vcc_lo
	v_cmp_gt_f64_e64 vcc_lo, 0x3e400000, |v[6:7]|
	s_delay_alu instid0(VALU_DEP_1) | instskip(SKIP_2) | instid1(VALU_DEP_3)
	v_dual_cndmask_b32 v6, v16, v6, vcc_lo :: v_dual_cndmask_b32 v16, v17, v36, vcc_lo
	v_cmp_nlt_f64_e64 vcc_lo, 0x40331000, |v[8:9]|
	v_and_b32_e32 v36, 0x7fffffff, v9
	v_bfi_b32 v7, 0x7fffffff, v16, v7
	v_mul_f64_e64 v[16:17], |v[8:9]|, s[0:1]
	s_delay_alu instid0(VALU_DEP_1) | instskip(NEXT) | instid1(VALU_DEP_1)
	v_rndne_f64_e32 v[16:17], v[16:17]
	v_fma_f64 v[18:19], v[16:17], s[2:3], |v[8:9]|
	v_mul_f64_e32 v[22:23], 0x3d53de6af278e000, v[16:17]
	s_delay_alu instid0(VALU_DEP_2) | instskip(NEXT) | instid1(VALU_DEP_1)
	v_add_f64_e32 v[20:21], 0, v[18:19]
	v_add_f64_e64 v[24:25], v[20:21], -v[22:23]
	v_add_f64_e64 v[18:19], v[18:19], -v[20:21]
	s_delay_alu instid0(VALU_DEP_2) | instskip(NEXT) | instid1(VALU_DEP_2)
	v_add_f64_e64 v[20:21], v[20:21], -v[24:25]
	v_add_f64_e32 v[18:19], 0, v[18:19]
	s_delay_alu instid0(VALU_DEP_2) | instskip(NEXT) | instid1(VALU_DEP_1)
	v_add_f64_e64 v[20:21], v[20:21], -v[22:23]
	v_add_f64_e32 v[18:19], v[18:19], v[20:21]
	s_delay_alu instid0(VALU_DEP_1) | instskip(NEXT) | instid1(VALU_DEP_1)
	v_add_f64_e32 v[20:21], v[24:25], v[18:19]
	v_add_f64_e64 v[22:23], v[24:25], -v[20:21]
	s_delay_alu instid0(VALU_DEP_1) | instskip(SKIP_1) | instid1(VALU_DEP_1)
	v_add_f64_e32 v[18:19], v[18:19], v[22:23]
	v_mul_f64_e32 v[22:23], 0x3ac9cc01f97b57a0, v[16:17]
	v_add_f64_e64 v[24:25], v[20:21], -v[22:23]
	s_delay_alu instid0(VALU_DEP_1) | instskip(NEXT) | instid1(VALU_DEP_1)
	v_add_f64_e64 v[20:21], v[20:21], -v[24:25]
	v_add_f64_e64 v[20:21], v[20:21], -v[22:23]
	s_delay_alu instid0(VALU_DEP_1) | instskip(NEXT) | instid1(VALU_DEP_1)
	v_add_f64_e32 v[18:19], v[18:19], v[20:21]
	v_add_f64_e32 v[20:21], v[24:25], v[18:19]
	s_delay_alu instid0(VALU_DEP_1) | instskip(SKIP_1) | instid1(VALU_DEP_2)
	v_add_f64_e64 v[22:23], v[24:25], -v[20:21]
	v_mul_f64_e32 v[24:25], v[20:21], v[20:21]
	v_add_f64_e32 v[18:19], v[18:19], v[22:23]
	s_delay_alu instid0(VALU_DEP_2) | instskip(SKIP_1) | instid1(VALU_DEP_1)
	v_fma_f64 v[26:27], v[20:21], v[20:21], -v[24:25]
	v_fmamk_f64 v[22:23], v[20:21], 0x3e5ade156a5dcb37, v[12:13]
	v_fmaak_f64 v[22:23], v[20:21], v[22:23], 0x3ec71dee623fde64
	s_delay_alu instid0(VALU_DEP_1) | instskip(NEXT) | instid1(VALU_DEP_1)
	v_fmaak_f64 v[22:23], v[20:21], v[22:23], 0x3efa01997c89e6b0
	v_fmaak_f64 v[22:23], v[20:21], v[22:23], 0x3f2a01a014761f6e
	s_delay_alu instid0(VALU_DEP_1) | instskip(SKIP_1) | instid1(VALU_DEP_2)
	v_fmaak_f64 v[22:23], v[20:21], v[22:23], 0x3f56c16c1852b7b0
	v_add_f64_e32 v[28:29], v[18:19], v[18:19]
	v_fmaak_f64 v[22:23], v[20:21], v[22:23], 0x3f81111111122322
	s_delay_alu instid0(VALU_DEP_1) | instskip(NEXT) | instid1(VALU_DEP_1)
	v_fmaak_f64 v[22:23], v[20:21], v[22:23], 0x3fa55555555502a1
	v_fmaak_f64 v[22:23], v[20:21], v[22:23], 0x3fc5555555555511
	s_delay_alu instid0(VALU_DEP_1) | instskip(SKIP_1) | instid1(VALU_DEP_1)
	v_fmaak_f64 v[22:23], v[20:21], v[22:23], 0x3fe000000000000b
	v_fmac_f64_e32 v[26:27], v[20:21], v[28:29]
	v_add_f64_e32 v[28:29], v[24:25], v[26:27]
	s_delay_alu instid0(VALU_DEP_1) | instskip(NEXT) | instid1(VALU_DEP_1)
	v_add_f64_e64 v[24:25], v[28:29], -v[24:25]
	v_add_f64_e64 v[24:25], v[26:27], -v[24:25]
	v_mul_f64_e32 v[26:27], v[28:29], v[22:23]
	s_delay_alu instid0(VALU_DEP_1) | instskip(NEXT) | instid1(VALU_DEP_1)
	v_fma_f64 v[28:29], v[28:29], v[22:23], -v[26:27]
	v_fmac_f64_e32 v[28:29], v[24:25], v[22:23]
	s_delay_alu instid0(VALU_DEP_1) | instskip(NEXT) | instid1(VALU_DEP_1)
	v_add_f64_e32 v[22:23], v[26:27], v[28:29]
	v_add_f64_e64 v[24:25], v[22:23], -v[26:27]
	v_add_f64_e32 v[26:27], v[20:21], v[22:23]
	s_delay_alu instid0(VALU_DEP_2) | instskip(NEXT) | instid1(VALU_DEP_2)
	v_add_f64_e64 v[24:25], v[28:29], -v[24:25]
	v_add_f64_e64 v[20:21], v[26:27], -v[20:21]
	s_delay_alu instid0(VALU_DEP_2) | instskip(NEXT) | instid1(VALU_DEP_2)
	v_add_f64_e32 v[18:19], v[18:19], v[24:25]
	v_add_f64_e64 v[20:21], v[22:23], -v[20:21]
	s_delay_alu instid0(VALU_DEP_1) | instskip(NEXT) | instid1(VALU_DEP_1)
	v_add_f64_e32 v[18:19], v[18:19], v[20:21]
	v_add_f64_e32 v[20:21], v[26:27], v[18:19]
	s_delay_alu instid0(VALU_DEP_1) | instskip(NEXT) | instid1(VALU_DEP_1)
	v_add_f64_e64 v[22:23], v[20:21], -v[26:27]
	v_add_f64_e64 v[18:19], v[18:19], -v[22:23]
	v_add_f64_e32 v[22:23], 1.0, v[20:21]
	s_delay_alu instid0(VALU_DEP_1) | instskip(NEXT) | instid1(VALU_DEP_1)
	v_add_f64_e32 v[24:25], -1.0, v[22:23]
	v_add_f64_e64 v[20:21], v[20:21], -v[24:25]
	s_delay_alu instid0(VALU_DEP_1) | instskip(NEXT) | instid1(VALU_DEP_1)
	v_add_f64_e32 v[18:19], v[18:19], v[20:21]
	v_add_f64_e32 v[20:21], v[22:23], v[18:19]
	s_delay_alu instid0(VALU_DEP_1) | instskip(NEXT) | instid1(VALU_DEP_1)
	v_add_f64_e64 v[22:23], v[20:21], -v[22:23]
	v_add_f64_e64 v[18:19], v[18:19], -v[22:23]
	v_cvt_i32_f64_e32 v22, v[16:17]
	s_delay_alu instid0(VALU_DEP_1) | instskip(NEXT) | instid1(VALU_DEP_3)
	v_ldexp_f64 v[16:17], v[20:21], v22
	v_ldexp_f64 v[18:19], v[18:19], v22
	s_delay_alu instid0(VALU_DEP_2) | instskip(SKIP_1) | instid1(TRANS32_DEP_1)
	v_rcp_f64_e32 v[20:21], v[16:17]
	v_nop
	v_fma_f64 v[22:23], -v[16:17], v[20:21], 1.0
	s_delay_alu instid0(VALU_DEP_1) | instskip(NEXT) | instid1(VALU_DEP_1)
	v_fmac_f64_e32 v[20:21], v[22:23], v[20:21]
	v_fma_f64 v[22:23], -v[16:17], v[20:21], 1.0
	s_delay_alu instid0(VALU_DEP_1) | instskip(NEXT) | instid1(VALU_DEP_1)
	v_fmac_f64_e32 v[20:21], v[22:23], v[20:21]
	v_mul_f64_e32 v[22:23], v[16:17], v[20:21]
	s_delay_alu instid0(VALU_DEP_1) | instskip(NEXT) | instid1(VALU_DEP_1)
	v_fma_f64 v[24:25], v[20:21], v[16:17], -v[22:23]
	v_fmac_f64_e32 v[24:25], v[20:21], v[18:19]
	s_delay_alu instid0(VALU_DEP_1) | instskip(NEXT) | instid1(VALU_DEP_1)
	v_add_f64_e32 v[26:27], v[22:23], v[24:25]
	v_add_f64_e64 v[28:29], -v[26:27], 1.0
	v_add_f64_e64 v[22:23], v[26:27], -v[22:23]
	s_delay_alu instid0(VALU_DEP_2) | instskip(NEXT) | instid1(VALU_DEP_2)
	v_add_f64_e64 v[30:31], -v[28:29], 1.0
	v_add_f64_e64 v[22:23], v[22:23], -v[24:25]
	s_delay_alu instid0(VALU_DEP_2) | instskip(NEXT) | instid1(VALU_DEP_1)
	v_add_f64_e64 v[26:27], v[30:31], -v[26:27]
	v_add_f64_e32 v[22:23], v[22:23], v[26:27]
	s_delay_alu instid0(VALU_DEP_1) | instskip(NEXT) | instid1(VALU_DEP_1)
	v_add_f64_e32 v[24:25], v[28:29], v[22:23]
	v_add_f64_e64 v[26:27], v[28:29], -v[24:25]
	s_delay_alu instid0(VALU_DEP_1) | instskip(SKIP_1) | instid1(VALU_DEP_1)
	v_add_f64_e32 v[22:23], v[22:23], v[26:27]
	v_mul_f64_e32 v[26:27], v[20:21], v[24:25]
	v_mul_f64_e32 v[28:29], v[16:17], v[26:27]
	s_delay_alu instid0(VALU_DEP_1) | instskip(NEXT) | instid1(VALU_DEP_1)
	v_fma_f64 v[30:31], v[26:27], v[16:17], -v[28:29]
	v_fmac_f64_e32 v[30:31], v[26:27], v[18:19]
	s_delay_alu instid0(VALU_DEP_1) | instskip(NEXT) | instid1(VALU_DEP_1)
	v_add_f64_e32 v[32:33], v[28:29], v[30:31]
	v_add_f64_e64 v[34:35], v[24:25], -v[32:33]
	v_add_f64_e64 v[28:29], v[32:33], -v[28:29]
	s_delay_alu instid0(VALU_DEP_2) | instskip(NEXT) | instid1(VALU_DEP_1)
	v_add_f64_e64 v[24:25], v[24:25], -v[34:35]
	v_add_f64_e64 v[24:25], v[24:25], -v[32:33]
	s_delay_alu instid0(VALU_DEP_1) | instskip(NEXT) | instid1(VALU_DEP_4)
	v_add_f64_e32 v[22:23], v[22:23], v[24:25]
	v_add_f64_e64 v[24:25], v[28:29], -v[30:31]
	s_delay_alu instid0(VALU_DEP_1) | instskip(SKIP_1) | instid1(VALU_DEP_2)
	v_add_f64_e32 v[22:23], v[24:25], v[22:23]
	v_add_f64_e32 v[24:25], v[20:21], v[26:27]
	;; [unrolled: 1-line block ×3, first 2 shown]
	s_delay_alu instid0(VALU_DEP_1) | instskip(NEXT) | instid1(VALU_DEP_3)
	v_mul_f64_e32 v[22:23], v[20:21], v[22:23]
	v_add_f64_e64 v[20:21], v[24:25], -v[20:21]
	s_delay_alu instid0(VALU_DEP_1) | instskip(NEXT) | instid1(VALU_DEP_1)
	v_add_f64_e64 v[20:21], v[26:27], -v[20:21]
	v_add_f64_e32 v[20:21], v[20:21], v[22:23]
	s_delay_alu instid0(VALU_DEP_1) | instskip(NEXT) | instid1(VALU_DEP_1)
	v_add_f64_e32 v[22:23], v[24:25], v[20:21]
	v_add_f64_e64 v[24:25], v[22:23], -v[24:25]
	s_delay_alu instid0(VALU_DEP_1) | instskip(SKIP_1) | instid1(VALU_DEP_1)
	v_add_f64_e64 v[20:21], v[20:21], -v[24:25]
	v_add_f64_e64 v[24:25], v[16:17], -v[22:23]
	;; [unrolled: 1-line block ×3, first 2 shown]
	s_delay_alu instid0(VALU_DEP_1) | instskip(NEXT) | instid1(VALU_DEP_1)
	v_add_f64_e64 v[26:27], v[26:27], -v[22:23]
	v_add_f64_e32 v[26:27], v[18:19], v[26:27]
	v_add_f64_e32 v[18:19], v[18:19], v[20:21]
	s_delay_alu instid0(VALU_DEP_2) | instskip(NEXT) | instid1(VALU_DEP_1)
	v_add_f64_e64 v[26:27], v[26:27], -v[20:21]
	v_add_f64_e32 v[28:29], v[24:25], v[26:27]
	s_delay_alu instid0(VALU_DEP_1) | instskip(NEXT) | instid1(VALU_DEP_1)
	v_add_f64_e64 v[24:25], v[28:29], -v[24:25]
	v_add_f64_e64 v[24:25], v[26:27], -v[24:25]
	v_add_f64_e32 v[26:27], v[16:17], v[22:23]
	s_delay_alu instid0(VALU_DEP_1) | instskip(NEXT) | instid1(VALU_DEP_1)
	v_add_f64_e64 v[16:17], v[26:27], -v[16:17]
	v_add_f64_e64 v[16:17], v[22:23], -v[16:17]
	s_delay_alu instid0(VALU_DEP_1) | instskip(NEXT) | instid1(VALU_DEP_1)
	v_add_f64_e32 v[16:17], v[18:19], v[16:17]
	v_add_f64_e32 v[18:19], v[26:27], v[16:17]
	s_delay_alu instid0(VALU_DEP_1) | instskip(NEXT) | instid1(VALU_DEP_1)
	v_add_f64_e64 v[20:21], v[18:19], -v[26:27]
	v_add_f64_e64 v[16:17], v[16:17], -v[20:21]
	v_rcp_f64_e32 v[20:21], v[18:19]
	v_nop
	s_delay_alu instid0(TRANS32_DEP_1) | instskip(NEXT) | instid1(VALU_DEP_1)
	v_fma_f64 v[22:23], -v[18:19], v[20:21], 1.0
	v_fmac_f64_e32 v[20:21], v[22:23], v[20:21]
	s_delay_alu instid0(VALU_DEP_1) | instskip(NEXT) | instid1(VALU_DEP_1)
	v_fma_f64 v[22:23], -v[18:19], v[20:21], 1.0
	v_fmac_f64_e32 v[20:21], v[22:23], v[20:21]
	s_delay_alu instid0(VALU_DEP_1) | instskip(NEXT) | instid1(VALU_DEP_1)
	v_mul_f64_e32 v[22:23], v[28:29], v[20:21]
	v_mul_f64_e32 v[26:27], v[18:19], v[22:23]
	s_delay_alu instid0(VALU_DEP_1) | instskip(NEXT) | instid1(VALU_DEP_1)
	v_fma_f64 v[18:19], v[22:23], v[18:19], -v[26:27]
	v_fmac_f64_e32 v[18:19], v[22:23], v[16:17]
	s_delay_alu instid0(VALU_DEP_1) | instskip(NEXT) | instid1(VALU_DEP_1)
	v_add_f64_e32 v[16:17], v[26:27], v[18:19]
	v_add_f64_e64 v[26:27], v[16:17], -v[26:27]
	s_delay_alu instid0(VALU_DEP_1) | instskip(SKIP_1) | instid1(VALU_DEP_1)
	v_add_f64_e64 v[18:19], v[18:19], -v[26:27]
	v_add_f64_e64 v[26:27], v[28:29], -v[16:17]
	;; [unrolled: 1-line block ×3, first 2 shown]
	s_delay_alu instid0(VALU_DEP_1) | instskip(NEXT) | instid1(VALU_DEP_1)
	v_add_f64_e64 v[16:17], v[28:29], -v[16:17]
	v_add_f64_e64 v[16:17], v[16:17], -v[18:19]
	s_delay_alu instid0(VALU_DEP_1) | instskip(NEXT) | instid1(VALU_DEP_1)
	v_add_f64_e32 v[16:17], v[24:25], v[16:17]
	v_add_f64_e32 v[16:17], v[26:27], v[16:17]
	s_delay_alu instid0(VALU_DEP_1) | instskip(NEXT) | instid1(VALU_DEP_1)
	v_mul_f64_e32 v[16:17], v[20:21], v[16:17]
	v_add_f64_e32 v[16:17], v[22:23], v[16:17]
	s_delay_alu instid0(VALU_DEP_1) | instskip(NEXT) | instid1(VALU_DEP_2)
	v_cndmask_b32_e32 v17, 0x3ff00000, v17, vcc_lo
	v_cndmask_b32_e32 v16, 0, v16, vcc_lo
	v_cmp_gt_f64_e64 vcc_lo, 0x3e400000, |v[8:9]|
	s_delay_alu instid0(VALU_DEP_2) | instskip(NEXT) | instid1(VALU_DEP_4)
	v_cndmask_b32_e32 v8, v16, v8, vcc_lo
	v_cndmask_b32_e32 v16, v17, v36, vcc_lo
	v_cmp_nlt_f64_e64 vcc_lo, 0x40331000, |v[2:3]|
	v_and_b32_e32 v36, 0x7fffffff, v3
	s_delay_alu instid0(VALU_DEP_3) | instskip(SKIP_1) | instid1(VALU_DEP_1)
	v_bfi_b32 v9, 0x7fffffff, v16, v9
	v_mul_f64_e64 v[16:17], |v[2:3]|, s[0:1]
	v_rndne_f64_e32 v[16:17], v[16:17]
	s_delay_alu instid0(VALU_DEP_1) | instskip(SKIP_1) | instid1(VALU_DEP_2)
	v_fma_f64 v[18:19], v[16:17], s[2:3], |v[2:3]|
	v_mul_f64_e32 v[22:23], 0x3d53de6af278e000, v[16:17]
	v_add_f64_e32 v[20:21], 0, v[18:19]
	s_delay_alu instid0(VALU_DEP_1) | instskip(SKIP_1) | instid1(VALU_DEP_2)
	v_add_f64_e64 v[24:25], v[20:21], -v[22:23]
	v_add_f64_e64 v[18:19], v[18:19], -v[20:21]
	;; [unrolled: 1-line block ×3, first 2 shown]
	s_delay_alu instid0(VALU_DEP_2) | instskip(NEXT) | instid1(VALU_DEP_2)
	v_add_f64_e32 v[18:19], 0, v[18:19]
	v_add_f64_e64 v[20:21], v[20:21], -v[22:23]
	s_delay_alu instid0(VALU_DEP_1) | instskip(NEXT) | instid1(VALU_DEP_1)
	v_add_f64_e32 v[18:19], v[18:19], v[20:21]
	v_add_f64_e32 v[20:21], v[24:25], v[18:19]
	s_delay_alu instid0(VALU_DEP_1) | instskip(NEXT) | instid1(VALU_DEP_1)
	v_add_f64_e64 v[22:23], v[24:25], -v[20:21]
	v_add_f64_e32 v[18:19], v[18:19], v[22:23]
	v_mul_f64_e32 v[22:23], 0x3ac9cc01f97b57a0, v[16:17]
	s_delay_alu instid0(VALU_DEP_1) | instskip(NEXT) | instid1(VALU_DEP_1)
	v_add_f64_e64 v[24:25], v[20:21], -v[22:23]
	v_add_f64_e64 v[20:21], v[20:21], -v[24:25]
	s_delay_alu instid0(VALU_DEP_1) | instskip(NEXT) | instid1(VALU_DEP_1)
	v_add_f64_e64 v[20:21], v[20:21], -v[22:23]
	v_add_f64_e32 v[18:19], v[18:19], v[20:21]
	s_delay_alu instid0(VALU_DEP_1) | instskip(NEXT) | instid1(VALU_DEP_1)
	v_add_f64_e32 v[20:21], v[24:25], v[18:19]
	v_add_f64_e64 v[22:23], v[24:25], -v[20:21]
	v_mul_f64_e32 v[24:25], v[20:21], v[20:21]
	s_delay_alu instid0(VALU_DEP_2) | instskip(NEXT) | instid1(VALU_DEP_2)
	v_add_f64_e32 v[18:19], v[18:19], v[22:23]
	v_fma_f64 v[26:27], v[20:21], v[20:21], -v[24:25]
	v_fmamk_f64 v[22:23], v[20:21], 0x3e5ade156a5dcb37, v[12:13]
	s_delay_alu instid0(VALU_DEP_1) | instskip(NEXT) | instid1(VALU_DEP_1)
	v_fmaak_f64 v[22:23], v[20:21], v[22:23], 0x3ec71dee623fde64
	v_fmaak_f64 v[22:23], v[20:21], v[22:23], 0x3efa01997c89e6b0
	s_delay_alu instid0(VALU_DEP_1) | instskip(NEXT) | instid1(VALU_DEP_1)
	v_fmaak_f64 v[22:23], v[20:21], v[22:23], 0x3f2a01a014761f6e
	v_fmaak_f64 v[22:23], v[20:21], v[22:23], 0x3f56c16c1852b7b0
	v_add_f64_e32 v[28:29], v[18:19], v[18:19]
	s_delay_alu instid0(VALU_DEP_2) | instskip(NEXT) | instid1(VALU_DEP_1)
	v_fmaak_f64 v[22:23], v[20:21], v[22:23], 0x3f81111111122322
	v_fmaak_f64 v[22:23], v[20:21], v[22:23], 0x3fa55555555502a1
	s_delay_alu instid0(VALU_DEP_1) | instskip(NEXT) | instid1(VALU_DEP_1)
	v_fmaak_f64 v[22:23], v[20:21], v[22:23], 0x3fc5555555555511
	v_fmaak_f64 v[22:23], v[20:21], v[22:23], 0x3fe000000000000b
	v_fmac_f64_e32 v[26:27], v[20:21], v[28:29]
	s_delay_alu instid0(VALU_DEP_1) | instskip(NEXT) | instid1(VALU_DEP_1)
	v_add_f64_e32 v[28:29], v[24:25], v[26:27]
	v_add_f64_e64 v[24:25], v[28:29], -v[24:25]
	s_delay_alu instid0(VALU_DEP_1) | instskip(SKIP_1) | instid1(VALU_DEP_1)
	v_add_f64_e64 v[24:25], v[26:27], -v[24:25]
	v_mul_f64_e32 v[26:27], v[28:29], v[22:23]
	v_fma_f64 v[28:29], v[28:29], v[22:23], -v[26:27]
	s_delay_alu instid0(VALU_DEP_1) | instskip(NEXT) | instid1(VALU_DEP_1)
	v_fmac_f64_e32 v[28:29], v[24:25], v[22:23]
	v_add_f64_e32 v[22:23], v[26:27], v[28:29]
	s_delay_alu instid0(VALU_DEP_1) | instskip(SKIP_1) | instid1(VALU_DEP_2)
	v_add_f64_e64 v[24:25], v[22:23], -v[26:27]
	v_add_f64_e32 v[26:27], v[20:21], v[22:23]
	v_add_f64_e64 v[24:25], v[28:29], -v[24:25]
	s_delay_alu instid0(VALU_DEP_2) | instskip(NEXT) | instid1(VALU_DEP_2)
	v_add_f64_e64 v[20:21], v[26:27], -v[20:21]
	v_add_f64_e32 v[18:19], v[18:19], v[24:25]
	s_delay_alu instid0(VALU_DEP_2) | instskip(NEXT) | instid1(VALU_DEP_1)
	v_add_f64_e64 v[20:21], v[22:23], -v[20:21]
	v_add_f64_e32 v[18:19], v[18:19], v[20:21]
	s_delay_alu instid0(VALU_DEP_1) | instskip(NEXT) | instid1(VALU_DEP_1)
	v_add_f64_e32 v[20:21], v[26:27], v[18:19]
	v_add_f64_e64 v[22:23], v[20:21], -v[26:27]
	s_delay_alu instid0(VALU_DEP_1) | instskip(SKIP_1) | instid1(VALU_DEP_1)
	v_add_f64_e64 v[18:19], v[18:19], -v[22:23]
	v_add_f64_e32 v[22:23], 1.0, v[20:21]
	v_add_f64_e32 v[24:25], -1.0, v[22:23]
	s_delay_alu instid0(VALU_DEP_1) | instskip(NEXT) | instid1(VALU_DEP_1)
	v_add_f64_e64 v[20:21], v[20:21], -v[24:25]
	v_add_f64_e32 v[18:19], v[18:19], v[20:21]
	s_delay_alu instid0(VALU_DEP_1) | instskip(NEXT) | instid1(VALU_DEP_1)
	v_add_f64_e32 v[20:21], v[22:23], v[18:19]
	v_add_f64_e64 v[22:23], v[20:21], -v[22:23]
	s_delay_alu instid0(VALU_DEP_1) | instskip(SKIP_1) | instid1(VALU_DEP_1)
	v_add_f64_e64 v[18:19], v[18:19], -v[22:23]
	v_cvt_i32_f64_e32 v22, v[16:17]
	v_ldexp_f64 v[16:17], v[20:21], v22
	s_delay_alu instid0(VALU_DEP_3) | instskip(NEXT) | instid1(VALU_DEP_2)
	v_ldexp_f64 v[18:19], v[18:19], v22
	v_rcp_f64_e32 v[20:21], v[16:17]
	v_nop
	s_delay_alu instid0(TRANS32_DEP_1) | instskip(NEXT) | instid1(VALU_DEP_1)
	v_fma_f64 v[22:23], -v[16:17], v[20:21], 1.0
	v_fmac_f64_e32 v[20:21], v[22:23], v[20:21]
	s_delay_alu instid0(VALU_DEP_1) | instskip(NEXT) | instid1(VALU_DEP_1)
	v_fma_f64 v[22:23], -v[16:17], v[20:21], 1.0
	v_fmac_f64_e32 v[20:21], v[22:23], v[20:21]
	s_delay_alu instid0(VALU_DEP_1) | instskip(NEXT) | instid1(VALU_DEP_1)
	v_mul_f64_e32 v[22:23], v[16:17], v[20:21]
	v_fma_f64 v[24:25], v[20:21], v[16:17], -v[22:23]
	s_delay_alu instid0(VALU_DEP_1) | instskip(NEXT) | instid1(VALU_DEP_1)
	v_fmac_f64_e32 v[24:25], v[20:21], v[18:19]
	v_add_f64_e32 v[26:27], v[22:23], v[24:25]
	s_delay_alu instid0(VALU_DEP_1) | instskip(SKIP_1) | instid1(VALU_DEP_2)
	v_add_f64_e64 v[28:29], -v[26:27], 1.0
	v_add_f64_e64 v[22:23], v[26:27], -v[22:23]
	v_add_f64_e64 v[30:31], -v[28:29], 1.0
	s_delay_alu instid0(VALU_DEP_2) | instskip(NEXT) | instid1(VALU_DEP_2)
	v_add_f64_e64 v[22:23], v[22:23], -v[24:25]
	v_add_f64_e64 v[26:27], v[30:31], -v[26:27]
	s_delay_alu instid0(VALU_DEP_1) | instskip(NEXT) | instid1(VALU_DEP_1)
	v_add_f64_e32 v[22:23], v[22:23], v[26:27]
	v_add_f64_e32 v[24:25], v[28:29], v[22:23]
	s_delay_alu instid0(VALU_DEP_1) | instskip(NEXT) | instid1(VALU_DEP_1)
	v_add_f64_e64 v[26:27], v[28:29], -v[24:25]
	v_add_f64_e32 v[22:23], v[22:23], v[26:27]
	v_mul_f64_e32 v[26:27], v[20:21], v[24:25]
	s_delay_alu instid0(VALU_DEP_1) | instskip(NEXT) | instid1(VALU_DEP_1)
	v_mul_f64_e32 v[28:29], v[16:17], v[26:27]
	v_fma_f64 v[30:31], v[26:27], v[16:17], -v[28:29]
	s_delay_alu instid0(VALU_DEP_1) | instskip(NEXT) | instid1(VALU_DEP_1)
	v_fmac_f64_e32 v[30:31], v[26:27], v[18:19]
	v_add_f64_e32 v[32:33], v[28:29], v[30:31]
	s_delay_alu instid0(VALU_DEP_1) | instskip(SKIP_1) | instid1(VALU_DEP_2)
	v_add_f64_e64 v[34:35], v[24:25], -v[32:33]
	v_add_f64_e64 v[28:29], v[32:33], -v[28:29]
	;; [unrolled: 1-line block ×3, first 2 shown]
	s_delay_alu instid0(VALU_DEP_1) | instskip(NEXT) | instid1(VALU_DEP_1)
	v_add_f64_e64 v[24:25], v[24:25], -v[32:33]
	v_add_f64_e32 v[22:23], v[22:23], v[24:25]
	s_delay_alu instid0(VALU_DEP_4) | instskip(NEXT) | instid1(VALU_DEP_1)
	v_add_f64_e64 v[24:25], v[28:29], -v[30:31]
	v_add_f64_e32 v[22:23], v[24:25], v[22:23]
	v_add_f64_e32 v[24:25], v[20:21], v[26:27]
	s_delay_alu instid0(VALU_DEP_2) | instskip(NEXT) | instid1(VALU_DEP_1)
	v_add_f64_e32 v[22:23], v[34:35], v[22:23]
	v_mul_f64_e32 v[22:23], v[20:21], v[22:23]
	s_delay_alu instid0(VALU_DEP_3) | instskip(NEXT) | instid1(VALU_DEP_1)
	v_add_f64_e64 v[20:21], v[24:25], -v[20:21]
	v_add_f64_e64 v[20:21], v[26:27], -v[20:21]
	s_delay_alu instid0(VALU_DEP_1) | instskip(NEXT) | instid1(VALU_DEP_1)
	v_add_f64_e32 v[20:21], v[20:21], v[22:23]
	v_add_f64_e32 v[22:23], v[24:25], v[20:21]
	s_delay_alu instid0(VALU_DEP_1) | instskip(NEXT) | instid1(VALU_DEP_1)
	v_add_f64_e64 v[24:25], v[22:23], -v[24:25]
	v_add_f64_e64 v[20:21], v[20:21], -v[24:25]
	;; [unrolled: 1-line block ×3, first 2 shown]
	s_delay_alu instid0(VALU_DEP_1) | instskip(NEXT) | instid1(VALU_DEP_1)
	v_add_f64_e64 v[26:27], v[16:17], -v[24:25]
	v_add_f64_e64 v[26:27], v[26:27], -v[22:23]
	s_delay_alu instid0(VALU_DEP_1) | instskip(SKIP_1) | instid1(VALU_DEP_2)
	v_add_f64_e32 v[26:27], v[18:19], v[26:27]
	v_add_f64_e32 v[18:19], v[18:19], v[20:21]
	v_add_f64_e64 v[26:27], v[26:27], -v[20:21]
	s_delay_alu instid0(VALU_DEP_1) | instskip(NEXT) | instid1(VALU_DEP_1)
	v_add_f64_e32 v[28:29], v[24:25], v[26:27]
	v_add_f64_e64 v[24:25], v[28:29], -v[24:25]
	s_delay_alu instid0(VALU_DEP_1) | instskip(SKIP_1) | instid1(VALU_DEP_1)
	v_add_f64_e64 v[24:25], v[26:27], -v[24:25]
	v_add_f64_e32 v[26:27], v[16:17], v[22:23]
	v_add_f64_e64 v[16:17], v[26:27], -v[16:17]
	s_delay_alu instid0(VALU_DEP_1) | instskip(NEXT) | instid1(VALU_DEP_1)
	v_add_f64_e64 v[16:17], v[22:23], -v[16:17]
	v_add_f64_e32 v[16:17], v[18:19], v[16:17]
	s_delay_alu instid0(VALU_DEP_1) | instskip(NEXT) | instid1(VALU_DEP_1)
	v_add_f64_e32 v[18:19], v[26:27], v[16:17]
	v_add_f64_e64 v[20:21], v[18:19], -v[26:27]
	s_delay_alu instid0(VALU_DEP_1) | instskip(SKIP_2) | instid1(TRANS32_DEP_1)
	v_add_f64_e64 v[16:17], v[16:17], -v[20:21]
	v_rcp_f64_e32 v[20:21], v[18:19]
	v_nop
	v_fma_f64 v[22:23], -v[18:19], v[20:21], 1.0
	s_delay_alu instid0(VALU_DEP_1) | instskip(NEXT) | instid1(VALU_DEP_1)
	v_fmac_f64_e32 v[20:21], v[22:23], v[20:21]
	v_fma_f64 v[22:23], -v[18:19], v[20:21], 1.0
	s_delay_alu instid0(VALU_DEP_1) | instskip(NEXT) | instid1(VALU_DEP_1)
	v_fmac_f64_e32 v[20:21], v[22:23], v[20:21]
	v_mul_f64_e32 v[22:23], v[28:29], v[20:21]
	s_delay_alu instid0(VALU_DEP_1) | instskip(NEXT) | instid1(VALU_DEP_1)
	v_mul_f64_e32 v[26:27], v[18:19], v[22:23]
	v_fma_f64 v[18:19], v[22:23], v[18:19], -v[26:27]
	s_delay_alu instid0(VALU_DEP_1) | instskip(NEXT) | instid1(VALU_DEP_1)
	v_fmac_f64_e32 v[18:19], v[22:23], v[16:17]
	v_add_f64_e32 v[16:17], v[26:27], v[18:19]
	s_delay_alu instid0(VALU_DEP_1) | instskip(NEXT) | instid1(VALU_DEP_1)
	v_add_f64_e64 v[26:27], v[16:17], -v[26:27]
	v_add_f64_e64 v[18:19], v[18:19], -v[26:27]
	;; [unrolled: 1-line block ×3, first 2 shown]
	s_delay_alu instid0(VALU_DEP_1) | instskip(NEXT) | instid1(VALU_DEP_1)
	v_add_f64_e64 v[28:29], v[28:29], -v[26:27]
	v_add_f64_e64 v[16:17], v[28:29], -v[16:17]
	s_delay_alu instid0(VALU_DEP_1) | instskip(SKIP_1) | instid1(VALU_DEP_2)
	v_add_f64_e64 v[16:17], v[16:17], -v[18:19]
	v_and_b32_e32 v18, 0x7fffffff, v5
	v_add_f64_e32 v[16:17], v[24:25], v[16:17]
	s_delay_alu instid0(VALU_DEP_1) | instskip(NEXT) | instid1(VALU_DEP_1)
	v_add_f64_e32 v[16:17], v[26:27], v[16:17]
	v_mul_f64_e32 v[16:17], v[20:21], v[16:17]
	s_delay_alu instid0(VALU_DEP_1) | instskip(NEXT) | instid1(VALU_DEP_1)
	v_add_f64_e32 v[16:17], v[22:23], v[16:17]
	v_cndmask_b32_e32 v17, 0x3ff00000, v17, vcc_lo
	s_delay_alu instid0(VALU_DEP_2) | instskip(SKIP_1) | instid1(VALU_DEP_1)
	v_cndmask_b32_e32 v16, 0, v16, vcc_lo
	v_cmp_gt_f64_e64 vcc_lo, 0x3e400000, |v[2:3]|
	v_dual_cndmask_b32 v2, v16, v2, vcc_lo :: v_dual_cndmask_b32 v16, v17, v36, vcc_lo
	v_cmp_nlt_f64_e64 vcc_lo, 0x40331000, |v[4:5]|
	s_delay_alu instid0(VALU_DEP_2) | instskip(SKIP_1) | instid1(VALU_DEP_1)
	v_bfi_b32 v3, 0x7fffffff, v16, v3
	v_mul_f64_e64 v[16:17], |v[4:5]|, s[0:1]
	v_rndne_f64_e32 v[16:17], v[16:17]
	s_delay_alu instid0(VALU_DEP_1) | instskip(SKIP_2) | instid1(VALU_DEP_3)
	v_fma_f64 v[20:21], v[16:17], s[2:3], |v[4:5]|
	v_mul_f64_e32 v[24:25], 0x3d53de6af278e000, v[16:17]
	v_cvt_i32_f64_e32 v19, v[16:17]
	v_add_f64_e32 v[22:23], 0, v[20:21]
	s_delay_alu instid0(VALU_DEP_1) | instskip(SKIP_1) | instid1(VALU_DEP_2)
	v_add_f64_e64 v[26:27], v[22:23], -v[24:25]
	v_add_f64_e64 v[20:21], v[20:21], -v[22:23]
	;; [unrolled: 1-line block ×3, first 2 shown]
	s_delay_alu instid0(VALU_DEP_2) | instskip(NEXT) | instid1(VALU_DEP_2)
	v_add_f64_e32 v[20:21], 0, v[20:21]
	v_add_f64_e64 v[22:23], v[22:23], -v[24:25]
	s_delay_alu instid0(VALU_DEP_1) | instskip(NEXT) | instid1(VALU_DEP_1)
	v_add_f64_e32 v[20:21], v[20:21], v[22:23]
	v_add_f64_e32 v[22:23], v[26:27], v[20:21]
	s_delay_alu instid0(VALU_DEP_1) | instskip(NEXT) | instid1(VALU_DEP_1)
	v_add_f64_e64 v[24:25], v[26:27], -v[22:23]
	v_add_f64_e32 v[20:21], v[20:21], v[24:25]
	v_mul_f64_e32 v[24:25], 0x3ac9cc01f97b57a0, v[16:17]
	s_delay_alu instid0(VALU_DEP_1) | instskip(NEXT) | instid1(VALU_DEP_1)
	v_add_f64_e64 v[26:27], v[22:23], -v[24:25]
	v_add_f64_e64 v[22:23], v[22:23], -v[26:27]
	s_delay_alu instid0(VALU_DEP_1) | instskip(NEXT) | instid1(VALU_DEP_1)
	v_add_f64_e64 v[22:23], v[22:23], -v[24:25]
	v_add_f64_e32 v[20:21], v[20:21], v[22:23]
	s_delay_alu instid0(VALU_DEP_1) | instskip(NEXT) | instid1(VALU_DEP_1)
	v_add_f64_e32 v[22:23], v[26:27], v[20:21]
	v_add_f64_e64 v[24:25], v[26:27], -v[22:23]
	v_mul_f64_e32 v[26:27], v[22:23], v[22:23]
	s_delay_alu instid0(VALU_DEP_2) | instskip(NEXT) | instid1(VALU_DEP_2)
	v_add_f64_e32 v[20:21], v[20:21], v[24:25]
	v_fma_f64 v[28:29], v[22:23], v[22:23], -v[26:27]
	v_fmamk_f64 v[24:25], v[22:23], 0x3e5ade156a5dcb37, v[12:13]
	s_delay_alu instid0(VALU_DEP_1) | instskip(NEXT) | instid1(VALU_DEP_1)
	v_fmaak_f64 v[24:25], v[22:23], v[24:25], 0x3ec71dee623fde64
	v_fmaak_f64 v[24:25], v[22:23], v[24:25], 0x3efa01997c89e6b0
	s_delay_alu instid0(VALU_DEP_1) | instskip(NEXT) | instid1(VALU_DEP_1)
	v_fmaak_f64 v[24:25], v[22:23], v[24:25], 0x3f2a01a014761f6e
	v_fmaak_f64 v[24:25], v[22:23], v[24:25], 0x3f56c16c1852b7b0
	v_add_f64_e32 v[30:31], v[20:21], v[20:21]
	s_delay_alu instid0(VALU_DEP_2) | instskip(NEXT) | instid1(VALU_DEP_1)
	v_fmaak_f64 v[24:25], v[22:23], v[24:25], 0x3f81111111122322
	v_fmaak_f64 v[24:25], v[22:23], v[24:25], 0x3fa55555555502a1
	s_delay_alu instid0(VALU_DEP_1) | instskip(NEXT) | instid1(VALU_DEP_1)
	v_fmaak_f64 v[24:25], v[22:23], v[24:25], 0x3fc5555555555511
	v_fmaak_f64 v[24:25], v[22:23], v[24:25], 0x3fe000000000000b
	v_fmac_f64_e32 v[28:29], v[22:23], v[30:31]
	s_delay_alu instid0(VALU_DEP_1) | instskip(NEXT) | instid1(VALU_DEP_1)
	v_add_f64_e32 v[30:31], v[26:27], v[28:29]
	v_add_f64_e64 v[26:27], v[30:31], -v[26:27]
	s_delay_alu instid0(VALU_DEP_1) | instskip(SKIP_1) | instid1(VALU_DEP_1)
	v_add_f64_e64 v[26:27], v[28:29], -v[26:27]
	v_mul_f64_e32 v[28:29], v[30:31], v[24:25]
	v_fma_f64 v[30:31], v[30:31], v[24:25], -v[28:29]
	s_delay_alu instid0(VALU_DEP_1) | instskip(NEXT) | instid1(VALU_DEP_1)
	v_fmac_f64_e32 v[30:31], v[26:27], v[24:25]
	v_add_f64_e32 v[24:25], v[28:29], v[30:31]
	s_delay_alu instid0(VALU_DEP_1) | instskip(SKIP_1) | instid1(VALU_DEP_2)
	v_add_f64_e64 v[26:27], v[24:25], -v[28:29]
	v_add_f64_e32 v[28:29], v[22:23], v[24:25]
	v_add_f64_e64 v[26:27], v[30:31], -v[26:27]
	s_delay_alu instid0(VALU_DEP_2) | instskip(NEXT) | instid1(VALU_DEP_2)
	v_add_f64_e64 v[22:23], v[28:29], -v[22:23]
	v_add_f64_e32 v[20:21], v[20:21], v[26:27]
	s_delay_alu instid0(VALU_DEP_2) | instskip(NEXT) | instid1(VALU_DEP_1)
	v_add_f64_e64 v[22:23], v[24:25], -v[22:23]
	v_add_f64_e32 v[20:21], v[20:21], v[22:23]
	s_delay_alu instid0(VALU_DEP_1) | instskip(NEXT) | instid1(VALU_DEP_1)
	v_add_f64_e32 v[22:23], v[28:29], v[20:21]
	v_add_f64_e64 v[24:25], v[22:23], -v[28:29]
	s_delay_alu instid0(VALU_DEP_1) | instskip(SKIP_1) | instid1(VALU_DEP_1)
	v_add_f64_e64 v[20:21], v[20:21], -v[24:25]
	v_add_f64_e32 v[24:25], 1.0, v[22:23]
	v_add_f64_e32 v[26:27], -1.0, v[24:25]
	s_delay_alu instid0(VALU_DEP_1) | instskip(NEXT) | instid1(VALU_DEP_1)
	v_add_f64_e64 v[22:23], v[22:23], -v[26:27]
	v_add_f64_e32 v[20:21], v[20:21], v[22:23]
	s_delay_alu instid0(VALU_DEP_1) | instskip(NEXT) | instid1(VALU_DEP_1)
	v_add_f64_e32 v[22:23], v[24:25], v[20:21]
	v_ldexp_f64 v[16:17], v[22:23], v19
	v_add_f64_e64 v[24:25], v[22:23], -v[24:25]
	s_delay_alu instid0(VALU_DEP_2) | instskip(NEXT) | instid1(VALU_DEP_1)
	v_rcp_f64_e32 v[22:23], v[16:17]
	v_add_f64_e64 v[20:21], v[20:21], -v[24:25]
	s_delay_alu instid0(VALU_DEP_1) | instskip(NEXT) | instid1(TRANS32_DEP_1)
	v_ldexp_f64 v[20:21], v[20:21], v19
	v_fma_f64 v[24:25], -v[16:17], v[22:23], 1.0
	s_delay_alu instid0(VALU_DEP_1) | instskip(NEXT) | instid1(VALU_DEP_1)
	v_fmac_f64_e32 v[22:23], v[24:25], v[22:23]
	v_fma_f64 v[24:25], -v[16:17], v[22:23], 1.0
	s_delay_alu instid0(VALU_DEP_1) | instskip(NEXT) | instid1(VALU_DEP_1)
	v_fmac_f64_e32 v[22:23], v[24:25], v[22:23]
	v_mul_f64_e32 v[24:25], v[16:17], v[22:23]
	s_delay_alu instid0(VALU_DEP_1) | instskip(NEXT) | instid1(VALU_DEP_1)
	v_fma_f64 v[26:27], v[22:23], v[16:17], -v[24:25]
	v_fmac_f64_e32 v[26:27], v[22:23], v[20:21]
	s_delay_alu instid0(VALU_DEP_1) | instskip(NEXT) | instid1(VALU_DEP_1)
	v_add_f64_e32 v[28:29], v[24:25], v[26:27]
	v_add_f64_e64 v[30:31], -v[28:29], 1.0
	v_add_f64_e64 v[24:25], v[28:29], -v[24:25]
	s_delay_alu instid0(VALU_DEP_2) | instskip(NEXT) | instid1(VALU_DEP_2)
	v_add_f64_e64 v[32:33], -v[30:31], 1.0
	v_add_f64_e64 v[24:25], v[24:25], -v[26:27]
	s_delay_alu instid0(VALU_DEP_2) | instskip(NEXT) | instid1(VALU_DEP_1)
	v_add_f64_e64 v[28:29], v[32:33], -v[28:29]
	v_add_f64_e32 v[24:25], v[24:25], v[28:29]
	s_delay_alu instid0(VALU_DEP_1) | instskip(NEXT) | instid1(VALU_DEP_1)
	v_add_f64_e32 v[26:27], v[30:31], v[24:25]
	v_add_f64_e64 v[28:29], v[30:31], -v[26:27]
	s_delay_alu instid0(VALU_DEP_1) | instskip(SKIP_1) | instid1(VALU_DEP_1)
	v_add_f64_e32 v[24:25], v[24:25], v[28:29]
	v_mul_f64_e32 v[28:29], v[22:23], v[26:27]
	v_mul_f64_e32 v[30:31], v[16:17], v[28:29]
	s_delay_alu instid0(VALU_DEP_1) | instskip(NEXT) | instid1(VALU_DEP_1)
	v_fma_f64 v[32:33], v[28:29], v[16:17], -v[30:31]
	v_fmac_f64_e32 v[32:33], v[28:29], v[20:21]
	s_delay_alu instid0(VALU_DEP_1) | instskip(NEXT) | instid1(VALU_DEP_1)
	v_add_f64_e32 v[34:35], v[30:31], v[32:33]
	v_add_f64_e64 v[36:37], v[26:27], -v[34:35]
	v_add_f64_e64 v[30:31], v[34:35], -v[30:31]
	s_delay_alu instid0(VALU_DEP_2) | instskip(NEXT) | instid1(VALU_DEP_1)
	v_add_f64_e64 v[26:27], v[26:27], -v[36:37]
	v_add_f64_e64 v[26:27], v[26:27], -v[34:35]
	s_delay_alu instid0(VALU_DEP_1) | instskip(NEXT) | instid1(VALU_DEP_4)
	v_add_f64_e32 v[24:25], v[24:25], v[26:27]
	v_add_f64_e64 v[26:27], v[30:31], -v[32:33]
	s_delay_alu instid0(VALU_DEP_1) | instskip(SKIP_1) | instid1(VALU_DEP_2)
	v_add_f64_e32 v[24:25], v[26:27], v[24:25]
	v_add_f64_e32 v[26:27], v[22:23], v[28:29]
	v_add_f64_e32 v[24:25], v[36:37], v[24:25]
	s_delay_alu instid0(VALU_DEP_1) | instskip(NEXT) | instid1(VALU_DEP_3)
	v_mul_f64_e32 v[24:25], v[22:23], v[24:25]
	v_add_f64_e64 v[22:23], v[26:27], -v[22:23]
	s_delay_alu instid0(VALU_DEP_1) | instskip(NEXT) | instid1(VALU_DEP_1)
	v_add_f64_e64 v[22:23], v[28:29], -v[22:23]
	v_add_f64_e32 v[22:23], v[22:23], v[24:25]
	s_delay_alu instid0(VALU_DEP_1) | instskip(NEXT) | instid1(VALU_DEP_1)
	v_add_f64_e32 v[24:25], v[26:27], v[22:23]
	v_add_f64_e64 v[26:27], v[24:25], -v[26:27]
	s_delay_alu instid0(VALU_DEP_1) | instskip(SKIP_1) | instid1(VALU_DEP_1)
	v_add_f64_e64 v[22:23], v[22:23], -v[26:27]
	v_add_f64_e64 v[26:27], v[16:17], -v[24:25]
	;; [unrolled: 1-line block ×3, first 2 shown]
	s_delay_alu instid0(VALU_DEP_1) | instskip(NEXT) | instid1(VALU_DEP_1)
	v_add_f64_e64 v[28:29], v[28:29], -v[24:25]
	v_add_f64_e32 v[28:29], v[20:21], v[28:29]
	v_add_f64_e32 v[20:21], v[20:21], v[22:23]
	s_delay_alu instid0(VALU_DEP_2) | instskip(NEXT) | instid1(VALU_DEP_1)
	v_add_f64_e64 v[28:29], v[28:29], -v[22:23]
	v_add_f64_e32 v[30:31], v[26:27], v[28:29]
	s_delay_alu instid0(VALU_DEP_1) | instskip(NEXT) | instid1(VALU_DEP_1)
	v_add_f64_e64 v[26:27], v[30:31], -v[26:27]
	v_add_f64_e64 v[26:27], v[28:29], -v[26:27]
	v_add_f64_e32 v[28:29], v[16:17], v[24:25]
	s_delay_alu instid0(VALU_DEP_1) | instskip(NEXT) | instid1(VALU_DEP_1)
	v_add_f64_e64 v[16:17], v[28:29], -v[16:17]
	v_add_f64_e64 v[16:17], v[24:25], -v[16:17]
	s_delay_alu instid0(VALU_DEP_1) | instskip(NEXT) | instid1(VALU_DEP_1)
	v_add_f64_e32 v[16:17], v[20:21], v[16:17]
	v_add_f64_e32 v[20:21], v[28:29], v[16:17]
	s_delay_alu instid0(VALU_DEP_1) | instskip(NEXT) | instid1(VALU_DEP_1)
	v_add_f64_e64 v[22:23], v[20:21], -v[28:29]
	v_add_f64_e64 v[16:17], v[16:17], -v[22:23]
	v_rcp_f64_e32 v[22:23], v[20:21]
	v_nop
	s_delay_alu instid0(TRANS32_DEP_1) | instskip(NEXT) | instid1(VALU_DEP_1)
	v_fma_f64 v[24:25], -v[20:21], v[22:23], 1.0
	v_fmac_f64_e32 v[22:23], v[24:25], v[22:23]
	s_delay_alu instid0(VALU_DEP_1) | instskip(NEXT) | instid1(VALU_DEP_1)
	v_fma_f64 v[24:25], -v[20:21], v[22:23], 1.0
	v_fmac_f64_e32 v[22:23], v[24:25], v[22:23]
	s_delay_alu instid0(VALU_DEP_1) | instskip(NEXT) | instid1(VALU_DEP_1)
	v_mul_f64_e32 v[24:25], v[30:31], v[22:23]
	v_mul_f64_e32 v[28:29], v[20:21], v[24:25]
	s_delay_alu instid0(VALU_DEP_1) | instskip(NEXT) | instid1(VALU_DEP_1)
	v_fma_f64 v[20:21], v[24:25], v[20:21], -v[28:29]
	v_fmac_f64_e32 v[20:21], v[24:25], v[16:17]
	s_delay_alu instid0(VALU_DEP_1) | instskip(NEXT) | instid1(VALU_DEP_1)
	v_add_f64_e32 v[16:17], v[28:29], v[20:21]
	v_add_f64_e64 v[28:29], v[16:17], -v[28:29]
	s_delay_alu instid0(VALU_DEP_1) | instskip(SKIP_1) | instid1(VALU_DEP_1)
	v_add_f64_e64 v[20:21], v[20:21], -v[28:29]
	v_add_f64_e64 v[28:29], v[30:31], -v[16:17]
	;; [unrolled: 1-line block ×3, first 2 shown]
	s_delay_alu instid0(VALU_DEP_1) | instskip(NEXT) | instid1(VALU_DEP_1)
	v_add_f64_e64 v[16:17], v[30:31], -v[16:17]
	v_add_f64_e64 v[16:17], v[16:17], -v[20:21]
	s_delay_alu instid0(VALU_DEP_1) | instskip(NEXT) | instid1(VALU_DEP_1)
	v_add_f64_e32 v[16:17], v[26:27], v[16:17]
	v_add_f64_e32 v[16:17], v[28:29], v[16:17]
	s_delay_alu instid0(VALU_DEP_1) | instskip(NEXT) | instid1(VALU_DEP_1)
	v_mul_f64_e32 v[16:17], v[22:23], v[16:17]
	v_add_f64_e32 v[16:17], v[24:25], v[16:17]
	s_delay_alu instid0(VALU_DEP_1) | instskip(NEXT) | instid1(VALU_DEP_2)
	v_cndmask_b32_e32 v17, 0x3ff00000, v17, vcc_lo
	v_cndmask_b32_e32 v16, 0, v16, vcc_lo
	v_cmp_gt_f64_e64 vcc_lo, 0x3e400000, |v[4:5]|
	s_delay_alu instid0(VALU_DEP_1) | instskip(NEXT) | instid1(VALU_DEP_1)
	v_dual_cndmask_b32 v4, v16, v4, vcc_lo :: v_dual_cndmask_b32 v16, v17, v18, vcc_lo
	v_bfi_b32 v5, 0x7fffffff, v16, v5
	s_clause 0x1
	global_store_b128 v[14:15], v[6:9], off offset:-16
	global_store_b128 v[14:15], v[2:5], off
	s_wait_xcnt 0x0
	v_lshlrev_b64_e32 v[2:3], 2, v[0:1]
	v_add_nc_u64_e32 v[14:15], s[6:7], v[14:15]
	s_delay_alu instid0(VALU_DEP_2) | instskip(SKIP_1) | instid1(SALU_CYCLE_1)
	v_cmp_ge_i64_e32 vcc_lo, v[2:3], v[10:11]
	s_or_b32 s8, vcc_lo, s8
	s_and_not1_b32 exec_lo, exec_lo, s8
	s_cbranch_execnz .LBB159_24
.LBB159_25:
	s_endpgm
	.section	.rodata,"a",@progbits
	.p2align	6, 0x0
	.amdhsa_kernel _ZN2at6native12_GLOBAL__N_125multi_tensor_apply_kernelINS1_18TensorListMetadataILi1EEENS1_14UnaryOpFunctorIdLi1ELi1ELi0EEEJNS0_4TanhIdEEEEEvT_T0_DpT1_
		.amdhsa_group_segment_fixed_size 0
		.amdhsa_private_segment_fixed_size 0
		.amdhsa_kernarg_size 3632
		.amdhsa_user_sgpr_count 2
		.amdhsa_user_sgpr_dispatch_ptr 0
		.amdhsa_user_sgpr_queue_ptr 0
		.amdhsa_user_sgpr_kernarg_segment_ptr 1
		.amdhsa_user_sgpr_dispatch_id 0
		.amdhsa_user_sgpr_kernarg_preload_length 0
		.amdhsa_user_sgpr_kernarg_preload_offset 0
		.amdhsa_user_sgpr_private_segment_size 0
		.amdhsa_wavefront_size32 1
		.amdhsa_uses_dynamic_stack 0
		.amdhsa_enable_private_segment 0
		.amdhsa_system_sgpr_workgroup_id_x 1
		.amdhsa_system_sgpr_workgroup_id_y 0
		.amdhsa_system_sgpr_workgroup_id_z 0
		.amdhsa_system_sgpr_workgroup_info 0
		.amdhsa_system_vgpr_workitem_id 0
		.amdhsa_next_free_vgpr 52
		.amdhsa_next_free_sgpr 26
		.amdhsa_named_barrier_count 0
		.amdhsa_reserve_vcc 1
		.amdhsa_float_round_mode_32 0
		.amdhsa_float_round_mode_16_64 0
		.amdhsa_float_denorm_mode_32 3
		.amdhsa_float_denorm_mode_16_64 3
		.amdhsa_fp16_overflow 0
		.amdhsa_memory_ordered 1
		.amdhsa_forward_progress 1
		.amdhsa_inst_pref_size 83
		.amdhsa_round_robin_scheduling 0
		.amdhsa_exception_fp_ieee_invalid_op 0
		.amdhsa_exception_fp_denorm_src 0
		.amdhsa_exception_fp_ieee_div_zero 0
		.amdhsa_exception_fp_ieee_overflow 0
		.amdhsa_exception_fp_ieee_underflow 0
		.amdhsa_exception_fp_ieee_inexact 0
		.amdhsa_exception_int_div_zero 0
	.end_amdhsa_kernel
	.section	.text._ZN2at6native12_GLOBAL__N_125multi_tensor_apply_kernelINS1_18TensorListMetadataILi1EEENS1_14UnaryOpFunctorIdLi1ELi1ELi0EEEJNS0_4TanhIdEEEEEvT_T0_DpT1_,"axG",@progbits,_ZN2at6native12_GLOBAL__N_125multi_tensor_apply_kernelINS1_18TensorListMetadataILi1EEENS1_14UnaryOpFunctorIdLi1ELi1ELi0EEEJNS0_4TanhIdEEEEEvT_T0_DpT1_,comdat
.Lfunc_end159:
	.size	_ZN2at6native12_GLOBAL__N_125multi_tensor_apply_kernelINS1_18TensorListMetadataILi1EEENS1_14UnaryOpFunctorIdLi1ELi1ELi0EEEJNS0_4TanhIdEEEEEvT_T0_DpT1_, .Lfunc_end159-_ZN2at6native12_GLOBAL__N_125multi_tensor_apply_kernelINS1_18TensorListMetadataILi1EEENS1_14UnaryOpFunctorIdLi1ELi1ELi0EEEJNS0_4TanhIdEEEEEvT_T0_DpT1_
                                        ; -- End function
	.set _ZN2at6native12_GLOBAL__N_125multi_tensor_apply_kernelINS1_18TensorListMetadataILi1EEENS1_14UnaryOpFunctorIdLi1ELi1ELi0EEEJNS0_4TanhIdEEEEEvT_T0_DpT1_.num_vgpr, 52
	.set _ZN2at6native12_GLOBAL__N_125multi_tensor_apply_kernelINS1_18TensorListMetadataILi1EEENS1_14UnaryOpFunctorIdLi1ELi1ELi0EEEJNS0_4TanhIdEEEEEvT_T0_DpT1_.num_agpr, 0
	.set _ZN2at6native12_GLOBAL__N_125multi_tensor_apply_kernelINS1_18TensorListMetadataILi1EEENS1_14UnaryOpFunctorIdLi1ELi1ELi0EEEJNS0_4TanhIdEEEEEvT_T0_DpT1_.numbered_sgpr, 26
	.set _ZN2at6native12_GLOBAL__N_125multi_tensor_apply_kernelINS1_18TensorListMetadataILi1EEENS1_14UnaryOpFunctorIdLi1ELi1ELi0EEEJNS0_4TanhIdEEEEEvT_T0_DpT1_.num_named_barrier, 0
	.set _ZN2at6native12_GLOBAL__N_125multi_tensor_apply_kernelINS1_18TensorListMetadataILi1EEENS1_14UnaryOpFunctorIdLi1ELi1ELi0EEEJNS0_4TanhIdEEEEEvT_T0_DpT1_.private_seg_size, 0
	.set _ZN2at6native12_GLOBAL__N_125multi_tensor_apply_kernelINS1_18TensorListMetadataILi1EEENS1_14UnaryOpFunctorIdLi1ELi1ELi0EEEJNS0_4TanhIdEEEEEvT_T0_DpT1_.uses_vcc, 1
	.set _ZN2at6native12_GLOBAL__N_125multi_tensor_apply_kernelINS1_18TensorListMetadataILi1EEENS1_14UnaryOpFunctorIdLi1ELi1ELi0EEEJNS0_4TanhIdEEEEEvT_T0_DpT1_.uses_flat_scratch, 0
	.set _ZN2at6native12_GLOBAL__N_125multi_tensor_apply_kernelINS1_18TensorListMetadataILi1EEENS1_14UnaryOpFunctorIdLi1ELi1ELi0EEEJNS0_4TanhIdEEEEEvT_T0_DpT1_.has_dyn_sized_stack, 0
	.set _ZN2at6native12_GLOBAL__N_125multi_tensor_apply_kernelINS1_18TensorListMetadataILi1EEENS1_14UnaryOpFunctorIdLi1ELi1ELi0EEEJNS0_4TanhIdEEEEEvT_T0_DpT1_.has_recursion, 0
	.set _ZN2at6native12_GLOBAL__N_125multi_tensor_apply_kernelINS1_18TensorListMetadataILi1EEENS1_14UnaryOpFunctorIdLi1ELi1ELi0EEEJNS0_4TanhIdEEEEEvT_T0_DpT1_.has_indirect_call, 0
	.section	.AMDGPU.csdata,"",@progbits
; Kernel info:
; codeLenInByte = 10596
; TotalNumSgprs: 28
; NumVgprs: 52
; ScratchSize: 0
; MemoryBound: 0
; FloatMode: 240
; IeeeMode: 1
; LDSByteSize: 0 bytes/workgroup (compile time only)
; SGPRBlocks: 0
; VGPRBlocks: 3
; NumSGPRsForWavesPerEU: 28
; NumVGPRsForWavesPerEU: 52
; NamedBarCnt: 0
; Occupancy: 16
; WaveLimiterHint : 0
; COMPUTE_PGM_RSRC2:SCRATCH_EN: 0
; COMPUTE_PGM_RSRC2:USER_SGPR: 2
; COMPUTE_PGM_RSRC2:TRAP_HANDLER: 0
; COMPUTE_PGM_RSRC2:TGID_X_EN: 1
; COMPUTE_PGM_RSRC2:TGID_Y_EN: 0
; COMPUTE_PGM_RSRC2:TGID_Z_EN: 0
; COMPUTE_PGM_RSRC2:TIDIG_COMP_CNT: 0
	.section	.text._ZN2at6native12_GLOBAL__N_125multi_tensor_apply_kernelINS1_18TensorListMetadataILi1EEENS1_14UnaryOpFunctorIfLi1ELi1ELi0EEEJNS0_4TanhIfEEEEEvT_T0_DpT1_,"axG",@progbits,_ZN2at6native12_GLOBAL__N_125multi_tensor_apply_kernelINS1_18TensorListMetadataILi1EEENS1_14UnaryOpFunctorIfLi1ELi1ELi0EEEJNS0_4TanhIfEEEEEvT_T0_DpT1_,comdat
	.globl	_ZN2at6native12_GLOBAL__N_125multi_tensor_apply_kernelINS1_18TensorListMetadataILi1EEENS1_14UnaryOpFunctorIfLi1ELi1ELi0EEEJNS0_4TanhIfEEEEEvT_T0_DpT1_ ; -- Begin function _ZN2at6native12_GLOBAL__N_125multi_tensor_apply_kernelINS1_18TensorListMetadataILi1EEENS1_14UnaryOpFunctorIfLi1ELi1ELi0EEEJNS0_4TanhIfEEEEEvT_T0_DpT1_
	.p2align	8
	.type	_ZN2at6native12_GLOBAL__N_125multi_tensor_apply_kernelINS1_18TensorListMetadataILi1EEENS1_14UnaryOpFunctorIfLi1ELi1ELi0EEEJNS0_4TanhIfEEEEEvT_T0_DpT1_,@function
_ZN2at6native12_GLOBAL__N_125multi_tensor_apply_kernelINS1_18TensorListMetadataILi1EEENS1_14UnaryOpFunctorIfLi1ELi1ELi0EEEJNS0_4TanhIfEEEEEvT_T0_DpT1_: ; @_ZN2at6native12_GLOBAL__N_125multi_tensor_apply_kernelINS1_18TensorListMetadataILi1EEENS1_14UnaryOpFunctorIfLi1ELi1ELi0EEEJNS0_4TanhIfEEEEEvT_T0_DpT1_
; %bb.0:
	s_bfe_u32 s2, ttmp6, 0x4000c
	s_and_b32 s3, ttmp6, 15
	s_add_co_i32 s2, s2, 1
	s_getreg_b32 s4, hwreg(HW_REG_IB_STS2, 6, 4)
	s_mul_i32 s2, ttmp9, s2
	s_delay_alu instid0(SALU_CYCLE_1)
	s_add_co_i32 s3, s3, s2
	s_cmp_eq_u32 s4, 0
	s_cselect_b32 s2, ttmp9, s3
	s_mov_b32 s3, 0
	s_load_u8 s8, s[0:1], s2 offset:0x6e0
	s_add_nc_u64 s[4:5], s[0:1], s[2:3]
	s_mul_u64 s[6:7], s[2:3], 3
	s_delay_alu instid0(SALU_CYCLE_1)
	s_add_nc_u64 s[4:5], s[4:5], s[6:7]
	s_load_b32 s10, s[4:5], 0x820
	s_wait_kmcnt 0x0
	s_clause 0x1
	s_load_b64 s[6:7], s[0:1], s8 offset:0x0 scale_offset
	s_load_b64 s[12:13], s[0:1], s8 offset:0x370 scale_offset
	s_ashr_i32 s11, s10, 31
	s_wait_kmcnt 0x0
	s_and_b64 s[4:5], s[6:7], 15
	s_and_b32 s2, s12, 3
	s_lshl_b64 s[8:9], s[10:11], 18
	s_or_b64 s[2:3], s[4:5], s[2:3]
	s_lshl_b64 s[4:5], s[10:11], 16
	s_cmp_eq_u64 s[2:3], 0
	s_sub_nc_u64 s[10:11], s[12:13], s[4:5]
	s_cbranch_scc1 .LBB160_37
; %bb.1:
	v_cmp_lt_i64_e64 s2, s[10:11], 1
	s_and_b32 vcc_lo, exec_lo, s2
	s_cbranch_vccnz .LBB160_36
; %bb.2:
	s_load_b32 s4, s[0:1], 0xd3c
	v_min_i64 v[2:3], 0x10000, s[10:11]
	v_min_u64 v[4:5], 0x10000, s[10:11]
	v_dual_mov_b32 v1, 0 :: v_dual_lshlrev_b32 v8, 2, v0
	s_mov_b32 s19, 0
	s_add_nc_u64 s[2:3], s[6:7], s[8:9]
	s_mov_b32 s5, s19
	s_delay_alu instid0(VALU_DEP_1)
	v_mov_b32_e32 v15, v1
	s_mov_b32 s17, s19
	s_mov_b32 s13, s19
	;; [unrolled: 1-line block ×3, first 2 shown]
	s_mov_b64 s[20:21], 0
	s_mov_b32 s22, 0xbbbac73d
	s_wait_kmcnt 0x0
	s_and_b32 s18, s4, 0xffff
	s_delay_alu instid0(SALU_CYCLE_1)
	v_add_nc_u64_e32 v[6:7], s[18:19], v[0:1]
	v_mov_b32_e32 v9, v1
	s_lshl_b32 s4, s18, 1
	s_mul_i32 s16, s18, 3
	v_add_nc_u64_e32 v[12:13], s[4:5], v[0:1]
	v_add_nc_u64_e32 v[10:11], s[16:17], v[0:1]
	s_lshl_b32 s12, s18, 2
	v_lshlrev_b32_e32 v14, 2, v6
	v_add_nc_u64_e32 v[8:9], s[2:3], v[8:9]
	s_lshl_b32 s14, s18, 4
	s_mul_u64 s[16:17], s[18:19], 12
	s_lshl_b32 s18, s18, 3
	v_add_nc_u64_e32 v[14:15], s[2:3], v[14:15]
	s_branch .LBB160_4
.LBB160_3:                              ;   in Loop: Header=BB160_4 Depth=1
	s_wait_xcnt 0x0
	s_or_b32 exec_lo, exec_lo, s2
	s_add_nc_u64 s[20:21], s[20:21], s[12:13]
	v_add_nc_u64_e32 v[8:9], s[14:15], v[8:9]
	v_cmp_ge_i64_e32 vcc_lo, s[20:21], v[2:3]
	v_add_nc_u64_e32 v[14:15], s[14:15], v[14:15]
	s_cbranch_vccnz .LBB160_36
.LBB160_4:                              ; =>This Inner Loop Header: Depth=1
	v_add_nc_u64_e32 v[16:17], s[20:21], v[0:1]
	v_mov_b32_e32 v21, 0
	s_delay_alu instid0(VALU_DEP_2)
	v_cmp_lt_u64_e32 vcc_lo, v[16:17], v[4:5]
	s_and_saveexec_b32 s2, vcc_lo
	s_cbranch_execz .LBB160_6
; %bb.5:                                ;   in Loop: Header=BB160_4 Depth=1
	global_load_b32 v21, v[8:9], off
.LBB160_6:                              ;   in Loop: Header=BB160_4 Depth=1
	s_wait_xcnt 0x0
	s_or_b32 exec_lo, exec_lo, s2
	v_add_nc_u64_e32 v[16:17], s[20:21], v[6:7]
	v_dual_mov_b32 v20, 0 :: v_dual_mov_b32 v22, 0
	s_delay_alu instid0(VALU_DEP_2)
	v_cmp_lt_u64_e64 s2, v[16:17], v[4:5]
	s_and_saveexec_b32 s3, s2
	s_cbranch_execz .LBB160_8
; %bb.7:                                ;   in Loop: Header=BB160_4 Depth=1
	global_load_b32 v22, v[14:15], off
.LBB160_8:                              ;   in Loop: Header=BB160_4 Depth=1
	s_wait_xcnt 0x0
	s_or_b32 exec_lo, exec_lo, s3
	v_add_nc_u64_e32 v[16:17], s[20:21], v[12:13]
	s_delay_alu instid0(VALU_DEP_1)
	v_cmp_lt_u64_e64 s3, v[16:17], v[4:5]
	v_add_nc_u64_e32 v[16:17], s[18:19], v[8:9]
	s_and_saveexec_b32 s4, s3
	s_cbranch_execz .LBB160_10
; %bb.9:                                ;   in Loop: Header=BB160_4 Depth=1
	global_load_b32 v20, v[16:17], off
.LBB160_10:                             ;   in Loop: Header=BB160_4 Depth=1
	s_wait_xcnt 0x0
	s_or_b32 exec_lo, exec_lo, s4
	v_add_nc_u64_e32 v[18:19], s[20:21], v[10:11]
	v_mov_b32_e32 v23, 0
	s_delay_alu instid0(VALU_DEP_2)
	v_cmp_lt_u64_e64 s4, v[18:19], v[4:5]
	v_add_nc_u64_e32 v[18:19], s[16:17], v[8:9]
	s_and_saveexec_b32 s5, s4
	s_cbranch_execz .LBB160_12
; %bb.11:                               ;   in Loop: Header=BB160_4 Depth=1
	global_load_b32 v23, v[18:19], off
.LBB160_12:                             ;   in Loop: Header=BB160_4 Depth=1
	s_wait_xcnt 0x0
	s_or_b32 exec_lo, exec_lo, s5
	s_delay_alu instid0(SALU_CYCLE_1)
	s_mov_b32 s23, exec_lo
                                        ; implicit-def: $vgpr24
	s_wait_loadcnt 0x0
	v_cmpx_ngt_f32_e64 0x3f200000, |v21|
	s_xor_b32 s23, exec_lo, s23
	s_cbranch_execz .LBB160_14
; %bb.13:                               ;   in Loop: Header=BB160_4 Depth=1
	v_add_f32_e64 v24, |v21|, |v21|
	s_delay_alu instid0(VALU_DEP_1) | instskip(SKIP_1) | instid1(VALU_DEP_2)
	v_mul_f32_e32 v25, 0x3fb8aa3b, v24
	v_cmp_ngt_f32_e64 s5, 0xc2ce8ed0, v24
	v_rndne_f32_e32 v26, v25
	v_fma_f32 v27, 0x3fb8aa3b, v24, -v25
	s_delay_alu instid0(VALU_DEP_2) | instskip(NEXT) | instid1(VALU_DEP_2)
	v_sub_f32_e32 v25, v25, v26
	v_fmac_f32_e32 v27, 0x32a5705f, v24
	v_cvt_i32_f32_e32 v26, v26
	s_delay_alu instid0(VALU_DEP_2) | instskip(NEXT) | instid1(VALU_DEP_1)
	v_add_f32_e32 v25, v25, v27
	v_exp_f32_e32 v25, v25
	v_nop
	s_delay_alu instid0(TRANS32_DEP_1) | instskip(NEXT) | instid1(VALU_DEP_1)
	v_ldexp_f32 v25, v25, v26
	v_cndmask_b32_e64 v25, 0, v25, s5
	v_cmp_nlt_f32_e64 s5, 0x42b17218, v24
	s_delay_alu instid0(VALU_DEP_1) | instskip(NEXT) | instid1(VALU_DEP_1)
	v_cndmask_b32_e64 v24, 0x7f800000, v25, s5
	v_add_f32_e32 v24, 1.0, v24
	s_delay_alu instid0(VALU_DEP_1) | instskip(SKIP_1) | instid1(TRANS32_DEP_1)
	v_rcp_f32_e32 v24, v24
	v_nop
	v_fma_f32 v24, v24, -2.0, 1.0
.LBB160_14:                             ;   in Loop: Header=BB160_4 Depth=1
	s_and_not1_saveexec_b32 s5, s23
	s_cbranch_execz .LBB160_16
; %bb.15:                               ;   in Loop: Header=BB160_4 Depth=1
	v_mul_f32_e32 v24, v21, v21
	s_delay_alu instid0(VALU_DEP_1) | instskip(NEXT) | instid1(VALU_DEP_1)
	v_fmaak_f32 v25, s22, v24, 0x3ca908c9
	v_fmaak_f32 v25, v24, v25, 0xbd5c1c4e
	s_delay_alu instid0(VALU_DEP_1) | instskip(NEXT) | instid1(VALU_DEP_1)
	v_fmaak_f32 v25, v24, v25, 0x3e088382
	v_fmaak_f32 v25, v24, v25, 0xbeaaaa99
	s_delay_alu instid0(VALU_DEP_1) | instskip(NEXT) | instid1(VALU_DEP_1)
	v_mul_f32_e64 v25, |v21|, v25
	v_fma_f32 v24, v24, v25, |v21|
.LBB160_16:                             ;   in Loop: Header=BB160_4 Depth=1
	s_or_b32 exec_lo, exec_lo, s5
	s_delay_alu instid0(SALU_CYCLE_1)
	s_mov_b32 s23, exec_lo
                                        ; implicit-def: $vgpr25
	v_cmpx_ngt_f32_e64 0x3f200000, |v22|
	s_xor_b32 s23, exec_lo, s23
	s_cbranch_execz .LBB160_18
; %bb.17:                               ;   in Loop: Header=BB160_4 Depth=1
	v_add_f32_e64 v25, |v22|, |v22|
	s_delay_alu instid0(VALU_DEP_1) | instskip(SKIP_1) | instid1(VALU_DEP_2)
	v_mul_f32_e32 v26, 0x3fb8aa3b, v25
	v_cmp_ngt_f32_e64 s5, 0xc2ce8ed0, v25
	v_rndne_f32_e32 v27, v26
	v_fma_f32 v28, 0x3fb8aa3b, v25, -v26
	s_delay_alu instid0(VALU_DEP_2) | instskip(NEXT) | instid1(VALU_DEP_2)
	v_sub_f32_e32 v26, v26, v27
	v_fmac_f32_e32 v28, 0x32a5705f, v25
	v_cvt_i32_f32_e32 v27, v27
	s_delay_alu instid0(VALU_DEP_2) | instskip(NEXT) | instid1(VALU_DEP_1)
	v_add_f32_e32 v26, v26, v28
	v_exp_f32_e32 v26, v26
	v_nop
	s_delay_alu instid0(TRANS32_DEP_1) | instskip(NEXT) | instid1(VALU_DEP_1)
	v_ldexp_f32 v26, v26, v27
	v_cndmask_b32_e64 v26, 0, v26, s5
	v_cmp_nlt_f32_e64 s5, 0x42b17218, v25
	s_delay_alu instid0(VALU_DEP_1) | instskip(NEXT) | instid1(VALU_DEP_1)
	v_cndmask_b32_e64 v25, 0x7f800000, v26, s5
	v_add_f32_e32 v25, 1.0, v25
	s_delay_alu instid0(VALU_DEP_1) | instskip(SKIP_1) | instid1(TRANS32_DEP_1)
	v_rcp_f32_e32 v25, v25
	v_nop
	v_fma_f32 v25, v25, -2.0, 1.0
.LBB160_18:                             ;   in Loop: Header=BB160_4 Depth=1
	s_and_not1_saveexec_b32 s5, s23
	s_cbranch_execz .LBB160_20
; %bb.19:                               ;   in Loop: Header=BB160_4 Depth=1
	v_mul_f32_e32 v25, v22, v22
	s_delay_alu instid0(VALU_DEP_1) | instskip(NEXT) | instid1(VALU_DEP_1)
	v_fmaak_f32 v26, s22, v25, 0x3ca908c9
	v_fmaak_f32 v26, v25, v26, 0xbd5c1c4e
	s_delay_alu instid0(VALU_DEP_1) | instskip(NEXT) | instid1(VALU_DEP_1)
	v_fmaak_f32 v26, v25, v26, 0x3e088382
	v_fmaak_f32 v26, v25, v26, 0xbeaaaa99
	s_delay_alu instid0(VALU_DEP_1) | instskip(NEXT) | instid1(VALU_DEP_1)
	v_mul_f32_e64 v26, |v22|, v26
	v_fma_f32 v25, v25, v26, |v22|
.LBB160_20:                             ;   in Loop: Header=BB160_4 Depth=1
	s_or_b32 exec_lo, exec_lo, s5
	s_delay_alu instid0(SALU_CYCLE_1)
	s_mov_b32 s23, exec_lo
                                        ; implicit-def: $vgpr26
	v_cmpx_ngt_f32_e64 0x3f200000, |v20|
	s_xor_b32 s23, exec_lo, s23
	s_cbranch_execz .LBB160_22
; %bb.21:                               ;   in Loop: Header=BB160_4 Depth=1
	v_add_f32_e64 v26, |v20|, |v20|
	s_delay_alu instid0(VALU_DEP_1) | instskip(SKIP_1) | instid1(VALU_DEP_2)
	v_mul_f32_e32 v27, 0x3fb8aa3b, v26
	v_cmp_ngt_f32_e64 s5, 0xc2ce8ed0, v26
	v_rndne_f32_e32 v28, v27
	v_fma_f32 v29, 0x3fb8aa3b, v26, -v27
	s_delay_alu instid0(VALU_DEP_2) | instskip(NEXT) | instid1(VALU_DEP_2)
	v_sub_f32_e32 v27, v27, v28
	v_fmac_f32_e32 v29, 0x32a5705f, v26
	v_cvt_i32_f32_e32 v28, v28
	s_delay_alu instid0(VALU_DEP_2) | instskip(NEXT) | instid1(VALU_DEP_1)
	v_add_f32_e32 v27, v27, v29
	v_exp_f32_e32 v27, v27
	v_nop
	s_delay_alu instid0(TRANS32_DEP_1) | instskip(NEXT) | instid1(VALU_DEP_1)
	v_ldexp_f32 v27, v27, v28
	v_cndmask_b32_e64 v27, 0, v27, s5
	v_cmp_nlt_f32_e64 s5, 0x42b17218, v26
	s_delay_alu instid0(VALU_DEP_1) | instskip(NEXT) | instid1(VALU_DEP_1)
	v_cndmask_b32_e64 v26, 0x7f800000, v27, s5
	v_add_f32_e32 v26, 1.0, v26
	s_delay_alu instid0(VALU_DEP_1) | instskip(SKIP_1) | instid1(TRANS32_DEP_1)
	v_rcp_f32_e32 v26, v26
	v_nop
	v_fma_f32 v26, v26, -2.0, 1.0
.LBB160_22:                             ;   in Loop: Header=BB160_4 Depth=1
	s_and_not1_saveexec_b32 s5, s23
	s_cbranch_execz .LBB160_24
; %bb.23:                               ;   in Loop: Header=BB160_4 Depth=1
	v_mul_f32_e32 v26, v20, v20
	s_delay_alu instid0(VALU_DEP_1) | instskip(NEXT) | instid1(VALU_DEP_1)
	v_fmaak_f32 v27, s22, v26, 0x3ca908c9
	v_fmaak_f32 v27, v26, v27, 0xbd5c1c4e
	s_delay_alu instid0(VALU_DEP_1) | instskip(NEXT) | instid1(VALU_DEP_1)
	v_fmaak_f32 v27, v26, v27, 0x3e088382
	v_fmaak_f32 v27, v26, v27, 0xbeaaaa99
	s_delay_alu instid0(VALU_DEP_1) | instskip(NEXT) | instid1(VALU_DEP_1)
	v_mul_f32_e64 v27, |v20|, v27
	v_fma_f32 v26, v26, v27, |v20|
.LBB160_24:                             ;   in Loop: Header=BB160_4 Depth=1
	s_or_b32 exec_lo, exec_lo, s5
	s_delay_alu instid0(SALU_CYCLE_1)
	s_mov_b32 s23, exec_lo
                                        ; implicit-def: $vgpr27
	v_cmpx_ngt_f32_e64 0x3f200000, |v23|
	s_xor_b32 s23, exec_lo, s23
	s_cbranch_execnz .LBB160_30
; %bb.25:                               ;   in Loop: Header=BB160_4 Depth=1
	s_and_not1_saveexec_b32 s5, s23
	s_cbranch_execnz .LBB160_31
.LBB160_26:                             ;   in Loop: Header=BB160_4 Depth=1
	s_or_b32 exec_lo, exec_lo, s5
	s_and_saveexec_b32 s5, vcc_lo
	s_delay_alu instid0(SALU_CYCLE_1)
	s_xor_b32 s5, exec_lo, s5
	s_cbranch_execnz .LBB160_32
.LBB160_27:                             ;   in Loop: Header=BB160_4 Depth=1
	s_or_b32 exec_lo, exec_lo, s5
	s_and_saveexec_b32 s5, s2
	s_cbranch_execnz .LBB160_33
.LBB160_28:                             ;   in Loop: Header=BB160_4 Depth=1
	s_or_b32 exec_lo, exec_lo, s5
	s_and_saveexec_b32 s2, s3
	s_cbranch_execnz .LBB160_34
.LBB160_29:                             ;   in Loop: Header=BB160_4 Depth=1
	s_or_b32 exec_lo, exec_lo, s2
	s_and_saveexec_b32 s2, s4
	s_cbranch_execz .LBB160_3
	s_branch .LBB160_35
.LBB160_30:                             ;   in Loop: Header=BB160_4 Depth=1
	v_add_f32_e64 v27, |v23|, |v23|
	s_delay_alu instid0(VALU_DEP_1) | instskip(SKIP_1) | instid1(VALU_DEP_2)
	v_mul_f32_e32 v28, 0x3fb8aa3b, v27
	v_cmp_ngt_f32_e64 s5, 0xc2ce8ed0, v27
	v_rndne_f32_e32 v29, v28
	v_fma_f32 v30, 0x3fb8aa3b, v27, -v28
	s_delay_alu instid0(VALU_DEP_2) | instskip(NEXT) | instid1(VALU_DEP_2)
	v_sub_f32_e32 v28, v28, v29
	v_fmac_f32_e32 v30, 0x32a5705f, v27
	v_cvt_i32_f32_e32 v29, v29
	s_delay_alu instid0(VALU_DEP_2) | instskip(NEXT) | instid1(VALU_DEP_1)
	v_add_f32_e32 v28, v28, v30
	v_exp_f32_e32 v28, v28
	v_nop
	s_delay_alu instid0(TRANS32_DEP_1) | instskip(NEXT) | instid1(VALU_DEP_1)
	v_ldexp_f32 v28, v28, v29
	v_cndmask_b32_e64 v28, 0, v28, s5
	v_cmp_nlt_f32_e64 s5, 0x42b17218, v27
	s_delay_alu instid0(VALU_DEP_1) | instskip(NEXT) | instid1(VALU_DEP_1)
	v_cndmask_b32_e64 v27, 0x7f800000, v28, s5
	v_add_f32_e32 v27, 1.0, v27
	s_delay_alu instid0(VALU_DEP_1) | instskip(SKIP_1) | instid1(TRANS32_DEP_1)
	v_rcp_f32_e32 v27, v27
	v_nop
	v_fma_f32 v27, v27, -2.0, 1.0
	s_and_not1_saveexec_b32 s5, s23
	s_cbranch_execz .LBB160_26
.LBB160_31:                             ;   in Loop: Header=BB160_4 Depth=1
	v_mul_f32_e32 v27, v23, v23
	s_delay_alu instid0(VALU_DEP_1) | instskip(NEXT) | instid1(VALU_DEP_1)
	v_fmaak_f32 v28, s22, v27, 0x3ca908c9
	v_fmaak_f32 v28, v27, v28, 0xbd5c1c4e
	s_delay_alu instid0(VALU_DEP_1) | instskip(NEXT) | instid1(VALU_DEP_1)
	v_fmaak_f32 v28, v27, v28, 0x3e088382
	v_fmaak_f32 v28, v27, v28, 0xbeaaaa99
	s_delay_alu instid0(VALU_DEP_1) | instskip(NEXT) | instid1(VALU_DEP_1)
	v_mul_f32_e64 v28, |v23|, v28
	v_fma_f32 v27, v27, v28, |v23|
	s_or_b32 exec_lo, exec_lo, s5
	s_and_saveexec_b32 s5, vcc_lo
	s_delay_alu instid0(SALU_CYCLE_1)
	s_xor_b32 s5, exec_lo, s5
	s_cbranch_execz .LBB160_27
.LBB160_32:                             ;   in Loop: Header=BB160_4 Depth=1
	v_bfi_b32 v21, 0x7fffffff, v24, v21
	global_store_b32 v[8:9], v21, off
	s_wait_xcnt 0x0
	s_or_b32 exec_lo, exec_lo, s5
	s_and_saveexec_b32 s5, s2
	s_cbranch_execz .LBB160_28
.LBB160_33:                             ;   in Loop: Header=BB160_4 Depth=1
	v_bfi_b32 v21, 0x7fffffff, v25, v22
	global_store_b32 v[14:15], v21, off
	s_wait_xcnt 0x0
	s_or_b32 exec_lo, exec_lo, s5
	s_and_saveexec_b32 s2, s3
	s_cbranch_execz .LBB160_29
.LBB160_34:                             ;   in Loop: Header=BB160_4 Depth=1
	v_bfi_b32 v20, 0x7fffffff, v26, v20
	global_store_b32 v[16:17], v20, off
	s_wait_xcnt 0x0
	s_or_b32 exec_lo, exec_lo, s2
	s_and_saveexec_b32 s2, s4
	s_cbranch_execz .LBB160_3
.LBB160_35:                             ;   in Loop: Header=BB160_4 Depth=1
	v_bfi_b32 v16, 0x7fffffff, v27, v23
	global_store_b32 v[18:19], v16, off
	s_branch .LBB160_3
.LBB160_36:
	s_cbranch_execz .LBB160_38
	s_branch .LBB160_57
.LBB160_37:
.LBB160_38:
	v_min_i64 v[6:7], 0x10000, s[10:11]
	v_dual_mov_b32 v3, 0 :: v_dual_lshlrev_b32 v2, 2, v0
	s_mov_b32 s2, exec_lo
	s_delay_alu instid0(VALU_DEP_1)
	v_cmpx_lt_i64_e64 v[2:3], v[6:7]
	s_cbranch_execz .LBB160_57
; %bb.39:
	s_load_b32 s2, s[0:1], 0xd3c
	v_dual_mov_b32 v1, v3 :: v_dual_lshlrev_b32 v2, 4, v0
	s_wait_xcnt 0x0
	s_add_nc_u64 s[0:1], s[6:7], s[8:9]
	s_mov_b32 s4, 0xbbbac73d
	s_delay_alu instid0(VALU_DEP_1) | instskip(SKIP_1) | instid1(SALU_CYCLE_1)
	v_add_nc_u64_e32 v[4:5], s[0:1], v[2:3]
	s_mov_b32 s1, 0
	s_mov_b32 s3, s1
	;; [unrolled: 1-line block ×3, first 2 shown]
	s_delay_alu instid0(VALU_DEP_1) | instskip(SKIP_2) | instid1(SALU_CYCLE_1)
	v_add_nc_u64_e32 v[8:9], 8, v[4:5]
	s_wait_kmcnt 0x0
	s_and_b32 s0, s2, 0xffff
	s_lshl_b32 s2, s0, 4
	s_branch .LBB160_41
.LBB160_40:                             ;   in Loop: Header=BB160_41 Depth=1
	s_or_b32 exec_lo, exec_lo, s6
	v_add_nc_u64_e32 v[0:1], s[0:1], v[0:1]
	v_bfi_b32 v4, 0x7fffffff, v12, v4
	v_bfi_b32 v3, 0x7fffffff, v11, v3
	;; [unrolled: 1-line block ×4, first 2 shown]
	v_lshlrev_b64_e32 v[14:15], 2, v[0:1]
	global_store_b128 v[8:9], v[2:5], off offset:-8
	s_wait_xcnt 0x0
	v_add_nc_u64_e32 v[8:9], s[2:3], v[8:9]
	v_cmp_ge_i64_e32 vcc_lo, v[14:15], v[6:7]
	s_or_b32 s5, vcc_lo, s5
	s_delay_alu instid0(SALU_CYCLE_1)
	s_and_not1_b32 exec_lo, exec_lo, s5
	s_cbranch_execz .LBB160_57
.LBB160_41:                             ; =>This Inner Loop Header: Depth=1
	global_load_b128 v[2:5], v[8:9], off offset:-8
                                        ; implicit-def: $vgpr10
	s_wait_loadcnt 0x0
	v_cmp_ngt_f32_e64 s6, 0x3f200000, |v2|
	s_wait_xcnt 0x0
	s_and_saveexec_b32 s7, s6
	s_delay_alu instid0(SALU_CYCLE_1)
	s_xor_b32 s6, exec_lo, s7
	s_cbranch_execz .LBB160_43
; %bb.42:                               ;   in Loop: Header=BB160_41 Depth=1
	v_add_f32_e64 v10, |v2|, |v2|
	s_delay_alu instid0(VALU_DEP_1) | instskip(SKIP_1) | instid1(VALU_DEP_2)
	v_mul_f32_e32 v11, 0x3fb8aa3b, v10
	v_cmp_ngt_f32_e32 vcc_lo, 0xc2ce8ed0, v10
	v_rndne_f32_e32 v12, v11
	v_fma_f32 v13, 0x3fb8aa3b, v10, -v11
	s_delay_alu instid0(VALU_DEP_2) | instskip(NEXT) | instid1(VALU_DEP_2)
	v_sub_f32_e32 v11, v11, v12
	v_fmac_f32_e32 v13, 0x32a5705f, v10
	v_cvt_i32_f32_e32 v12, v12
	s_delay_alu instid0(VALU_DEP_2) | instskip(NEXT) | instid1(VALU_DEP_1)
	v_add_f32_e32 v11, v11, v13
	v_exp_f32_e32 v11, v11
	v_nop
	s_delay_alu instid0(TRANS32_DEP_1) | instskip(NEXT) | instid1(VALU_DEP_1)
	v_ldexp_f32 v11, v11, v12
	v_cndmask_b32_e32 v11, 0, v11, vcc_lo
	v_cmp_nlt_f32_e32 vcc_lo, 0x42b17218, v10
	s_delay_alu instid0(VALU_DEP_2) | instskip(NEXT) | instid1(VALU_DEP_1)
	v_cndmask_b32_e32 v10, 0x7f800000, v11, vcc_lo
	v_add_f32_e32 v10, 1.0, v10
	s_delay_alu instid0(VALU_DEP_1) | instskip(SKIP_1) | instid1(TRANS32_DEP_1)
	v_rcp_f32_e32 v10, v10
	v_nop
	v_fma_f32 v10, v10, -2.0, 1.0
.LBB160_43:                             ;   in Loop: Header=BB160_41 Depth=1
	s_and_not1_saveexec_b32 s6, s6
	s_cbranch_execz .LBB160_45
; %bb.44:                               ;   in Loop: Header=BB160_41 Depth=1
	v_mul_f32_e32 v10, v2, v2
	s_delay_alu instid0(VALU_DEP_1) | instskip(NEXT) | instid1(VALU_DEP_1)
	v_fmaak_f32 v11, s4, v10, 0x3ca908c9
	v_fmaak_f32 v11, v10, v11, 0xbd5c1c4e
	s_delay_alu instid0(VALU_DEP_1) | instskip(NEXT) | instid1(VALU_DEP_1)
	v_fmaak_f32 v11, v10, v11, 0x3e088382
	v_fmaak_f32 v11, v10, v11, 0xbeaaaa99
	s_delay_alu instid0(VALU_DEP_1) | instskip(NEXT) | instid1(VALU_DEP_1)
	v_mul_f32_e64 v11, |v2|, v11
	v_fma_f32 v10, v10, v11, |v2|
.LBB160_45:                             ;   in Loop: Header=BB160_41 Depth=1
	s_or_b32 exec_lo, exec_lo, s6
	v_cmp_ngt_f32_e64 s6, 0x3f200000, |v3|
                                        ; implicit-def: $vgpr11
	s_and_saveexec_b32 s7, s6
	s_delay_alu instid0(SALU_CYCLE_1)
	s_xor_b32 s6, exec_lo, s7
	s_cbranch_execz .LBB160_47
; %bb.46:                               ;   in Loop: Header=BB160_41 Depth=1
	v_add_f32_e64 v11, |v3|, |v3|
	s_delay_alu instid0(VALU_DEP_1) | instskip(SKIP_1) | instid1(VALU_DEP_2)
	v_mul_f32_e32 v12, 0x3fb8aa3b, v11
	v_cmp_ngt_f32_e32 vcc_lo, 0xc2ce8ed0, v11
	v_rndne_f32_e32 v13, v12
	v_fma_f32 v14, 0x3fb8aa3b, v11, -v12
	s_delay_alu instid0(VALU_DEP_2) | instskip(NEXT) | instid1(VALU_DEP_2)
	v_sub_f32_e32 v12, v12, v13
	v_fmac_f32_e32 v14, 0x32a5705f, v11
	v_cvt_i32_f32_e32 v13, v13
	s_delay_alu instid0(VALU_DEP_2) | instskip(NEXT) | instid1(VALU_DEP_1)
	v_add_f32_e32 v12, v12, v14
	v_exp_f32_e32 v12, v12
	v_nop
	s_delay_alu instid0(TRANS32_DEP_1) | instskip(NEXT) | instid1(VALU_DEP_1)
	v_ldexp_f32 v12, v12, v13
	v_cndmask_b32_e32 v12, 0, v12, vcc_lo
	v_cmp_nlt_f32_e32 vcc_lo, 0x42b17218, v11
	s_delay_alu instid0(VALU_DEP_2) | instskip(NEXT) | instid1(VALU_DEP_1)
	v_cndmask_b32_e32 v11, 0x7f800000, v12, vcc_lo
	v_add_f32_e32 v11, 1.0, v11
	s_delay_alu instid0(VALU_DEP_1) | instskip(SKIP_1) | instid1(TRANS32_DEP_1)
	v_rcp_f32_e32 v11, v11
	v_nop
	v_fma_f32 v11, v11, -2.0, 1.0
.LBB160_47:                             ;   in Loop: Header=BB160_41 Depth=1
	s_and_not1_saveexec_b32 s6, s6
	s_cbranch_execz .LBB160_49
; %bb.48:                               ;   in Loop: Header=BB160_41 Depth=1
	v_mul_f32_e32 v11, v3, v3
	s_delay_alu instid0(VALU_DEP_1) | instskip(NEXT) | instid1(VALU_DEP_1)
	v_fmaak_f32 v12, s4, v11, 0x3ca908c9
	v_fmaak_f32 v12, v11, v12, 0xbd5c1c4e
	s_delay_alu instid0(VALU_DEP_1) | instskip(NEXT) | instid1(VALU_DEP_1)
	v_fmaak_f32 v12, v11, v12, 0x3e088382
	v_fmaak_f32 v12, v11, v12, 0xbeaaaa99
	s_delay_alu instid0(VALU_DEP_1) | instskip(NEXT) | instid1(VALU_DEP_1)
	v_mul_f32_e64 v12, |v3|, v12
	v_fma_f32 v11, v11, v12, |v3|
.LBB160_49:                             ;   in Loop: Header=BB160_41 Depth=1
	s_or_b32 exec_lo, exec_lo, s6
	v_cmp_ngt_f32_e64 s6, 0x3f200000, |v4|
                                        ; implicit-def: $vgpr12
	s_and_saveexec_b32 s7, s6
	s_delay_alu instid0(SALU_CYCLE_1)
	s_xor_b32 s6, exec_lo, s7
	s_cbranch_execz .LBB160_51
; %bb.50:                               ;   in Loop: Header=BB160_41 Depth=1
	v_add_f32_e64 v12, |v4|, |v4|
	s_delay_alu instid0(VALU_DEP_1) | instskip(SKIP_1) | instid1(VALU_DEP_2)
	v_mul_f32_e32 v13, 0x3fb8aa3b, v12
	v_cmp_ngt_f32_e32 vcc_lo, 0xc2ce8ed0, v12
	v_rndne_f32_e32 v14, v13
	v_fma_f32 v15, 0x3fb8aa3b, v12, -v13
	s_delay_alu instid0(VALU_DEP_2) | instskip(NEXT) | instid1(VALU_DEP_2)
	v_sub_f32_e32 v13, v13, v14
	v_fmac_f32_e32 v15, 0x32a5705f, v12
	v_cvt_i32_f32_e32 v14, v14
	s_delay_alu instid0(VALU_DEP_2) | instskip(NEXT) | instid1(VALU_DEP_1)
	v_add_f32_e32 v13, v13, v15
	v_exp_f32_e32 v13, v13
	v_nop
	s_delay_alu instid0(TRANS32_DEP_1) | instskip(NEXT) | instid1(VALU_DEP_1)
	v_ldexp_f32 v13, v13, v14
	v_cndmask_b32_e32 v13, 0, v13, vcc_lo
	v_cmp_nlt_f32_e32 vcc_lo, 0x42b17218, v12
	s_delay_alu instid0(VALU_DEP_2) | instskip(NEXT) | instid1(VALU_DEP_1)
	v_cndmask_b32_e32 v12, 0x7f800000, v13, vcc_lo
	v_add_f32_e32 v12, 1.0, v12
	s_delay_alu instid0(VALU_DEP_1) | instskip(SKIP_1) | instid1(TRANS32_DEP_1)
	v_rcp_f32_e32 v12, v12
	v_nop
	v_fma_f32 v12, v12, -2.0, 1.0
.LBB160_51:                             ;   in Loop: Header=BB160_41 Depth=1
	s_and_not1_saveexec_b32 s6, s6
	s_cbranch_execz .LBB160_53
; %bb.52:                               ;   in Loop: Header=BB160_41 Depth=1
	v_mul_f32_e32 v12, v4, v4
	s_delay_alu instid0(VALU_DEP_1) | instskip(NEXT) | instid1(VALU_DEP_1)
	v_fmaak_f32 v13, s4, v12, 0x3ca908c9
	v_fmaak_f32 v13, v12, v13, 0xbd5c1c4e
	s_delay_alu instid0(VALU_DEP_1) | instskip(NEXT) | instid1(VALU_DEP_1)
	v_fmaak_f32 v13, v12, v13, 0x3e088382
	v_fmaak_f32 v13, v12, v13, 0xbeaaaa99
	s_delay_alu instid0(VALU_DEP_1) | instskip(NEXT) | instid1(VALU_DEP_1)
	v_mul_f32_e64 v13, |v4|, v13
	v_fma_f32 v12, v12, v13, |v4|
.LBB160_53:                             ;   in Loop: Header=BB160_41 Depth=1
	s_or_b32 exec_lo, exec_lo, s6
	v_cmp_ngt_f32_e64 s6, 0x3f200000, |v5|
                                        ; implicit-def: $vgpr13
	s_and_saveexec_b32 s7, s6
	s_delay_alu instid0(SALU_CYCLE_1)
	s_xor_b32 s6, exec_lo, s7
	s_cbranch_execz .LBB160_55
; %bb.54:                               ;   in Loop: Header=BB160_41 Depth=1
	v_add_f32_e64 v13, |v5|, |v5|
	s_delay_alu instid0(VALU_DEP_1) | instskip(SKIP_1) | instid1(VALU_DEP_2)
	v_mul_f32_e32 v14, 0x3fb8aa3b, v13
	v_cmp_ngt_f32_e32 vcc_lo, 0xc2ce8ed0, v13
	v_rndne_f32_e32 v15, v14
	v_fma_f32 v16, 0x3fb8aa3b, v13, -v14
	s_delay_alu instid0(VALU_DEP_2) | instskip(NEXT) | instid1(VALU_DEP_2)
	v_sub_f32_e32 v14, v14, v15
	v_fmac_f32_e32 v16, 0x32a5705f, v13
	v_cvt_i32_f32_e32 v15, v15
	s_delay_alu instid0(VALU_DEP_2) | instskip(NEXT) | instid1(VALU_DEP_1)
	v_add_f32_e32 v14, v14, v16
	v_exp_f32_e32 v14, v14
	v_nop
	s_delay_alu instid0(TRANS32_DEP_1) | instskip(NEXT) | instid1(VALU_DEP_1)
	v_ldexp_f32 v14, v14, v15
	v_cndmask_b32_e32 v14, 0, v14, vcc_lo
	v_cmp_nlt_f32_e32 vcc_lo, 0x42b17218, v13
	s_delay_alu instid0(VALU_DEP_2) | instskip(NEXT) | instid1(VALU_DEP_1)
	v_cndmask_b32_e32 v13, 0x7f800000, v14, vcc_lo
	v_add_f32_e32 v13, 1.0, v13
	s_delay_alu instid0(VALU_DEP_1) | instskip(SKIP_1) | instid1(TRANS32_DEP_1)
	v_rcp_f32_e32 v13, v13
	v_nop
	v_fma_f32 v13, v13, -2.0, 1.0
.LBB160_55:                             ;   in Loop: Header=BB160_41 Depth=1
	s_and_not1_saveexec_b32 s6, s6
	s_cbranch_execz .LBB160_40
; %bb.56:                               ;   in Loop: Header=BB160_41 Depth=1
	v_mul_f32_e32 v13, v5, v5
	s_delay_alu instid0(VALU_DEP_1) | instskip(NEXT) | instid1(VALU_DEP_1)
	v_fmaak_f32 v14, s4, v13, 0x3ca908c9
	v_fmaak_f32 v14, v13, v14, 0xbd5c1c4e
	s_delay_alu instid0(VALU_DEP_1) | instskip(NEXT) | instid1(VALU_DEP_1)
	v_fmaak_f32 v14, v13, v14, 0x3e088382
	v_fmaak_f32 v14, v13, v14, 0xbeaaaa99
	s_delay_alu instid0(VALU_DEP_1) | instskip(NEXT) | instid1(VALU_DEP_1)
	v_mul_f32_e64 v14, |v5|, v14
	v_fma_f32 v13, v13, v14, |v5|
	s_branch .LBB160_40
.LBB160_57:
	s_endpgm
	.section	.rodata,"a",@progbits
	.p2align	6, 0x0
	.amdhsa_kernel _ZN2at6native12_GLOBAL__N_125multi_tensor_apply_kernelINS1_18TensorListMetadataILi1EEENS1_14UnaryOpFunctorIfLi1ELi1ELi0EEEJNS0_4TanhIfEEEEEvT_T0_DpT1_
		.amdhsa_group_segment_fixed_size 0
		.amdhsa_private_segment_fixed_size 0
		.amdhsa_kernarg_size 3632
		.amdhsa_user_sgpr_count 2
		.amdhsa_user_sgpr_dispatch_ptr 0
		.amdhsa_user_sgpr_queue_ptr 0
		.amdhsa_user_sgpr_kernarg_segment_ptr 1
		.amdhsa_user_sgpr_dispatch_id 0
		.amdhsa_user_sgpr_kernarg_preload_length 0
		.amdhsa_user_sgpr_kernarg_preload_offset 0
		.amdhsa_user_sgpr_private_segment_size 0
		.amdhsa_wavefront_size32 1
		.amdhsa_uses_dynamic_stack 0
		.amdhsa_enable_private_segment 0
		.amdhsa_system_sgpr_workgroup_id_x 1
		.amdhsa_system_sgpr_workgroup_id_y 0
		.amdhsa_system_sgpr_workgroup_id_z 0
		.amdhsa_system_sgpr_workgroup_info 0
		.amdhsa_system_vgpr_workitem_id 0
		.amdhsa_next_free_vgpr 31
		.amdhsa_next_free_sgpr 24
		.amdhsa_named_barrier_count 0
		.amdhsa_reserve_vcc 1
		.amdhsa_float_round_mode_32 0
		.amdhsa_float_round_mode_16_64 0
		.amdhsa_float_denorm_mode_32 3
		.amdhsa_float_denorm_mode_16_64 3
		.amdhsa_fp16_overflow 0
		.amdhsa_memory_ordered 1
		.amdhsa_forward_progress 1
		.amdhsa_inst_pref_size 24
		.amdhsa_round_robin_scheduling 0
		.amdhsa_exception_fp_ieee_invalid_op 0
		.amdhsa_exception_fp_denorm_src 0
		.amdhsa_exception_fp_ieee_div_zero 0
		.amdhsa_exception_fp_ieee_overflow 0
		.amdhsa_exception_fp_ieee_underflow 0
		.amdhsa_exception_fp_ieee_inexact 0
		.amdhsa_exception_int_div_zero 0
	.end_amdhsa_kernel
	.section	.text._ZN2at6native12_GLOBAL__N_125multi_tensor_apply_kernelINS1_18TensorListMetadataILi1EEENS1_14UnaryOpFunctorIfLi1ELi1ELi0EEEJNS0_4TanhIfEEEEEvT_T0_DpT1_,"axG",@progbits,_ZN2at6native12_GLOBAL__N_125multi_tensor_apply_kernelINS1_18TensorListMetadataILi1EEENS1_14UnaryOpFunctorIfLi1ELi1ELi0EEEJNS0_4TanhIfEEEEEvT_T0_DpT1_,comdat
.Lfunc_end160:
	.size	_ZN2at6native12_GLOBAL__N_125multi_tensor_apply_kernelINS1_18TensorListMetadataILi1EEENS1_14UnaryOpFunctorIfLi1ELi1ELi0EEEJNS0_4TanhIfEEEEEvT_T0_DpT1_, .Lfunc_end160-_ZN2at6native12_GLOBAL__N_125multi_tensor_apply_kernelINS1_18TensorListMetadataILi1EEENS1_14UnaryOpFunctorIfLi1ELi1ELi0EEEJNS0_4TanhIfEEEEEvT_T0_DpT1_
                                        ; -- End function
	.set _ZN2at6native12_GLOBAL__N_125multi_tensor_apply_kernelINS1_18TensorListMetadataILi1EEENS1_14UnaryOpFunctorIfLi1ELi1ELi0EEEJNS0_4TanhIfEEEEEvT_T0_DpT1_.num_vgpr, 31
	.set _ZN2at6native12_GLOBAL__N_125multi_tensor_apply_kernelINS1_18TensorListMetadataILi1EEENS1_14UnaryOpFunctorIfLi1ELi1ELi0EEEJNS0_4TanhIfEEEEEvT_T0_DpT1_.num_agpr, 0
	.set _ZN2at6native12_GLOBAL__N_125multi_tensor_apply_kernelINS1_18TensorListMetadataILi1EEENS1_14UnaryOpFunctorIfLi1ELi1ELi0EEEJNS0_4TanhIfEEEEEvT_T0_DpT1_.numbered_sgpr, 24
	.set _ZN2at6native12_GLOBAL__N_125multi_tensor_apply_kernelINS1_18TensorListMetadataILi1EEENS1_14UnaryOpFunctorIfLi1ELi1ELi0EEEJNS0_4TanhIfEEEEEvT_T0_DpT1_.num_named_barrier, 0
	.set _ZN2at6native12_GLOBAL__N_125multi_tensor_apply_kernelINS1_18TensorListMetadataILi1EEENS1_14UnaryOpFunctorIfLi1ELi1ELi0EEEJNS0_4TanhIfEEEEEvT_T0_DpT1_.private_seg_size, 0
	.set _ZN2at6native12_GLOBAL__N_125multi_tensor_apply_kernelINS1_18TensorListMetadataILi1EEENS1_14UnaryOpFunctorIfLi1ELi1ELi0EEEJNS0_4TanhIfEEEEEvT_T0_DpT1_.uses_vcc, 1
	.set _ZN2at6native12_GLOBAL__N_125multi_tensor_apply_kernelINS1_18TensorListMetadataILi1EEENS1_14UnaryOpFunctorIfLi1ELi1ELi0EEEJNS0_4TanhIfEEEEEvT_T0_DpT1_.uses_flat_scratch, 0
	.set _ZN2at6native12_GLOBAL__N_125multi_tensor_apply_kernelINS1_18TensorListMetadataILi1EEENS1_14UnaryOpFunctorIfLi1ELi1ELi0EEEJNS0_4TanhIfEEEEEvT_T0_DpT1_.has_dyn_sized_stack, 0
	.set _ZN2at6native12_GLOBAL__N_125multi_tensor_apply_kernelINS1_18TensorListMetadataILi1EEENS1_14UnaryOpFunctorIfLi1ELi1ELi0EEEJNS0_4TanhIfEEEEEvT_T0_DpT1_.has_recursion, 0
	.set _ZN2at6native12_GLOBAL__N_125multi_tensor_apply_kernelINS1_18TensorListMetadataILi1EEENS1_14UnaryOpFunctorIfLi1ELi1ELi0EEEJNS0_4TanhIfEEEEEvT_T0_DpT1_.has_indirect_call, 0
	.section	.AMDGPU.csdata,"",@progbits
; Kernel info:
; codeLenInByte = 3044
; TotalNumSgprs: 26
; NumVgprs: 31
; ScratchSize: 0
; MemoryBound: 0
; FloatMode: 240
; IeeeMode: 1
; LDSByteSize: 0 bytes/workgroup (compile time only)
; SGPRBlocks: 0
; VGPRBlocks: 1
; NumSGPRsForWavesPerEU: 26
; NumVGPRsForWavesPerEU: 31
; NamedBarCnt: 0
; Occupancy: 16
; WaveLimiterHint : 0
; COMPUTE_PGM_RSRC2:SCRATCH_EN: 0
; COMPUTE_PGM_RSRC2:USER_SGPR: 2
; COMPUTE_PGM_RSRC2:TRAP_HANDLER: 0
; COMPUTE_PGM_RSRC2:TGID_X_EN: 1
; COMPUTE_PGM_RSRC2:TGID_Y_EN: 0
; COMPUTE_PGM_RSRC2:TGID_Z_EN: 0
; COMPUTE_PGM_RSRC2:TIDIG_COMP_CNT: 0
	.section	.text._ZN2at6native12_GLOBAL__N_125multi_tensor_apply_kernelINS1_18TensorListMetadataILi1EEENS1_14UnaryOpFunctorIN3c107complexIdEELi1ELi1ELi0EEEJNS0_4TanhIS8_EEEEEvT_T0_DpT1_,"axG",@progbits,_ZN2at6native12_GLOBAL__N_125multi_tensor_apply_kernelINS1_18TensorListMetadataILi1EEENS1_14UnaryOpFunctorIN3c107complexIdEELi1ELi1ELi0EEEJNS0_4TanhIS8_EEEEEvT_T0_DpT1_,comdat
	.globl	_ZN2at6native12_GLOBAL__N_125multi_tensor_apply_kernelINS1_18TensorListMetadataILi1EEENS1_14UnaryOpFunctorIN3c107complexIdEELi1ELi1ELi0EEEJNS0_4TanhIS8_EEEEEvT_T0_DpT1_ ; -- Begin function _ZN2at6native12_GLOBAL__N_125multi_tensor_apply_kernelINS1_18TensorListMetadataILi1EEENS1_14UnaryOpFunctorIN3c107complexIdEELi1ELi1ELi0EEEJNS0_4TanhIS8_EEEEEvT_T0_DpT1_
	.p2align	8
	.type	_ZN2at6native12_GLOBAL__N_125multi_tensor_apply_kernelINS1_18TensorListMetadataILi1EEENS1_14UnaryOpFunctorIN3c107complexIdEELi1ELi1ELi0EEEJNS0_4TanhIS8_EEEEEvT_T0_DpT1_,@function
_ZN2at6native12_GLOBAL__N_125multi_tensor_apply_kernelINS1_18TensorListMetadataILi1EEENS1_14UnaryOpFunctorIN3c107complexIdEELi1ELi1ELi0EEEJNS0_4TanhIS8_EEEEEvT_T0_DpT1_: ; @_ZN2at6native12_GLOBAL__N_125multi_tensor_apply_kernelINS1_18TensorListMetadataILi1EEENS1_14UnaryOpFunctorIN3c107complexIdEELi1ELi1ELi0EEEJNS0_4TanhIS8_EEEEEvT_T0_DpT1_
; %bb.0:
	s_bfe_u32 s2, ttmp6, 0x4000c
	s_and_b32 s3, ttmp6, 15
	s_add_co_i32 s2, s2, 1
	s_getreg_b32 s4, hwreg(HW_REG_IB_STS2, 6, 4)
	s_mul_i32 s2, ttmp9, s2
	s_delay_alu instid0(SALU_CYCLE_1)
	s_add_co_i32 s3, s3, s2
	s_cmp_eq_u32 s4, 0
	s_cselect_b32 s2, ttmp9, s3
	s_mov_b32 s3, 0
	s_load_u8 s10, s[0:1], s2 offset:0x6e0
	s_add_nc_u64 s[4:5], s[0:1], s[2:3]
	s_mul_u64 s[6:7], s[2:3], 3
	s_delay_alu instid0(SALU_CYCLE_1)
	s_add_nc_u64 s[4:5], s[4:5], s[6:7]
	s_load_b32 s6, s[4:5], 0x820
	s_wait_kmcnt 0x0
	s_clause 0x1
	s_load_b64 s[8:9], s[0:1], s10 offset:0x0 scale_offset
	s_load_b64 s[12:13], s[0:1], s10 offset:0x370 scale_offset
	s_ashr_i32 s7, s6, 31
	s_wait_xcnt 0x0
	s_lshl_b64 s[10:11], s[6:7], 20
	s_wait_kmcnt 0x0
	s_and_b32 s2, s12, 3
	s_add_nc_u64 s[14:15], s[8:9], s[10:11]
	s_delay_alu instid0(SALU_CYCLE_1) | instskip(NEXT) | instid1(SALU_CYCLE_1)
	s_and_b64 s[4:5], s[14:15], 63
	s_or_b64 s[2:3], s[4:5], s[2:3]
	s_lshl_b64 s[4:5], s[6:7], 16
	s_cmp_eq_u64 s[2:3], 0
	s_sub_nc_u64 s[12:13], s[12:13], s[4:5]
	s_cbranch_scc1 .LBB161_173
; %bb.1:
	v_cmp_lt_i64_e64 s2, s[12:13], 1
	s_and_b32 vcc_lo, exec_lo, s2
	s_cbranch_vccnz .LBB161_172
; %bb.2:
	s_load_b32 s2, s[0:1], 0xd3c
	v_min_i64 v[18:19], 0x10000, s[12:13]
	v_min_u64 v[22:23], 0x10000, s[12:13]
	v_dual_mov_b32 v20, 0 :: v_dual_lshlrev_b32 v24, 4, v0
	s_mov_b32 s3, 0
	v_mov_b64_e32 v[26:27], 0xbf078809a9a29f71
	s_mov_b32 s5, s3
	s_delay_alu instid0(VALU_DEP_2)
	v_dual_mov_b32 v25, v20 :: v_dual_mov_b32 v1, v20
	s_mov_b32 s7, s3
	v_mov_b64_e32 v[28:29], 0x3e928af3fca7ab0c
	v_mov_b64_e32 v[42:43], 0x3e21eeb69037ab78
	;; [unrolled: 1-line block ×3, first 2 shown]
	s_mov_b64 s[16:17], 0x3ff921fb54442d18
	s_mov_b64 s[18:19], 0x3fe45f306dc9c883
	;; [unrolled: 1-line block ×4, first 2 shown]
	s_mov_b32 s25, s3
	s_mov_b64 s[28:29], 0x408633ce8fb9f87e
	s_wait_kmcnt 0x0
	s_and_b32 s2, s2, 0xffff
	s_mov_b64 s[30:31], 0xbff71547652b82fe
	v_mad_nc_u64_u32 v[30:31], s2, 48, v[24:25]
	s_lshl_b32 s4, s2, 1
	s_mul_i32 s6, s2, 3
	v_add_nc_u64_e32 v[32:33], s[2:3], v[0:1]
	s_lshl_b32 s24, s2, 2
	s_lshl_b32 s26, s2, 6
	;; [unrolled: 1-line block ×3, first 2 shown]
	v_add_nc_u64_e32 v[34:35], s[6:7], v[0:1]
	v_add_nc_u64_e32 v[36:37], s[2:3], v[24:25]
	;; [unrolled: 1-line block ×3, first 2 shown]
	v_dual_lshlrev_b32 v40, 4, v32 :: v_dual_bitop2_b32 v30, 8, v30 bitop3:0x54
	v_mov_b32_e32 v41, v20
	s_mov_b32 s27, s3
	s_mov_b64 s[34:35], 0
	s_delay_alu instid0(VALU_DEP_4)
	v_or_b32_e32 v36, 8, v36
	s_mov_b32 s33, 0x3ff00000
                                        ; implicit-def: $vgpr2_vgpr3
                                        ; implicit-def: $vgpr2_vgpr3
	;; [unrolled: 1-line block ×27, first 2 shown]
	s_branch .LBB161_4
.LBB161_3:                              ;   in Loop: Header=BB161_4 Depth=1
	s_wait_xcnt 0x0
	s_or_b32 exec_lo, exec_lo, s2
	s_add_nc_u64 s[34:35], s[34:35], s[24:25]
	s_add_nc_u64 s[14:15], s[14:15], s[26:27]
	v_cmp_ge_i64_e32 vcc_lo, s[34:35], v[18:19]
	s_cbranch_vccnz .LBB161_172
.LBB161_4:                              ; =>This Inner Loop Header: Depth=1
	v_add_nc_u64_e32 v[2:3], s[34:35], v[0:1]
	v_mov_b64_e32 v[4:5], 0
	v_add_nc_u64_e32 v[46:47], s[14:15], v[24:25]
	v_mov_b64_e32 v[8:9], 0
	v_mov_b64_e32 v[6:7], 0
	v_cmp_lt_u64_e64 s2, v[2:3], v[22:23]
	s_and_saveexec_b32 s3, s2
	s_cbranch_execz .LBB161_6
; %bb.5:                                ;   in Loop: Header=BB161_4 Depth=1
	global_load_b128 v[6:9], v[46:47], off
.LBB161_6:                              ;   in Loop: Header=BB161_4 Depth=1
	s_wait_xcnt 0x0
	s_or_b32 exec_lo, exec_lo, s3
	v_add_nc_u64_e32 v[2:3], s[34:35], v[32:33]
	v_add_nc_u64_e32 v[48:49], s[14:15], v[40:41]
	s_delay_alu instid0(VALU_DEP_2)
	v_cmp_lt_u64_e64 s3, v[2:3], v[22:23]
	v_mov_b64_e32 v[2:3], 0
	s_and_saveexec_b32 s4, s3
	s_cbranch_execz .LBB161_8
; %bb.7:                                ;   in Loop: Header=BB161_4 Depth=1
	global_load_b128 v[2:5], v[48:49], off
.LBB161_8:                              ;   in Loop: Header=BB161_4 Depth=1
	s_wait_xcnt 0x0
	s_or_b32 exec_lo, exec_lo, s4
	v_add_nc_u64_e32 v[10:11], s[34:35], v[38:39]
	v_mov_b64_e32 v[12:13], 0
	v_add_nc_u64_e32 v[50:51], s[14:15], v[36:37]
	v_mov_b64_e32 v[16:17], 0
	v_mov_b64_e32 v[14:15], 0
	v_cmp_lt_u64_e64 s4, v[10:11], v[22:23]
	s_and_saveexec_b32 s5, s4
	s_cbranch_execz .LBB161_10
; %bb.9:                                ;   in Loop: Header=BB161_4 Depth=1
	global_load_b128 v[14:17], v[50:51], off offset:-8
.LBB161_10:                             ;   in Loop: Header=BB161_4 Depth=1
	s_wait_xcnt 0x0
	s_or_b32 exec_lo, exec_lo, s5
	v_add_nc_u64_e32 v[10:11], s[34:35], v[34:35]
	v_add_nc_u64_e32 v[52:53], s[14:15], v[30:31]
	s_delay_alu instid0(VALU_DEP_2)
	v_cmp_lt_u64_e64 s5, v[10:11], v[22:23]
	v_mov_b64_e32 v[10:11], 0
	s_and_saveexec_b32 s6, s5
	s_cbranch_execz .LBB161_12
; %bb.11:                               ;   in Loop: Header=BB161_4 Depth=1
	global_load_b128 v[10:13], v[52:53], off offset:-8
.LBB161_12:                             ;   in Loop: Header=BB161_4 Depth=1
	s_wait_xcnt 0x0
	s_or_b32 exec_lo, exec_lo, s6
	s_wait_loadcnt 0x0
	v_and_b32_e32 v58, 0x7fffffff, v7
	s_mov_b32 s6, exec_lo
	s_delay_alu instid0(VALU_DEP_1)
	v_cmpx_gt_u32_e32 0x7ff00000, v58
	s_xor_b32 s7, exec_lo, s6
	s_cbranch_execz .LBB161_34
; %bb.13:                               ;   in Loop: Header=BB161_4 Depth=1
	v_cmp_class_f64_e64 s6, v[8:9], 0x1f8
	s_and_saveexec_b32 s36, s6
	s_delay_alu instid0(SALU_CYCLE_1)
	s_xor_b32 s36, exec_lo, s36
	s_cbranch_execz .LBB161_31
; %bb.14:                               ;   in Loop: Header=BB161_4 Depth=1
	s_mov_b32 s6, exec_lo
	v_cmpx_gt_u32_e32 0x40360000, v58
	s_xor_b32 s37, exec_lo, s6
	s_cbranch_execz .LBB161_20
; %bb.15:                               ;   in Loop: Header=BB161_4 Depth=1
	v_cmp_ngt_f64_e64 s6, 0x41d00000, |v[8:9]|
                                        ; implicit-def: $vgpr59
                                        ; implicit-def: $vgpr54_vgpr55
                                        ; implicit-def: $vgpr56_vgpr57
	s_and_saveexec_b32 s38, s6
	s_delay_alu instid0(SALU_CYCLE_1)
	s_xor_b32 s6, exec_lo, s38
	s_cbranch_execz .LBB161_17
; %bb.16:                               ;   in Loop: Header=BB161_4 Depth=1
	v_ldexp_f64 v[54:55], |v[8:9]|, 0xffffff80
	v_cmp_le_f64_e64 vcc_lo, 0x7b000000, |v[8:9]|
	v_trig_preop_f64 v[56:57], |v[8:9]|, 0
	v_and_b32_e32 v21, 0x7fffffff, v9
	v_trig_preop_f64 v[60:61], |v[8:9]|, 1
	v_trig_preop_f64 v[70:71], |v[8:9]|, 2
	s_delay_alu instid0(VALU_DEP_3) | instskip(NEXT) | instid1(VALU_DEP_1)
	v_dual_cndmask_b32 v55, v21, v55 :: v_dual_cndmask_b32 v54, v8, v54
	v_mul_f64_e32 v[62:63], v[56:57], v[54:55]
	s_delay_alu instid0(VALU_DEP_4) | instskip(NEXT) | instid1(VALU_DEP_4)
	v_mul_f64_e32 v[64:65], v[60:61], v[54:55]
	v_mul_f64_e32 v[76:77], v[70:71], v[54:55]
	s_delay_alu instid0(VALU_DEP_3) | instskip(NEXT) | instid1(VALU_DEP_3)
	v_fma_f64 v[56:57], v[56:57], v[54:55], -v[62:63]
	v_fma_f64 v[60:61], v[60:61], v[54:55], -v[64:65]
	s_delay_alu instid0(VALU_DEP_3) | instskip(NEXT) | instid1(VALU_DEP_3)
	v_fma_f64 v[54:55], v[70:71], v[54:55], -v[76:77]
	v_add_f64_e32 v[66:67], v[64:65], v[56:57]
	s_delay_alu instid0(VALU_DEP_1) | instskip(SKIP_1) | instid1(VALU_DEP_2)
	v_add_f64_e64 v[68:69], v[66:67], -v[64:65]
	v_add_f64_e32 v[74:75], v[62:63], v[66:67]
	v_add_f64_e64 v[72:73], v[66:67], -v[68:69]
	v_add_f64_e64 v[56:57], v[56:57], -v[68:69]
	s_delay_alu instid0(VALU_DEP_3) | instskip(NEXT) | instid1(VALU_DEP_3)
	v_ldexp_f64 v[68:69], v[74:75], -2
	v_add_f64_e64 v[64:65], v[64:65], -v[72:73]
	v_add_f64_e32 v[72:73], v[76:77], v[60:61]
	s_delay_alu instid0(VALU_DEP_3) | instskip(NEXT) | instid1(VALU_DEP_3)
	v_cmp_neq_f64_e64 vcc_lo, 0x7ff00000, |v[68:69]|
	v_add_f64_e32 v[56:57], v[56:57], v[64:65]
	v_fract_f64_e32 v[64:65], v[68:69]
	s_delay_alu instid0(VALU_DEP_1) | instskip(NEXT) | instid1(VALU_DEP_1)
	v_ldexp_f64 v[64:65], v[64:65], 2
	v_dual_add_f64 v[62:63], v[74:75], -v[62:63] :: v_dual_cndmask_b32 v65, 0, v65, vcc_lo
	s_delay_alu instid0(VALU_DEP_1) | instskip(SKIP_1) | instid1(VALU_DEP_1)
	v_dual_add_f64 v[62:63], v[66:67], -v[62:63] :: v_dual_cndmask_b32 v64, 0, v64, vcc_lo
	v_add_f64_e32 v[66:67], v[72:73], v[56:57]
	v_add_f64_e32 v[68:69], v[62:63], v[66:67]
	v_add_f64_e64 v[78:79], v[66:67], -v[72:73]
	s_delay_alu instid0(VALU_DEP_2) | instskip(NEXT) | instid1(VALU_DEP_2)
	v_add_f64_e32 v[74:75], v[68:69], v[64:65]
	v_add_f64_e64 v[84:85], v[66:67], -v[78:79]
	v_add_f64_e64 v[56:57], v[56:57], -v[78:79]
	v_add_f64_e64 v[62:63], v[68:69], -v[62:63]
	s_delay_alu instid0(VALU_DEP_4) | instskip(SKIP_1) | instid1(VALU_DEP_3)
	v_cmp_gt_f64_e32 vcc_lo, 0, v[74:75]
	v_add_f64_e64 v[74:75], v[72:73], -v[76:77]
	v_add_f64_e64 v[62:63], v[66:67], -v[62:63]
	v_cndmask_b32_e64 v21, 0, 0x40100000, vcc_lo
	s_delay_alu instid0(VALU_DEP_3) | instskip(SKIP_2) | instid1(VALU_DEP_4)
	v_add_f64_e64 v[82:83], v[72:73], -v[74:75]
	v_add_f64_e64 v[60:61], v[60:61], -v[74:75]
	;; [unrolled: 1-line block ×3, first 2 shown]
	v_add_f64_e32 v[64:65], v[64:65], v[20:21]
	s_delay_alu instid0(VALU_DEP_4) | instskip(NEXT) | instid1(VALU_DEP_3)
	v_add_f64_e64 v[74:75], v[76:77], -v[82:83]
	v_add_f64_e32 v[56:57], v[56:57], v[72:73]
	s_delay_alu instid0(VALU_DEP_3) | instskip(NEXT) | instid1(VALU_DEP_3)
	v_add_f64_e32 v[80:81], v[68:69], v[64:65]
	v_add_f64_e32 v[60:61], v[60:61], v[74:75]
	s_delay_alu instid0(VALU_DEP_2) | instskip(NEXT) | instid1(VALU_DEP_2)
	v_cvt_i32_f64_e32 v21, v[80:81]
	v_add_f64_e32 v[56:57], v[60:61], v[56:57]
	s_delay_alu instid0(VALU_DEP_2) | instskip(NEXT) | instid1(VALU_DEP_2)
	v_cvt_f64_i32_e32 v[78:79], v21
	v_add_f64_e32 v[54:55], v[54:55], v[56:57]
	s_delay_alu instid0(VALU_DEP_2) | instskip(NEXT) | instid1(VALU_DEP_2)
	v_add_f64_e64 v[64:65], v[64:65], -v[78:79]
	v_add_f64_e32 v[54:55], v[62:63], v[54:55]
	s_delay_alu instid0(VALU_DEP_2) | instskip(NEXT) | instid1(VALU_DEP_1)
	v_add_f64_e32 v[60:61], v[68:69], v[64:65]
	v_add_f64_e64 v[56:57], v[60:61], -v[64:65]
	v_cmp_le_f64_e32 vcc_lo, 0.5, v[60:61]
	s_delay_alu instid0(VALU_DEP_2) | instskip(SKIP_2) | instid1(VALU_DEP_3)
	v_add_f64_e64 v[56:57], v[68:69], -v[56:57]
	v_add_co_ci_u32_e64 v59, null, 0, v21, vcc_lo
	v_cndmask_b32_e64 v21, 0, 0x3ff00000, vcc_lo
	v_add_f64_e32 v[54:55], v[54:55], v[56:57]
	s_delay_alu instid0(VALU_DEP_2) | instskip(NEXT) | instid1(VALU_DEP_1)
	v_add_f64_e64 v[56:57], v[60:61], -v[20:21]
	v_add_f64_e32 v[60:61], v[56:57], v[54:55]
	s_delay_alu instid0(VALU_DEP_1) | instskip(SKIP_1) | instid1(VALU_DEP_2)
	v_mul_f64_e32 v[62:63], 0x3ff921fb54442d18, v[60:61]
	v_add_f64_e64 v[56:57], v[60:61], -v[56:57]
	v_fma_f64 v[64:65], v[60:61], s[16:17], -v[62:63]
	s_delay_alu instid0(VALU_DEP_2) | instskip(NEXT) | instid1(VALU_DEP_2)
	v_add_f64_e64 v[54:55], v[54:55], -v[56:57]
	v_fmac_f64_e32 v[64:65], 0x3c91a62633145c07, v[60:61]
	s_delay_alu instid0(VALU_DEP_1) | instskip(NEXT) | instid1(VALU_DEP_1)
	v_fmac_f64_e32 v[64:65], 0x3ff921fb54442d18, v[54:55]
	v_add_f64_e32 v[54:55], v[62:63], v[64:65]
	s_delay_alu instid0(VALU_DEP_1) | instskip(NEXT) | instid1(VALU_DEP_1)
	v_add_f64_e64 v[56:57], v[54:55], -v[62:63]
	v_add_f64_e64 v[56:57], v[64:65], -v[56:57]
.LBB161_17:                             ;   in Loop: Header=BB161_4 Depth=1
	s_and_not1_saveexec_b32 s6, s6
	s_cbranch_execz .LBB161_19
; %bb.18:                               ;   in Loop: Header=BB161_4 Depth=1
	v_mul_f64_e64 v[54:55], |v[8:9]|, s[18:19]
	s_delay_alu instid0(VALU_DEP_1) | instskip(NEXT) | instid1(VALU_DEP_1)
	v_rndne_f64_e32 v[60:61], v[54:55]
	v_fma_f64 v[54:55], v[60:61], s[20:21], |v[8:9]|
	v_mul_f64_e32 v[56:57], 0xbc91a62633145c00, v[60:61]
	v_cvt_i32_f64_e32 v59, v[60:61]
	s_delay_alu instid0(VALU_DEP_3) | instskip(NEXT) | instid1(VALU_DEP_3)
	v_fmamk_f64 v[66:67], v[60:61], 0xbc91a62633145c00, v[54:55]
	v_add_f64_e32 v[62:63], v[54:55], v[56:57]
	s_delay_alu instid0(VALU_DEP_1) | instskip(NEXT) | instid1(VALU_DEP_3)
	v_add_f64_e64 v[64:65], v[54:55], -v[62:63]
	v_add_f64_e64 v[54:55], v[62:63], -v[66:67]
	s_delay_alu instid0(VALU_DEP_2) | instskip(SKIP_1) | instid1(VALU_DEP_2)
	v_add_f64_e32 v[62:63], v[64:65], v[56:57]
	v_fmamk_f64 v[56:57], v[60:61], 0x3c91a62633145c00, v[56:57]
	v_add_f64_e32 v[54:55], v[54:55], v[62:63]
	s_delay_alu instid0(VALU_DEP_1) | instskip(NEXT) | instid1(VALU_DEP_1)
	v_add_f64_e64 v[56:57], v[54:55], -v[56:57]
	v_fmac_f64_e32 v[56:57], 0xb97b839a252049c0, v[60:61]
	s_delay_alu instid0(VALU_DEP_1) | instskip(NEXT) | instid1(VALU_DEP_1)
	v_add_f64_e32 v[54:55], v[66:67], v[56:57]
	v_add_f64_e64 v[62:63], v[54:55], -v[66:67]
	s_delay_alu instid0(VALU_DEP_1)
	v_add_f64_e64 v[56:57], v[56:57], -v[62:63]
.LBB161_19:                             ;   in Loop: Header=BB161_4 Depth=1
	s_or_b32 exec_lo, exec_lo, s6
	v_add_f64_e64 v[60:61], |v[6:7]|, s[22:23]
	v_cmp_nge_f64_e64 vcc_lo, |v[6:7]|, s[28:29]
	v_mul_f64_e32 v[78:79], v[54:55], v[54:55]
	s_delay_alu instid0(VALU_DEP_4) | instskip(NEXT) | instid1(VALU_DEP_4)
	v_add_f64_e32 v[80:81], v[56:57], v[56:57]
	v_add_f64_e64 v[62:63], v[60:61], -|v[6:7]|
	s_delay_alu instid0(VALU_DEP_3) | instskip(NEXT) | instid1(VALU_DEP_2)
	v_fma_f64 v[82:83], v[54:55], v[54:55], -v[78:79]
	v_add_f64_e64 v[64:65], v[62:63], -v[60:61]
	v_add_f64_e32 v[62:63], 0x3fe62e42fefa39ef, v[62:63]
	s_delay_alu instid0(VALU_DEP_3) | instskip(NEXT) | instid1(VALU_DEP_3)
	v_fmac_f64_e32 v[82:83], v[54:55], v[80:81]
	v_add_f64_e64 v[64:65], |v[6:7]|, v[64:65]
	s_delay_alu instid0(VALU_DEP_2) | instskip(NEXT) | instid1(VALU_DEP_2)
	v_add_f64_e32 v[78:79], v[78:79], v[82:83]
	v_add_f64_e64 v[62:63], v[64:65], -v[62:63]
	s_delay_alu instid0(VALU_DEP_2) | instskip(NEXT) | instid1(VALU_DEP_1)
	v_fmamk_f64 v[82:83], v[78:79], 0x3ef5e089c751c08c, v[26:27]
	v_fmaak_f64 v[82:83], v[78:79], v[82:83], 0x3f17746f90a8aae0
	s_delay_alu instid0(VALU_DEP_1) | instskip(NEXT) | instid1(VALU_DEP_4)
	v_fmaak_f64 v[82:83], v[78:79], v[82:83], 0xbefbb44da6fbf144
	v_add_f64_e32 v[62:63], 0xbc7abc9e3b39803f, v[62:63]
	s_delay_alu instid0(VALU_DEP_1) | instskip(NEXT) | instid1(VALU_DEP_1)
	v_add_f64_e32 v[64:65], v[60:61], v[62:63]
	v_mul_f64_e32 v[66:67], 0x3ff71547652b82fe, v[64:65]
	v_add_f64_e64 v[60:61], v[60:61], -v[64:65]
	s_delay_alu instid0(VALU_DEP_2) | instskip(NEXT) | instid1(VALU_DEP_2)
	v_rndne_f64_e32 v[66:67], v[66:67]
	v_add_f64_e32 v[60:61], v[62:63], v[60:61]
	s_delay_alu instid0(VALU_DEP_2) | instskip(SKIP_2) | instid1(VALU_DEP_3)
	v_fmac_f64_e32 v[64:65], 0xbfe62e42fefa3000, v[66:67]
	v_mul_f64_e32 v[62:63], 0xbd53de6af278e000, v[66:67]
	v_cvt_i32_f64_e32 v8, v[66:67]
	v_add_f64_e32 v[68:69], v[60:61], v[64:65]
	s_delay_alu instid0(VALU_DEP_1) | instskip(SKIP_1) | instid1(VALU_DEP_2)
	v_add_f64_e32 v[70:71], v[68:69], v[62:63]
	v_add_f64_e64 v[64:65], v[64:65], -v[68:69]
	v_add_f64_e64 v[68:69], v[68:69], -v[70:71]
	s_delay_alu instid0(VALU_DEP_2) | instskip(NEXT) | instid1(VALU_DEP_2)
	v_add_f64_e32 v[60:61], v[60:61], v[64:65]
	v_add_f64_e32 v[62:63], v[68:69], v[62:63]
	s_delay_alu instid0(VALU_DEP_1) | instskip(SKIP_1) | instid1(VALU_DEP_2)
	v_add_f64_e32 v[60:61], v[60:61], v[62:63]
	v_mul_f64_e32 v[62:63], 0xbac9cc01f97b57a0, v[66:67]
	v_add_f64_e32 v[64:65], v[70:71], v[60:61]
	s_delay_alu instid0(VALU_DEP_1) | instskip(SKIP_1) | instid1(VALU_DEP_2)
	v_add_f64_e32 v[68:69], v[64:65], v[62:63]
	v_add_f64_e64 v[70:71], v[70:71], -v[64:65]
	v_add_f64_e64 v[64:65], v[64:65], -v[68:69]
	s_delay_alu instid0(VALU_DEP_2) | instskip(NEXT) | instid1(VALU_DEP_2)
	v_add_f64_e32 v[60:61], v[60:61], v[70:71]
	v_add_f64_e32 v[62:63], v[64:65], v[62:63]
	s_delay_alu instid0(VALU_DEP_1) | instskip(NEXT) | instid1(VALU_DEP_1)
	v_add_f64_e32 v[60:61], v[60:61], v[62:63]
	v_add_f64_e32 v[62:63], v[68:69], v[60:61]
	s_delay_alu instid0(VALU_DEP_1) | instskip(SKIP_1) | instid1(VALU_DEP_2)
	v_add_f64_e64 v[64:65], v[68:69], -v[62:63]
	v_mul_f64_e32 v[68:69], v[62:63], v[62:63]
	v_add_f64_e32 v[60:61], v[60:61], v[64:65]
	s_delay_alu instid0(VALU_DEP_2) | instskip(NEXT) | instid1(VALU_DEP_2)
	v_fma_f64 v[64:65], v[62:63], v[62:63], -v[68:69]
	v_add_f64_e32 v[70:71], v[60:61], v[60:61]
	s_delay_alu instid0(VALU_DEP_1) | instskip(SKIP_1) | instid1(VALU_DEP_1)
	v_fmac_f64_e32 v[64:65], v[62:63], v[70:71]
	v_fmamk_f64 v[70:71], v[62:63], 0x3e5ade156a5dcb37, v[28:29]
	v_fmaak_f64 v[70:71], v[62:63], v[70:71], 0x3ec71dee623fde64
	s_delay_alu instid0(VALU_DEP_1) | instskip(NEXT) | instid1(VALU_DEP_1)
	v_fmaak_f64 v[70:71], v[62:63], v[70:71], 0x3efa01997c89e6b0
	v_fmaak_f64 v[70:71], v[62:63], v[70:71], 0x3f2a01a014761f6e
	s_delay_alu instid0(VALU_DEP_1) | instskip(SKIP_1) | instid1(VALU_DEP_2)
	v_fmaak_f64 v[70:71], v[62:63], v[70:71], 0x3f56c16c1852b7b0
	v_add_f64_e32 v[72:73], v[68:69], v[64:65]
	v_fmaak_f64 v[70:71], v[62:63], v[70:71], 0x3f81111111122322
	s_delay_alu instid0(VALU_DEP_1) | instskip(NEXT) | instid1(VALU_DEP_1)
	v_fmaak_f64 v[70:71], v[62:63], v[70:71], 0x3fa55555555502a1
	v_fmaak_f64 v[70:71], v[62:63], v[70:71], 0x3fc5555555555511
	s_delay_alu instid0(VALU_DEP_1) | instskip(SKIP_1) | instid1(VALU_DEP_2)
	v_fmaak_f64 v[70:71], v[62:63], v[70:71], 0x3fe000000000000b
	v_add_f64_e64 v[68:69], v[72:73], -v[68:69]
	v_mul_f64_e32 v[74:75], v[72:73], v[70:71]
	s_delay_alu instid0(VALU_DEP_2) | instskip(NEXT) | instid1(VALU_DEP_2)
	v_add_f64_e64 v[64:65], v[64:65], -v[68:69]
	v_fma_f64 v[68:69], v[72:73], v[70:71], -v[74:75]
	s_delay_alu instid0(VALU_DEP_1) | instskip(NEXT) | instid1(VALU_DEP_1)
	v_fmac_f64_e32 v[68:69], v[64:65], v[70:71]
	v_add_f64_e32 v[64:65], v[74:75], v[68:69]
	s_delay_alu instid0(VALU_DEP_1) | instskip(SKIP_1) | instid1(VALU_DEP_2)
	v_add_f64_e32 v[70:71], v[62:63], v[64:65]
	v_add_f64_e64 v[72:73], v[64:65], -v[74:75]
	v_add_f64_e64 v[62:63], v[70:71], -v[62:63]
	s_delay_alu instid0(VALU_DEP_2) | instskip(NEXT) | instid1(VALU_DEP_2)
	v_add_f64_e64 v[68:69], v[68:69], -v[72:73]
	v_add_f64_e64 v[62:63], v[64:65], -v[62:63]
	s_delay_alu instid0(VALU_DEP_2) | instskip(NEXT) | instid1(VALU_DEP_1)
	v_add_f64_e32 v[60:61], v[60:61], v[68:69]
	v_add_f64_e32 v[60:61], v[60:61], v[62:63]
	s_delay_alu instid0(VALU_DEP_1) | instskip(NEXT) | instid1(VALU_DEP_1)
	v_add_f64_e32 v[62:63], v[70:71], v[60:61]
	v_add_f64_e32 v[64:65], 1.0, v[62:63]
	v_add_f64_e64 v[68:69], v[62:63], -v[70:71]
	s_delay_alu instid0(VALU_DEP_2) | instskip(NEXT) | instid1(VALU_DEP_2)
	v_add_f64_e32 v[70:71], -1.0, v[64:65]
	v_add_f64_e64 v[60:61], v[60:61], -v[68:69]
	s_delay_alu instid0(VALU_DEP_2) | instskip(NEXT) | instid1(VALU_DEP_1)
	v_add_f64_e64 v[62:63], v[62:63], -v[70:71]
	v_add_f64_e32 v[60:61], v[60:61], v[62:63]
	s_delay_alu instid0(VALU_DEP_1) | instskip(NEXT) | instid1(VALU_DEP_1)
	v_add_f64_e32 v[62:63], v[64:65], v[60:61]
	v_ldexp_f64 v[66:67], v[62:63], v8
	v_add_f64_e64 v[62:63], v[62:63], -v[64:65]
	s_delay_alu instid0(VALU_DEP_2) | instskip(NEXT) | instid1(VALU_DEP_1)
	v_rcp_f64_e32 v[68:69], v[66:67]
	v_add_f64_e64 v[60:61], v[60:61], -v[62:63]
	s_delay_alu instid0(VALU_DEP_1) | instskip(NEXT) | instid1(TRANS32_DEP_1)
	v_ldexp_f64 v[60:61], v[60:61], v8
	v_fma_f64 v[70:71], -v[66:67], v[68:69], 1.0
	s_delay_alu instid0(VALU_DEP_1) | instskip(NEXT) | instid1(VALU_DEP_1)
	v_fmac_f64_e32 v[68:69], v[70:71], v[68:69]
	v_fma_f64 v[70:71], -v[66:67], v[68:69], 1.0
	s_delay_alu instid0(VALU_DEP_1) | instskip(NEXT) | instid1(VALU_DEP_1)
	v_fmac_f64_e32 v[68:69], v[70:71], v[68:69]
	v_mul_f64_e32 v[62:63], v[66:67], v[68:69]
	s_delay_alu instid0(VALU_DEP_1) | instskip(NEXT) | instid1(VALU_DEP_1)
	v_fma_f64 v[64:65], v[68:69], v[66:67], -v[62:63]
	v_fmac_f64_e32 v[64:65], v[68:69], v[60:61]
	s_delay_alu instid0(VALU_DEP_1) | instskip(NEXT) | instid1(VALU_DEP_1)
	v_add_f64_e32 v[70:71], v[62:63], v[64:65]
	v_add_f64_e64 v[72:73], -v[70:71], 1.0
	v_add_f64_e64 v[62:63], v[70:71], -v[62:63]
	s_delay_alu instid0(VALU_DEP_2) | instskip(NEXT) | instid1(VALU_DEP_2)
	v_add_f64_e64 v[74:75], -v[72:73], 1.0
	v_add_f64_e64 v[62:63], v[62:63], -v[64:65]
	s_delay_alu instid0(VALU_DEP_2) | instskip(NEXT) | instid1(VALU_DEP_1)
	v_add_f64_e64 v[64:65], v[74:75], -v[70:71]
	v_add_f64_e32 v[62:63], v[62:63], v[64:65]
	s_delay_alu instid0(VALU_DEP_1) | instskip(NEXT) | instid1(VALU_DEP_1)
	v_add_f64_e32 v[64:65], v[72:73], v[62:63]
	v_mul_f64_e32 v[70:71], v[68:69], v[64:65]
	v_add_f64_e64 v[72:73], v[72:73], -v[64:65]
	s_delay_alu instid0(VALU_DEP_2) | instskip(NEXT) | instid1(VALU_DEP_2)
	v_mul_f64_e32 v[74:75], v[66:67], v[70:71]
	v_add_f64_e32 v[62:63], v[62:63], v[72:73]
	s_delay_alu instid0(VALU_DEP_2) | instskip(NEXT) | instid1(VALU_DEP_1)
	v_fma_f64 v[76:77], v[70:71], v[66:67], -v[74:75]
	v_fmac_f64_e32 v[76:77], v[70:71], v[60:61]
	s_delay_alu instid0(VALU_DEP_1) | instskip(NEXT) | instid1(VALU_DEP_1)
	v_add_f64_e32 v[84:85], v[74:75], v[76:77]
	v_add_f64_e64 v[80:81], v[64:65], -v[84:85]
	v_add_f64_e64 v[72:73], v[84:85], -v[74:75]
	v_fmaak_f64 v[74:75], v[78:79], v[82:83], 0x3f21e634a7943acf
	s_delay_alu instid0(VALU_DEP_1) | instskip(NEXT) | instid1(VALU_DEP_1)
	v_fmaak_f64 v[74:75], v[78:79], v[74:75], 0x3f2d250fdeb68feb
	v_fmaak_f64 v[74:75], v[78:79], v[74:75], 0x3f437fd9b58c4d95
	s_delay_alu instid0(VALU_DEP_1) | instskip(NEXT) | instid1(VALU_DEP_1)
	v_fmaak_f64 v[74:75], v[78:79], v[74:75], 0x3f57d5af15120e2c
	v_fmaak_f64 v[74:75], v[78:79], v[74:75], 0x3f6d6d93e09491df
	v_add_f64_e64 v[64:65], v[64:65], -v[80:81]
	v_add_f64_e64 v[72:73], v[72:73], -v[76:77]
	s_delay_alu instid0(VALU_DEP_2) | instskip(NEXT) | instid1(VALU_DEP_1)
	v_add_f64_e64 v[64:65], v[64:65], -v[84:85]
	v_add_f64_e32 v[62:63], v[62:63], v[64:65]
	v_fmaak_f64 v[64:65], v[78:79], v[74:75], 0x3f8226e12033784d
	v_add_f64_e32 v[74:75], v[68:69], v[70:71]
	s_delay_alu instid0(VALU_DEP_2) | instskip(NEXT) | instid1(VALU_DEP_1)
	v_fmaak_f64 v[64:65], v[78:79], v[64:65], 0x3f9664f49ac36ae2
	v_fmaak_f64 v[64:65], v[78:79], v[64:65], 0x3faba1ba1b451c21
	s_delay_alu instid0(VALU_DEP_1) | instskip(NEXT) | instid1(VALU_DEP_1)
	v_fmaak_f64 v[64:65], v[78:79], v[64:65], 0x3fc11111111185b7
	v_fmaak_f64 v[64:65], v[78:79], v[64:65], 0x3fd55555555554ee
	v_add_f64_e32 v[62:63], v[72:73], v[62:63]
	v_add_f64_e64 v[72:73], v[74:75], -v[68:69]
	s_delay_alu instid0(VALU_DEP_3) | instskip(NEXT) | instid1(VALU_DEP_3)
	v_mul_f64_e32 v[64:65], v[78:79], v[64:65]
	v_add_f64_e32 v[62:63], v[80:81], v[62:63]
	s_delay_alu instid0(VALU_DEP_3) | instskip(NEXT) | instid1(VALU_DEP_3)
	v_add_f64_e64 v[70:71], v[70:71], -v[72:73]
	v_mul_f64_e32 v[76:77], v[54:55], v[64:65]
	s_delay_alu instid0(VALU_DEP_3) | instskip(NEXT) | instid1(VALU_DEP_2)
	v_mul_f64_e32 v[62:63], v[68:69], v[62:63]
	v_add_f64_e32 v[68:69], v[54:55], v[76:77]
	v_fma_f64 v[64:65], v[54:55], v[64:65], -v[76:77]
	s_delay_alu instid0(VALU_DEP_3) | instskip(NEXT) | instid1(VALU_DEP_3)
	v_add_f64_e32 v[62:63], v[70:71], v[62:63]
	v_add_f64_e64 v[54:55], v[68:69], -v[54:55]
	s_delay_alu instid0(VALU_DEP_3) | instskip(NEXT) | instid1(VALU_DEP_3)
	v_add_f64_e32 v[56:57], v[56:57], v[64:65]
	v_add_f64_e32 v[70:71], v[74:75], v[62:63]
	s_delay_alu instid0(VALU_DEP_3) | instskip(NEXT) | instid1(VALU_DEP_2)
	v_add_f64_e64 v[54:55], v[76:77], -v[54:55]
	v_ldexp_f64 v[64:65], v[70:71], -2
	v_add_f64_e64 v[70:71], v[70:71], -v[74:75]
	s_delay_alu instid0(VALU_DEP_3) | instskip(NEXT) | instid1(VALU_DEP_3)
	v_add_f64_e32 v[54:55], v[56:57], v[54:55]
	v_add_f64_e64 v[56:57], v[66:67], -v[64:65]
	s_delay_alu instid0(VALU_DEP_3) | instskip(NEXT) | instid1(VALU_DEP_3)
	v_add_f64_e64 v[62:63], v[62:63], -v[70:71]
	v_add_f64_e32 v[72:73], v[68:69], v[54:55]
	s_delay_alu instid0(VALU_DEP_3) | instskip(NEXT) | instid1(VALU_DEP_3)
	v_add_f64_e64 v[66:67], v[66:67], -v[56:57]
	v_ldexp_f64 v[62:63], v[62:63], -2
	s_delay_alu instid0(VALU_DEP_3) | instskip(NEXT) | instid1(VALU_DEP_2)
	v_rcp_f64_e32 v[74:75], v[72:73]
	v_add_f64_e64 v[64:65], v[66:67], -v[64:65]
	s_delay_alu instid0(TRANS32_DEP_1) | instskip(NEXT) | instid1(VALU_DEP_2)
	v_fma_f64 v[66:67], -v[72:73], v[74:75], 1.0
	v_add_f64_e32 v[60:61], v[60:61], v[64:65]
	s_delay_alu instid0(VALU_DEP_2) | instskip(NEXT) | instid1(VALU_DEP_2)
	v_fmac_f64_e32 v[74:75], v[66:67], v[74:75]
	v_add_f64_e64 v[60:61], v[60:61], -v[62:63]
	s_delay_alu instid0(VALU_DEP_2) | instskip(NEXT) | instid1(VALU_DEP_2)
	v_fma_f64 v[62:63], -v[72:73], v[74:75], 1.0
	v_add_f64_e32 v[56:57], v[56:57], v[60:61]
	s_delay_alu instid0(VALU_DEP_2) | instskip(NEXT) | instid1(VALU_DEP_2)
	v_fmac_f64_e32 v[74:75], v[62:63], v[74:75]
	v_cndmask_b32_e32 v8, 0x7ff00000, v57, vcc_lo
	s_delay_alu instid0(VALU_DEP_3) | instskip(SKIP_4) | instid1(VALU_DEP_3)
	v_cndmask_b32_e32 v21, 0, v56, vcc_lo
	v_cmp_gt_f64_e64 vcc_lo, 0x3e400000, |v[6:7]|
	v_add_f64_e64 v[56:57], v[72:73], -v[68:69]
	v_mul_f64_e32 v[60:61], v[72:73], v[74:75]
	v_cndmask_b32_e32 v8, v8, v58, vcc_lo
	v_dual_add_f64 v[54:55], v[54:55], -v[56:57] :: v_dual_cndmask_b32 v6, v21, v6, vcc_lo
	s_delay_alu instid0(VALU_DEP_2) | instskip(NEXT) | instid1(VALU_DEP_4)
	v_bfi_b32 v7, 0x7fffffff, v8, v7
	v_fma_f64 v[56:57], v[74:75], v[72:73], -v[60:61]
	s_delay_alu instid0(VALU_DEP_2) | instskip(NEXT) | instid1(VALU_DEP_2)
	v_fma_f64 v[62:63], v[6:7], v[6:7], 1.0
	v_fmac_f64_e32 v[56:57], v[74:75], v[54:55]
	s_delay_alu instid0(VALU_DEP_2) | instskip(SKIP_1) | instid1(VALU_DEP_1)
	v_cmp_gt_f64_e32 vcc_lo, 0x10000000, v[62:63]
	v_cndmask_b32_e64 v8, 0, 0x100, vcc_lo
	v_ldexp_f64 v[54:55], v[62:63], v8
	s_delay_alu instid0(VALU_DEP_4) | instskip(NEXT) | instid1(VALU_DEP_1)
	v_dual_add_f64 v[62:63], v[60:61], v[56:57] :: v_dual_bitop2_b32 v8, 1, v59 bitop3:0x40
	v_cmp_eq_u32_e64 s6, 0, v8
	s_delay_alu instid0(VALU_DEP_3) | instskip(NEXT) | instid1(VALU_DEP_2)
	v_rsq_f64_e32 v[64:65], v[54:55]
	v_add_f64_e64 v[66:67], -v[62:63], 1.0
	v_add_f64_e64 v[60:61], v[62:63], -v[60:61]
	s_delay_alu instid0(VALU_DEP_2) | instskip(NEXT) | instid1(VALU_DEP_2)
	v_add_f64_e64 v[70:71], -v[66:67], 1.0
	v_add_f64_e64 v[56:57], v[60:61], -v[56:57]
	s_delay_alu instid0(TRANS32_DEP_1) | instskip(SKIP_1) | instid1(VALU_DEP_4)
	v_mul_f64_e32 v[68:69], v[54:55], v[64:65]
	v_mul_f64_e32 v[64:65], 0.5, v[64:65]
	v_add_f64_e64 v[60:61], v[70:71], -v[62:63]
	s_delay_alu instid0(VALU_DEP_2) | instskip(NEXT) | instid1(VALU_DEP_2)
	v_fma_f64 v[76:77], -v[64:65], v[68:69], 0.5
	v_add_f64_e32 v[56:57], v[56:57], v[60:61]
	s_delay_alu instid0(VALU_DEP_2) | instskip(SKIP_1) | instid1(VALU_DEP_3)
	v_fmac_f64_e32 v[68:69], v[68:69], v[76:77]
	v_fmac_f64_e32 v[64:65], v[64:65], v[76:77]
	v_add_f64_e32 v[56:57], v[66:67], v[56:57]
	s_delay_alu instid0(VALU_DEP_3) | instskip(NEXT) | instid1(VALU_DEP_2)
	v_fma_f64 v[60:61], -v[68:69], v[68:69], v[54:55]
	v_mul_f64_e32 v[56:57], v[74:75], v[56:57]
	s_delay_alu instid0(VALU_DEP_2) | instskip(NEXT) | instid1(VALU_DEP_2)
	v_fmac_f64_e32 v[68:69], v[60:61], v[64:65]
	v_add_f64_e32 v[56:57], v[74:75], v[56:57]
	s_delay_alu instid0(VALU_DEP_2) | instskip(NEXT) | instid1(VALU_DEP_2)
	v_fma_f64 v[60:61], -v[68:69], v[68:69], v[54:55]
	v_xor_b32_e32 v21, 0x80000000, v57
	s_delay_alu instid0(VALU_DEP_3) | instskip(SKIP_2) | instid1(VALU_DEP_4)
	v_cndmask_b32_e64 v8, v56, v72, s6
	v_cndmask_b32_e64 v56, 0, 0xffffff80, vcc_lo
	v_cmp_class_f64_e64 vcc_lo, v[54:55], 0x260
	v_cndmask_b32_e64 v21, v21, v73, s6
	v_fmac_f64_e32 v[68:69], v[60:61], v[64:65]
	s_delay_alu instid0(VALU_DEP_2) | instskip(NEXT) | instid1(VALU_DEP_1)
	v_bitop3_b32 v9, v21, v9, 0x80000000 bitop3:0x78
	v_fma_f64 v[58:59], v[8:9], v[8:9], 1.0
	s_delay_alu instid0(VALU_DEP_3) | instskip(NEXT) | instid1(VALU_DEP_1)
	v_ldexp_f64 v[56:57], v[68:69], v56
	v_dual_cndmask_b32 v55, v57, v55 :: v_dual_cndmask_b32 v54, v56, v54
	s_delay_alu instid0(VALU_DEP_3) | instskip(NEXT) | instid1(VALU_DEP_2)
	v_mul_f64_e32 v[56:57], v[6:7], v[58:59]
	v_mul_f64_e32 v[54:55], v[54:55], v[58:59]
	s_delay_alu instid0(VALU_DEP_2) | instskip(NEXT) | instid1(VALU_DEP_2)
	v_fma_f64 v[56:57], v[6:7], v[56:57], 1.0
	v_mul_f64_e32 v[6:7], v[6:7], v[54:55]
	s_delay_alu instid0(VALU_DEP_2) | instskip(NEXT) | instid1(VALU_DEP_2)
	v_div_scale_f64 v[58:59], null, v[56:57], v[56:57], v[8:9]
	v_div_scale_f64 v[54:55], null, v[56:57], v[56:57], v[6:7]
	v_div_scale_f64 v[68:69], vcc_lo, v[6:7], v[56:57], v[6:7]
	s_delay_alu instid0(VALU_DEP_3) | instskip(NEXT) | instid1(VALU_DEP_2)
	v_rcp_f64_e32 v[62:63], v[58:59]
	v_rcp_f64_e32 v[60:61], v[54:55]
	s_delay_alu instid0(TRANS32_DEP_2) | instskip(NEXT) | instid1(TRANS32_DEP_1)
	v_fma_f64 v[66:67], -v[58:59], v[62:63], 1.0
	v_fma_f64 v[64:65], -v[54:55], v[60:61], 1.0
	s_delay_alu instid0(VALU_DEP_2) | instskip(NEXT) | instid1(VALU_DEP_2)
	v_fmac_f64_e32 v[62:63], v[62:63], v[66:67]
	v_fmac_f64_e32 v[60:61], v[60:61], v[64:65]
	s_delay_alu instid0(VALU_DEP_2) | instskip(NEXT) | instid1(VALU_DEP_2)
	v_fma_f64 v[66:67], -v[58:59], v[62:63], 1.0
	v_fma_f64 v[64:65], -v[54:55], v[60:61], 1.0
	s_delay_alu instid0(VALU_DEP_2) | instskip(NEXT) | instid1(VALU_DEP_2)
	v_fmac_f64_e32 v[62:63], v[62:63], v[66:67]
	v_fmac_f64_e32 v[60:61], v[60:61], v[64:65]
	v_div_scale_f64 v[64:65], s6, v[8:9], v[56:57], v[8:9]
	s_delay_alu instid0(VALU_DEP_2) | instskip(NEXT) | instid1(VALU_DEP_2)
	v_mul_f64_e32 v[66:67], v[68:69], v[60:61]
	v_mul_f64_e32 v[70:71], v[64:65], v[62:63]
	s_delay_alu instid0(VALU_DEP_2) | instskip(NEXT) | instid1(VALU_DEP_2)
	v_fma_f64 v[54:55], -v[54:55], v[66:67], v[68:69]
	v_fma_f64 v[58:59], -v[58:59], v[70:71], v[64:65]
	s_delay_alu instid0(VALU_DEP_2) | instskip(SKIP_1) | instid1(VALU_DEP_2)
	v_div_fmas_f64 v[54:55], v[54:55], v[60:61], v[66:67]
	s_mov_b32 vcc_lo, s6
	v_div_fmas_f64 v[58:59], v[58:59], v[62:63], v[70:71]
	s_delay_alu instid0(VALU_DEP_2) | instskip(NEXT) | instid1(VALU_DEP_2)
	v_div_fixup_f64 v[6:7], v[54:55], v[56:57], v[6:7]
	v_div_fixup_f64 v[8:9], v[58:59], v[56:57], v[8:9]
.LBB161_20:                             ;   in Loop: Header=BB161_4 Depth=1
	s_and_not1_saveexec_b32 s6, s37
	s_cbranch_execz .LBB161_23
; %bb.21:                               ;   in Loop: Header=BB161_4 Depth=1
	s_delay_alu instid0(VALU_DEP_1) | instskip(SKIP_1) | instid1(SALU_CYCLE_1)
	v_cmp_ngt_f64_e64 s37, 0x41d00000, |v[8:9]|
                                        ; implicit-def: $vgpr62
                                        ; implicit-def: $vgpr54_vgpr55
                                        ; implicit-def: $vgpr56_vgpr57
	s_and_saveexec_b32 s38, s37
	s_xor_b32 s38, exec_lo, s38
	s_cbranch_execz .LBB161_24
; %bb.22:                               ;   in Loop: Header=BB161_4 Depth=1
	v_ldexp_f64 v[54:55], |v[8:9]|, 0xffffff80
	v_cmp_le_f64_e64 vcc_lo, 0x7b000000, |v[8:9]|
	v_trig_preop_f64 v[56:57], |v[8:9]|, 0
	v_and_b32_e32 v21, 0x7fffffff, v9
	v_trig_preop_f64 v[58:59], |v[8:9]|, 1
	v_trig_preop_f64 v[68:69], |v[8:9]|, 2
	s_delay_alu instid0(VALU_DEP_3) | instskip(NEXT) | instid1(VALU_DEP_1)
	v_dual_cndmask_b32 v55, v21, v55 :: v_dual_cndmask_b32 v54, v8, v54
	v_mul_f64_e32 v[60:61], v[56:57], v[54:55]
	s_delay_alu instid0(VALU_DEP_4) | instskip(NEXT) | instid1(VALU_DEP_4)
	v_mul_f64_e32 v[62:63], v[58:59], v[54:55]
	v_mul_f64_e32 v[74:75], v[68:69], v[54:55]
	s_delay_alu instid0(VALU_DEP_3) | instskip(NEXT) | instid1(VALU_DEP_3)
	v_fma_f64 v[56:57], v[56:57], v[54:55], -v[60:61]
	v_fma_f64 v[58:59], v[58:59], v[54:55], -v[62:63]
	s_delay_alu instid0(VALU_DEP_3) | instskip(NEXT) | instid1(VALU_DEP_3)
	v_fma_f64 v[54:55], v[68:69], v[54:55], -v[74:75]
	v_add_f64_e32 v[64:65], v[62:63], v[56:57]
	s_delay_alu instid0(VALU_DEP_1) | instskip(SKIP_1) | instid1(VALU_DEP_2)
	v_add_f64_e64 v[66:67], v[64:65], -v[62:63]
	v_add_f64_e32 v[72:73], v[60:61], v[64:65]
	v_add_f64_e64 v[70:71], v[64:65], -v[66:67]
	v_add_f64_e64 v[56:57], v[56:57], -v[66:67]
	s_delay_alu instid0(VALU_DEP_3) | instskip(NEXT) | instid1(VALU_DEP_3)
	v_ldexp_f64 v[66:67], v[72:73], -2
	v_add_f64_e64 v[62:63], v[62:63], -v[70:71]
	v_add_f64_e32 v[70:71], v[74:75], v[58:59]
	s_delay_alu instid0(VALU_DEP_3) | instskip(NEXT) | instid1(VALU_DEP_3)
	v_cmp_neq_f64_e64 vcc_lo, 0x7ff00000, |v[66:67]|
	v_add_f64_e32 v[56:57], v[56:57], v[62:63]
	v_fract_f64_e32 v[62:63], v[66:67]
	s_delay_alu instid0(VALU_DEP_1) | instskip(NEXT) | instid1(VALU_DEP_1)
	v_ldexp_f64 v[62:63], v[62:63], 2
	v_dual_add_f64 v[60:61], v[72:73], -v[60:61] :: v_dual_cndmask_b32 v62, 0, v62, vcc_lo
	s_delay_alu instid0(VALU_DEP_1) | instskip(SKIP_1) | instid1(VALU_DEP_1)
	v_dual_add_f64 v[60:61], v[64:65], -v[60:61] :: v_dual_cndmask_b32 v63, 0, v63, vcc_lo
	v_add_f64_e32 v[64:65], v[70:71], v[56:57]
	v_add_f64_e32 v[66:67], v[60:61], v[64:65]
	v_add_f64_e64 v[76:77], v[64:65], -v[70:71]
	s_delay_alu instid0(VALU_DEP_2) | instskip(NEXT) | instid1(VALU_DEP_2)
	v_add_f64_e32 v[72:73], v[66:67], v[62:63]
	v_add_f64_e64 v[82:83], v[64:65], -v[76:77]
	v_add_f64_e64 v[56:57], v[56:57], -v[76:77]
	;; [unrolled: 1-line block ×3, first 2 shown]
	s_delay_alu instid0(VALU_DEP_4) | instskip(SKIP_1) | instid1(VALU_DEP_3)
	v_cmp_gt_f64_e32 vcc_lo, 0, v[72:73]
	v_add_f64_e64 v[72:73], v[70:71], -v[74:75]
	v_add_f64_e64 v[60:61], v[64:65], -v[60:61]
	v_cndmask_b32_e64 v21, 0, 0x40100000, vcc_lo
	s_delay_alu instid0(VALU_DEP_3) | instskip(SKIP_2) | instid1(VALU_DEP_4)
	v_add_f64_e64 v[80:81], v[70:71], -v[72:73]
	v_add_f64_e64 v[58:59], v[58:59], -v[72:73]
	;; [unrolled: 1-line block ×3, first 2 shown]
	v_add_f64_e32 v[62:63], v[62:63], v[20:21]
	s_delay_alu instid0(VALU_DEP_4) | instskip(NEXT) | instid1(VALU_DEP_3)
	v_add_f64_e64 v[72:73], v[74:75], -v[80:81]
	v_add_f64_e32 v[56:57], v[56:57], v[70:71]
	s_delay_alu instid0(VALU_DEP_3) | instskip(NEXT) | instid1(VALU_DEP_3)
	v_add_f64_e32 v[78:79], v[66:67], v[62:63]
	v_add_f64_e32 v[58:59], v[58:59], v[72:73]
	s_delay_alu instid0(VALU_DEP_2) | instskip(NEXT) | instid1(VALU_DEP_2)
	v_cvt_i32_f64_e32 v21, v[78:79]
	v_add_f64_e32 v[56:57], v[58:59], v[56:57]
	s_delay_alu instid0(VALU_DEP_2) | instskip(NEXT) | instid1(VALU_DEP_2)
	v_cvt_f64_i32_e32 v[76:77], v21
	v_add_f64_e32 v[54:55], v[54:55], v[56:57]
	s_delay_alu instid0(VALU_DEP_2) | instskip(NEXT) | instid1(VALU_DEP_2)
	v_add_f64_e64 v[62:63], v[62:63], -v[76:77]
	v_add_f64_e32 v[54:55], v[60:61], v[54:55]
	s_delay_alu instid0(VALU_DEP_2) | instskip(NEXT) | instid1(VALU_DEP_1)
	v_add_f64_e32 v[58:59], v[66:67], v[62:63]
	v_add_f64_e64 v[56:57], v[58:59], -v[62:63]
	v_cmp_le_f64_e32 vcc_lo, 0.5, v[58:59]
	s_delay_alu instid0(VALU_DEP_2) | instskip(SKIP_2) | instid1(VALU_DEP_3)
	v_add_f64_e64 v[56:57], v[66:67], -v[56:57]
	v_add_co_ci_u32_e64 v62, null, 0, v21, vcc_lo
	v_cndmask_b32_e64 v21, 0, 0x3ff00000, vcc_lo
	v_add_f64_e32 v[54:55], v[54:55], v[56:57]
	s_delay_alu instid0(VALU_DEP_2) | instskip(NEXT) | instid1(VALU_DEP_1)
	v_add_f64_e64 v[56:57], v[58:59], -v[20:21]
	v_add_f64_e32 v[58:59], v[56:57], v[54:55]
	s_delay_alu instid0(VALU_DEP_1) | instskip(SKIP_1) | instid1(VALU_DEP_2)
	v_mul_f64_e32 v[60:61], 0x3ff921fb54442d18, v[58:59]
	v_add_f64_e64 v[56:57], v[58:59], -v[56:57]
	v_fma_f64 v[64:65], v[58:59], s[16:17], -v[60:61]
	s_delay_alu instid0(VALU_DEP_2) | instskip(NEXT) | instid1(VALU_DEP_2)
	v_add_f64_e64 v[54:55], v[54:55], -v[56:57]
	v_fmac_f64_e32 v[64:65], 0x3c91a62633145c07, v[58:59]
	s_delay_alu instid0(VALU_DEP_1) | instskip(NEXT) | instid1(VALU_DEP_1)
	v_fmac_f64_e32 v[64:65], 0x3ff921fb54442d18, v[54:55]
	v_add_f64_e32 v[54:55], v[60:61], v[64:65]
	s_delay_alu instid0(VALU_DEP_1) | instskip(NEXT) | instid1(VALU_DEP_1)
	v_add_f64_e64 v[56:57], v[54:55], -v[60:61]
	v_add_f64_e64 v[56:57], v[64:65], -v[56:57]
	s_and_not1_saveexec_b32 s38, s38
	s_cbranch_execz .LBB161_26
	s_branch .LBB161_25
.LBB161_23:                             ;   in Loop: Header=BB161_4 Depth=1
	s_or_b32 exec_lo, exec_lo, s6
	s_and_not1_saveexec_b32 s6, s36
	s_cbranch_execnz .LBB161_32
	s_branch .LBB161_33
.LBB161_24:                             ;   in Loop: Header=BB161_4 Depth=1
	s_and_not1_saveexec_b32 s38, s38
	s_cbranch_execz .LBB161_26
.LBB161_25:                             ;   in Loop: Header=BB161_4 Depth=1
	v_mul_f64_e64 v[54:55], |v[8:9]|, s[18:19]
	s_delay_alu instid0(VALU_DEP_1) | instskip(NEXT) | instid1(VALU_DEP_1)
	v_rndne_f64_e32 v[58:59], v[54:55]
	v_fma_f64 v[54:55], v[58:59], s[20:21], |v[8:9]|
	v_mul_f64_e32 v[56:57], 0xbc91a62633145c00, v[58:59]
	s_delay_alu instid0(VALU_DEP_2) | instskip(NEXT) | instid1(VALU_DEP_2)
	v_fmamk_f64 v[64:65], v[58:59], 0xbc91a62633145c00, v[54:55]
	v_add_f64_e32 v[60:61], v[54:55], v[56:57]
	s_delay_alu instid0(VALU_DEP_1) | instskip(NEXT) | instid1(VALU_DEP_3)
	v_add_f64_e64 v[62:63], v[54:55], -v[60:61]
	v_add_f64_e64 v[54:55], v[60:61], -v[64:65]
	s_delay_alu instid0(VALU_DEP_2) | instskip(SKIP_2) | instid1(VALU_DEP_3)
	v_add_f64_e32 v[60:61], v[62:63], v[56:57]
	v_fmamk_f64 v[56:57], v[58:59], 0x3c91a62633145c00, v[56:57]
	v_cvt_i32_f64_e32 v62, v[58:59]
	v_add_f64_e32 v[54:55], v[54:55], v[60:61]
	s_delay_alu instid0(VALU_DEP_1) | instskip(NEXT) | instid1(VALU_DEP_1)
	v_add_f64_e64 v[56:57], v[54:55], -v[56:57]
	v_fmac_f64_e32 v[56:57], 0xb97b839a252049c0, v[58:59]
	s_delay_alu instid0(VALU_DEP_1) | instskip(NEXT) | instid1(VALU_DEP_1)
	v_add_f64_e32 v[54:55], v[64:65], v[56:57]
	v_add_f64_e64 v[60:61], v[54:55], -v[64:65]
	s_delay_alu instid0(VALU_DEP_1)
	v_add_f64_e64 v[56:57], v[56:57], -v[60:61]
.LBB161_26:                             ;   in Loop: Header=BB161_4 Depth=1
	s_or_b32 exec_lo, exec_lo, s38
                                        ; implicit-def: $vgpr63
                                        ; implicit-def: $vgpr58_vgpr59
                                        ; implicit-def: $vgpr60_vgpr61
	s_and_saveexec_b32 s38, s37
	s_delay_alu instid0(SALU_CYCLE_1)
	s_xor_b32 s37, exec_lo, s38
	s_cbranch_execz .LBB161_28
; %bb.27:                               ;   in Loop: Header=BB161_4 Depth=1
	v_ldexp_f64 v[58:59], |v[8:9]|, 0xffffff80
	v_cmp_le_f64_e64 vcc_lo, 0x7b000000, |v[8:9]|
	v_trig_preop_f64 v[60:61], |v[8:9]|, 0
	v_and_b32_e32 v21, 0x7fffffff, v9
	v_trig_preop_f64 v[64:65], |v[8:9]|, 1
	v_trig_preop_f64 v[74:75], |v[8:9]|, 2
	s_delay_alu instid0(VALU_DEP_3) | instskip(NEXT) | instid1(VALU_DEP_1)
	v_dual_cndmask_b32 v59, v21, v59 :: v_dual_cndmask_b32 v58, v8, v58
	v_mul_f64_e32 v[66:67], v[60:61], v[58:59]
	s_delay_alu instid0(VALU_DEP_4) | instskip(NEXT) | instid1(VALU_DEP_4)
	v_mul_f64_e32 v[68:69], v[64:65], v[58:59]
	v_mul_f64_e32 v[80:81], v[74:75], v[58:59]
	s_delay_alu instid0(VALU_DEP_3) | instskip(NEXT) | instid1(VALU_DEP_3)
	v_fma_f64 v[60:61], v[60:61], v[58:59], -v[66:67]
	v_fma_f64 v[64:65], v[64:65], v[58:59], -v[68:69]
	s_delay_alu instid0(VALU_DEP_3) | instskip(NEXT) | instid1(VALU_DEP_3)
	v_fma_f64 v[58:59], v[74:75], v[58:59], -v[80:81]
	v_add_f64_e32 v[70:71], v[68:69], v[60:61]
	s_delay_alu instid0(VALU_DEP_1) | instskip(SKIP_1) | instid1(VALU_DEP_2)
	v_add_f64_e64 v[72:73], v[70:71], -v[68:69]
	v_add_f64_e32 v[78:79], v[66:67], v[70:71]
	v_add_f64_e64 v[76:77], v[70:71], -v[72:73]
	v_add_f64_e64 v[60:61], v[60:61], -v[72:73]
	s_delay_alu instid0(VALU_DEP_3) | instskip(NEXT) | instid1(VALU_DEP_3)
	v_ldexp_f64 v[72:73], v[78:79], -2
	v_add_f64_e64 v[68:69], v[68:69], -v[76:77]
	v_add_f64_e32 v[76:77], v[80:81], v[64:65]
	s_delay_alu instid0(VALU_DEP_3) | instskip(NEXT) | instid1(VALU_DEP_3)
	v_cmp_neq_f64_e64 vcc_lo, 0x7ff00000, |v[72:73]|
	v_add_f64_e32 v[60:61], v[60:61], v[68:69]
	v_fract_f64_e32 v[68:69], v[72:73]
	s_delay_alu instid0(VALU_DEP_1) | instskip(NEXT) | instid1(VALU_DEP_1)
	v_ldexp_f64 v[68:69], v[68:69], 2
	v_dual_add_f64 v[66:67], v[78:79], -v[66:67] :: v_dual_cndmask_b32 v69, 0, v69, vcc_lo
	s_delay_alu instid0(VALU_DEP_1) | instskip(SKIP_1) | instid1(VALU_DEP_1)
	v_dual_add_f64 v[66:67], v[70:71], -v[66:67] :: v_dual_cndmask_b32 v68, 0, v68, vcc_lo
	v_add_f64_e32 v[70:71], v[76:77], v[60:61]
	v_add_f64_e32 v[72:73], v[66:67], v[70:71]
	v_add_f64_e64 v[82:83], v[70:71], -v[76:77]
	s_delay_alu instid0(VALU_DEP_2) | instskip(NEXT) | instid1(VALU_DEP_2)
	v_add_f64_e32 v[78:79], v[72:73], v[68:69]
	v_add_f64_e64 v[88:89], v[70:71], -v[82:83]
	v_add_f64_e64 v[60:61], v[60:61], -v[82:83]
	;; [unrolled: 1-line block ×3, first 2 shown]
	s_delay_alu instid0(VALU_DEP_4) | instskip(SKIP_1) | instid1(VALU_DEP_3)
	v_cmp_gt_f64_e32 vcc_lo, 0, v[78:79]
	v_add_f64_e64 v[78:79], v[76:77], -v[80:81]
	v_add_f64_e64 v[66:67], v[70:71], -v[66:67]
	v_cndmask_b32_e64 v21, 0, 0x40100000, vcc_lo
	s_delay_alu instid0(VALU_DEP_3) | instskip(SKIP_2) | instid1(VALU_DEP_4)
	v_add_f64_e64 v[86:87], v[76:77], -v[78:79]
	v_add_f64_e64 v[64:65], v[64:65], -v[78:79]
	v_add_f64_e64 v[76:77], v[76:77], -v[88:89]
	v_add_f64_e32 v[68:69], v[68:69], v[20:21]
	s_delay_alu instid0(VALU_DEP_4) | instskip(NEXT) | instid1(VALU_DEP_3)
	v_add_f64_e64 v[78:79], v[80:81], -v[86:87]
	v_add_f64_e32 v[60:61], v[60:61], v[76:77]
	s_delay_alu instid0(VALU_DEP_3) | instskip(NEXT) | instid1(VALU_DEP_3)
	v_add_f64_e32 v[84:85], v[72:73], v[68:69]
	v_add_f64_e32 v[64:65], v[64:65], v[78:79]
	s_delay_alu instid0(VALU_DEP_2) | instskip(NEXT) | instid1(VALU_DEP_2)
	v_cvt_i32_f64_e32 v21, v[84:85]
	v_add_f64_e32 v[60:61], v[64:65], v[60:61]
	s_delay_alu instid0(VALU_DEP_2) | instskip(NEXT) | instid1(VALU_DEP_2)
	v_cvt_f64_i32_e32 v[82:83], v21
	v_add_f64_e32 v[58:59], v[58:59], v[60:61]
	s_delay_alu instid0(VALU_DEP_2) | instskip(NEXT) | instid1(VALU_DEP_2)
	v_add_f64_e64 v[68:69], v[68:69], -v[82:83]
	v_add_f64_e32 v[58:59], v[66:67], v[58:59]
	s_delay_alu instid0(VALU_DEP_2) | instskip(NEXT) | instid1(VALU_DEP_1)
	v_add_f64_e32 v[64:65], v[72:73], v[68:69]
	v_add_f64_e64 v[60:61], v[64:65], -v[68:69]
	v_cmp_le_f64_e32 vcc_lo, 0.5, v[64:65]
	s_delay_alu instid0(VALU_DEP_2) | instskip(SKIP_2) | instid1(VALU_DEP_3)
	v_add_f64_e64 v[60:61], v[72:73], -v[60:61]
	v_add_co_ci_u32_e64 v63, null, 0, v21, vcc_lo
	v_cndmask_b32_e64 v21, 0, 0x3ff00000, vcc_lo
	v_add_f64_e32 v[58:59], v[58:59], v[60:61]
	s_delay_alu instid0(VALU_DEP_2) | instskip(NEXT) | instid1(VALU_DEP_1)
	v_add_f64_e64 v[60:61], v[64:65], -v[20:21]
	v_add_f64_e32 v[64:65], v[60:61], v[58:59]
	s_delay_alu instid0(VALU_DEP_1) | instskip(SKIP_1) | instid1(VALU_DEP_2)
	v_mul_f64_e32 v[66:67], 0x3ff921fb54442d18, v[64:65]
	v_add_f64_e64 v[60:61], v[64:65], -v[60:61]
	v_fma_f64 v[68:69], v[64:65], s[16:17], -v[66:67]
	s_delay_alu instid0(VALU_DEP_2) | instskip(NEXT) | instid1(VALU_DEP_2)
	v_add_f64_e64 v[58:59], v[58:59], -v[60:61]
	v_fmac_f64_e32 v[68:69], 0x3c91a62633145c07, v[64:65]
	s_delay_alu instid0(VALU_DEP_1) | instskip(NEXT) | instid1(VALU_DEP_1)
	v_fmac_f64_e32 v[68:69], 0x3ff921fb54442d18, v[58:59]
	v_add_f64_e32 v[58:59], v[66:67], v[68:69]
	s_delay_alu instid0(VALU_DEP_1) | instskip(NEXT) | instid1(VALU_DEP_1)
	v_add_f64_e64 v[60:61], v[58:59], -v[66:67]
	v_add_f64_e64 v[60:61], v[68:69], -v[60:61]
	s_and_not1_saveexec_b32 s37, s37
	s_cbranch_execnz .LBB161_29
	s_branch .LBB161_30
.LBB161_28:                             ;   in Loop: Header=BB161_4 Depth=1
	s_and_not1_saveexec_b32 s37, s37
	s_cbranch_execz .LBB161_30
.LBB161_29:                             ;   in Loop: Header=BB161_4 Depth=1
	v_mul_f64_e64 v[58:59], |v[8:9]|, s[18:19]
	s_delay_alu instid0(VALU_DEP_1) | instskip(NEXT) | instid1(VALU_DEP_1)
	v_rndne_f64_e32 v[64:65], v[58:59]
	v_fma_f64 v[58:59], v[64:65], s[20:21], |v[8:9]|
	v_mul_f64_e32 v[60:61], 0xbc91a62633145c00, v[64:65]
	v_cvt_i32_f64_e32 v63, v[64:65]
	s_delay_alu instid0(VALU_DEP_3) | instskip(NEXT) | instid1(VALU_DEP_3)
	v_fmamk_f64 v[70:71], v[64:65], 0xbc91a62633145c00, v[58:59]
	v_add_f64_e32 v[66:67], v[58:59], v[60:61]
	s_delay_alu instid0(VALU_DEP_1) | instskip(NEXT) | instid1(VALU_DEP_3)
	v_add_f64_e64 v[68:69], v[58:59], -v[66:67]
	v_add_f64_e64 v[58:59], v[66:67], -v[70:71]
	s_delay_alu instid0(VALU_DEP_2) | instskip(SKIP_1) | instid1(VALU_DEP_2)
	v_add_f64_e32 v[66:67], v[68:69], v[60:61]
	v_fmamk_f64 v[60:61], v[64:65], 0x3c91a62633145c00, v[60:61]
	v_add_f64_e32 v[58:59], v[58:59], v[66:67]
	s_delay_alu instid0(VALU_DEP_1) | instskip(NEXT) | instid1(VALU_DEP_1)
	v_add_f64_e64 v[60:61], v[58:59], -v[60:61]
	v_fmac_f64_e32 v[60:61], 0xb97b839a252049c0, v[64:65]
	s_delay_alu instid0(VALU_DEP_1) | instskip(NEXT) | instid1(VALU_DEP_1)
	v_add_f64_e32 v[58:59], v[70:71], v[60:61]
	v_add_f64_e64 v[66:67], v[58:59], -v[70:71]
	s_delay_alu instid0(VALU_DEP_1)
	v_add_f64_e64 v[60:61], v[60:61], -v[66:67]
.LBB161_30:                             ;   in Loop: Header=BB161_4 Depth=1
	s_or_b32 exec_lo, exec_lo, s37
	s_delay_alu instid0(VALU_DEP_1)
	v_dual_mul_f64 v[76:77], 0.5, v[56:57] :: v_dual_lshlrev_b32 v21, 30, v62
	v_mul_f64_e32 v[64:65], v[54:55], v[54:55]
	v_mul_f64_e32 v[66:67], v[58:59], v[58:59]
	v_mul_f64_e64 v[70:71], |v[6:7]|, s[30:31]
	v_and_b32_e32 v8, 1, v62
	v_xor_b32_e32 v9, v21, v9
	s_delay_alu instid0(VALU_DEP_2)
	v_cmp_eq_u32_e32 vcc_lo, 0, v8
	v_mul_f64_e32 v[68:69], 0.5, v[64:65]
	v_mul_f64_e64 v[78:79], v[54:55], -v[64:65]
	v_fmamk_f64 v[84:85], v[64:65], 0x3de5e0b2f9a43bb8, v[44:45]
	v_mul_f64_e64 v[90:91], v[58:59], -v[66:67]
	v_fmamk_f64 v[92:93], v[66:67], 0x3de5e0b2f9a43bb8, v[44:45]
	v_rndne_f64_e32 v[70:71], v[70:71]
	s_delay_alu instid0(VALU_DEP_4) | instskip(NEXT) | instid1(VALU_DEP_1)
	v_fmaak_f64 v[84:85], v[64:65], v[84:85], 0x3ec71de3796cde01
	v_fmaak_f64 v[84:85], v[64:65], v[84:85], 0xbf2a01a019e83e5c
	s_delay_alu instid0(VALU_DEP_1) | instskip(SKIP_1) | instid1(VALU_DEP_2)
	v_fmaak_f64 v[84:85], v[64:65], v[84:85], 0x3f81111111110bb3
	v_add_f64_e64 v[74:75], -v[68:69], 1.0
	v_fmac_f64_e32 v[76:77], v[78:79], v[84:85]
	v_fma_f64 v[86:87], v[70:71], s[22:23], -|v[6:7]|
	v_cvt_i32_f64_e32 v21, v[70:71]
	s_delay_alu instid0(VALU_DEP_4) | instskip(NEXT) | instid1(VALU_DEP_4)
	v_add_f64_e64 v[82:83], -v[74:75], 1.0
	v_fma_f64 v[76:77], v[64:65], v[76:77], -v[56:57]
	s_delay_alu instid0(VALU_DEP_4) | instskip(NEXT) | instid1(VALU_DEP_3)
	v_fmac_f64_e32 v[86:87], 0xbc7abc9e3b39803f, v[70:71]
	v_add_f64_e64 v[68:69], v[82:83], -v[68:69]
	v_fmaak_f64 v[82:83], v[66:67], v[92:93], 0x3ec71de3796cde01
	v_fmamk_f64 v[92:93], v[64:65], 0xbda907db46cc5e42, v[42:43]
	v_fmac_f64_e32 v[76:77], 0xbfc5555555555555, v[78:79]
	s_delay_alu instid0(VALU_DEP_3) | instskip(NEXT) | instid1(VALU_DEP_1)
	v_fmaak_f64 v[82:83], v[66:67], v[82:83], 0xbf2a01a019e83e5c
	v_fmaak_f64 v[82:83], v[66:67], v[82:83], 0x3f81111111110bb3
	v_fma_f64 v[56:57], v[54:55], -v[56:57], v[68:69]
	v_fmaak_f64 v[68:69], v[64:65], v[92:93], 0xbe927e4fa17f65f6
	v_mul_f64_e32 v[92:93], v[66:67], v[66:67]
	v_add_f64_e64 v[54:55], v[54:55], -v[76:77]
	v_mul_f64_e32 v[88:89], 0.5, v[60:61]
	s_delay_alu instid0(VALU_DEP_4) | instskip(NEXT) | instid1(VALU_DEP_1)
	v_fmaak_f64 v[68:69], v[64:65], v[68:69], 0x3efa01a019f4ec90
	v_fmaak_f64 v[68:69], v[64:65], v[68:69], 0xbf56c16c16c16967
	s_delay_alu instid0(VALU_DEP_3) | instskip(SKIP_1) | instid1(VALU_DEP_3)
	v_fmac_f64_e32 v[88:89], v[90:91], v[82:83]
	v_mul_f64_e32 v[82:83], v[64:65], v[64:65]
	v_fmaak_f64 v[64:65], v[64:65], v[68:69], 0x3fa5555555555555
	s_delay_alu instid0(VALU_DEP_1) | instskip(NEXT) | instid1(VALU_DEP_1)
	v_fmac_f64_e32 v[56:57], v[82:83], v[64:65]
	v_add_f64_e32 v[56:57], v[74:75], v[56:57]
	s_delay_alu instid0(VALU_DEP_1) | instskip(NEXT) | instid1(VALU_DEP_1)
	v_dual_cndmask_b32 v8, v56, v54, vcc_lo :: v_dual_cndmask_b32 v56, v57, v55, vcc_lo
	v_bitop3_b32 v9, v56, v9, 0x80000000 bitop3:0x78
	s_delay_alu instid0(VALU_DEP_1) | instskip(NEXT) | instid1(VALU_DEP_1)
	v_dual_mul_f64 v[8:9], 4.0, v[8:9] :: v_dual_bitop2_b32 v56, 1, v63 bitop3:0x40
	v_cmp_eq_u32_e32 vcc_lo, 0, v56
	v_mul_f64_e32 v[72:73], 0.5, v[66:67]
	s_delay_alu instid0(VALU_DEP_1) | instskip(NEXT) | instid1(VALU_DEP_1)
	v_add_f64_e64 v[80:81], -v[72:73], 1.0
	v_add_f64_e64 v[84:85], -v[80:81], 1.0
	s_delay_alu instid0(VALU_DEP_1) | instskip(SKIP_1) | instid1(VALU_DEP_1)
	v_add_f64_e64 v[72:73], v[84:85], -v[72:73]
	v_fmamk_f64 v[84:85], v[86:87], 0x3e5ade156a5dcb37, v[28:29]
	v_fmaak_f64 v[84:85], v[86:87], v[84:85], 0x3ec71dee623fde64
	s_delay_alu instid0(VALU_DEP_1) | instskip(NEXT) | instid1(VALU_DEP_1)
	v_fmaak_f64 v[84:85], v[86:87], v[84:85], 0x3efa01997c89e6b0
	v_fmaak_f64 v[68:69], v[86:87], v[84:85], 0x3f2a01a014761f6e
	v_fma_f64 v[84:85], v[66:67], v[88:89], -v[60:61]
	v_fmamk_f64 v[88:89], v[66:67], 0xbda907db46cc5e42, v[42:43]
	s_delay_alu instid0(VALU_DEP_3) | instskip(NEXT) | instid1(VALU_DEP_2)
	v_fmaak_f64 v[64:65], v[86:87], v[68:69], 0x3f56c16c1852b7b0
	v_fmaak_f64 v[68:69], v[66:67], v[88:89], 0xbe927e4fa17f65f6
	v_fma_f64 v[60:61], v[58:59], -v[60:61], v[72:73]
	s_delay_alu instid0(VALU_DEP_3) | instskip(NEXT) | instid1(VALU_DEP_3)
	v_fmaak_f64 v[64:65], v[86:87], v[64:65], 0x3f81111111122322
	v_fmaak_f64 v[68:69], v[66:67], v[68:69], 0x3efa01a019f4ec90
	s_delay_alu instid0(VALU_DEP_2) | instskip(NEXT) | instid1(VALU_DEP_2)
	v_fmaak_f64 v[64:65], v[86:87], v[64:65], 0x3fa55555555502a1
	v_fmaak_f64 v[68:69], v[66:67], v[68:69], 0xbf56c16c16c16967
	s_delay_alu instid0(VALU_DEP_2) | instskip(NEXT) | instid1(VALU_DEP_2)
	v_fmaak_f64 v[64:65], v[86:87], v[64:65], 0x3fc5555555555511
	v_fmaak_f64 v[66:67], v[66:67], v[68:69], 0x3fa5555555555555
	v_fmac_f64_e32 v[84:85], 0xbfc5555555555555, v[90:91]
	s_delay_alu instid0(VALU_DEP_3) | instskip(NEXT) | instid1(VALU_DEP_1)
	v_fmaak_f64 v[64:65], v[86:87], v[64:65], 0x3fe000000000000b
	v_fma_f64 v[64:65], v[86:87], v[64:65], 1.0
	s_delay_alu instid0(VALU_DEP_4) | instskip(NEXT) | instid1(VALU_DEP_4)
	v_fmac_f64_e32 v[60:61], v[92:93], v[66:67]
	v_add_f64_e64 v[58:59], v[58:59], -v[84:85]
	s_delay_alu instid0(VALU_DEP_3) | instskip(NEXT) | instid1(VALU_DEP_3)
	v_fma_f64 v[54:55], v[86:87], v[64:65], 1.0
	v_add_f64_e32 v[60:61], v[80:81], v[60:61]
	s_delay_alu instid0(VALU_DEP_3) | instskip(NEXT) | instid1(VALU_DEP_3)
	v_xor_b32_e32 v57, 0x80000000, v59
	v_ldexp_f64 v[54:55], v[54:55], v21
	s_delay_alu instid0(VALU_DEP_2) | instskip(SKIP_3) | instid1(VALU_DEP_3)
	v_dual_cndmask_b32 v56, v58, v60 :: v_dual_cndmask_b32 v57, v57, v61
	v_lshlrev_b32_e32 v58, 30, v63
	v_cmp_nlt_f64_e64 vcc_lo, 0x4090cc00, |v[6:7]|
	v_bfi_b32 v21, 0x7fffffff, s33, v7
	v_bitop3_b32 v57, v57, v58, 0x80000000 bitop3:0x78
	s_delay_alu instid0(VALU_DEP_2) | instskip(NEXT) | instid1(VALU_DEP_2)
	v_mov_b64_e32 v[6:7], v[20:21]
	v_dual_mul_f64 v[8:9], v[8:9], v[56:57] :: v_dual_cndmask_b32 v55, 0, v55, vcc_lo
	v_cndmask_b32_e32 v54, 0, v54, vcc_lo
	s_delay_alu instid0(VALU_DEP_1) | instskip(NEXT) | instid1(VALU_DEP_1)
	v_mul_f64_e32 v[8:9], v[54:55], v[8:9]
	v_mul_f64_e32 v[8:9], v[54:55], v[8:9]
	s_or_b32 exec_lo, exec_lo, s6
.LBB161_31:                             ;   in Loop: Header=BB161_4 Depth=1
	s_and_not1_saveexec_b32 s6, s36
	s_cbranch_execz .LBB161_33
.LBB161_32:                             ;   in Loop: Header=BB161_4 Depth=1
	s_delay_alu instid0(VALU_DEP_1) | instskip(NEXT) | instid1(VALU_DEP_1)
	v_add_f64_e64 v[8:9], v[8:9], -v[8:9]
	v_mov_b64_e32 v[6:7], v[8:9]
.LBB161_33:                             ;   in Loop: Header=BB161_4 Depth=1
	s_or_b32 exec_lo, exec_lo, s6
.LBB161_34:                             ;   in Loop: Header=BB161_4 Depth=1
	s_and_not1_saveexec_b32 s36, s7
	s_cbranch_execz .LBB161_50
; %bb.35:                               ;   in Loop: Header=BB161_4 Depth=1
	s_delay_alu instid0(VALU_DEP_1) | instskip(SKIP_1) | instid1(VALU_DEP_1)
	v_and_or_b32 v21, 0xfffff, v7, v6
	s_mov_b32 s6, exec_lo
	v_cmpx_ne_u32_e32 0, v21
	s_xor_b32 s6, exec_lo, s6
	s_cbranch_execz .LBB161_37
; %bb.36:                               ;   in Loop: Header=BB161_4 Depth=1
	s_delay_alu instid0(VALU_DEP_3) | instskip(SKIP_1) | instid1(VALU_DEP_2)
	v_mul_f64_e32 v[54:55], v[8:9], v[6:7]
	v_cmp_eq_f64_e32 vcc_lo, 0, v[8:9]
	v_dual_cndmask_b32 v9, v55, v9 :: v_dual_cndmask_b32 v8, v54, v8
.LBB161_37:                             ;   in Loop: Header=BB161_4 Depth=1
	s_and_not1_saveexec_b32 s37, s6
	s_cbranch_execz .LBB161_49
; %bb.38:                               ;   in Loop: Header=BB161_4 Depth=1
	s_mov_b32 s38, exec_lo
	s_delay_alu instid0(VALU_DEP_1)
	v_cmpx_neq_f64_e64 0x7ff00000, |v[8:9]|
	s_cbranch_execz .LBB161_48
; %bb.39:                               ;   in Loop: Header=BB161_4 Depth=1
	v_cmp_ngt_f64_e64 s6, 0x41d00000, |v[8:9]|
	v_trig_preop_f64 v[62:63], |v[8:9]|, 0
	v_trig_preop_f64 v[60:61], |v[8:9]|, 1
	v_ldexp_f64 v[64:65], |v[8:9]|, 0xffffff80
	v_trig_preop_f64 v[58:59], |v[8:9]|, 2
	v_and_b32_e32 v73, 0x7fffffff, v9
                                        ; implicit-def: $vgpr72
                                        ; implicit-def: $vgpr54_vgpr55
                                        ; implicit-def: $vgpr56_vgpr57
	s_and_saveexec_b32 s7, s6
	s_delay_alu instid0(SALU_CYCLE_1)
	s_xor_b32 s7, exec_lo, s7
	s_cbranch_execz .LBB161_41
; %bb.40:                               ;   in Loop: Header=BB161_4 Depth=1
	v_cmp_le_f64_e64 vcc_lo, 0x7b000000, |v[8:9]|
	s_delay_alu instid0(VALU_DEP_4) | instskip(NEXT) | instid1(VALU_DEP_1)
	v_dual_cndmask_b32 v55, v73, v65 :: v_dual_cndmask_b32 v54, v8, v64
	v_mul_f64_e32 v[56:57], v[62:63], v[54:55]
	v_mul_f64_e32 v[66:67], v[60:61], v[54:55]
	;; [unrolled: 1-line block ×3, first 2 shown]
	s_delay_alu instid0(VALU_DEP_3) | instskip(NEXT) | instid1(VALU_DEP_3)
	v_fma_f64 v[68:69], v[62:63], v[54:55], -v[56:57]
	v_fma_f64 v[82:83], v[60:61], v[54:55], -v[66:67]
	s_delay_alu instid0(VALU_DEP_3) | instskip(NEXT) | instid1(VALU_DEP_3)
	v_fma_f64 v[54:55], v[58:59], v[54:55], -v[80:81]
	v_add_f64_e32 v[70:71], v[66:67], v[68:69]
	s_delay_alu instid0(VALU_DEP_1) | instskip(SKIP_1) | instid1(VALU_DEP_2)
	v_add_f64_e64 v[74:75], v[70:71], -v[66:67]
	v_add_f64_e32 v[78:79], v[56:57], v[70:71]
	v_add_f64_e64 v[76:77], v[70:71], -v[74:75]
	v_add_f64_e64 v[68:69], v[68:69], -v[74:75]
	s_delay_alu instid0(VALU_DEP_3) | instskip(NEXT) | instid1(VALU_DEP_3)
	v_ldexp_f64 v[74:75], v[78:79], -2
	v_add_f64_e64 v[66:67], v[66:67], -v[76:77]
	v_add_f64_e32 v[76:77], v[80:81], v[82:83]
	s_delay_alu instid0(VALU_DEP_3) | instskip(NEXT) | instid1(VALU_DEP_3)
	v_cmp_neq_f64_e64 vcc_lo, 0x7ff00000, |v[74:75]|
	v_add_f64_e32 v[66:67], v[68:69], v[66:67]
	v_fract_f64_e32 v[68:69], v[74:75]
	s_delay_alu instid0(VALU_DEP_1) | instskip(NEXT) | instid1(VALU_DEP_1)
	v_ldexp_f64 v[68:69], v[68:69], 2
	v_cndmask_b32_e32 v69, 0, v69, vcc_lo
	v_add_f64_e64 v[56:57], v[78:79], -v[56:57]
	s_delay_alu instid0(VALU_DEP_3) | instskip(NEXT) | instid1(VALU_DEP_2)
	v_cndmask_b32_e32 v68, 0, v68, vcc_lo
	v_add_f64_e64 v[56:57], v[70:71], -v[56:57]
	v_add_f64_e32 v[70:71], v[76:77], v[66:67]
	s_delay_alu instid0(VALU_DEP_1) | instskip(SKIP_1) | instid1(VALU_DEP_2)
	v_add_f64_e32 v[74:75], v[56:57], v[70:71]
	v_add_f64_e64 v[84:85], v[70:71], -v[76:77]
	v_add_f64_e32 v[78:79], v[74:75], v[68:69]
	s_delay_alu instid0(VALU_DEP_2) | instskip(SKIP_2) | instid1(VALU_DEP_4)
	v_add_f64_e64 v[90:91], v[70:71], -v[84:85]
	v_add_f64_e64 v[66:67], v[66:67], -v[84:85]
	;; [unrolled: 1-line block ×3, first 2 shown]
	v_cmp_gt_f64_e32 vcc_lo, 0, v[78:79]
	v_add_f64_e64 v[78:79], v[76:77], -v[80:81]
	s_delay_alu instid0(VALU_DEP_3) | instskip(SKIP_1) | instid1(VALU_DEP_3)
	v_add_f64_e64 v[56:57], v[70:71], -v[56:57]
	v_cndmask_b32_e64 v21, 0, 0x40100000, vcc_lo
	v_add_f64_e64 v[88:89], v[76:77], -v[78:79]
	v_add_f64_e64 v[78:79], v[82:83], -v[78:79]
	;; [unrolled: 1-line block ×3, first 2 shown]
	s_delay_alu instid0(VALU_DEP_4) | instskip(NEXT) | instid1(VALU_DEP_4)
	v_add_f64_e32 v[68:69], v[68:69], v[20:21]
	v_add_f64_e64 v[82:83], v[80:81], -v[88:89]
	s_delay_alu instid0(VALU_DEP_3) | instskip(NEXT) | instid1(VALU_DEP_3)
	v_add_f64_e32 v[66:67], v[66:67], v[76:77]
	v_add_f64_e32 v[86:87], v[74:75], v[68:69]
	s_delay_alu instid0(VALU_DEP_3) | instskip(NEXT) | instid1(VALU_DEP_2)
	v_add_f64_e32 v[78:79], v[78:79], v[82:83]
	v_cvt_i32_f64_e32 v21, v[86:87]
	s_delay_alu instid0(VALU_DEP_2) | instskip(NEXT) | instid1(VALU_DEP_2)
	v_add_f64_e32 v[66:67], v[78:79], v[66:67]
	v_cvt_f64_i32_e32 v[84:85], v21
	s_delay_alu instid0(VALU_DEP_2) | instskip(NEXT) | instid1(VALU_DEP_2)
	v_add_f64_e32 v[54:55], v[54:55], v[66:67]
	v_add_f64_e64 v[68:69], v[68:69], -v[84:85]
	s_delay_alu instid0(VALU_DEP_2) | instskip(NEXT) | instid1(VALU_DEP_2)
	v_add_f64_e32 v[54:55], v[56:57], v[54:55]
	v_add_f64_e32 v[76:77], v[74:75], v[68:69]
	s_delay_alu instid0(VALU_DEP_1) | instskip(SKIP_1) | instid1(VALU_DEP_2)
	v_add_f64_e64 v[66:67], v[76:77], -v[68:69]
	v_cmp_le_f64_e32 vcc_lo, 0.5, v[76:77]
	v_add_f64_e64 v[56:57], v[74:75], -v[66:67]
	v_add_co_ci_u32_e64 v72, null, 0, v21, vcc_lo
	v_cndmask_b32_e64 v21, 0, 0x3ff00000, vcc_lo
	s_delay_alu instid0(VALU_DEP_3) | instskip(NEXT) | instid1(VALU_DEP_2)
	v_add_f64_e32 v[54:55], v[54:55], v[56:57]
	v_add_f64_e64 v[56:57], v[76:77], -v[20:21]
	s_delay_alu instid0(VALU_DEP_1) | instskip(NEXT) | instid1(VALU_DEP_1)
	v_add_f64_e32 v[66:67], v[56:57], v[54:55]
	v_mul_f64_e32 v[68:69], 0x3ff921fb54442d18, v[66:67]
	v_add_f64_e64 v[56:57], v[66:67], -v[56:57]
	s_delay_alu instid0(VALU_DEP_2) | instskip(NEXT) | instid1(VALU_DEP_2)
	v_fma_f64 v[70:71], v[66:67], s[16:17], -v[68:69]
	v_add_f64_e64 v[54:55], v[54:55], -v[56:57]
	s_delay_alu instid0(VALU_DEP_2) | instskip(NEXT) | instid1(VALU_DEP_1)
	v_fmac_f64_e32 v[70:71], 0x3c91a62633145c07, v[66:67]
	v_fmac_f64_e32 v[70:71], 0x3ff921fb54442d18, v[54:55]
	s_delay_alu instid0(VALU_DEP_1) | instskip(NEXT) | instid1(VALU_DEP_1)
	v_add_f64_e32 v[54:55], v[68:69], v[70:71]
	v_add_f64_e64 v[56:57], v[54:55], -v[68:69]
	s_delay_alu instid0(VALU_DEP_1)
	v_add_f64_e64 v[56:57], v[70:71], -v[56:57]
.LBB161_41:                             ;   in Loop: Header=BB161_4 Depth=1
	s_or_saveexec_b32 s7, s7
	v_mul_f64_e64 v[66:67], |v[8:9]|, s[18:19]
	s_delay_alu instid0(VALU_DEP_1)
	v_rndne_f64_e32 v[70:71], v[66:67]
	s_xor_b32 exec_lo, exec_lo, s7
	s_cbranch_execz .LBB161_43
; %bb.42:                               ;   in Loop: Header=BB161_4 Depth=1
	s_delay_alu instid0(VALU_DEP_1) | instskip(SKIP_2) | instid1(VALU_DEP_3)
	v_fma_f64 v[54:55], v[70:71], s[20:21], |v[8:9]|
	v_mul_f64_e32 v[56:57], 0xbc91a62633145c00, v[70:71]
	v_cvt_i32_f64_e32 v72, v[70:71]
	v_fmamk_f64 v[74:75], v[70:71], 0xbc91a62633145c00, v[54:55]
	s_delay_alu instid0(VALU_DEP_3) | instskip(NEXT) | instid1(VALU_DEP_1)
	v_add_f64_e32 v[66:67], v[54:55], v[56:57]
	v_add_f64_e64 v[68:69], v[54:55], -v[66:67]
	s_delay_alu instid0(VALU_DEP_3) | instskip(NEXT) | instid1(VALU_DEP_2)
	v_add_f64_e64 v[54:55], v[66:67], -v[74:75]
	v_add_f64_e32 v[66:67], v[68:69], v[56:57]
	v_fmamk_f64 v[56:57], v[70:71], 0x3c91a62633145c00, v[56:57]
	s_delay_alu instid0(VALU_DEP_2) | instskip(NEXT) | instid1(VALU_DEP_1)
	v_add_f64_e32 v[54:55], v[54:55], v[66:67]
	v_add_f64_e64 v[56:57], v[54:55], -v[56:57]
	s_delay_alu instid0(VALU_DEP_1) | instskip(NEXT) | instid1(VALU_DEP_1)
	v_fmac_f64_e32 v[56:57], 0xb97b839a252049c0, v[70:71]
	v_add_f64_e32 v[54:55], v[74:75], v[56:57]
	s_delay_alu instid0(VALU_DEP_1) | instskip(NEXT) | instid1(VALU_DEP_1)
	v_add_f64_e64 v[66:67], v[54:55], -v[74:75]
	v_add_f64_e64 v[56:57], v[56:57], -v[66:67]
.LBB161_43:                             ;   in Loop: Header=BB161_4 Depth=1
	s_or_b32 exec_lo, exec_lo, s7
                                        ; implicit-def: $vgpr74
                                        ; implicit-def: $vgpr66_vgpr67
                                        ; implicit-def: $vgpr68_vgpr69
	s_and_saveexec_b32 s7, s6
	s_delay_alu instid0(SALU_CYCLE_1)
	s_xor_b32 s6, exec_lo, s7
	s_cbranch_execz .LBB161_45
; %bb.44:                               ;   in Loop: Header=BB161_4 Depth=1
	v_cmp_le_f64_e64 vcc_lo, 0x7b000000, |v[8:9]|
	v_dual_cndmask_b32 v65, v73, v65 :: v_dual_cndmask_b32 v64, v8, v64
	s_delay_alu instid0(VALU_DEP_1) | instskip(SKIP_2) | instid1(VALU_DEP_3)
	v_mul_f64_e32 v[66:67], v[62:63], v[64:65]
	v_mul_f64_e32 v[68:69], v[60:61], v[64:65]
	;; [unrolled: 1-line block ×3, first 2 shown]
	v_fma_f64 v[62:63], v[62:63], v[64:65], -v[66:67]
	s_delay_alu instid0(VALU_DEP_3) | instskip(NEXT) | instid1(VALU_DEP_3)
	v_fma_f64 v[60:61], v[60:61], v[64:65], -v[68:69]
	v_fma_f64 v[58:59], v[58:59], v[64:65], -v[80:81]
	s_delay_alu instid0(VALU_DEP_3) | instskip(NEXT) | instid1(VALU_DEP_1)
	v_add_f64_e32 v[70:71], v[68:69], v[62:63]
	v_add_f64_e64 v[74:75], v[70:71], -v[68:69]
	v_add_f64_e32 v[78:79], v[66:67], v[70:71]
	s_delay_alu instid0(VALU_DEP_2) | instskip(SKIP_1) | instid1(VALU_DEP_3)
	v_add_f64_e64 v[76:77], v[70:71], -v[74:75]
	v_add_f64_e64 v[62:63], v[62:63], -v[74:75]
	v_ldexp_f64 v[74:75], v[78:79], -2
	v_add_f64_e64 v[66:67], v[78:79], -v[66:67]
	s_delay_alu instid0(VALU_DEP_4) | instskip(SKIP_1) | instid1(VALU_DEP_4)
	v_add_f64_e64 v[68:69], v[68:69], -v[76:77]
	v_add_f64_e32 v[76:77], v[80:81], v[60:61]
	v_cmp_neq_f64_e64 vcc_lo, 0x7ff00000, |v[74:75]|
	s_delay_alu instid0(VALU_DEP_3) | instskip(SKIP_1) | instid1(VALU_DEP_1)
	v_add_f64_e32 v[62:63], v[62:63], v[68:69]
	v_fract_f64_e32 v[68:69], v[74:75]
	v_ldexp_f64 v[68:69], v[68:69], 2
	s_delay_alu instid0(VALU_DEP_1) | instskip(NEXT) | instid1(VALU_DEP_2)
	v_dual_add_f64 v[66:67], v[70:71], -v[66:67] :: v_dual_cndmask_b32 v69, 0, v69, vcc_lo
	v_dual_add_f64 v[70:71], v[76:77], v[62:63] :: v_dual_cndmask_b32 v68, 0, v68, vcc_lo
	s_delay_alu instid0(VALU_DEP_1) | instskip(SKIP_1) | instid1(VALU_DEP_2)
	v_add_f64_e32 v[74:75], v[66:67], v[70:71]
	v_add_f64_e64 v[82:83], v[70:71], -v[76:77]
	v_add_f64_e32 v[78:79], v[74:75], v[68:69]
	s_delay_alu instid0(VALU_DEP_2) | instskip(SKIP_2) | instid1(VALU_DEP_4)
	v_add_f64_e64 v[88:89], v[70:71], -v[82:83]
	v_add_f64_e64 v[62:63], v[62:63], -v[82:83]
	;; [unrolled: 1-line block ×3, first 2 shown]
	v_cmp_gt_f64_e32 vcc_lo, 0, v[78:79]
	v_add_f64_e64 v[78:79], v[76:77], -v[80:81]
	s_delay_alu instid0(VALU_DEP_3) | instskip(SKIP_1) | instid1(VALU_DEP_3)
	v_add_f64_e64 v[64:65], v[70:71], -v[64:65]
                                        ; implicit-def: $vgpr70_vgpr71
	v_cndmask_b32_e64 v21, 0, 0x40100000, vcc_lo
	v_add_f64_e64 v[86:87], v[76:77], -v[78:79]
	v_add_f64_e64 v[60:61], v[60:61], -v[78:79]
	;; [unrolled: 1-line block ×3, first 2 shown]
	s_delay_alu instid0(VALU_DEP_4) | instskip(NEXT) | instid1(VALU_DEP_4)
	v_add_f64_e32 v[68:69], v[68:69], v[20:21]
	v_add_f64_e64 v[78:79], v[80:81], -v[86:87]
	s_delay_alu instid0(VALU_DEP_3) | instskip(NEXT) | instid1(VALU_DEP_3)
	v_add_f64_e32 v[62:63], v[62:63], v[76:77]
	v_add_f64_e32 v[84:85], v[74:75], v[68:69]
	s_delay_alu instid0(VALU_DEP_3) | instskip(NEXT) | instid1(VALU_DEP_2)
	v_add_f64_e32 v[60:61], v[60:61], v[78:79]
	v_cvt_i32_f64_e32 v21, v[84:85]
	s_delay_alu instid0(VALU_DEP_2) | instskip(NEXT) | instid1(VALU_DEP_2)
	v_add_f64_e32 v[60:61], v[60:61], v[62:63]
	v_cvt_f64_i32_e32 v[82:83], v21
	s_delay_alu instid0(VALU_DEP_2) | instskip(NEXT) | instid1(VALU_DEP_2)
	v_add_f64_e32 v[58:59], v[58:59], v[60:61]
	v_add_f64_e64 v[68:69], v[68:69], -v[82:83]
	s_delay_alu instid0(VALU_DEP_2) | instskip(NEXT) | instid1(VALU_DEP_2)
	v_add_f64_e32 v[58:59], v[64:65], v[58:59]
	v_add_f64_e32 v[62:63], v[74:75], v[68:69]
	s_delay_alu instid0(VALU_DEP_1) | instskip(SKIP_1) | instid1(VALU_DEP_2)
	v_add_f64_e64 v[60:61], v[62:63], -v[68:69]
	v_cmp_le_f64_e32 vcc_lo, 0.5, v[62:63]
	v_add_f64_e64 v[60:61], v[74:75], -v[60:61]
	v_add_co_ci_u32_e64 v74, null, 0, v21, vcc_lo
	v_cndmask_b32_e64 v21, 0, 0x3ff00000, vcc_lo
	s_delay_alu instid0(VALU_DEP_3) | instskip(NEXT) | instid1(VALU_DEP_2)
	v_add_f64_e32 v[58:59], v[58:59], v[60:61]
	v_add_f64_e64 v[60:61], v[62:63], -v[20:21]
	s_delay_alu instid0(VALU_DEP_1) | instskip(NEXT) | instid1(VALU_DEP_1)
	v_add_f64_e32 v[62:63], v[60:61], v[58:59]
	v_mul_f64_e32 v[64:65], 0x3ff921fb54442d18, v[62:63]
	v_add_f64_e64 v[60:61], v[62:63], -v[60:61]
	s_delay_alu instid0(VALU_DEP_2) | instskip(NEXT) | instid1(VALU_DEP_2)
	v_fma_f64 v[68:69], v[62:63], s[16:17], -v[64:65]
	v_add_f64_e64 v[58:59], v[58:59], -v[60:61]
	s_delay_alu instid0(VALU_DEP_2) | instskip(NEXT) | instid1(VALU_DEP_1)
	v_fmac_f64_e32 v[68:69], 0x3c91a62633145c07, v[62:63]
	v_fmac_f64_e32 v[68:69], 0x3ff921fb54442d18, v[58:59]
	s_delay_alu instid0(VALU_DEP_1) | instskip(NEXT) | instid1(VALU_DEP_1)
	v_add_f64_e32 v[66:67], v[64:65], v[68:69]
	v_add_f64_e64 v[58:59], v[66:67], -v[64:65]
	s_delay_alu instid0(VALU_DEP_1)
	v_add_f64_e64 v[68:69], v[68:69], -v[58:59]
	s_and_not1_saveexec_b32 s6, s6
	s_cbranch_execnz .LBB161_46
	s_branch .LBB161_47
.LBB161_45:                             ;   in Loop: Header=BB161_4 Depth=1
	s_and_not1_saveexec_b32 s6, s6
	s_cbranch_execz .LBB161_47
.LBB161_46:                             ;   in Loop: Header=BB161_4 Depth=1
	s_delay_alu instid0(VALU_DEP_1) | instskip(SKIP_2) | instid1(VALU_DEP_2)
	v_fma_f64 v[58:59], v[70:71], s[20:21], |v[8:9]|
	v_mul_f64_e32 v[60:61], 0xbc91a62633145c00, v[70:71]
	v_cvt_i32_f64_e32 v74, v[70:71]
	v_add_f64_e32 v[62:63], v[58:59], v[60:61]
	s_delay_alu instid0(VALU_DEP_1) | instskip(SKIP_1) | instid1(VALU_DEP_1)
	v_add_f64_e64 v[64:65], v[58:59], -v[62:63]
	v_fmamk_f64 v[58:59], v[70:71], 0xbc91a62633145c00, v[58:59]
	v_add_f64_e64 v[62:63], v[62:63], -v[58:59]
	s_delay_alu instid0(VALU_DEP_3) | instskip(SKIP_1) | instid1(VALU_DEP_2)
	v_add_f64_e32 v[64:65], v[64:65], v[60:61]
	v_fmamk_f64 v[60:61], v[70:71], 0x3c91a62633145c00, v[60:61]
	v_add_f64_e32 v[62:63], v[62:63], v[64:65]
	s_delay_alu instid0(VALU_DEP_1) | instskip(NEXT) | instid1(VALU_DEP_1)
	v_add_f64_e64 v[60:61], v[62:63], -v[60:61]
	v_fmac_f64_e32 v[60:61], 0xb97b839a252049c0, v[70:71]
	s_delay_alu instid0(VALU_DEP_1) | instskip(NEXT) | instid1(VALU_DEP_1)
	v_add_f64_e32 v[66:67], v[58:59], v[60:61]
	v_add_f64_e64 v[58:59], v[66:67], -v[58:59]
	s_delay_alu instid0(VALU_DEP_1)
	v_add_f64_e64 v[68:69], v[60:61], -v[58:59]
.LBB161_47:                             ;   in Loop: Header=BB161_4 Depth=1
	s_or_b32 exec_lo, exec_lo, s6
	v_dual_mul_f64 v[58:59], v[54:55], v[54:55] :: v_dual_bitop2_b32 v21, 1, v72 bitop3:0x40
	v_mul_f64_e32 v[60:61], v[66:67], v[66:67]
	v_cmp_class_f64_e64 s6, v[8:9], 0x1f8
	s_delay_alu instid0(VALU_DEP_4) | instskip(NEXT) | instid1(VALU_DEP_4)
	v_dual_mul_f64 v[86:87], 0.5, v[68:69] :: v_dual_bitop2_b32 v8, 1, v74 bitop3:0x40
	v_cmp_eq_u32_e32 vcc_lo, 0, v21
	v_mul_f64_e32 v[78:79], 0.5, v[56:57]
	s_delay_alu instid0(VALU_DEP_3)
	v_cmp_eq_u32_e64 s7, 0, v8
	v_lshlrev_b32_e32 v8, 30, v74
	v_mul_f64_e32 v[62:63], 0.5, v[58:59]
	v_mul_f64_e64 v[80:81], v[54:55], -v[58:59]
	v_fmamk_f64 v[84:85], v[58:59], 0x3de5e0b2f9a43bb8, v[44:45]
	v_fmamk_f64 v[90:91], v[60:61], 0x3de5e0b2f9a43bb8, v[44:45]
	s_delay_alu instid0(VALU_DEP_2) | instskip(NEXT) | instid1(VALU_DEP_2)
	v_fmaak_f64 v[84:85], v[58:59], v[84:85], 0x3ec71de3796cde01
	v_fmaak_f64 v[90:91], v[60:61], v[90:91], 0x3ec71de3796cde01
	s_delay_alu instid0(VALU_DEP_2) | instskip(NEXT) | instid1(VALU_DEP_1)
	v_fmaak_f64 v[84:85], v[58:59], v[84:85], 0xbf2a01a019e83e5c
	v_fmaak_f64 v[84:85], v[58:59], v[84:85], 0x3f81111111110bb3
	v_add_f64_e64 v[70:71], -v[62:63], 1.0
	s_delay_alu instid0(VALU_DEP_2) | instskip(SKIP_1) | instid1(VALU_DEP_3)
	v_fmac_f64_e32 v[78:79], v[80:81], v[84:85]
	v_mul_f64_e32 v[84:85], v[58:59], v[58:59]
	v_add_f64_e64 v[82:83], -v[70:71], 1.0
	s_delay_alu instid0(VALU_DEP_3) | instskip(NEXT) | instid1(VALU_DEP_2)
	v_fma_f64 v[78:79], v[58:59], v[78:79], -v[56:57]
	v_add_f64_e64 v[62:63], v[82:83], -v[62:63]
	s_delay_alu instid0(VALU_DEP_2) | instskip(SKIP_1) | instid1(VALU_DEP_1)
	v_fmac_f64_e32 v[78:79], 0xbfc5555555555555, v[80:81]
	v_fmaak_f64 v[82:83], v[60:61], v[90:91], 0xbf2a01a019e83e5c
	v_fmaak_f64 v[82:83], v[60:61], v[82:83], 0x3f81111111110bb3
	s_delay_alu instid0(VALU_DEP_4) | instskip(NEXT) | instid1(VALU_DEP_4)
	v_fma_f64 v[56:57], v[54:55], -v[56:57], v[62:63]
	v_add_f64_e64 v[54:55], v[54:55], -v[78:79]
	v_mul_f64_e64 v[88:89], v[66:67], -v[60:61]
	s_delay_alu instid0(VALU_DEP_1) | instskip(SKIP_1) | instid1(VALU_DEP_1)
	v_fmac_f64_e32 v[86:87], v[88:89], v[82:83]
	v_fmamk_f64 v[82:83], v[58:59], 0xbda907db46cc5e42, v[42:43]
	v_fmaak_f64 v[62:63], v[58:59], v[82:83], 0xbe927e4fa17f65f6
	s_delay_alu instid0(VALU_DEP_1) | instskip(NEXT) | instid1(VALU_DEP_1)
	v_fmaak_f64 v[62:63], v[58:59], v[62:63], 0x3efa01a019f4ec90
	v_fmaak_f64 v[62:63], v[58:59], v[62:63], 0xbf56c16c16c16967
	s_delay_alu instid0(VALU_DEP_1) | instskip(NEXT) | instid1(VALU_DEP_1)
	v_fmaak_f64 v[58:59], v[58:59], v[62:63], 0x3fa5555555555555
	v_fmac_f64_e32 v[56:57], v[84:85], v[58:59]
	s_delay_alu instid0(VALU_DEP_1) | instskip(NEXT) | instid1(VALU_DEP_1)
	v_add_f64_e32 v[56:57], v[70:71], v[56:57]
	v_dual_cndmask_b32 v21, v56, v54 :: v_dual_lshlrev_b32 v54, 30, v72
	v_mul_f64_e32 v[64:65], 0.5, v[60:61]
	v_fma_f64 v[82:83], v[60:61], v[86:87], -v[68:69]
	v_fmamk_f64 v[86:87], v[60:61], 0xbda907db46cc5e42, v[42:43]
	v_mul_f64_e32 v[90:91], v[60:61], v[60:61]
	v_dual_cndmask_b32 v54, v57, v55, vcc_lo :: v_dual_bitop2_b32 v9, v54, v9 bitop3:0x14
	s_delay_alu instid0(VALU_DEP_3) | instskip(NEXT) | instid1(VALU_DEP_2)
	v_fmaak_f64 v[62:63], v[60:61], v[86:87], 0xbe927e4fa17f65f6
	v_bitop3_b32 v9, v54, v9, 0x80000000 bitop3:0x78
	s_delay_alu instid0(VALU_DEP_1) | instskip(NEXT) | instid1(VALU_DEP_3)
	v_cndmask_b32_e64 v9, 0x7ff80000, v9, s6
	v_fmaak_f64 v[58:59], v[60:61], v[62:63], 0x3efa01a019f4ec90
	s_delay_alu instid0(VALU_DEP_1) | instskip(NEXT) | instid1(VALU_DEP_1)
	v_fmaak_f64 v[58:59], v[60:61], v[58:59], 0xbf56c16c16c16967
	v_fmaak_f64 v[58:59], v[60:61], v[58:59], 0x3fa5555555555555
	v_add_f64_e64 v[76:77], -v[64:65], 1.0
	v_fmac_f64_e32 v[82:83], 0xbfc5555555555555, v[88:89]
	s_delay_alu instid0(VALU_DEP_2) | instskip(NEXT) | instid1(VALU_DEP_1)
	v_add_f64_e64 v[92:93], -v[76:77], 1.0
	v_add_f64_e64 v[64:65], v[92:93], -v[64:65]
	s_delay_alu instid0(VALU_DEP_1) | instskip(NEXT) | instid1(VALU_DEP_1)
	v_fma_f64 v[64:65], v[66:67], -v[68:69], v[64:65]
	v_fmac_f64_e32 v[64:65], v[90:91], v[58:59]
	v_add_f64_e64 v[58:59], v[66:67], -v[82:83]
	s_delay_alu instid0(VALU_DEP_2) | instskip(NEXT) | instid1(VALU_DEP_2)
	v_add_f64_e32 v[60:61], v[76:77], v[64:65]
	v_xor_b32_e32 v56, 0x80000000, v59
	s_delay_alu instid0(VALU_DEP_1) | instskip(NEXT) | instid1(VALU_DEP_1)
	v_dual_cndmask_b32 v56, v56, v61, s7 :: v_dual_cndmask_b32 v55, v58, v60, s7
	v_bitop3_b32 v56, v56, v8, 0x80000000 bitop3:0x78
	s_delay_alu instid0(VALU_DEP_2) | instskip(NEXT) | instid1(VALU_DEP_2)
	v_dual_cndmask_b32 v8, 0, v21, s6 :: v_dual_cndmask_b32 v54, 0, v55, s6
	v_cndmask_b32_e64 v55, 0x7ff80000, v56, s6
	s_delay_alu instid0(VALU_DEP_1)
	v_mul_f64_e32 v[8:9], v[8:9], v[54:55]
.LBB161_48:                             ;   in Loop: Header=BB161_4 Depth=1
	s_or_b32 exec_lo, exec_lo, s38
	s_delay_alu instid0(VALU_DEP_1) | instskip(SKIP_1) | instid1(VALU_DEP_2)
	v_bfi_b32 v21, 0x7fffffff, 0, v9
	v_add_nc_u32_e32 v7, -2.0, v7
	v_mov_b64_e32 v[8:9], v[20:21]
.LBB161_49:                             ;   in Loop: Header=BB161_4 Depth=1
	s_or_b32 exec_lo, exec_lo, s37
.LBB161_50:                             ;   in Loop: Header=BB161_4 Depth=1
	s_delay_alu instid0(SALU_CYCLE_1) | instskip(SKIP_2) | instid1(VALU_DEP_1)
	s_or_b32 exec_lo, exec_lo, s36
	v_and_b32_e32 v58, 0x7fffffff, v3
	s_mov_b32 s6, exec_lo
	v_cmpx_gt_u32_e32 0x7ff00000, v58
	s_xor_b32 s7, exec_lo, s6
	s_cbranch_execz .LBB161_72
; %bb.51:                               ;   in Loop: Header=BB161_4 Depth=1
	v_cmp_class_f64_e64 s6, v[4:5], 0x1f8
	s_and_saveexec_b32 s36, s6
	s_delay_alu instid0(SALU_CYCLE_1)
	s_xor_b32 s36, exec_lo, s36
	s_cbranch_execz .LBB161_69
; %bb.52:                               ;   in Loop: Header=BB161_4 Depth=1
	s_mov_b32 s6, exec_lo
	v_cmpx_gt_u32_e32 0x40360000, v58
	s_xor_b32 s37, exec_lo, s6
	s_cbranch_execz .LBB161_58
; %bb.53:                               ;   in Loop: Header=BB161_4 Depth=1
	v_cmp_ngt_f64_e64 s6, 0x41d00000, |v[4:5]|
                                        ; implicit-def: $vgpr59
                                        ; implicit-def: $vgpr54_vgpr55
                                        ; implicit-def: $vgpr56_vgpr57
	s_and_saveexec_b32 s38, s6
	s_delay_alu instid0(SALU_CYCLE_1)
	s_xor_b32 s6, exec_lo, s38
	s_cbranch_execz .LBB161_55
; %bb.54:                               ;   in Loop: Header=BB161_4 Depth=1
	v_ldexp_f64 v[54:55], |v[4:5]|, 0xffffff80
	v_cmp_le_f64_e64 vcc_lo, 0x7b000000, |v[4:5]|
	v_trig_preop_f64 v[56:57], |v[4:5]|, 0
	v_and_b32_e32 v21, 0x7fffffff, v5
	v_trig_preop_f64 v[60:61], |v[4:5]|, 1
	v_trig_preop_f64 v[70:71], |v[4:5]|, 2
	s_delay_alu instid0(VALU_DEP_3) | instskip(NEXT) | instid1(VALU_DEP_1)
	v_dual_cndmask_b32 v55, v21, v55 :: v_dual_cndmask_b32 v54, v4, v54
	v_mul_f64_e32 v[62:63], v[56:57], v[54:55]
	s_delay_alu instid0(VALU_DEP_4) | instskip(NEXT) | instid1(VALU_DEP_4)
	v_mul_f64_e32 v[64:65], v[60:61], v[54:55]
	v_mul_f64_e32 v[76:77], v[70:71], v[54:55]
	s_delay_alu instid0(VALU_DEP_3) | instskip(NEXT) | instid1(VALU_DEP_3)
	v_fma_f64 v[56:57], v[56:57], v[54:55], -v[62:63]
	v_fma_f64 v[60:61], v[60:61], v[54:55], -v[64:65]
	s_delay_alu instid0(VALU_DEP_3) | instskip(NEXT) | instid1(VALU_DEP_3)
	v_fma_f64 v[54:55], v[70:71], v[54:55], -v[76:77]
	v_add_f64_e32 v[66:67], v[64:65], v[56:57]
	s_delay_alu instid0(VALU_DEP_1) | instskip(SKIP_1) | instid1(VALU_DEP_2)
	v_add_f64_e64 v[68:69], v[66:67], -v[64:65]
	v_add_f64_e32 v[74:75], v[62:63], v[66:67]
	v_add_f64_e64 v[72:73], v[66:67], -v[68:69]
	v_add_f64_e64 v[56:57], v[56:57], -v[68:69]
	s_delay_alu instid0(VALU_DEP_3) | instskip(NEXT) | instid1(VALU_DEP_3)
	v_ldexp_f64 v[68:69], v[74:75], -2
	v_add_f64_e64 v[64:65], v[64:65], -v[72:73]
	v_add_f64_e32 v[72:73], v[76:77], v[60:61]
	s_delay_alu instid0(VALU_DEP_3) | instskip(NEXT) | instid1(VALU_DEP_3)
	v_cmp_neq_f64_e64 vcc_lo, 0x7ff00000, |v[68:69]|
	v_add_f64_e32 v[56:57], v[56:57], v[64:65]
	v_fract_f64_e32 v[64:65], v[68:69]
	s_delay_alu instid0(VALU_DEP_1) | instskip(NEXT) | instid1(VALU_DEP_1)
	v_ldexp_f64 v[64:65], v[64:65], 2
	v_dual_add_f64 v[62:63], v[74:75], -v[62:63] :: v_dual_cndmask_b32 v65, 0, v65, vcc_lo
	s_delay_alu instid0(VALU_DEP_1) | instskip(SKIP_1) | instid1(VALU_DEP_1)
	v_dual_add_f64 v[62:63], v[66:67], -v[62:63] :: v_dual_cndmask_b32 v64, 0, v64, vcc_lo
	v_add_f64_e32 v[66:67], v[72:73], v[56:57]
	v_add_f64_e32 v[68:69], v[62:63], v[66:67]
	v_add_f64_e64 v[78:79], v[66:67], -v[72:73]
	s_delay_alu instid0(VALU_DEP_2) | instskip(NEXT) | instid1(VALU_DEP_2)
	v_add_f64_e32 v[74:75], v[68:69], v[64:65]
	v_add_f64_e64 v[84:85], v[66:67], -v[78:79]
	v_add_f64_e64 v[56:57], v[56:57], -v[78:79]
	;; [unrolled: 1-line block ×3, first 2 shown]
	s_delay_alu instid0(VALU_DEP_4) | instskip(SKIP_1) | instid1(VALU_DEP_3)
	v_cmp_gt_f64_e32 vcc_lo, 0, v[74:75]
	v_add_f64_e64 v[74:75], v[72:73], -v[76:77]
	v_add_f64_e64 v[62:63], v[66:67], -v[62:63]
	v_cndmask_b32_e64 v21, 0, 0x40100000, vcc_lo
	s_delay_alu instid0(VALU_DEP_3) | instskip(SKIP_2) | instid1(VALU_DEP_4)
	v_add_f64_e64 v[82:83], v[72:73], -v[74:75]
	v_add_f64_e64 v[60:61], v[60:61], -v[74:75]
	;; [unrolled: 1-line block ×3, first 2 shown]
	v_add_f64_e32 v[64:65], v[64:65], v[20:21]
	s_delay_alu instid0(VALU_DEP_4) | instskip(NEXT) | instid1(VALU_DEP_3)
	v_add_f64_e64 v[74:75], v[76:77], -v[82:83]
	v_add_f64_e32 v[56:57], v[56:57], v[72:73]
	s_delay_alu instid0(VALU_DEP_3) | instskip(NEXT) | instid1(VALU_DEP_3)
	v_add_f64_e32 v[80:81], v[68:69], v[64:65]
	v_add_f64_e32 v[60:61], v[60:61], v[74:75]
	s_delay_alu instid0(VALU_DEP_2) | instskip(NEXT) | instid1(VALU_DEP_2)
	v_cvt_i32_f64_e32 v21, v[80:81]
	v_add_f64_e32 v[56:57], v[60:61], v[56:57]
	s_delay_alu instid0(VALU_DEP_2) | instskip(NEXT) | instid1(VALU_DEP_2)
	v_cvt_f64_i32_e32 v[78:79], v21
	v_add_f64_e32 v[54:55], v[54:55], v[56:57]
	s_delay_alu instid0(VALU_DEP_2) | instskip(NEXT) | instid1(VALU_DEP_2)
	v_add_f64_e64 v[64:65], v[64:65], -v[78:79]
	v_add_f64_e32 v[54:55], v[62:63], v[54:55]
	s_delay_alu instid0(VALU_DEP_2) | instskip(NEXT) | instid1(VALU_DEP_1)
	v_add_f64_e32 v[60:61], v[68:69], v[64:65]
	v_add_f64_e64 v[56:57], v[60:61], -v[64:65]
	v_cmp_le_f64_e32 vcc_lo, 0.5, v[60:61]
	s_delay_alu instid0(VALU_DEP_2) | instskip(SKIP_2) | instid1(VALU_DEP_3)
	v_add_f64_e64 v[56:57], v[68:69], -v[56:57]
	v_add_co_ci_u32_e64 v59, null, 0, v21, vcc_lo
	v_cndmask_b32_e64 v21, 0, 0x3ff00000, vcc_lo
	v_add_f64_e32 v[54:55], v[54:55], v[56:57]
	s_delay_alu instid0(VALU_DEP_2) | instskip(NEXT) | instid1(VALU_DEP_1)
	v_add_f64_e64 v[56:57], v[60:61], -v[20:21]
	v_add_f64_e32 v[60:61], v[56:57], v[54:55]
	s_delay_alu instid0(VALU_DEP_1) | instskip(SKIP_1) | instid1(VALU_DEP_2)
	v_mul_f64_e32 v[62:63], 0x3ff921fb54442d18, v[60:61]
	v_add_f64_e64 v[56:57], v[60:61], -v[56:57]
	v_fma_f64 v[64:65], v[60:61], s[16:17], -v[62:63]
	s_delay_alu instid0(VALU_DEP_2) | instskip(NEXT) | instid1(VALU_DEP_2)
	v_add_f64_e64 v[54:55], v[54:55], -v[56:57]
	v_fmac_f64_e32 v[64:65], 0x3c91a62633145c07, v[60:61]
	s_delay_alu instid0(VALU_DEP_1) | instskip(NEXT) | instid1(VALU_DEP_1)
	v_fmac_f64_e32 v[64:65], 0x3ff921fb54442d18, v[54:55]
	v_add_f64_e32 v[54:55], v[62:63], v[64:65]
	s_delay_alu instid0(VALU_DEP_1) | instskip(NEXT) | instid1(VALU_DEP_1)
	v_add_f64_e64 v[56:57], v[54:55], -v[62:63]
	v_add_f64_e64 v[56:57], v[64:65], -v[56:57]
.LBB161_55:                             ;   in Loop: Header=BB161_4 Depth=1
	s_and_not1_saveexec_b32 s6, s6
	s_cbranch_execz .LBB161_57
; %bb.56:                               ;   in Loop: Header=BB161_4 Depth=1
	v_mul_f64_e64 v[54:55], |v[4:5]|, s[18:19]
	s_delay_alu instid0(VALU_DEP_1) | instskip(NEXT) | instid1(VALU_DEP_1)
	v_rndne_f64_e32 v[60:61], v[54:55]
	v_fma_f64 v[54:55], v[60:61], s[20:21], |v[4:5]|
	v_mul_f64_e32 v[56:57], 0xbc91a62633145c00, v[60:61]
	v_cvt_i32_f64_e32 v59, v[60:61]
	s_delay_alu instid0(VALU_DEP_3) | instskip(NEXT) | instid1(VALU_DEP_3)
	v_fmamk_f64 v[66:67], v[60:61], 0xbc91a62633145c00, v[54:55]
	v_add_f64_e32 v[62:63], v[54:55], v[56:57]
	s_delay_alu instid0(VALU_DEP_1) | instskip(NEXT) | instid1(VALU_DEP_3)
	v_add_f64_e64 v[64:65], v[54:55], -v[62:63]
	v_add_f64_e64 v[54:55], v[62:63], -v[66:67]
	s_delay_alu instid0(VALU_DEP_2) | instskip(SKIP_1) | instid1(VALU_DEP_2)
	v_add_f64_e32 v[62:63], v[64:65], v[56:57]
	v_fmamk_f64 v[56:57], v[60:61], 0x3c91a62633145c00, v[56:57]
	v_add_f64_e32 v[54:55], v[54:55], v[62:63]
	s_delay_alu instid0(VALU_DEP_1) | instskip(NEXT) | instid1(VALU_DEP_1)
	v_add_f64_e64 v[56:57], v[54:55], -v[56:57]
	v_fmac_f64_e32 v[56:57], 0xb97b839a252049c0, v[60:61]
	s_delay_alu instid0(VALU_DEP_1) | instskip(NEXT) | instid1(VALU_DEP_1)
	v_add_f64_e32 v[54:55], v[66:67], v[56:57]
	v_add_f64_e64 v[62:63], v[54:55], -v[66:67]
	s_delay_alu instid0(VALU_DEP_1)
	v_add_f64_e64 v[56:57], v[56:57], -v[62:63]
.LBB161_57:                             ;   in Loop: Header=BB161_4 Depth=1
	s_or_b32 exec_lo, exec_lo, s6
	v_add_f64_e64 v[60:61], |v[2:3]|, s[22:23]
	v_cmp_nge_f64_e64 vcc_lo, |v[2:3]|, s[28:29]
	v_mul_f64_e32 v[78:79], v[54:55], v[54:55]
	s_delay_alu instid0(VALU_DEP_4) | instskip(NEXT) | instid1(VALU_DEP_4)
	v_add_f64_e32 v[80:81], v[56:57], v[56:57]
	v_add_f64_e64 v[62:63], v[60:61], -|v[2:3]|
	s_delay_alu instid0(VALU_DEP_3) | instskip(NEXT) | instid1(VALU_DEP_2)
	v_fma_f64 v[82:83], v[54:55], v[54:55], -v[78:79]
	v_add_f64_e64 v[64:65], v[62:63], -v[60:61]
	v_add_f64_e32 v[62:63], 0x3fe62e42fefa39ef, v[62:63]
	s_delay_alu instid0(VALU_DEP_3) | instskip(NEXT) | instid1(VALU_DEP_3)
	v_fmac_f64_e32 v[82:83], v[54:55], v[80:81]
	v_add_f64_e64 v[64:65], |v[2:3]|, v[64:65]
	s_delay_alu instid0(VALU_DEP_2) | instskip(NEXT) | instid1(VALU_DEP_2)
	v_add_f64_e32 v[78:79], v[78:79], v[82:83]
	v_add_f64_e64 v[62:63], v[64:65], -v[62:63]
	s_delay_alu instid0(VALU_DEP_2) | instskip(NEXT) | instid1(VALU_DEP_1)
	v_fmamk_f64 v[82:83], v[78:79], 0x3ef5e089c751c08c, v[26:27]
	v_fmaak_f64 v[82:83], v[78:79], v[82:83], 0x3f17746f90a8aae0
	s_delay_alu instid0(VALU_DEP_1) | instskip(NEXT) | instid1(VALU_DEP_4)
	v_fmaak_f64 v[82:83], v[78:79], v[82:83], 0xbefbb44da6fbf144
	v_add_f64_e32 v[62:63], 0xbc7abc9e3b39803f, v[62:63]
	s_delay_alu instid0(VALU_DEP_1) | instskip(NEXT) | instid1(VALU_DEP_1)
	v_add_f64_e32 v[64:65], v[60:61], v[62:63]
	v_mul_f64_e32 v[66:67], 0x3ff71547652b82fe, v[64:65]
	v_add_f64_e64 v[60:61], v[60:61], -v[64:65]
	s_delay_alu instid0(VALU_DEP_2) | instskip(NEXT) | instid1(VALU_DEP_2)
	v_rndne_f64_e32 v[66:67], v[66:67]
	v_add_f64_e32 v[60:61], v[62:63], v[60:61]
	s_delay_alu instid0(VALU_DEP_2) | instskip(SKIP_2) | instid1(VALU_DEP_3)
	v_fmac_f64_e32 v[64:65], 0xbfe62e42fefa3000, v[66:67]
	v_mul_f64_e32 v[62:63], 0xbd53de6af278e000, v[66:67]
	v_cvt_i32_f64_e32 v4, v[66:67]
	v_add_f64_e32 v[68:69], v[60:61], v[64:65]
	s_delay_alu instid0(VALU_DEP_1) | instskip(SKIP_1) | instid1(VALU_DEP_2)
	v_add_f64_e32 v[70:71], v[68:69], v[62:63]
	v_add_f64_e64 v[64:65], v[64:65], -v[68:69]
	v_add_f64_e64 v[68:69], v[68:69], -v[70:71]
	s_delay_alu instid0(VALU_DEP_2) | instskip(NEXT) | instid1(VALU_DEP_2)
	v_add_f64_e32 v[60:61], v[60:61], v[64:65]
	v_add_f64_e32 v[62:63], v[68:69], v[62:63]
	s_delay_alu instid0(VALU_DEP_1) | instskip(SKIP_1) | instid1(VALU_DEP_2)
	v_add_f64_e32 v[60:61], v[60:61], v[62:63]
	v_mul_f64_e32 v[62:63], 0xbac9cc01f97b57a0, v[66:67]
	v_add_f64_e32 v[64:65], v[70:71], v[60:61]
	s_delay_alu instid0(VALU_DEP_1) | instskip(SKIP_1) | instid1(VALU_DEP_2)
	v_add_f64_e32 v[68:69], v[64:65], v[62:63]
	v_add_f64_e64 v[70:71], v[70:71], -v[64:65]
	v_add_f64_e64 v[64:65], v[64:65], -v[68:69]
	s_delay_alu instid0(VALU_DEP_2) | instskip(NEXT) | instid1(VALU_DEP_2)
	v_add_f64_e32 v[60:61], v[60:61], v[70:71]
	v_add_f64_e32 v[62:63], v[64:65], v[62:63]
	s_delay_alu instid0(VALU_DEP_1) | instskip(NEXT) | instid1(VALU_DEP_1)
	v_add_f64_e32 v[60:61], v[60:61], v[62:63]
	v_add_f64_e32 v[62:63], v[68:69], v[60:61]
	s_delay_alu instid0(VALU_DEP_1) | instskip(SKIP_1) | instid1(VALU_DEP_2)
	v_add_f64_e64 v[64:65], v[68:69], -v[62:63]
	v_mul_f64_e32 v[68:69], v[62:63], v[62:63]
	v_add_f64_e32 v[60:61], v[60:61], v[64:65]
	s_delay_alu instid0(VALU_DEP_2) | instskip(NEXT) | instid1(VALU_DEP_2)
	v_fma_f64 v[64:65], v[62:63], v[62:63], -v[68:69]
	v_add_f64_e32 v[70:71], v[60:61], v[60:61]
	s_delay_alu instid0(VALU_DEP_1) | instskip(SKIP_1) | instid1(VALU_DEP_1)
	v_fmac_f64_e32 v[64:65], v[62:63], v[70:71]
	v_fmamk_f64 v[70:71], v[62:63], 0x3e5ade156a5dcb37, v[28:29]
	v_fmaak_f64 v[70:71], v[62:63], v[70:71], 0x3ec71dee623fde64
	s_delay_alu instid0(VALU_DEP_1) | instskip(NEXT) | instid1(VALU_DEP_1)
	v_fmaak_f64 v[70:71], v[62:63], v[70:71], 0x3efa01997c89e6b0
	v_fmaak_f64 v[70:71], v[62:63], v[70:71], 0x3f2a01a014761f6e
	s_delay_alu instid0(VALU_DEP_1) | instskip(SKIP_1) | instid1(VALU_DEP_2)
	v_fmaak_f64 v[70:71], v[62:63], v[70:71], 0x3f56c16c1852b7b0
	v_add_f64_e32 v[72:73], v[68:69], v[64:65]
	v_fmaak_f64 v[70:71], v[62:63], v[70:71], 0x3f81111111122322
	s_delay_alu instid0(VALU_DEP_1) | instskip(NEXT) | instid1(VALU_DEP_1)
	v_fmaak_f64 v[70:71], v[62:63], v[70:71], 0x3fa55555555502a1
	v_fmaak_f64 v[70:71], v[62:63], v[70:71], 0x3fc5555555555511
	s_delay_alu instid0(VALU_DEP_1) | instskip(SKIP_1) | instid1(VALU_DEP_2)
	v_fmaak_f64 v[70:71], v[62:63], v[70:71], 0x3fe000000000000b
	v_add_f64_e64 v[68:69], v[72:73], -v[68:69]
	v_mul_f64_e32 v[74:75], v[72:73], v[70:71]
	s_delay_alu instid0(VALU_DEP_2) | instskip(NEXT) | instid1(VALU_DEP_2)
	v_add_f64_e64 v[64:65], v[64:65], -v[68:69]
	v_fma_f64 v[68:69], v[72:73], v[70:71], -v[74:75]
	s_delay_alu instid0(VALU_DEP_1) | instskip(NEXT) | instid1(VALU_DEP_1)
	v_fmac_f64_e32 v[68:69], v[64:65], v[70:71]
	v_add_f64_e32 v[64:65], v[74:75], v[68:69]
	s_delay_alu instid0(VALU_DEP_1) | instskip(SKIP_1) | instid1(VALU_DEP_2)
	v_add_f64_e32 v[70:71], v[62:63], v[64:65]
	v_add_f64_e64 v[72:73], v[64:65], -v[74:75]
	v_add_f64_e64 v[62:63], v[70:71], -v[62:63]
	s_delay_alu instid0(VALU_DEP_2) | instskip(NEXT) | instid1(VALU_DEP_2)
	v_add_f64_e64 v[68:69], v[68:69], -v[72:73]
	v_add_f64_e64 v[62:63], v[64:65], -v[62:63]
	s_delay_alu instid0(VALU_DEP_2) | instskip(NEXT) | instid1(VALU_DEP_1)
	v_add_f64_e32 v[60:61], v[60:61], v[68:69]
	v_add_f64_e32 v[60:61], v[60:61], v[62:63]
	s_delay_alu instid0(VALU_DEP_1) | instskip(NEXT) | instid1(VALU_DEP_1)
	v_add_f64_e32 v[62:63], v[70:71], v[60:61]
	v_add_f64_e32 v[64:65], 1.0, v[62:63]
	v_add_f64_e64 v[68:69], v[62:63], -v[70:71]
	s_delay_alu instid0(VALU_DEP_2) | instskip(NEXT) | instid1(VALU_DEP_2)
	v_add_f64_e32 v[70:71], -1.0, v[64:65]
	v_add_f64_e64 v[60:61], v[60:61], -v[68:69]
	s_delay_alu instid0(VALU_DEP_2) | instskip(NEXT) | instid1(VALU_DEP_1)
	v_add_f64_e64 v[62:63], v[62:63], -v[70:71]
	v_add_f64_e32 v[60:61], v[60:61], v[62:63]
	s_delay_alu instid0(VALU_DEP_1) | instskip(NEXT) | instid1(VALU_DEP_1)
	v_add_f64_e32 v[62:63], v[64:65], v[60:61]
	v_ldexp_f64 v[66:67], v[62:63], v4
	v_add_f64_e64 v[62:63], v[62:63], -v[64:65]
	s_delay_alu instid0(VALU_DEP_2) | instskip(NEXT) | instid1(VALU_DEP_1)
	v_rcp_f64_e32 v[68:69], v[66:67]
	v_add_f64_e64 v[60:61], v[60:61], -v[62:63]
	s_delay_alu instid0(VALU_DEP_1) | instskip(NEXT) | instid1(TRANS32_DEP_1)
	v_ldexp_f64 v[60:61], v[60:61], v4
	v_fma_f64 v[70:71], -v[66:67], v[68:69], 1.0
	s_delay_alu instid0(VALU_DEP_1) | instskip(NEXT) | instid1(VALU_DEP_1)
	v_fmac_f64_e32 v[68:69], v[70:71], v[68:69]
	v_fma_f64 v[70:71], -v[66:67], v[68:69], 1.0
	s_delay_alu instid0(VALU_DEP_1) | instskip(NEXT) | instid1(VALU_DEP_1)
	v_fmac_f64_e32 v[68:69], v[70:71], v[68:69]
	v_mul_f64_e32 v[62:63], v[66:67], v[68:69]
	s_delay_alu instid0(VALU_DEP_1) | instskip(NEXT) | instid1(VALU_DEP_1)
	v_fma_f64 v[64:65], v[68:69], v[66:67], -v[62:63]
	v_fmac_f64_e32 v[64:65], v[68:69], v[60:61]
	s_delay_alu instid0(VALU_DEP_1) | instskip(NEXT) | instid1(VALU_DEP_1)
	v_add_f64_e32 v[70:71], v[62:63], v[64:65]
	v_add_f64_e64 v[72:73], -v[70:71], 1.0
	v_add_f64_e64 v[62:63], v[70:71], -v[62:63]
	s_delay_alu instid0(VALU_DEP_2) | instskip(NEXT) | instid1(VALU_DEP_2)
	v_add_f64_e64 v[74:75], -v[72:73], 1.0
	v_add_f64_e64 v[62:63], v[62:63], -v[64:65]
	s_delay_alu instid0(VALU_DEP_2) | instskip(NEXT) | instid1(VALU_DEP_1)
	v_add_f64_e64 v[64:65], v[74:75], -v[70:71]
	v_add_f64_e32 v[62:63], v[62:63], v[64:65]
	s_delay_alu instid0(VALU_DEP_1) | instskip(NEXT) | instid1(VALU_DEP_1)
	v_add_f64_e32 v[64:65], v[72:73], v[62:63]
	v_mul_f64_e32 v[70:71], v[68:69], v[64:65]
	v_add_f64_e64 v[72:73], v[72:73], -v[64:65]
	s_delay_alu instid0(VALU_DEP_2) | instskip(NEXT) | instid1(VALU_DEP_2)
	v_mul_f64_e32 v[74:75], v[66:67], v[70:71]
	v_add_f64_e32 v[62:63], v[62:63], v[72:73]
	s_delay_alu instid0(VALU_DEP_2) | instskip(NEXT) | instid1(VALU_DEP_1)
	v_fma_f64 v[76:77], v[70:71], v[66:67], -v[74:75]
	v_fmac_f64_e32 v[76:77], v[70:71], v[60:61]
	s_delay_alu instid0(VALU_DEP_1) | instskip(NEXT) | instid1(VALU_DEP_1)
	v_add_f64_e32 v[84:85], v[74:75], v[76:77]
	v_add_f64_e64 v[80:81], v[64:65], -v[84:85]
	v_add_f64_e64 v[72:73], v[84:85], -v[74:75]
	v_fmaak_f64 v[74:75], v[78:79], v[82:83], 0x3f21e634a7943acf
	s_delay_alu instid0(VALU_DEP_1) | instskip(NEXT) | instid1(VALU_DEP_1)
	v_fmaak_f64 v[74:75], v[78:79], v[74:75], 0x3f2d250fdeb68feb
	v_fmaak_f64 v[74:75], v[78:79], v[74:75], 0x3f437fd9b58c4d95
	s_delay_alu instid0(VALU_DEP_1) | instskip(NEXT) | instid1(VALU_DEP_1)
	v_fmaak_f64 v[74:75], v[78:79], v[74:75], 0x3f57d5af15120e2c
	v_fmaak_f64 v[74:75], v[78:79], v[74:75], 0x3f6d6d93e09491df
	v_add_f64_e64 v[64:65], v[64:65], -v[80:81]
	v_add_f64_e64 v[72:73], v[72:73], -v[76:77]
	s_delay_alu instid0(VALU_DEP_2) | instskip(NEXT) | instid1(VALU_DEP_1)
	v_add_f64_e64 v[64:65], v[64:65], -v[84:85]
	v_add_f64_e32 v[62:63], v[62:63], v[64:65]
	v_fmaak_f64 v[64:65], v[78:79], v[74:75], 0x3f8226e12033784d
	v_add_f64_e32 v[74:75], v[68:69], v[70:71]
	s_delay_alu instid0(VALU_DEP_2) | instskip(NEXT) | instid1(VALU_DEP_1)
	v_fmaak_f64 v[64:65], v[78:79], v[64:65], 0x3f9664f49ac36ae2
	v_fmaak_f64 v[64:65], v[78:79], v[64:65], 0x3faba1ba1b451c21
	s_delay_alu instid0(VALU_DEP_1) | instskip(NEXT) | instid1(VALU_DEP_1)
	v_fmaak_f64 v[64:65], v[78:79], v[64:65], 0x3fc11111111185b7
	v_fmaak_f64 v[64:65], v[78:79], v[64:65], 0x3fd55555555554ee
	v_add_f64_e32 v[62:63], v[72:73], v[62:63]
	v_add_f64_e64 v[72:73], v[74:75], -v[68:69]
	s_delay_alu instid0(VALU_DEP_3) | instskip(NEXT) | instid1(VALU_DEP_3)
	v_mul_f64_e32 v[64:65], v[78:79], v[64:65]
	v_add_f64_e32 v[62:63], v[80:81], v[62:63]
	s_delay_alu instid0(VALU_DEP_3) | instskip(NEXT) | instid1(VALU_DEP_3)
	v_add_f64_e64 v[70:71], v[70:71], -v[72:73]
	v_mul_f64_e32 v[76:77], v[54:55], v[64:65]
	s_delay_alu instid0(VALU_DEP_3) | instskip(NEXT) | instid1(VALU_DEP_2)
	v_mul_f64_e32 v[62:63], v[68:69], v[62:63]
	v_add_f64_e32 v[68:69], v[54:55], v[76:77]
	v_fma_f64 v[64:65], v[54:55], v[64:65], -v[76:77]
	s_delay_alu instid0(VALU_DEP_3) | instskip(NEXT) | instid1(VALU_DEP_3)
	v_add_f64_e32 v[62:63], v[70:71], v[62:63]
	v_add_f64_e64 v[54:55], v[68:69], -v[54:55]
	s_delay_alu instid0(VALU_DEP_3) | instskip(NEXT) | instid1(VALU_DEP_3)
	v_add_f64_e32 v[56:57], v[56:57], v[64:65]
	v_add_f64_e32 v[70:71], v[74:75], v[62:63]
	s_delay_alu instid0(VALU_DEP_3) | instskip(NEXT) | instid1(VALU_DEP_2)
	v_add_f64_e64 v[54:55], v[76:77], -v[54:55]
	v_ldexp_f64 v[64:65], v[70:71], -2
	v_add_f64_e64 v[70:71], v[70:71], -v[74:75]
	s_delay_alu instid0(VALU_DEP_3) | instskip(NEXT) | instid1(VALU_DEP_3)
	v_add_f64_e32 v[54:55], v[56:57], v[54:55]
	v_add_f64_e64 v[56:57], v[66:67], -v[64:65]
	s_delay_alu instid0(VALU_DEP_3) | instskip(NEXT) | instid1(VALU_DEP_3)
	v_add_f64_e64 v[62:63], v[62:63], -v[70:71]
	v_add_f64_e32 v[72:73], v[68:69], v[54:55]
	s_delay_alu instid0(VALU_DEP_3) | instskip(NEXT) | instid1(VALU_DEP_3)
	v_add_f64_e64 v[66:67], v[66:67], -v[56:57]
	v_ldexp_f64 v[62:63], v[62:63], -2
	s_delay_alu instid0(VALU_DEP_3) | instskip(NEXT) | instid1(VALU_DEP_2)
	v_rcp_f64_e32 v[74:75], v[72:73]
	v_add_f64_e64 v[64:65], v[66:67], -v[64:65]
	s_delay_alu instid0(TRANS32_DEP_1) | instskip(NEXT) | instid1(VALU_DEP_2)
	v_fma_f64 v[66:67], -v[72:73], v[74:75], 1.0
	v_add_f64_e32 v[60:61], v[60:61], v[64:65]
	s_delay_alu instid0(VALU_DEP_2) | instskip(NEXT) | instid1(VALU_DEP_2)
	v_fmac_f64_e32 v[74:75], v[66:67], v[74:75]
	v_add_f64_e64 v[60:61], v[60:61], -v[62:63]
	s_delay_alu instid0(VALU_DEP_2) | instskip(NEXT) | instid1(VALU_DEP_2)
	v_fma_f64 v[62:63], -v[72:73], v[74:75], 1.0
	v_add_f64_e32 v[56:57], v[56:57], v[60:61]
	s_delay_alu instid0(VALU_DEP_2) | instskip(NEXT) | instid1(VALU_DEP_2)
	v_fmac_f64_e32 v[74:75], v[62:63], v[74:75]
	v_cndmask_b32_e32 v4, 0x7ff00000, v57, vcc_lo
	s_delay_alu instid0(VALU_DEP_3) | instskip(SKIP_4) | instid1(VALU_DEP_3)
	v_cndmask_b32_e32 v21, 0, v56, vcc_lo
	v_cmp_gt_f64_e64 vcc_lo, 0x3e400000, |v[2:3]|
	v_add_f64_e64 v[56:57], v[72:73], -v[68:69]
	v_mul_f64_e32 v[60:61], v[72:73], v[74:75]
	v_cndmask_b32_e32 v4, v4, v58, vcc_lo
	v_dual_add_f64 v[54:55], v[54:55], -v[56:57] :: v_dual_cndmask_b32 v2, v21, v2, vcc_lo
	s_delay_alu instid0(VALU_DEP_2) | instskip(NEXT) | instid1(VALU_DEP_4)
	v_bfi_b32 v3, 0x7fffffff, v4, v3
	v_fma_f64 v[56:57], v[74:75], v[72:73], -v[60:61]
	s_delay_alu instid0(VALU_DEP_2) | instskip(NEXT) | instid1(VALU_DEP_2)
	v_fma_f64 v[62:63], v[2:3], v[2:3], 1.0
	v_fmac_f64_e32 v[56:57], v[74:75], v[54:55]
	s_delay_alu instid0(VALU_DEP_2) | instskip(SKIP_1) | instid1(VALU_DEP_1)
	v_cmp_gt_f64_e32 vcc_lo, 0x10000000, v[62:63]
	v_cndmask_b32_e64 v4, 0, 0x100, vcc_lo
	v_ldexp_f64 v[54:55], v[62:63], v4
	s_delay_alu instid0(VALU_DEP_4) | instskip(NEXT) | instid1(VALU_DEP_1)
	v_dual_add_f64 v[62:63], v[60:61], v[56:57] :: v_dual_bitop2_b32 v4, 1, v59 bitop3:0x40
	v_cmp_eq_u32_e64 s6, 0, v4
	s_delay_alu instid0(VALU_DEP_3) | instskip(NEXT) | instid1(VALU_DEP_2)
	v_rsq_f64_e32 v[64:65], v[54:55]
	v_add_f64_e64 v[66:67], -v[62:63], 1.0
	v_add_f64_e64 v[60:61], v[62:63], -v[60:61]
	s_delay_alu instid0(VALU_DEP_2) | instskip(NEXT) | instid1(VALU_DEP_2)
	v_add_f64_e64 v[70:71], -v[66:67], 1.0
	v_add_f64_e64 v[56:57], v[60:61], -v[56:57]
	s_delay_alu instid0(TRANS32_DEP_1) | instskip(SKIP_1) | instid1(VALU_DEP_4)
	v_mul_f64_e32 v[68:69], v[54:55], v[64:65]
	v_mul_f64_e32 v[64:65], 0.5, v[64:65]
	v_add_f64_e64 v[60:61], v[70:71], -v[62:63]
	s_delay_alu instid0(VALU_DEP_2) | instskip(NEXT) | instid1(VALU_DEP_2)
	v_fma_f64 v[76:77], -v[64:65], v[68:69], 0.5
	v_add_f64_e32 v[56:57], v[56:57], v[60:61]
	s_delay_alu instid0(VALU_DEP_2) | instskip(SKIP_1) | instid1(VALU_DEP_3)
	v_fmac_f64_e32 v[68:69], v[68:69], v[76:77]
	v_fmac_f64_e32 v[64:65], v[64:65], v[76:77]
	v_add_f64_e32 v[56:57], v[66:67], v[56:57]
	s_delay_alu instid0(VALU_DEP_3) | instskip(NEXT) | instid1(VALU_DEP_2)
	v_fma_f64 v[60:61], -v[68:69], v[68:69], v[54:55]
	v_mul_f64_e32 v[56:57], v[74:75], v[56:57]
	s_delay_alu instid0(VALU_DEP_2) | instskip(NEXT) | instid1(VALU_DEP_2)
	v_fmac_f64_e32 v[68:69], v[60:61], v[64:65]
	v_add_f64_e32 v[56:57], v[74:75], v[56:57]
	s_delay_alu instid0(VALU_DEP_2) | instskip(NEXT) | instid1(VALU_DEP_2)
	v_fma_f64 v[60:61], -v[68:69], v[68:69], v[54:55]
	v_xor_b32_e32 v21, 0x80000000, v57
	s_delay_alu instid0(VALU_DEP_3) | instskip(SKIP_2) | instid1(VALU_DEP_4)
	v_cndmask_b32_e64 v4, v56, v72, s6
	v_cndmask_b32_e64 v56, 0, 0xffffff80, vcc_lo
	v_cmp_class_f64_e64 vcc_lo, v[54:55], 0x260
	v_cndmask_b32_e64 v21, v21, v73, s6
	v_fmac_f64_e32 v[68:69], v[60:61], v[64:65]
	s_delay_alu instid0(VALU_DEP_2) | instskip(NEXT) | instid1(VALU_DEP_1)
	v_bitop3_b32 v5, v21, v5, 0x80000000 bitop3:0x78
	v_fma_f64 v[58:59], v[4:5], v[4:5], 1.0
	s_delay_alu instid0(VALU_DEP_3) | instskip(NEXT) | instid1(VALU_DEP_1)
	v_ldexp_f64 v[56:57], v[68:69], v56
	v_dual_cndmask_b32 v55, v57, v55 :: v_dual_cndmask_b32 v54, v56, v54
	s_delay_alu instid0(VALU_DEP_3) | instskip(NEXT) | instid1(VALU_DEP_2)
	v_mul_f64_e32 v[56:57], v[2:3], v[58:59]
	v_mul_f64_e32 v[54:55], v[54:55], v[58:59]
	s_delay_alu instid0(VALU_DEP_2) | instskip(NEXT) | instid1(VALU_DEP_2)
	v_fma_f64 v[56:57], v[2:3], v[56:57], 1.0
	v_mul_f64_e32 v[2:3], v[2:3], v[54:55]
	s_delay_alu instid0(VALU_DEP_2) | instskip(NEXT) | instid1(VALU_DEP_2)
	v_div_scale_f64 v[58:59], null, v[56:57], v[56:57], v[4:5]
	v_div_scale_f64 v[54:55], null, v[56:57], v[56:57], v[2:3]
	v_div_scale_f64 v[68:69], vcc_lo, v[2:3], v[56:57], v[2:3]
	s_delay_alu instid0(VALU_DEP_3) | instskip(NEXT) | instid1(VALU_DEP_2)
	v_rcp_f64_e32 v[62:63], v[58:59]
	v_rcp_f64_e32 v[60:61], v[54:55]
	s_delay_alu instid0(TRANS32_DEP_2) | instskip(NEXT) | instid1(TRANS32_DEP_1)
	v_fma_f64 v[66:67], -v[58:59], v[62:63], 1.0
	v_fma_f64 v[64:65], -v[54:55], v[60:61], 1.0
	s_delay_alu instid0(VALU_DEP_2) | instskip(NEXT) | instid1(VALU_DEP_2)
	v_fmac_f64_e32 v[62:63], v[62:63], v[66:67]
	v_fmac_f64_e32 v[60:61], v[60:61], v[64:65]
	s_delay_alu instid0(VALU_DEP_2) | instskip(NEXT) | instid1(VALU_DEP_2)
	v_fma_f64 v[66:67], -v[58:59], v[62:63], 1.0
	v_fma_f64 v[64:65], -v[54:55], v[60:61], 1.0
	s_delay_alu instid0(VALU_DEP_2) | instskip(NEXT) | instid1(VALU_DEP_2)
	v_fmac_f64_e32 v[62:63], v[62:63], v[66:67]
	v_fmac_f64_e32 v[60:61], v[60:61], v[64:65]
	v_div_scale_f64 v[64:65], s6, v[4:5], v[56:57], v[4:5]
	s_delay_alu instid0(VALU_DEP_2) | instskip(NEXT) | instid1(VALU_DEP_2)
	v_mul_f64_e32 v[66:67], v[68:69], v[60:61]
	v_mul_f64_e32 v[70:71], v[64:65], v[62:63]
	s_delay_alu instid0(VALU_DEP_2) | instskip(NEXT) | instid1(VALU_DEP_2)
	v_fma_f64 v[54:55], -v[54:55], v[66:67], v[68:69]
	v_fma_f64 v[58:59], -v[58:59], v[70:71], v[64:65]
	s_delay_alu instid0(VALU_DEP_2) | instskip(SKIP_1) | instid1(VALU_DEP_2)
	v_div_fmas_f64 v[54:55], v[54:55], v[60:61], v[66:67]
	s_mov_b32 vcc_lo, s6
	v_div_fmas_f64 v[58:59], v[58:59], v[62:63], v[70:71]
	s_delay_alu instid0(VALU_DEP_2) | instskip(NEXT) | instid1(VALU_DEP_2)
	v_div_fixup_f64 v[2:3], v[54:55], v[56:57], v[2:3]
	v_div_fixup_f64 v[4:5], v[58:59], v[56:57], v[4:5]
.LBB161_58:                             ;   in Loop: Header=BB161_4 Depth=1
	s_and_not1_saveexec_b32 s6, s37
	s_cbranch_execz .LBB161_68
; %bb.59:                               ;   in Loop: Header=BB161_4 Depth=1
	s_delay_alu instid0(VALU_DEP_1) | instskip(SKIP_1) | instid1(SALU_CYCLE_1)
	v_cmp_ngt_f64_e64 s37, 0x41d00000, |v[4:5]|
                                        ; implicit-def: $vgpr62
                                        ; implicit-def: $vgpr54_vgpr55
                                        ; implicit-def: $vgpr56_vgpr57
	s_and_saveexec_b32 s38, s37
	s_xor_b32 s38, exec_lo, s38
	s_cbranch_execz .LBB161_61
; %bb.60:                               ;   in Loop: Header=BB161_4 Depth=1
	v_ldexp_f64 v[54:55], |v[4:5]|, 0xffffff80
	v_cmp_le_f64_e64 vcc_lo, 0x7b000000, |v[4:5]|
	v_trig_preop_f64 v[56:57], |v[4:5]|, 0
	v_and_b32_e32 v21, 0x7fffffff, v5
	v_trig_preop_f64 v[58:59], |v[4:5]|, 1
	v_trig_preop_f64 v[68:69], |v[4:5]|, 2
	s_delay_alu instid0(VALU_DEP_3) | instskip(NEXT) | instid1(VALU_DEP_1)
	v_dual_cndmask_b32 v55, v21, v55 :: v_dual_cndmask_b32 v54, v4, v54
	v_mul_f64_e32 v[60:61], v[56:57], v[54:55]
	s_delay_alu instid0(VALU_DEP_4) | instskip(NEXT) | instid1(VALU_DEP_4)
	v_mul_f64_e32 v[62:63], v[58:59], v[54:55]
	v_mul_f64_e32 v[74:75], v[68:69], v[54:55]
	s_delay_alu instid0(VALU_DEP_3) | instskip(NEXT) | instid1(VALU_DEP_3)
	v_fma_f64 v[56:57], v[56:57], v[54:55], -v[60:61]
	v_fma_f64 v[58:59], v[58:59], v[54:55], -v[62:63]
	s_delay_alu instid0(VALU_DEP_3) | instskip(NEXT) | instid1(VALU_DEP_3)
	v_fma_f64 v[54:55], v[68:69], v[54:55], -v[74:75]
	v_add_f64_e32 v[64:65], v[62:63], v[56:57]
	s_delay_alu instid0(VALU_DEP_1) | instskip(SKIP_1) | instid1(VALU_DEP_2)
	v_add_f64_e64 v[66:67], v[64:65], -v[62:63]
	v_add_f64_e32 v[72:73], v[60:61], v[64:65]
	v_add_f64_e64 v[70:71], v[64:65], -v[66:67]
	v_add_f64_e64 v[56:57], v[56:57], -v[66:67]
	s_delay_alu instid0(VALU_DEP_3) | instskip(NEXT) | instid1(VALU_DEP_3)
	v_ldexp_f64 v[66:67], v[72:73], -2
	v_add_f64_e64 v[62:63], v[62:63], -v[70:71]
	v_add_f64_e32 v[70:71], v[74:75], v[58:59]
	s_delay_alu instid0(VALU_DEP_3) | instskip(NEXT) | instid1(VALU_DEP_3)
	v_cmp_neq_f64_e64 vcc_lo, 0x7ff00000, |v[66:67]|
	v_add_f64_e32 v[56:57], v[56:57], v[62:63]
	v_fract_f64_e32 v[62:63], v[66:67]
	s_delay_alu instid0(VALU_DEP_1) | instskip(NEXT) | instid1(VALU_DEP_1)
	v_ldexp_f64 v[62:63], v[62:63], 2
	v_dual_add_f64 v[60:61], v[72:73], -v[60:61] :: v_dual_cndmask_b32 v62, 0, v62, vcc_lo
	s_delay_alu instid0(VALU_DEP_1) | instskip(SKIP_1) | instid1(VALU_DEP_1)
	v_dual_add_f64 v[60:61], v[64:65], -v[60:61] :: v_dual_cndmask_b32 v63, 0, v63, vcc_lo
	v_add_f64_e32 v[64:65], v[70:71], v[56:57]
	v_add_f64_e32 v[66:67], v[60:61], v[64:65]
	v_add_f64_e64 v[76:77], v[64:65], -v[70:71]
	s_delay_alu instid0(VALU_DEP_2) | instskip(NEXT) | instid1(VALU_DEP_2)
	v_add_f64_e32 v[72:73], v[66:67], v[62:63]
	v_add_f64_e64 v[82:83], v[64:65], -v[76:77]
	v_add_f64_e64 v[56:57], v[56:57], -v[76:77]
	;; [unrolled: 1-line block ×3, first 2 shown]
	s_delay_alu instid0(VALU_DEP_4) | instskip(SKIP_1) | instid1(VALU_DEP_3)
	v_cmp_gt_f64_e32 vcc_lo, 0, v[72:73]
	v_add_f64_e64 v[72:73], v[70:71], -v[74:75]
	v_add_f64_e64 v[60:61], v[64:65], -v[60:61]
	v_cndmask_b32_e64 v21, 0, 0x40100000, vcc_lo
	s_delay_alu instid0(VALU_DEP_3) | instskip(SKIP_2) | instid1(VALU_DEP_4)
	v_add_f64_e64 v[80:81], v[70:71], -v[72:73]
	v_add_f64_e64 v[58:59], v[58:59], -v[72:73]
	;; [unrolled: 1-line block ×3, first 2 shown]
	v_add_f64_e32 v[62:63], v[62:63], v[20:21]
	s_delay_alu instid0(VALU_DEP_4) | instskip(NEXT) | instid1(VALU_DEP_3)
	v_add_f64_e64 v[72:73], v[74:75], -v[80:81]
	v_add_f64_e32 v[56:57], v[56:57], v[70:71]
	s_delay_alu instid0(VALU_DEP_3) | instskip(NEXT) | instid1(VALU_DEP_3)
	v_add_f64_e32 v[78:79], v[66:67], v[62:63]
	v_add_f64_e32 v[58:59], v[58:59], v[72:73]
	s_delay_alu instid0(VALU_DEP_2) | instskip(NEXT) | instid1(VALU_DEP_2)
	v_cvt_i32_f64_e32 v21, v[78:79]
	v_add_f64_e32 v[56:57], v[58:59], v[56:57]
	s_delay_alu instid0(VALU_DEP_2) | instskip(NEXT) | instid1(VALU_DEP_2)
	v_cvt_f64_i32_e32 v[76:77], v21
	v_add_f64_e32 v[54:55], v[54:55], v[56:57]
	s_delay_alu instid0(VALU_DEP_2) | instskip(NEXT) | instid1(VALU_DEP_2)
	v_add_f64_e64 v[62:63], v[62:63], -v[76:77]
	v_add_f64_e32 v[54:55], v[60:61], v[54:55]
	s_delay_alu instid0(VALU_DEP_2) | instskip(NEXT) | instid1(VALU_DEP_1)
	v_add_f64_e32 v[58:59], v[66:67], v[62:63]
	v_add_f64_e64 v[56:57], v[58:59], -v[62:63]
	v_cmp_le_f64_e32 vcc_lo, 0.5, v[58:59]
	s_delay_alu instid0(VALU_DEP_2) | instskip(SKIP_2) | instid1(VALU_DEP_3)
	v_add_f64_e64 v[56:57], v[66:67], -v[56:57]
	v_add_co_ci_u32_e64 v62, null, 0, v21, vcc_lo
	v_cndmask_b32_e64 v21, 0, 0x3ff00000, vcc_lo
	v_add_f64_e32 v[54:55], v[54:55], v[56:57]
	s_delay_alu instid0(VALU_DEP_2) | instskip(NEXT) | instid1(VALU_DEP_1)
	v_add_f64_e64 v[56:57], v[58:59], -v[20:21]
	v_add_f64_e32 v[58:59], v[56:57], v[54:55]
	s_delay_alu instid0(VALU_DEP_1) | instskip(SKIP_1) | instid1(VALU_DEP_2)
	v_mul_f64_e32 v[60:61], 0x3ff921fb54442d18, v[58:59]
	v_add_f64_e64 v[56:57], v[58:59], -v[56:57]
	v_fma_f64 v[64:65], v[58:59], s[16:17], -v[60:61]
	s_delay_alu instid0(VALU_DEP_2) | instskip(NEXT) | instid1(VALU_DEP_2)
	v_add_f64_e64 v[54:55], v[54:55], -v[56:57]
	v_fmac_f64_e32 v[64:65], 0x3c91a62633145c07, v[58:59]
	s_delay_alu instid0(VALU_DEP_1) | instskip(NEXT) | instid1(VALU_DEP_1)
	v_fmac_f64_e32 v[64:65], 0x3ff921fb54442d18, v[54:55]
	v_add_f64_e32 v[54:55], v[60:61], v[64:65]
	s_delay_alu instid0(VALU_DEP_1) | instskip(NEXT) | instid1(VALU_DEP_1)
	v_add_f64_e64 v[56:57], v[54:55], -v[60:61]
	v_add_f64_e64 v[56:57], v[64:65], -v[56:57]
	s_and_not1_saveexec_b32 s38, s38
	s_cbranch_execz .LBB161_63
	s_branch .LBB161_62
.LBB161_61:                             ;   in Loop: Header=BB161_4 Depth=1
	s_and_not1_saveexec_b32 s38, s38
	s_cbranch_execz .LBB161_63
.LBB161_62:                             ;   in Loop: Header=BB161_4 Depth=1
	v_mul_f64_e64 v[54:55], |v[4:5]|, s[18:19]
	s_delay_alu instid0(VALU_DEP_1) | instskip(NEXT) | instid1(VALU_DEP_1)
	v_rndne_f64_e32 v[58:59], v[54:55]
	v_fma_f64 v[54:55], v[58:59], s[20:21], |v[4:5]|
	v_mul_f64_e32 v[56:57], 0xbc91a62633145c00, v[58:59]
	s_delay_alu instid0(VALU_DEP_2) | instskip(NEXT) | instid1(VALU_DEP_2)
	v_fmamk_f64 v[64:65], v[58:59], 0xbc91a62633145c00, v[54:55]
	v_add_f64_e32 v[60:61], v[54:55], v[56:57]
	s_delay_alu instid0(VALU_DEP_1) | instskip(NEXT) | instid1(VALU_DEP_3)
	v_add_f64_e64 v[62:63], v[54:55], -v[60:61]
	v_add_f64_e64 v[54:55], v[60:61], -v[64:65]
	s_delay_alu instid0(VALU_DEP_2) | instskip(SKIP_2) | instid1(VALU_DEP_3)
	v_add_f64_e32 v[60:61], v[62:63], v[56:57]
	v_fmamk_f64 v[56:57], v[58:59], 0x3c91a62633145c00, v[56:57]
	v_cvt_i32_f64_e32 v62, v[58:59]
	v_add_f64_e32 v[54:55], v[54:55], v[60:61]
	s_delay_alu instid0(VALU_DEP_1) | instskip(NEXT) | instid1(VALU_DEP_1)
	v_add_f64_e64 v[56:57], v[54:55], -v[56:57]
	v_fmac_f64_e32 v[56:57], 0xb97b839a252049c0, v[58:59]
	s_delay_alu instid0(VALU_DEP_1) | instskip(NEXT) | instid1(VALU_DEP_1)
	v_add_f64_e32 v[54:55], v[64:65], v[56:57]
	v_add_f64_e64 v[60:61], v[54:55], -v[64:65]
	s_delay_alu instid0(VALU_DEP_1)
	v_add_f64_e64 v[56:57], v[56:57], -v[60:61]
.LBB161_63:                             ;   in Loop: Header=BB161_4 Depth=1
	s_or_b32 exec_lo, exec_lo, s38
                                        ; implicit-def: $vgpr63
                                        ; implicit-def: $vgpr58_vgpr59
                                        ; implicit-def: $vgpr60_vgpr61
	s_and_saveexec_b32 s38, s37
	s_delay_alu instid0(SALU_CYCLE_1)
	s_xor_b32 s37, exec_lo, s38
	s_cbranch_execz .LBB161_65
; %bb.64:                               ;   in Loop: Header=BB161_4 Depth=1
	v_ldexp_f64 v[58:59], |v[4:5]|, 0xffffff80
	v_cmp_le_f64_e64 vcc_lo, 0x7b000000, |v[4:5]|
	v_trig_preop_f64 v[60:61], |v[4:5]|, 0
	v_and_b32_e32 v21, 0x7fffffff, v5
	v_trig_preop_f64 v[64:65], |v[4:5]|, 1
	v_trig_preop_f64 v[74:75], |v[4:5]|, 2
	s_delay_alu instid0(VALU_DEP_3) | instskip(NEXT) | instid1(VALU_DEP_1)
	v_dual_cndmask_b32 v59, v21, v59 :: v_dual_cndmask_b32 v58, v4, v58
	v_mul_f64_e32 v[66:67], v[60:61], v[58:59]
	s_delay_alu instid0(VALU_DEP_4) | instskip(NEXT) | instid1(VALU_DEP_4)
	v_mul_f64_e32 v[68:69], v[64:65], v[58:59]
	v_mul_f64_e32 v[80:81], v[74:75], v[58:59]
	s_delay_alu instid0(VALU_DEP_3) | instskip(NEXT) | instid1(VALU_DEP_3)
	v_fma_f64 v[60:61], v[60:61], v[58:59], -v[66:67]
	v_fma_f64 v[64:65], v[64:65], v[58:59], -v[68:69]
	s_delay_alu instid0(VALU_DEP_3) | instskip(NEXT) | instid1(VALU_DEP_3)
	v_fma_f64 v[58:59], v[74:75], v[58:59], -v[80:81]
	v_add_f64_e32 v[70:71], v[68:69], v[60:61]
	s_delay_alu instid0(VALU_DEP_1) | instskip(SKIP_1) | instid1(VALU_DEP_2)
	v_add_f64_e64 v[72:73], v[70:71], -v[68:69]
	v_add_f64_e32 v[78:79], v[66:67], v[70:71]
	v_add_f64_e64 v[76:77], v[70:71], -v[72:73]
	v_add_f64_e64 v[60:61], v[60:61], -v[72:73]
	s_delay_alu instid0(VALU_DEP_3) | instskip(NEXT) | instid1(VALU_DEP_3)
	v_ldexp_f64 v[72:73], v[78:79], -2
	v_add_f64_e64 v[68:69], v[68:69], -v[76:77]
	v_add_f64_e32 v[76:77], v[80:81], v[64:65]
	s_delay_alu instid0(VALU_DEP_3) | instskip(NEXT) | instid1(VALU_DEP_3)
	v_cmp_neq_f64_e64 vcc_lo, 0x7ff00000, |v[72:73]|
	v_add_f64_e32 v[60:61], v[60:61], v[68:69]
	v_fract_f64_e32 v[68:69], v[72:73]
	s_delay_alu instid0(VALU_DEP_1) | instskip(NEXT) | instid1(VALU_DEP_1)
	v_ldexp_f64 v[68:69], v[68:69], 2
	v_dual_add_f64 v[66:67], v[78:79], -v[66:67] :: v_dual_cndmask_b32 v69, 0, v69, vcc_lo
	s_delay_alu instid0(VALU_DEP_1) | instskip(SKIP_1) | instid1(VALU_DEP_1)
	v_dual_add_f64 v[66:67], v[70:71], -v[66:67] :: v_dual_cndmask_b32 v68, 0, v68, vcc_lo
	v_add_f64_e32 v[70:71], v[76:77], v[60:61]
	v_add_f64_e32 v[72:73], v[66:67], v[70:71]
	v_add_f64_e64 v[82:83], v[70:71], -v[76:77]
	s_delay_alu instid0(VALU_DEP_2) | instskip(NEXT) | instid1(VALU_DEP_2)
	v_add_f64_e32 v[78:79], v[72:73], v[68:69]
	v_add_f64_e64 v[88:89], v[70:71], -v[82:83]
	v_add_f64_e64 v[60:61], v[60:61], -v[82:83]
	;; [unrolled: 1-line block ×3, first 2 shown]
	s_delay_alu instid0(VALU_DEP_4) | instskip(SKIP_1) | instid1(VALU_DEP_3)
	v_cmp_gt_f64_e32 vcc_lo, 0, v[78:79]
	v_add_f64_e64 v[78:79], v[76:77], -v[80:81]
	v_add_f64_e64 v[66:67], v[70:71], -v[66:67]
	v_cndmask_b32_e64 v21, 0, 0x40100000, vcc_lo
	s_delay_alu instid0(VALU_DEP_3) | instskip(SKIP_2) | instid1(VALU_DEP_4)
	v_add_f64_e64 v[86:87], v[76:77], -v[78:79]
	v_add_f64_e64 v[64:65], v[64:65], -v[78:79]
	;; [unrolled: 1-line block ×3, first 2 shown]
	v_add_f64_e32 v[68:69], v[68:69], v[20:21]
	s_delay_alu instid0(VALU_DEP_4) | instskip(NEXT) | instid1(VALU_DEP_3)
	v_add_f64_e64 v[78:79], v[80:81], -v[86:87]
	v_add_f64_e32 v[60:61], v[60:61], v[76:77]
	s_delay_alu instid0(VALU_DEP_3) | instskip(NEXT) | instid1(VALU_DEP_3)
	v_add_f64_e32 v[84:85], v[72:73], v[68:69]
	v_add_f64_e32 v[64:65], v[64:65], v[78:79]
	s_delay_alu instid0(VALU_DEP_2) | instskip(NEXT) | instid1(VALU_DEP_2)
	v_cvt_i32_f64_e32 v21, v[84:85]
	v_add_f64_e32 v[60:61], v[64:65], v[60:61]
	s_delay_alu instid0(VALU_DEP_2) | instskip(NEXT) | instid1(VALU_DEP_2)
	v_cvt_f64_i32_e32 v[82:83], v21
	v_add_f64_e32 v[58:59], v[58:59], v[60:61]
	s_delay_alu instid0(VALU_DEP_2) | instskip(NEXT) | instid1(VALU_DEP_2)
	v_add_f64_e64 v[68:69], v[68:69], -v[82:83]
	v_add_f64_e32 v[58:59], v[66:67], v[58:59]
	s_delay_alu instid0(VALU_DEP_2) | instskip(NEXT) | instid1(VALU_DEP_1)
	v_add_f64_e32 v[64:65], v[72:73], v[68:69]
	v_add_f64_e64 v[60:61], v[64:65], -v[68:69]
	v_cmp_le_f64_e32 vcc_lo, 0.5, v[64:65]
	s_delay_alu instid0(VALU_DEP_2) | instskip(SKIP_2) | instid1(VALU_DEP_3)
	v_add_f64_e64 v[60:61], v[72:73], -v[60:61]
	v_add_co_ci_u32_e64 v63, null, 0, v21, vcc_lo
	v_cndmask_b32_e64 v21, 0, 0x3ff00000, vcc_lo
	v_add_f64_e32 v[58:59], v[58:59], v[60:61]
	s_delay_alu instid0(VALU_DEP_2) | instskip(NEXT) | instid1(VALU_DEP_1)
	v_add_f64_e64 v[60:61], v[64:65], -v[20:21]
	v_add_f64_e32 v[64:65], v[60:61], v[58:59]
	s_delay_alu instid0(VALU_DEP_1) | instskip(SKIP_1) | instid1(VALU_DEP_2)
	v_mul_f64_e32 v[66:67], 0x3ff921fb54442d18, v[64:65]
	v_add_f64_e64 v[60:61], v[64:65], -v[60:61]
	v_fma_f64 v[68:69], v[64:65], s[16:17], -v[66:67]
	s_delay_alu instid0(VALU_DEP_2) | instskip(NEXT) | instid1(VALU_DEP_2)
	v_add_f64_e64 v[58:59], v[58:59], -v[60:61]
	v_fmac_f64_e32 v[68:69], 0x3c91a62633145c07, v[64:65]
	s_delay_alu instid0(VALU_DEP_1) | instskip(NEXT) | instid1(VALU_DEP_1)
	v_fmac_f64_e32 v[68:69], 0x3ff921fb54442d18, v[58:59]
	v_add_f64_e32 v[58:59], v[66:67], v[68:69]
	s_delay_alu instid0(VALU_DEP_1) | instskip(NEXT) | instid1(VALU_DEP_1)
	v_add_f64_e64 v[60:61], v[58:59], -v[66:67]
	v_add_f64_e64 v[60:61], v[68:69], -v[60:61]
	s_and_not1_saveexec_b32 s37, s37
	s_cbranch_execnz .LBB161_66
	s_branch .LBB161_67
.LBB161_65:                             ;   in Loop: Header=BB161_4 Depth=1
	s_and_not1_saveexec_b32 s37, s37
	s_cbranch_execz .LBB161_67
.LBB161_66:                             ;   in Loop: Header=BB161_4 Depth=1
	v_mul_f64_e64 v[58:59], |v[4:5]|, s[18:19]
	s_delay_alu instid0(VALU_DEP_1) | instskip(NEXT) | instid1(VALU_DEP_1)
	v_rndne_f64_e32 v[64:65], v[58:59]
	v_fma_f64 v[58:59], v[64:65], s[20:21], |v[4:5]|
	v_mul_f64_e32 v[60:61], 0xbc91a62633145c00, v[64:65]
	v_cvt_i32_f64_e32 v63, v[64:65]
	s_delay_alu instid0(VALU_DEP_3) | instskip(NEXT) | instid1(VALU_DEP_3)
	v_fmamk_f64 v[70:71], v[64:65], 0xbc91a62633145c00, v[58:59]
	v_add_f64_e32 v[66:67], v[58:59], v[60:61]
	s_delay_alu instid0(VALU_DEP_1) | instskip(NEXT) | instid1(VALU_DEP_3)
	v_add_f64_e64 v[68:69], v[58:59], -v[66:67]
	v_add_f64_e64 v[58:59], v[66:67], -v[70:71]
	s_delay_alu instid0(VALU_DEP_2) | instskip(SKIP_1) | instid1(VALU_DEP_2)
	v_add_f64_e32 v[66:67], v[68:69], v[60:61]
	v_fmamk_f64 v[60:61], v[64:65], 0x3c91a62633145c00, v[60:61]
	v_add_f64_e32 v[58:59], v[58:59], v[66:67]
	s_delay_alu instid0(VALU_DEP_1) | instskip(NEXT) | instid1(VALU_DEP_1)
	v_add_f64_e64 v[60:61], v[58:59], -v[60:61]
	v_fmac_f64_e32 v[60:61], 0xb97b839a252049c0, v[64:65]
	s_delay_alu instid0(VALU_DEP_1) | instskip(NEXT) | instid1(VALU_DEP_1)
	v_add_f64_e32 v[58:59], v[70:71], v[60:61]
	v_add_f64_e64 v[66:67], v[58:59], -v[70:71]
	s_delay_alu instid0(VALU_DEP_1)
	v_add_f64_e64 v[60:61], v[60:61], -v[66:67]
.LBB161_67:                             ;   in Loop: Header=BB161_4 Depth=1
	s_or_b32 exec_lo, exec_lo, s37
	s_delay_alu instid0(VALU_DEP_1)
	v_dual_mul_f64 v[76:77], 0.5, v[56:57] :: v_dual_lshlrev_b32 v21, 30, v62
	v_mul_f64_e32 v[64:65], v[54:55], v[54:55]
	v_mul_f64_e32 v[66:67], v[58:59], v[58:59]
	v_mul_f64_e64 v[70:71], |v[2:3]|, s[30:31]
	v_and_b32_e32 v4, 1, v62
	v_xor_b32_e32 v5, v21, v5
	s_delay_alu instid0(VALU_DEP_2)
	v_cmp_eq_u32_e32 vcc_lo, 0, v4
	v_mul_f64_e32 v[68:69], 0.5, v[64:65]
	v_mul_f64_e64 v[78:79], v[54:55], -v[64:65]
	v_fmamk_f64 v[84:85], v[64:65], 0x3de5e0b2f9a43bb8, v[44:45]
	v_mul_f64_e64 v[90:91], v[58:59], -v[66:67]
	v_fmamk_f64 v[92:93], v[66:67], 0x3de5e0b2f9a43bb8, v[44:45]
	v_rndne_f64_e32 v[70:71], v[70:71]
	s_delay_alu instid0(VALU_DEP_4) | instskip(NEXT) | instid1(VALU_DEP_1)
	v_fmaak_f64 v[84:85], v[64:65], v[84:85], 0x3ec71de3796cde01
	v_fmaak_f64 v[84:85], v[64:65], v[84:85], 0xbf2a01a019e83e5c
	s_delay_alu instid0(VALU_DEP_1) | instskip(SKIP_1) | instid1(VALU_DEP_2)
	v_fmaak_f64 v[84:85], v[64:65], v[84:85], 0x3f81111111110bb3
	v_add_f64_e64 v[74:75], -v[68:69], 1.0
	v_fmac_f64_e32 v[76:77], v[78:79], v[84:85]
	v_fma_f64 v[86:87], v[70:71], s[22:23], -|v[2:3]|
	v_cvt_i32_f64_e32 v21, v[70:71]
	s_delay_alu instid0(VALU_DEP_4) | instskip(NEXT) | instid1(VALU_DEP_4)
	v_add_f64_e64 v[82:83], -v[74:75], 1.0
	v_fma_f64 v[76:77], v[64:65], v[76:77], -v[56:57]
	s_delay_alu instid0(VALU_DEP_4) | instskip(NEXT) | instid1(VALU_DEP_3)
	v_fmac_f64_e32 v[86:87], 0xbc7abc9e3b39803f, v[70:71]
	v_add_f64_e64 v[68:69], v[82:83], -v[68:69]
	v_fmaak_f64 v[82:83], v[66:67], v[92:93], 0x3ec71de3796cde01
	v_fmamk_f64 v[92:93], v[64:65], 0xbda907db46cc5e42, v[42:43]
	v_fmac_f64_e32 v[76:77], 0xbfc5555555555555, v[78:79]
	s_delay_alu instid0(VALU_DEP_3) | instskip(NEXT) | instid1(VALU_DEP_1)
	v_fmaak_f64 v[82:83], v[66:67], v[82:83], 0xbf2a01a019e83e5c
	v_fmaak_f64 v[82:83], v[66:67], v[82:83], 0x3f81111111110bb3
	v_fma_f64 v[56:57], v[54:55], -v[56:57], v[68:69]
	v_fmaak_f64 v[68:69], v[64:65], v[92:93], 0xbe927e4fa17f65f6
	v_mul_f64_e32 v[92:93], v[66:67], v[66:67]
	v_add_f64_e64 v[54:55], v[54:55], -v[76:77]
	v_mul_f64_e32 v[88:89], 0.5, v[60:61]
	s_delay_alu instid0(VALU_DEP_4) | instskip(NEXT) | instid1(VALU_DEP_1)
	v_fmaak_f64 v[68:69], v[64:65], v[68:69], 0x3efa01a019f4ec90
	v_fmaak_f64 v[68:69], v[64:65], v[68:69], 0xbf56c16c16c16967
	s_delay_alu instid0(VALU_DEP_3) | instskip(SKIP_1) | instid1(VALU_DEP_3)
	v_fmac_f64_e32 v[88:89], v[90:91], v[82:83]
	v_mul_f64_e32 v[82:83], v[64:65], v[64:65]
	v_fmaak_f64 v[64:65], v[64:65], v[68:69], 0x3fa5555555555555
	s_delay_alu instid0(VALU_DEP_1) | instskip(NEXT) | instid1(VALU_DEP_1)
	v_fmac_f64_e32 v[56:57], v[82:83], v[64:65]
	v_add_f64_e32 v[56:57], v[74:75], v[56:57]
	s_delay_alu instid0(VALU_DEP_1) | instskip(NEXT) | instid1(VALU_DEP_1)
	v_dual_cndmask_b32 v4, v56, v54, vcc_lo :: v_dual_cndmask_b32 v56, v57, v55, vcc_lo
	v_bitop3_b32 v5, v56, v5, 0x80000000 bitop3:0x78
	s_delay_alu instid0(VALU_DEP_1) | instskip(NEXT) | instid1(VALU_DEP_1)
	v_dual_mul_f64 v[4:5], 4.0, v[4:5] :: v_dual_bitop2_b32 v56, 1, v63 bitop3:0x40
	v_cmp_eq_u32_e32 vcc_lo, 0, v56
	v_mul_f64_e32 v[72:73], 0.5, v[66:67]
	s_delay_alu instid0(VALU_DEP_1) | instskip(NEXT) | instid1(VALU_DEP_1)
	v_add_f64_e64 v[80:81], -v[72:73], 1.0
	v_add_f64_e64 v[84:85], -v[80:81], 1.0
	s_delay_alu instid0(VALU_DEP_1) | instskip(SKIP_1) | instid1(VALU_DEP_1)
	v_add_f64_e64 v[72:73], v[84:85], -v[72:73]
	v_fmamk_f64 v[84:85], v[86:87], 0x3e5ade156a5dcb37, v[28:29]
	v_fmaak_f64 v[84:85], v[86:87], v[84:85], 0x3ec71dee623fde64
	s_delay_alu instid0(VALU_DEP_1) | instskip(NEXT) | instid1(VALU_DEP_1)
	v_fmaak_f64 v[84:85], v[86:87], v[84:85], 0x3efa01997c89e6b0
	v_fmaak_f64 v[68:69], v[86:87], v[84:85], 0x3f2a01a014761f6e
	v_fma_f64 v[84:85], v[66:67], v[88:89], -v[60:61]
	v_fmamk_f64 v[88:89], v[66:67], 0xbda907db46cc5e42, v[42:43]
	s_delay_alu instid0(VALU_DEP_3) | instskip(NEXT) | instid1(VALU_DEP_2)
	v_fmaak_f64 v[64:65], v[86:87], v[68:69], 0x3f56c16c1852b7b0
	v_fmaak_f64 v[68:69], v[66:67], v[88:89], 0xbe927e4fa17f65f6
	v_fma_f64 v[60:61], v[58:59], -v[60:61], v[72:73]
	s_delay_alu instid0(VALU_DEP_3) | instskip(NEXT) | instid1(VALU_DEP_3)
	v_fmaak_f64 v[64:65], v[86:87], v[64:65], 0x3f81111111122322
	v_fmaak_f64 v[68:69], v[66:67], v[68:69], 0x3efa01a019f4ec90
	s_delay_alu instid0(VALU_DEP_2) | instskip(NEXT) | instid1(VALU_DEP_2)
	v_fmaak_f64 v[64:65], v[86:87], v[64:65], 0x3fa55555555502a1
	v_fmaak_f64 v[68:69], v[66:67], v[68:69], 0xbf56c16c16c16967
	s_delay_alu instid0(VALU_DEP_2) | instskip(NEXT) | instid1(VALU_DEP_2)
	v_fmaak_f64 v[64:65], v[86:87], v[64:65], 0x3fc5555555555511
	v_fmaak_f64 v[66:67], v[66:67], v[68:69], 0x3fa5555555555555
	v_fmac_f64_e32 v[84:85], 0xbfc5555555555555, v[90:91]
	s_delay_alu instid0(VALU_DEP_3) | instskip(NEXT) | instid1(VALU_DEP_1)
	v_fmaak_f64 v[64:65], v[86:87], v[64:65], 0x3fe000000000000b
	v_fma_f64 v[64:65], v[86:87], v[64:65], 1.0
	s_delay_alu instid0(VALU_DEP_4) | instskip(NEXT) | instid1(VALU_DEP_4)
	v_fmac_f64_e32 v[60:61], v[92:93], v[66:67]
	v_add_f64_e64 v[58:59], v[58:59], -v[84:85]
	s_delay_alu instid0(VALU_DEP_3) | instskip(NEXT) | instid1(VALU_DEP_3)
	v_fma_f64 v[54:55], v[86:87], v[64:65], 1.0
	v_add_f64_e32 v[60:61], v[80:81], v[60:61]
	s_delay_alu instid0(VALU_DEP_3) | instskip(NEXT) | instid1(VALU_DEP_3)
	v_xor_b32_e32 v57, 0x80000000, v59
	v_ldexp_f64 v[54:55], v[54:55], v21
	s_delay_alu instid0(VALU_DEP_2) | instskip(SKIP_3) | instid1(VALU_DEP_3)
	v_dual_cndmask_b32 v56, v58, v60 :: v_dual_cndmask_b32 v57, v57, v61
	v_lshlrev_b32_e32 v58, 30, v63
	v_cmp_nlt_f64_e64 vcc_lo, 0x4090cc00, |v[2:3]|
	v_bfi_b32 v21, 0x7fffffff, s33, v3
	v_bitop3_b32 v57, v57, v58, 0x80000000 bitop3:0x78
	s_delay_alu instid0(VALU_DEP_2) | instskip(NEXT) | instid1(VALU_DEP_2)
	v_mov_b64_e32 v[2:3], v[20:21]
	v_dual_mul_f64 v[4:5], v[4:5], v[56:57] :: v_dual_cndmask_b32 v55, 0, v55, vcc_lo
	v_cndmask_b32_e32 v54, 0, v54, vcc_lo
	s_delay_alu instid0(VALU_DEP_1) | instskip(NEXT) | instid1(VALU_DEP_1)
	v_mul_f64_e32 v[4:5], v[54:55], v[4:5]
	v_mul_f64_e32 v[4:5], v[54:55], v[4:5]
.LBB161_68:                             ;   in Loop: Header=BB161_4 Depth=1
	s_or_b32 exec_lo, exec_lo, s6
.LBB161_69:                             ;   in Loop: Header=BB161_4 Depth=1
	s_and_not1_saveexec_b32 s6, s36
	s_cbranch_execz .LBB161_71
; %bb.70:                               ;   in Loop: Header=BB161_4 Depth=1
	s_delay_alu instid0(VALU_DEP_1) | instskip(NEXT) | instid1(VALU_DEP_1)
	v_add_f64_e64 v[4:5], v[4:5], -v[4:5]
	v_mov_b64_e32 v[2:3], v[4:5]
.LBB161_71:                             ;   in Loop: Header=BB161_4 Depth=1
	s_or_b32 exec_lo, exec_lo, s6
.LBB161_72:                             ;   in Loop: Header=BB161_4 Depth=1
	s_and_not1_saveexec_b32 s36, s7
	s_cbranch_execz .LBB161_88
; %bb.73:                               ;   in Loop: Header=BB161_4 Depth=1
	s_delay_alu instid0(VALU_DEP_1) | instskip(SKIP_1) | instid1(VALU_DEP_1)
	v_and_or_b32 v21, 0xfffff, v3, v2
	s_mov_b32 s6, exec_lo
	v_cmpx_ne_u32_e32 0, v21
	s_xor_b32 s6, exec_lo, s6
	s_cbranch_execz .LBB161_75
; %bb.74:                               ;   in Loop: Header=BB161_4 Depth=1
	s_delay_alu instid0(VALU_DEP_3) | instskip(SKIP_1) | instid1(VALU_DEP_2)
	v_mul_f64_e32 v[54:55], v[4:5], v[2:3]
	v_cmp_eq_f64_e32 vcc_lo, 0, v[4:5]
	v_dual_cndmask_b32 v5, v55, v5 :: v_dual_cndmask_b32 v4, v54, v4
.LBB161_75:                             ;   in Loop: Header=BB161_4 Depth=1
	s_and_not1_saveexec_b32 s37, s6
	s_cbranch_execz .LBB161_87
; %bb.76:                               ;   in Loop: Header=BB161_4 Depth=1
	s_mov_b32 s38, exec_lo
	s_delay_alu instid0(VALU_DEP_1)
	v_cmpx_neq_f64_e64 0x7ff00000, |v[4:5]|
	s_cbranch_execz .LBB161_86
; %bb.77:                               ;   in Loop: Header=BB161_4 Depth=1
	v_cmp_ngt_f64_e64 s6, 0x41d00000, |v[4:5]|
	v_trig_preop_f64 v[62:63], |v[4:5]|, 0
	v_trig_preop_f64 v[60:61], |v[4:5]|, 1
	v_ldexp_f64 v[64:65], |v[4:5]|, 0xffffff80
	v_trig_preop_f64 v[58:59], |v[4:5]|, 2
	v_and_b32_e32 v73, 0x7fffffff, v5
                                        ; implicit-def: $vgpr72
                                        ; implicit-def: $vgpr54_vgpr55
                                        ; implicit-def: $vgpr56_vgpr57
	s_and_saveexec_b32 s7, s6
	s_delay_alu instid0(SALU_CYCLE_1)
	s_xor_b32 s7, exec_lo, s7
	s_cbranch_execz .LBB161_79
; %bb.78:                               ;   in Loop: Header=BB161_4 Depth=1
	v_cmp_le_f64_e64 vcc_lo, 0x7b000000, |v[4:5]|
	s_delay_alu instid0(VALU_DEP_4) | instskip(NEXT) | instid1(VALU_DEP_1)
	v_dual_cndmask_b32 v55, v73, v65 :: v_dual_cndmask_b32 v54, v4, v64
	v_mul_f64_e32 v[56:57], v[62:63], v[54:55]
	v_mul_f64_e32 v[66:67], v[60:61], v[54:55]
	;; [unrolled: 1-line block ×3, first 2 shown]
	s_delay_alu instid0(VALU_DEP_3) | instskip(NEXT) | instid1(VALU_DEP_3)
	v_fma_f64 v[68:69], v[62:63], v[54:55], -v[56:57]
	v_fma_f64 v[82:83], v[60:61], v[54:55], -v[66:67]
	s_delay_alu instid0(VALU_DEP_3) | instskip(NEXT) | instid1(VALU_DEP_3)
	v_fma_f64 v[54:55], v[58:59], v[54:55], -v[80:81]
	v_add_f64_e32 v[70:71], v[66:67], v[68:69]
	s_delay_alu instid0(VALU_DEP_1) | instskip(SKIP_1) | instid1(VALU_DEP_2)
	v_add_f64_e64 v[74:75], v[70:71], -v[66:67]
	v_add_f64_e32 v[78:79], v[56:57], v[70:71]
	v_add_f64_e64 v[76:77], v[70:71], -v[74:75]
	v_add_f64_e64 v[68:69], v[68:69], -v[74:75]
	s_delay_alu instid0(VALU_DEP_3) | instskip(NEXT) | instid1(VALU_DEP_3)
	v_ldexp_f64 v[74:75], v[78:79], -2
	v_add_f64_e64 v[66:67], v[66:67], -v[76:77]
	v_add_f64_e32 v[76:77], v[80:81], v[82:83]
	s_delay_alu instid0(VALU_DEP_3) | instskip(NEXT) | instid1(VALU_DEP_3)
	v_cmp_neq_f64_e64 vcc_lo, 0x7ff00000, |v[74:75]|
	v_add_f64_e32 v[66:67], v[68:69], v[66:67]
	v_fract_f64_e32 v[68:69], v[74:75]
	s_delay_alu instid0(VALU_DEP_1) | instskip(NEXT) | instid1(VALU_DEP_1)
	v_ldexp_f64 v[68:69], v[68:69], 2
	v_cndmask_b32_e32 v69, 0, v69, vcc_lo
	v_add_f64_e64 v[56:57], v[78:79], -v[56:57]
	s_delay_alu instid0(VALU_DEP_3) | instskip(NEXT) | instid1(VALU_DEP_2)
	v_cndmask_b32_e32 v68, 0, v68, vcc_lo
	v_add_f64_e64 v[56:57], v[70:71], -v[56:57]
	v_add_f64_e32 v[70:71], v[76:77], v[66:67]
	s_delay_alu instid0(VALU_DEP_1) | instskip(SKIP_1) | instid1(VALU_DEP_2)
	v_add_f64_e32 v[74:75], v[56:57], v[70:71]
	v_add_f64_e64 v[84:85], v[70:71], -v[76:77]
	v_add_f64_e32 v[78:79], v[74:75], v[68:69]
	s_delay_alu instid0(VALU_DEP_2) | instskip(SKIP_2) | instid1(VALU_DEP_4)
	v_add_f64_e64 v[90:91], v[70:71], -v[84:85]
	v_add_f64_e64 v[66:67], v[66:67], -v[84:85]
	;; [unrolled: 1-line block ×3, first 2 shown]
	v_cmp_gt_f64_e32 vcc_lo, 0, v[78:79]
	v_add_f64_e64 v[78:79], v[76:77], -v[80:81]
	s_delay_alu instid0(VALU_DEP_3) | instskip(SKIP_1) | instid1(VALU_DEP_3)
	v_add_f64_e64 v[56:57], v[70:71], -v[56:57]
	v_cndmask_b32_e64 v21, 0, 0x40100000, vcc_lo
	v_add_f64_e64 v[88:89], v[76:77], -v[78:79]
	v_add_f64_e64 v[78:79], v[82:83], -v[78:79]
	;; [unrolled: 1-line block ×3, first 2 shown]
	s_delay_alu instid0(VALU_DEP_4) | instskip(NEXT) | instid1(VALU_DEP_4)
	v_add_f64_e32 v[68:69], v[68:69], v[20:21]
	v_add_f64_e64 v[82:83], v[80:81], -v[88:89]
	s_delay_alu instid0(VALU_DEP_3) | instskip(NEXT) | instid1(VALU_DEP_3)
	v_add_f64_e32 v[66:67], v[66:67], v[76:77]
	v_add_f64_e32 v[86:87], v[74:75], v[68:69]
	s_delay_alu instid0(VALU_DEP_3) | instskip(NEXT) | instid1(VALU_DEP_2)
	v_add_f64_e32 v[78:79], v[78:79], v[82:83]
	v_cvt_i32_f64_e32 v21, v[86:87]
	s_delay_alu instid0(VALU_DEP_2) | instskip(NEXT) | instid1(VALU_DEP_2)
	v_add_f64_e32 v[66:67], v[78:79], v[66:67]
	v_cvt_f64_i32_e32 v[84:85], v21
	s_delay_alu instid0(VALU_DEP_2) | instskip(NEXT) | instid1(VALU_DEP_2)
	v_add_f64_e32 v[54:55], v[54:55], v[66:67]
	v_add_f64_e64 v[68:69], v[68:69], -v[84:85]
	s_delay_alu instid0(VALU_DEP_2) | instskip(NEXT) | instid1(VALU_DEP_2)
	v_add_f64_e32 v[54:55], v[56:57], v[54:55]
	v_add_f64_e32 v[76:77], v[74:75], v[68:69]
	s_delay_alu instid0(VALU_DEP_1) | instskip(SKIP_1) | instid1(VALU_DEP_2)
	v_add_f64_e64 v[66:67], v[76:77], -v[68:69]
	v_cmp_le_f64_e32 vcc_lo, 0.5, v[76:77]
	v_add_f64_e64 v[56:57], v[74:75], -v[66:67]
	v_add_co_ci_u32_e64 v72, null, 0, v21, vcc_lo
	v_cndmask_b32_e64 v21, 0, 0x3ff00000, vcc_lo
	s_delay_alu instid0(VALU_DEP_3) | instskip(NEXT) | instid1(VALU_DEP_2)
	v_add_f64_e32 v[54:55], v[54:55], v[56:57]
	v_add_f64_e64 v[56:57], v[76:77], -v[20:21]
	s_delay_alu instid0(VALU_DEP_1) | instskip(NEXT) | instid1(VALU_DEP_1)
	v_add_f64_e32 v[66:67], v[56:57], v[54:55]
	v_mul_f64_e32 v[68:69], 0x3ff921fb54442d18, v[66:67]
	v_add_f64_e64 v[56:57], v[66:67], -v[56:57]
	s_delay_alu instid0(VALU_DEP_2) | instskip(NEXT) | instid1(VALU_DEP_2)
	v_fma_f64 v[70:71], v[66:67], s[16:17], -v[68:69]
	v_add_f64_e64 v[54:55], v[54:55], -v[56:57]
	s_delay_alu instid0(VALU_DEP_2) | instskip(NEXT) | instid1(VALU_DEP_1)
	v_fmac_f64_e32 v[70:71], 0x3c91a62633145c07, v[66:67]
	v_fmac_f64_e32 v[70:71], 0x3ff921fb54442d18, v[54:55]
	s_delay_alu instid0(VALU_DEP_1) | instskip(NEXT) | instid1(VALU_DEP_1)
	v_add_f64_e32 v[54:55], v[68:69], v[70:71]
	v_add_f64_e64 v[56:57], v[54:55], -v[68:69]
	s_delay_alu instid0(VALU_DEP_1)
	v_add_f64_e64 v[56:57], v[70:71], -v[56:57]
.LBB161_79:                             ;   in Loop: Header=BB161_4 Depth=1
	s_or_saveexec_b32 s7, s7
	v_mul_f64_e64 v[66:67], |v[4:5]|, s[18:19]
	s_delay_alu instid0(VALU_DEP_1)
	v_rndne_f64_e32 v[70:71], v[66:67]
	s_xor_b32 exec_lo, exec_lo, s7
	s_cbranch_execz .LBB161_81
; %bb.80:                               ;   in Loop: Header=BB161_4 Depth=1
	s_delay_alu instid0(VALU_DEP_1) | instskip(SKIP_2) | instid1(VALU_DEP_3)
	v_fma_f64 v[54:55], v[70:71], s[20:21], |v[4:5]|
	v_mul_f64_e32 v[56:57], 0xbc91a62633145c00, v[70:71]
	v_cvt_i32_f64_e32 v72, v[70:71]
	v_fmamk_f64 v[74:75], v[70:71], 0xbc91a62633145c00, v[54:55]
	s_delay_alu instid0(VALU_DEP_3) | instskip(NEXT) | instid1(VALU_DEP_1)
	v_add_f64_e32 v[66:67], v[54:55], v[56:57]
	v_add_f64_e64 v[68:69], v[54:55], -v[66:67]
	s_delay_alu instid0(VALU_DEP_3) | instskip(NEXT) | instid1(VALU_DEP_2)
	v_add_f64_e64 v[54:55], v[66:67], -v[74:75]
	v_add_f64_e32 v[66:67], v[68:69], v[56:57]
	v_fmamk_f64 v[56:57], v[70:71], 0x3c91a62633145c00, v[56:57]
	s_delay_alu instid0(VALU_DEP_2) | instskip(NEXT) | instid1(VALU_DEP_1)
	v_add_f64_e32 v[54:55], v[54:55], v[66:67]
	v_add_f64_e64 v[56:57], v[54:55], -v[56:57]
	s_delay_alu instid0(VALU_DEP_1) | instskip(NEXT) | instid1(VALU_DEP_1)
	v_fmac_f64_e32 v[56:57], 0xb97b839a252049c0, v[70:71]
	v_add_f64_e32 v[54:55], v[74:75], v[56:57]
	s_delay_alu instid0(VALU_DEP_1) | instskip(NEXT) | instid1(VALU_DEP_1)
	v_add_f64_e64 v[66:67], v[54:55], -v[74:75]
	v_add_f64_e64 v[56:57], v[56:57], -v[66:67]
.LBB161_81:                             ;   in Loop: Header=BB161_4 Depth=1
	s_or_b32 exec_lo, exec_lo, s7
                                        ; implicit-def: $vgpr74
                                        ; implicit-def: $vgpr66_vgpr67
                                        ; implicit-def: $vgpr68_vgpr69
	s_and_saveexec_b32 s7, s6
	s_delay_alu instid0(SALU_CYCLE_1)
	s_xor_b32 s6, exec_lo, s7
	s_cbranch_execz .LBB161_83
; %bb.82:                               ;   in Loop: Header=BB161_4 Depth=1
	v_cmp_le_f64_e64 vcc_lo, 0x7b000000, |v[4:5]|
	v_dual_cndmask_b32 v65, v73, v65 :: v_dual_cndmask_b32 v64, v4, v64
	s_delay_alu instid0(VALU_DEP_1) | instskip(SKIP_2) | instid1(VALU_DEP_3)
	v_mul_f64_e32 v[66:67], v[62:63], v[64:65]
	v_mul_f64_e32 v[68:69], v[60:61], v[64:65]
	;; [unrolled: 1-line block ×3, first 2 shown]
	v_fma_f64 v[62:63], v[62:63], v[64:65], -v[66:67]
	s_delay_alu instid0(VALU_DEP_3) | instskip(NEXT) | instid1(VALU_DEP_3)
	v_fma_f64 v[60:61], v[60:61], v[64:65], -v[68:69]
	v_fma_f64 v[58:59], v[58:59], v[64:65], -v[80:81]
	s_delay_alu instid0(VALU_DEP_3) | instskip(NEXT) | instid1(VALU_DEP_1)
	v_add_f64_e32 v[70:71], v[68:69], v[62:63]
	v_add_f64_e64 v[74:75], v[70:71], -v[68:69]
	v_add_f64_e32 v[78:79], v[66:67], v[70:71]
	s_delay_alu instid0(VALU_DEP_2) | instskip(SKIP_1) | instid1(VALU_DEP_3)
	v_add_f64_e64 v[76:77], v[70:71], -v[74:75]
	v_add_f64_e64 v[62:63], v[62:63], -v[74:75]
	v_ldexp_f64 v[74:75], v[78:79], -2
	v_add_f64_e64 v[66:67], v[78:79], -v[66:67]
	s_delay_alu instid0(VALU_DEP_4) | instskip(SKIP_1) | instid1(VALU_DEP_4)
	v_add_f64_e64 v[68:69], v[68:69], -v[76:77]
	v_add_f64_e32 v[76:77], v[80:81], v[60:61]
	v_cmp_neq_f64_e64 vcc_lo, 0x7ff00000, |v[74:75]|
	s_delay_alu instid0(VALU_DEP_3) | instskip(SKIP_1) | instid1(VALU_DEP_1)
	v_add_f64_e32 v[62:63], v[62:63], v[68:69]
	v_fract_f64_e32 v[68:69], v[74:75]
	v_ldexp_f64 v[68:69], v[68:69], 2
	s_delay_alu instid0(VALU_DEP_1) | instskip(NEXT) | instid1(VALU_DEP_2)
	v_dual_add_f64 v[66:67], v[70:71], -v[66:67] :: v_dual_cndmask_b32 v69, 0, v69, vcc_lo
	v_dual_add_f64 v[70:71], v[76:77], v[62:63] :: v_dual_cndmask_b32 v68, 0, v68, vcc_lo
	s_delay_alu instid0(VALU_DEP_1) | instskip(SKIP_1) | instid1(VALU_DEP_2)
	v_add_f64_e32 v[74:75], v[66:67], v[70:71]
	v_add_f64_e64 v[82:83], v[70:71], -v[76:77]
	v_add_f64_e32 v[78:79], v[74:75], v[68:69]
	s_delay_alu instid0(VALU_DEP_2) | instskip(SKIP_2) | instid1(VALU_DEP_4)
	v_add_f64_e64 v[88:89], v[70:71], -v[82:83]
	v_add_f64_e64 v[62:63], v[62:63], -v[82:83]
	;; [unrolled: 1-line block ×3, first 2 shown]
	v_cmp_gt_f64_e32 vcc_lo, 0, v[78:79]
	v_add_f64_e64 v[78:79], v[76:77], -v[80:81]
	s_delay_alu instid0(VALU_DEP_3) | instskip(SKIP_1) | instid1(VALU_DEP_3)
	v_add_f64_e64 v[64:65], v[70:71], -v[64:65]
                                        ; implicit-def: $vgpr70_vgpr71
	v_cndmask_b32_e64 v21, 0, 0x40100000, vcc_lo
	v_add_f64_e64 v[86:87], v[76:77], -v[78:79]
	v_add_f64_e64 v[60:61], v[60:61], -v[78:79]
	;; [unrolled: 1-line block ×3, first 2 shown]
	s_delay_alu instid0(VALU_DEP_4) | instskip(NEXT) | instid1(VALU_DEP_4)
	v_add_f64_e32 v[68:69], v[68:69], v[20:21]
	v_add_f64_e64 v[78:79], v[80:81], -v[86:87]
	s_delay_alu instid0(VALU_DEP_3) | instskip(NEXT) | instid1(VALU_DEP_3)
	v_add_f64_e32 v[62:63], v[62:63], v[76:77]
	v_add_f64_e32 v[84:85], v[74:75], v[68:69]
	s_delay_alu instid0(VALU_DEP_3) | instskip(NEXT) | instid1(VALU_DEP_2)
	v_add_f64_e32 v[60:61], v[60:61], v[78:79]
	v_cvt_i32_f64_e32 v21, v[84:85]
	s_delay_alu instid0(VALU_DEP_2) | instskip(NEXT) | instid1(VALU_DEP_2)
	v_add_f64_e32 v[60:61], v[60:61], v[62:63]
	v_cvt_f64_i32_e32 v[82:83], v21
	s_delay_alu instid0(VALU_DEP_2) | instskip(NEXT) | instid1(VALU_DEP_2)
	v_add_f64_e32 v[58:59], v[58:59], v[60:61]
	v_add_f64_e64 v[68:69], v[68:69], -v[82:83]
	s_delay_alu instid0(VALU_DEP_2) | instskip(NEXT) | instid1(VALU_DEP_2)
	v_add_f64_e32 v[58:59], v[64:65], v[58:59]
	v_add_f64_e32 v[62:63], v[74:75], v[68:69]
	s_delay_alu instid0(VALU_DEP_1) | instskip(SKIP_1) | instid1(VALU_DEP_2)
	v_add_f64_e64 v[60:61], v[62:63], -v[68:69]
	v_cmp_le_f64_e32 vcc_lo, 0.5, v[62:63]
	v_add_f64_e64 v[60:61], v[74:75], -v[60:61]
	v_add_co_ci_u32_e64 v74, null, 0, v21, vcc_lo
	v_cndmask_b32_e64 v21, 0, 0x3ff00000, vcc_lo
	s_delay_alu instid0(VALU_DEP_3) | instskip(NEXT) | instid1(VALU_DEP_2)
	v_add_f64_e32 v[58:59], v[58:59], v[60:61]
	v_add_f64_e64 v[60:61], v[62:63], -v[20:21]
	s_delay_alu instid0(VALU_DEP_1) | instskip(NEXT) | instid1(VALU_DEP_1)
	v_add_f64_e32 v[62:63], v[60:61], v[58:59]
	v_mul_f64_e32 v[64:65], 0x3ff921fb54442d18, v[62:63]
	v_add_f64_e64 v[60:61], v[62:63], -v[60:61]
	s_delay_alu instid0(VALU_DEP_2) | instskip(NEXT) | instid1(VALU_DEP_2)
	v_fma_f64 v[68:69], v[62:63], s[16:17], -v[64:65]
	v_add_f64_e64 v[58:59], v[58:59], -v[60:61]
	s_delay_alu instid0(VALU_DEP_2) | instskip(NEXT) | instid1(VALU_DEP_1)
	v_fmac_f64_e32 v[68:69], 0x3c91a62633145c07, v[62:63]
	v_fmac_f64_e32 v[68:69], 0x3ff921fb54442d18, v[58:59]
	s_delay_alu instid0(VALU_DEP_1) | instskip(NEXT) | instid1(VALU_DEP_1)
	v_add_f64_e32 v[66:67], v[64:65], v[68:69]
	v_add_f64_e64 v[58:59], v[66:67], -v[64:65]
	s_delay_alu instid0(VALU_DEP_1)
	v_add_f64_e64 v[68:69], v[68:69], -v[58:59]
	s_and_not1_saveexec_b32 s6, s6
	s_cbranch_execnz .LBB161_84
	s_branch .LBB161_85
.LBB161_83:                             ;   in Loop: Header=BB161_4 Depth=1
	s_and_not1_saveexec_b32 s6, s6
	s_cbranch_execz .LBB161_85
.LBB161_84:                             ;   in Loop: Header=BB161_4 Depth=1
	s_delay_alu instid0(VALU_DEP_1) | instskip(SKIP_2) | instid1(VALU_DEP_2)
	v_fma_f64 v[58:59], v[70:71], s[20:21], |v[4:5]|
	v_mul_f64_e32 v[60:61], 0xbc91a62633145c00, v[70:71]
	v_cvt_i32_f64_e32 v74, v[70:71]
	v_add_f64_e32 v[62:63], v[58:59], v[60:61]
	s_delay_alu instid0(VALU_DEP_1) | instskip(SKIP_1) | instid1(VALU_DEP_1)
	v_add_f64_e64 v[64:65], v[58:59], -v[62:63]
	v_fmamk_f64 v[58:59], v[70:71], 0xbc91a62633145c00, v[58:59]
	v_add_f64_e64 v[62:63], v[62:63], -v[58:59]
	s_delay_alu instid0(VALU_DEP_3) | instskip(SKIP_1) | instid1(VALU_DEP_2)
	v_add_f64_e32 v[64:65], v[64:65], v[60:61]
	v_fmamk_f64 v[60:61], v[70:71], 0x3c91a62633145c00, v[60:61]
	v_add_f64_e32 v[62:63], v[62:63], v[64:65]
	s_delay_alu instid0(VALU_DEP_1) | instskip(NEXT) | instid1(VALU_DEP_1)
	v_add_f64_e64 v[60:61], v[62:63], -v[60:61]
	v_fmac_f64_e32 v[60:61], 0xb97b839a252049c0, v[70:71]
	s_delay_alu instid0(VALU_DEP_1) | instskip(NEXT) | instid1(VALU_DEP_1)
	v_add_f64_e32 v[66:67], v[58:59], v[60:61]
	v_add_f64_e64 v[58:59], v[66:67], -v[58:59]
	s_delay_alu instid0(VALU_DEP_1)
	v_add_f64_e64 v[68:69], v[60:61], -v[58:59]
.LBB161_85:                             ;   in Loop: Header=BB161_4 Depth=1
	s_or_b32 exec_lo, exec_lo, s6
	v_dual_mul_f64 v[58:59], v[54:55], v[54:55] :: v_dual_bitop2_b32 v21, 1, v72 bitop3:0x40
	v_mul_f64_e32 v[60:61], v[66:67], v[66:67]
	v_cmp_class_f64_e64 s6, v[4:5], 0x1f8
	s_delay_alu instid0(VALU_DEP_4) | instskip(NEXT) | instid1(VALU_DEP_4)
	v_dual_mul_f64 v[86:87], 0.5, v[68:69] :: v_dual_bitop2_b32 v4, 1, v74 bitop3:0x40
	v_cmp_eq_u32_e32 vcc_lo, 0, v21
	v_mul_f64_e32 v[78:79], 0.5, v[56:57]
	s_delay_alu instid0(VALU_DEP_3)
	v_cmp_eq_u32_e64 s7, 0, v4
	v_lshlrev_b32_e32 v4, 30, v74
	v_mul_f64_e32 v[62:63], 0.5, v[58:59]
	v_mul_f64_e64 v[80:81], v[54:55], -v[58:59]
	v_fmamk_f64 v[84:85], v[58:59], 0x3de5e0b2f9a43bb8, v[44:45]
	v_fmamk_f64 v[90:91], v[60:61], 0x3de5e0b2f9a43bb8, v[44:45]
	s_delay_alu instid0(VALU_DEP_2) | instskip(NEXT) | instid1(VALU_DEP_2)
	v_fmaak_f64 v[84:85], v[58:59], v[84:85], 0x3ec71de3796cde01
	v_fmaak_f64 v[90:91], v[60:61], v[90:91], 0x3ec71de3796cde01
	s_delay_alu instid0(VALU_DEP_2) | instskip(NEXT) | instid1(VALU_DEP_1)
	v_fmaak_f64 v[84:85], v[58:59], v[84:85], 0xbf2a01a019e83e5c
	v_fmaak_f64 v[84:85], v[58:59], v[84:85], 0x3f81111111110bb3
	v_add_f64_e64 v[70:71], -v[62:63], 1.0
	s_delay_alu instid0(VALU_DEP_2) | instskip(SKIP_1) | instid1(VALU_DEP_3)
	v_fmac_f64_e32 v[78:79], v[80:81], v[84:85]
	v_mul_f64_e32 v[84:85], v[58:59], v[58:59]
	v_add_f64_e64 v[82:83], -v[70:71], 1.0
	s_delay_alu instid0(VALU_DEP_3) | instskip(NEXT) | instid1(VALU_DEP_2)
	v_fma_f64 v[78:79], v[58:59], v[78:79], -v[56:57]
	v_add_f64_e64 v[62:63], v[82:83], -v[62:63]
	s_delay_alu instid0(VALU_DEP_2) | instskip(SKIP_1) | instid1(VALU_DEP_1)
	v_fmac_f64_e32 v[78:79], 0xbfc5555555555555, v[80:81]
	v_fmaak_f64 v[82:83], v[60:61], v[90:91], 0xbf2a01a019e83e5c
	v_fmaak_f64 v[82:83], v[60:61], v[82:83], 0x3f81111111110bb3
	s_delay_alu instid0(VALU_DEP_4) | instskip(NEXT) | instid1(VALU_DEP_4)
	v_fma_f64 v[56:57], v[54:55], -v[56:57], v[62:63]
	v_add_f64_e64 v[54:55], v[54:55], -v[78:79]
	v_mul_f64_e64 v[88:89], v[66:67], -v[60:61]
	s_delay_alu instid0(VALU_DEP_1) | instskip(SKIP_1) | instid1(VALU_DEP_1)
	v_fmac_f64_e32 v[86:87], v[88:89], v[82:83]
	v_fmamk_f64 v[82:83], v[58:59], 0xbda907db46cc5e42, v[42:43]
	v_fmaak_f64 v[62:63], v[58:59], v[82:83], 0xbe927e4fa17f65f6
	s_delay_alu instid0(VALU_DEP_1) | instskip(NEXT) | instid1(VALU_DEP_1)
	v_fmaak_f64 v[62:63], v[58:59], v[62:63], 0x3efa01a019f4ec90
	v_fmaak_f64 v[62:63], v[58:59], v[62:63], 0xbf56c16c16c16967
	s_delay_alu instid0(VALU_DEP_1) | instskip(NEXT) | instid1(VALU_DEP_1)
	v_fmaak_f64 v[58:59], v[58:59], v[62:63], 0x3fa5555555555555
	v_fmac_f64_e32 v[56:57], v[84:85], v[58:59]
	s_delay_alu instid0(VALU_DEP_1) | instskip(NEXT) | instid1(VALU_DEP_1)
	v_add_f64_e32 v[56:57], v[70:71], v[56:57]
	v_dual_cndmask_b32 v21, v56, v54 :: v_dual_lshlrev_b32 v54, 30, v72
	v_mul_f64_e32 v[64:65], 0.5, v[60:61]
	v_fma_f64 v[82:83], v[60:61], v[86:87], -v[68:69]
	v_fmamk_f64 v[86:87], v[60:61], 0xbda907db46cc5e42, v[42:43]
	v_mul_f64_e32 v[90:91], v[60:61], v[60:61]
	v_dual_cndmask_b32 v54, v57, v55, vcc_lo :: v_dual_bitop2_b32 v5, v54, v5 bitop3:0x14
	s_delay_alu instid0(VALU_DEP_3) | instskip(NEXT) | instid1(VALU_DEP_2)
	v_fmaak_f64 v[62:63], v[60:61], v[86:87], 0xbe927e4fa17f65f6
	v_bitop3_b32 v5, v54, v5, 0x80000000 bitop3:0x78
	s_delay_alu instid0(VALU_DEP_1) | instskip(NEXT) | instid1(VALU_DEP_3)
	v_cndmask_b32_e64 v5, 0x7ff80000, v5, s6
	v_fmaak_f64 v[58:59], v[60:61], v[62:63], 0x3efa01a019f4ec90
	s_delay_alu instid0(VALU_DEP_1) | instskip(NEXT) | instid1(VALU_DEP_1)
	v_fmaak_f64 v[58:59], v[60:61], v[58:59], 0xbf56c16c16c16967
	v_fmaak_f64 v[58:59], v[60:61], v[58:59], 0x3fa5555555555555
	v_add_f64_e64 v[76:77], -v[64:65], 1.0
	v_fmac_f64_e32 v[82:83], 0xbfc5555555555555, v[88:89]
	s_delay_alu instid0(VALU_DEP_2) | instskip(NEXT) | instid1(VALU_DEP_1)
	v_add_f64_e64 v[92:93], -v[76:77], 1.0
	v_add_f64_e64 v[64:65], v[92:93], -v[64:65]
	s_delay_alu instid0(VALU_DEP_1) | instskip(NEXT) | instid1(VALU_DEP_1)
	v_fma_f64 v[64:65], v[66:67], -v[68:69], v[64:65]
	v_fmac_f64_e32 v[64:65], v[90:91], v[58:59]
	v_add_f64_e64 v[58:59], v[66:67], -v[82:83]
	s_delay_alu instid0(VALU_DEP_2) | instskip(NEXT) | instid1(VALU_DEP_2)
	v_add_f64_e32 v[60:61], v[76:77], v[64:65]
	v_xor_b32_e32 v56, 0x80000000, v59
	s_delay_alu instid0(VALU_DEP_1) | instskip(NEXT) | instid1(VALU_DEP_1)
	v_dual_cndmask_b32 v56, v56, v61, s7 :: v_dual_cndmask_b32 v55, v58, v60, s7
	v_bitop3_b32 v56, v56, v4, 0x80000000 bitop3:0x78
	s_delay_alu instid0(VALU_DEP_2) | instskip(NEXT) | instid1(VALU_DEP_2)
	v_dual_cndmask_b32 v4, 0, v21, s6 :: v_dual_cndmask_b32 v54, 0, v55, s6
	v_cndmask_b32_e64 v55, 0x7ff80000, v56, s6
	s_delay_alu instid0(VALU_DEP_1)
	v_mul_f64_e32 v[4:5], v[4:5], v[54:55]
.LBB161_86:                             ;   in Loop: Header=BB161_4 Depth=1
	s_or_b32 exec_lo, exec_lo, s38
	s_delay_alu instid0(VALU_DEP_1) | instskip(SKIP_1) | instid1(VALU_DEP_2)
	v_bfi_b32 v21, 0x7fffffff, 0, v5
	v_add_nc_u32_e32 v3, -2.0, v3
	v_mov_b64_e32 v[4:5], v[20:21]
.LBB161_87:                             ;   in Loop: Header=BB161_4 Depth=1
	s_or_b32 exec_lo, exec_lo, s37
.LBB161_88:                             ;   in Loop: Header=BB161_4 Depth=1
	s_delay_alu instid0(SALU_CYCLE_1) | instskip(SKIP_2) | instid1(VALU_DEP_1)
	s_or_b32 exec_lo, exec_lo, s36
	v_and_b32_e32 v58, 0x7fffffff, v15
	s_mov_b32 s6, exec_lo
	v_cmpx_gt_u32_e32 0x7ff00000, v58
	s_xor_b32 s7, exec_lo, s6
	s_cbranch_execz .LBB161_110
; %bb.89:                               ;   in Loop: Header=BB161_4 Depth=1
	v_cmp_class_f64_e64 s6, v[16:17], 0x1f8
	s_and_saveexec_b32 s36, s6
	s_delay_alu instid0(SALU_CYCLE_1)
	s_xor_b32 s36, exec_lo, s36
	s_cbranch_execz .LBB161_107
; %bb.90:                               ;   in Loop: Header=BB161_4 Depth=1
	s_mov_b32 s6, exec_lo
	v_cmpx_gt_u32_e32 0x40360000, v58
	s_xor_b32 s37, exec_lo, s6
	s_cbranch_execz .LBB161_96
; %bb.91:                               ;   in Loop: Header=BB161_4 Depth=1
	v_cmp_ngt_f64_e64 s6, 0x41d00000, |v[16:17]|
                                        ; implicit-def: $vgpr59
                                        ; implicit-def: $vgpr54_vgpr55
                                        ; implicit-def: $vgpr56_vgpr57
	s_and_saveexec_b32 s38, s6
	s_delay_alu instid0(SALU_CYCLE_1)
	s_xor_b32 s6, exec_lo, s38
	s_cbranch_execz .LBB161_93
; %bb.92:                               ;   in Loop: Header=BB161_4 Depth=1
	v_ldexp_f64 v[54:55], |v[16:17]|, 0xffffff80
	v_cmp_le_f64_e64 vcc_lo, 0x7b000000, |v[16:17]|
	v_trig_preop_f64 v[56:57], |v[16:17]|, 0
	v_and_b32_e32 v21, 0x7fffffff, v17
	v_trig_preop_f64 v[60:61], |v[16:17]|, 1
	v_trig_preop_f64 v[70:71], |v[16:17]|, 2
	s_delay_alu instid0(VALU_DEP_3) | instskip(NEXT) | instid1(VALU_DEP_1)
	v_dual_cndmask_b32 v55, v21, v55 :: v_dual_cndmask_b32 v54, v16, v54
	v_mul_f64_e32 v[62:63], v[56:57], v[54:55]
	s_delay_alu instid0(VALU_DEP_4) | instskip(NEXT) | instid1(VALU_DEP_4)
	v_mul_f64_e32 v[64:65], v[60:61], v[54:55]
	v_mul_f64_e32 v[76:77], v[70:71], v[54:55]
	s_delay_alu instid0(VALU_DEP_3) | instskip(NEXT) | instid1(VALU_DEP_3)
	v_fma_f64 v[56:57], v[56:57], v[54:55], -v[62:63]
	v_fma_f64 v[60:61], v[60:61], v[54:55], -v[64:65]
	s_delay_alu instid0(VALU_DEP_3) | instskip(NEXT) | instid1(VALU_DEP_3)
	v_fma_f64 v[54:55], v[70:71], v[54:55], -v[76:77]
	v_add_f64_e32 v[66:67], v[64:65], v[56:57]
	s_delay_alu instid0(VALU_DEP_1) | instskip(SKIP_1) | instid1(VALU_DEP_2)
	v_add_f64_e64 v[68:69], v[66:67], -v[64:65]
	v_add_f64_e32 v[74:75], v[62:63], v[66:67]
	v_add_f64_e64 v[72:73], v[66:67], -v[68:69]
	v_add_f64_e64 v[56:57], v[56:57], -v[68:69]
	s_delay_alu instid0(VALU_DEP_3) | instskip(NEXT) | instid1(VALU_DEP_3)
	v_ldexp_f64 v[68:69], v[74:75], -2
	v_add_f64_e64 v[64:65], v[64:65], -v[72:73]
	v_add_f64_e32 v[72:73], v[76:77], v[60:61]
	s_delay_alu instid0(VALU_DEP_3) | instskip(NEXT) | instid1(VALU_DEP_3)
	v_cmp_neq_f64_e64 vcc_lo, 0x7ff00000, |v[68:69]|
	v_add_f64_e32 v[56:57], v[56:57], v[64:65]
	v_fract_f64_e32 v[64:65], v[68:69]
	s_delay_alu instid0(VALU_DEP_1) | instskip(NEXT) | instid1(VALU_DEP_1)
	v_ldexp_f64 v[64:65], v[64:65], 2
	v_dual_add_f64 v[62:63], v[74:75], -v[62:63] :: v_dual_cndmask_b32 v65, 0, v65, vcc_lo
	s_delay_alu instid0(VALU_DEP_1) | instskip(SKIP_1) | instid1(VALU_DEP_1)
	v_dual_add_f64 v[62:63], v[66:67], -v[62:63] :: v_dual_cndmask_b32 v64, 0, v64, vcc_lo
	v_add_f64_e32 v[66:67], v[72:73], v[56:57]
	v_add_f64_e32 v[68:69], v[62:63], v[66:67]
	v_add_f64_e64 v[78:79], v[66:67], -v[72:73]
	s_delay_alu instid0(VALU_DEP_2) | instskip(NEXT) | instid1(VALU_DEP_2)
	v_add_f64_e32 v[74:75], v[68:69], v[64:65]
	v_add_f64_e64 v[84:85], v[66:67], -v[78:79]
	v_add_f64_e64 v[56:57], v[56:57], -v[78:79]
	v_add_f64_e64 v[62:63], v[68:69], -v[62:63]
	s_delay_alu instid0(VALU_DEP_4) | instskip(SKIP_1) | instid1(VALU_DEP_3)
	v_cmp_gt_f64_e32 vcc_lo, 0, v[74:75]
	v_add_f64_e64 v[74:75], v[72:73], -v[76:77]
	v_add_f64_e64 v[62:63], v[66:67], -v[62:63]
	v_cndmask_b32_e64 v21, 0, 0x40100000, vcc_lo
	s_delay_alu instid0(VALU_DEP_3) | instskip(SKIP_2) | instid1(VALU_DEP_4)
	v_add_f64_e64 v[82:83], v[72:73], -v[74:75]
	v_add_f64_e64 v[60:61], v[60:61], -v[74:75]
	v_add_f64_e64 v[72:73], v[72:73], -v[84:85]
	v_add_f64_e32 v[64:65], v[64:65], v[20:21]
	s_delay_alu instid0(VALU_DEP_4) | instskip(NEXT) | instid1(VALU_DEP_3)
	v_add_f64_e64 v[74:75], v[76:77], -v[82:83]
	v_add_f64_e32 v[56:57], v[56:57], v[72:73]
	s_delay_alu instid0(VALU_DEP_3) | instskip(NEXT) | instid1(VALU_DEP_3)
	v_add_f64_e32 v[80:81], v[68:69], v[64:65]
	v_add_f64_e32 v[60:61], v[60:61], v[74:75]
	s_delay_alu instid0(VALU_DEP_2) | instskip(NEXT) | instid1(VALU_DEP_2)
	v_cvt_i32_f64_e32 v21, v[80:81]
	v_add_f64_e32 v[56:57], v[60:61], v[56:57]
	s_delay_alu instid0(VALU_DEP_2) | instskip(NEXT) | instid1(VALU_DEP_2)
	v_cvt_f64_i32_e32 v[78:79], v21
	v_add_f64_e32 v[54:55], v[54:55], v[56:57]
	s_delay_alu instid0(VALU_DEP_2) | instskip(NEXT) | instid1(VALU_DEP_2)
	v_add_f64_e64 v[64:65], v[64:65], -v[78:79]
	v_add_f64_e32 v[54:55], v[62:63], v[54:55]
	s_delay_alu instid0(VALU_DEP_2) | instskip(NEXT) | instid1(VALU_DEP_1)
	v_add_f64_e32 v[60:61], v[68:69], v[64:65]
	v_add_f64_e64 v[56:57], v[60:61], -v[64:65]
	v_cmp_le_f64_e32 vcc_lo, 0.5, v[60:61]
	s_delay_alu instid0(VALU_DEP_2) | instskip(SKIP_2) | instid1(VALU_DEP_3)
	v_add_f64_e64 v[56:57], v[68:69], -v[56:57]
	v_add_co_ci_u32_e64 v59, null, 0, v21, vcc_lo
	v_cndmask_b32_e64 v21, 0, 0x3ff00000, vcc_lo
	v_add_f64_e32 v[54:55], v[54:55], v[56:57]
	s_delay_alu instid0(VALU_DEP_2) | instskip(NEXT) | instid1(VALU_DEP_1)
	v_add_f64_e64 v[56:57], v[60:61], -v[20:21]
	v_add_f64_e32 v[60:61], v[56:57], v[54:55]
	s_delay_alu instid0(VALU_DEP_1) | instskip(SKIP_1) | instid1(VALU_DEP_2)
	v_mul_f64_e32 v[62:63], 0x3ff921fb54442d18, v[60:61]
	v_add_f64_e64 v[56:57], v[60:61], -v[56:57]
	v_fma_f64 v[64:65], v[60:61], s[16:17], -v[62:63]
	s_delay_alu instid0(VALU_DEP_2) | instskip(NEXT) | instid1(VALU_DEP_2)
	v_add_f64_e64 v[54:55], v[54:55], -v[56:57]
	v_fmac_f64_e32 v[64:65], 0x3c91a62633145c07, v[60:61]
	s_delay_alu instid0(VALU_DEP_1) | instskip(NEXT) | instid1(VALU_DEP_1)
	v_fmac_f64_e32 v[64:65], 0x3ff921fb54442d18, v[54:55]
	v_add_f64_e32 v[54:55], v[62:63], v[64:65]
	s_delay_alu instid0(VALU_DEP_1) | instskip(NEXT) | instid1(VALU_DEP_1)
	v_add_f64_e64 v[56:57], v[54:55], -v[62:63]
	v_add_f64_e64 v[56:57], v[64:65], -v[56:57]
.LBB161_93:                             ;   in Loop: Header=BB161_4 Depth=1
	s_and_not1_saveexec_b32 s6, s6
	s_cbranch_execz .LBB161_95
; %bb.94:                               ;   in Loop: Header=BB161_4 Depth=1
	v_mul_f64_e64 v[54:55], |v[16:17]|, s[18:19]
	s_delay_alu instid0(VALU_DEP_1) | instskip(NEXT) | instid1(VALU_DEP_1)
	v_rndne_f64_e32 v[60:61], v[54:55]
	v_fma_f64 v[54:55], v[60:61], s[20:21], |v[16:17]|
	v_mul_f64_e32 v[56:57], 0xbc91a62633145c00, v[60:61]
	v_cvt_i32_f64_e32 v59, v[60:61]
	s_delay_alu instid0(VALU_DEP_3) | instskip(NEXT) | instid1(VALU_DEP_3)
	v_fmamk_f64 v[66:67], v[60:61], 0xbc91a62633145c00, v[54:55]
	v_add_f64_e32 v[62:63], v[54:55], v[56:57]
	s_delay_alu instid0(VALU_DEP_1) | instskip(NEXT) | instid1(VALU_DEP_3)
	v_add_f64_e64 v[64:65], v[54:55], -v[62:63]
	v_add_f64_e64 v[54:55], v[62:63], -v[66:67]
	s_delay_alu instid0(VALU_DEP_2) | instskip(SKIP_1) | instid1(VALU_DEP_2)
	v_add_f64_e32 v[62:63], v[64:65], v[56:57]
	v_fmamk_f64 v[56:57], v[60:61], 0x3c91a62633145c00, v[56:57]
	v_add_f64_e32 v[54:55], v[54:55], v[62:63]
	s_delay_alu instid0(VALU_DEP_1) | instskip(NEXT) | instid1(VALU_DEP_1)
	v_add_f64_e64 v[56:57], v[54:55], -v[56:57]
	v_fmac_f64_e32 v[56:57], 0xb97b839a252049c0, v[60:61]
	s_delay_alu instid0(VALU_DEP_1) | instskip(NEXT) | instid1(VALU_DEP_1)
	v_add_f64_e32 v[54:55], v[66:67], v[56:57]
	v_add_f64_e64 v[62:63], v[54:55], -v[66:67]
	s_delay_alu instid0(VALU_DEP_1)
	v_add_f64_e64 v[56:57], v[56:57], -v[62:63]
.LBB161_95:                             ;   in Loop: Header=BB161_4 Depth=1
	s_or_b32 exec_lo, exec_lo, s6
	v_add_f64_e64 v[60:61], |v[14:15]|, s[22:23]
	v_cmp_nge_f64_e64 vcc_lo, |v[14:15]|, s[28:29]
	v_mul_f64_e32 v[78:79], v[54:55], v[54:55]
	s_delay_alu instid0(VALU_DEP_4) | instskip(NEXT) | instid1(VALU_DEP_4)
	v_add_f64_e32 v[80:81], v[56:57], v[56:57]
	v_add_f64_e64 v[62:63], v[60:61], -|v[14:15]|
	s_delay_alu instid0(VALU_DEP_3) | instskip(NEXT) | instid1(VALU_DEP_2)
	v_fma_f64 v[82:83], v[54:55], v[54:55], -v[78:79]
	v_add_f64_e64 v[64:65], v[62:63], -v[60:61]
	v_add_f64_e32 v[62:63], 0x3fe62e42fefa39ef, v[62:63]
	s_delay_alu instid0(VALU_DEP_3) | instskip(NEXT) | instid1(VALU_DEP_3)
	v_fmac_f64_e32 v[82:83], v[54:55], v[80:81]
	v_add_f64_e64 v[64:65], |v[14:15]|, v[64:65]
	s_delay_alu instid0(VALU_DEP_2) | instskip(NEXT) | instid1(VALU_DEP_2)
	v_add_f64_e32 v[78:79], v[78:79], v[82:83]
	v_add_f64_e64 v[62:63], v[64:65], -v[62:63]
	s_delay_alu instid0(VALU_DEP_2) | instskip(NEXT) | instid1(VALU_DEP_1)
	v_fmamk_f64 v[82:83], v[78:79], 0x3ef5e089c751c08c, v[26:27]
	v_fmaak_f64 v[82:83], v[78:79], v[82:83], 0x3f17746f90a8aae0
	s_delay_alu instid0(VALU_DEP_1) | instskip(NEXT) | instid1(VALU_DEP_4)
	v_fmaak_f64 v[82:83], v[78:79], v[82:83], 0xbefbb44da6fbf144
	v_add_f64_e32 v[62:63], 0xbc7abc9e3b39803f, v[62:63]
	s_delay_alu instid0(VALU_DEP_1) | instskip(NEXT) | instid1(VALU_DEP_1)
	v_add_f64_e32 v[64:65], v[60:61], v[62:63]
	v_mul_f64_e32 v[66:67], 0x3ff71547652b82fe, v[64:65]
	v_add_f64_e64 v[60:61], v[60:61], -v[64:65]
	s_delay_alu instid0(VALU_DEP_2) | instskip(NEXT) | instid1(VALU_DEP_2)
	v_rndne_f64_e32 v[66:67], v[66:67]
	v_add_f64_e32 v[60:61], v[62:63], v[60:61]
	s_delay_alu instid0(VALU_DEP_2) | instskip(SKIP_2) | instid1(VALU_DEP_3)
	v_fmac_f64_e32 v[64:65], 0xbfe62e42fefa3000, v[66:67]
	v_mul_f64_e32 v[62:63], 0xbd53de6af278e000, v[66:67]
	v_cvt_i32_f64_e32 v16, v[66:67]
	v_add_f64_e32 v[68:69], v[60:61], v[64:65]
	s_delay_alu instid0(VALU_DEP_1) | instskip(SKIP_1) | instid1(VALU_DEP_2)
	v_add_f64_e32 v[70:71], v[68:69], v[62:63]
	v_add_f64_e64 v[64:65], v[64:65], -v[68:69]
	v_add_f64_e64 v[68:69], v[68:69], -v[70:71]
	s_delay_alu instid0(VALU_DEP_2) | instskip(NEXT) | instid1(VALU_DEP_2)
	v_add_f64_e32 v[60:61], v[60:61], v[64:65]
	v_add_f64_e32 v[62:63], v[68:69], v[62:63]
	s_delay_alu instid0(VALU_DEP_1) | instskip(SKIP_1) | instid1(VALU_DEP_2)
	v_add_f64_e32 v[60:61], v[60:61], v[62:63]
	v_mul_f64_e32 v[62:63], 0xbac9cc01f97b57a0, v[66:67]
	v_add_f64_e32 v[64:65], v[70:71], v[60:61]
	s_delay_alu instid0(VALU_DEP_1) | instskip(SKIP_1) | instid1(VALU_DEP_2)
	v_add_f64_e32 v[68:69], v[64:65], v[62:63]
	v_add_f64_e64 v[70:71], v[70:71], -v[64:65]
	v_add_f64_e64 v[64:65], v[64:65], -v[68:69]
	s_delay_alu instid0(VALU_DEP_2) | instskip(NEXT) | instid1(VALU_DEP_2)
	v_add_f64_e32 v[60:61], v[60:61], v[70:71]
	v_add_f64_e32 v[62:63], v[64:65], v[62:63]
	s_delay_alu instid0(VALU_DEP_1) | instskip(NEXT) | instid1(VALU_DEP_1)
	v_add_f64_e32 v[60:61], v[60:61], v[62:63]
	v_add_f64_e32 v[62:63], v[68:69], v[60:61]
	s_delay_alu instid0(VALU_DEP_1) | instskip(SKIP_1) | instid1(VALU_DEP_2)
	v_add_f64_e64 v[64:65], v[68:69], -v[62:63]
	v_mul_f64_e32 v[68:69], v[62:63], v[62:63]
	v_add_f64_e32 v[60:61], v[60:61], v[64:65]
	s_delay_alu instid0(VALU_DEP_2) | instskip(NEXT) | instid1(VALU_DEP_2)
	v_fma_f64 v[64:65], v[62:63], v[62:63], -v[68:69]
	v_add_f64_e32 v[70:71], v[60:61], v[60:61]
	s_delay_alu instid0(VALU_DEP_1) | instskip(SKIP_1) | instid1(VALU_DEP_1)
	v_fmac_f64_e32 v[64:65], v[62:63], v[70:71]
	v_fmamk_f64 v[70:71], v[62:63], 0x3e5ade156a5dcb37, v[28:29]
	v_fmaak_f64 v[70:71], v[62:63], v[70:71], 0x3ec71dee623fde64
	s_delay_alu instid0(VALU_DEP_1) | instskip(NEXT) | instid1(VALU_DEP_1)
	v_fmaak_f64 v[70:71], v[62:63], v[70:71], 0x3efa01997c89e6b0
	v_fmaak_f64 v[70:71], v[62:63], v[70:71], 0x3f2a01a014761f6e
	s_delay_alu instid0(VALU_DEP_1) | instskip(SKIP_1) | instid1(VALU_DEP_2)
	v_fmaak_f64 v[70:71], v[62:63], v[70:71], 0x3f56c16c1852b7b0
	v_add_f64_e32 v[72:73], v[68:69], v[64:65]
	v_fmaak_f64 v[70:71], v[62:63], v[70:71], 0x3f81111111122322
	s_delay_alu instid0(VALU_DEP_1) | instskip(NEXT) | instid1(VALU_DEP_1)
	v_fmaak_f64 v[70:71], v[62:63], v[70:71], 0x3fa55555555502a1
	v_fmaak_f64 v[70:71], v[62:63], v[70:71], 0x3fc5555555555511
	s_delay_alu instid0(VALU_DEP_1) | instskip(SKIP_1) | instid1(VALU_DEP_2)
	v_fmaak_f64 v[70:71], v[62:63], v[70:71], 0x3fe000000000000b
	v_add_f64_e64 v[68:69], v[72:73], -v[68:69]
	v_mul_f64_e32 v[74:75], v[72:73], v[70:71]
	s_delay_alu instid0(VALU_DEP_2) | instskip(NEXT) | instid1(VALU_DEP_2)
	v_add_f64_e64 v[64:65], v[64:65], -v[68:69]
	v_fma_f64 v[68:69], v[72:73], v[70:71], -v[74:75]
	s_delay_alu instid0(VALU_DEP_1) | instskip(NEXT) | instid1(VALU_DEP_1)
	v_fmac_f64_e32 v[68:69], v[64:65], v[70:71]
	v_add_f64_e32 v[64:65], v[74:75], v[68:69]
	s_delay_alu instid0(VALU_DEP_1) | instskip(SKIP_1) | instid1(VALU_DEP_2)
	v_add_f64_e32 v[70:71], v[62:63], v[64:65]
	v_add_f64_e64 v[72:73], v[64:65], -v[74:75]
	v_add_f64_e64 v[62:63], v[70:71], -v[62:63]
	s_delay_alu instid0(VALU_DEP_2) | instskip(NEXT) | instid1(VALU_DEP_2)
	v_add_f64_e64 v[68:69], v[68:69], -v[72:73]
	v_add_f64_e64 v[62:63], v[64:65], -v[62:63]
	s_delay_alu instid0(VALU_DEP_2) | instskip(NEXT) | instid1(VALU_DEP_1)
	v_add_f64_e32 v[60:61], v[60:61], v[68:69]
	v_add_f64_e32 v[60:61], v[60:61], v[62:63]
	s_delay_alu instid0(VALU_DEP_1) | instskip(NEXT) | instid1(VALU_DEP_1)
	v_add_f64_e32 v[62:63], v[70:71], v[60:61]
	v_add_f64_e32 v[64:65], 1.0, v[62:63]
	v_add_f64_e64 v[68:69], v[62:63], -v[70:71]
	s_delay_alu instid0(VALU_DEP_2) | instskip(NEXT) | instid1(VALU_DEP_2)
	v_add_f64_e32 v[70:71], -1.0, v[64:65]
	v_add_f64_e64 v[60:61], v[60:61], -v[68:69]
	s_delay_alu instid0(VALU_DEP_2) | instskip(NEXT) | instid1(VALU_DEP_1)
	v_add_f64_e64 v[62:63], v[62:63], -v[70:71]
	v_add_f64_e32 v[60:61], v[60:61], v[62:63]
	s_delay_alu instid0(VALU_DEP_1) | instskip(NEXT) | instid1(VALU_DEP_1)
	v_add_f64_e32 v[62:63], v[64:65], v[60:61]
	v_ldexp_f64 v[66:67], v[62:63], v16
	v_add_f64_e64 v[62:63], v[62:63], -v[64:65]
	s_delay_alu instid0(VALU_DEP_2) | instskip(NEXT) | instid1(VALU_DEP_1)
	v_rcp_f64_e32 v[68:69], v[66:67]
	v_add_f64_e64 v[60:61], v[60:61], -v[62:63]
	s_delay_alu instid0(VALU_DEP_1) | instskip(NEXT) | instid1(TRANS32_DEP_1)
	v_ldexp_f64 v[60:61], v[60:61], v16
	v_fma_f64 v[70:71], -v[66:67], v[68:69], 1.0
	s_delay_alu instid0(VALU_DEP_1) | instskip(NEXT) | instid1(VALU_DEP_1)
	v_fmac_f64_e32 v[68:69], v[70:71], v[68:69]
	v_fma_f64 v[70:71], -v[66:67], v[68:69], 1.0
	s_delay_alu instid0(VALU_DEP_1) | instskip(NEXT) | instid1(VALU_DEP_1)
	v_fmac_f64_e32 v[68:69], v[70:71], v[68:69]
	v_mul_f64_e32 v[62:63], v[66:67], v[68:69]
	s_delay_alu instid0(VALU_DEP_1) | instskip(NEXT) | instid1(VALU_DEP_1)
	v_fma_f64 v[64:65], v[68:69], v[66:67], -v[62:63]
	v_fmac_f64_e32 v[64:65], v[68:69], v[60:61]
	s_delay_alu instid0(VALU_DEP_1) | instskip(NEXT) | instid1(VALU_DEP_1)
	v_add_f64_e32 v[70:71], v[62:63], v[64:65]
	v_add_f64_e64 v[72:73], -v[70:71], 1.0
	v_add_f64_e64 v[62:63], v[70:71], -v[62:63]
	s_delay_alu instid0(VALU_DEP_2) | instskip(NEXT) | instid1(VALU_DEP_2)
	v_add_f64_e64 v[74:75], -v[72:73], 1.0
	v_add_f64_e64 v[62:63], v[62:63], -v[64:65]
	s_delay_alu instid0(VALU_DEP_2) | instskip(NEXT) | instid1(VALU_DEP_1)
	v_add_f64_e64 v[64:65], v[74:75], -v[70:71]
	v_add_f64_e32 v[62:63], v[62:63], v[64:65]
	s_delay_alu instid0(VALU_DEP_1) | instskip(NEXT) | instid1(VALU_DEP_1)
	v_add_f64_e32 v[64:65], v[72:73], v[62:63]
	v_mul_f64_e32 v[70:71], v[68:69], v[64:65]
	v_add_f64_e64 v[72:73], v[72:73], -v[64:65]
	s_delay_alu instid0(VALU_DEP_2) | instskip(NEXT) | instid1(VALU_DEP_2)
	v_mul_f64_e32 v[74:75], v[66:67], v[70:71]
	v_add_f64_e32 v[62:63], v[62:63], v[72:73]
	s_delay_alu instid0(VALU_DEP_2) | instskip(NEXT) | instid1(VALU_DEP_1)
	v_fma_f64 v[76:77], v[70:71], v[66:67], -v[74:75]
	v_fmac_f64_e32 v[76:77], v[70:71], v[60:61]
	s_delay_alu instid0(VALU_DEP_1) | instskip(NEXT) | instid1(VALU_DEP_1)
	v_add_f64_e32 v[84:85], v[74:75], v[76:77]
	v_add_f64_e64 v[80:81], v[64:65], -v[84:85]
	v_add_f64_e64 v[72:73], v[84:85], -v[74:75]
	v_fmaak_f64 v[74:75], v[78:79], v[82:83], 0x3f21e634a7943acf
	s_delay_alu instid0(VALU_DEP_1) | instskip(NEXT) | instid1(VALU_DEP_1)
	v_fmaak_f64 v[74:75], v[78:79], v[74:75], 0x3f2d250fdeb68feb
	v_fmaak_f64 v[74:75], v[78:79], v[74:75], 0x3f437fd9b58c4d95
	s_delay_alu instid0(VALU_DEP_1) | instskip(NEXT) | instid1(VALU_DEP_1)
	v_fmaak_f64 v[74:75], v[78:79], v[74:75], 0x3f57d5af15120e2c
	v_fmaak_f64 v[74:75], v[78:79], v[74:75], 0x3f6d6d93e09491df
	v_add_f64_e64 v[64:65], v[64:65], -v[80:81]
	v_add_f64_e64 v[72:73], v[72:73], -v[76:77]
	s_delay_alu instid0(VALU_DEP_2) | instskip(NEXT) | instid1(VALU_DEP_1)
	v_add_f64_e64 v[64:65], v[64:65], -v[84:85]
	v_add_f64_e32 v[62:63], v[62:63], v[64:65]
	v_fmaak_f64 v[64:65], v[78:79], v[74:75], 0x3f8226e12033784d
	v_add_f64_e32 v[74:75], v[68:69], v[70:71]
	s_delay_alu instid0(VALU_DEP_2) | instskip(NEXT) | instid1(VALU_DEP_1)
	v_fmaak_f64 v[64:65], v[78:79], v[64:65], 0x3f9664f49ac36ae2
	v_fmaak_f64 v[64:65], v[78:79], v[64:65], 0x3faba1ba1b451c21
	s_delay_alu instid0(VALU_DEP_1) | instskip(NEXT) | instid1(VALU_DEP_1)
	v_fmaak_f64 v[64:65], v[78:79], v[64:65], 0x3fc11111111185b7
	v_fmaak_f64 v[64:65], v[78:79], v[64:65], 0x3fd55555555554ee
	v_add_f64_e32 v[62:63], v[72:73], v[62:63]
	v_add_f64_e64 v[72:73], v[74:75], -v[68:69]
	s_delay_alu instid0(VALU_DEP_3) | instskip(NEXT) | instid1(VALU_DEP_3)
	v_mul_f64_e32 v[64:65], v[78:79], v[64:65]
	v_add_f64_e32 v[62:63], v[80:81], v[62:63]
	s_delay_alu instid0(VALU_DEP_3) | instskip(NEXT) | instid1(VALU_DEP_3)
	v_add_f64_e64 v[70:71], v[70:71], -v[72:73]
	v_mul_f64_e32 v[76:77], v[54:55], v[64:65]
	s_delay_alu instid0(VALU_DEP_3) | instskip(NEXT) | instid1(VALU_DEP_2)
	v_mul_f64_e32 v[62:63], v[68:69], v[62:63]
	v_add_f64_e32 v[68:69], v[54:55], v[76:77]
	v_fma_f64 v[64:65], v[54:55], v[64:65], -v[76:77]
	s_delay_alu instid0(VALU_DEP_3) | instskip(NEXT) | instid1(VALU_DEP_3)
	v_add_f64_e32 v[62:63], v[70:71], v[62:63]
	v_add_f64_e64 v[54:55], v[68:69], -v[54:55]
	s_delay_alu instid0(VALU_DEP_3) | instskip(NEXT) | instid1(VALU_DEP_3)
	v_add_f64_e32 v[56:57], v[56:57], v[64:65]
	v_add_f64_e32 v[70:71], v[74:75], v[62:63]
	s_delay_alu instid0(VALU_DEP_3) | instskip(NEXT) | instid1(VALU_DEP_2)
	v_add_f64_e64 v[54:55], v[76:77], -v[54:55]
	v_ldexp_f64 v[64:65], v[70:71], -2
	v_add_f64_e64 v[70:71], v[70:71], -v[74:75]
	s_delay_alu instid0(VALU_DEP_3) | instskip(NEXT) | instid1(VALU_DEP_3)
	v_add_f64_e32 v[54:55], v[56:57], v[54:55]
	v_add_f64_e64 v[56:57], v[66:67], -v[64:65]
	s_delay_alu instid0(VALU_DEP_3) | instskip(NEXT) | instid1(VALU_DEP_3)
	v_add_f64_e64 v[62:63], v[62:63], -v[70:71]
	v_add_f64_e32 v[72:73], v[68:69], v[54:55]
	s_delay_alu instid0(VALU_DEP_3) | instskip(NEXT) | instid1(VALU_DEP_3)
	v_add_f64_e64 v[66:67], v[66:67], -v[56:57]
	v_ldexp_f64 v[62:63], v[62:63], -2
	s_delay_alu instid0(VALU_DEP_3) | instskip(NEXT) | instid1(VALU_DEP_2)
	v_rcp_f64_e32 v[74:75], v[72:73]
	v_add_f64_e64 v[64:65], v[66:67], -v[64:65]
	s_delay_alu instid0(TRANS32_DEP_1) | instskip(NEXT) | instid1(VALU_DEP_2)
	v_fma_f64 v[66:67], -v[72:73], v[74:75], 1.0
	v_add_f64_e32 v[60:61], v[60:61], v[64:65]
	s_delay_alu instid0(VALU_DEP_2) | instskip(NEXT) | instid1(VALU_DEP_2)
	v_fmac_f64_e32 v[74:75], v[66:67], v[74:75]
	v_add_f64_e64 v[60:61], v[60:61], -v[62:63]
	s_delay_alu instid0(VALU_DEP_2) | instskip(NEXT) | instid1(VALU_DEP_2)
	v_fma_f64 v[62:63], -v[72:73], v[74:75], 1.0
	v_add_f64_e32 v[56:57], v[56:57], v[60:61]
	s_delay_alu instid0(VALU_DEP_2) | instskip(NEXT) | instid1(VALU_DEP_2)
	v_fmac_f64_e32 v[74:75], v[62:63], v[74:75]
	v_cndmask_b32_e32 v16, 0x7ff00000, v57, vcc_lo
	s_delay_alu instid0(VALU_DEP_3) | instskip(SKIP_4) | instid1(VALU_DEP_3)
	v_cndmask_b32_e32 v21, 0, v56, vcc_lo
	v_cmp_gt_f64_e64 vcc_lo, 0x3e400000, |v[14:15]|
	v_add_f64_e64 v[56:57], v[72:73], -v[68:69]
	v_mul_f64_e32 v[60:61], v[72:73], v[74:75]
	v_cndmask_b32_e32 v16, v16, v58, vcc_lo
	v_dual_add_f64 v[54:55], v[54:55], -v[56:57] :: v_dual_cndmask_b32 v14, v21, v14, vcc_lo
	s_delay_alu instid0(VALU_DEP_2) | instskip(NEXT) | instid1(VALU_DEP_4)
	v_bfi_b32 v15, 0x7fffffff, v16, v15
	v_fma_f64 v[56:57], v[74:75], v[72:73], -v[60:61]
	s_delay_alu instid0(VALU_DEP_2) | instskip(NEXT) | instid1(VALU_DEP_2)
	v_fma_f64 v[62:63], v[14:15], v[14:15], 1.0
	v_fmac_f64_e32 v[56:57], v[74:75], v[54:55]
	s_delay_alu instid0(VALU_DEP_2) | instskip(SKIP_1) | instid1(VALU_DEP_1)
	v_cmp_gt_f64_e32 vcc_lo, 0x10000000, v[62:63]
	v_cndmask_b32_e64 v16, 0, 0x100, vcc_lo
	v_ldexp_f64 v[54:55], v[62:63], v16
	s_delay_alu instid0(VALU_DEP_4) | instskip(NEXT) | instid1(VALU_DEP_1)
	v_dual_add_f64 v[62:63], v[60:61], v[56:57] :: v_dual_bitop2_b32 v16, 1, v59 bitop3:0x40
	v_cmp_eq_u32_e64 s6, 0, v16
	s_delay_alu instid0(VALU_DEP_3) | instskip(NEXT) | instid1(VALU_DEP_2)
	v_rsq_f64_e32 v[64:65], v[54:55]
	v_add_f64_e64 v[66:67], -v[62:63], 1.0
	v_add_f64_e64 v[60:61], v[62:63], -v[60:61]
	s_delay_alu instid0(VALU_DEP_2) | instskip(NEXT) | instid1(VALU_DEP_2)
	v_add_f64_e64 v[70:71], -v[66:67], 1.0
	v_add_f64_e64 v[56:57], v[60:61], -v[56:57]
	s_delay_alu instid0(TRANS32_DEP_1) | instskip(SKIP_1) | instid1(VALU_DEP_4)
	v_mul_f64_e32 v[68:69], v[54:55], v[64:65]
	v_mul_f64_e32 v[64:65], 0.5, v[64:65]
	v_add_f64_e64 v[60:61], v[70:71], -v[62:63]
	s_delay_alu instid0(VALU_DEP_2) | instskip(NEXT) | instid1(VALU_DEP_2)
	v_fma_f64 v[76:77], -v[64:65], v[68:69], 0.5
	v_add_f64_e32 v[56:57], v[56:57], v[60:61]
	s_delay_alu instid0(VALU_DEP_2) | instskip(SKIP_1) | instid1(VALU_DEP_3)
	v_fmac_f64_e32 v[68:69], v[68:69], v[76:77]
	v_fmac_f64_e32 v[64:65], v[64:65], v[76:77]
	v_add_f64_e32 v[56:57], v[66:67], v[56:57]
	s_delay_alu instid0(VALU_DEP_3) | instskip(NEXT) | instid1(VALU_DEP_2)
	v_fma_f64 v[60:61], -v[68:69], v[68:69], v[54:55]
	v_mul_f64_e32 v[56:57], v[74:75], v[56:57]
	s_delay_alu instid0(VALU_DEP_2) | instskip(NEXT) | instid1(VALU_DEP_2)
	v_fmac_f64_e32 v[68:69], v[60:61], v[64:65]
	v_add_f64_e32 v[56:57], v[74:75], v[56:57]
	s_delay_alu instid0(VALU_DEP_2) | instskip(NEXT) | instid1(VALU_DEP_2)
	v_fma_f64 v[60:61], -v[68:69], v[68:69], v[54:55]
	v_xor_b32_e32 v21, 0x80000000, v57
	s_delay_alu instid0(VALU_DEP_3) | instskip(SKIP_2) | instid1(VALU_DEP_4)
	v_cndmask_b32_e64 v16, v56, v72, s6
	v_cndmask_b32_e64 v56, 0, 0xffffff80, vcc_lo
	v_cmp_class_f64_e64 vcc_lo, v[54:55], 0x260
	v_cndmask_b32_e64 v21, v21, v73, s6
	v_fmac_f64_e32 v[68:69], v[60:61], v[64:65]
	s_delay_alu instid0(VALU_DEP_2) | instskip(NEXT) | instid1(VALU_DEP_1)
	v_bitop3_b32 v17, v21, v17, 0x80000000 bitop3:0x78
	v_fma_f64 v[58:59], v[16:17], v[16:17], 1.0
	s_delay_alu instid0(VALU_DEP_3) | instskip(NEXT) | instid1(VALU_DEP_1)
	v_ldexp_f64 v[56:57], v[68:69], v56
	v_dual_cndmask_b32 v55, v57, v55 :: v_dual_cndmask_b32 v54, v56, v54
	s_delay_alu instid0(VALU_DEP_3) | instskip(NEXT) | instid1(VALU_DEP_2)
	v_mul_f64_e32 v[56:57], v[14:15], v[58:59]
	v_mul_f64_e32 v[54:55], v[54:55], v[58:59]
	s_delay_alu instid0(VALU_DEP_2) | instskip(NEXT) | instid1(VALU_DEP_2)
	v_fma_f64 v[56:57], v[14:15], v[56:57], 1.0
	v_mul_f64_e32 v[14:15], v[14:15], v[54:55]
	s_delay_alu instid0(VALU_DEP_2) | instskip(NEXT) | instid1(VALU_DEP_2)
	v_div_scale_f64 v[58:59], null, v[56:57], v[56:57], v[16:17]
	v_div_scale_f64 v[54:55], null, v[56:57], v[56:57], v[14:15]
	v_div_scale_f64 v[68:69], vcc_lo, v[14:15], v[56:57], v[14:15]
	s_delay_alu instid0(VALU_DEP_3) | instskip(NEXT) | instid1(VALU_DEP_2)
	v_rcp_f64_e32 v[62:63], v[58:59]
	v_rcp_f64_e32 v[60:61], v[54:55]
	s_delay_alu instid0(TRANS32_DEP_2) | instskip(NEXT) | instid1(TRANS32_DEP_1)
	v_fma_f64 v[66:67], -v[58:59], v[62:63], 1.0
	v_fma_f64 v[64:65], -v[54:55], v[60:61], 1.0
	s_delay_alu instid0(VALU_DEP_2) | instskip(NEXT) | instid1(VALU_DEP_2)
	v_fmac_f64_e32 v[62:63], v[62:63], v[66:67]
	v_fmac_f64_e32 v[60:61], v[60:61], v[64:65]
	s_delay_alu instid0(VALU_DEP_2) | instskip(NEXT) | instid1(VALU_DEP_2)
	v_fma_f64 v[66:67], -v[58:59], v[62:63], 1.0
	v_fma_f64 v[64:65], -v[54:55], v[60:61], 1.0
	s_delay_alu instid0(VALU_DEP_2) | instskip(NEXT) | instid1(VALU_DEP_2)
	v_fmac_f64_e32 v[62:63], v[62:63], v[66:67]
	v_fmac_f64_e32 v[60:61], v[60:61], v[64:65]
	v_div_scale_f64 v[64:65], s6, v[16:17], v[56:57], v[16:17]
	s_delay_alu instid0(VALU_DEP_2) | instskip(NEXT) | instid1(VALU_DEP_2)
	v_mul_f64_e32 v[66:67], v[68:69], v[60:61]
	v_mul_f64_e32 v[70:71], v[64:65], v[62:63]
	s_delay_alu instid0(VALU_DEP_2) | instskip(NEXT) | instid1(VALU_DEP_2)
	v_fma_f64 v[54:55], -v[54:55], v[66:67], v[68:69]
	v_fma_f64 v[58:59], -v[58:59], v[70:71], v[64:65]
	s_delay_alu instid0(VALU_DEP_2) | instskip(SKIP_1) | instid1(VALU_DEP_2)
	v_div_fmas_f64 v[54:55], v[54:55], v[60:61], v[66:67]
	s_mov_b32 vcc_lo, s6
	v_div_fmas_f64 v[58:59], v[58:59], v[62:63], v[70:71]
	s_delay_alu instid0(VALU_DEP_2) | instskip(NEXT) | instid1(VALU_DEP_2)
	v_div_fixup_f64 v[14:15], v[54:55], v[56:57], v[14:15]
	v_div_fixup_f64 v[16:17], v[58:59], v[56:57], v[16:17]
.LBB161_96:                             ;   in Loop: Header=BB161_4 Depth=1
	s_and_not1_saveexec_b32 s6, s37
	s_cbranch_execz .LBB161_106
; %bb.97:                               ;   in Loop: Header=BB161_4 Depth=1
	s_delay_alu instid0(VALU_DEP_1) | instskip(SKIP_1) | instid1(SALU_CYCLE_1)
	v_cmp_ngt_f64_e64 s37, 0x41d00000, |v[16:17]|
                                        ; implicit-def: $vgpr62
                                        ; implicit-def: $vgpr54_vgpr55
                                        ; implicit-def: $vgpr56_vgpr57
	s_and_saveexec_b32 s38, s37
	s_xor_b32 s38, exec_lo, s38
	s_cbranch_execz .LBB161_99
; %bb.98:                               ;   in Loop: Header=BB161_4 Depth=1
	v_ldexp_f64 v[54:55], |v[16:17]|, 0xffffff80
	v_cmp_le_f64_e64 vcc_lo, 0x7b000000, |v[16:17]|
	v_trig_preop_f64 v[56:57], |v[16:17]|, 0
	v_and_b32_e32 v21, 0x7fffffff, v17
	v_trig_preop_f64 v[58:59], |v[16:17]|, 1
	v_trig_preop_f64 v[68:69], |v[16:17]|, 2
	s_delay_alu instid0(VALU_DEP_3) | instskip(NEXT) | instid1(VALU_DEP_1)
	v_dual_cndmask_b32 v55, v21, v55 :: v_dual_cndmask_b32 v54, v16, v54
	v_mul_f64_e32 v[60:61], v[56:57], v[54:55]
	s_delay_alu instid0(VALU_DEP_4) | instskip(NEXT) | instid1(VALU_DEP_4)
	v_mul_f64_e32 v[62:63], v[58:59], v[54:55]
	v_mul_f64_e32 v[74:75], v[68:69], v[54:55]
	s_delay_alu instid0(VALU_DEP_3) | instskip(NEXT) | instid1(VALU_DEP_3)
	v_fma_f64 v[56:57], v[56:57], v[54:55], -v[60:61]
	v_fma_f64 v[58:59], v[58:59], v[54:55], -v[62:63]
	s_delay_alu instid0(VALU_DEP_3) | instskip(NEXT) | instid1(VALU_DEP_3)
	v_fma_f64 v[54:55], v[68:69], v[54:55], -v[74:75]
	v_add_f64_e32 v[64:65], v[62:63], v[56:57]
	s_delay_alu instid0(VALU_DEP_1) | instskip(SKIP_1) | instid1(VALU_DEP_2)
	v_add_f64_e64 v[66:67], v[64:65], -v[62:63]
	v_add_f64_e32 v[72:73], v[60:61], v[64:65]
	v_add_f64_e64 v[70:71], v[64:65], -v[66:67]
	v_add_f64_e64 v[56:57], v[56:57], -v[66:67]
	s_delay_alu instid0(VALU_DEP_3) | instskip(NEXT) | instid1(VALU_DEP_3)
	v_ldexp_f64 v[66:67], v[72:73], -2
	v_add_f64_e64 v[62:63], v[62:63], -v[70:71]
	v_add_f64_e32 v[70:71], v[74:75], v[58:59]
	s_delay_alu instid0(VALU_DEP_3) | instskip(NEXT) | instid1(VALU_DEP_3)
	v_cmp_neq_f64_e64 vcc_lo, 0x7ff00000, |v[66:67]|
	v_add_f64_e32 v[56:57], v[56:57], v[62:63]
	v_fract_f64_e32 v[62:63], v[66:67]
	s_delay_alu instid0(VALU_DEP_1) | instskip(NEXT) | instid1(VALU_DEP_1)
	v_ldexp_f64 v[62:63], v[62:63], 2
	v_dual_add_f64 v[60:61], v[72:73], -v[60:61] :: v_dual_cndmask_b32 v62, 0, v62, vcc_lo
	s_delay_alu instid0(VALU_DEP_1) | instskip(SKIP_1) | instid1(VALU_DEP_1)
	v_dual_add_f64 v[60:61], v[64:65], -v[60:61] :: v_dual_cndmask_b32 v63, 0, v63, vcc_lo
	v_add_f64_e32 v[64:65], v[70:71], v[56:57]
	v_add_f64_e32 v[66:67], v[60:61], v[64:65]
	v_add_f64_e64 v[76:77], v[64:65], -v[70:71]
	s_delay_alu instid0(VALU_DEP_2) | instskip(NEXT) | instid1(VALU_DEP_2)
	v_add_f64_e32 v[72:73], v[66:67], v[62:63]
	v_add_f64_e64 v[82:83], v[64:65], -v[76:77]
	v_add_f64_e64 v[56:57], v[56:57], -v[76:77]
	;; [unrolled: 1-line block ×3, first 2 shown]
	s_delay_alu instid0(VALU_DEP_4) | instskip(SKIP_1) | instid1(VALU_DEP_3)
	v_cmp_gt_f64_e32 vcc_lo, 0, v[72:73]
	v_add_f64_e64 v[72:73], v[70:71], -v[74:75]
	v_add_f64_e64 v[60:61], v[64:65], -v[60:61]
	v_cndmask_b32_e64 v21, 0, 0x40100000, vcc_lo
	s_delay_alu instid0(VALU_DEP_3) | instskip(SKIP_2) | instid1(VALU_DEP_4)
	v_add_f64_e64 v[80:81], v[70:71], -v[72:73]
	v_add_f64_e64 v[58:59], v[58:59], -v[72:73]
	;; [unrolled: 1-line block ×3, first 2 shown]
	v_add_f64_e32 v[62:63], v[62:63], v[20:21]
	s_delay_alu instid0(VALU_DEP_4) | instskip(NEXT) | instid1(VALU_DEP_3)
	v_add_f64_e64 v[72:73], v[74:75], -v[80:81]
	v_add_f64_e32 v[56:57], v[56:57], v[70:71]
	s_delay_alu instid0(VALU_DEP_3) | instskip(NEXT) | instid1(VALU_DEP_3)
	v_add_f64_e32 v[78:79], v[66:67], v[62:63]
	v_add_f64_e32 v[58:59], v[58:59], v[72:73]
	s_delay_alu instid0(VALU_DEP_2) | instskip(NEXT) | instid1(VALU_DEP_2)
	v_cvt_i32_f64_e32 v21, v[78:79]
	v_add_f64_e32 v[56:57], v[58:59], v[56:57]
	s_delay_alu instid0(VALU_DEP_2) | instskip(NEXT) | instid1(VALU_DEP_2)
	v_cvt_f64_i32_e32 v[76:77], v21
	v_add_f64_e32 v[54:55], v[54:55], v[56:57]
	s_delay_alu instid0(VALU_DEP_2) | instskip(NEXT) | instid1(VALU_DEP_2)
	v_add_f64_e64 v[62:63], v[62:63], -v[76:77]
	v_add_f64_e32 v[54:55], v[60:61], v[54:55]
	s_delay_alu instid0(VALU_DEP_2) | instskip(NEXT) | instid1(VALU_DEP_1)
	v_add_f64_e32 v[58:59], v[66:67], v[62:63]
	v_add_f64_e64 v[56:57], v[58:59], -v[62:63]
	v_cmp_le_f64_e32 vcc_lo, 0.5, v[58:59]
	s_delay_alu instid0(VALU_DEP_2) | instskip(SKIP_2) | instid1(VALU_DEP_3)
	v_add_f64_e64 v[56:57], v[66:67], -v[56:57]
	v_add_co_ci_u32_e64 v62, null, 0, v21, vcc_lo
	v_cndmask_b32_e64 v21, 0, 0x3ff00000, vcc_lo
	v_add_f64_e32 v[54:55], v[54:55], v[56:57]
	s_delay_alu instid0(VALU_DEP_2) | instskip(NEXT) | instid1(VALU_DEP_1)
	v_add_f64_e64 v[56:57], v[58:59], -v[20:21]
	v_add_f64_e32 v[58:59], v[56:57], v[54:55]
	s_delay_alu instid0(VALU_DEP_1) | instskip(SKIP_1) | instid1(VALU_DEP_2)
	v_mul_f64_e32 v[60:61], 0x3ff921fb54442d18, v[58:59]
	v_add_f64_e64 v[56:57], v[58:59], -v[56:57]
	v_fma_f64 v[64:65], v[58:59], s[16:17], -v[60:61]
	s_delay_alu instid0(VALU_DEP_2) | instskip(NEXT) | instid1(VALU_DEP_2)
	v_add_f64_e64 v[54:55], v[54:55], -v[56:57]
	v_fmac_f64_e32 v[64:65], 0x3c91a62633145c07, v[58:59]
	s_delay_alu instid0(VALU_DEP_1) | instskip(NEXT) | instid1(VALU_DEP_1)
	v_fmac_f64_e32 v[64:65], 0x3ff921fb54442d18, v[54:55]
	v_add_f64_e32 v[54:55], v[60:61], v[64:65]
	s_delay_alu instid0(VALU_DEP_1) | instskip(NEXT) | instid1(VALU_DEP_1)
	v_add_f64_e64 v[56:57], v[54:55], -v[60:61]
	v_add_f64_e64 v[56:57], v[64:65], -v[56:57]
	s_and_not1_saveexec_b32 s38, s38
	s_cbranch_execz .LBB161_101
	s_branch .LBB161_100
.LBB161_99:                             ;   in Loop: Header=BB161_4 Depth=1
	s_and_not1_saveexec_b32 s38, s38
	s_cbranch_execz .LBB161_101
.LBB161_100:                            ;   in Loop: Header=BB161_4 Depth=1
	v_mul_f64_e64 v[54:55], |v[16:17]|, s[18:19]
	s_delay_alu instid0(VALU_DEP_1) | instskip(NEXT) | instid1(VALU_DEP_1)
	v_rndne_f64_e32 v[58:59], v[54:55]
	v_fma_f64 v[54:55], v[58:59], s[20:21], |v[16:17]|
	v_mul_f64_e32 v[56:57], 0xbc91a62633145c00, v[58:59]
	s_delay_alu instid0(VALU_DEP_2) | instskip(NEXT) | instid1(VALU_DEP_2)
	v_fmamk_f64 v[64:65], v[58:59], 0xbc91a62633145c00, v[54:55]
	v_add_f64_e32 v[60:61], v[54:55], v[56:57]
	s_delay_alu instid0(VALU_DEP_1) | instskip(NEXT) | instid1(VALU_DEP_3)
	v_add_f64_e64 v[62:63], v[54:55], -v[60:61]
	v_add_f64_e64 v[54:55], v[60:61], -v[64:65]
	s_delay_alu instid0(VALU_DEP_2) | instskip(SKIP_2) | instid1(VALU_DEP_3)
	v_add_f64_e32 v[60:61], v[62:63], v[56:57]
	v_fmamk_f64 v[56:57], v[58:59], 0x3c91a62633145c00, v[56:57]
	v_cvt_i32_f64_e32 v62, v[58:59]
	v_add_f64_e32 v[54:55], v[54:55], v[60:61]
	s_delay_alu instid0(VALU_DEP_1) | instskip(NEXT) | instid1(VALU_DEP_1)
	v_add_f64_e64 v[56:57], v[54:55], -v[56:57]
	v_fmac_f64_e32 v[56:57], 0xb97b839a252049c0, v[58:59]
	s_delay_alu instid0(VALU_DEP_1) | instskip(NEXT) | instid1(VALU_DEP_1)
	v_add_f64_e32 v[54:55], v[64:65], v[56:57]
	v_add_f64_e64 v[60:61], v[54:55], -v[64:65]
	s_delay_alu instid0(VALU_DEP_1)
	v_add_f64_e64 v[56:57], v[56:57], -v[60:61]
.LBB161_101:                            ;   in Loop: Header=BB161_4 Depth=1
	s_or_b32 exec_lo, exec_lo, s38
                                        ; implicit-def: $vgpr63
                                        ; implicit-def: $vgpr58_vgpr59
                                        ; implicit-def: $vgpr60_vgpr61
	s_and_saveexec_b32 s38, s37
	s_delay_alu instid0(SALU_CYCLE_1)
	s_xor_b32 s37, exec_lo, s38
	s_cbranch_execz .LBB161_103
; %bb.102:                              ;   in Loop: Header=BB161_4 Depth=1
	v_ldexp_f64 v[58:59], |v[16:17]|, 0xffffff80
	v_cmp_le_f64_e64 vcc_lo, 0x7b000000, |v[16:17]|
	v_trig_preop_f64 v[60:61], |v[16:17]|, 0
	v_and_b32_e32 v21, 0x7fffffff, v17
	v_trig_preop_f64 v[64:65], |v[16:17]|, 1
	v_trig_preop_f64 v[74:75], |v[16:17]|, 2
	s_delay_alu instid0(VALU_DEP_3) | instskip(NEXT) | instid1(VALU_DEP_1)
	v_dual_cndmask_b32 v59, v21, v59 :: v_dual_cndmask_b32 v58, v16, v58
	v_mul_f64_e32 v[66:67], v[60:61], v[58:59]
	s_delay_alu instid0(VALU_DEP_4) | instskip(NEXT) | instid1(VALU_DEP_4)
	v_mul_f64_e32 v[68:69], v[64:65], v[58:59]
	v_mul_f64_e32 v[80:81], v[74:75], v[58:59]
	s_delay_alu instid0(VALU_DEP_3) | instskip(NEXT) | instid1(VALU_DEP_3)
	v_fma_f64 v[60:61], v[60:61], v[58:59], -v[66:67]
	v_fma_f64 v[64:65], v[64:65], v[58:59], -v[68:69]
	s_delay_alu instid0(VALU_DEP_3) | instskip(NEXT) | instid1(VALU_DEP_3)
	v_fma_f64 v[58:59], v[74:75], v[58:59], -v[80:81]
	v_add_f64_e32 v[70:71], v[68:69], v[60:61]
	s_delay_alu instid0(VALU_DEP_1) | instskip(SKIP_1) | instid1(VALU_DEP_2)
	v_add_f64_e64 v[72:73], v[70:71], -v[68:69]
	v_add_f64_e32 v[78:79], v[66:67], v[70:71]
	v_add_f64_e64 v[76:77], v[70:71], -v[72:73]
	v_add_f64_e64 v[60:61], v[60:61], -v[72:73]
	s_delay_alu instid0(VALU_DEP_3) | instskip(NEXT) | instid1(VALU_DEP_3)
	v_ldexp_f64 v[72:73], v[78:79], -2
	v_add_f64_e64 v[68:69], v[68:69], -v[76:77]
	v_add_f64_e32 v[76:77], v[80:81], v[64:65]
	s_delay_alu instid0(VALU_DEP_3) | instskip(NEXT) | instid1(VALU_DEP_3)
	v_cmp_neq_f64_e64 vcc_lo, 0x7ff00000, |v[72:73]|
	v_add_f64_e32 v[60:61], v[60:61], v[68:69]
	v_fract_f64_e32 v[68:69], v[72:73]
	s_delay_alu instid0(VALU_DEP_1) | instskip(NEXT) | instid1(VALU_DEP_1)
	v_ldexp_f64 v[68:69], v[68:69], 2
	v_dual_add_f64 v[66:67], v[78:79], -v[66:67] :: v_dual_cndmask_b32 v69, 0, v69, vcc_lo
	s_delay_alu instid0(VALU_DEP_1) | instskip(SKIP_1) | instid1(VALU_DEP_1)
	v_dual_add_f64 v[66:67], v[70:71], -v[66:67] :: v_dual_cndmask_b32 v68, 0, v68, vcc_lo
	v_add_f64_e32 v[70:71], v[76:77], v[60:61]
	v_add_f64_e32 v[72:73], v[66:67], v[70:71]
	v_add_f64_e64 v[82:83], v[70:71], -v[76:77]
	s_delay_alu instid0(VALU_DEP_2) | instskip(NEXT) | instid1(VALU_DEP_2)
	v_add_f64_e32 v[78:79], v[72:73], v[68:69]
	v_add_f64_e64 v[88:89], v[70:71], -v[82:83]
	v_add_f64_e64 v[60:61], v[60:61], -v[82:83]
	;; [unrolled: 1-line block ×3, first 2 shown]
	s_delay_alu instid0(VALU_DEP_4) | instskip(SKIP_1) | instid1(VALU_DEP_3)
	v_cmp_gt_f64_e32 vcc_lo, 0, v[78:79]
	v_add_f64_e64 v[78:79], v[76:77], -v[80:81]
	v_add_f64_e64 v[66:67], v[70:71], -v[66:67]
	v_cndmask_b32_e64 v21, 0, 0x40100000, vcc_lo
	s_delay_alu instid0(VALU_DEP_3) | instskip(SKIP_2) | instid1(VALU_DEP_4)
	v_add_f64_e64 v[86:87], v[76:77], -v[78:79]
	v_add_f64_e64 v[64:65], v[64:65], -v[78:79]
	;; [unrolled: 1-line block ×3, first 2 shown]
	v_add_f64_e32 v[68:69], v[68:69], v[20:21]
	s_delay_alu instid0(VALU_DEP_4) | instskip(NEXT) | instid1(VALU_DEP_3)
	v_add_f64_e64 v[78:79], v[80:81], -v[86:87]
	v_add_f64_e32 v[60:61], v[60:61], v[76:77]
	s_delay_alu instid0(VALU_DEP_3) | instskip(NEXT) | instid1(VALU_DEP_3)
	v_add_f64_e32 v[84:85], v[72:73], v[68:69]
	v_add_f64_e32 v[64:65], v[64:65], v[78:79]
	s_delay_alu instid0(VALU_DEP_2) | instskip(NEXT) | instid1(VALU_DEP_2)
	v_cvt_i32_f64_e32 v21, v[84:85]
	v_add_f64_e32 v[60:61], v[64:65], v[60:61]
	s_delay_alu instid0(VALU_DEP_2) | instskip(NEXT) | instid1(VALU_DEP_2)
	v_cvt_f64_i32_e32 v[82:83], v21
	v_add_f64_e32 v[58:59], v[58:59], v[60:61]
	s_delay_alu instid0(VALU_DEP_2) | instskip(NEXT) | instid1(VALU_DEP_2)
	v_add_f64_e64 v[68:69], v[68:69], -v[82:83]
	v_add_f64_e32 v[58:59], v[66:67], v[58:59]
	s_delay_alu instid0(VALU_DEP_2) | instskip(NEXT) | instid1(VALU_DEP_1)
	v_add_f64_e32 v[64:65], v[72:73], v[68:69]
	v_add_f64_e64 v[60:61], v[64:65], -v[68:69]
	v_cmp_le_f64_e32 vcc_lo, 0.5, v[64:65]
	s_delay_alu instid0(VALU_DEP_2) | instskip(SKIP_2) | instid1(VALU_DEP_3)
	v_add_f64_e64 v[60:61], v[72:73], -v[60:61]
	v_add_co_ci_u32_e64 v63, null, 0, v21, vcc_lo
	v_cndmask_b32_e64 v21, 0, 0x3ff00000, vcc_lo
	v_add_f64_e32 v[58:59], v[58:59], v[60:61]
	s_delay_alu instid0(VALU_DEP_2) | instskip(NEXT) | instid1(VALU_DEP_1)
	v_add_f64_e64 v[60:61], v[64:65], -v[20:21]
	v_add_f64_e32 v[64:65], v[60:61], v[58:59]
	s_delay_alu instid0(VALU_DEP_1) | instskip(SKIP_1) | instid1(VALU_DEP_2)
	v_mul_f64_e32 v[66:67], 0x3ff921fb54442d18, v[64:65]
	v_add_f64_e64 v[60:61], v[64:65], -v[60:61]
	v_fma_f64 v[68:69], v[64:65], s[16:17], -v[66:67]
	s_delay_alu instid0(VALU_DEP_2) | instskip(NEXT) | instid1(VALU_DEP_2)
	v_add_f64_e64 v[58:59], v[58:59], -v[60:61]
	v_fmac_f64_e32 v[68:69], 0x3c91a62633145c07, v[64:65]
	s_delay_alu instid0(VALU_DEP_1) | instskip(NEXT) | instid1(VALU_DEP_1)
	v_fmac_f64_e32 v[68:69], 0x3ff921fb54442d18, v[58:59]
	v_add_f64_e32 v[58:59], v[66:67], v[68:69]
	s_delay_alu instid0(VALU_DEP_1) | instskip(NEXT) | instid1(VALU_DEP_1)
	v_add_f64_e64 v[60:61], v[58:59], -v[66:67]
	v_add_f64_e64 v[60:61], v[68:69], -v[60:61]
	s_and_not1_saveexec_b32 s37, s37
	s_cbranch_execnz .LBB161_104
	s_branch .LBB161_105
.LBB161_103:                            ;   in Loop: Header=BB161_4 Depth=1
	s_and_not1_saveexec_b32 s37, s37
	s_cbranch_execz .LBB161_105
.LBB161_104:                            ;   in Loop: Header=BB161_4 Depth=1
	v_mul_f64_e64 v[58:59], |v[16:17]|, s[18:19]
	s_delay_alu instid0(VALU_DEP_1) | instskip(NEXT) | instid1(VALU_DEP_1)
	v_rndne_f64_e32 v[64:65], v[58:59]
	v_fma_f64 v[58:59], v[64:65], s[20:21], |v[16:17]|
	v_mul_f64_e32 v[60:61], 0xbc91a62633145c00, v[64:65]
	v_cvt_i32_f64_e32 v63, v[64:65]
	s_delay_alu instid0(VALU_DEP_3) | instskip(NEXT) | instid1(VALU_DEP_3)
	v_fmamk_f64 v[70:71], v[64:65], 0xbc91a62633145c00, v[58:59]
	v_add_f64_e32 v[66:67], v[58:59], v[60:61]
	s_delay_alu instid0(VALU_DEP_1) | instskip(NEXT) | instid1(VALU_DEP_3)
	v_add_f64_e64 v[68:69], v[58:59], -v[66:67]
	v_add_f64_e64 v[58:59], v[66:67], -v[70:71]
	s_delay_alu instid0(VALU_DEP_2) | instskip(SKIP_1) | instid1(VALU_DEP_2)
	v_add_f64_e32 v[66:67], v[68:69], v[60:61]
	v_fmamk_f64 v[60:61], v[64:65], 0x3c91a62633145c00, v[60:61]
	v_add_f64_e32 v[58:59], v[58:59], v[66:67]
	s_delay_alu instid0(VALU_DEP_1) | instskip(NEXT) | instid1(VALU_DEP_1)
	v_add_f64_e64 v[60:61], v[58:59], -v[60:61]
	v_fmac_f64_e32 v[60:61], 0xb97b839a252049c0, v[64:65]
	s_delay_alu instid0(VALU_DEP_1) | instskip(NEXT) | instid1(VALU_DEP_1)
	v_add_f64_e32 v[58:59], v[70:71], v[60:61]
	v_add_f64_e64 v[66:67], v[58:59], -v[70:71]
	s_delay_alu instid0(VALU_DEP_1)
	v_add_f64_e64 v[60:61], v[60:61], -v[66:67]
.LBB161_105:                            ;   in Loop: Header=BB161_4 Depth=1
	s_or_b32 exec_lo, exec_lo, s37
	s_delay_alu instid0(VALU_DEP_1)
	v_dual_mul_f64 v[76:77], 0.5, v[56:57] :: v_dual_lshlrev_b32 v21, 30, v62
	v_mul_f64_e32 v[64:65], v[54:55], v[54:55]
	v_mul_f64_e32 v[66:67], v[58:59], v[58:59]
	v_mul_f64_e64 v[70:71], |v[14:15]|, s[30:31]
	v_and_b32_e32 v16, 1, v62
	v_xor_b32_e32 v17, v21, v17
	s_delay_alu instid0(VALU_DEP_2)
	v_cmp_eq_u32_e32 vcc_lo, 0, v16
	v_mul_f64_e32 v[68:69], 0.5, v[64:65]
	v_mul_f64_e64 v[78:79], v[54:55], -v[64:65]
	v_fmamk_f64 v[84:85], v[64:65], 0x3de5e0b2f9a43bb8, v[44:45]
	v_mul_f64_e64 v[90:91], v[58:59], -v[66:67]
	v_fmamk_f64 v[92:93], v[66:67], 0x3de5e0b2f9a43bb8, v[44:45]
	v_rndne_f64_e32 v[70:71], v[70:71]
	s_delay_alu instid0(VALU_DEP_4) | instskip(NEXT) | instid1(VALU_DEP_1)
	v_fmaak_f64 v[84:85], v[64:65], v[84:85], 0x3ec71de3796cde01
	v_fmaak_f64 v[84:85], v[64:65], v[84:85], 0xbf2a01a019e83e5c
	s_delay_alu instid0(VALU_DEP_1) | instskip(SKIP_1) | instid1(VALU_DEP_2)
	v_fmaak_f64 v[84:85], v[64:65], v[84:85], 0x3f81111111110bb3
	v_add_f64_e64 v[74:75], -v[68:69], 1.0
	v_fmac_f64_e32 v[76:77], v[78:79], v[84:85]
	v_fma_f64 v[86:87], v[70:71], s[22:23], -|v[14:15]|
	v_cvt_i32_f64_e32 v21, v[70:71]
	s_delay_alu instid0(VALU_DEP_4) | instskip(NEXT) | instid1(VALU_DEP_4)
	v_add_f64_e64 v[82:83], -v[74:75], 1.0
	v_fma_f64 v[76:77], v[64:65], v[76:77], -v[56:57]
	s_delay_alu instid0(VALU_DEP_4) | instskip(NEXT) | instid1(VALU_DEP_3)
	v_fmac_f64_e32 v[86:87], 0xbc7abc9e3b39803f, v[70:71]
	v_add_f64_e64 v[68:69], v[82:83], -v[68:69]
	v_fmaak_f64 v[82:83], v[66:67], v[92:93], 0x3ec71de3796cde01
	v_fmamk_f64 v[92:93], v[64:65], 0xbda907db46cc5e42, v[42:43]
	v_fmac_f64_e32 v[76:77], 0xbfc5555555555555, v[78:79]
	s_delay_alu instid0(VALU_DEP_3) | instskip(NEXT) | instid1(VALU_DEP_1)
	v_fmaak_f64 v[82:83], v[66:67], v[82:83], 0xbf2a01a019e83e5c
	v_fmaak_f64 v[82:83], v[66:67], v[82:83], 0x3f81111111110bb3
	v_fma_f64 v[56:57], v[54:55], -v[56:57], v[68:69]
	v_fmaak_f64 v[68:69], v[64:65], v[92:93], 0xbe927e4fa17f65f6
	v_mul_f64_e32 v[92:93], v[66:67], v[66:67]
	v_add_f64_e64 v[54:55], v[54:55], -v[76:77]
	v_mul_f64_e32 v[88:89], 0.5, v[60:61]
	s_delay_alu instid0(VALU_DEP_4) | instskip(NEXT) | instid1(VALU_DEP_1)
	v_fmaak_f64 v[68:69], v[64:65], v[68:69], 0x3efa01a019f4ec90
	v_fmaak_f64 v[68:69], v[64:65], v[68:69], 0xbf56c16c16c16967
	s_delay_alu instid0(VALU_DEP_3) | instskip(SKIP_1) | instid1(VALU_DEP_3)
	v_fmac_f64_e32 v[88:89], v[90:91], v[82:83]
	v_mul_f64_e32 v[82:83], v[64:65], v[64:65]
	v_fmaak_f64 v[64:65], v[64:65], v[68:69], 0x3fa5555555555555
	s_delay_alu instid0(VALU_DEP_1) | instskip(NEXT) | instid1(VALU_DEP_1)
	v_fmac_f64_e32 v[56:57], v[82:83], v[64:65]
	v_add_f64_e32 v[56:57], v[74:75], v[56:57]
	s_delay_alu instid0(VALU_DEP_1) | instskip(NEXT) | instid1(VALU_DEP_1)
	v_dual_cndmask_b32 v16, v56, v54, vcc_lo :: v_dual_cndmask_b32 v56, v57, v55, vcc_lo
	v_bitop3_b32 v17, v56, v17, 0x80000000 bitop3:0x78
	s_delay_alu instid0(VALU_DEP_1) | instskip(NEXT) | instid1(VALU_DEP_1)
	v_dual_mul_f64 v[16:17], 4.0, v[16:17] :: v_dual_bitop2_b32 v56, 1, v63 bitop3:0x40
	v_cmp_eq_u32_e32 vcc_lo, 0, v56
	v_mul_f64_e32 v[72:73], 0.5, v[66:67]
	s_delay_alu instid0(VALU_DEP_1) | instskip(NEXT) | instid1(VALU_DEP_1)
	v_add_f64_e64 v[80:81], -v[72:73], 1.0
	v_add_f64_e64 v[84:85], -v[80:81], 1.0
	s_delay_alu instid0(VALU_DEP_1) | instskip(SKIP_1) | instid1(VALU_DEP_1)
	v_add_f64_e64 v[72:73], v[84:85], -v[72:73]
	v_fmamk_f64 v[84:85], v[86:87], 0x3e5ade156a5dcb37, v[28:29]
	v_fmaak_f64 v[84:85], v[86:87], v[84:85], 0x3ec71dee623fde64
	s_delay_alu instid0(VALU_DEP_1) | instskip(NEXT) | instid1(VALU_DEP_1)
	v_fmaak_f64 v[84:85], v[86:87], v[84:85], 0x3efa01997c89e6b0
	v_fmaak_f64 v[68:69], v[86:87], v[84:85], 0x3f2a01a014761f6e
	v_fma_f64 v[84:85], v[66:67], v[88:89], -v[60:61]
	v_fmamk_f64 v[88:89], v[66:67], 0xbda907db46cc5e42, v[42:43]
	s_delay_alu instid0(VALU_DEP_3) | instskip(NEXT) | instid1(VALU_DEP_2)
	v_fmaak_f64 v[64:65], v[86:87], v[68:69], 0x3f56c16c1852b7b0
	v_fmaak_f64 v[68:69], v[66:67], v[88:89], 0xbe927e4fa17f65f6
	v_fma_f64 v[60:61], v[58:59], -v[60:61], v[72:73]
	s_delay_alu instid0(VALU_DEP_3) | instskip(NEXT) | instid1(VALU_DEP_3)
	v_fmaak_f64 v[64:65], v[86:87], v[64:65], 0x3f81111111122322
	v_fmaak_f64 v[68:69], v[66:67], v[68:69], 0x3efa01a019f4ec90
	s_delay_alu instid0(VALU_DEP_2) | instskip(NEXT) | instid1(VALU_DEP_2)
	v_fmaak_f64 v[64:65], v[86:87], v[64:65], 0x3fa55555555502a1
	v_fmaak_f64 v[68:69], v[66:67], v[68:69], 0xbf56c16c16c16967
	s_delay_alu instid0(VALU_DEP_2) | instskip(NEXT) | instid1(VALU_DEP_2)
	v_fmaak_f64 v[64:65], v[86:87], v[64:65], 0x3fc5555555555511
	v_fmaak_f64 v[66:67], v[66:67], v[68:69], 0x3fa5555555555555
	v_fmac_f64_e32 v[84:85], 0xbfc5555555555555, v[90:91]
	s_delay_alu instid0(VALU_DEP_3) | instskip(NEXT) | instid1(VALU_DEP_1)
	v_fmaak_f64 v[64:65], v[86:87], v[64:65], 0x3fe000000000000b
	v_fma_f64 v[64:65], v[86:87], v[64:65], 1.0
	s_delay_alu instid0(VALU_DEP_4) | instskip(NEXT) | instid1(VALU_DEP_4)
	v_fmac_f64_e32 v[60:61], v[92:93], v[66:67]
	v_add_f64_e64 v[58:59], v[58:59], -v[84:85]
	s_delay_alu instid0(VALU_DEP_3) | instskip(NEXT) | instid1(VALU_DEP_3)
	v_fma_f64 v[54:55], v[86:87], v[64:65], 1.0
	v_add_f64_e32 v[60:61], v[80:81], v[60:61]
	s_delay_alu instid0(VALU_DEP_3) | instskip(NEXT) | instid1(VALU_DEP_3)
	v_xor_b32_e32 v57, 0x80000000, v59
	v_ldexp_f64 v[54:55], v[54:55], v21
	s_delay_alu instid0(VALU_DEP_2) | instskip(SKIP_3) | instid1(VALU_DEP_3)
	v_dual_cndmask_b32 v56, v58, v60 :: v_dual_cndmask_b32 v57, v57, v61
	v_lshlrev_b32_e32 v58, 30, v63
	v_cmp_nlt_f64_e64 vcc_lo, 0x4090cc00, |v[14:15]|
	v_bfi_b32 v21, 0x7fffffff, s33, v15
	v_bitop3_b32 v57, v57, v58, 0x80000000 bitop3:0x78
	s_delay_alu instid0(VALU_DEP_2) | instskip(NEXT) | instid1(VALU_DEP_2)
	v_mov_b64_e32 v[14:15], v[20:21]
	v_dual_mul_f64 v[16:17], v[16:17], v[56:57] :: v_dual_cndmask_b32 v55, 0, v55, vcc_lo
	v_cndmask_b32_e32 v54, 0, v54, vcc_lo
	s_delay_alu instid0(VALU_DEP_1) | instskip(NEXT) | instid1(VALU_DEP_1)
	v_mul_f64_e32 v[16:17], v[54:55], v[16:17]
	v_mul_f64_e32 v[16:17], v[54:55], v[16:17]
.LBB161_106:                            ;   in Loop: Header=BB161_4 Depth=1
	s_or_b32 exec_lo, exec_lo, s6
.LBB161_107:                            ;   in Loop: Header=BB161_4 Depth=1
	s_and_not1_saveexec_b32 s6, s36
	s_cbranch_execz .LBB161_109
; %bb.108:                              ;   in Loop: Header=BB161_4 Depth=1
	s_delay_alu instid0(VALU_DEP_1) | instskip(NEXT) | instid1(VALU_DEP_1)
	v_add_f64_e64 v[16:17], v[16:17], -v[16:17]
	v_mov_b64_e32 v[14:15], v[16:17]
.LBB161_109:                            ;   in Loop: Header=BB161_4 Depth=1
	s_or_b32 exec_lo, exec_lo, s6
.LBB161_110:                            ;   in Loop: Header=BB161_4 Depth=1
	s_and_not1_saveexec_b32 s36, s7
	s_cbranch_execz .LBB161_126
; %bb.111:                              ;   in Loop: Header=BB161_4 Depth=1
	s_delay_alu instid0(VALU_DEP_1) | instskip(SKIP_1) | instid1(VALU_DEP_1)
	v_and_or_b32 v21, 0xfffff, v15, v14
	s_mov_b32 s6, exec_lo
	v_cmpx_ne_u32_e32 0, v21
	s_xor_b32 s6, exec_lo, s6
	s_cbranch_execz .LBB161_113
; %bb.112:                              ;   in Loop: Header=BB161_4 Depth=1
	s_delay_alu instid0(VALU_DEP_3) | instskip(SKIP_1) | instid1(VALU_DEP_2)
	v_mul_f64_e32 v[54:55], v[16:17], v[14:15]
	v_cmp_eq_f64_e32 vcc_lo, 0, v[16:17]
	v_dual_cndmask_b32 v17, v55, v17 :: v_dual_cndmask_b32 v16, v54, v16
.LBB161_113:                            ;   in Loop: Header=BB161_4 Depth=1
	s_and_not1_saveexec_b32 s37, s6
	s_cbranch_execz .LBB161_125
; %bb.114:                              ;   in Loop: Header=BB161_4 Depth=1
	s_mov_b32 s38, exec_lo
	s_delay_alu instid0(VALU_DEP_1)
	v_cmpx_neq_f64_e64 0x7ff00000, |v[16:17]|
	s_cbranch_execz .LBB161_124
; %bb.115:                              ;   in Loop: Header=BB161_4 Depth=1
	v_cmp_ngt_f64_e64 s6, 0x41d00000, |v[16:17]|
	v_trig_preop_f64 v[62:63], |v[16:17]|, 0
	v_trig_preop_f64 v[60:61], |v[16:17]|, 1
	v_ldexp_f64 v[64:65], |v[16:17]|, 0xffffff80
	v_trig_preop_f64 v[58:59], |v[16:17]|, 2
	v_and_b32_e32 v73, 0x7fffffff, v17
                                        ; implicit-def: $vgpr72
                                        ; implicit-def: $vgpr54_vgpr55
                                        ; implicit-def: $vgpr56_vgpr57
	s_and_saveexec_b32 s7, s6
	s_delay_alu instid0(SALU_CYCLE_1)
	s_xor_b32 s7, exec_lo, s7
	s_cbranch_execz .LBB161_117
; %bb.116:                              ;   in Loop: Header=BB161_4 Depth=1
	v_cmp_le_f64_e64 vcc_lo, 0x7b000000, |v[16:17]|
	s_delay_alu instid0(VALU_DEP_4) | instskip(NEXT) | instid1(VALU_DEP_1)
	v_dual_cndmask_b32 v55, v73, v65 :: v_dual_cndmask_b32 v54, v16, v64
	v_mul_f64_e32 v[56:57], v[62:63], v[54:55]
	v_mul_f64_e32 v[66:67], v[60:61], v[54:55]
	;; [unrolled: 1-line block ×3, first 2 shown]
	s_delay_alu instid0(VALU_DEP_3) | instskip(NEXT) | instid1(VALU_DEP_3)
	v_fma_f64 v[68:69], v[62:63], v[54:55], -v[56:57]
	v_fma_f64 v[82:83], v[60:61], v[54:55], -v[66:67]
	s_delay_alu instid0(VALU_DEP_3) | instskip(NEXT) | instid1(VALU_DEP_3)
	v_fma_f64 v[54:55], v[58:59], v[54:55], -v[80:81]
	v_add_f64_e32 v[70:71], v[66:67], v[68:69]
	s_delay_alu instid0(VALU_DEP_1) | instskip(SKIP_1) | instid1(VALU_DEP_2)
	v_add_f64_e64 v[74:75], v[70:71], -v[66:67]
	v_add_f64_e32 v[78:79], v[56:57], v[70:71]
	v_add_f64_e64 v[76:77], v[70:71], -v[74:75]
	v_add_f64_e64 v[68:69], v[68:69], -v[74:75]
	s_delay_alu instid0(VALU_DEP_3) | instskip(NEXT) | instid1(VALU_DEP_3)
	v_ldexp_f64 v[74:75], v[78:79], -2
	v_add_f64_e64 v[66:67], v[66:67], -v[76:77]
	v_add_f64_e32 v[76:77], v[80:81], v[82:83]
	s_delay_alu instid0(VALU_DEP_3) | instskip(NEXT) | instid1(VALU_DEP_3)
	v_cmp_neq_f64_e64 vcc_lo, 0x7ff00000, |v[74:75]|
	v_add_f64_e32 v[66:67], v[68:69], v[66:67]
	v_fract_f64_e32 v[68:69], v[74:75]
	s_delay_alu instid0(VALU_DEP_1) | instskip(NEXT) | instid1(VALU_DEP_1)
	v_ldexp_f64 v[68:69], v[68:69], 2
	v_cndmask_b32_e32 v69, 0, v69, vcc_lo
	v_add_f64_e64 v[56:57], v[78:79], -v[56:57]
	s_delay_alu instid0(VALU_DEP_3) | instskip(NEXT) | instid1(VALU_DEP_2)
	v_cndmask_b32_e32 v68, 0, v68, vcc_lo
	v_add_f64_e64 v[56:57], v[70:71], -v[56:57]
	v_add_f64_e32 v[70:71], v[76:77], v[66:67]
	s_delay_alu instid0(VALU_DEP_1) | instskip(SKIP_1) | instid1(VALU_DEP_2)
	v_add_f64_e32 v[74:75], v[56:57], v[70:71]
	v_add_f64_e64 v[84:85], v[70:71], -v[76:77]
	v_add_f64_e32 v[78:79], v[74:75], v[68:69]
	s_delay_alu instid0(VALU_DEP_2) | instskip(SKIP_2) | instid1(VALU_DEP_4)
	v_add_f64_e64 v[90:91], v[70:71], -v[84:85]
	v_add_f64_e64 v[66:67], v[66:67], -v[84:85]
	;; [unrolled: 1-line block ×3, first 2 shown]
	v_cmp_gt_f64_e32 vcc_lo, 0, v[78:79]
	v_add_f64_e64 v[78:79], v[76:77], -v[80:81]
	s_delay_alu instid0(VALU_DEP_3) | instskip(SKIP_1) | instid1(VALU_DEP_3)
	v_add_f64_e64 v[56:57], v[70:71], -v[56:57]
	v_cndmask_b32_e64 v21, 0, 0x40100000, vcc_lo
	v_add_f64_e64 v[88:89], v[76:77], -v[78:79]
	v_add_f64_e64 v[78:79], v[82:83], -v[78:79]
	;; [unrolled: 1-line block ×3, first 2 shown]
	s_delay_alu instid0(VALU_DEP_4) | instskip(NEXT) | instid1(VALU_DEP_4)
	v_add_f64_e32 v[68:69], v[68:69], v[20:21]
	v_add_f64_e64 v[82:83], v[80:81], -v[88:89]
	s_delay_alu instid0(VALU_DEP_3) | instskip(NEXT) | instid1(VALU_DEP_3)
	v_add_f64_e32 v[66:67], v[66:67], v[76:77]
	v_add_f64_e32 v[86:87], v[74:75], v[68:69]
	s_delay_alu instid0(VALU_DEP_3) | instskip(NEXT) | instid1(VALU_DEP_2)
	v_add_f64_e32 v[78:79], v[78:79], v[82:83]
	v_cvt_i32_f64_e32 v21, v[86:87]
	s_delay_alu instid0(VALU_DEP_2) | instskip(NEXT) | instid1(VALU_DEP_2)
	v_add_f64_e32 v[66:67], v[78:79], v[66:67]
	v_cvt_f64_i32_e32 v[84:85], v21
	s_delay_alu instid0(VALU_DEP_2) | instskip(NEXT) | instid1(VALU_DEP_2)
	v_add_f64_e32 v[54:55], v[54:55], v[66:67]
	v_add_f64_e64 v[68:69], v[68:69], -v[84:85]
	s_delay_alu instid0(VALU_DEP_2) | instskip(NEXT) | instid1(VALU_DEP_2)
	v_add_f64_e32 v[54:55], v[56:57], v[54:55]
	v_add_f64_e32 v[76:77], v[74:75], v[68:69]
	s_delay_alu instid0(VALU_DEP_1) | instskip(SKIP_1) | instid1(VALU_DEP_2)
	v_add_f64_e64 v[66:67], v[76:77], -v[68:69]
	v_cmp_le_f64_e32 vcc_lo, 0.5, v[76:77]
	v_add_f64_e64 v[56:57], v[74:75], -v[66:67]
	v_add_co_ci_u32_e64 v72, null, 0, v21, vcc_lo
	v_cndmask_b32_e64 v21, 0, 0x3ff00000, vcc_lo
	s_delay_alu instid0(VALU_DEP_3) | instskip(NEXT) | instid1(VALU_DEP_2)
	v_add_f64_e32 v[54:55], v[54:55], v[56:57]
	v_add_f64_e64 v[56:57], v[76:77], -v[20:21]
	s_delay_alu instid0(VALU_DEP_1) | instskip(NEXT) | instid1(VALU_DEP_1)
	v_add_f64_e32 v[66:67], v[56:57], v[54:55]
	v_mul_f64_e32 v[68:69], 0x3ff921fb54442d18, v[66:67]
	v_add_f64_e64 v[56:57], v[66:67], -v[56:57]
	s_delay_alu instid0(VALU_DEP_2) | instskip(NEXT) | instid1(VALU_DEP_2)
	v_fma_f64 v[70:71], v[66:67], s[16:17], -v[68:69]
	v_add_f64_e64 v[54:55], v[54:55], -v[56:57]
	s_delay_alu instid0(VALU_DEP_2) | instskip(NEXT) | instid1(VALU_DEP_1)
	v_fmac_f64_e32 v[70:71], 0x3c91a62633145c07, v[66:67]
	v_fmac_f64_e32 v[70:71], 0x3ff921fb54442d18, v[54:55]
	s_delay_alu instid0(VALU_DEP_1) | instskip(NEXT) | instid1(VALU_DEP_1)
	v_add_f64_e32 v[54:55], v[68:69], v[70:71]
	v_add_f64_e64 v[56:57], v[54:55], -v[68:69]
	s_delay_alu instid0(VALU_DEP_1)
	v_add_f64_e64 v[56:57], v[70:71], -v[56:57]
.LBB161_117:                            ;   in Loop: Header=BB161_4 Depth=1
	s_or_saveexec_b32 s7, s7
	v_mul_f64_e64 v[66:67], |v[16:17]|, s[18:19]
	s_delay_alu instid0(VALU_DEP_1)
	v_rndne_f64_e32 v[70:71], v[66:67]
	s_xor_b32 exec_lo, exec_lo, s7
	s_cbranch_execz .LBB161_119
; %bb.118:                              ;   in Loop: Header=BB161_4 Depth=1
	s_delay_alu instid0(VALU_DEP_1) | instskip(SKIP_2) | instid1(VALU_DEP_3)
	v_fma_f64 v[54:55], v[70:71], s[20:21], |v[16:17]|
	v_mul_f64_e32 v[56:57], 0xbc91a62633145c00, v[70:71]
	v_cvt_i32_f64_e32 v72, v[70:71]
	v_fmamk_f64 v[74:75], v[70:71], 0xbc91a62633145c00, v[54:55]
	s_delay_alu instid0(VALU_DEP_3) | instskip(NEXT) | instid1(VALU_DEP_1)
	v_add_f64_e32 v[66:67], v[54:55], v[56:57]
	v_add_f64_e64 v[68:69], v[54:55], -v[66:67]
	s_delay_alu instid0(VALU_DEP_3) | instskip(NEXT) | instid1(VALU_DEP_2)
	v_add_f64_e64 v[54:55], v[66:67], -v[74:75]
	v_add_f64_e32 v[66:67], v[68:69], v[56:57]
	v_fmamk_f64 v[56:57], v[70:71], 0x3c91a62633145c00, v[56:57]
	s_delay_alu instid0(VALU_DEP_2) | instskip(NEXT) | instid1(VALU_DEP_1)
	v_add_f64_e32 v[54:55], v[54:55], v[66:67]
	v_add_f64_e64 v[56:57], v[54:55], -v[56:57]
	s_delay_alu instid0(VALU_DEP_1) | instskip(NEXT) | instid1(VALU_DEP_1)
	v_fmac_f64_e32 v[56:57], 0xb97b839a252049c0, v[70:71]
	v_add_f64_e32 v[54:55], v[74:75], v[56:57]
	s_delay_alu instid0(VALU_DEP_1) | instskip(NEXT) | instid1(VALU_DEP_1)
	v_add_f64_e64 v[66:67], v[54:55], -v[74:75]
	v_add_f64_e64 v[56:57], v[56:57], -v[66:67]
.LBB161_119:                            ;   in Loop: Header=BB161_4 Depth=1
	s_or_b32 exec_lo, exec_lo, s7
                                        ; implicit-def: $vgpr74
                                        ; implicit-def: $vgpr66_vgpr67
                                        ; implicit-def: $vgpr68_vgpr69
	s_and_saveexec_b32 s7, s6
	s_delay_alu instid0(SALU_CYCLE_1)
	s_xor_b32 s6, exec_lo, s7
	s_cbranch_execz .LBB161_121
; %bb.120:                              ;   in Loop: Header=BB161_4 Depth=1
	v_cmp_le_f64_e64 vcc_lo, 0x7b000000, |v[16:17]|
	v_dual_cndmask_b32 v65, v73, v65 :: v_dual_cndmask_b32 v64, v16, v64
	s_delay_alu instid0(VALU_DEP_1) | instskip(SKIP_2) | instid1(VALU_DEP_3)
	v_mul_f64_e32 v[66:67], v[62:63], v[64:65]
	v_mul_f64_e32 v[68:69], v[60:61], v[64:65]
	;; [unrolled: 1-line block ×3, first 2 shown]
	v_fma_f64 v[62:63], v[62:63], v[64:65], -v[66:67]
	s_delay_alu instid0(VALU_DEP_3) | instskip(NEXT) | instid1(VALU_DEP_3)
	v_fma_f64 v[60:61], v[60:61], v[64:65], -v[68:69]
	v_fma_f64 v[58:59], v[58:59], v[64:65], -v[80:81]
	s_delay_alu instid0(VALU_DEP_3) | instskip(NEXT) | instid1(VALU_DEP_1)
	v_add_f64_e32 v[70:71], v[68:69], v[62:63]
	v_add_f64_e64 v[74:75], v[70:71], -v[68:69]
	v_add_f64_e32 v[78:79], v[66:67], v[70:71]
	s_delay_alu instid0(VALU_DEP_2) | instskip(SKIP_1) | instid1(VALU_DEP_3)
	v_add_f64_e64 v[76:77], v[70:71], -v[74:75]
	v_add_f64_e64 v[62:63], v[62:63], -v[74:75]
	v_ldexp_f64 v[74:75], v[78:79], -2
	v_add_f64_e64 v[66:67], v[78:79], -v[66:67]
	s_delay_alu instid0(VALU_DEP_4) | instskip(SKIP_1) | instid1(VALU_DEP_4)
	v_add_f64_e64 v[68:69], v[68:69], -v[76:77]
	v_add_f64_e32 v[76:77], v[80:81], v[60:61]
	v_cmp_neq_f64_e64 vcc_lo, 0x7ff00000, |v[74:75]|
	s_delay_alu instid0(VALU_DEP_3) | instskip(SKIP_1) | instid1(VALU_DEP_1)
	v_add_f64_e32 v[62:63], v[62:63], v[68:69]
	v_fract_f64_e32 v[68:69], v[74:75]
	v_ldexp_f64 v[68:69], v[68:69], 2
	s_delay_alu instid0(VALU_DEP_1) | instskip(NEXT) | instid1(VALU_DEP_2)
	v_dual_add_f64 v[66:67], v[70:71], -v[66:67] :: v_dual_cndmask_b32 v69, 0, v69, vcc_lo
	v_dual_add_f64 v[70:71], v[76:77], v[62:63] :: v_dual_cndmask_b32 v68, 0, v68, vcc_lo
	s_delay_alu instid0(VALU_DEP_1) | instskip(SKIP_1) | instid1(VALU_DEP_2)
	v_add_f64_e32 v[74:75], v[66:67], v[70:71]
	v_add_f64_e64 v[82:83], v[70:71], -v[76:77]
	v_add_f64_e32 v[78:79], v[74:75], v[68:69]
	s_delay_alu instid0(VALU_DEP_2) | instskip(SKIP_2) | instid1(VALU_DEP_4)
	v_add_f64_e64 v[88:89], v[70:71], -v[82:83]
	v_add_f64_e64 v[62:63], v[62:63], -v[82:83]
	;; [unrolled: 1-line block ×3, first 2 shown]
	v_cmp_gt_f64_e32 vcc_lo, 0, v[78:79]
	v_add_f64_e64 v[78:79], v[76:77], -v[80:81]
	s_delay_alu instid0(VALU_DEP_3) | instskip(SKIP_1) | instid1(VALU_DEP_3)
	v_add_f64_e64 v[64:65], v[70:71], -v[64:65]
                                        ; implicit-def: $vgpr70_vgpr71
	v_cndmask_b32_e64 v21, 0, 0x40100000, vcc_lo
	v_add_f64_e64 v[86:87], v[76:77], -v[78:79]
	v_add_f64_e64 v[60:61], v[60:61], -v[78:79]
	;; [unrolled: 1-line block ×3, first 2 shown]
	s_delay_alu instid0(VALU_DEP_4) | instskip(NEXT) | instid1(VALU_DEP_4)
	v_add_f64_e32 v[68:69], v[68:69], v[20:21]
	v_add_f64_e64 v[78:79], v[80:81], -v[86:87]
	s_delay_alu instid0(VALU_DEP_3) | instskip(NEXT) | instid1(VALU_DEP_3)
	v_add_f64_e32 v[62:63], v[62:63], v[76:77]
	v_add_f64_e32 v[84:85], v[74:75], v[68:69]
	s_delay_alu instid0(VALU_DEP_3) | instskip(NEXT) | instid1(VALU_DEP_2)
	v_add_f64_e32 v[60:61], v[60:61], v[78:79]
	v_cvt_i32_f64_e32 v21, v[84:85]
	s_delay_alu instid0(VALU_DEP_2) | instskip(NEXT) | instid1(VALU_DEP_2)
	v_add_f64_e32 v[60:61], v[60:61], v[62:63]
	v_cvt_f64_i32_e32 v[82:83], v21
	s_delay_alu instid0(VALU_DEP_2) | instskip(NEXT) | instid1(VALU_DEP_2)
	v_add_f64_e32 v[58:59], v[58:59], v[60:61]
	v_add_f64_e64 v[68:69], v[68:69], -v[82:83]
	s_delay_alu instid0(VALU_DEP_2) | instskip(NEXT) | instid1(VALU_DEP_2)
	v_add_f64_e32 v[58:59], v[64:65], v[58:59]
	v_add_f64_e32 v[62:63], v[74:75], v[68:69]
	s_delay_alu instid0(VALU_DEP_1) | instskip(SKIP_1) | instid1(VALU_DEP_2)
	v_add_f64_e64 v[60:61], v[62:63], -v[68:69]
	v_cmp_le_f64_e32 vcc_lo, 0.5, v[62:63]
	v_add_f64_e64 v[60:61], v[74:75], -v[60:61]
	v_add_co_ci_u32_e64 v74, null, 0, v21, vcc_lo
	v_cndmask_b32_e64 v21, 0, 0x3ff00000, vcc_lo
	s_delay_alu instid0(VALU_DEP_3) | instskip(NEXT) | instid1(VALU_DEP_2)
	v_add_f64_e32 v[58:59], v[58:59], v[60:61]
	v_add_f64_e64 v[60:61], v[62:63], -v[20:21]
	s_delay_alu instid0(VALU_DEP_1) | instskip(NEXT) | instid1(VALU_DEP_1)
	v_add_f64_e32 v[62:63], v[60:61], v[58:59]
	v_mul_f64_e32 v[64:65], 0x3ff921fb54442d18, v[62:63]
	v_add_f64_e64 v[60:61], v[62:63], -v[60:61]
	s_delay_alu instid0(VALU_DEP_2) | instskip(NEXT) | instid1(VALU_DEP_2)
	v_fma_f64 v[68:69], v[62:63], s[16:17], -v[64:65]
	v_add_f64_e64 v[58:59], v[58:59], -v[60:61]
	s_delay_alu instid0(VALU_DEP_2) | instskip(NEXT) | instid1(VALU_DEP_1)
	v_fmac_f64_e32 v[68:69], 0x3c91a62633145c07, v[62:63]
	v_fmac_f64_e32 v[68:69], 0x3ff921fb54442d18, v[58:59]
	s_delay_alu instid0(VALU_DEP_1) | instskip(NEXT) | instid1(VALU_DEP_1)
	v_add_f64_e32 v[66:67], v[64:65], v[68:69]
	v_add_f64_e64 v[58:59], v[66:67], -v[64:65]
	s_delay_alu instid0(VALU_DEP_1)
	v_add_f64_e64 v[68:69], v[68:69], -v[58:59]
	s_and_not1_saveexec_b32 s6, s6
	s_cbranch_execnz .LBB161_122
	s_branch .LBB161_123
.LBB161_121:                            ;   in Loop: Header=BB161_4 Depth=1
	s_and_not1_saveexec_b32 s6, s6
	s_cbranch_execz .LBB161_123
.LBB161_122:                            ;   in Loop: Header=BB161_4 Depth=1
	s_delay_alu instid0(VALU_DEP_1) | instskip(SKIP_2) | instid1(VALU_DEP_2)
	v_fma_f64 v[58:59], v[70:71], s[20:21], |v[16:17]|
	v_mul_f64_e32 v[60:61], 0xbc91a62633145c00, v[70:71]
	v_cvt_i32_f64_e32 v74, v[70:71]
	v_add_f64_e32 v[62:63], v[58:59], v[60:61]
	s_delay_alu instid0(VALU_DEP_1) | instskip(SKIP_1) | instid1(VALU_DEP_1)
	v_add_f64_e64 v[64:65], v[58:59], -v[62:63]
	v_fmamk_f64 v[58:59], v[70:71], 0xbc91a62633145c00, v[58:59]
	v_add_f64_e64 v[62:63], v[62:63], -v[58:59]
	s_delay_alu instid0(VALU_DEP_3) | instskip(SKIP_1) | instid1(VALU_DEP_2)
	v_add_f64_e32 v[64:65], v[64:65], v[60:61]
	v_fmamk_f64 v[60:61], v[70:71], 0x3c91a62633145c00, v[60:61]
	v_add_f64_e32 v[62:63], v[62:63], v[64:65]
	s_delay_alu instid0(VALU_DEP_1) | instskip(NEXT) | instid1(VALU_DEP_1)
	v_add_f64_e64 v[60:61], v[62:63], -v[60:61]
	v_fmac_f64_e32 v[60:61], 0xb97b839a252049c0, v[70:71]
	s_delay_alu instid0(VALU_DEP_1) | instskip(NEXT) | instid1(VALU_DEP_1)
	v_add_f64_e32 v[66:67], v[58:59], v[60:61]
	v_add_f64_e64 v[58:59], v[66:67], -v[58:59]
	s_delay_alu instid0(VALU_DEP_1)
	v_add_f64_e64 v[68:69], v[60:61], -v[58:59]
.LBB161_123:                            ;   in Loop: Header=BB161_4 Depth=1
	s_or_b32 exec_lo, exec_lo, s6
	v_dual_mul_f64 v[58:59], v[54:55], v[54:55] :: v_dual_bitop2_b32 v21, 1, v72 bitop3:0x40
	v_mul_f64_e32 v[60:61], v[66:67], v[66:67]
	v_cmp_class_f64_e64 s6, v[16:17], 0x1f8
	s_delay_alu instid0(VALU_DEP_4) | instskip(NEXT) | instid1(VALU_DEP_4)
	v_dual_mul_f64 v[86:87], 0.5, v[68:69] :: v_dual_bitop2_b32 v16, 1, v74 bitop3:0x40
	v_cmp_eq_u32_e32 vcc_lo, 0, v21
	v_mul_f64_e32 v[78:79], 0.5, v[56:57]
	s_delay_alu instid0(VALU_DEP_3)
	v_cmp_eq_u32_e64 s7, 0, v16
	v_lshlrev_b32_e32 v16, 30, v74
	v_mul_f64_e32 v[62:63], 0.5, v[58:59]
	v_mul_f64_e64 v[80:81], v[54:55], -v[58:59]
	v_fmamk_f64 v[84:85], v[58:59], 0x3de5e0b2f9a43bb8, v[44:45]
	v_fmamk_f64 v[90:91], v[60:61], 0x3de5e0b2f9a43bb8, v[44:45]
	s_delay_alu instid0(VALU_DEP_2) | instskip(NEXT) | instid1(VALU_DEP_2)
	v_fmaak_f64 v[84:85], v[58:59], v[84:85], 0x3ec71de3796cde01
	v_fmaak_f64 v[90:91], v[60:61], v[90:91], 0x3ec71de3796cde01
	s_delay_alu instid0(VALU_DEP_2) | instskip(NEXT) | instid1(VALU_DEP_1)
	v_fmaak_f64 v[84:85], v[58:59], v[84:85], 0xbf2a01a019e83e5c
	v_fmaak_f64 v[84:85], v[58:59], v[84:85], 0x3f81111111110bb3
	v_add_f64_e64 v[70:71], -v[62:63], 1.0
	s_delay_alu instid0(VALU_DEP_2) | instskip(SKIP_1) | instid1(VALU_DEP_3)
	v_fmac_f64_e32 v[78:79], v[80:81], v[84:85]
	v_mul_f64_e32 v[84:85], v[58:59], v[58:59]
	v_add_f64_e64 v[82:83], -v[70:71], 1.0
	s_delay_alu instid0(VALU_DEP_3) | instskip(NEXT) | instid1(VALU_DEP_2)
	v_fma_f64 v[78:79], v[58:59], v[78:79], -v[56:57]
	v_add_f64_e64 v[62:63], v[82:83], -v[62:63]
	s_delay_alu instid0(VALU_DEP_2) | instskip(SKIP_1) | instid1(VALU_DEP_1)
	v_fmac_f64_e32 v[78:79], 0xbfc5555555555555, v[80:81]
	v_fmaak_f64 v[82:83], v[60:61], v[90:91], 0xbf2a01a019e83e5c
	v_fmaak_f64 v[82:83], v[60:61], v[82:83], 0x3f81111111110bb3
	s_delay_alu instid0(VALU_DEP_4) | instskip(NEXT) | instid1(VALU_DEP_4)
	v_fma_f64 v[56:57], v[54:55], -v[56:57], v[62:63]
	v_add_f64_e64 v[54:55], v[54:55], -v[78:79]
	v_mul_f64_e64 v[88:89], v[66:67], -v[60:61]
	s_delay_alu instid0(VALU_DEP_1) | instskip(SKIP_1) | instid1(VALU_DEP_1)
	v_fmac_f64_e32 v[86:87], v[88:89], v[82:83]
	v_fmamk_f64 v[82:83], v[58:59], 0xbda907db46cc5e42, v[42:43]
	v_fmaak_f64 v[62:63], v[58:59], v[82:83], 0xbe927e4fa17f65f6
	s_delay_alu instid0(VALU_DEP_1) | instskip(NEXT) | instid1(VALU_DEP_1)
	v_fmaak_f64 v[62:63], v[58:59], v[62:63], 0x3efa01a019f4ec90
	v_fmaak_f64 v[62:63], v[58:59], v[62:63], 0xbf56c16c16c16967
	s_delay_alu instid0(VALU_DEP_1) | instskip(NEXT) | instid1(VALU_DEP_1)
	v_fmaak_f64 v[58:59], v[58:59], v[62:63], 0x3fa5555555555555
	v_fmac_f64_e32 v[56:57], v[84:85], v[58:59]
	s_delay_alu instid0(VALU_DEP_1) | instskip(NEXT) | instid1(VALU_DEP_1)
	v_add_f64_e32 v[56:57], v[70:71], v[56:57]
	v_dual_cndmask_b32 v21, v56, v54 :: v_dual_lshlrev_b32 v54, 30, v72
	v_mul_f64_e32 v[64:65], 0.5, v[60:61]
	v_fma_f64 v[82:83], v[60:61], v[86:87], -v[68:69]
	v_fmamk_f64 v[86:87], v[60:61], 0xbda907db46cc5e42, v[42:43]
	v_mul_f64_e32 v[90:91], v[60:61], v[60:61]
	v_dual_cndmask_b32 v54, v57, v55, vcc_lo :: v_dual_bitop2_b32 v17, v54, v17 bitop3:0x14
	s_delay_alu instid0(VALU_DEP_3) | instskip(NEXT) | instid1(VALU_DEP_2)
	v_fmaak_f64 v[62:63], v[60:61], v[86:87], 0xbe927e4fa17f65f6
	v_bitop3_b32 v17, v54, v17, 0x80000000 bitop3:0x78
	s_delay_alu instid0(VALU_DEP_1) | instskip(NEXT) | instid1(VALU_DEP_3)
	v_cndmask_b32_e64 v17, 0x7ff80000, v17, s6
	v_fmaak_f64 v[58:59], v[60:61], v[62:63], 0x3efa01a019f4ec90
	s_delay_alu instid0(VALU_DEP_1) | instskip(NEXT) | instid1(VALU_DEP_1)
	v_fmaak_f64 v[58:59], v[60:61], v[58:59], 0xbf56c16c16c16967
	v_fmaak_f64 v[58:59], v[60:61], v[58:59], 0x3fa5555555555555
	v_add_f64_e64 v[76:77], -v[64:65], 1.0
	v_fmac_f64_e32 v[82:83], 0xbfc5555555555555, v[88:89]
	s_delay_alu instid0(VALU_DEP_2) | instskip(NEXT) | instid1(VALU_DEP_1)
	v_add_f64_e64 v[92:93], -v[76:77], 1.0
	v_add_f64_e64 v[64:65], v[92:93], -v[64:65]
	s_delay_alu instid0(VALU_DEP_1) | instskip(NEXT) | instid1(VALU_DEP_1)
	v_fma_f64 v[64:65], v[66:67], -v[68:69], v[64:65]
	v_fmac_f64_e32 v[64:65], v[90:91], v[58:59]
	v_add_f64_e64 v[58:59], v[66:67], -v[82:83]
	s_delay_alu instid0(VALU_DEP_2) | instskip(NEXT) | instid1(VALU_DEP_2)
	v_add_f64_e32 v[60:61], v[76:77], v[64:65]
	v_xor_b32_e32 v56, 0x80000000, v59
	s_delay_alu instid0(VALU_DEP_1) | instskip(NEXT) | instid1(VALU_DEP_1)
	v_dual_cndmask_b32 v56, v56, v61, s7 :: v_dual_cndmask_b32 v55, v58, v60, s7
	v_bitop3_b32 v56, v56, v16, 0x80000000 bitop3:0x78
	s_delay_alu instid0(VALU_DEP_2) | instskip(NEXT) | instid1(VALU_DEP_2)
	v_dual_cndmask_b32 v16, 0, v21, s6 :: v_dual_cndmask_b32 v54, 0, v55, s6
	v_cndmask_b32_e64 v55, 0x7ff80000, v56, s6
	s_delay_alu instid0(VALU_DEP_1)
	v_mul_f64_e32 v[16:17], v[16:17], v[54:55]
.LBB161_124:                            ;   in Loop: Header=BB161_4 Depth=1
	s_or_b32 exec_lo, exec_lo, s38
	s_delay_alu instid0(VALU_DEP_1) | instskip(SKIP_1) | instid1(VALU_DEP_2)
	v_bfi_b32 v21, 0x7fffffff, 0, v17
	v_add_nc_u32_e32 v15, -2.0, v15
	v_mov_b64_e32 v[16:17], v[20:21]
.LBB161_125:                            ;   in Loop: Header=BB161_4 Depth=1
	s_or_b32 exec_lo, exec_lo, s37
.LBB161_126:                            ;   in Loop: Header=BB161_4 Depth=1
	s_delay_alu instid0(SALU_CYCLE_1) | instskip(SKIP_2) | instid1(VALU_DEP_1)
	s_or_b32 exec_lo, exec_lo, s36
	v_and_b32_e32 v58, 0x7fffffff, v11
	s_mov_b32 s6, exec_lo
	v_cmpx_gt_u32_e32 0x7ff00000, v58
	s_xor_b32 s7, exec_lo, s6
	s_cbranch_execz .LBB161_137
; %bb.127:                              ;   in Loop: Header=BB161_4 Depth=1
	v_cmp_class_f64_e64 s6, v[12:13], 0x1f8
	s_and_saveexec_b32 s36, s6
	s_delay_alu instid0(SALU_CYCLE_1)
	s_xor_b32 s36, exec_lo, s36
	s_cbranch_execz .LBB161_164
; %bb.128:                              ;   in Loop: Header=BB161_4 Depth=1
	s_mov_b32 s6, exec_lo
	v_cmpx_gt_u32_e32 0x40360000, v58
	s_xor_b32 s37, exec_lo, s6
	s_cbranch_execz .LBB161_134
; %bb.129:                              ;   in Loop: Header=BB161_4 Depth=1
	v_cmp_ngt_f64_e64 s6, 0x41d00000, |v[12:13]|
                                        ; implicit-def: $vgpr59
                                        ; implicit-def: $vgpr54_vgpr55
                                        ; implicit-def: $vgpr56_vgpr57
	s_and_saveexec_b32 s38, s6
	s_delay_alu instid0(SALU_CYCLE_1)
	s_xor_b32 s6, exec_lo, s38
	s_cbranch_execz .LBB161_131
; %bb.130:                              ;   in Loop: Header=BB161_4 Depth=1
	v_ldexp_f64 v[54:55], |v[12:13]|, 0xffffff80
	v_cmp_le_f64_e64 vcc_lo, 0x7b000000, |v[12:13]|
	v_trig_preop_f64 v[56:57], |v[12:13]|, 0
	v_and_b32_e32 v21, 0x7fffffff, v13
	v_trig_preop_f64 v[60:61], |v[12:13]|, 1
	v_trig_preop_f64 v[70:71], |v[12:13]|, 2
	s_delay_alu instid0(VALU_DEP_3) | instskip(NEXT) | instid1(VALU_DEP_1)
	v_dual_cndmask_b32 v55, v21, v55 :: v_dual_cndmask_b32 v54, v12, v54
	v_mul_f64_e32 v[62:63], v[56:57], v[54:55]
	s_delay_alu instid0(VALU_DEP_4) | instskip(NEXT) | instid1(VALU_DEP_4)
	v_mul_f64_e32 v[64:65], v[60:61], v[54:55]
	v_mul_f64_e32 v[76:77], v[70:71], v[54:55]
	s_delay_alu instid0(VALU_DEP_3) | instskip(NEXT) | instid1(VALU_DEP_3)
	v_fma_f64 v[56:57], v[56:57], v[54:55], -v[62:63]
	v_fma_f64 v[60:61], v[60:61], v[54:55], -v[64:65]
	s_delay_alu instid0(VALU_DEP_3) | instskip(NEXT) | instid1(VALU_DEP_3)
	v_fma_f64 v[54:55], v[70:71], v[54:55], -v[76:77]
	v_add_f64_e32 v[66:67], v[64:65], v[56:57]
	s_delay_alu instid0(VALU_DEP_1) | instskip(SKIP_1) | instid1(VALU_DEP_2)
	v_add_f64_e64 v[68:69], v[66:67], -v[64:65]
	v_add_f64_e32 v[74:75], v[62:63], v[66:67]
	v_add_f64_e64 v[72:73], v[66:67], -v[68:69]
	v_add_f64_e64 v[56:57], v[56:57], -v[68:69]
	s_delay_alu instid0(VALU_DEP_3) | instskip(NEXT) | instid1(VALU_DEP_3)
	v_ldexp_f64 v[68:69], v[74:75], -2
	v_add_f64_e64 v[64:65], v[64:65], -v[72:73]
	v_add_f64_e32 v[72:73], v[76:77], v[60:61]
	s_delay_alu instid0(VALU_DEP_3) | instskip(NEXT) | instid1(VALU_DEP_3)
	v_cmp_neq_f64_e64 vcc_lo, 0x7ff00000, |v[68:69]|
	v_add_f64_e32 v[56:57], v[56:57], v[64:65]
	v_fract_f64_e32 v[64:65], v[68:69]
	s_delay_alu instid0(VALU_DEP_1) | instskip(NEXT) | instid1(VALU_DEP_1)
	v_ldexp_f64 v[64:65], v[64:65], 2
	v_dual_add_f64 v[62:63], v[74:75], -v[62:63] :: v_dual_cndmask_b32 v65, 0, v65, vcc_lo
	s_delay_alu instid0(VALU_DEP_1) | instskip(SKIP_1) | instid1(VALU_DEP_1)
	v_dual_add_f64 v[62:63], v[66:67], -v[62:63] :: v_dual_cndmask_b32 v64, 0, v64, vcc_lo
	v_add_f64_e32 v[66:67], v[72:73], v[56:57]
	v_add_f64_e32 v[68:69], v[62:63], v[66:67]
	v_add_f64_e64 v[78:79], v[66:67], -v[72:73]
	s_delay_alu instid0(VALU_DEP_2) | instskip(NEXT) | instid1(VALU_DEP_2)
	v_add_f64_e32 v[74:75], v[68:69], v[64:65]
	v_add_f64_e64 v[84:85], v[66:67], -v[78:79]
	v_add_f64_e64 v[56:57], v[56:57], -v[78:79]
	;; [unrolled: 1-line block ×3, first 2 shown]
	s_delay_alu instid0(VALU_DEP_4) | instskip(SKIP_1) | instid1(VALU_DEP_3)
	v_cmp_gt_f64_e32 vcc_lo, 0, v[74:75]
	v_add_f64_e64 v[74:75], v[72:73], -v[76:77]
	v_add_f64_e64 v[62:63], v[66:67], -v[62:63]
	v_cndmask_b32_e64 v21, 0, 0x40100000, vcc_lo
	s_delay_alu instid0(VALU_DEP_3) | instskip(SKIP_2) | instid1(VALU_DEP_4)
	v_add_f64_e64 v[82:83], v[72:73], -v[74:75]
	v_add_f64_e64 v[60:61], v[60:61], -v[74:75]
	;; [unrolled: 1-line block ×3, first 2 shown]
	v_add_f64_e32 v[64:65], v[64:65], v[20:21]
	s_delay_alu instid0(VALU_DEP_4) | instskip(NEXT) | instid1(VALU_DEP_3)
	v_add_f64_e64 v[74:75], v[76:77], -v[82:83]
	v_add_f64_e32 v[56:57], v[56:57], v[72:73]
	s_delay_alu instid0(VALU_DEP_3) | instskip(NEXT) | instid1(VALU_DEP_3)
	v_add_f64_e32 v[80:81], v[68:69], v[64:65]
	v_add_f64_e32 v[60:61], v[60:61], v[74:75]
	s_delay_alu instid0(VALU_DEP_2) | instskip(NEXT) | instid1(VALU_DEP_2)
	v_cvt_i32_f64_e32 v21, v[80:81]
	v_add_f64_e32 v[56:57], v[60:61], v[56:57]
	s_delay_alu instid0(VALU_DEP_2) | instskip(NEXT) | instid1(VALU_DEP_2)
	v_cvt_f64_i32_e32 v[78:79], v21
	v_add_f64_e32 v[54:55], v[54:55], v[56:57]
	s_delay_alu instid0(VALU_DEP_2) | instskip(NEXT) | instid1(VALU_DEP_2)
	v_add_f64_e64 v[64:65], v[64:65], -v[78:79]
	v_add_f64_e32 v[54:55], v[62:63], v[54:55]
	s_delay_alu instid0(VALU_DEP_2) | instskip(NEXT) | instid1(VALU_DEP_1)
	v_add_f64_e32 v[60:61], v[68:69], v[64:65]
	v_add_f64_e64 v[56:57], v[60:61], -v[64:65]
	v_cmp_le_f64_e32 vcc_lo, 0.5, v[60:61]
	s_delay_alu instid0(VALU_DEP_2) | instskip(SKIP_2) | instid1(VALU_DEP_3)
	v_add_f64_e64 v[56:57], v[68:69], -v[56:57]
	v_add_co_ci_u32_e64 v59, null, 0, v21, vcc_lo
	v_cndmask_b32_e64 v21, 0, 0x3ff00000, vcc_lo
	v_add_f64_e32 v[54:55], v[54:55], v[56:57]
	s_delay_alu instid0(VALU_DEP_2) | instskip(NEXT) | instid1(VALU_DEP_1)
	v_add_f64_e64 v[56:57], v[60:61], -v[20:21]
	v_add_f64_e32 v[60:61], v[56:57], v[54:55]
	s_delay_alu instid0(VALU_DEP_1) | instskip(SKIP_1) | instid1(VALU_DEP_2)
	v_mul_f64_e32 v[62:63], 0x3ff921fb54442d18, v[60:61]
	v_add_f64_e64 v[56:57], v[60:61], -v[56:57]
	v_fma_f64 v[64:65], v[60:61], s[16:17], -v[62:63]
	s_delay_alu instid0(VALU_DEP_2) | instskip(NEXT) | instid1(VALU_DEP_2)
	v_add_f64_e64 v[54:55], v[54:55], -v[56:57]
	v_fmac_f64_e32 v[64:65], 0x3c91a62633145c07, v[60:61]
	s_delay_alu instid0(VALU_DEP_1) | instskip(NEXT) | instid1(VALU_DEP_1)
	v_fmac_f64_e32 v[64:65], 0x3ff921fb54442d18, v[54:55]
	v_add_f64_e32 v[54:55], v[62:63], v[64:65]
	s_delay_alu instid0(VALU_DEP_1) | instskip(NEXT) | instid1(VALU_DEP_1)
	v_add_f64_e64 v[56:57], v[54:55], -v[62:63]
	v_add_f64_e64 v[56:57], v[64:65], -v[56:57]
.LBB161_131:                            ;   in Loop: Header=BB161_4 Depth=1
	s_and_not1_saveexec_b32 s6, s6
	s_cbranch_execz .LBB161_133
; %bb.132:                              ;   in Loop: Header=BB161_4 Depth=1
	v_mul_f64_e64 v[54:55], |v[12:13]|, s[18:19]
	s_delay_alu instid0(VALU_DEP_1) | instskip(NEXT) | instid1(VALU_DEP_1)
	v_rndne_f64_e32 v[60:61], v[54:55]
	v_fma_f64 v[54:55], v[60:61], s[20:21], |v[12:13]|
	v_mul_f64_e32 v[56:57], 0xbc91a62633145c00, v[60:61]
	v_cvt_i32_f64_e32 v59, v[60:61]
	s_delay_alu instid0(VALU_DEP_3) | instskip(NEXT) | instid1(VALU_DEP_3)
	v_fmamk_f64 v[66:67], v[60:61], 0xbc91a62633145c00, v[54:55]
	v_add_f64_e32 v[62:63], v[54:55], v[56:57]
	s_delay_alu instid0(VALU_DEP_1) | instskip(NEXT) | instid1(VALU_DEP_3)
	v_add_f64_e64 v[64:65], v[54:55], -v[62:63]
	v_add_f64_e64 v[54:55], v[62:63], -v[66:67]
	s_delay_alu instid0(VALU_DEP_2) | instskip(SKIP_1) | instid1(VALU_DEP_2)
	v_add_f64_e32 v[62:63], v[64:65], v[56:57]
	v_fmamk_f64 v[56:57], v[60:61], 0x3c91a62633145c00, v[56:57]
	v_add_f64_e32 v[54:55], v[54:55], v[62:63]
	s_delay_alu instid0(VALU_DEP_1) | instskip(NEXT) | instid1(VALU_DEP_1)
	v_add_f64_e64 v[56:57], v[54:55], -v[56:57]
	v_fmac_f64_e32 v[56:57], 0xb97b839a252049c0, v[60:61]
	s_delay_alu instid0(VALU_DEP_1) | instskip(NEXT) | instid1(VALU_DEP_1)
	v_add_f64_e32 v[54:55], v[66:67], v[56:57]
	v_add_f64_e64 v[62:63], v[54:55], -v[66:67]
	s_delay_alu instid0(VALU_DEP_1)
	v_add_f64_e64 v[56:57], v[56:57], -v[62:63]
.LBB161_133:                            ;   in Loop: Header=BB161_4 Depth=1
	s_or_b32 exec_lo, exec_lo, s6
	v_add_f64_e64 v[60:61], |v[10:11]|, s[22:23]
	v_cmp_nge_f64_e64 vcc_lo, |v[10:11]|, s[28:29]
	v_mul_f64_e32 v[78:79], v[54:55], v[54:55]
	s_delay_alu instid0(VALU_DEP_4) | instskip(NEXT) | instid1(VALU_DEP_4)
	v_add_f64_e32 v[80:81], v[56:57], v[56:57]
	v_add_f64_e64 v[62:63], v[60:61], -|v[10:11]|
	s_delay_alu instid0(VALU_DEP_3) | instskip(NEXT) | instid1(VALU_DEP_2)
	v_fma_f64 v[82:83], v[54:55], v[54:55], -v[78:79]
	v_add_f64_e64 v[64:65], v[62:63], -v[60:61]
	v_add_f64_e32 v[62:63], 0x3fe62e42fefa39ef, v[62:63]
	s_delay_alu instid0(VALU_DEP_3) | instskip(NEXT) | instid1(VALU_DEP_3)
	v_fmac_f64_e32 v[82:83], v[54:55], v[80:81]
	v_add_f64_e64 v[64:65], |v[10:11]|, v[64:65]
	s_delay_alu instid0(VALU_DEP_2) | instskip(NEXT) | instid1(VALU_DEP_2)
	v_add_f64_e32 v[78:79], v[78:79], v[82:83]
	v_add_f64_e64 v[62:63], v[64:65], -v[62:63]
	s_delay_alu instid0(VALU_DEP_2) | instskip(NEXT) | instid1(VALU_DEP_1)
	v_fmamk_f64 v[82:83], v[78:79], 0x3ef5e089c751c08c, v[26:27]
	v_fmaak_f64 v[82:83], v[78:79], v[82:83], 0x3f17746f90a8aae0
	s_delay_alu instid0(VALU_DEP_1) | instskip(NEXT) | instid1(VALU_DEP_4)
	v_fmaak_f64 v[82:83], v[78:79], v[82:83], 0xbefbb44da6fbf144
	v_add_f64_e32 v[62:63], 0xbc7abc9e3b39803f, v[62:63]
	s_delay_alu instid0(VALU_DEP_1) | instskip(NEXT) | instid1(VALU_DEP_1)
	v_add_f64_e32 v[64:65], v[60:61], v[62:63]
	v_mul_f64_e32 v[66:67], 0x3ff71547652b82fe, v[64:65]
	v_add_f64_e64 v[60:61], v[60:61], -v[64:65]
	s_delay_alu instid0(VALU_DEP_2) | instskip(NEXT) | instid1(VALU_DEP_2)
	v_rndne_f64_e32 v[66:67], v[66:67]
	v_add_f64_e32 v[60:61], v[62:63], v[60:61]
	s_delay_alu instid0(VALU_DEP_2) | instskip(SKIP_2) | instid1(VALU_DEP_3)
	v_fmac_f64_e32 v[64:65], 0xbfe62e42fefa3000, v[66:67]
	v_mul_f64_e32 v[62:63], 0xbd53de6af278e000, v[66:67]
	v_cvt_i32_f64_e32 v12, v[66:67]
	v_add_f64_e32 v[68:69], v[60:61], v[64:65]
	s_delay_alu instid0(VALU_DEP_1) | instskip(SKIP_1) | instid1(VALU_DEP_2)
	v_add_f64_e32 v[70:71], v[68:69], v[62:63]
	v_add_f64_e64 v[64:65], v[64:65], -v[68:69]
	v_add_f64_e64 v[68:69], v[68:69], -v[70:71]
	s_delay_alu instid0(VALU_DEP_2) | instskip(NEXT) | instid1(VALU_DEP_2)
	v_add_f64_e32 v[60:61], v[60:61], v[64:65]
	v_add_f64_e32 v[62:63], v[68:69], v[62:63]
	s_delay_alu instid0(VALU_DEP_1) | instskip(SKIP_1) | instid1(VALU_DEP_2)
	v_add_f64_e32 v[60:61], v[60:61], v[62:63]
	v_mul_f64_e32 v[62:63], 0xbac9cc01f97b57a0, v[66:67]
	v_add_f64_e32 v[64:65], v[70:71], v[60:61]
	s_delay_alu instid0(VALU_DEP_1) | instskip(SKIP_1) | instid1(VALU_DEP_2)
	v_add_f64_e32 v[68:69], v[64:65], v[62:63]
	v_add_f64_e64 v[70:71], v[70:71], -v[64:65]
	v_add_f64_e64 v[64:65], v[64:65], -v[68:69]
	s_delay_alu instid0(VALU_DEP_2) | instskip(NEXT) | instid1(VALU_DEP_2)
	v_add_f64_e32 v[60:61], v[60:61], v[70:71]
	v_add_f64_e32 v[62:63], v[64:65], v[62:63]
	s_delay_alu instid0(VALU_DEP_1) | instskip(NEXT) | instid1(VALU_DEP_1)
	v_add_f64_e32 v[60:61], v[60:61], v[62:63]
	v_add_f64_e32 v[62:63], v[68:69], v[60:61]
	s_delay_alu instid0(VALU_DEP_1) | instskip(SKIP_1) | instid1(VALU_DEP_2)
	v_add_f64_e64 v[64:65], v[68:69], -v[62:63]
	v_mul_f64_e32 v[68:69], v[62:63], v[62:63]
	v_add_f64_e32 v[60:61], v[60:61], v[64:65]
	s_delay_alu instid0(VALU_DEP_2) | instskip(NEXT) | instid1(VALU_DEP_2)
	v_fma_f64 v[64:65], v[62:63], v[62:63], -v[68:69]
	v_add_f64_e32 v[70:71], v[60:61], v[60:61]
	s_delay_alu instid0(VALU_DEP_1) | instskip(SKIP_1) | instid1(VALU_DEP_1)
	v_fmac_f64_e32 v[64:65], v[62:63], v[70:71]
	v_fmamk_f64 v[70:71], v[62:63], 0x3e5ade156a5dcb37, v[28:29]
	v_fmaak_f64 v[70:71], v[62:63], v[70:71], 0x3ec71dee623fde64
	s_delay_alu instid0(VALU_DEP_1) | instskip(NEXT) | instid1(VALU_DEP_1)
	v_fmaak_f64 v[70:71], v[62:63], v[70:71], 0x3efa01997c89e6b0
	v_fmaak_f64 v[70:71], v[62:63], v[70:71], 0x3f2a01a014761f6e
	s_delay_alu instid0(VALU_DEP_1) | instskip(SKIP_1) | instid1(VALU_DEP_2)
	v_fmaak_f64 v[70:71], v[62:63], v[70:71], 0x3f56c16c1852b7b0
	v_add_f64_e32 v[72:73], v[68:69], v[64:65]
	v_fmaak_f64 v[70:71], v[62:63], v[70:71], 0x3f81111111122322
	s_delay_alu instid0(VALU_DEP_1) | instskip(NEXT) | instid1(VALU_DEP_1)
	v_fmaak_f64 v[70:71], v[62:63], v[70:71], 0x3fa55555555502a1
	v_fmaak_f64 v[70:71], v[62:63], v[70:71], 0x3fc5555555555511
	s_delay_alu instid0(VALU_DEP_1) | instskip(SKIP_1) | instid1(VALU_DEP_2)
	v_fmaak_f64 v[70:71], v[62:63], v[70:71], 0x3fe000000000000b
	v_add_f64_e64 v[68:69], v[72:73], -v[68:69]
	v_mul_f64_e32 v[74:75], v[72:73], v[70:71]
	s_delay_alu instid0(VALU_DEP_2) | instskip(NEXT) | instid1(VALU_DEP_2)
	v_add_f64_e64 v[64:65], v[64:65], -v[68:69]
	v_fma_f64 v[68:69], v[72:73], v[70:71], -v[74:75]
	s_delay_alu instid0(VALU_DEP_1) | instskip(NEXT) | instid1(VALU_DEP_1)
	v_fmac_f64_e32 v[68:69], v[64:65], v[70:71]
	v_add_f64_e32 v[64:65], v[74:75], v[68:69]
	s_delay_alu instid0(VALU_DEP_1) | instskip(SKIP_1) | instid1(VALU_DEP_2)
	v_add_f64_e32 v[70:71], v[62:63], v[64:65]
	v_add_f64_e64 v[72:73], v[64:65], -v[74:75]
	v_add_f64_e64 v[62:63], v[70:71], -v[62:63]
	s_delay_alu instid0(VALU_DEP_2) | instskip(NEXT) | instid1(VALU_DEP_2)
	v_add_f64_e64 v[68:69], v[68:69], -v[72:73]
	v_add_f64_e64 v[62:63], v[64:65], -v[62:63]
	s_delay_alu instid0(VALU_DEP_2) | instskip(NEXT) | instid1(VALU_DEP_1)
	v_add_f64_e32 v[60:61], v[60:61], v[68:69]
	v_add_f64_e32 v[60:61], v[60:61], v[62:63]
	s_delay_alu instid0(VALU_DEP_1) | instskip(NEXT) | instid1(VALU_DEP_1)
	v_add_f64_e32 v[62:63], v[70:71], v[60:61]
	v_add_f64_e32 v[64:65], 1.0, v[62:63]
	v_add_f64_e64 v[68:69], v[62:63], -v[70:71]
	s_delay_alu instid0(VALU_DEP_2) | instskip(NEXT) | instid1(VALU_DEP_2)
	v_add_f64_e32 v[70:71], -1.0, v[64:65]
	v_add_f64_e64 v[60:61], v[60:61], -v[68:69]
	s_delay_alu instid0(VALU_DEP_2) | instskip(NEXT) | instid1(VALU_DEP_1)
	v_add_f64_e64 v[62:63], v[62:63], -v[70:71]
	v_add_f64_e32 v[60:61], v[60:61], v[62:63]
	s_delay_alu instid0(VALU_DEP_1) | instskip(NEXT) | instid1(VALU_DEP_1)
	v_add_f64_e32 v[62:63], v[64:65], v[60:61]
	v_ldexp_f64 v[66:67], v[62:63], v12
	v_add_f64_e64 v[62:63], v[62:63], -v[64:65]
	s_delay_alu instid0(VALU_DEP_2) | instskip(NEXT) | instid1(VALU_DEP_1)
	v_rcp_f64_e32 v[68:69], v[66:67]
	v_add_f64_e64 v[60:61], v[60:61], -v[62:63]
	s_delay_alu instid0(VALU_DEP_1) | instskip(NEXT) | instid1(TRANS32_DEP_1)
	v_ldexp_f64 v[60:61], v[60:61], v12
	v_fma_f64 v[70:71], -v[66:67], v[68:69], 1.0
	s_delay_alu instid0(VALU_DEP_1) | instskip(NEXT) | instid1(VALU_DEP_1)
	v_fmac_f64_e32 v[68:69], v[70:71], v[68:69]
	v_fma_f64 v[70:71], -v[66:67], v[68:69], 1.0
	s_delay_alu instid0(VALU_DEP_1) | instskip(NEXT) | instid1(VALU_DEP_1)
	v_fmac_f64_e32 v[68:69], v[70:71], v[68:69]
	v_mul_f64_e32 v[62:63], v[66:67], v[68:69]
	s_delay_alu instid0(VALU_DEP_1) | instskip(NEXT) | instid1(VALU_DEP_1)
	v_fma_f64 v[64:65], v[68:69], v[66:67], -v[62:63]
	v_fmac_f64_e32 v[64:65], v[68:69], v[60:61]
	s_delay_alu instid0(VALU_DEP_1) | instskip(NEXT) | instid1(VALU_DEP_1)
	v_add_f64_e32 v[70:71], v[62:63], v[64:65]
	v_add_f64_e64 v[72:73], -v[70:71], 1.0
	v_add_f64_e64 v[62:63], v[70:71], -v[62:63]
	s_delay_alu instid0(VALU_DEP_2) | instskip(NEXT) | instid1(VALU_DEP_2)
	v_add_f64_e64 v[74:75], -v[72:73], 1.0
	v_add_f64_e64 v[62:63], v[62:63], -v[64:65]
	s_delay_alu instid0(VALU_DEP_2) | instskip(NEXT) | instid1(VALU_DEP_1)
	v_add_f64_e64 v[64:65], v[74:75], -v[70:71]
	v_add_f64_e32 v[62:63], v[62:63], v[64:65]
	s_delay_alu instid0(VALU_DEP_1) | instskip(NEXT) | instid1(VALU_DEP_1)
	v_add_f64_e32 v[64:65], v[72:73], v[62:63]
	v_mul_f64_e32 v[70:71], v[68:69], v[64:65]
	v_add_f64_e64 v[72:73], v[72:73], -v[64:65]
	s_delay_alu instid0(VALU_DEP_2) | instskip(NEXT) | instid1(VALU_DEP_2)
	v_mul_f64_e32 v[74:75], v[66:67], v[70:71]
	v_add_f64_e32 v[62:63], v[62:63], v[72:73]
	s_delay_alu instid0(VALU_DEP_2) | instskip(NEXT) | instid1(VALU_DEP_1)
	v_fma_f64 v[76:77], v[70:71], v[66:67], -v[74:75]
	v_fmac_f64_e32 v[76:77], v[70:71], v[60:61]
	s_delay_alu instid0(VALU_DEP_1) | instskip(NEXT) | instid1(VALU_DEP_1)
	v_add_f64_e32 v[84:85], v[74:75], v[76:77]
	v_add_f64_e64 v[80:81], v[64:65], -v[84:85]
	v_add_f64_e64 v[72:73], v[84:85], -v[74:75]
	v_fmaak_f64 v[74:75], v[78:79], v[82:83], 0x3f21e634a7943acf
	s_delay_alu instid0(VALU_DEP_1) | instskip(NEXT) | instid1(VALU_DEP_1)
	v_fmaak_f64 v[74:75], v[78:79], v[74:75], 0x3f2d250fdeb68feb
	v_fmaak_f64 v[74:75], v[78:79], v[74:75], 0x3f437fd9b58c4d95
	s_delay_alu instid0(VALU_DEP_1) | instskip(NEXT) | instid1(VALU_DEP_1)
	v_fmaak_f64 v[74:75], v[78:79], v[74:75], 0x3f57d5af15120e2c
	v_fmaak_f64 v[74:75], v[78:79], v[74:75], 0x3f6d6d93e09491df
	v_add_f64_e64 v[64:65], v[64:65], -v[80:81]
	v_add_f64_e64 v[72:73], v[72:73], -v[76:77]
	s_delay_alu instid0(VALU_DEP_2) | instskip(NEXT) | instid1(VALU_DEP_1)
	v_add_f64_e64 v[64:65], v[64:65], -v[84:85]
	v_add_f64_e32 v[62:63], v[62:63], v[64:65]
	v_fmaak_f64 v[64:65], v[78:79], v[74:75], 0x3f8226e12033784d
	v_add_f64_e32 v[74:75], v[68:69], v[70:71]
	s_delay_alu instid0(VALU_DEP_2) | instskip(NEXT) | instid1(VALU_DEP_1)
	v_fmaak_f64 v[64:65], v[78:79], v[64:65], 0x3f9664f49ac36ae2
	v_fmaak_f64 v[64:65], v[78:79], v[64:65], 0x3faba1ba1b451c21
	s_delay_alu instid0(VALU_DEP_1) | instskip(NEXT) | instid1(VALU_DEP_1)
	v_fmaak_f64 v[64:65], v[78:79], v[64:65], 0x3fc11111111185b7
	v_fmaak_f64 v[64:65], v[78:79], v[64:65], 0x3fd55555555554ee
	v_add_f64_e32 v[62:63], v[72:73], v[62:63]
	v_add_f64_e64 v[72:73], v[74:75], -v[68:69]
	s_delay_alu instid0(VALU_DEP_3) | instskip(NEXT) | instid1(VALU_DEP_3)
	v_mul_f64_e32 v[64:65], v[78:79], v[64:65]
	v_add_f64_e32 v[62:63], v[80:81], v[62:63]
	s_delay_alu instid0(VALU_DEP_3) | instskip(NEXT) | instid1(VALU_DEP_3)
	v_add_f64_e64 v[70:71], v[70:71], -v[72:73]
	v_mul_f64_e32 v[76:77], v[54:55], v[64:65]
	s_delay_alu instid0(VALU_DEP_3) | instskip(NEXT) | instid1(VALU_DEP_2)
	v_mul_f64_e32 v[62:63], v[68:69], v[62:63]
	v_add_f64_e32 v[68:69], v[54:55], v[76:77]
	v_fma_f64 v[64:65], v[54:55], v[64:65], -v[76:77]
	s_delay_alu instid0(VALU_DEP_3) | instskip(NEXT) | instid1(VALU_DEP_3)
	v_add_f64_e32 v[62:63], v[70:71], v[62:63]
	v_add_f64_e64 v[54:55], v[68:69], -v[54:55]
	s_delay_alu instid0(VALU_DEP_3) | instskip(NEXT) | instid1(VALU_DEP_3)
	v_add_f64_e32 v[56:57], v[56:57], v[64:65]
	v_add_f64_e32 v[70:71], v[74:75], v[62:63]
	s_delay_alu instid0(VALU_DEP_3) | instskip(NEXT) | instid1(VALU_DEP_2)
	v_add_f64_e64 v[54:55], v[76:77], -v[54:55]
	v_ldexp_f64 v[64:65], v[70:71], -2
	v_add_f64_e64 v[70:71], v[70:71], -v[74:75]
	s_delay_alu instid0(VALU_DEP_3) | instskip(NEXT) | instid1(VALU_DEP_3)
	v_add_f64_e32 v[54:55], v[56:57], v[54:55]
	v_add_f64_e64 v[56:57], v[66:67], -v[64:65]
	s_delay_alu instid0(VALU_DEP_3) | instskip(NEXT) | instid1(VALU_DEP_3)
	v_add_f64_e64 v[62:63], v[62:63], -v[70:71]
	v_add_f64_e32 v[72:73], v[68:69], v[54:55]
	s_delay_alu instid0(VALU_DEP_3) | instskip(NEXT) | instid1(VALU_DEP_3)
	v_add_f64_e64 v[66:67], v[66:67], -v[56:57]
	v_ldexp_f64 v[62:63], v[62:63], -2
	s_delay_alu instid0(VALU_DEP_3) | instskip(NEXT) | instid1(VALU_DEP_2)
	v_rcp_f64_e32 v[74:75], v[72:73]
	v_add_f64_e64 v[64:65], v[66:67], -v[64:65]
	s_delay_alu instid0(TRANS32_DEP_1) | instskip(NEXT) | instid1(VALU_DEP_2)
	v_fma_f64 v[66:67], -v[72:73], v[74:75], 1.0
	v_add_f64_e32 v[60:61], v[60:61], v[64:65]
	s_delay_alu instid0(VALU_DEP_2) | instskip(NEXT) | instid1(VALU_DEP_2)
	v_fmac_f64_e32 v[74:75], v[66:67], v[74:75]
	v_add_f64_e64 v[60:61], v[60:61], -v[62:63]
	s_delay_alu instid0(VALU_DEP_2) | instskip(NEXT) | instid1(VALU_DEP_2)
	v_fma_f64 v[62:63], -v[72:73], v[74:75], 1.0
	v_add_f64_e32 v[56:57], v[56:57], v[60:61]
	s_delay_alu instid0(VALU_DEP_2) | instskip(NEXT) | instid1(VALU_DEP_2)
	v_fmac_f64_e32 v[74:75], v[62:63], v[74:75]
	v_cndmask_b32_e32 v12, 0x7ff00000, v57, vcc_lo
	s_delay_alu instid0(VALU_DEP_3) | instskip(SKIP_4) | instid1(VALU_DEP_3)
	v_cndmask_b32_e32 v21, 0, v56, vcc_lo
	v_cmp_gt_f64_e64 vcc_lo, 0x3e400000, |v[10:11]|
	v_add_f64_e64 v[56:57], v[72:73], -v[68:69]
	v_mul_f64_e32 v[60:61], v[72:73], v[74:75]
	v_cndmask_b32_e32 v12, v12, v58, vcc_lo
	v_dual_add_f64 v[54:55], v[54:55], -v[56:57] :: v_dual_cndmask_b32 v10, v21, v10, vcc_lo
	s_delay_alu instid0(VALU_DEP_2) | instskip(NEXT) | instid1(VALU_DEP_4)
	v_bfi_b32 v11, 0x7fffffff, v12, v11
	v_fma_f64 v[56:57], v[74:75], v[72:73], -v[60:61]
	s_delay_alu instid0(VALU_DEP_2) | instskip(NEXT) | instid1(VALU_DEP_2)
	v_fma_f64 v[62:63], v[10:11], v[10:11], 1.0
	v_fmac_f64_e32 v[56:57], v[74:75], v[54:55]
	s_delay_alu instid0(VALU_DEP_2) | instskip(SKIP_1) | instid1(VALU_DEP_1)
	v_cmp_gt_f64_e32 vcc_lo, 0x10000000, v[62:63]
	v_cndmask_b32_e64 v12, 0, 0x100, vcc_lo
	v_ldexp_f64 v[54:55], v[62:63], v12
	s_delay_alu instid0(VALU_DEP_4) | instskip(NEXT) | instid1(VALU_DEP_1)
	v_dual_add_f64 v[62:63], v[60:61], v[56:57] :: v_dual_bitop2_b32 v12, 1, v59 bitop3:0x40
	v_cmp_eq_u32_e64 s6, 0, v12
	s_delay_alu instid0(VALU_DEP_3) | instskip(NEXT) | instid1(VALU_DEP_2)
	v_rsq_f64_e32 v[64:65], v[54:55]
	v_add_f64_e64 v[66:67], -v[62:63], 1.0
	v_add_f64_e64 v[60:61], v[62:63], -v[60:61]
	s_delay_alu instid0(VALU_DEP_2) | instskip(NEXT) | instid1(VALU_DEP_2)
	v_add_f64_e64 v[70:71], -v[66:67], 1.0
	v_add_f64_e64 v[56:57], v[60:61], -v[56:57]
	s_delay_alu instid0(TRANS32_DEP_1) | instskip(SKIP_1) | instid1(VALU_DEP_4)
	v_mul_f64_e32 v[68:69], v[54:55], v[64:65]
	v_mul_f64_e32 v[64:65], 0.5, v[64:65]
	v_add_f64_e64 v[60:61], v[70:71], -v[62:63]
	s_delay_alu instid0(VALU_DEP_2) | instskip(NEXT) | instid1(VALU_DEP_2)
	v_fma_f64 v[76:77], -v[64:65], v[68:69], 0.5
	v_add_f64_e32 v[56:57], v[56:57], v[60:61]
	s_delay_alu instid0(VALU_DEP_2) | instskip(SKIP_1) | instid1(VALU_DEP_3)
	v_fmac_f64_e32 v[68:69], v[68:69], v[76:77]
	v_fmac_f64_e32 v[64:65], v[64:65], v[76:77]
	v_add_f64_e32 v[56:57], v[66:67], v[56:57]
	s_delay_alu instid0(VALU_DEP_3) | instskip(NEXT) | instid1(VALU_DEP_2)
	v_fma_f64 v[60:61], -v[68:69], v[68:69], v[54:55]
	v_mul_f64_e32 v[56:57], v[74:75], v[56:57]
	s_delay_alu instid0(VALU_DEP_2) | instskip(NEXT) | instid1(VALU_DEP_2)
	v_fmac_f64_e32 v[68:69], v[60:61], v[64:65]
	v_add_f64_e32 v[56:57], v[74:75], v[56:57]
	s_delay_alu instid0(VALU_DEP_2) | instskip(NEXT) | instid1(VALU_DEP_2)
	v_fma_f64 v[60:61], -v[68:69], v[68:69], v[54:55]
	v_xor_b32_e32 v21, 0x80000000, v57
	s_delay_alu instid0(VALU_DEP_3) | instskip(SKIP_2) | instid1(VALU_DEP_4)
	v_cndmask_b32_e64 v12, v56, v72, s6
	v_cndmask_b32_e64 v56, 0, 0xffffff80, vcc_lo
	v_cmp_class_f64_e64 vcc_lo, v[54:55], 0x260
	v_cndmask_b32_e64 v21, v21, v73, s6
	v_fmac_f64_e32 v[68:69], v[60:61], v[64:65]
	s_delay_alu instid0(VALU_DEP_2) | instskip(NEXT) | instid1(VALU_DEP_1)
	v_bitop3_b32 v13, v21, v13, 0x80000000 bitop3:0x78
	v_fma_f64 v[58:59], v[12:13], v[12:13], 1.0
	s_delay_alu instid0(VALU_DEP_3) | instskip(NEXT) | instid1(VALU_DEP_1)
	v_ldexp_f64 v[56:57], v[68:69], v56
	v_dual_cndmask_b32 v55, v57, v55 :: v_dual_cndmask_b32 v54, v56, v54
	s_delay_alu instid0(VALU_DEP_3) | instskip(NEXT) | instid1(VALU_DEP_2)
	v_mul_f64_e32 v[56:57], v[10:11], v[58:59]
	v_mul_f64_e32 v[54:55], v[54:55], v[58:59]
	s_delay_alu instid0(VALU_DEP_2) | instskip(NEXT) | instid1(VALU_DEP_2)
	v_fma_f64 v[56:57], v[10:11], v[56:57], 1.0
	v_mul_f64_e32 v[10:11], v[10:11], v[54:55]
	s_delay_alu instid0(VALU_DEP_2) | instskip(NEXT) | instid1(VALU_DEP_2)
	v_div_scale_f64 v[58:59], null, v[56:57], v[56:57], v[12:13]
	v_div_scale_f64 v[54:55], null, v[56:57], v[56:57], v[10:11]
	v_div_scale_f64 v[68:69], vcc_lo, v[10:11], v[56:57], v[10:11]
	s_delay_alu instid0(VALU_DEP_3) | instskip(NEXT) | instid1(VALU_DEP_2)
	v_rcp_f64_e32 v[62:63], v[58:59]
	v_rcp_f64_e32 v[60:61], v[54:55]
	s_delay_alu instid0(TRANS32_DEP_2) | instskip(NEXT) | instid1(TRANS32_DEP_1)
	v_fma_f64 v[66:67], -v[58:59], v[62:63], 1.0
	v_fma_f64 v[64:65], -v[54:55], v[60:61], 1.0
	s_delay_alu instid0(VALU_DEP_2) | instskip(NEXT) | instid1(VALU_DEP_2)
	v_fmac_f64_e32 v[62:63], v[62:63], v[66:67]
	v_fmac_f64_e32 v[60:61], v[60:61], v[64:65]
	s_delay_alu instid0(VALU_DEP_2) | instskip(NEXT) | instid1(VALU_DEP_2)
	v_fma_f64 v[66:67], -v[58:59], v[62:63], 1.0
	v_fma_f64 v[64:65], -v[54:55], v[60:61], 1.0
	s_delay_alu instid0(VALU_DEP_2) | instskip(NEXT) | instid1(VALU_DEP_2)
	v_fmac_f64_e32 v[62:63], v[62:63], v[66:67]
	v_fmac_f64_e32 v[60:61], v[60:61], v[64:65]
	v_div_scale_f64 v[64:65], s6, v[12:13], v[56:57], v[12:13]
	s_delay_alu instid0(VALU_DEP_2) | instskip(NEXT) | instid1(VALU_DEP_2)
	v_mul_f64_e32 v[66:67], v[68:69], v[60:61]
	v_mul_f64_e32 v[70:71], v[64:65], v[62:63]
	s_delay_alu instid0(VALU_DEP_2) | instskip(NEXT) | instid1(VALU_DEP_2)
	v_fma_f64 v[54:55], -v[54:55], v[66:67], v[68:69]
	v_fma_f64 v[58:59], -v[58:59], v[70:71], v[64:65]
	s_delay_alu instid0(VALU_DEP_2) | instskip(SKIP_1) | instid1(VALU_DEP_2)
	v_div_fmas_f64 v[54:55], v[54:55], v[60:61], v[66:67]
	s_mov_b32 vcc_lo, s6
	v_div_fmas_f64 v[58:59], v[58:59], v[62:63], v[70:71]
	s_delay_alu instid0(VALU_DEP_2) | instskip(NEXT) | instid1(VALU_DEP_2)
	v_div_fixup_f64 v[10:11], v[54:55], v[56:57], v[10:11]
	v_div_fixup_f64 v[12:13], v[58:59], v[56:57], v[12:13]
.LBB161_134:                            ;   in Loop: Header=BB161_4 Depth=1
	s_and_not1_saveexec_b32 s6, s37
	s_cbranch_execz .LBB161_163
; %bb.135:                              ;   in Loop: Header=BB161_4 Depth=1
	s_delay_alu instid0(VALU_DEP_1) | instskip(SKIP_1) | instid1(SALU_CYCLE_1)
	v_cmp_ngt_f64_e64 s37, 0x41d00000, |v[12:13]|
                                        ; implicit-def: $vgpr62
                                        ; implicit-def: $vgpr54_vgpr55
                                        ; implicit-def: $vgpr56_vgpr57
	s_and_saveexec_b32 s38, s37
	s_xor_b32 s38, exec_lo, s38
	s_cbranch_execz .LBB161_148
; %bb.136:                              ;   in Loop: Header=BB161_4 Depth=1
	v_ldexp_f64 v[54:55], |v[12:13]|, 0xffffff80
	v_cmp_le_f64_e64 vcc_lo, 0x7b000000, |v[12:13]|
	v_trig_preop_f64 v[56:57], |v[12:13]|, 0
	v_and_b32_e32 v21, 0x7fffffff, v13
	v_trig_preop_f64 v[58:59], |v[12:13]|, 1
	v_trig_preop_f64 v[68:69], |v[12:13]|, 2
	s_delay_alu instid0(VALU_DEP_3) | instskip(NEXT) | instid1(VALU_DEP_1)
	v_dual_cndmask_b32 v55, v21, v55 :: v_dual_cndmask_b32 v54, v12, v54
	v_mul_f64_e32 v[60:61], v[56:57], v[54:55]
	s_delay_alu instid0(VALU_DEP_4) | instskip(NEXT) | instid1(VALU_DEP_4)
	v_mul_f64_e32 v[62:63], v[58:59], v[54:55]
	v_mul_f64_e32 v[74:75], v[68:69], v[54:55]
	s_delay_alu instid0(VALU_DEP_3) | instskip(NEXT) | instid1(VALU_DEP_3)
	v_fma_f64 v[56:57], v[56:57], v[54:55], -v[60:61]
	v_fma_f64 v[58:59], v[58:59], v[54:55], -v[62:63]
	s_delay_alu instid0(VALU_DEP_3) | instskip(NEXT) | instid1(VALU_DEP_3)
	v_fma_f64 v[54:55], v[68:69], v[54:55], -v[74:75]
	v_add_f64_e32 v[64:65], v[62:63], v[56:57]
	s_delay_alu instid0(VALU_DEP_1) | instskip(SKIP_1) | instid1(VALU_DEP_2)
	v_add_f64_e64 v[66:67], v[64:65], -v[62:63]
	v_add_f64_e32 v[72:73], v[60:61], v[64:65]
	v_add_f64_e64 v[70:71], v[64:65], -v[66:67]
	v_add_f64_e64 v[56:57], v[56:57], -v[66:67]
	s_delay_alu instid0(VALU_DEP_3) | instskip(NEXT) | instid1(VALU_DEP_3)
	v_ldexp_f64 v[66:67], v[72:73], -2
	v_add_f64_e64 v[62:63], v[62:63], -v[70:71]
	v_add_f64_e32 v[70:71], v[74:75], v[58:59]
	s_delay_alu instid0(VALU_DEP_3) | instskip(NEXT) | instid1(VALU_DEP_3)
	v_cmp_neq_f64_e64 vcc_lo, 0x7ff00000, |v[66:67]|
	v_add_f64_e32 v[56:57], v[56:57], v[62:63]
	v_fract_f64_e32 v[62:63], v[66:67]
	s_delay_alu instid0(VALU_DEP_1) | instskip(NEXT) | instid1(VALU_DEP_1)
	v_ldexp_f64 v[62:63], v[62:63], 2
	v_dual_add_f64 v[60:61], v[72:73], -v[60:61] :: v_dual_cndmask_b32 v62, 0, v62, vcc_lo
	s_delay_alu instid0(VALU_DEP_1) | instskip(SKIP_1) | instid1(VALU_DEP_1)
	v_dual_add_f64 v[60:61], v[64:65], -v[60:61] :: v_dual_cndmask_b32 v63, 0, v63, vcc_lo
	v_add_f64_e32 v[64:65], v[70:71], v[56:57]
	v_add_f64_e32 v[66:67], v[60:61], v[64:65]
	v_add_f64_e64 v[76:77], v[64:65], -v[70:71]
	s_delay_alu instid0(VALU_DEP_2) | instskip(NEXT) | instid1(VALU_DEP_2)
	v_add_f64_e32 v[72:73], v[66:67], v[62:63]
	v_add_f64_e64 v[82:83], v[64:65], -v[76:77]
	v_add_f64_e64 v[56:57], v[56:57], -v[76:77]
	;; [unrolled: 1-line block ×3, first 2 shown]
	s_delay_alu instid0(VALU_DEP_4) | instskip(SKIP_1) | instid1(VALU_DEP_3)
	v_cmp_gt_f64_e32 vcc_lo, 0, v[72:73]
	v_add_f64_e64 v[72:73], v[70:71], -v[74:75]
	v_add_f64_e64 v[60:61], v[64:65], -v[60:61]
	v_cndmask_b32_e64 v21, 0, 0x40100000, vcc_lo
	s_delay_alu instid0(VALU_DEP_3) | instskip(SKIP_2) | instid1(VALU_DEP_4)
	v_add_f64_e64 v[80:81], v[70:71], -v[72:73]
	v_add_f64_e64 v[58:59], v[58:59], -v[72:73]
	;; [unrolled: 1-line block ×3, first 2 shown]
	v_add_f64_e32 v[62:63], v[62:63], v[20:21]
	s_delay_alu instid0(VALU_DEP_4) | instskip(NEXT) | instid1(VALU_DEP_3)
	v_add_f64_e64 v[72:73], v[74:75], -v[80:81]
	v_add_f64_e32 v[56:57], v[56:57], v[70:71]
	s_delay_alu instid0(VALU_DEP_3) | instskip(NEXT) | instid1(VALU_DEP_3)
	v_add_f64_e32 v[78:79], v[66:67], v[62:63]
	v_add_f64_e32 v[58:59], v[58:59], v[72:73]
	s_delay_alu instid0(VALU_DEP_2) | instskip(NEXT) | instid1(VALU_DEP_2)
	v_cvt_i32_f64_e32 v21, v[78:79]
	v_add_f64_e32 v[56:57], v[58:59], v[56:57]
	s_delay_alu instid0(VALU_DEP_2) | instskip(NEXT) | instid1(VALU_DEP_2)
	v_cvt_f64_i32_e32 v[76:77], v21
	v_add_f64_e32 v[54:55], v[54:55], v[56:57]
	s_delay_alu instid0(VALU_DEP_2) | instskip(NEXT) | instid1(VALU_DEP_2)
	v_add_f64_e64 v[62:63], v[62:63], -v[76:77]
	v_add_f64_e32 v[54:55], v[60:61], v[54:55]
	s_delay_alu instid0(VALU_DEP_2) | instskip(NEXT) | instid1(VALU_DEP_1)
	v_add_f64_e32 v[58:59], v[66:67], v[62:63]
	v_add_f64_e64 v[56:57], v[58:59], -v[62:63]
	v_cmp_le_f64_e32 vcc_lo, 0.5, v[58:59]
	s_delay_alu instid0(VALU_DEP_2) | instskip(SKIP_2) | instid1(VALU_DEP_3)
	v_add_f64_e64 v[56:57], v[66:67], -v[56:57]
	v_add_co_ci_u32_e64 v62, null, 0, v21, vcc_lo
	v_cndmask_b32_e64 v21, 0, 0x3ff00000, vcc_lo
	v_add_f64_e32 v[54:55], v[54:55], v[56:57]
	s_delay_alu instid0(VALU_DEP_2) | instskip(NEXT) | instid1(VALU_DEP_1)
	v_add_f64_e64 v[56:57], v[58:59], -v[20:21]
	v_add_f64_e32 v[58:59], v[56:57], v[54:55]
	s_delay_alu instid0(VALU_DEP_1) | instskip(SKIP_1) | instid1(VALU_DEP_2)
	v_mul_f64_e32 v[60:61], 0x3ff921fb54442d18, v[58:59]
	v_add_f64_e64 v[56:57], v[58:59], -v[56:57]
	v_fma_f64 v[64:65], v[58:59], s[16:17], -v[60:61]
	s_delay_alu instid0(VALU_DEP_2) | instskip(NEXT) | instid1(VALU_DEP_2)
	v_add_f64_e64 v[54:55], v[54:55], -v[56:57]
	v_fmac_f64_e32 v[64:65], 0x3c91a62633145c07, v[58:59]
	s_delay_alu instid0(VALU_DEP_1) | instskip(NEXT) | instid1(VALU_DEP_1)
	v_fmac_f64_e32 v[64:65], 0x3ff921fb54442d18, v[54:55]
	v_add_f64_e32 v[54:55], v[60:61], v[64:65]
	s_delay_alu instid0(VALU_DEP_1) | instskip(NEXT) | instid1(VALU_DEP_1)
	v_add_f64_e64 v[56:57], v[54:55], -v[60:61]
	v_add_f64_e64 v[56:57], v[64:65], -v[56:57]
	s_and_not1_saveexec_b32 s38, s38
	s_cbranch_execz .LBB161_150
	s_branch .LBB161_149
.LBB161_137:                            ;   in Loop: Header=BB161_4 Depth=1
	s_and_not1_saveexec_b32 s36, s7
	s_cbranch_execz .LBB161_167
.LBB161_138:                            ;   in Loop: Header=BB161_4 Depth=1
	s_delay_alu instid0(VALU_DEP_1) | instskip(SKIP_1) | instid1(VALU_DEP_1)
	v_and_or_b32 v21, 0xfffff, v11, v10
	s_mov_b32 s6, exec_lo
	v_cmpx_ne_u32_e32 0, v21
	s_xor_b32 s6, exec_lo, s6
	s_cbranch_execz .LBB161_140
; %bb.139:                              ;   in Loop: Header=BB161_4 Depth=1
	s_delay_alu instid0(VALU_DEP_3) | instskip(SKIP_1) | instid1(VALU_DEP_2)
	v_mul_f64_e32 v[54:55], v[12:13], v[10:11]
	v_cmp_eq_f64_e32 vcc_lo, 0, v[12:13]
	v_dual_cndmask_b32 v13, v55, v13 :: v_dual_cndmask_b32 v12, v54, v12
.LBB161_140:                            ;   in Loop: Header=BB161_4 Depth=1
	s_and_not1_saveexec_b32 s37, s6
	s_cbranch_execz .LBB161_156
; %bb.141:                              ;   in Loop: Header=BB161_4 Depth=1
	s_mov_b32 s38, exec_lo
	s_delay_alu instid0(VALU_DEP_1)
	v_cmpx_neq_f64_e64 0x7ff00000, |v[12:13]|
	s_cbranch_execz .LBB161_155
; %bb.142:                              ;   in Loop: Header=BB161_4 Depth=1
	v_cmp_ngt_f64_e64 s6, 0x41d00000, |v[12:13]|
	v_trig_preop_f64 v[62:63], |v[12:13]|, 0
	v_trig_preop_f64 v[60:61], |v[12:13]|, 1
	v_ldexp_f64 v[64:65], |v[12:13]|, 0xffffff80
	v_trig_preop_f64 v[58:59], |v[12:13]|, 2
	v_and_b32_e32 v73, 0x7fffffff, v13
                                        ; implicit-def: $vgpr72
                                        ; implicit-def: $vgpr54_vgpr55
                                        ; implicit-def: $vgpr56_vgpr57
	s_and_saveexec_b32 s7, s6
	s_delay_alu instid0(SALU_CYCLE_1)
	s_xor_b32 s7, exec_lo, s7
	s_cbranch_execz .LBB161_144
; %bb.143:                              ;   in Loop: Header=BB161_4 Depth=1
	v_cmp_le_f64_e64 vcc_lo, 0x7b000000, |v[12:13]|
	s_delay_alu instid0(VALU_DEP_4) | instskip(NEXT) | instid1(VALU_DEP_1)
	v_dual_cndmask_b32 v55, v73, v65 :: v_dual_cndmask_b32 v54, v12, v64
	v_mul_f64_e32 v[56:57], v[62:63], v[54:55]
	v_mul_f64_e32 v[66:67], v[60:61], v[54:55]
	;; [unrolled: 1-line block ×3, first 2 shown]
	s_delay_alu instid0(VALU_DEP_3) | instskip(NEXT) | instid1(VALU_DEP_3)
	v_fma_f64 v[68:69], v[62:63], v[54:55], -v[56:57]
	v_fma_f64 v[82:83], v[60:61], v[54:55], -v[66:67]
	s_delay_alu instid0(VALU_DEP_3) | instskip(NEXT) | instid1(VALU_DEP_3)
	v_fma_f64 v[54:55], v[58:59], v[54:55], -v[80:81]
	v_add_f64_e32 v[70:71], v[66:67], v[68:69]
	s_delay_alu instid0(VALU_DEP_1) | instskip(SKIP_1) | instid1(VALU_DEP_2)
	v_add_f64_e64 v[74:75], v[70:71], -v[66:67]
	v_add_f64_e32 v[78:79], v[56:57], v[70:71]
	v_add_f64_e64 v[76:77], v[70:71], -v[74:75]
	v_add_f64_e64 v[68:69], v[68:69], -v[74:75]
	s_delay_alu instid0(VALU_DEP_3) | instskip(NEXT) | instid1(VALU_DEP_3)
	v_ldexp_f64 v[74:75], v[78:79], -2
	v_add_f64_e64 v[66:67], v[66:67], -v[76:77]
	v_add_f64_e32 v[76:77], v[80:81], v[82:83]
	s_delay_alu instid0(VALU_DEP_3) | instskip(NEXT) | instid1(VALU_DEP_3)
	v_cmp_neq_f64_e64 vcc_lo, 0x7ff00000, |v[74:75]|
	v_add_f64_e32 v[66:67], v[68:69], v[66:67]
	v_fract_f64_e32 v[68:69], v[74:75]
	s_delay_alu instid0(VALU_DEP_1) | instskip(NEXT) | instid1(VALU_DEP_1)
	v_ldexp_f64 v[68:69], v[68:69], 2
	v_cndmask_b32_e32 v69, 0, v69, vcc_lo
	v_add_f64_e64 v[56:57], v[78:79], -v[56:57]
	s_delay_alu instid0(VALU_DEP_3) | instskip(NEXT) | instid1(VALU_DEP_2)
	v_cndmask_b32_e32 v68, 0, v68, vcc_lo
	v_add_f64_e64 v[56:57], v[70:71], -v[56:57]
	v_add_f64_e32 v[70:71], v[76:77], v[66:67]
	s_delay_alu instid0(VALU_DEP_1) | instskip(SKIP_1) | instid1(VALU_DEP_2)
	v_add_f64_e32 v[74:75], v[56:57], v[70:71]
	v_add_f64_e64 v[84:85], v[70:71], -v[76:77]
	v_add_f64_e32 v[78:79], v[74:75], v[68:69]
	s_delay_alu instid0(VALU_DEP_2) | instskip(SKIP_2) | instid1(VALU_DEP_4)
	v_add_f64_e64 v[90:91], v[70:71], -v[84:85]
	v_add_f64_e64 v[66:67], v[66:67], -v[84:85]
	;; [unrolled: 1-line block ×3, first 2 shown]
	v_cmp_gt_f64_e32 vcc_lo, 0, v[78:79]
	v_add_f64_e64 v[78:79], v[76:77], -v[80:81]
	s_delay_alu instid0(VALU_DEP_3) | instskip(SKIP_1) | instid1(VALU_DEP_3)
	v_add_f64_e64 v[56:57], v[70:71], -v[56:57]
	v_cndmask_b32_e64 v21, 0, 0x40100000, vcc_lo
	v_add_f64_e64 v[88:89], v[76:77], -v[78:79]
	v_add_f64_e64 v[78:79], v[82:83], -v[78:79]
	;; [unrolled: 1-line block ×3, first 2 shown]
	s_delay_alu instid0(VALU_DEP_4) | instskip(NEXT) | instid1(VALU_DEP_4)
	v_add_f64_e32 v[68:69], v[68:69], v[20:21]
	v_add_f64_e64 v[82:83], v[80:81], -v[88:89]
	s_delay_alu instid0(VALU_DEP_3) | instskip(NEXT) | instid1(VALU_DEP_3)
	v_add_f64_e32 v[66:67], v[66:67], v[76:77]
	v_add_f64_e32 v[86:87], v[74:75], v[68:69]
	s_delay_alu instid0(VALU_DEP_3) | instskip(NEXT) | instid1(VALU_DEP_2)
	v_add_f64_e32 v[78:79], v[78:79], v[82:83]
	v_cvt_i32_f64_e32 v21, v[86:87]
	s_delay_alu instid0(VALU_DEP_2) | instskip(NEXT) | instid1(VALU_DEP_2)
	v_add_f64_e32 v[66:67], v[78:79], v[66:67]
	v_cvt_f64_i32_e32 v[84:85], v21
	s_delay_alu instid0(VALU_DEP_2) | instskip(NEXT) | instid1(VALU_DEP_2)
	v_add_f64_e32 v[54:55], v[54:55], v[66:67]
	v_add_f64_e64 v[68:69], v[68:69], -v[84:85]
	s_delay_alu instid0(VALU_DEP_2) | instskip(NEXT) | instid1(VALU_DEP_2)
	v_add_f64_e32 v[54:55], v[56:57], v[54:55]
	v_add_f64_e32 v[76:77], v[74:75], v[68:69]
	s_delay_alu instid0(VALU_DEP_1) | instskip(SKIP_1) | instid1(VALU_DEP_2)
	v_add_f64_e64 v[66:67], v[76:77], -v[68:69]
	v_cmp_le_f64_e32 vcc_lo, 0.5, v[76:77]
	v_add_f64_e64 v[56:57], v[74:75], -v[66:67]
	v_add_co_ci_u32_e64 v72, null, 0, v21, vcc_lo
	v_cndmask_b32_e64 v21, 0, 0x3ff00000, vcc_lo
	s_delay_alu instid0(VALU_DEP_3) | instskip(NEXT) | instid1(VALU_DEP_2)
	v_add_f64_e32 v[54:55], v[54:55], v[56:57]
	v_add_f64_e64 v[56:57], v[76:77], -v[20:21]
	s_delay_alu instid0(VALU_DEP_1) | instskip(NEXT) | instid1(VALU_DEP_1)
	v_add_f64_e32 v[66:67], v[56:57], v[54:55]
	v_mul_f64_e32 v[68:69], 0x3ff921fb54442d18, v[66:67]
	v_add_f64_e64 v[56:57], v[66:67], -v[56:57]
	s_delay_alu instid0(VALU_DEP_2) | instskip(NEXT) | instid1(VALU_DEP_2)
	v_fma_f64 v[70:71], v[66:67], s[16:17], -v[68:69]
	v_add_f64_e64 v[54:55], v[54:55], -v[56:57]
	s_delay_alu instid0(VALU_DEP_2) | instskip(NEXT) | instid1(VALU_DEP_1)
	v_fmac_f64_e32 v[70:71], 0x3c91a62633145c07, v[66:67]
	v_fmac_f64_e32 v[70:71], 0x3ff921fb54442d18, v[54:55]
	s_delay_alu instid0(VALU_DEP_1) | instskip(NEXT) | instid1(VALU_DEP_1)
	v_add_f64_e32 v[54:55], v[68:69], v[70:71]
	v_add_f64_e64 v[56:57], v[54:55], -v[68:69]
	s_delay_alu instid0(VALU_DEP_1)
	v_add_f64_e64 v[56:57], v[70:71], -v[56:57]
.LBB161_144:                            ;   in Loop: Header=BB161_4 Depth=1
	s_or_saveexec_b32 s7, s7
	v_mul_f64_e64 v[66:67], |v[12:13]|, s[18:19]
	s_delay_alu instid0(VALU_DEP_1)
	v_rndne_f64_e32 v[70:71], v[66:67]
	s_xor_b32 exec_lo, exec_lo, s7
	s_cbranch_execz .LBB161_146
; %bb.145:                              ;   in Loop: Header=BB161_4 Depth=1
	s_delay_alu instid0(VALU_DEP_1) | instskip(SKIP_2) | instid1(VALU_DEP_3)
	v_fma_f64 v[54:55], v[70:71], s[20:21], |v[12:13]|
	v_mul_f64_e32 v[56:57], 0xbc91a62633145c00, v[70:71]
	v_cvt_i32_f64_e32 v72, v[70:71]
	v_fmamk_f64 v[74:75], v[70:71], 0xbc91a62633145c00, v[54:55]
	s_delay_alu instid0(VALU_DEP_3) | instskip(NEXT) | instid1(VALU_DEP_1)
	v_add_f64_e32 v[66:67], v[54:55], v[56:57]
	v_add_f64_e64 v[68:69], v[54:55], -v[66:67]
	s_delay_alu instid0(VALU_DEP_3) | instskip(NEXT) | instid1(VALU_DEP_2)
	v_add_f64_e64 v[54:55], v[66:67], -v[74:75]
	v_add_f64_e32 v[66:67], v[68:69], v[56:57]
	v_fmamk_f64 v[56:57], v[70:71], 0x3c91a62633145c00, v[56:57]
	s_delay_alu instid0(VALU_DEP_2) | instskip(NEXT) | instid1(VALU_DEP_1)
	v_add_f64_e32 v[54:55], v[54:55], v[66:67]
	v_add_f64_e64 v[56:57], v[54:55], -v[56:57]
	s_delay_alu instid0(VALU_DEP_1) | instskip(NEXT) | instid1(VALU_DEP_1)
	v_fmac_f64_e32 v[56:57], 0xb97b839a252049c0, v[70:71]
	v_add_f64_e32 v[54:55], v[74:75], v[56:57]
	s_delay_alu instid0(VALU_DEP_1) | instskip(NEXT) | instid1(VALU_DEP_1)
	v_add_f64_e64 v[66:67], v[54:55], -v[74:75]
	v_add_f64_e64 v[56:57], v[56:57], -v[66:67]
.LBB161_146:                            ;   in Loop: Header=BB161_4 Depth=1
	s_or_b32 exec_lo, exec_lo, s7
                                        ; implicit-def: $vgpr74
                                        ; implicit-def: $vgpr66_vgpr67
                                        ; implicit-def: $vgpr68_vgpr69
	s_and_saveexec_b32 s7, s6
	s_delay_alu instid0(SALU_CYCLE_1)
	s_xor_b32 s6, exec_lo, s7
	s_cbranch_execz .LBB161_152
; %bb.147:                              ;   in Loop: Header=BB161_4 Depth=1
	v_cmp_le_f64_e64 vcc_lo, 0x7b000000, |v[12:13]|
	v_dual_cndmask_b32 v65, v73, v65 :: v_dual_cndmask_b32 v64, v12, v64
	s_delay_alu instid0(VALU_DEP_1) | instskip(SKIP_2) | instid1(VALU_DEP_3)
	v_mul_f64_e32 v[66:67], v[62:63], v[64:65]
	v_mul_f64_e32 v[68:69], v[60:61], v[64:65]
	;; [unrolled: 1-line block ×3, first 2 shown]
	v_fma_f64 v[62:63], v[62:63], v[64:65], -v[66:67]
	s_delay_alu instid0(VALU_DEP_3) | instskip(NEXT) | instid1(VALU_DEP_3)
	v_fma_f64 v[60:61], v[60:61], v[64:65], -v[68:69]
	v_fma_f64 v[58:59], v[58:59], v[64:65], -v[80:81]
	s_delay_alu instid0(VALU_DEP_3) | instskip(NEXT) | instid1(VALU_DEP_1)
	v_add_f64_e32 v[70:71], v[68:69], v[62:63]
	v_add_f64_e64 v[74:75], v[70:71], -v[68:69]
	v_add_f64_e32 v[78:79], v[66:67], v[70:71]
	s_delay_alu instid0(VALU_DEP_2) | instskip(SKIP_1) | instid1(VALU_DEP_3)
	v_add_f64_e64 v[76:77], v[70:71], -v[74:75]
	v_add_f64_e64 v[62:63], v[62:63], -v[74:75]
	v_ldexp_f64 v[74:75], v[78:79], -2
	v_add_f64_e64 v[66:67], v[78:79], -v[66:67]
	s_delay_alu instid0(VALU_DEP_4) | instskip(SKIP_1) | instid1(VALU_DEP_4)
	v_add_f64_e64 v[68:69], v[68:69], -v[76:77]
	v_add_f64_e32 v[76:77], v[80:81], v[60:61]
	v_cmp_neq_f64_e64 vcc_lo, 0x7ff00000, |v[74:75]|
	s_delay_alu instid0(VALU_DEP_3) | instskip(SKIP_1) | instid1(VALU_DEP_1)
	v_add_f64_e32 v[62:63], v[62:63], v[68:69]
	v_fract_f64_e32 v[68:69], v[74:75]
	v_ldexp_f64 v[68:69], v[68:69], 2
	s_delay_alu instid0(VALU_DEP_1) | instskip(NEXT) | instid1(VALU_DEP_2)
	v_dual_add_f64 v[66:67], v[70:71], -v[66:67] :: v_dual_cndmask_b32 v69, 0, v69, vcc_lo
	v_dual_add_f64 v[70:71], v[76:77], v[62:63] :: v_dual_cndmask_b32 v68, 0, v68, vcc_lo
	s_delay_alu instid0(VALU_DEP_1) | instskip(SKIP_1) | instid1(VALU_DEP_2)
	v_add_f64_e32 v[74:75], v[66:67], v[70:71]
	v_add_f64_e64 v[82:83], v[70:71], -v[76:77]
	v_add_f64_e32 v[78:79], v[74:75], v[68:69]
	s_delay_alu instid0(VALU_DEP_2) | instskip(SKIP_2) | instid1(VALU_DEP_4)
	v_add_f64_e64 v[88:89], v[70:71], -v[82:83]
	v_add_f64_e64 v[62:63], v[62:63], -v[82:83]
	;; [unrolled: 1-line block ×3, first 2 shown]
	v_cmp_gt_f64_e32 vcc_lo, 0, v[78:79]
	v_add_f64_e64 v[78:79], v[76:77], -v[80:81]
	s_delay_alu instid0(VALU_DEP_3) | instskip(SKIP_1) | instid1(VALU_DEP_3)
	v_add_f64_e64 v[64:65], v[70:71], -v[64:65]
                                        ; implicit-def: $vgpr70_vgpr71
	v_cndmask_b32_e64 v21, 0, 0x40100000, vcc_lo
	v_add_f64_e64 v[86:87], v[76:77], -v[78:79]
	v_add_f64_e64 v[60:61], v[60:61], -v[78:79]
	;; [unrolled: 1-line block ×3, first 2 shown]
	s_delay_alu instid0(VALU_DEP_4) | instskip(NEXT) | instid1(VALU_DEP_4)
	v_add_f64_e32 v[68:69], v[68:69], v[20:21]
	v_add_f64_e64 v[78:79], v[80:81], -v[86:87]
	s_delay_alu instid0(VALU_DEP_3) | instskip(NEXT) | instid1(VALU_DEP_3)
	v_add_f64_e32 v[62:63], v[62:63], v[76:77]
	v_add_f64_e32 v[84:85], v[74:75], v[68:69]
	s_delay_alu instid0(VALU_DEP_3) | instskip(NEXT) | instid1(VALU_DEP_2)
	v_add_f64_e32 v[60:61], v[60:61], v[78:79]
	v_cvt_i32_f64_e32 v21, v[84:85]
	s_delay_alu instid0(VALU_DEP_2) | instskip(NEXT) | instid1(VALU_DEP_2)
	v_add_f64_e32 v[60:61], v[60:61], v[62:63]
	v_cvt_f64_i32_e32 v[82:83], v21
	s_delay_alu instid0(VALU_DEP_2) | instskip(NEXT) | instid1(VALU_DEP_2)
	v_add_f64_e32 v[58:59], v[58:59], v[60:61]
	v_add_f64_e64 v[68:69], v[68:69], -v[82:83]
	s_delay_alu instid0(VALU_DEP_2) | instskip(NEXT) | instid1(VALU_DEP_2)
	v_add_f64_e32 v[58:59], v[64:65], v[58:59]
	v_add_f64_e32 v[62:63], v[74:75], v[68:69]
	s_delay_alu instid0(VALU_DEP_1) | instskip(SKIP_1) | instid1(VALU_DEP_2)
	v_add_f64_e64 v[60:61], v[62:63], -v[68:69]
	v_cmp_le_f64_e32 vcc_lo, 0.5, v[62:63]
	v_add_f64_e64 v[60:61], v[74:75], -v[60:61]
	v_add_co_ci_u32_e64 v74, null, 0, v21, vcc_lo
	v_cndmask_b32_e64 v21, 0, 0x3ff00000, vcc_lo
	s_delay_alu instid0(VALU_DEP_3) | instskip(NEXT) | instid1(VALU_DEP_2)
	v_add_f64_e32 v[58:59], v[58:59], v[60:61]
	v_add_f64_e64 v[60:61], v[62:63], -v[20:21]
	s_delay_alu instid0(VALU_DEP_1) | instskip(NEXT) | instid1(VALU_DEP_1)
	v_add_f64_e32 v[62:63], v[60:61], v[58:59]
	v_mul_f64_e32 v[64:65], 0x3ff921fb54442d18, v[62:63]
	v_add_f64_e64 v[60:61], v[62:63], -v[60:61]
	s_delay_alu instid0(VALU_DEP_2) | instskip(NEXT) | instid1(VALU_DEP_2)
	v_fma_f64 v[68:69], v[62:63], s[16:17], -v[64:65]
	v_add_f64_e64 v[58:59], v[58:59], -v[60:61]
	s_delay_alu instid0(VALU_DEP_2) | instskip(NEXT) | instid1(VALU_DEP_1)
	v_fmac_f64_e32 v[68:69], 0x3c91a62633145c07, v[62:63]
	v_fmac_f64_e32 v[68:69], 0x3ff921fb54442d18, v[58:59]
	s_delay_alu instid0(VALU_DEP_1) | instskip(NEXT) | instid1(VALU_DEP_1)
	v_add_f64_e32 v[66:67], v[64:65], v[68:69]
	v_add_f64_e64 v[58:59], v[66:67], -v[64:65]
	s_delay_alu instid0(VALU_DEP_1)
	v_add_f64_e64 v[68:69], v[68:69], -v[58:59]
	s_and_not1_saveexec_b32 s6, s6
	s_cbranch_execnz .LBB161_153
	s_branch .LBB161_154
.LBB161_148:                            ;   in Loop: Header=BB161_4 Depth=1
	s_and_not1_saveexec_b32 s38, s38
	s_cbranch_execz .LBB161_150
.LBB161_149:                            ;   in Loop: Header=BB161_4 Depth=1
	v_mul_f64_e64 v[54:55], |v[12:13]|, s[18:19]
	s_delay_alu instid0(VALU_DEP_1) | instskip(NEXT) | instid1(VALU_DEP_1)
	v_rndne_f64_e32 v[58:59], v[54:55]
	v_fma_f64 v[54:55], v[58:59], s[20:21], |v[12:13]|
	v_mul_f64_e32 v[56:57], 0xbc91a62633145c00, v[58:59]
	s_delay_alu instid0(VALU_DEP_2) | instskip(NEXT) | instid1(VALU_DEP_2)
	v_fmamk_f64 v[64:65], v[58:59], 0xbc91a62633145c00, v[54:55]
	v_add_f64_e32 v[60:61], v[54:55], v[56:57]
	s_delay_alu instid0(VALU_DEP_1) | instskip(NEXT) | instid1(VALU_DEP_3)
	v_add_f64_e64 v[62:63], v[54:55], -v[60:61]
	v_add_f64_e64 v[54:55], v[60:61], -v[64:65]
	s_delay_alu instid0(VALU_DEP_2) | instskip(SKIP_2) | instid1(VALU_DEP_3)
	v_add_f64_e32 v[60:61], v[62:63], v[56:57]
	v_fmamk_f64 v[56:57], v[58:59], 0x3c91a62633145c00, v[56:57]
	v_cvt_i32_f64_e32 v62, v[58:59]
	v_add_f64_e32 v[54:55], v[54:55], v[60:61]
	s_delay_alu instid0(VALU_DEP_1) | instskip(NEXT) | instid1(VALU_DEP_1)
	v_add_f64_e64 v[56:57], v[54:55], -v[56:57]
	v_fmac_f64_e32 v[56:57], 0xb97b839a252049c0, v[58:59]
	s_delay_alu instid0(VALU_DEP_1) | instskip(NEXT) | instid1(VALU_DEP_1)
	v_add_f64_e32 v[54:55], v[64:65], v[56:57]
	v_add_f64_e64 v[60:61], v[54:55], -v[64:65]
	s_delay_alu instid0(VALU_DEP_1)
	v_add_f64_e64 v[56:57], v[56:57], -v[60:61]
.LBB161_150:                            ;   in Loop: Header=BB161_4 Depth=1
	s_or_b32 exec_lo, exec_lo, s38
                                        ; implicit-def: $vgpr63
                                        ; implicit-def: $vgpr58_vgpr59
                                        ; implicit-def: $vgpr60_vgpr61
	s_and_saveexec_b32 s38, s37
	s_delay_alu instid0(SALU_CYCLE_1)
	s_xor_b32 s37, exec_lo, s38
	s_cbranch_execz .LBB161_160
; %bb.151:                              ;   in Loop: Header=BB161_4 Depth=1
	v_ldexp_f64 v[58:59], |v[12:13]|, 0xffffff80
	v_cmp_le_f64_e64 vcc_lo, 0x7b000000, |v[12:13]|
	v_trig_preop_f64 v[60:61], |v[12:13]|, 0
	v_and_b32_e32 v21, 0x7fffffff, v13
	v_trig_preop_f64 v[64:65], |v[12:13]|, 1
	v_trig_preop_f64 v[74:75], |v[12:13]|, 2
	s_delay_alu instid0(VALU_DEP_3) | instskip(NEXT) | instid1(VALU_DEP_1)
	v_dual_cndmask_b32 v59, v21, v59 :: v_dual_cndmask_b32 v58, v12, v58
	v_mul_f64_e32 v[66:67], v[60:61], v[58:59]
	s_delay_alu instid0(VALU_DEP_4) | instskip(NEXT) | instid1(VALU_DEP_4)
	v_mul_f64_e32 v[68:69], v[64:65], v[58:59]
	v_mul_f64_e32 v[80:81], v[74:75], v[58:59]
	s_delay_alu instid0(VALU_DEP_3) | instskip(NEXT) | instid1(VALU_DEP_3)
	v_fma_f64 v[60:61], v[60:61], v[58:59], -v[66:67]
	v_fma_f64 v[64:65], v[64:65], v[58:59], -v[68:69]
	s_delay_alu instid0(VALU_DEP_3) | instskip(NEXT) | instid1(VALU_DEP_3)
	v_fma_f64 v[58:59], v[74:75], v[58:59], -v[80:81]
	v_add_f64_e32 v[70:71], v[68:69], v[60:61]
	s_delay_alu instid0(VALU_DEP_1) | instskip(SKIP_1) | instid1(VALU_DEP_2)
	v_add_f64_e64 v[72:73], v[70:71], -v[68:69]
	v_add_f64_e32 v[78:79], v[66:67], v[70:71]
	v_add_f64_e64 v[76:77], v[70:71], -v[72:73]
	v_add_f64_e64 v[60:61], v[60:61], -v[72:73]
	s_delay_alu instid0(VALU_DEP_3) | instskip(NEXT) | instid1(VALU_DEP_3)
	v_ldexp_f64 v[72:73], v[78:79], -2
	v_add_f64_e64 v[68:69], v[68:69], -v[76:77]
	v_add_f64_e32 v[76:77], v[80:81], v[64:65]
	s_delay_alu instid0(VALU_DEP_3) | instskip(NEXT) | instid1(VALU_DEP_3)
	v_cmp_neq_f64_e64 vcc_lo, 0x7ff00000, |v[72:73]|
	v_add_f64_e32 v[60:61], v[60:61], v[68:69]
	v_fract_f64_e32 v[68:69], v[72:73]
	s_delay_alu instid0(VALU_DEP_1) | instskip(NEXT) | instid1(VALU_DEP_1)
	v_ldexp_f64 v[68:69], v[68:69], 2
	v_dual_add_f64 v[66:67], v[78:79], -v[66:67] :: v_dual_cndmask_b32 v69, 0, v69, vcc_lo
	s_delay_alu instid0(VALU_DEP_1) | instskip(SKIP_1) | instid1(VALU_DEP_1)
	v_dual_add_f64 v[66:67], v[70:71], -v[66:67] :: v_dual_cndmask_b32 v68, 0, v68, vcc_lo
	v_add_f64_e32 v[70:71], v[76:77], v[60:61]
	v_add_f64_e32 v[72:73], v[66:67], v[70:71]
	v_add_f64_e64 v[82:83], v[70:71], -v[76:77]
	s_delay_alu instid0(VALU_DEP_2) | instskip(NEXT) | instid1(VALU_DEP_2)
	v_add_f64_e32 v[78:79], v[72:73], v[68:69]
	v_add_f64_e64 v[88:89], v[70:71], -v[82:83]
	v_add_f64_e64 v[60:61], v[60:61], -v[82:83]
	;; [unrolled: 1-line block ×3, first 2 shown]
	s_delay_alu instid0(VALU_DEP_4) | instskip(SKIP_1) | instid1(VALU_DEP_3)
	v_cmp_gt_f64_e32 vcc_lo, 0, v[78:79]
	v_add_f64_e64 v[78:79], v[76:77], -v[80:81]
	v_add_f64_e64 v[66:67], v[70:71], -v[66:67]
	v_cndmask_b32_e64 v21, 0, 0x40100000, vcc_lo
	s_delay_alu instid0(VALU_DEP_3) | instskip(SKIP_2) | instid1(VALU_DEP_4)
	v_add_f64_e64 v[86:87], v[76:77], -v[78:79]
	v_add_f64_e64 v[64:65], v[64:65], -v[78:79]
	v_add_f64_e64 v[76:77], v[76:77], -v[88:89]
	v_add_f64_e32 v[68:69], v[68:69], v[20:21]
	s_delay_alu instid0(VALU_DEP_4) | instskip(NEXT) | instid1(VALU_DEP_3)
	v_add_f64_e64 v[78:79], v[80:81], -v[86:87]
	v_add_f64_e32 v[60:61], v[60:61], v[76:77]
	s_delay_alu instid0(VALU_DEP_3) | instskip(NEXT) | instid1(VALU_DEP_3)
	v_add_f64_e32 v[84:85], v[72:73], v[68:69]
	v_add_f64_e32 v[64:65], v[64:65], v[78:79]
	s_delay_alu instid0(VALU_DEP_2) | instskip(NEXT) | instid1(VALU_DEP_2)
	v_cvt_i32_f64_e32 v21, v[84:85]
	v_add_f64_e32 v[60:61], v[64:65], v[60:61]
	s_delay_alu instid0(VALU_DEP_2) | instskip(NEXT) | instid1(VALU_DEP_2)
	v_cvt_f64_i32_e32 v[82:83], v21
	v_add_f64_e32 v[58:59], v[58:59], v[60:61]
	s_delay_alu instid0(VALU_DEP_2) | instskip(NEXT) | instid1(VALU_DEP_2)
	v_add_f64_e64 v[68:69], v[68:69], -v[82:83]
	v_add_f64_e32 v[58:59], v[66:67], v[58:59]
	s_delay_alu instid0(VALU_DEP_2) | instskip(NEXT) | instid1(VALU_DEP_1)
	v_add_f64_e32 v[64:65], v[72:73], v[68:69]
	v_add_f64_e64 v[60:61], v[64:65], -v[68:69]
	v_cmp_le_f64_e32 vcc_lo, 0.5, v[64:65]
	s_delay_alu instid0(VALU_DEP_2) | instskip(SKIP_2) | instid1(VALU_DEP_3)
	v_add_f64_e64 v[60:61], v[72:73], -v[60:61]
	v_add_co_ci_u32_e64 v63, null, 0, v21, vcc_lo
	v_cndmask_b32_e64 v21, 0, 0x3ff00000, vcc_lo
	v_add_f64_e32 v[58:59], v[58:59], v[60:61]
	s_delay_alu instid0(VALU_DEP_2) | instskip(NEXT) | instid1(VALU_DEP_1)
	v_add_f64_e64 v[60:61], v[64:65], -v[20:21]
	v_add_f64_e32 v[64:65], v[60:61], v[58:59]
	s_delay_alu instid0(VALU_DEP_1) | instskip(SKIP_1) | instid1(VALU_DEP_2)
	v_mul_f64_e32 v[66:67], 0x3ff921fb54442d18, v[64:65]
	v_add_f64_e64 v[60:61], v[64:65], -v[60:61]
	v_fma_f64 v[68:69], v[64:65], s[16:17], -v[66:67]
	s_delay_alu instid0(VALU_DEP_2) | instskip(NEXT) | instid1(VALU_DEP_2)
	v_add_f64_e64 v[58:59], v[58:59], -v[60:61]
	v_fmac_f64_e32 v[68:69], 0x3c91a62633145c07, v[64:65]
	s_delay_alu instid0(VALU_DEP_1) | instskip(NEXT) | instid1(VALU_DEP_1)
	v_fmac_f64_e32 v[68:69], 0x3ff921fb54442d18, v[58:59]
	v_add_f64_e32 v[58:59], v[66:67], v[68:69]
	s_delay_alu instid0(VALU_DEP_1) | instskip(NEXT) | instid1(VALU_DEP_1)
	v_add_f64_e64 v[60:61], v[58:59], -v[66:67]
	v_add_f64_e64 v[60:61], v[68:69], -v[60:61]
	s_and_not1_saveexec_b32 s37, s37
	s_cbranch_execnz .LBB161_161
	s_branch .LBB161_162
.LBB161_152:                            ;   in Loop: Header=BB161_4 Depth=1
	s_and_not1_saveexec_b32 s6, s6
	s_cbranch_execz .LBB161_154
.LBB161_153:                            ;   in Loop: Header=BB161_4 Depth=1
	s_delay_alu instid0(VALU_DEP_1) | instskip(SKIP_2) | instid1(VALU_DEP_2)
	v_fma_f64 v[58:59], v[70:71], s[20:21], |v[12:13]|
	v_mul_f64_e32 v[60:61], 0xbc91a62633145c00, v[70:71]
	v_cvt_i32_f64_e32 v74, v[70:71]
	v_add_f64_e32 v[62:63], v[58:59], v[60:61]
	s_delay_alu instid0(VALU_DEP_1) | instskip(SKIP_1) | instid1(VALU_DEP_1)
	v_add_f64_e64 v[64:65], v[58:59], -v[62:63]
	v_fmamk_f64 v[58:59], v[70:71], 0xbc91a62633145c00, v[58:59]
	v_add_f64_e64 v[62:63], v[62:63], -v[58:59]
	s_delay_alu instid0(VALU_DEP_3) | instskip(SKIP_1) | instid1(VALU_DEP_2)
	v_add_f64_e32 v[64:65], v[64:65], v[60:61]
	v_fmamk_f64 v[60:61], v[70:71], 0x3c91a62633145c00, v[60:61]
	v_add_f64_e32 v[62:63], v[62:63], v[64:65]
	s_delay_alu instid0(VALU_DEP_1) | instskip(NEXT) | instid1(VALU_DEP_1)
	v_add_f64_e64 v[60:61], v[62:63], -v[60:61]
	v_fmac_f64_e32 v[60:61], 0xb97b839a252049c0, v[70:71]
	s_delay_alu instid0(VALU_DEP_1) | instskip(NEXT) | instid1(VALU_DEP_1)
	v_add_f64_e32 v[66:67], v[58:59], v[60:61]
	v_add_f64_e64 v[58:59], v[66:67], -v[58:59]
	s_delay_alu instid0(VALU_DEP_1)
	v_add_f64_e64 v[68:69], v[60:61], -v[58:59]
.LBB161_154:                            ;   in Loop: Header=BB161_4 Depth=1
	s_or_b32 exec_lo, exec_lo, s6
	v_dual_mul_f64 v[58:59], v[54:55], v[54:55] :: v_dual_bitop2_b32 v21, 1, v72 bitop3:0x40
	v_mul_f64_e32 v[60:61], v[66:67], v[66:67]
	v_cmp_class_f64_e64 s6, v[12:13], 0x1f8
	s_delay_alu instid0(VALU_DEP_4) | instskip(NEXT) | instid1(VALU_DEP_4)
	v_dual_mul_f64 v[86:87], 0.5, v[68:69] :: v_dual_bitop2_b32 v12, 1, v74 bitop3:0x40
	v_cmp_eq_u32_e32 vcc_lo, 0, v21
	v_mul_f64_e32 v[78:79], 0.5, v[56:57]
	s_delay_alu instid0(VALU_DEP_3)
	v_cmp_eq_u32_e64 s7, 0, v12
	v_lshlrev_b32_e32 v12, 30, v74
	v_mul_f64_e32 v[62:63], 0.5, v[58:59]
	v_mul_f64_e64 v[80:81], v[54:55], -v[58:59]
	v_fmamk_f64 v[84:85], v[58:59], 0x3de5e0b2f9a43bb8, v[44:45]
	v_fmamk_f64 v[90:91], v[60:61], 0x3de5e0b2f9a43bb8, v[44:45]
	s_delay_alu instid0(VALU_DEP_2) | instskip(NEXT) | instid1(VALU_DEP_2)
	v_fmaak_f64 v[84:85], v[58:59], v[84:85], 0x3ec71de3796cde01
	v_fmaak_f64 v[90:91], v[60:61], v[90:91], 0x3ec71de3796cde01
	s_delay_alu instid0(VALU_DEP_2) | instskip(NEXT) | instid1(VALU_DEP_1)
	v_fmaak_f64 v[84:85], v[58:59], v[84:85], 0xbf2a01a019e83e5c
	v_fmaak_f64 v[84:85], v[58:59], v[84:85], 0x3f81111111110bb3
	v_add_f64_e64 v[70:71], -v[62:63], 1.0
	s_delay_alu instid0(VALU_DEP_2) | instskip(SKIP_1) | instid1(VALU_DEP_3)
	v_fmac_f64_e32 v[78:79], v[80:81], v[84:85]
	v_mul_f64_e32 v[84:85], v[58:59], v[58:59]
	v_add_f64_e64 v[82:83], -v[70:71], 1.0
	s_delay_alu instid0(VALU_DEP_3) | instskip(NEXT) | instid1(VALU_DEP_2)
	v_fma_f64 v[78:79], v[58:59], v[78:79], -v[56:57]
	v_add_f64_e64 v[62:63], v[82:83], -v[62:63]
	s_delay_alu instid0(VALU_DEP_2) | instskip(SKIP_1) | instid1(VALU_DEP_1)
	v_fmac_f64_e32 v[78:79], 0xbfc5555555555555, v[80:81]
	v_fmaak_f64 v[82:83], v[60:61], v[90:91], 0xbf2a01a019e83e5c
	v_fmaak_f64 v[82:83], v[60:61], v[82:83], 0x3f81111111110bb3
	s_delay_alu instid0(VALU_DEP_4) | instskip(NEXT) | instid1(VALU_DEP_4)
	v_fma_f64 v[56:57], v[54:55], -v[56:57], v[62:63]
	v_add_f64_e64 v[54:55], v[54:55], -v[78:79]
	v_mul_f64_e64 v[88:89], v[66:67], -v[60:61]
	s_delay_alu instid0(VALU_DEP_1) | instskip(SKIP_1) | instid1(VALU_DEP_1)
	v_fmac_f64_e32 v[86:87], v[88:89], v[82:83]
	v_fmamk_f64 v[82:83], v[58:59], 0xbda907db46cc5e42, v[42:43]
	v_fmaak_f64 v[62:63], v[58:59], v[82:83], 0xbe927e4fa17f65f6
	s_delay_alu instid0(VALU_DEP_1) | instskip(NEXT) | instid1(VALU_DEP_1)
	v_fmaak_f64 v[62:63], v[58:59], v[62:63], 0x3efa01a019f4ec90
	v_fmaak_f64 v[62:63], v[58:59], v[62:63], 0xbf56c16c16c16967
	s_delay_alu instid0(VALU_DEP_1) | instskip(NEXT) | instid1(VALU_DEP_1)
	v_fmaak_f64 v[58:59], v[58:59], v[62:63], 0x3fa5555555555555
	v_fmac_f64_e32 v[56:57], v[84:85], v[58:59]
	s_delay_alu instid0(VALU_DEP_1) | instskip(NEXT) | instid1(VALU_DEP_1)
	v_add_f64_e32 v[56:57], v[70:71], v[56:57]
	v_dual_cndmask_b32 v21, v56, v54 :: v_dual_lshlrev_b32 v54, 30, v72
	v_mul_f64_e32 v[64:65], 0.5, v[60:61]
	v_fma_f64 v[82:83], v[60:61], v[86:87], -v[68:69]
	v_fmamk_f64 v[86:87], v[60:61], 0xbda907db46cc5e42, v[42:43]
	v_mul_f64_e32 v[90:91], v[60:61], v[60:61]
	v_dual_cndmask_b32 v54, v57, v55, vcc_lo :: v_dual_bitop2_b32 v13, v54, v13 bitop3:0x14
	s_delay_alu instid0(VALU_DEP_3) | instskip(NEXT) | instid1(VALU_DEP_2)
	v_fmaak_f64 v[62:63], v[60:61], v[86:87], 0xbe927e4fa17f65f6
	v_bitop3_b32 v13, v54, v13, 0x80000000 bitop3:0x78
	s_delay_alu instid0(VALU_DEP_1) | instskip(NEXT) | instid1(VALU_DEP_3)
	v_cndmask_b32_e64 v13, 0x7ff80000, v13, s6
	v_fmaak_f64 v[58:59], v[60:61], v[62:63], 0x3efa01a019f4ec90
	s_delay_alu instid0(VALU_DEP_1) | instskip(NEXT) | instid1(VALU_DEP_1)
	v_fmaak_f64 v[58:59], v[60:61], v[58:59], 0xbf56c16c16c16967
	v_fmaak_f64 v[58:59], v[60:61], v[58:59], 0x3fa5555555555555
	v_add_f64_e64 v[76:77], -v[64:65], 1.0
	v_fmac_f64_e32 v[82:83], 0xbfc5555555555555, v[88:89]
	s_delay_alu instid0(VALU_DEP_2) | instskip(NEXT) | instid1(VALU_DEP_1)
	v_add_f64_e64 v[92:93], -v[76:77], 1.0
	v_add_f64_e64 v[64:65], v[92:93], -v[64:65]
	s_delay_alu instid0(VALU_DEP_1) | instskip(NEXT) | instid1(VALU_DEP_1)
	v_fma_f64 v[64:65], v[66:67], -v[68:69], v[64:65]
	v_fmac_f64_e32 v[64:65], v[90:91], v[58:59]
	v_add_f64_e64 v[58:59], v[66:67], -v[82:83]
	s_delay_alu instid0(VALU_DEP_2) | instskip(NEXT) | instid1(VALU_DEP_2)
	v_add_f64_e32 v[60:61], v[76:77], v[64:65]
	v_xor_b32_e32 v56, 0x80000000, v59
	s_delay_alu instid0(VALU_DEP_1) | instskip(NEXT) | instid1(VALU_DEP_1)
	v_dual_cndmask_b32 v56, v56, v61, s7 :: v_dual_cndmask_b32 v55, v58, v60, s7
	v_bitop3_b32 v56, v56, v12, 0x80000000 bitop3:0x78
	s_delay_alu instid0(VALU_DEP_2) | instskip(NEXT) | instid1(VALU_DEP_2)
	v_dual_cndmask_b32 v12, 0, v21, s6 :: v_dual_cndmask_b32 v54, 0, v55, s6
	v_cndmask_b32_e64 v55, 0x7ff80000, v56, s6
	s_delay_alu instid0(VALU_DEP_1)
	v_mul_f64_e32 v[12:13], v[12:13], v[54:55]
.LBB161_155:                            ;   in Loop: Header=BB161_4 Depth=1
	s_or_b32 exec_lo, exec_lo, s38
	s_delay_alu instid0(VALU_DEP_1) | instskip(SKIP_1) | instid1(VALU_DEP_2)
	v_bfi_b32 v21, 0x7fffffff, 0, v13
	v_add_nc_u32_e32 v11, -2.0, v11
	v_mov_b64_e32 v[12:13], v[20:21]
.LBB161_156:                            ;   in Loop: Header=BB161_4 Depth=1
	s_or_b32 exec_lo, exec_lo, s37
	s_delay_alu instid0(SALU_CYCLE_1) | instskip(SKIP_1) | instid1(SALU_CYCLE_1)
	s_or_b32 exec_lo, exec_lo, s36
	s_and_saveexec_b32 s6, s2
	s_xor_b32 s2, exec_lo, s6
	s_cbranch_execnz .LBB161_168
.LBB161_157:                            ;   in Loop: Header=BB161_4 Depth=1
	s_or_b32 exec_lo, exec_lo, s2
	s_and_saveexec_b32 s2, s3
	s_cbranch_execz .LBB161_169
.LBB161_158:                            ;   in Loop: Header=BB161_4 Depth=1
	global_store_b128 v[48:49], v[2:5], off
	s_wait_xcnt 0x0
	s_or_b32 exec_lo, exec_lo, s2
	s_and_saveexec_b32 s2, s4
	s_cbranch_execnz .LBB161_170
.LBB161_159:                            ;   in Loop: Header=BB161_4 Depth=1
	s_or_b32 exec_lo, exec_lo, s2
	s_and_saveexec_b32 s2, s5
	s_cbranch_execz .LBB161_3
	s_branch .LBB161_171
.LBB161_160:                            ;   in Loop: Header=BB161_4 Depth=1
	s_and_not1_saveexec_b32 s37, s37
	s_cbranch_execz .LBB161_162
.LBB161_161:                            ;   in Loop: Header=BB161_4 Depth=1
	v_mul_f64_e64 v[58:59], |v[12:13]|, s[18:19]
	s_delay_alu instid0(VALU_DEP_1) | instskip(NEXT) | instid1(VALU_DEP_1)
	v_rndne_f64_e32 v[64:65], v[58:59]
	v_fma_f64 v[58:59], v[64:65], s[20:21], |v[12:13]|
	v_mul_f64_e32 v[60:61], 0xbc91a62633145c00, v[64:65]
	v_cvt_i32_f64_e32 v63, v[64:65]
	s_delay_alu instid0(VALU_DEP_3) | instskip(NEXT) | instid1(VALU_DEP_3)
	v_fmamk_f64 v[70:71], v[64:65], 0xbc91a62633145c00, v[58:59]
	v_add_f64_e32 v[66:67], v[58:59], v[60:61]
	s_delay_alu instid0(VALU_DEP_1) | instskip(NEXT) | instid1(VALU_DEP_3)
	v_add_f64_e64 v[68:69], v[58:59], -v[66:67]
	v_add_f64_e64 v[58:59], v[66:67], -v[70:71]
	s_delay_alu instid0(VALU_DEP_2) | instskip(SKIP_1) | instid1(VALU_DEP_2)
	v_add_f64_e32 v[66:67], v[68:69], v[60:61]
	v_fmamk_f64 v[60:61], v[64:65], 0x3c91a62633145c00, v[60:61]
	v_add_f64_e32 v[58:59], v[58:59], v[66:67]
	s_delay_alu instid0(VALU_DEP_1) | instskip(NEXT) | instid1(VALU_DEP_1)
	v_add_f64_e64 v[60:61], v[58:59], -v[60:61]
	v_fmac_f64_e32 v[60:61], 0xb97b839a252049c0, v[64:65]
	s_delay_alu instid0(VALU_DEP_1) | instskip(NEXT) | instid1(VALU_DEP_1)
	v_add_f64_e32 v[58:59], v[70:71], v[60:61]
	v_add_f64_e64 v[66:67], v[58:59], -v[70:71]
	s_delay_alu instid0(VALU_DEP_1)
	v_add_f64_e64 v[60:61], v[60:61], -v[66:67]
.LBB161_162:                            ;   in Loop: Header=BB161_4 Depth=1
	s_or_b32 exec_lo, exec_lo, s37
	s_delay_alu instid0(VALU_DEP_1)
	v_dual_mul_f64 v[76:77], 0.5, v[56:57] :: v_dual_lshlrev_b32 v21, 30, v62
	v_mul_f64_e32 v[64:65], v[54:55], v[54:55]
	v_mul_f64_e32 v[66:67], v[58:59], v[58:59]
	v_mul_f64_e64 v[70:71], |v[10:11]|, s[30:31]
	v_and_b32_e32 v12, 1, v62
	v_xor_b32_e32 v13, v21, v13
	s_delay_alu instid0(VALU_DEP_2)
	v_cmp_eq_u32_e32 vcc_lo, 0, v12
	v_mul_f64_e32 v[68:69], 0.5, v[64:65]
	v_mul_f64_e64 v[78:79], v[54:55], -v[64:65]
	v_fmamk_f64 v[84:85], v[64:65], 0x3de5e0b2f9a43bb8, v[44:45]
	v_mul_f64_e64 v[90:91], v[58:59], -v[66:67]
	v_fmamk_f64 v[92:93], v[66:67], 0x3de5e0b2f9a43bb8, v[44:45]
	v_rndne_f64_e32 v[70:71], v[70:71]
	s_delay_alu instid0(VALU_DEP_4) | instskip(NEXT) | instid1(VALU_DEP_1)
	v_fmaak_f64 v[84:85], v[64:65], v[84:85], 0x3ec71de3796cde01
	v_fmaak_f64 v[84:85], v[64:65], v[84:85], 0xbf2a01a019e83e5c
	s_delay_alu instid0(VALU_DEP_1) | instskip(SKIP_1) | instid1(VALU_DEP_2)
	v_fmaak_f64 v[84:85], v[64:65], v[84:85], 0x3f81111111110bb3
	v_add_f64_e64 v[74:75], -v[68:69], 1.0
	v_fmac_f64_e32 v[76:77], v[78:79], v[84:85]
	v_fma_f64 v[86:87], v[70:71], s[22:23], -|v[10:11]|
	v_cvt_i32_f64_e32 v21, v[70:71]
	s_delay_alu instid0(VALU_DEP_4) | instskip(NEXT) | instid1(VALU_DEP_4)
	v_add_f64_e64 v[82:83], -v[74:75], 1.0
	v_fma_f64 v[76:77], v[64:65], v[76:77], -v[56:57]
	s_delay_alu instid0(VALU_DEP_4) | instskip(NEXT) | instid1(VALU_DEP_3)
	v_fmac_f64_e32 v[86:87], 0xbc7abc9e3b39803f, v[70:71]
	v_add_f64_e64 v[68:69], v[82:83], -v[68:69]
	v_fmaak_f64 v[82:83], v[66:67], v[92:93], 0x3ec71de3796cde01
	v_fmamk_f64 v[92:93], v[64:65], 0xbda907db46cc5e42, v[42:43]
	v_fmac_f64_e32 v[76:77], 0xbfc5555555555555, v[78:79]
	s_delay_alu instid0(VALU_DEP_3) | instskip(NEXT) | instid1(VALU_DEP_1)
	v_fmaak_f64 v[82:83], v[66:67], v[82:83], 0xbf2a01a019e83e5c
	v_fmaak_f64 v[82:83], v[66:67], v[82:83], 0x3f81111111110bb3
	v_fma_f64 v[56:57], v[54:55], -v[56:57], v[68:69]
	v_fmaak_f64 v[68:69], v[64:65], v[92:93], 0xbe927e4fa17f65f6
	v_mul_f64_e32 v[92:93], v[66:67], v[66:67]
	v_add_f64_e64 v[54:55], v[54:55], -v[76:77]
	v_mul_f64_e32 v[88:89], 0.5, v[60:61]
	s_delay_alu instid0(VALU_DEP_4) | instskip(NEXT) | instid1(VALU_DEP_1)
	v_fmaak_f64 v[68:69], v[64:65], v[68:69], 0x3efa01a019f4ec90
	v_fmaak_f64 v[68:69], v[64:65], v[68:69], 0xbf56c16c16c16967
	s_delay_alu instid0(VALU_DEP_3) | instskip(SKIP_1) | instid1(VALU_DEP_3)
	v_fmac_f64_e32 v[88:89], v[90:91], v[82:83]
	v_mul_f64_e32 v[82:83], v[64:65], v[64:65]
	v_fmaak_f64 v[64:65], v[64:65], v[68:69], 0x3fa5555555555555
	s_delay_alu instid0(VALU_DEP_1) | instskip(NEXT) | instid1(VALU_DEP_1)
	v_fmac_f64_e32 v[56:57], v[82:83], v[64:65]
	v_add_f64_e32 v[56:57], v[74:75], v[56:57]
	s_delay_alu instid0(VALU_DEP_1) | instskip(NEXT) | instid1(VALU_DEP_1)
	v_dual_cndmask_b32 v12, v56, v54, vcc_lo :: v_dual_cndmask_b32 v56, v57, v55, vcc_lo
	v_bitop3_b32 v13, v56, v13, 0x80000000 bitop3:0x78
	s_delay_alu instid0(VALU_DEP_1) | instskip(NEXT) | instid1(VALU_DEP_1)
	v_dual_mul_f64 v[12:13], 4.0, v[12:13] :: v_dual_bitop2_b32 v56, 1, v63 bitop3:0x40
	v_cmp_eq_u32_e32 vcc_lo, 0, v56
	v_mul_f64_e32 v[72:73], 0.5, v[66:67]
	s_delay_alu instid0(VALU_DEP_1) | instskip(NEXT) | instid1(VALU_DEP_1)
	v_add_f64_e64 v[80:81], -v[72:73], 1.0
	v_add_f64_e64 v[84:85], -v[80:81], 1.0
	s_delay_alu instid0(VALU_DEP_1) | instskip(SKIP_1) | instid1(VALU_DEP_1)
	v_add_f64_e64 v[72:73], v[84:85], -v[72:73]
	v_fmamk_f64 v[84:85], v[86:87], 0x3e5ade156a5dcb37, v[28:29]
	v_fmaak_f64 v[84:85], v[86:87], v[84:85], 0x3ec71dee623fde64
	s_delay_alu instid0(VALU_DEP_1) | instskip(NEXT) | instid1(VALU_DEP_1)
	v_fmaak_f64 v[84:85], v[86:87], v[84:85], 0x3efa01997c89e6b0
	v_fmaak_f64 v[68:69], v[86:87], v[84:85], 0x3f2a01a014761f6e
	v_fma_f64 v[84:85], v[66:67], v[88:89], -v[60:61]
	v_fmamk_f64 v[88:89], v[66:67], 0xbda907db46cc5e42, v[42:43]
	s_delay_alu instid0(VALU_DEP_3) | instskip(NEXT) | instid1(VALU_DEP_2)
	v_fmaak_f64 v[64:65], v[86:87], v[68:69], 0x3f56c16c1852b7b0
	v_fmaak_f64 v[68:69], v[66:67], v[88:89], 0xbe927e4fa17f65f6
	v_fma_f64 v[60:61], v[58:59], -v[60:61], v[72:73]
	s_delay_alu instid0(VALU_DEP_3) | instskip(NEXT) | instid1(VALU_DEP_3)
	v_fmaak_f64 v[64:65], v[86:87], v[64:65], 0x3f81111111122322
	v_fmaak_f64 v[68:69], v[66:67], v[68:69], 0x3efa01a019f4ec90
	s_delay_alu instid0(VALU_DEP_2) | instskip(NEXT) | instid1(VALU_DEP_2)
	v_fmaak_f64 v[64:65], v[86:87], v[64:65], 0x3fa55555555502a1
	v_fmaak_f64 v[68:69], v[66:67], v[68:69], 0xbf56c16c16c16967
	s_delay_alu instid0(VALU_DEP_2) | instskip(NEXT) | instid1(VALU_DEP_2)
	v_fmaak_f64 v[64:65], v[86:87], v[64:65], 0x3fc5555555555511
	v_fmaak_f64 v[66:67], v[66:67], v[68:69], 0x3fa5555555555555
	v_fmac_f64_e32 v[84:85], 0xbfc5555555555555, v[90:91]
	s_delay_alu instid0(VALU_DEP_3) | instskip(NEXT) | instid1(VALU_DEP_1)
	v_fmaak_f64 v[64:65], v[86:87], v[64:65], 0x3fe000000000000b
	v_fma_f64 v[64:65], v[86:87], v[64:65], 1.0
	s_delay_alu instid0(VALU_DEP_4) | instskip(NEXT) | instid1(VALU_DEP_4)
	v_fmac_f64_e32 v[60:61], v[92:93], v[66:67]
	v_add_f64_e64 v[58:59], v[58:59], -v[84:85]
	s_delay_alu instid0(VALU_DEP_3) | instskip(NEXT) | instid1(VALU_DEP_3)
	v_fma_f64 v[54:55], v[86:87], v[64:65], 1.0
	v_add_f64_e32 v[60:61], v[80:81], v[60:61]
	s_delay_alu instid0(VALU_DEP_3) | instskip(NEXT) | instid1(VALU_DEP_3)
	v_xor_b32_e32 v57, 0x80000000, v59
	v_ldexp_f64 v[54:55], v[54:55], v21
	s_delay_alu instid0(VALU_DEP_2) | instskip(SKIP_3) | instid1(VALU_DEP_3)
	v_dual_cndmask_b32 v56, v58, v60 :: v_dual_cndmask_b32 v57, v57, v61
	v_lshlrev_b32_e32 v58, 30, v63
	v_cmp_nlt_f64_e64 vcc_lo, 0x4090cc00, |v[10:11]|
	v_bfi_b32 v21, 0x7fffffff, s33, v11
	v_bitop3_b32 v57, v57, v58, 0x80000000 bitop3:0x78
	s_delay_alu instid0(VALU_DEP_2) | instskip(NEXT) | instid1(VALU_DEP_2)
	v_mov_b64_e32 v[10:11], v[20:21]
	v_dual_mul_f64 v[12:13], v[12:13], v[56:57] :: v_dual_cndmask_b32 v55, 0, v55, vcc_lo
	v_cndmask_b32_e32 v54, 0, v54, vcc_lo
	s_delay_alu instid0(VALU_DEP_1) | instskip(NEXT) | instid1(VALU_DEP_1)
	v_mul_f64_e32 v[12:13], v[54:55], v[12:13]
	v_mul_f64_e32 v[12:13], v[54:55], v[12:13]
.LBB161_163:                            ;   in Loop: Header=BB161_4 Depth=1
	s_or_b32 exec_lo, exec_lo, s6
.LBB161_164:                            ;   in Loop: Header=BB161_4 Depth=1
	s_and_not1_saveexec_b32 s6, s36
	s_cbranch_execz .LBB161_166
; %bb.165:                              ;   in Loop: Header=BB161_4 Depth=1
	s_delay_alu instid0(VALU_DEP_1) | instskip(NEXT) | instid1(VALU_DEP_1)
	v_add_f64_e64 v[12:13], v[12:13], -v[12:13]
	v_mov_b64_e32 v[10:11], v[12:13]
.LBB161_166:                            ;   in Loop: Header=BB161_4 Depth=1
	s_or_b32 exec_lo, exec_lo, s6
	s_and_not1_saveexec_b32 s36, s7
	s_cbranch_execnz .LBB161_138
.LBB161_167:                            ;   in Loop: Header=BB161_4 Depth=1
	s_or_b32 exec_lo, exec_lo, s36
	s_and_saveexec_b32 s6, s2
	s_delay_alu instid0(SALU_CYCLE_1)
	s_xor_b32 s2, exec_lo, s6
	s_cbranch_execz .LBB161_157
.LBB161_168:                            ;   in Loop: Header=BB161_4 Depth=1
	global_store_b128 v[46:47], v[6:9], off
	s_wait_xcnt 0x0
	s_or_b32 exec_lo, exec_lo, s2
	s_and_saveexec_b32 s2, s3
	s_cbranch_execnz .LBB161_158
.LBB161_169:                            ;   in Loop: Header=BB161_4 Depth=1
	s_or_b32 exec_lo, exec_lo, s2
	s_and_saveexec_b32 s2, s4
	s_cbranch_execz .LBB161_159
.LBB161_170:                            ;   in Loop: Header=BB161_4 Depth=1
	global_store_b128 v[50:51], v[14:17], off offset:-8
	s_wait_xcnt 0x0
	s_or_b32 exec_lo, exec_lo, s2
	s_and_saveexec_b32 s2, s5
	s_cbranch_execz .LBB161_3
.LBB161_171:                            ;   in Loop: Header=BB161_4 Depth=1
	global_store_b128 v[52:53], v[10:13], off offset:-8
	s_branch .LBB161_3
.LBB161_172:
	s_cbranch_execz .LBB161_174
	s_branch .LBB161_329
.LBB161_173:
.LBB161_174:
	v_min_i64 v[18:19], 0x10000, s[12:13]
	v_dual_mov_b32 v20, 0 :: v_dual_lshlrev_b32 v2, 2, v0
	s_mov_b32 s2, exec_lo
	s_delay_alu instid0(VALU_DEP_1) | instskip(NEXT) | instid1(VALU_DEP_1)
	v_mov_b32_e32 v3, v20
	v_cmpx_lt_i64_e64 v[2:3], v[18:19]
	s_cbranch_execz .LBB161_329
; %bb.175:
	s_load_b32 s12, s[0:1], 0xd3c
	v_dual_mov_b32 v1, v20 :: v_dual_lshlrev_b32 v2, 6, v0
	v_mov_b32_e32 v3, v20
	s_wait_xcnt 0x0
	s_add_nc_u64 s[0:1], s[8:9], s[10:11]
	v_mov_b64_e32 v[22:23], 0xbf078809a9a29f71
	v_mov_b64_e32 v[24:25], 0x3e928af3fca7ab0c
	v_mov_b64_e32 v[26:27], 0x3e21eeb69037ab78
	v_mov_b64_e32 v[28:29], 0xbe5ae600b42fdfa7
	v_add_nc_u64_e32 v[30:31], s[0:1], v[2:3]
	s_mov_b32 s13, 0
	s_mov_b64 s[2:3], 0x3ff921fb54442d18
	s_mov_b64 s[4:5], 0x3fe45f306dc9c883
	;; [unrolled: 1-line block ×6, first 2 shown]
	s_mov_b32 s17, s13
	s_mov_b32 s18, 0x3ff00000
	;; [unrolled: 1-line block ×3, first 2 shown]
	s_wait_kmcnt 0x0
	s_and_b32 s12, s12, 0xffff
                                        ; implicit-def: $vgpr2_vgpr3
                                        ; implicit-def: $vgpr2_vgpr3
	;; [unrolled: 1-line block ×27, first 2 shown]
	s_delay_alu instid0(SALU_CYCLE_1)
	s_lshl_b32 s16, s12, 6
	s_branch .LBB161_180
.LBB161_176:                            ;   in Loop: Header=BB161_180 Depth=1
	s_or_b32 exec_lo, exec_lo, s0
	v_dual_mul_f64 v[36:37], v[32:33], v[32:33] :: v_dual_bitop2_b32 v21, 1, v50 bitop3:0x40
	s_delay_alu instid0(VALU_DEP_2)
	v_mul_f64_e32 v[64:65], 0.5, v[46:47]
	v_cmp_class_f64_e64 s0, v[4:5], 0x1f8
	v_and_b32_e32 v4, 1, v52
	v_mul_f64_e32 v[38:39], v[44:45], v[44:45]
	v_cmp_eq_u32_e32 vcc_lo, 0, v21
	v_mul_f64_e32 v[56:57], 0.5, v[34:35]
	s_delay_alu instid0(VALU_DEP_4)
	v_cmp_eq_u32_e64 s1, 0, v4
	v_lshlrev_b32_e32 v4, 30, v52
	v_mul_f64_e32 v[40:41], 0.5, v[36:37]
	v_mul_f64_e64 v[58:59], v[32:33], -v[36:37]
	v_fmamk_f64 v[62:63], v[36:37], 0x3de5e0b2f9a43bb8, v[28:29]
	v_fmamk_f64 v[68:69], v[38:39], 0x3de5e0b2f9a43bb8, v[28:29]
	s_delay_alu instid0(VALU_DEP_2) | instskip(NEXT) | instid1(VALU_DEP_2)
	v_fmaak_f64 v[62:63], v[36:37], v[62:63], 0x3ec71de3796cde01
	v_fmaak_f64 v[68:69], v[38:39], v[68:69], 0x3ec71de3796cde01
	s_delay_alu instid0(VALU_DEP_2) | instskip(NEXT) | instid1(VALU_DEP_1)
	v_fmaak_f64 v[62:63], v[36:37], v[62:63], 0xbf2a01a019e83e5c
	v_fmaak_f64 v[62:63], v[36:37], v[62:63], 0x3f81111111110bb3
	v_add_f64_e64 v[48:49], -v[40:41], 1.0
	s_delay_alu instid0(VALU_DEP_2) | instskip(SKIP_1) | instid1(VALU_DEP_3)
	v_fmac_f64_e32 v[56:57], v[58:59], v[62:63]
	v_mul_f64_e32 v[62:63], v[36:37], v[36:37]
	v_add_f64_e64 v[60:61], -v[48:49], 1.0
	s_delay_alu instid0(VALU_DEP_3) | instskip(NEXT) | instid1(VALU_DEP_2)
	v_fma_f64 v[56:57], v[36:37], v[56:57], -v[34:35]
	v_add_f64_e64 v[40:41], v[60:61], -v[40:41]
	s_delay_alu instid0(VALU_DEP_2) | instskip(SKIP_1) | instid1(VALU_DEP_1)
	v_fmac_f64_e32 v[56:57], 0xbfc5555555555555, v[58:59]
	v_fmaak_f64 v[60:61], v[38:39], v[68:69], 0xbf2a01a019e83e5c
	v_fmaak_f64 v[60:61], v[38:39], v[60:61], 0x3f81111111110bb3
	s_delay_alu instid0(VALU_DEP_4) | instskip(NEXT) | instid1(VALU_DEP_4)
	v_fma_f64 v[34:35], v[32:33], -v[34:35], v[40:41]
	v_add_f64_e64 v[32:33], v[32:33], -v[56:57]
	v_mul_f64_e64 v[66:67], v[44:45], -v[38:39]
	s_delay_alu instid0(VALU_DEP_1) | instskip(SKIP_1) | instid1(VALU_DEP_1)
	v_fmac_f64_e32 v[64:65], v[66:67], v[60:61]
	v_fmamk_f64 v[60:61], v[36:37], 0xbda907db46cc5e42, v[26:27]
	v_fmaak_f64 v[40:41], v[36:37], v[60:61], 0xbe927e4fa17f65f6
	s_delay_alu instid0(VALU_DEP_1) | instskip(NEXT) | instid1(VALU_DEP_1)
	v_fmaak_f64 v[40:41], v[36:37], v[40:41], 0x3efa01a019f4ec90
	v_fmaak_f64 v[40:41], v[36:37], v[40:41], 0xbf56c16c16c16967
	s_delay_alu instid0(VALU_DEP_1) | instskip(NEXT) | instid1(VALU_DEP_1)
	v_fmaak_f64 v[36:37], v[36:37], v[40:41], 0x3fa5555555555555
	v_fmac_f64_e32 v[34:35], v[62:63], v[36:37]
	s_delay_alu instid0(VALU_DEP_1) | instskip(NEXT) | instid1(VALU_DEP_1)
	v_add_f64_e32 v[34:35], v[48:49], v[34:35]
	v_dual_cndmask_b32 v21, v34, v32 :: v_dual_lshlrev_b32 v32, 30, v50
	v_mul_f64_e32 v[42:43], 0.5, v[38:39]
	v_fma_f64 v[60:61], v[38:39], v[64:65], -v[46:47]
	v_fmamk_f64 v[64:65], v[38:39], 0xbda907db46cc5e42, v[26:27]
	s_delay_alu instid0(VALU_DEP_4) | instskip(SKIP_1) | instid1(VALU_DEP_3)
	v_dual_mul_f64 v[68:69], v[38:39], v[38:39] :: v_dual_bitop2_b32 v5, v32, v5 bitop3:0x14
	v_cndmask_b32_e32 v32, v35, v33, vcc_lo
	v_fmaak_f64 v[40:41], v[38:39], v[64:65], 0xbe927e4fa17f65f6
	s_delay_alu instid0(VALU_DEP_2) | instskip(NEXT) | instid1(VALU_DEP_1)
	v_bitop3_b32 v5, v32, v5, 0x80000000 bitop3:0x78
	v_cndmask_b32_e64 v5, 0x7ff80000, v5, s0
	s_delay_alu instid0(VALU_DEP_3) | instskip(NEXT) | instid1(VALU_DEP_1)
	v_fmaak_f64 v[36:37], v[38:39], v[40:41], 0x3efa01a019f4ec90
	v_fmaak_f64 v[36:37], v[38:39], v[36:37], 0xbf56c16c16c16967
	s_delay_alu instid0(VALU_DEP_1) | instskip(SKIP_2) | instid1(VALU_DEP_2)
	v_fmaak_f64 v[36:37], v[38:39], v[36:37], 0x3fa5555555555555
	v_add_f64_e64 v[54:55], -v[42:43], 1.0
	v_fmac_f64_e32 v[60:61], 0xbfc5555555555555, v[66:67]
	v_add_f64_e64 v[70:71], -v[54:55], 1.0
	s_delay_alu instid0(VALU_DEP_1) | instskip(NEXT) | instid1(VALU_DEP_1)
	v_add_f64_e64 v[42:43], v[70:71], -v[42:43]
	v_fma_f64 v[42:43], v[44:45], -v[46:47], v[42:43]
	s_delay_alu instid0(VALU_DEP_1) | instskip(SKIP_1) | instid1(VALU_DEP_2)
	v_fmac_f64_e32 v[42:43], v[68:69], v[36:37]
	v_add_f64_e64 v[36:37], v[44:45], -v[60:61]
	v_add_f64_e32 v[38:39], v[54:55], v[42:43]
	s_delay_alu instid0(VALU_DEP_2) | instskip(NEXT) | instid1(VALU_DEP_1)
	v_xor_b32_e32 v34, 0x80000000, v37
	v_dual_cndmask_b32 v34, v34, v39, s1 :: v_dual_cndmask_b32 v33, v36, v38, s1
	s_delay_alu instid0(VALU_DEP_1) | instskip(SKIP_1) | instid1(VALU_DEP_3)
	v_bitop3_b32 v34, v34, v4, 0x80000000 bitop3:0x78
	v_cndmask_b32_e64 v4, 0, v21, s0
	v_cndmask_b32_e64 v32, 0, v33, s0
	s_delay_alu instid0(VALU_DEP_3) | instskip(NEXT) | instid1(VALU_DEP_1)
	v_cndmask_b32_e64 v33, 0x7ff80000, v34, s0
	v_mul_f64_e32 v[4:5], v[4:5], v[32:33]
.LBB161_177:                            ;   in Loop: Header=BB161_180 Depth=1
	s_or_b32 exec_lo, exec_lo, s22
	s_delay_alu instid0(VALU_DEP_1) | instskip(SKIP_1) | instid1(VALU_DEP_2)
	v_bfi_b32 v21, 0x7fffffff, 0, v5
	v_add_nc_u32_e32 v3, -2.0, v3
	v_mov_b64_e32 v[4:5], v[20:21]
.LBB161_178:                            ;   in Loop: Header=BB161_180 Depth=1
	s_or_b32 exec_lo, exec_lo, s21
.LBB161_179:                            ;   in Loop: Header=BB161_180 Depth=1
	s_delay_alu instid0(SALU_CYCLE_1)
	s_or_b32 exec_lo, exec_lo, s20
	v_add_nc_u64_e32 v[0:1], s[12:13], v[0:1]
	s_clause 0x3
	global_store_b128 v[30:31], v[14:17], off
	global_store_b128 v[30:31], v[10:13], off offset:16
	global_store_b128 v[30:31], v[6:9], off offset:32
	;; [unrolled: 1-line block ×3, first 2 shown]
	s_wait_xcnt 0x0
	v_add_nc_u64_e32 v[30:31], s[16:17], v[30:31]
	v_lshlrev_b64_e32 v[32:33], 2, v[0:1]
	s_delay_alu instid0(VALU_DEP_1) | instskip(SKIP_1) | instid1(SALU_CYCLE_1)
	v_cmp_ge_i64_e32 vcc_lo, v[32:33], v[18:19]
	s_or_b32 s19, vcc_lo, s19
	s_and_not1_b32 exec_lo, exec_lo, s19
	s_cbranch_execz .LBB161_329
.LBB161_180:                            ; =>This Inner Loop Header: Depth=1
	s_clause 0x3
	global_load_b128 v[14:17], v[30:31], off
	global_load_b128 v[10:13], v[30:31], off offset:16
	global_load_b128 v[2:5], v[30:31], off offset:48
	;; [unrolled: 1-line block ×3, first 2 shown]
	s_mov_b32 s0, exec_lo
	s_wait_loadcnt 0x3
	v_and_b32_e32 v21, 0x7fffffff, v15
	s_wait_xcnt 0x0
	s_delay_alu instid0(VALU_DEP_1)
	v_cmpx_gt_u32_e32 0x7ff00000, v21
	s_xor_b32 s1, exec_lo, s0
	s_cbranch_execz .LBB161_202
; %bb.181:                              ;   in Loop: Header=BB161_180 Depth=1
	v_cmp_class_f64_e64 s0, v[16:17], 0x1f8
	s_and_saveexec_b32 s20, s0
	s_delay_alu instid0(SALU_CYCLE_1)
	s_xor_b32 s20, exec_lo, s20
	s_cbranch_execz .LBB161_199
; %bb.182:                              ;   in Loop: Header=BB161_180 Depth=1
	s_mov_b32 s0, exec_lo
	v_cmpx_gt_u32_e32 0x40360000, v21
	s_xor_b32 s21, exec_lo, s0
	s_cbranch_execz .LBB161_188
; %bb.183:                              ;   in Loop: Header=BB161_180 Depth=1
	v_cmp_ngt_f64_e64 s0, 0x41d00000, |v[16:17]|
                                        ; implicit-def: $vgpr36
                                        ; implicit-def: $vgpr32_vgpr33
                                        ; implicit-def: $vgpr34_vgpr35
	s_and_saveexec_b32 s22, s0
	s_delay_alu instid0(SALU_CYCLE_1)
	s_xor_b32 s0, exec_lo, s22
	s_cbranch_execz .LBB161_185
; %bb.184:                              ;   in Loop: Header=BB161_180 Depth=1
	v_ldexp_f64 v[32:33], |v[16:17]|, 0xffffff80
	v_cmp_le_f64_e64 vcc_lo, 0x7b000000, |v[16:17]|
	v_trig_preop_f64 v[34:35], |v[16:17]|, 0
	v_and_b32_e32 v21, 0x7fffffff, v17
	v_trig_preop_f64 v[36:37], |v[16:17]|, 1
	v_trig_preop_f64 v[46:47], |v[16:17]|, 2
	s_delay_alu instid0(VALU_DEP_3) | instskip(NEXT) | instid1(VALU_DEP_1)
	v_dual_cndmask_b32 v33, v21, v33 :: v_dual_cndmask_b32 v32, v16, v32
	v_mul_f64_e32 v[38:39], v[34:35], v[32:33]
	s_delay_alu instid0(VALU_DEP_4) | instskip(NEXT) | instid1(VALU_DEP_4)
	v_mul_f64_e32 v[40:41], v[36:37], v[32:33]
	v_mul_f64_e32 v[52:53], v[46:47], v[32:33]
	s_delay_alu instid0(VALU_DEP_3) | instskip(NEXT) | instid1(VALU_DEP_3)
	v_fma_f64 v[34:35], v[34:35], v[32:33], -v[38:39]
	v_fma_f64 v[36:37], v[36:37], v[32:33], -v[40:41]
	s_delay_alu instid0(VALU_DEP_3) | instskip(NEXT) | instid1(VALU_DEP_3)
	v_fma_f64 v[32:33], v[46:47], v[32:33], -v[52:53]
	v_add_f64_e32 v[42:43], v[40:41], v[34:35]
	s_delay_alu instid0(VALU_DEP_1) | instskip(SKIP_1) | instid1(VALU_DEP_2)
	v_add_f64_e64 v[44:45], v[42:43], -v[40:41]
	v_add_f64_e32 v[50:51], v[38:39], v[42:43]
	v_add_f64_e64 v[48:49], v[42:43], -v[44:45]
	v_add_f64_e64 v[34:35], v[34:35], -v[44:45]
	s_delay_alu instid0(VALU_DEP_3) | instskip(NEXT) | instid1(VALU_DEP_3)
	v_ldexp_f64 v[44:45], v[50:51], -2
	v_add_f64_e64 v[40:41], v[40:41], -v[48:49]
	v_add_f64_e32 v[48:49], v[52:53], v[36:37]
	s_delay_alu instid0(VALU_DEP_3) | instskip(NEXT) | instid1(VALU_DEP_3)
	v_cmp_neq_f64_e64 vcc_lo, 0x7ff00000, |v[44:45]|
	v_add_f64_e32 v[34:35], v[34:35], v[40:41]
	v_fract_f64_e32 v[40:41], v[44:45]
	s_delay_alu instid0(VALU_DEP_1) | instskip(NEXT) | instid1(VALU_DEP_1)
	v_ldexp_f64 v[40:41], v[40:41], 2
	v_dual_add_f64 v[38:39], v[50:51], -v[38:39] :: v_dual_cndmask_b32 v40, 0, v40, vcc_lo
	s_delay_alu instid0(VALU_DEP_1) | instskip(SKIP_1) | instid1(VALU_DEP_1)
	v_dual_add_f64 v[38:39], v[42:43], -v[38:39] :: v_dual_cndmask_b32 v41, 0, v41, vcc_lo
	v_add_f64_e32 v[42:43], v[48:49], v[34:35]
	v_add_f64_e32 v[44:45], v[38:39], v[42:43]
	v_add_f64_e64 v[54:55], v[42:43], -v[48:49]
	s_delay_alu instid0(VALU_DEP_2) | instskip(NEXT) | instid1(VALU_DEP_2)
	v_add_f64_e32 v[50:51], v[44:45], v[40:41]
	v_add_f64_e64 v[60:61], v[42:43], -v[54:55]
	v_add_f64_e64 v[34:35], v[34:35], -v[54:55]
	;; [unrolled: 1-line block ×3, first 2 shown]
	s_delay_alu instid0(VALU_DEP_4) | instskip(SKIP_2) | instid1(VALU_DEP_2)
	v_cmp_gt_f64_e32 vcc_lo, 0, v[50:51]
	v_add_f64_e64 v[50:51], v[48:49], -v[52:53]
	v_cndmask_b32_e64 v21, 0, 0x40100000, vcc_lo
	v_add_f64_e64 v[58:59], v[48:49], -v[50:51]
	v_add_f64_e64 v[36:37], v[36:37], -v[50:51]
	;; [unrolled: 1-line block ×3, first 2 shown]
	s_delay_alu instid0(VALU_DEP_4) | instskip(NEXT) | instid1(VALU_DEP_4)
	v_add_f64_e32 v[40:41], v[40:41], v[20:21]
	v_add_f64_e64 v[50:51], v[52:53], -v[58:59]
	s_delay_alu instid0(VALU_DEP_3) | instskip(NEXT) | instid1(VALU_DEP_3)
	v_add_f64_e32 v[34:35], v[34:35], v[48:49]
	v_add_f64_e32 v[56:57], v[44:45], v[40:41]
	s_delay_alu instid0(VALU_DEP_3) | instskip(NEXT) | instid1(VALU_DEP_2)
	v_add_f64_e32 v[36:37], v[36:37], v[50:51]
	v_cvt_i32_f64_e32 v21, v[56:57]
	s_delay_alu instid0(VALU_DEP_2) | instskip(SKIP_1) | instid1(VALU_DEP_3)
	v_add_f64_e32 v[34:35], v[36:37], v[34:35]
	v_add_f64_e64 v[36:37], v[42:43], -v[38:39]
	v_cvt_f64_i32_e32 v[54:55], v21
	s_delay_alu instid0(VALU_DEP_3) | instskip(NEXT) | instid1(VALU_DEP_2)
	v_add_f64_e32 v[32:33], v[32:33], v[34:35]
	v_add_f64_e64 v[40:41], v[40:41], -v[54:55]
	s_delay_alu instid0(VALU_DEP_2) | instskip(NEXT) | instid1(VALU_DEP_2)
	v_add_f64_e32 v[32:33], v[36:37], v[32:33]
	v_add_f64_e32 v[46:47], v[44:45], v[40:41]
	s_delay_alu instid0(VALU_DEP_1) | instskip(SKIP_1) | instid1(VALU_DEP_2)
	v_add_f64_e64 v[34:35], v[46:47], -v[40:41]
	v_cmp_le_f64_e32 vcc_lo, 0.5, v[46:47]
	v_add_f64_e64 v[34:35], v[44:45], -v[34:35]
	v_add_co_ci_u32_e64 v36, null, 0, v21, vcc_lo
	v_cndmask_b32_e64 v21, 0, 0x3ff00000, vcc_lo
	s_delay_alu instid0(VALU_DEP_3) | instskip(NEXT) | instid1(VALU_DEP_2)
	v_add_f64_e32 v[32:33], v[32:33], v[34:35]
	v_add_f64_e64 v[34:35], v[46:47], -v[20:21]
	s_delay_alu instid0(VALU_DEP_1) | instskip(NEXT) | instid1(VALU_DEP_1)
	v_add_f64_e32 v[38:39], v[34:35], v[32:33]
	v_mul_f64_e32 v[40:41], 0x3ff921fb54442d18, v[38:39]
	v_add_f64_e64 v[34:35], v[38:39], -v[34:35]
	s_delay_alu instid0(VALU_DEP_2) | instskip(NEXT) | instid1(VALU_DEP_2)
	v_fma_f64 v[42:43], v[38:39], s[2:3], -v[40:41]
	v_add_f64_e64 v[32:33], v[32:33], -v[34:35]
	s_delay_alu instid0(VALU_DEP_2) | instskip(NEXT) | instid1(VALU_DEP_1)
	v_fmac_f64_e32 v[42:43], 0x3c91a62633145c07, v[38:39]
	v_fmac_f64_e32 v[42:43], 0x3ff921fb54442d18, v[32:33]
	s_delay_alu instid0(VALU_DEP_1) | instskip(NEXT) | instid1(VALU_DEP_1)
	v_add_f64_e32 v[32:33], v[40:41], v[42:43]
	v_add_f64_e64 v[34:35], v[32:33], -v[40:41]
	s_delay_alu instid0(VALU_DEP_1)
	v_add_f64_e64 v[34:35], v[42:43], -v[34:35]
.LBB161_185:                            ;   in Loop: Header=BB161_180 Depth=1
	s_and_not1_saveexec_b32 s0, s0
	s_cbranch_execz .LBB161_187
; %bb.186:                              ;   in Loop: Header=BB161_180 Depth=1
	v_mul_f64_e64 v[32:33], |v[16:17]|, s[4:5]
	s_delay_alu instid0(VALU_DEP_1) | instskip(NEXT) | instid1(VALU_DEP_1)
	v_rndne_f64_e32 v[36:37], v[32:33]
	v_fma_f64 v[32:33], v[36:37], s[6:7], |v[16:17]|
	v_mul_f64_e32 v[34:35], 0xbc91a62633145c00, v[36:37]
	s_delay_alu instid0(VALU_DEP_2) | instskip(NEXT) | instid1(VALU_DEP_2)
	v_fmamk_f64 v[42:43], v[36:37], 0xbc91a62633145c00, v[32:33]
	v_add_f64_e32 v[38:39], v[32:33], v[34:35]
	s_delay_alu instid0(VALU_DEP_1) | instskip(NEXT) | instid1(VALU_DEP_3)
	v_add_f64_e64 v[40:41], v[32:33], -v[38:39]
	v_add_f64_e64 v[32:33], v[38:39], -v[42:43]
	s_delay_alu instid0(VALU_DEP_2) | instskip(SKIP_1) | instid1(VALU_DEP_2)
	v_add_f64_e32 v[38:39], v[40:41], v[34:35]
	v_fmamk_f64 v[34:35], v[36:37], 0x3c91a62633145c00, v[34:35]
	v_add_f64_e32 v[32:33], v[32:33], v[38:39]
	s_delay_alu instid0(VALU_DEP_1) | instskip(NEXT) | instid1(VALU_DEP_1)
	v_add_f64_e64 v[34:35], v[32:33], -v[34:35]
	v_fmac_f64_e32 v[34:35], 0xb97b839a252049c0, v[36:37]
	v_cvt_i32_f64_e32 v36, v[36:37]
	s_delay_alu instid0(VALU_DEP_2) | instskip(NEXT) | instid1(VALU_DEP_1)
	v_add_f64_e32 v[32:33], v[42:43], v[34:35]
	v_add_f64_e64 v[38:39], v[32:33], -v[42:43]
	s_delay_alu instid0(VALU_DEP_1)
	v_add_f64_e64 v[34:35], v[34:35], -v[38:39]
.LBB161_187:                            ;   in Loop: Header=BB161_180 Depth=1
	s_or_b32 exec_lo, exec_lo, s0
	v_add_f64_e64 v[38:39], |v[14:15]|, s[8:9]
	v_cmp_nge_f64_e64 vcc_lo, |v[14:15]|, s[10:11]
	v_and_b32_e32 v37, 0x7fffffff, v15
	v_mul_f64_e32 v[56:57], v[32:33], v[32:33]
	v_add_f64_e32 v[58:59], v[34:35], v[34:35]
	v_add_f64_e64 v[40:41], v[38:39], -|v[14:15]|
	s_delay_alu instid0(VALU_DEP_3) | instskip(NEXT) | instid1(VALU_DEP_2)
	v_fma_f64 v[60:61], v[32:33], v[32:33], -v[56:57]
	v_add_f64_e64 v[42:43], v[40:41], -v[38:39]
	v_add_f64_e32 v[40:41], 0x3fe62e42fefa39ef, v[40:41]
	s_delay_alu instid0(VALU_DEP_3) | instskip(NEXT) | instid1(VALU_DEP_3)
	v_fmac_f64_e32 v[60:61], v[32:33], v[58:59]
	v_add_f64_e64 v[42:43], |v[14:15]|, v[42:43]
	s_delay_alu instid0(VALU_DEP_2) | instskip(NEXT) | instid1(VALU_DEP_2)
	v_add_f64_e32 v[56:57], v[56:57], v[60:61]
	v_add_f64_e64 v[40:41], v[42:43], -v[40:41]
	s_delay_alu instid0(VALU_DEP_2) | instskip(NEXT) | instid1(VALU_DEP_1)
	v_fmamk_f64 v[60:61], v[56:57], 0x3ef5e089c751c08c, v[22:23]
	v_fmaak_f64 v[60:61], v[56:57], v[60:61], 0x3f17746f90a8aae0
	s_delay_alu instid0(VALU_DEP_1) | instskip(NEXT) | instid1(VALU_DEP_4)
	v_fmaak_f64 v[60:61], v[56:57], v[60:61], 0xbefbb44da6fbf144
	v_add_f64_e32 v[40:41], 0xbc7abc9e3b39803f, v[40:41]
	s_delay_alu instid0(VALU_DEP_1) | instskip(NEXT) | instid1(VALU_DEP_1)
	v_add_f64_e32 v[42:43], v[38:39], v[40:41]
	v_mul_f64_e32 v[44:45], 0x3ff71547652b82fe, v[42:43]
	v_add_f64_e64 v[38:39], v[38:39], -v[42:43]
	s_delay_alu instid0(VALU_DEP_2) | instskip(NEXT) | instid1(VALU_DEP_2)
	v_rndne_f64_e32 v[44:45], v[44:45]
	v_add_f64_e32 v[38:39], v[40:41], v[38:39]
	s_delay_alu instid0(VALU_DEP_2) | instskip(SKIP_2) | instid1(VALU_DEP_3)
	v_fmac_f64_e32 v[42:43], 0xbfe62e42fefa3000, v[44:45]
	v_mul_f64_e32 v[40:41], 0xbd53de6af278e000, v[44:45]
	v_cvt_i32_f64_e32 v16, v[44:45]
	v_add_f64_e32 v[46:47], v[38:39], v[42:43]
	s_delay_alu instid0(VALU_DEP_1) | instskip(SKIP_1) | instid1(VALU_DEP_2)
	v_add_f64_e32 v[48:49], v[46:47], v[40:41]
	v_add_f64_e64 v[42:43], v[42:43], -v[46:47]
	v_add_f64_e64 v[46:47], v[46:47], -v[48:49]
	s_delay_alu instid0(VALU_DEP_2) | instskip(NEXT) | instid1(VALU_DEP_2)
	v_add_f64_e32 v[38:39], v[38:39], v[42:43]
	v_add_f64_e32 v[40:41], v[46:47], v[40:41]
	s_delay_alu instid0(VALU_DEP_1) | instskip(SKIP_1) | instid1(VALU_DEP_2)
	v_add_f64_e32 v[38:39], v[38:39], v[40:41]
	v_mul_f64_e32 v[40:41], 0xbac9cc01f97b57a0, v[44:45]
	v_add_f64_e32 v[42:43], v[48:49], v[38:39]
	s_delay_alu instid0(VALU_DEP_1) | instskip(SKIP_1) | instid1(VALU_DEP_2)
	v_add_f64_e32 v[46:47], v[42:43], v[40:41]
	v_add_f64_e64 v[48:49], v[48:49], -v[42:43]
	v_add_f64_e64 v[42:43], v[42:43], -v[46:47]
	s_delay_alu instid0(VALU_DEP_2) | instskip(NEXT) | instid1(VALU_DEP_2)
	v_add_f64_e32 v[38:39], v[38:39], v[48:49]
	v_add_f64_e32 v[40:41], v[42:43], v[40:41]
	s_delay_alu instid0(VALU_DEP_1) | instskip(NEXT) | instid1(VALU_DEP_1)
	v_add_f64_e32 v[38:39], v[38:39], v[40:41]
	v_add_f64_e32 v[40:41], v[46:47], v[38:39]
	s_delay_alu instid0(VALU_DEP_1) | instskip(SKIP_1) | instid1(VALU_DEP_2)
	v_add_f64_e64 v[42:43], v[46:47], -v[40:41]
	v_mul_f64_e32 v[46:47], v[40:41], v[40:41]
	v_add_f64_e32 v[38:39], v[38:39], v[42:43]
	s_delay_alu instid0(VALU_DEP_2) | instskip(NEXT) | instid1(VALU_DEP_2)
	v_fma_f64 v[42:43], v[40:41], v[40:41], -v[46:47]
	v_add_f64_e32 v[48:49], v[38:39], v[38:39]
	s_delay_alu instid0(VALU_DEP_1) | instskip(SKIP_1) | instid1(VALU_DEP_1)
	v_fmac_f64_e32 v[42:43], v[40:41], v[48:49]
	v_fmamk_f64 v[48:49], v[40:41], 0x3e5ade156a5dcb37, v[24:25]
	v_fmaak_f64 v[48:49], v[40:41], v[48:49], 0x3ec71dee623fde64
	s_delay_alu instid0(VALU_DEP_1) | instskip(NEXT) | instid1(VALU_DEP_1)
	v_fmaak_f64 v[48:49], v[40:41], v[48:49], 0x3efa01997c89e6b0
	v_fmaak_f64 v[48:49], v[40:41], v[48:49], 0x3f2a01a014761f6e
	s_delay_alu instid0(VALU_DEP_1) | instskip(SKIP_1) | instid1(VALU_DEP_2)
	v_fmaak_f64 v[48:49], v[40:41], v[48:49], 0x3f56c16c1852b7b0
	v_add_f64_e32 v[50:51], v[46:47], v[42:43]
	v_fmaak_f64 v[48:49], v[40:41], v[48:49], 0x3f81111111122322
	s_delay_alu instid0(VALU_DEP_1) | instskip(NEXT) | instid1(VALU_DEP_1)
	v_fmaak_f64 v[48:49], v[40:41], v[48:49], 0x3fa55555555502a1
	v_fmaak_f64 v[48:49], v[40:41], v[48:49], 0x3fc5555555555511
	s_delay_alu instid0(VALU_DEP_1) | instskip(SKIP_1) | instid1(VALU_DEP_2)
	v_fmaak_f64 v[48:49], v[40:41], v[48:49], 0x3fe000000000000b
	v_add_f64_e64 v[46:47], v[50:51], -v[46:47]
	v_mul_f64_e32 v[52:53], v[50:51], v[48:49]
	s_delay_alu instid0(VALU_DEP_2) | instskip(NEXT) | instid1(VALU_DEP_2)
	v_add_f64_e64 v[42:43], v[42:43], -v[46:47]
	v_fma_f64 v[46:47], v[50:51], v[48:49], -v[52:53]
	s_delay_alu instid0(VALU_DEP_1) | instskip(NEXT) | instid1(VALU_DEP_1)
	v_fmac_f64_e32 v[46:47], v[42:43], v[48:49]
	v_add_f64_e32 v[42:43], v[52:53], v[46:47]
	s_delay_alu instid0(VALU_DEP_1) | instskip(SKIP_1) | instid1(VALU_DEP_2)
	v_add_f64_e32 v[48:49], v[40:41], v[42:43]
	v_add_f64_e64 v[50:51], v[42:43], -v[52:53]
	v_add_f64_e64 v[40:41], v[48:49], -v[40:41]
	s_delay_alu instid0(VALU_DEP_2) | instskip(NEXT) | instid1(VALU_DEP_2)
	v_add_f64_e64 v[46:47], v[46:47], -v[50:51]
	v_add_f64_e64 v[40:41], v[42:43], -v[40:41]
	s_delay_alu instid0(VALU_DEP_2) | instskip(NEXT) | instid1(VALU_DEP_1)
	v_add_f64_e32 v[38:39], v[38:39], v[46:47]
	v_add_f64_e32 v[38:39], v[38:39], v[40:41]
	s_delay_alu instid0(VALU_DEP_1) | instskip(NEXT) | instid1(VALU_DEP_1)
	v_add_f64_e32 v[40:41], v[48:49], v[38:39]
	v_add_f64_e32 v[42:43], 1.0, v[40:41]
	v_add_f64_e64 v[46:47], v[40:41], -v[48:49]
	s_delay_alu instid0(VALU_DEP_2) | instskip(NEXT) | instid1(VALU_DEP_2)
	v_add_f64_e32 v[48:49], -1.0, v[42:43]
	v_add_f64_e64 v[38:39], v[38:39], -v[46:47]
	s_delay_alu instid0(VALU_DEP_2) | instskip(NEXT) | instid1(VALU_DEP_1)
	v_add_f64_e64 v[40:41], v[40:41], -v[48:49]
	v_add_f64_e32 v[38:39], v[38:39], v[40:41]
	s_delay_alu instid0(VALU_DEP_1) | instskip(NEXT) | instid1(VALU_DEP_1)
	v_add_f64_e32 v[40:41], v[42:43], v[38:39]
	v_ldexp_f64 v[44:45], v[40:41], v16
	v_add_f64_e64 v[40:41], v[40:41], -v[42:43]
	s_delay_alu instid0(VALU_DEP_2) | instskip(NEXT) | instid1(VALU_DEP_1)
	v_rcp_f64_e32 v[46:47], v[44:45]
	v_add_f64_e64 v[38:39], v[38:39], -v[40:41]
	s_delay_alu instid0(VALU_DEP_1) | instskip(NEXT) | instid1(TRANS32_DEP_1)
	v_ldexp_f64 v[38:39], v[38:39], v16
	v_fma_f64 v[48:49], -v[44:45], v[46:47], 1.0
	s_delay_alu instid0(VALU_DEP_1) | instskip(NEXT) | instid1(VALU_DEP_1)
	v_fmac_f64_e32 v[46:47], v[48:49], v[46:47]
	v_fma_f64 v[48:49], -v[44:45], v[46:47], 1.0
	s_delay_alu instid0(VALU_DEP_1) | instskip(NEXT) | instid1(VALU_DEP_1)
	v_fmac_f64_e32 v[46:47], v[48:49], v[46:47]
	v_mul_f64_e32 v[40:41], v[44:45], v[46:47]
	s_delay_alu instid0(VALU_DEP_1) | instskip(NEXT) | instid1(VALU_DEP_1)
	v_fma_f64 v[42:43], v[46:47], v[44:45], -v[40:41]
	v_fmac_f64_e32 v[42:43], v[46:47], v[38:39]
	s_delay_alu instid0(VALU_DEP_1) | instskip(NEXT) | instid1(VALU_DEP_1)
	v_add_f64_e32 v[48:49], v[40:41], v[42:43]
	v_add_f64_e64 v[50:51], -v[48:49], 1.0
	v_add_f64_e64 v[40:41], v[48:49], -v[40:41]
	s_delay_alu instid0(VALU_DEP_2) | instskip(NEXT) | instid1(VALU_DEP_2)
	v_add_f64_e64 v[52:53], -v[50:51], 1.0
	v_add_f64_e64 v[40:41], v[40:41], -v[42:43]
	s_delay_alu instid0(VALU_DEP_2) | instskip(NEXT) | instid1(VALU_DEP_1)
	v_add_f64_e64 v[42:43], v[52:53], -v[48:49]
	v_add_f64_e32 v[40:41], v[40:41], v[42:43]
	s_delay_alu instid0(VALU_DEP_1) | instskip(NEXT) | instid1(VALU_DEP_1)
	v_add_f64_e32 v[42:43], v[50:51], v[40:41]
	v_mul_f64_e32 v[48:49], v[46:47], v[42:43]
	v_add_f64_e64 v[50:51], v[50:51], -v[42:43]
	s_delay_alu instid0(VALU_DEP_2) | instskip(NEXT) | instid1(VALU_DEP_2)
	v_mul_f64_e32 v[52:53], v[44:45], v[48:49]
	v_add_f64_e32 v[40:41], v[40:41], v[50:51]
	s_delay_alu instid0(VALU_DEP_2) | instskip(NEXT) | instid1(VALU_DEP_1)
	v_fma_f64 v[54:55], v[48:49], v[44:45], -v[52:53]
	v_fmac_f64_e32 v[54:55], v[48:49], v[38:39]
	s_delay_alu instid0(VALU_DEP_1) | instskip(NEXT) | instid1(VALU_DEP_1)
	v_add_f64_e32 v[62:63], v[52:53], v[54:55]
	v_add_f64_e64 v[58:59], v[42:43], -v[62:63]
	v_add_f64_e64 v[50:51], v[62:63], -v[52:53]
	v_fmaak_f64 v[52:53], v[56:57], v[60:61], 0x3f21e634a7943acf
	s_delay_alu instid0(VALU_DEP_1) | instskip(NEXT) | instid1(VALU_DEP_1)
	v_fmaak_f64 v[52:53], v[56:57], v[52:53], 0x3f2d250fdeb68feb
	v_fmaak_f64 v[52:53], v[56:57], v[52:53], 0x3f437fd9b58c4d95
	s_delay_alu instid0(VALU_DEP_1) | instskip(NEXT) | instid1(VALU_DEP_1)
	v_fmaak_f64 v[52:53], v[56:57], v[52:53], 0x3f57d5af15120e2c
	v_fmaak_f64 v[52:53], v[56:57], v[52:53], 0x3f6d6d93e09491df
	v_add_f64_e64 v[42:43], v[42:43], -v[58:59]
	v_add_f64_e64 v[50:51], v[50:51], -v[54:55]
	s_delay_alu instid0(VALU_DEP_2) | instskip(NEXT) | instid1(VALU_DEP_1)
	v_add_f64_e64 v[42:43], v[42:43], -v[62:63]
	v_add_f64_e32 v[40:41], v[40:41], v[42:43]
	v_fmaak_f64 v[42:43], v[56:57], v[52:53], 0x3f8226e12033784d
	v_add_f64_e32 v[52:53], v[46:47], v[48:49]
	s_delay_alu instid0(VALU_DEP_2) | instskip(NEXT) | instid1(VALU_DEP_1)
	v_fmaak_f64 v[42:43], v[56:57], v[42:43], 0x3f9664f49ac36ae2
	v_fmaak_f64 v[42:43], v[56:57], v[42:43], 0x3faba1ba1b451c21
	s_delay_alu instid0(VALU_DEP_1) | instskip(NEXT) | instid1(VALU_DEP_1)
	v_fmaak_f64 v[42:43], v[56:57], v[42:43], 0x3fc11111111185b7
	v_fmaak_f64 v[42:43], v[56:57], v[42:43], 0x3fd55555555554ee
	v_add_f64_e32 v[40:41], v[50:51], v[40:41]
	v_add_f64_e64 v[50:51], v[52:53], -v[46:47]
	s_delay_alu instid0(VALU_DEP_3) | instskip(NEXT) | instid1(VALU_DEP_3)
	v_mul_f64_e32 v[42:43], v[56:57], v[42:43]
	v_add_f64_e32 v[40:41], v[58:59], v[40:41]
	s_delay_alu instid0(VALU_DEP_3) | instskip(NEXT) | instid1(VALU_DEP_3)
	v_add_f64_e64 v[48:49], v[48:49], -v[50:51]
	v_mul_f64_e32 v[54:55], v[32:33], v[42:43]
	s_delay_alu instid0(VALU_DEP_3) | instskip(NEXT) | instid1(VALU_DEP_2)
	v_mul_f64_e32 v[40:41], v[46:47], v[40:41]
	v_add_f64_e32 v[46:47], v[32:33], v[54:55]
	v_fma_f64 v[42:43], v[32:33], v[42:43], -v[54:55]
	s_delay_alu instid0(VALU_DEP_3) | instskip(NEXT) | instid1(VALU_DEP_3)
	v_add_f64_e32 v[40:41], v[48:49], v[40:41]
	v_add_f64_e64 v[32:33], v[46:47], -v[32:33]
	s_delay_alu instid0(VALU_DEP_3) | instskip(NEXT) | instid1(VALU_DEP_3)
	v_add_f64_e32 v[34:35], v[34:35], v[42:43]
	v_add_f64_e32 v[48:49], v[52:53], v[40:41]
	s_delay_alu instid0(VALU_DEP_3) | instskip(NEXT) | instid1(VALU_DEP_2)
	v_add_f64_e64 v[32:33], v[54:55], -v[32:33]
	v_ldexp_f64 v[42:43], v[48:49], -2
	v_add_f64_e64 v[48:49], v[48:49], -v[52:53]
	s_delay_alu instid0(VALU_DEP_3) | instskip(NEXT) | instid1(VALU_DEP_3)
	v_add_f64_e32 v[32:33], v[34:35], v[32:33]
	v_add_f64_e64 v[34:35], v[44:45], -v[42:43]
	s_delay_alu instid0(VALU_DEP_3) | instskip(NEXT) | instid1(VALU_DEP_3)
	v_add_f64_e64 v[40:41], v[40:41], -v[48:49]
	v_add_f64_e32 v[50:51], v[46:47], v[32:33]
	s_delay_alu instid0(VALU_DEP_3) | instskip(NEXT) | instid1(VALU_DEP_3)
	v_add_f64_e64 v[44:45], v[44:45], -v[34:35]
	v_ldexp_f64 v[40:41], v[40:41], -2
	s_delay_alu instid0(VALU_DEP_3) | instskip(NEXT) | instid1(VALU_DEP_2)
	v_rcp_f64_e32 v[52:53], v[50:51]
	v_add_f64_e64 v[42:43], v[44:45], -v[42:43]
	s_delay_alu instid0(TRANS32_DEP_1) | instskip(NEXT) | instid1(VALU_DEP_2)
	v_fma_f64 v[44:45], -v[50:51], v[52:53], 1.0
	v_add_f64_e32 v[38:39], v[38:39], v[42:43]
	s_delay_alu instid0(VALU_DEP_2) | instskip(NEXT) | instid1(VALU_DEP_2)
	v_fmac_f64_e32 v[52:53], v[44:45], v[52:53]
	v_add_f64_e64 v[38:39], v[38:39], -v[40:41]
	s_delay_alu instid0(VALU_DEP_2) | instskip(NEXT) | instid1(VALU_DEP_2)
	v_fma_f64 v[40:41], -v[50:51], v[52:53], 1.0
	v_add_f64_e32 v[34:35], v[34:35], v[38:39]
	s_delay_alu instid0(VALU_DEP_2) | instskip(NEXT) | instid1(VALU_DEP_2)
	v_fmac_f64_e32 v[52:53], v[40:41], v[52:53]
	v_cndmask_b32_e32 v16, 0x7ff00000, v35, vcc_lo
	s_delay_alu instid0(VALU_DEP_3) | instskip(SKIP_3) | instid1(VALU_DEP_3)
	v_cndmask_b32_e32 v21, 0, v34, vcc_lo
	v_cmp_gt_f64_e64 vcc_lo, 0x3e400000, |v[14:15]|
	v_add_f64_e64 v[34:35], v[50:51], -v[46:47]
	v_mul_f64_e32 v[38:39], v[50:51], v[52:53]
	v_dual_cndmask_b32 v16, v16, v37, vcc_lo :: v_dual_cndmask_b32 v14, v21, v14, vcc_lo
	s_delay_alu instid0(VALU_DEP_3) | instskip(NEXT) | instid1(VALU_DEP_2)
	v_add_f64_e64 v[32:33], v[32:33], -v[34:35]
	v_bfi_b32 v15, 0x7fffffff, v16, v15
	s_delay_alu instid0(VALU_DEP_4) | instskip(NEXT) | instid1(VALU_DEP_2)
	v_fma_f64 v[34:35], v[52:53], v[50:51], -v[38:39]
	v_fma_f64 v[40:41], v[14:15], v[14:15], 1.0
	s_delay_alu instid0(VALU_DEP_2) | instskip(NEXT) | instid1(VALU_DEP_2)
	v_fmac_f64_e32 v[34:35], v[52:53], v[32:33]
	v_cmp_gt_f64_e32 vcc_lo, 0x10000000, v[40:41]
	v_cndmask_b32_e64 v16, 0, 0x100, vcc_lo
	s_delay_alu instid0(VALU_DEP_1) | instskip(NEXT) | instid1(VALU_DEP_4)
	v_ldexp_f64 v[32:33], v[40:41], v16
	v_dual_add_f64 v[40:41], v[38:39], v[34:35] :: v_dual_bitop2_b32 v16, 1, v36 bitop3:0x40
	s_delay_alu instid0(VALU_DEP_1) | instskip(NEXT) | instid1(VALU_DEP_3)
	v_cmp_eq_u32_e64 s0, 0, v16
	v_rsq_f64_e32 v[42:43], v[32:33]
	s_delay_alu instid0(VALU_DEP_2) | instskip(SKIP_1) | instid1(VALU_DEP_2)
	v_add_f64_e64 v[44:45], -v[40:41], 1.0
	v_add_f64_e64 v[38:39], v[40:41], -v[38:39]
	v_add_f64_e64 v[48:49], -v[44:45], 1.0
	s_delay_alu instid0(VALU_DEP_2) | instskip(NEXT) | instid1(TRANS32_DEP_1)
	v_add_f64_e64 v[34:35], v[38:39], -v[34:35]
	v_mul_f64_e32 v[46:47], v[32:33], v[42:43]
	v_mul_f64_e32 v[42:43], 0.5, v[42:43]
	s_delay_alu instid0(VALU_DEP_4) | instskip(NEXT) | instid1(VALU_DEP_2)
	v_add_f64_e64 v[38:39], v[48:49], -v[40:41]
	v_fma_f64 v[54:55], -v[42:43], v[46:47], 0.5
	s_delay_alu instid0(VALU_DEP_2) | instskip(NEXT) | instid1(VALU_DEP_2)
	v_add_f64_e32 v[34:35], v[34:35], v[38:39]
	v_fmac_f64_e32 v[46:47], v[46:47], v[54:55]
	v_fmac_f64_e32 v[42:43], v[42:43], v[54:55]
	s_delay_alu instid0(VALU_DEP_3) | instskip(NEXT) | instid1(VALU_DEP_3)
	v_add_f64_e32 v[34:35], v[44:45], v[34:35]
	v_fma_f64 v[38:39], -v[46:47], v[46:47], v[32:33]
	s_delay_alu instid0(VALU_DEP_2) | instskip(NEXT) | instid1(VALU_DEP_2)
	v_mul_f64_e32 v[34:35], v[52:53], v[34:35]
	v_fmac_f64_e32 v[46:47], v[38:39], v[42:43]
	s_delay_alu instid0(VALU_DEP_2) | instskip(NEXT) | instid1(VALU_DEP_2)
	v_add_f64_e32 v[34:35], v[52:53], v[34:35]
	v_fma_f64 v[38:39], -v[46:47], v[46:47], v[32:33]
	s_delay_alu instid0(VALU_DEP_2) | instskip(NEXT) | instid1(VALU_DEP_3)
	v_xor_b32_e32 v21, 0x80000000, v35
	v_cndmask_b32_e64 v16, v34, v50, s0
	v_cndmask_b32_e64 v34, 0, 0xffffff80, vcc_lo
	v_cmp_class_f64_e64 vcc_lo, v[32:33], 0x260
	s_delay_alu instid0(VALU_DEP_4) | instskip(SKIP_1) | instid1(VALU_DEP_2)
	v_cndmask_b32_e64 v21, v21, v51, s0
	v_fmac_f64_e32 v[46:47], v[38:39], v[42:43]
	v_bitop3_b32 v17, v21, v17, 0x80000000 bitop3:0x78
	s_delay_alu instid0(VALU_DEP_1) | instskip(NEXT) | instid1(VALU_DEP_3)
	v_fma_f64 v[36:37], v[16:17], v[16:17], 1.0
	v_ldexp_f64 v[34:35], v[46:47], v34
	s_delay_alu instid0(VALU_DEP_1) | instskip(NEXT) | instid1(VALU_DEP_3)
	v_dual_cndmask_b32 v33, v35, v33 :: v_dual_cndmask_b32 v32, v34, v32
	v_mul_f64_e32 v[34:35], v[14:15], v[36:37]
	s_delay_alu instid0(VALU_DEP_2) | instskip(NEXT) | instid1(VALU_DEP_2)
	v_mul_f64_e32 v[32:33], v[32:33], v[36:37]
	v_fma_f64 v[34:35], v[14:15], v[34:35], 1.0
	s_delay_alu instid0(VALU_DEP_2) | instskip(NEXT) | instid1(VALU_DEP_2)
	v_mul_f64_e32 v[14:15], v[14:15], v[32:33]
	v_div_scale_f64 v[36:37], null, v[34:35], v[34:35], v[16:17]
	s_delay_alu instid0(VALU_DEP_2) | instskip(SKIP_1) | instid1(VALU_DEP_3)
	v_div_scale_f64 v[32:33], null, v[34:35], v[34:35], v[14:15]
	v_div_scale_f64 v[46:47], vcc_lo, v[14:15], v[34:35], v[14:15]
	v_rcp_f64_e32 v[40:41], v[36:37]
	s_delay_alu instid0(VALU_DEP_2) | instskip(NEXT) | instid1(TRANS32_DEP_2)
	v_rcp_f64_e32 v[38:39], v[32:33]
	v_fma_f64 v[44:45], -v[36:37], v[40:41], 1.0
	s_delay_alu instid0(TRANS32_DEP_1) | instskip(NEXT) | instid1(VALU_DEP_2)
	v_fma_f64 v[42:43], -v[32:33], v[38:39], 1.0
	v_fmac_f64_e32 v[40:41], v[40:41], v[44:45]
	s_delay_alu instid0(VALU_DEP_2) | instskip(NEXT) | instid1(VALU_DEP_2)
	v_fmac_f64_e32 v[38:39], v[38:39], v[42:43]
	v_fma_f64 v[44:45], -v[36:37], v[40:41], 1.0
	s_delay_alu instid0(VALU_DEP_2) | instskip(NEXT) | instid1(VALU_DEP_2)
	v_fma_f64 v[42:43], -v[32:33], v[38:39], 1.0
	v_fmac_f64_e32 v[40:41], v[40:41], v[44:45]
	s_delay_alu instid0(VALU_DEP_2) | instskip(SKIP_1) | instid1(VALU_DEP_2)
	v_fmac_f64_e32 v[38:39], v[38:39], v[42:43]
	v_div_scale_f64 v[42:43], s0, v[16:17], v[34:35], v[16:17]
	v_mul_f64_e32 v[44:45], v[46:47], v[38:39]
	s_delay_alu instid0(VALU_DEP_2) | instskip(NEXT) | instid1(VALU_DEP_2)
	v_mul_f64_e32 v[48:49], v[42:43], v[40:41]
	v_fma_f64 v[32:33], -v[32:33], v[44:45], v[46:47]
	s_delay_alu instid0(VALU_DEP_2) | instskip(NEXT) | instid1(VALU_DEP_2)
	v_fma_f64 v[36:37], -v[36:37], v[48:49], v[42:43]
	v_div_fmas_f64 v[32:33], v[32:33], v[38:39], v[44:45]
	s_mov_b32 vcc_lo, s0
	s_delay_alu instid0(VALU_DEP_2) | instskip(NEXT) | instid1(VALU_DEP_2)
	v_div_fmas_f64 v[36:37], v[36:37], v[40:41], v[48:49]
	v_div_fixup_f64 v[14:15], v[32:33], v[34:35], v[14:15]
	s_delay_alu instid0(VALU_DEP_2)
	v_div_fixup_f64 v[16:17], v[36:37], v[34:35], v[16:17]
.LBB161_188:                            ;   in Loop: Header=BB161_180 Depth=1
	s_and_not1_saveexec_b32 s0, s21
	s_cbranch_execz .LBB161_191
; %bb.189:                              ;   in Loop: Header=BB161_180 Depth=1
	s_delay_alu instid0(VALU_DEP_1) | instskip(SKIP_1) | instid1(SALU_CYCLE_1)
	v_cmp_ngt_f64_e64 s21, 0x41d00000, |v[16:17]|
                                        ; implicit-def: $vgpr40
                                        ; implicit-def: $vgpr32_vgpr33
                                        ; implicit-def: $vgpr34_vgpr35
	s_and_saveexec_b32 s22, s21
	s_xor_b32 s22, exec_lo, s22
	s_cbranch_execz .LBB161_192
; %bb.190:                              ;   in Loop: Header=BB161_180 Depth=1
	v_ldexp_f64 v[32:33], |v[16:17]|, 0xffffff80
	v_cmp_le_f64_e64 vcc_lo, 0x7b000000, |v[16:17]|
	v_trig_preop_f64 v[34:35], |v[16:17]|, 0
	v_and_b32_e32 v21, 0x7fffffff, v17
	v_trig_preop_f64 v[36:37], |v[16:17]|, 1
	v_trig_preop_f64 v[46:47], |v[16:17]|, 2
	s_delay_alu instid0(VALU_DEP_3) | instskip(NEXT) | instid1(VALU_DEP_1)
	v_dual_cndmask_b32 v33, v21, v33 :: v_dual_cndmask_b32 v32, v16, v32
	v_mul_f64_e32 v[38:39], v[34:35], v[32:33]
	s_delay_alu instid0(VALU_DEP_4) | instskip(NEXT) | instid1(VALU_DEP_4)
	v_mul_f64_e32 v[40:41], v[36:37], v[32:33]
	v_mul_f64_e32 v[52:53], v[46:47], v[32:33]
	s_delay_alu instid0(VALU_DEP_3) | instskip(NEXT) | instid1(VALU_DEP_3)
	v_fma_f64 v[34:35], v[34:35], v[32:33], -v[38:39]
	v_fma_f64 v[36:37], v[36:37], v[32:33], -v[40:41]
	s_delay_alu instid0(VALU_DEP_3) | instskip(NEXT) | instid1(VALU_DEP_3)
	v_fma_f64 v[32:33], v[46:47], v[32:33], -v[52:53]
	v_add_f64_e32 v[42:43], v[40:41], v[34:35]
	s_delay_alu instid0(VALU_DEP_1) | instskip(SKIP_1) | instid1(VALU_DEP_2)
	v_add_f64_e64 v[44:45], v[42:43], -v[40:41]
	v_add_f64_e32 v[50:51], v[38:39], v[42:43]
	v_add_f64_e64 v[48:49], v[42:43], -v[44:45]
	v_add_f64_e64 v[34:35], v[34:35], -v[44:45]
	s_delay_alu instid0(VALU_DEP_3) | instskip(NEXT) | instid1(VALU_DEP_3)
	v_ldexp_f64 v[44:45], v[50:51], -2
	v_add_f64_e64 v[40:41], v[40:41], -v[48:49]
	v_add_f64_e32 v[48:49], v[52:53], v[36:37]
	s_delay_alu instid0(VALU_DEP_3) | instskip(NEXT) | instid1(VALU_DEP_3)
	v_cmp_neq_f64_e64 vcc_lo, 0x7ff00000, |v[44:45]|
	v_add_f64_e32 v[34:35], v[34:35], v[40:41]
	v_fract_f64_e32 v[40:41], v[44:45]
	s_delay_alu instid0(VALU_DEP_1) | instskip(NEXT) | instid1(VALU_DEP_1)
	v_ldexp_f64 v[40:41], v[40:41], 2
	v_dual_add_f64 v[38:39], v[50:51], -v[38:39] :: v_dual_cndmask_b32 v40, 0, v40, vcc_lo
	s_delay_alu instid0(VALU_DEP_1) | instskip(SKIP_1) | instid1(VALU_DEP_1)
	v_dual_add_f64 v[38:39], v[42:43], -v[38:39] :: v_dual_cndmask_b32 v41, 0, v41, vcc_lo
	v_add_f64_e32 v[42:43], v[48:49], v[34:35]
	v_add_f64_e32 v[44:45], v[38:39], v[42:43]
	v_add_f64_e64 v[54:55], v[42:43], -v[48:49]
	s_delay_alu instid0(VALU_DEP_2) | instskip(NEXT) | instid1(VALU_DEP_2)
	v_add_f64_e32 v[50:51], v[44:45], v[40:41]
	v_add_f64_e64 v[60:61], v[42:43], -v[54:55]
	v_add_f64_e64 v[34:35], v[34:35], -v[54:55]
	;; [unrolled: 1-line block ×3, first 2 shown]
	s_delay_alu instid0(VALU_DEP_4) | instskip(SKIP_1) | instid1(VALU_DEP_3)
	v_cmp_gt_f64_e32 vcc_lo, 0, v[50:51]
	v_add_f64_e64 v[50:51], v[48:49], -v[52:53]
	v_add_f64_e64 v[38:39], v[42:43], -v[38:39]
	v_cndmask_b32_e64 v21, 0, 0x40100000, vcc_lo
	s_delay_alu instid0(VALU_DEP_3) | instskip(SKIP_2) | instid1(VALU_DEP_4)
	v_add_f64_e64 v[58:59], v[48:49], -v[50:51]
	v_add_f64_e64 v[36:37], v[36:37], -v[50:51]
	;; [unrolled: 1-line block ×3, first 2 shown]
	v_add_f64_e32 v[40:41], v[40:41], v[20:21]
	s_delay_alu instid0(VALU_DEP_4) | instskip(NEXT) | instid1(VALU_DEP_3)
	v_add_f64_e64 v[50:51], v[52:53], -v[58:59]
	v_add_f64_e32 v[34:35], v[34:35], v[48:49]
	s_delay_alu instid0(VALU_DEP_3) | instskip(NEXT) | instid1(VALU_DEP_3)
	v_add_f64_e32 v[56:57], v[44:45], v[40:41]
	v_add_f64_e32 v[36:37], v[36:37], v[50:51]
	s_delay_alu instid0(VALU_DEP_2) | instskip(NEXT) | instid1(VALU_DEP_2)
	v_cvt_i32_f64_e32 v21, v[56:57]
	v_add_f64_e32 v[34:35], v[36:37], v[34:35]
	s_delay_alu instid0(VALU_DEP_2) | instskip(NEXT) | instid1(VALU_DEP_2)
	v_cvt_f64_i32_e32 v[54:55], v21
	v_add_f64_e32 v[32:33], v[32:33], v[34:35]
	s_delay_alu instid0(VALU_DEP_2) | instskip(NEXT) | instid1(VALU_DEP_2)
	v_add_f64_e64 v[40:41], v[40:41], -v[54:55]
	v_add_f64_e32 v[32:33], v[38:39], v[32:33]
	s_delay_alu instid0(VALU_DEP_2) | instskip(NEXT) | instid1(VALU_DEP_1)
	v_add_f64_e32 v[36:37], v[44:45], v[40:41]
	v_add_f64_e64 v[34:35], v[36:37], -v[40:41]
	v_cmp_le_f64_e32 vcc_lo, 0.5, v[36:37]
	s_delay_alu instid0(VALU_DEP_2) | instskip(SKIP_2) | instid1(VALU_DEP_3)
	v_add_f64_e64 v[34:35], v[44:45], -v[34:35]
	v_add_co_ci_u32_e64 v40, null, 0, v21, vcc_lo
	v_cndmask_b32_e64 v21, 0, 0x3ff00000, vcc_lo
	v_add_f64_e32 v[32:33], v[32:33], v[34:35]
	s_delay_alu instid0(VALU_DEP_2) | instskip(NEXT) | instid1(VALU_DEP_1)
	v_add_f64_e64 v[34:35], v[36:37], -v[20:21]
	v_add_f64_e32 v[36:37], v[34:35], v[32:33]
	s_delay_alu instid0(VALU_DEP_1) | instskip(SKIP_1) | instid1(VALU_DEP_2)
	v_mul_f64_e32 v[38:39], 0x3ff921fb54442d18, v[36:37]
	v_add_f64_e64 v[34:35], v[36:37], -v[34:35]
	v_fma_f64 v[42:43], v[36:37], s[2:3], -v[38:39]
	s_delay_alu instid0(VALU_DEP_2) | instskip(NEXT) | instid1(VALU_DEP_2)
	v_add_f64_e64 v[32:33], v[32:33], -v[34:35]
	v_fmac_f64_e32 v[42:43], 0x3c91a62633145c07, v[36:37]
	s_delay_alu instid0(VALU_DEP_1) | instskip(NEXT) | instid1(VALU_DEP_1)
	v_fmac_f64_e32 v[42:43], 0x3ff921fb54442d18, v[32:33]
	v_add_f64_e32 v[32:33], v[38:39], v[42:43]
	s_delay_alu instid0(VALU_DEP_1) | instskip(NEXT) | instid1(VALU_DEP_1)
	v_add_f64_e64 v[34:35], v[32:33], -v[38:39]
	v_add_f64_e64 v[34:35], v[42:43], -v[34:35]
	s_and_not1_saveexec_b32 s22, s22
	s_cbranch_execz .LBB161_194
	s_branch .LBB161_193
.LBB161_191:                            ;   in Loop: Header=BB161_180 Depth=1
	s_or_b32 exec_lo, exec_lo, s0
	s_and_not1_saveexec_b32 s0, s20
	s_cbranch_execnz .LBB161_200
	s_branch .LBB161_201
.LBB161_192:                            ;   in Loop: Header=BB161_180 Depth=1
	s_and_not1_saveexec_b32 s22, s22
	s_cbranch_execz .LBB161_194
.LBB161_193:                            ;   in Loop: Header=BB161_180 Depth=1
	v_mul_f64_e64 v[32:33], |v[16:17]|, s[4:5]
	s_delay_alu instid0(VALU_DEP_1) | instskip(NEXT) | instid1(VALU_DEP_1)
	v_rndne_f64_e32 v[36:37], v[32:33]
	v_fma_f64 v[32:33], v[36:37], s[6:7], |v[16:17]|
	v_mul_f64_e32 v[34:35], 0xbc91a62633145c00, v[36:37]
	s_delay_alu instid0(VALU_DEP_2) | instskip(NEXT) | instid1(VALU_DEP_2)
	v_fmamk_f64 v[42:43], v[36:37], 0xbc91a62633145c00, v[32:33]
	v_add_f64_e32 v[38:39], v[32:33], v[34:35]
	s_delay_alu instid0(VALU_DEP_1) | instskip(NEXT) | instid1(VALU_DEP_3)
	v_add_f64_e64 v[40:41], v[32:33], -v[38:39]
	v_add_f64_e64 v[32:33], v[38:39], -v[42:43]
	s_delay_alu instid0(VALU_DEP_2) | instskip(SKIP_2) | instid1(VALU_DEP_3)
	v_add_f64_e32 v[38:39], v[40:41], v[34:35]
	v_fmamk_f64 v[34:35], v[36:37], 0x3c91a62633145c00, v[34:35]
	v_cvt_i32_f64_e32 v40, v[36:37]
	v_add_f64_e32 v[32:33], v[32:33], v[38:39]
	s_delay_alu instid0(VALU_DEP_1) | instskip(NEXT) | instid1(VALU_DEP_1)
	v_add_f64_e64 v[34:35], v[32:33], -v[34:35]
	v_fmac_f64_e32 v[34:35], 0xb97b839a252049c0, v[36:37]
	s_delay_alu instid0(VALU_DEP_1) | instskip(NEXT) | instid1(VALU_DEP_1)
	v_add_f64_e32 v[32:33], v[42:43], v[34:35]
	v_add_f64_e64 v[38:39], v[32:33], -v[42:43]
	s_delay_alu instid0(VALU_DEP_1)
	v_add_f64_e64 v[34:35], v[34:35], -v[38:39]
.LBB161_194:                            ;   in Loop: Header=BB161_180 Depth=1
	s_or_b32 exec_lo, exec_lo, s22
                                        ; implicit-def: $vgpr41
                                        ; implicit-def: $vgpr36_vgpr37
                                        ; implicit-def: $vgpr38_vgpr39
	s_and_saveexec_b32 s22, s21
	s_delay_alu instid0(SALU_CYCLE_1)
	s_xor_b32 s21, exec_lo, s22
	s_cbranch_execz .LBB161_196
; %bb.195:                              ;   in Loop: Header=BB161_180 Depth=1
	v_ldexp_f64 v[36:37], |v[16:17]|, 0xffffff80
	v_cmp_le_f64_e64 vcc_lo, 0x7b000000, |v[16:17]|
	v_trig_preop_f64 v[38:39], |v[16:17]|, 0
	v_and_b32_e32 v21, 0x7fffffff, v17
	v_trig_preop_f64 v[42:43], |v[16:17]|, 1
	v_trig_preop_f64 v[52:53], |v[16:17]|, 2
	s_delay_alu instid0(VALU_DEP_3) | instskip(NEXT) | instid1(VALU_DEP_1)
	v_dual_cndmask_b32 v37, v21, v37 :: v_dual_cndmask_b32 v36, v16, v36
	v_mul_f64_e32 v[44:45], v[38:39], v[36:37]
	s_delay_alu instid0(VALU_DEP_4) | instskip(NEXT) | instid1(VALU_DEP_4)
	v_mul_f64_e32 v[46:47], v[42:43], v[36:37]
	v_mul_f64_e32 v[58:59], v[52:53], v[36:37]
	s_delay_alu instid0(VALU_DEP_3) | instskip(NEXT) | instid1(VALU_DEP_3)
	v_fma_f64 v[38:39], v[38:39], v[36:37], -v[44:45]
	v_fma_f64 v[42:43], v[42:43], v[36:37], -v[46:47]
	s_delay_alu instid0(VALU_DEP_3) | instskip(NEXT) | instid1(VALU_DEP_3)
	v_fma_f64 v[36:37], v[52:53], v[36:37], -v[58:59]
	v_add_f64_e32 v[48:49], v[46:47], v[38:39]
	s_delay_alu instid0(VALU_DEP_1) | instskip(SKIP_1) | instid1(VALU_DEP_2)
	v_add_f64_e64 v[50:51], v[48:49], -v[46:47]
	v_add_f64_e32 v[56:57], v[44:45], v[48:49]
	v_add_f64_e64 v[54:55], v[48:49], -v[50:51]
	v_add_f64_e64 v[38:39], v[38:39], -v[50:51]
	s_delay_alu instid0(VALU_DEP_3) | instskip(NEXT) | instid1(VALU_DEP_3)
	v_ldexp_f64 v[50:51], v[56:57], -2
	v_add_f64_e64 v[46:47], v[46:47], -v[54:55]
	v_add_f64_e32 v[54:55], v[58:59], v[42:43]
	s_delay_alu instid0(VALU_DEP_3) | instskip(NEXT) | instid1(VALU_DEP_3)
	v_cmp_neq_f64_e64 vcc_lo, 0x7ff00000, |v[50:51]|
	v_add_f64_e32 v[38:39], v[38:39], v[46:47]
	v_fract_f64_e32 v[46:47], v[50:51]
	s_delay_alu instid0(VALU_DEP_1) | instskip(NEXT) | instid1(VALU_DEP_1)
	v_ldexp_f64 v[46:47], v[46:47], 2
	v_dual_add_f64 v[44:45], v[56:57], -v[44:45] :: v_dual_cndmask_b32 v47, 0, v47, vcc_lo
	s_delay_alu instid0(VALU_DEP_1) | instskip(SKIP_1) | instid1(VALU_DEP_1)
	v_dual_add_f64 v[44:45], v[48:49], -v[44:45] :: v_dual_cndmask_b32 v46, 0, v46, vcc_lo
	v_add_f64_e32 v[48:49], v[54:55], v[38:39]
	v_add_f64_e32 v[50:51], v[44:45], v[48:49]
	v_add_f64_e64 v[60:61], v[48:49], -v[54:55]
	s_delay_alu instid0(VALU_DEP_2) | instskip(NEXT) | instid1(VALU_DEP_2)
	v_add_f64_e32 v[56:57], v[50:51], v[46:47]
	v_add_f64_e64 v[66:67], v[48:49], -v[60:61]
	v_add_f64_e64 v[38:39], v[38:39], -v[60:61]
	;; [unrolled: 1-line block ×3, first 2 shown]
	s_delay_alu instid0(VALU_DEP_4) | instskip(SKIP_1) | instid1(VALU_DEP_3)
	v_cmp_gt_f64_e32 vcc_lo, 0, v[56:57]
	v_add_f64_e64 v[56:57], v[54:55], -v[58:59]
	v_add_f64_e64 v[44:45], v[48:49], -v[44:45]
	v_cndmask_b32_e64 v21, 0, 0x40100000, vcc_lo
	s_delay_alu instid0(VALU_DEP_3) | instskip(SKIP_2) | instid1(VALU_DEP_4)
	v_add_f64_e64 v[64:65], v[54:55], -v[56:57]
	v_add_f64_e64 v[42:43], v[42:43], -v[56:57]
	;; [unrolled: 1-line block ×3, first 2 shown]
	v_add_f64_e32 v[46:47], v[46:47], v[20:21]
	s_delay_alu instid0(VALU_DEP_4) | instskip(NEXT) | instid1(VALU_DEP_3)
	v_add_f64_e64 v[56:57], v[58:59], -v[64:65]
	v_add_f64_e32 v[38:39], v[38:39], v[54:55]
	s_delay_alu instid0(VALU_DEP_3) | instskip(NEXT) | instid1(VALU_DEP_3)
	v_add_f64_e32 v[62:63], v[50:51], v[46:47]
	v_add_f64_e32 v[42:43], v[42:43], v[56:57]
	s_delay_alu instid0(VALU_DEP_2) | instskip(NEXT) | instid1(VALU_DEP_2)
	v_cvt_i32_f64_e32 v21, v[62:63]
	v_add_f64_e32 v[38:39], v[42:43], v[38:39]
	s_delay_alu instid0(VALU_DEP_2) | instskip(NEXT) | instid1(VALU_DEP_2)
	v_cvt_f64_i32_e32 v[60:61], v21
	v_add_f64_e32 v[36:37], v[36:37], v[38:39]
	s_delay_alu instid0(VALU_DEP_2) | instskip(NEXT) | instid1(VALU_DEP_2)
	v_add_f64_e64 v[46:47], v[46:47], -v[60:61]
	v_add_f64_e32 v[36:37], v[44:45], v[36:37]
	s_delay_alu instid0(VALU_DEP_2) | instskip(NEXT) | instid1(VALU_DEP_1)
	v_add_f64_e32 v[42:43], v[50:51], v[46:47]
	v_add_f64_e64 v[38:39], v[42:43], -v[46:47]
	v_cmp_le_f64_e32 vcc_lo, 0.5, v[42:43]
	s_delay_alu instid0(VALU_DEP_2) | instskip(SKIP_2) | instid1(VALU_DEP_3)
	v_add_f64_e64 v[38:39], v[50:51], -v[38:39]
	v_add_co_ci_u32_e64 v41, null, 0, v21, vcc_lo
	v_cndmask_b32_e64 v21, 0, 0x3ff00000, vcc_lo
	v_add_f64_e32 v[36:37], v[36:37], v[38:39]
	s_delay_alu instid0(VALU_DEP_2) | instskip(NEXT) | instid1(VALU_DEP_1)
	v_add_f64_e64 v[38:39], v[42:43], -v[20:21]
	v_add_f64_e32 v[42:43], v[38:39], v[36:37]
	s_delay_alu instid0(VALU_DEP_1) | instskip(SKIP_1) | instid1(VALU_DEP_2)
	v_mul_f64_e32 v[44:45], 0x3ff921fb54442d18, v[42:43]
	v_add_f64_e64 v[38:39], v[42:43], -v[38:39]
	v_fma_f64 v[46:47], v[42:43], s[2:3], -v[44:45]
	s_delay_alu instid0(VALU_DEP_2) | instskip(NEXT) | instid1(VALU_DEP_2)
	v_add_f64_e64 v[36:37], v[36:37], -v[38:39]
	v_fmac_f64_e32 v[46:47], 0x3c91a62633145c07, v[42:43]
	s_delay_alu instid0(VALU_DEP_1) | instskip(NEXT) | instid1(VALU_DEP_1)
	v_fmac_f64_e32 v[46:47], 0x3ff921fb54442d18, v[36:37]
	v_add_f64_e32 v[36:37], v[44:45], v[46:47]
	s_delay_alu instid0(VALU_DEP_1) | instskip(NEXT) | instid1(VALU_DEP_1)
	v_add_f64_e64 v[38:39], v[36:37], -v[44:45]
	v_add_f64_e64 v[38:39], v[46:47], -v[38:39]
	s_and_not1_saveexec_b32 s21, s21
	s_cbranch_execnz .LBB161_197
	s_branch .LBB161_198
.LBB161_196:                            ;   in Loop: Header=BB161_180 Depth=1
	s_and_not1_saveexec_b32 s21, s21
	s_cbranch_execz .LBB161_198
.LBB161_197:                            ;   in Loop: Header=BB161_180 Depth=1
	v_mul_f64_e64 v[36:37], |v[16:17]|, s[4:5]
	s_delay_alu instid0(VALU_DEP_1) | instskip(NEXT) | instid1(VALU_DEP_1)
	v_rndne_f64_e32 v[42:43], v[36:37]
	v_fma_f64 v[36:37], v[42:43], s[6:7], |v[16:17]|
	v_mul_f64_e32 v[38:39], 0xbc91a62633145c00, v[42:43]
	v_cvt_i32_f64_e32 v41, v[42:43]
	s_delay_alu instid0(VALU_DEP_3) | instskip(NEXT) | instid1(VALU_DEP_3)
	v_fmamk_f64 v[48:49], v[42:43], 0xbc91a62633145c00, v[36:37]
	v_add_f64_e32 v[44:45], v[36:37], v[38:39]
	s_delay_alu instid0(VALU_DEP_1) | instskip(NEXT) | instid1(VALU_DEP_3)
	v_add_f64_e64 v[46:47], v[36:37], -v[44:45]
	v_add_f64_e64 v[36:37], v[44:45], -v[48:49]
	s_delay_alu instid0(VALU_DEP_2) | instskip(SKIP_1) | instid1(VALU_DEP_2)
	v_add_f64_e32 v[44:45], v[46:47], v[38:39]
	v_fmamk_f64 v[38:39], v[42:43], 0x3c91a62633145c00, v[38:39]
	v_add_f64_e32 v[36:37], v[36:37], v[44:45]
	s_delay_alu instid0(VALU_DEP_1) | instskip(NEXT) | instid1(VALU_DEP_1)
	v_add_f64_e64 v[38:39], v[36:37], -v[38:39]
	v_fmac_f64_e32 v[38:39], 0xb97b839a252049c0, v[42:43]
	s_delay_alu instid0(VALU_DEP_1) | instskip(NEXT) | instid1(VALU_DEP_1)
	v_add_f64_e32 v[36:37], v[48:49], v[38:39]
	v_add_f64_e64 v[44:45], v[36:37], -v[48:49]
	s_delay_alu instid0(VALU_DEP_1)
	v_add_f64_e64 v[38:39], v[38:39], -v[44:45]
.LBB161_198:                            ;   in Loop: Header=BB161_180 Depth=1
	s_or_b32 exec_lo, exec_lo, s21
	v_mul_f64_e32 v[42:43], v[32:33], v[32:33]
	s_delay_alu instid0(VALU_DEP_2) | instskip(SKIP_3) | instid1(VALU_DEP_4)
	v_dual_mul_f64 v[54:55], 0.5, v[34:35] :: v_dual_lshlrev_b32 v21, 30, v40
	v_mul_f64_e32 v[44:45], v[36:37], v[36:37]
	v_mul_f64_e64 v[48:49], |v[14:15]|, s[14:15]
	v_and_b32_e32 v16, 1, v40
	v_xor_b32_e32 v17, v21, v17
	s_delay_alu instid0(VALU_DEP_2)
	v_cmp_eq_u32_e32 vcc_lo, 0, v16
	v_mul_f64_e32 v[46:47], 0.5, v[42:43]
	v_mul_f64_e64 v[56:57], v[32:33], -v[42:43]
	v_fmamk_f64 v[62:63], v[42:43], 0x3de5e0b2f9a43bb8, v[28:29]
	v_mul_f64_e64 v[68:69], v[36:37], -v[44:45]
	v_fmamk_f64 v[70:71], v[44:45], 0x3de5e0b2f9a43bb8, v[28:29]
	v_rndne_f64_e32 v[48:49], v[48:49]
	s_delay_alu instid0(VALU_DEP_4) | instskip(NEXT) | instid1(VALU_DEP_1)
	v_fmaak_f64 v[62:63], v[42:43], v[62:63], 0x3ec71de3796cde01
	v_fmaak_f64 v[62:63], v[42:43], v[62:63], 0xbf2a01a019e83e5c
	s_delay_alu instid0(VALU_DEP_1) | instskip(SKIP_1) | instid1(VALU_DEP_2)
	v_fmaak_f64 v[62:63], v[42:43], v[62:63], 0x3f81111111110bb3
	v_add_f64_e64 v[52:53], -v[46:47], 1.0
	v_fmac_f64_e32 v[54:55], v[56:57], v[62:63]
	v_fma_f64 v[64:65], v[48:49], s[8:9], -|v[14:15]|
	v_cvt_i32_f64_e32 v21, v[48:49]
	s_delay_alu instid0(VALU_DEP_4) | instskip(NEXT) | instid1(VALU_DEP_4)
	v_add_f64_e64 v[60:61], -v[52:53], 1.0
	v_fma_f64 v[54:55], v[42:43], v[54:55], -v[34:35]
	s_delay_alu instid0(VALU_DEP_4) | instskip(NEXT) | instid1(VALU_DEP_3)
	v_fmac_f64_e32 v[64:65], 0xbc7abc9e3b39803f, v[48:49]
	v_add_f64_e64 v[46:47], v[60:61], -v[46:47]
	s_delay_alu instid0(VALU_DEP_3) | instskip(SKIP_2) | instid1(VALU_DEP_2)
	v_fmac_f64_e32 v[54:55], 0xbfc5555555555555, v[56:57]
	v_fmaak_f64 v[60:61], v[44:45], v[70:71], 0x3ec71de3796cde01
	v_fmamk_f64 v[70:71], v[42:43], 0xbda907db46cc5e42, v[26:27]
	v_fmaak_f64 v[60:61], v[44:45], v[60:61], 0xbf2a01a019e83e5c
	s_delay_alu instid0(VALU_DEP_1)
	v_fmaak_f64 v[60:61], v[44:45], v[60:61], 0x3f81111111110bb3
	v_fma_f64 v[34:35], v[32:33], -v[34:35], v[46:47]
	v_add_f64_e64 v[32:33], v[32:33], -v[54:55]
	v_mul_f64_e32 v[66:67], 0.5, v[38:39]
	v_fmaak_f64 v[46:47], v[42:43], v[70:71], 0xbe927e4fa17f65f6
	v_mul_f64_e32 v[70:71], v[44:45], v[44:45]
	s_delay_alu instid0(VALU_DEP_2) | instskip(NEXT) | instid1(VALU_DEP_1)
	v_fmaak_f64 v[46:47], v[42:43], v[46:47], 0x3efa01a019f4ec90
	v_fmaak_f64 v[46:47], v[42:43], v[46:47], 0xbf56c16c16c16967
	v_fmac_f64_e32 v[66:67], v[68:69], v[60:61]
	v_mul_f64_e32 v[60:61], v[42:43], v[42:43]
	s_delay_alu instid0(VALU_DEP_3) | instskip(NEXT) | instid1(VALU_DEP_1)
	v_fmaak_f64 v[42:43], v[42:43], v[46:47], 0x3fa5555555555555
	v_fmac_f64_e32 v[34:35], v[60:61], v[42:43]
	s_delay_alu instid0(VALU_DEP_1) | instskip(NEXT) | instid1(VALU_DEP_1)
	v_add_f64_e32 v[34:35], v[52:53], v[34:35]
	v_dual_cndmask_b32 v16, v34, v32, vcc_lo :: v_dual_cndmask_b32 v34, v35, v33, vcc_lo
	s_delay_alu instid0(VALU_DEP_1) | instskip(SKIP_1) | instid1(VALU_DEP_2)
	v_bitop3_b32 v17, v34, v17, 0x80000000 bitop3:0x78
	v_and_b32_e32 v34, 1, v41
	v_mul_f64_e32 v[16:17], 4.0, v[16:17]
	s_delay_alu instid0(VALU_DEP_2) | instskip(SKIP_1) | instid1(VALU_DEP_1)
	v_cmp_eq_u32_e32 vcc_lo, 0, v34
	v_mul_f64_e32 v[50:51], 0.5, v[44:45]
	v_add_f64_e64 v[58:59], -v[50:51], 1.0
	s_delay_alu instid0(VALU_DEP_1) | instskip(NEXT) | instid1(VALU_DEP_1)
	v_add_f64_e64 v[62:63], -v[58:59], 1.0
	v_add_f64_e64 v[50:51], v[62:63], -v[50:51]
	v_fmamk_f64 v[62:63], v[64:65], 0x3e5ade156a5dcb37, v[24:25]
	s_delay_alu instid0(VALU_DEP_1) | instskip(NEXT) | instid1(VALU_DEP_1)
	v_fmaak_f64 v[62:63], v[64:65], v[62:63], 0x3ec71dee623fde64
	v_fmaak_f64 v[62:63], v[64:65], v[62:63], 0x3efa01997c89e6b0
	s_delay_alu instid0(VALU_DEP_1) | instskip(SKIP_2) | instid1(VALU_DEP_3)
	v_fmaak_f64 v[46:47], v[64:65], v[62:63], 0x3f2a01a014761f6e
	v_fma_f64 v[62:63], v[44:45], v[66:67], -v[38:39]
	v_fmamk_f64 v[66:67], v[44:45], 0xbda907db46cc5e42, v[26:27]
	v_fmaak_f64 v[42:43], v[64:65], v[46:47], 0x3f56c16c1852b7b0
	s_delay_alu instid0(VALU_DEP_2) | instskip(SKIP_1) | instid1(VALU_DEP_3)
	v_fmaak_f64 v[46:47], v[44:45], v[66:67], 0xbe927e4fa17f65f6
	v_fma_f64 v[38:39], v[36:37], -v[38:39], v[50:51]
	v_fmaak_f64 v[42:43], v[64:65], v[42:43], 0x3f81111111122322
	s_delay_alu instid0(VALU_DEP_3) | instskip(NEXT) | instid1(VALU_DEP_2)
	v_fmaak_f64 v[46:47], v[44:45], v[46:47], 0x3efa01a019f4ec90
	v_fmaak_f64 v[42:43], v[64:65], v[42:43], 0x3fa55555555502a1
	s_delay_alu instid0(VALU_DEP_2) | instskip(NEXT) | instid1(VALU_DEP_2)
	v_fmaak_f64 v[46:47], v[44:45], v[46:47], 0xbf56c16c16c16967
	v_fmaak_f64 v[42:43], v[64:65], v[42:43], 0x3fc5555555555511
	s_delay_alu instid0(VALU_DEP_2) | instskip(SKIP_1) | instid1(VALU_DEP_3)
	v_fmaak_f64 v[44:45], v[44:45], v[46:47], 0x3fa5555555555555
	v_fmac_f64_e32 v[62:63], 0xbfc5555555555555, v[68:69]
	v_fmaak_f64 v[42:43], v[64:65], v[42:43], 0x3fe000000000000b
	s_delay_alu instid0(VALU_DEP_1) | instskip(NEXT) | instid1(VALU_DEP_4)
	v_fma_f64 v[42:43], v[64:65], v[42:43], 1.0
	v_fmac_f64_e32 v[38:39], v[70:71], v[44:45]
	s_delay_alu instid0(VALU_DEP_4) | instskip(NEXT) | instid1(VALU_DEP_3)
	v_add_f64_e64 v[36:37], v[36:37], -v[62:63]
	v_fma_f64 v[32:33], v[64:65], v[42:43], 1.0
	s_delay_alu instid0(VALU_DEP_3) | instskip(NEXT) | instid1(VALU_DEP_3)
	v_add_f64_e32 v[38:39], v[58:59], v[38:39]
	v_xor_b32_e32 v35, 0x80000000, v37
	s_delay_alu instid0(VALU_DEP_3) | instskip(NEXT) | instid1(VALU_DEP_2)
	v_ldexp_f64 v[32:33], v[32:33], v21
	v_dual_cndmask_b32 v34, v36, v38 :: v_dual_cndmask_b32 v35, v35, v39
	v_lshlrev_b32_e32 v36, 30, v41
	v_cmp_nlt_f64_e64 vcc_lo, 0x4090cc00, |v[14:15]|
	v_bfi_b32 v21, 0x7fffffff, s18, v15
	s_delay_alu instid0(VALU_DEP_3) | instskip(NEXT) | instid1(VALU_DEP_2)
	v_bitop3_b32 v35, v35, v36, 0x80000000 bitop3:0x78
	v_mov_b64_e32 v[14:15], v[20:21]
	s_delay_alu instid0(VALU_DEP_2) | instskip(SKIP_1) | instid1(VALU_DEP_1)
	v_dual_mul_f64 v[16:17], v[16:17], v[34:35] :: v_dual_cndmask_b32 v33, 0, v33, vcc_lo
	v_cndmask_b32_e32 v32, 0, v32, vcc_lo
	v_mul_f64_e32 v[16:17], v[32:33], v[16:17]
	s_delay_alu instid0(VALU_DEP_1)
	v_mul_f64_e32 v[16:17], v[32:33], v[16:17]
	s_or_b32 exec_lo, exec_lo, s0
.LBB161_199:                            ;   in Loop: Header=BB161_180 Depth=1
	s_and_not1_saveexec_b32 s0, s20
	s_cbranch_execz .LBB161_201
.LBB161_200:                            ;   in Loop: Header=BB161_180 Depth=1
	s_delay_alu instid0(VALU_DEP_1) | instskip(NEXT) | instid1(VALU_DEP_1)
	v_add_f64_e64 v[16:17], v[16:17], -v[16:17]
	v_mov_b64_e32 v[14:15], v[16:17]
.LBB161_201:                            ;   in Loop: Header=BB161_180 Depth=1
	s_or_b32 exec_lo, exec_lo, s0
.LBB161_202:                            ;   in Loop: Header=BB161_180 Depth=1
	s_and_not1_saveexec_b32 s20, s1
	s_cbranch_execz .LBB161_218
; %bb.203:                              ;   in Loop: Header=BB161_180 Depth=1
	s_delay_alu instid0(VALU_DEP_1) | instskip(SKIP_1) | instid1(VALU_DEP_1)
	v_and_or_b32 v21, 0xfffff, v15, v14
	s_mov_b32 s0, exec_lo
	v_cmpx_ne_u32_e32 0, v21
	s_xor_b32 s0, exec_lo, s0
	s_cbranch_execz .LBB161_205
; %bb.204:                              ;   in Loop: Header=BB161_180 Depth=1
	s_delay_alu instid0(VALU_DEP_3) | instskip(SKIP_1) | instid1(VALU_DEP_2)
	v_mul_f64_e32 v[32:33], v[14:15], v[16:17]
	v_cmp_eq_f64_e32 vcc_lo, 0, v[16:17]
	v_dual_cndmask_b32 v17, v33, v17 :: v_dual_cndmask_b32 v16, v32, v16
.LBB161_205:                            ;   in Loop: Header=BB161_180 Depth=1
	s_and_not1_saveexec_b32 s21, s0
	s_cbranch_execz .LBB161_217
; %bb.206:                              ;   in Loop: Header=BB161_180 Depth=1
	s_mov_b32 s22, exec_lo
	s_delay_alu instid0(VALU_DEP_1)
	v_cmpx_neq_f64_e64 0x7ff00000, |v[16:17]|
	s_cbranch_execz .LBB161_216
; %bb.207:                              ;   in Loop: Header=BB161_180 Depth=1
	v_cmp_ngt_f64_e64 s0, 0x41d00000, |v[16:17]|
	v_trig_preop_f64 v[40:41], |v[16:17]|, 0
	v_trig_preop_f64 v[38:39], |v[16:17]|, 1
	v_ldexp_f64 v[42:43], |v[16:17]|, 0xffffff80
	v_trig_preop_f64 v[36:37], |v[16:17]|, 2
	v_and_b32_e32 v51, 0x7fffffff, v17
                                        ; implicit-def: $vgpr50
                                        ; implicit-def: $vgpr32_vgpr33
                                        ; implicit-def: $vgpr34_vgpr35
	s_and_saveexec_b32 s1, s0
	s_delay_alu instid0(SALU_CYCLE_1)
	s_xor_b32 s1, exec_lo, s1
	s_cbranch_execz .LBB161_209
; %bb.208:                              ;   in Loop: Header=BB161_180 Depth=1
	v_cmp_le_f64_e64 vcc_lo, 0x7b000000, |v[16:17]|
	s_delay_alu instid0(VALU_DEP_4) | instskip(NEXT) | instid1(VALU_DEP_1)
	v_dual_cndmask_b32 v33, v51, v43 :: v_dual_cndmask_b32 v32, v16, v42
	v_mul_f64_e32 v[34:35], v[40:41], v[32:33]
	v_mul_f64_e32 v[44:45], v[38:39], v[32:33]
	;; [unrolled: 1-line block ×3, first 2 shown]
	s_delay_alu instid0(VALU_DEP_3) | instskip(NEXT) | instid1(VALU_DEP_3)
	v_fma_f64 v[46:47], v[40:41], v[32:33], -v[34:35]
	v_fma_f64 v[60:61], v[38:39], v[32:33], -v[44:45]
	s_delay_alu instid0(VALU_DEP_3) | instskip(NEXT) | instid1(VALU_DEP_3)
	v_fma_f64 v[32:33], v[36:37], v[32:33], -v[58:59]
	v_add_f64_e32 v[48:49], v[44:45], v[46:47]
	s_delay_alu instid0(VALU_DEP_1) | instskip(SKIP_1) | instid1(VALU_DEP_2)
	v_add_f64_e64 v[52:53], v[48:49], -v[44:45]
	v_add_f64_e32 v[56:57], v[34:35], v[48:49]
	v_add_f64_e64 v[54:55], v[48:49], -v[52:53]
	v_add_f64_e64 v[46:47], v[46:47], -v[52:53]
	s_delay_alu instid0(VALU_DEP_3) | instskip(NEXT) | instid1(VALU_DEP_3)
	v_ldexp_f64 v[52:53], v[56:57], -2
	v_add_f64_e64 v[44:45], v[44:45], -v[54:55]
	v_add_f64_e32 v[54:55], v[58:59], v[60:61]
	s_delay_alu instid0(VALU_DEP_3) | instskip(NEXT) | instid1(VALU_DEP_3)
	v_cmp_neq_f64_e64 vcc_lo, 0x7ff00000, |v[52:53]|
	v_add_f64_e32 v[44:45], v[46:47], v[44:45]
	v_fract_f64_e32 v[46:47], v[52:53]
	s_delay_alu instid0(VALU_DEP_1) | instskip(NEXT) | instid1(VALU_DEP_1)
	v_ldexp_f64 v[46:47], v[46:47], 2
	v_cndmask_b32_e32 v47, 0, v47, vcc_lo
	v_add_f64_e64 v[34:35], v[56:57], -v[34:35]
	s_delay_alu instid0(VALU_DEP_3) | instskip(NEXT) | instid1(VALU_DEP_2)
	v_cndmask_b32_e32 v46, 0, v46, vcc_lo
	v_add_f64_e64 v[34:35], v[48:49], -v[34:35]
	v_add_f64_e32 v[48:49], v[54:55], v[44:45]
	s_delay_alu instid0(VALU_DEP_1) | instskip(SKIP_1) | instid1(VALU_DEP_2)
	v_add_f64_e32 v[52:53], v[34:35], v[48:49]
	v_add_f64_e64 v[62:63], v[48:49], -v[54:55]
	v_add_f64_e32 v[56:57], v[52:53], v[46:47]
	s_delay_alu instid0(VALU_DEP_2) | instskip(SKIP_2) | instid1(VALU_DEP_4)
	v_add_f64_e64 v[68:69], v[48:49], -v[62:63]
	v_add_f64_e64 v[44:45], v[44:45], -v[62:63]
	;; [unrolled: 1-line block ×3, first 2 shown]
	v_cmp_gt_f64_e32 vcc_lo, 0, v[56:57]
	v_add_f64_e64 v[56:57], v[54:55], -v[58:59]
	s_delay_alu instid0(VALU_DEP_3) | instskip(SKIP_1) | instid1(VALU_DEP_3)
	v_add_f64_e64 v[34:35], v[48:49], -v[34:35]
	v_cndmask_b32_e64 v21, 0, 0x40100000, vcc_lo
	v_add_f64_e64 v[66:67], v[54:55], -v[56:57]
	v_add_f64_e64 v[56:57], v[60:61], -v[56:57]
	;; [unrolled: 1-line block ×3, first 2 shown]
	s_delay_alu instid0(VALU_DEP_4) | instskip(NEXT) | instid1(VALU_DEP_4)
	v_add_f64_e32 v[46:47], v[46:47], v[20:21]
	v_add_f64_e64 v[60:61], v[58:59], -v[66:67]
	s_delay_alu instid0(VALU_DEP_3) | instskip(NEXT) | instid1(VALU_DEP_3)
	v_add_f64_e32 v[44:45], v[44:45], v[54:55]
	v_add_f64_e32 v[64:65], v[52:53], v[46:47]
	s_delay_alu instid0(VALU_DEP_3) | instskip(NEXT) | instid1(VALU_DEP_2)
	v_add_f64_e32 v[56:57], v[56:57], v[60:61]
	v_cvt_i32_f64_e32 v21, v[64:65]
	s_delay_alu instid0(VALU_DEP_2) | instskip(NEXT) | instid1(VALU_DEP_2)
	v_add_f64_e32 v[44:45], v[56:57], v[44:45]
	v_cvt_f64_i32_e32 v[62:63], v21
	s_delay_alu instid0(VALU_DEP_2) | instskip(NEXT) | instid1(VALU_DEP_2)
	v_add_f64_e32 v[32:33], v[32:33], v[44:45]
	v_add_f64_e64 v[46:47], v[46:47], -v[62:63]
	s_delay_alu instid0(VALU_DEP_2) | instskip(NEXT) | instid1(VALU_DEP_2)
	v_add_f64_e32 v[32:33], v[34:35], v[32:33]
	v_add_f64_e32 v[54:55], v[52:53], v[46:47]
	s_delay_alu instid0(VALU_DEP_1) | instskip(SKIP_1) | instid1(VALU_DEP_2)
	v_add_f64_e64 v[44:45], v[54:55], -v[46:47]
	v_cmp_le_f64_e32 vcc_lo, 0.5, v[54:55]
	v_add_f64_e64 v[34:35], v[52:53], -v[44:45]
	v_add_co_ci_u32_e64 v50, null, 0, v21, vcc_lo
	v_cndmask_b32_e64 v21, 0, 0x3ff00000, vcc_lo
	s_delay_alu instid0(VALU_DEP_3) | instskip(NEXT) | instid1(VALU_DEP_2)
	v_add_f64_e32 v[32:33], v[32:33], v[34:35]
	v_add_f64_e64 v[34:35], v[54:55], -v[20:21]
	s_delay_alu instid0(VALU_DEP_1) | instskip(NEXT) | instid1(VALU_DEP_1)
	v_add_f64_e32 v[44:45], v[34:35], v[32:33]
	v_mul_f64_e32 v[46:47], 0x3ff921fb54442d18, v[44:45]
	v_add_f64_e64 v[34:35], v[44:45], -v[34:35]
	s_delay_alu instid0(VALU_DEP_2) | instskip(NEXT) | instid1(VALU_DEP_2)
	v_fma_f64 v[48:49], v[44:45], s[2:3], -v[46:47]
	v_add_f64_e64 v[32:33], v[32:33], -v[34:35]
	s_delay_alu instid0(VALU_DEP_2) | instskip(NEXT) | instid1(VALU_DEP_1)
	v_fmac_f64_e32 v[48:49], 0x3c91a62633145c07, v[44:45]
	v_fmac_f64_e32 v[48:49], 0x3ff921fb54442d18, v[32:33]
	s_delay_alu instid0(VALU_DEP_1) | instskip(NEXT) | instid1(VALU_DEP_1)
	v_add_f64_e32 v[32:33], v[46:47], v[48:49]
	v_add_f64_e64 v[34:35], v[32:33], -v[46:47]
	s_delay_alu instid0(VALU_DEP_1)
	v_add_f64_e64 v[34:35], v[48:49], -v[34:35]
.LBB161_209:                            ;   in Loop: Header=BB161_180 Depth=1
	s_or_saveexec_b32 s1, s1
	v_mul_f64_e64 v[44:45], |v[16:17]|, s[4:5]
	s_delay_alu instid0(VALU_DEP_1)
	v_rndne_f64_e32 v[48:49], v[44:45]
	s_xor_b32 exec_lo, exec_lo, s1
	s_cbranch_execz .LBB161_211
; %bb.210:                              ;   in Loop: Header=BB161_180 Depth=1
	s_delay_alu instid0(VALU_DEP_1) | instskip(SKIP_2) | instid1(VALU_DEP_3)
	v_fma_f64 v[32:33], v[48:49], s[6:7], |v[16:17]|
	v_mul_f64_e32 v[34:35], 0xbc91a62633145c00, v[48:49]
	v_cvt_i32_f64_e32 v50, v[48:49]
	v_fmamk_f64 v[52:53], v[48:49], 0xbc91a62633145c00, v[32:33]
	s_delay_alu instid0(VALU_DEP_3) | instskip(NEXT) | instid1(VALU_DEP_1)
	v_add_f64_e32 v[44:45], v[32:33], v[34:35]
	v_add_f64_e64 v[46:47], v[32:33], -v[44:45]
	s_delay_alu instid0(VALU_DEP_3) | instskip(NEXT) | instid1(VALU_DEP_2)
	v_add_f64_e64 v[32:33], v[44:45], -v[52:53]
	v_add_f64_e32 v[44:45], v[46:47], v[34:35]
	v_fmamk_f64 v[34:35], v[48:49], 0x3c91a62633145c00, v[34:35]
	s_delay_alu instid0(VALU_DEP_2) | instskip(NEXT) | instid1(VALU_DEP_1)
	v_add_f64_e32 v[32:33], v[32:33], v[44:45]
	v_add_f64_e64 v[34:35], v[32:33], -v[34:35]
	s_delay_alu instid0(VALU_DEP_1) | instskip(NEXT) | instid1(VALU_DEP_1)
	v_fmac_f64_e32 v[34:35], 0xb97b839a252049c0, v[48:49]
	v_add_f64_e32 v[32:33], v[52:53], v[34:35]
	s_delay_alu instid0(VALU_DEP_1) | instskip(NEXT) | instid1(VALU_DEP_1)
	v_add_f64_e64 v[44:45], v[32:33], -v[52:53]
	v_add_f64_e64 v[34:35], v[34:35], -v[44:45]
.LBB161_211:                            ;   in Loop: Header=BB161_180 Depth=1
	s_or_b32 exec_lo, exec_lo, s1
                                        ; implicit-def: $vgpr52
                                        ; implicit-def: $vgpr44_vgpr45
                                        ; implicit-def: $vgpr46_vgpr47
	s_and_saveexec_b32 s1, s0
	s_delay_alu instid0(SALU_CYCLE_1)
	s_xor_b32 s0, exec_lo, s1
	s_cbranch_execz .LBB161_213
; %bb.212:                              ;   in Loop: Header=BB161_180 Depth=1
	v_cmp_le_f64_e64 vcc_lo, 0x7b000000, |v[16:17]|
	v_dual_cndmask_b32 v43, v51, v43 :: v_dual_cndmask_b32 v42, v16, v42
	s_delay_alu instid0(VALU_DEP_1) | instskip(SKIP_2) | instid1(VALU_DEP_3)
	v_mul_f64_e32 v[44:45], v[40:41], v[42:43]
	v_mul_f64_e32 v[46:47], v[38:39], v[42:43]
	;; [unrolled: 1-line block ×3, first 2 shown]
	v_fma_f64 v[40:41], v[40:41], v[42:43], -v[44:45]
	s_delay_alu instid0(VALU_DEP_3) | instskip(NEXT) | instid1(VALU_DEP_3)
	v_fma_f64 v[38:39], v[38:39], v[42:43], -v[46:47]
	v_fma_f64 v[36:37], v[36:37], v[42:43], -v[58:59]
	s_delay_alu instid0(VALU_DEP_3) | instskip(NEXT) | instid1(VALU_DEP_1)
	v_add_f64_e32 v[48:49], v[46:47], v[40:41]
	v_add_f64_e64 v[52:53], v[48:49], -v[46:47]
	v_add_f64_e32 v[56:57], v[44:45], v[48:49]
	s_delay_alu instid0(VALU_DEP_2) | instskip(SKIP_1) | instid1(VALU_DEP_3)
	v_add_f64_e64 v[54:55], v[48:49], -v[52:53]
	v_add_f64_e64 v[40:41], v[40:41], -v[52:53]
	v_ldexp_f64 v[52:53], v[56:57], -2
	v_add_f64_e64 v[44:45], v[56:57], -v[44:45]
	s_delay_alu instid0(VALU_DEP_4) | instskip(SKIP_1) | instid1(VALU_DEP_4)
	v_add_f64_e64 v[46:47], v[46:47], -v[54:55]
	v_add_f64_e32 v[54:55], v[58:59], v[38:39]
	v_cmp_neq_f64_e64 vcc_lo, 0x7ff00000, |v[52:53]|
	s_delay_alu instid0(VALU_DEP_3) | instskip(SKIP_1) | instid1(VALU_DEP_1)
	v_add_f64_e32 v[40:41], v[40:41], v[46:47]
	v_fract_f64_e32 v[46:47], v[52:53]
	v_ldexp_f64 v[46:47], v[46:47], 2
	s_delay_alu instid0(VALU_DEP_1) | instskip(NEXT) | instid1(VALU_DEP_2)
	v_dual_add_f64 v[44:45], v[48:49], -v[44:45] :: v_dual_cndmask_b32 v47, 0, v47, vcc_lo
	v_dual_add_f64 v[48:49], v[54:55], v[40:41] :: v_dual_cndmask_b32 v46, 0, v46, vcc_lo
	s_delay_alu instid0(VALU_DEP_1) | instskip(SKIP_1) | instid1(VALU_DEP_2)
	v_add_f64_e32 v[52:53], v[44:45], v[48:49]
	v_add_f64_e64 v[60:61], v[48:49], -v[54:55]
	v_add_f64_e32 v[56:57], v[52:53], v[46:47]
	s_delay_alu instid0(VALU_DEP_2) | instskip(SKIP_2) | instid1(VALU_DEP_4)
	v_add_f64_e64 v[66:67], v[48:49], -v[60:61]
	v_add_f64_e64 v[40:41], v[40:41], -v[60:61]
	;; [unrolled: 1-line block ×3, first 2 shown]
	v_cmp_gt_f64_e32 vcc_lo, 0, v[56:57]
	v_add_f64_e64 v[56:57], v[54:55], -v[58:59]
	s_delay_alu instid0(VALU_DEP_3) | instskip(SKIP_1) | instid1(VALU_DEP_3)
	v_add_f64_e64 v[42:43], v[48:49], -v[42:43]
                                        ; implicit-def: $vgpr48_vgpr49
	v_cndmask_b32_e64 v21, 0, 0x40100000, vcc_lo
	v_add_f64_e64 v[64:65], v[54:55], -v[56:57]
	v_add_f64_e64 v[38:39], v[38:39], -v[56:57]
	;; [unrolled: 1-line block ×3, first 2 shown]
	s_delay_alu instid0(VALU_DEP_4) | instskip(NEXT) | instid1(VALU_DEP_4)
	v_add_f64_e32 v[46:47], v[46:47], v[20:21]
	v_add_f64_e64 v[56:57], v[58:59], -v[64:65]
	s_delay_alu instid0(VALU_DEP_3) | instskip(NEXT) | instid1(VALU_DEP_3)
	v_add_f64_e32 v[40:41], v[40:41], v[54:55]
	v_add_f64_e32 v[62:63], v[52:53], v[46:47]
	s_delay_alu instid0(VALU_DEP_3) | instskip(NEXT) | instid1(VALU_DEP_2)
	v_add_f64_e32 v[38:39], v[38:39], v[56:57]
	v_cvt_i32_f64_e32 v21, v[62:63]
	s_delay_alu instid0(VALU_DEP_2) | instskip(NEXT) | instid1(VALU_DEP_2)
	v_add_f64_e32 v[38:39], v[38:39], v[40:41]
	v_cvt_f64_i32_e32 v[60:61], v21
	s_delay_alu instid0(VALU_DEP_2) | instskip(NEXT) | instid1(VALU_DEP_2)
	v_add_f64_e32 v[36:37], v[36:37], v[38:39]
	v_add_f64_e64 v[46:47], v[46:47], -v[60:61]
	s_delay_alu instid0(VALU_DEP_2) | instskip(NEXT) | instid1(VALU_DEP_2)
	v_add_f64_e32 v[36:37], v[42:43], v[36:37]
	v_add_f64_e32 v[40:41], v[52:53], v[46:47]
	s_delay_alu instid0(VALU_DEP_1) | instskip(SKIP_1) | instid1(VALU_DEP_2)
	v_add_f64_e64 v[38:39], v[40:41], -v[46:47]
	v_cmp_le_f64_e32 vcc_lo, 0.5, v[40:41]
	v_add_f64_e64 v[38:39], v[52:53], -v[38:39]
	v_add_co_ci_u32_e64 v52, null, 0, v21, vcc_lo
	v_cndmask_b32_e64 v21, 0, 0x3ff00000, vcc_lo
	s_delay_alu instid0(VALU_DEP_3) | instskip(NEXT) | instid1(VALU_DEP_2)
	v_add_f64_e32 v[36:37], v[36:37], v[38:39]
	v_add_f64_e64 v[38:39], v[40:41], -v[20:21]
	s_delay_alu instid0(VALU_DEP_1) | instskip(NEXT) | instid1(VALU_DEP_1)
	v_add_f64_e32 v[40:41], v[38:39], v[36:37]
	v_mul_f64_e32 v[42:43], 0x3ff921fb54442d18, v[40:41]
	v_add_f64_e64 v[38:39], v[40:41], -v[38:39]
	s_delay_alu instid0(VALU_DEP_2) | instskip(NEXT) | instid1(VALU_DEP_2)
	v_fma_f64 v[46:47], v[40:41], s[2:3], -v[42:43]
	v_add_f64_e64 v[36:37], v[36:37], -v[38:39]
	s_delay_alu instid0(VALU_DEP_2) | instskip(NEXT) | instid1(VALU_DEP_1)
	v_fmac_f64_e32 v[46:47], 0x3c91a62633145c07, v[40:41]
	v_fmac_f64_e32 v[46:47], 0x3ff921fb54442d18, v[36:37]
	s_delay_alu instid0(VALU_DEP_1) | instskip(NEXT) | instid1(VALU_DEP_1)
	v_add_f64_e32 v[44:45], v[42:43], v[46:47]
	v_add_f64_e64 v[36:37], v[44:45], -v[42:43]
	s_delay_alu instid0(VALU_DEP_1)
	v_add_f64_e64 v[46:47], v[46:47], -v[36:37]
	s_and_not1_saveexec_b32 s0, s0
	s_cbranch_execnz .LBB161_214
	s_branch .LBB161_215
.LBB161_213:                            ;   in Loop: Header=BB161_180 Depth=1
	s_and_not1_saveexec_b32 s0, s0
	s_cbranch_execz .LBB161_215
.LBB161_214:                            ;   in Loop: Header=BB161_180 Depth=1
	s_delay_alu instid0(VALU_DEP_1) | instskip(SKIP_2) | instid1(VALU_DEP_2)
	v_fma_f64 v[36:37], v[48:49], s[6:7], |v[16:17]|
	v_mul_f64_e32 v[38:39], 0xbc91a62633145c00, v[48:49]
	v_cvt_i32_f64_e32 v52, v[48:49]
	v_add_f64_e32 v[40:41], v[36:37], v[38:39]
	s_delay_alu instid0(VALU_DEP_1) | instskip(SKIP_1) | instid1(VALU_DEP_1)
	v_add_f64_e64 v[42:43], v[36:37], -v[40:41]
	v_fmamk_f64 v[36:37], v[48:49], 0xbc91a62633145c00, v[36:37]
	v_add_f64_e64 v[40:41], v[40:41], -v[36:37]
	s_delay_alu instid0(VALU_DEP_3) | instskip(SKIP_1) | instid1(VALU_DEP_2)
	v_add_f64_e32 v[42:43], v[42:43], v[38:39]
	v_fmamk_f64 v[38:39], v[48:49], 0x3c91a62633145c00, v[38:39]
	v_add_f64_e32 v[40:41], v[40:41], v[42:43]
	s_delay_alu instid0(VALU_DEP_1) | instskip(NEXT) | instid1(VALU_DEP_1)
	v_add_f64_e64 v[38:39], v[40:41], -v[38:39]
	v_fmac_f64_e32 v[38:39], 0xb97b839a252049c0, v[48:49]
	s_delay_alu instid0(VALU_DEP_1) | instskip(NEXT) | instid1(VALU_DEP_1)
	v_add_f64_e32 v[44:45], v[36:37], v[38:39]
	v_add_f64_e64 v[36:37], v[44:45], -v[36:37]
	s_delay_alu instid0(VALU_DEP_1)
	v_add_f64_e64 v[46:47], v[38:39], -v[36:37]
.LBB161_215:                            ;   in Loop: Header=BB161_180 Depth=1
	s_or_b32 exec_lo, exec_lo, s0
	v_dual_mul_f64 v[36:37], v[32:33], v[32:33] :: v_dual_bitop2_b32 v21, 1, v50 bitop3:0x40
	s_delay_alu instid0(VALU_DEP_2)
	v_mul_f64_e32 v[64:65], 0.5, v[46:47]
	v_cmp_class_f64_e64 s0, v[16:17], 0x1f8
	v_and_b32_e32 v16, 1, v52
	v_mul_f64_e32 v[38:39], v[44:45], v[44:45]
	v_cmp_eq_u32_e32 vcc_lo, 0, v21
	v_mul_f64_e32 v[56:57], 0.5, v[34:35]
	s_delay_alu instid0(VALU_DEP_4)
	v_cmp_eq_u32_e64 s1, 0, v16
	v_lshlrev_b32_e32 v16, 30, v52
	v_mul_f64_e32 v[40:41], 0.5, v[36:37]
	v_mul_f64_e64 v[58:59], v[32:33], -v[36:37]
	v_fmamk_f64 v[62:63], v[36:37], 0x3de5e0b2f9a43bb8, v[28:29]
	v_fmamk_f64 v[68:69], v[38:39], 0x3de5e0b2f9a43bb8, v[28:29]
	s_delay_alu instid0(VALU_DEP_2) | instskip(NEXT) | instid1(VALU_DEP_2)
	v_fmaak_f64 v[62:63], v[36:37], v[62:63], 0x3ec71de3796cde01
	v_fmaak_f64 v[68:69], v[38:39], v[68:69], 0x3ec71de3796cde01
	s_delay_alu instid0(VALU_DEP_2) | instskip(NEXT) | instid1(VALU_DEP_1)
	v_fmaak_f64 v[62:63], v[36:37], v[62:63], 0xbf2a01a019e83e5c
	v_fmaak_f64 v[62:63], v[36:37], v[62:63], 0x3f81111111110bb3
	v_add_f64_e64 v[48:49], -v[40:41], 1.0
	s_delay_alu instid0(VALU_DEP_2) | instskip(SKIP_1) | instid1(VALU_DEP_3)
	v_fmac_f64_e32 v[56:57], v[58:59], v[62:63]
	v_mul_f64_e32 v[62:63], v[36:37], v[36:37]
	v_add_f64_e64 v[60:61], -v[48:49], 1.0
	s_delay_alu instid0(VALU_DEP_3) | instskip(NEXT) | instid1(VALU_DEP_2)
	v_fma_f64 v[56:57], v[36:37], v[56:57], -v[34:35]
	v_add_f64_e64 v[40:41], v[60:61], -v[40:41]
	s_delay_alu instid0(VALU_DEP_2) | instskip(SKIP_1) | instid1(VALU_DEP_1)
	v_fmac_f64_e32 v[56:57], 0xbfc5555555555555, v[58:59]
	v_fmaak_f64 v[60:61], v[38:39], v[68:69], 0xbf2a01a019e83e5c
	v_fmaak_f64 v[60:61], v[38:39], v[60:61], 0x3f81111111110bb3
	s_delay_alu instid0(VALU_DEP_4) | instskip(NEXT) | instid1(VALU_DEP_4)
	v_fma_f64 v[34:35], v[32:33], -v[34:35], v[40:41]
	v_add_f64_e64 v[32:33], v[32:33], -v[56:57]
	v_mul_f64_e64 v[66:67], v[44:45], -v[38:39]
	s_delay_alu instid0(VALU_DEP_1) | instskip(SKIP_1) | instid1(VALU_DEP_1)
	v_fmac_f64_e32 v[64:65], v[66:67], v[60:61]
	v_fmamk_f64 v[60:61], v[36:37], 0xbda907db46cc5e42, v[26:27]
	v_fmaak_f64 v[40:41], v[36:37], v[60:61], 0xbe927e4fa17f65f6
	s_delay_alu instid0(VALU_DEP_1) | instskip(NEXT) | instid1(VALU_DEP_1)
	v_fmaak_f64 v[40:41], v[36:37], v[40:41], 0x3efa01a019f4ec90
	v_fmaak_f64 v[40:41], v[36:37], v[40:41], 0xbf56c16c16c16967
	s_delay_alu instid0(VALU_DEP_1) | instskip(NEXT) | instid1(VALU_DEP_1)
	v_fmaak_f64 v[36:37], v[36:37], v[40:41], 0x3fa5555555555555
	v_fmac_f64_e32 v[34:35], v[62:63], v[36:37]
	s_delay_alu instid0(VALU_DEP_1) | instskip(NEXT) | instid1(VALU_DEP_1)
	v_add_f64_e32 v[34:35], v[48:49], v[34:35]
	v_dual_cndmask_b32 v21, v34, v32 :: v_dual_lshlrev_b32 v32, 30, v50
	v_mul_f64_e32 v[42:43], 0.5, v[38:39]
	v_fma_f64 v[60:61], v[38:39], v[64:65], -v[46:47]
	v_fmamk_f64 v[64:65], v[38:39], 0xbda907db46cc5e42, v[26:27]
	s_delay_alu instid0(VALU_DEP_4) | instskip(SKIP_1) | instid1(VALU_DEP_3)
	v_dual_mul_f64 v[68:69], v[38:39], v[38:39] :: v_dual_bitop2_b32 v17, v32, v17 bitop3:0x14
	v_cndmask_b32_e32 v32, v35, v33, vcc_lo
	v_fmaak_f64 v[40:41], v[38:39], v[64:65], 0xbe927e4fa17f65f6
	s_delay_alu instid0(VALU_DEP_2) | instskip(NEXT) | instid1(VALU_DEP_1)
	v_bitop3_b32 v17, v32, v17, 0x80000000 bitop3:0x78
	v_cndmask_b32_e64 v17, 0x7ff80000, v17, s0
	s_delay_alu instid0(VALU_DEP_3) | instskip(NEXT) | instid1(VALU_DEP_1)
	v_fmaak_f64 v[36:37], v[38:39], v[40:41], 0x3efa01a019f4ec90
	v_fmaak_f64 v[36:37], v[38:39], v[36:37], 0xbf56c16c16c16967
	s_delay_alu instid0(VALU_DEP_1) | instskip(SKIP_2) | instid1(VALU_DEP_2)
	v_fmaak_f64 v[36:37], v[38:39], v[36:37], 0x3fa5555555555555
	v_add_f64_e64 v[54:55], -v[42:43], 1.0
	v_fmac_f64_e32 v[60:61], 0xbfc5555555555555, v[66:67]
	v_add_f64_e64 v[70:71], -v[54:55], 1.0
	s_delay_alu instid0(VALU_DEP_1) | instskip(NEXT) | instid1(VALU_DEP_1)
	v_add_f64_e64 v[42:43], v[70:71], -v[42:43]
	v_fma_f64 v[42:43], v[44:45], -v[46:47], v[42:43]
	s_delay_alu instid0(VALU_DEP_1) | instskip(SKIP_1) | instid1(VALU_DEP_2)
	v_fmac_f64_e32 v[42:43], v[68:69], v[36:37]
	v_add_f64_e64 v[36:37], v[44:45], -v[60:61]
	v_add_f64_e32 v[38:39], v[54:55], v[42:43]
	s_delay_alu instid0(VALU_DEP_2) | instskip(NEXT) | instid1(VALU_DEP_1)
	v_xor_b32_e32 v34, 0x80000000, v37
	v_dual_cndmask_b32 v34, v34, v39, s1 :: v_dual_cndmask_b32 v33, v36, v38, s1
	s_delay_alu instid0(VALU_DEP_1) | instskip(SKIP_1) | instid1(VALU_DEP_3)
	v_bitop3_b32 v34, v34, v16, 0x80000000 bitop3:0x78
	v_cndmask_b32_e64 v16, 0, v21, s0
	v_cndmask_b32_e64 v32, 0, v33, s0
	s_delay_alu instid0(VALU_DEP_3) | instskip(NEXT) | instid1(VALU_DEP_1)
	v_cndmask_b32_e64 v33, 0x7ff80000, v34, s0
	v_mul_f64_e32 v[16:17], v[16:17], v[32:33]
.LBB161_216:                            ;   in Loop: Header=BB161_180 Depth=1
	s_or_b32 exec_lo, exec_lo, s22
	s_delay_alu instid0(VALU_DEP_1) | instskip(SKIP_1) | instid1(VALU_DEP_2)
	v_bfi_b32 v21, 0x7fffffff, 0, v17
	v_add_nc_u32_e32 v15, -2.0, v15
	v_mov_b64_e32 v[16:17], v[20:21]
.LBB161_217:                            ;   in Loop: Header=BB161_180 Depth=1
	s_or_b32 exec_lo, exec_lo, s21
.LBB161_218:                            ;   in Loop: Header=BB161_180 Depth=1
	s_delay_alu instid0(SALU_CYCLE_1) | instskip(SKIP_3) | instid1(VALU_DEP_1)
	s_or_b32 exec_lo, exec_lo, s20
	s_wait_loadcnt 0x2
	v_and_b32_e32 v21, 0x7fffffff, v11
	s_mov_b32 s0, exec_lo
	v_cmpx_gt_u32_e32 0x7ff00000, v21
	s_xor_b32 s1, exec_lo, s0
	s_cbranch_execz .LBB161_240
; %bb.219:                              ;   in Loop: Header=BB161_180 Depth=1
	v_cmp_class_f64_e64 s0, v[12:13], 0x1f8
	s_and_saveexec_b32 s20, s0
	s_delay_alu instid0(SALU_CYCLE_1)
	s_xor_b32 s20, exec_lo, s20
	s_cbranch_execz .LBB161_237
; %bb.220:                              ;   in Loop: Header=BB161_180 Depth=1
	s_mov_b32 s0, exec_lo
	v_cmpx_gt_u32_e32 0x40360000, v21
	s_xor_b32 s21, exec_lo, s0
	s_cbranch_execz .LBB161_226
; %bb.221:                              ;   in Loop: Header=BB161_180 Depth=1
	v_cmp_ngt_f64_e64 s0, 0x41d00000, |v[12:13]|
                                        ; implicit-def: $vgpr36
                                        ; implicit-def: $vgpr32_vgpr33
                                        ; implicit-def: $vgpr34_vgpr35
	s_and_saveexec_b32 s22, s0
	s_delay_alu instid0(SALU_CYCLE_1)
	s_xor_b32 s0, exec_lo, s22
	s_cbranch_execz .LBB161_223
; %bb.222:                              ;   in Loop: Header=BB161_180 Depth=1
	v_ldexp_f64 v[32:33], |v[12:13]|, 0xffffff80
	v_cmp_le_f64_e64 vcc_lo, 0x7b000000, |v[12:13]|
	v_trig_preop_f64 v[34:35], |v[12:13]|, 0
	v_and_b32_e32 v21, 0x7fffffff, v13
	v_trig_preop_f64 v[36:37], |v[12:13]|, 1
	v_trig_preop_f64 v[46:47], |v[12:13]|, 2
	s_delay_alu instid0(VALU_DEP_3) | instskip(NEXT) | instid1(VALU_DEP_1)
	v_dual_cndmask_b32 v33, v21, v33 :: v_dual_cndmask_b32 v32, v12, v32
	v_mul_f64_e32 v[38:39], v[34:35], v[32:33]
	s_delay_alu instid0(VALU_DEP_4) | instskip(NEXT) | instid1(VALU_DEP_4)
	v_mul_f64_e32 v[40:41], v[36:37], v[32:33]
	v_mul_f64_e32 v[52:53], v[46:47], v[32:33]
	s_delay_alu instid0(VALU_DEP_3) | instskip(NEXT) | instid1(VALU_DEP_3)
	v_fma_f64 v[34:35], v[34:35], v[32:33], -v[38:39]
	v_fma_f64 v[36:37], v[36:37], v[32:33], -v[40:41]
	s_delay_alu instid0(VALU_DEP_3) | instskip(NEXT) | instid1(VALU_DEP_3)
	v_fma_f64 v[32:33], v[46:47], v[32:33], -v[52:53]
	v_add_f64_e32 v[42:43], v[40:41], v[34:35]
	s_delay_alu instid0(VALU_DEP_1) | instskip(SKIP_1) | instid1(VALU_DEP_2)
	v_add_f64_e64 v[44:45], v[42:43], -v[40:41]
	v_add_f64_e32 v[50:51], v[38:39], v[42:43]
	v_add_f64_e64 v[48:49], v[42:43], -v[44:45]
	v_add_f64_e64 v[34:35], v[34:35], -v[44:45]
	s_delay_alu instid0(VALU_DEP_3) | instskip(NEXT) | instid1(VALU_DEP_3)
	v_ldexp_f64 v[44:45], v[50:51], -2
	v_add_f64_e64 v[40:41], v[40:41], -v[48:49]
	v_add_f64_e32 v[48:49], v[52:53], v[36:37]
	s_delay_alu instid0(VALU_DEP_3) | instskip(NEXT) | instid1(VALU_DEP_3)
	v_cmp_neq_f64_e64 vcc_lo, 0x7ff00000, |v[44:45]|
	v_add_f64_e32 v[34:35], v[34:35], v[40:41]
	v_fract_f64_e32 v[40:41], v[44:45]
	s_delay_alu instid0(VALU_DEP_1) | instskip(NEXT) | instid1(VALU_DEP_1)
	v_ldexp_f64 v[40:41], v[40:41], 2
	v_dual_add_f64 v[38:39], v[50:51], -v[38:39] :: v_dual_cndmask_b32 v40, 0, v40, vcc_lo
	s_delay_alu instid0(VALU_DEP_1) | instskip(SKIP_1) | instid1(VALU_DEP_1)
	v_dual_add_f64 v[38:39], v[42:43], -v[38:39] :: v_dual_cndmask_b32 v41, 0, v41, vcc_lo
	v_add_f64_e32 v[42:43], v[48:49], v[34:35]
	v_add_f64_e32 v[44:45], v[38:39], v[42:43]
	v_add_f64_e64 v[54:55], v[42:43], -v[48:49]
	s_delay_alu instid0(VALU_DEP_2) | instskip(NEXT) | instid1(VALU_DEP_2)
	v_add_f64_e32 v[50:51], v[44:45], v[40:41]
	v_add_f64_e64 v[60:61], v[42:43], -v[54:55]
	v_add_f64_e64 v[34:35], v[34:35], -v[54:55]
	;; [unrolled: 1-line block ×3, first 2 shown]
	s_delay_alu instid0(VALU_DEP_4) | instskip(SKIP_2) | instid1(VALU_DEP_2)
	v_cmp_gt_f64_e32 vcc_lo, 0, v[50:51]
	v_add_f64_e64 v[50:51], v[48:49], -v[52:53]
	v_cndmask_b32_e64 v21, 0, 0x40100000, vcc_lo
	v_add_f64_e64 v[58:59], v[48:49], -v[50:51]
	v_add_f64_e64 v[36:37], v[36:37], -v[50:51]
	;; [unrolled: 1-line block ×3, first 2 shown]
	s_delay_alu instid0(VALU_DEP_4) | instskip(NEXT) | instid1(VALU_DEP_4)
	v_add_f64_e32 v[40:41], v[40:41], v[20:21]
	v_add_f64_e64 v[50:51], v[52:53], -v[58:59]
	s_delay_alu instid0(VALU_DEP_3) | instskip(NEXT) | instid1(VALU_DEP_3)
	v_add_f64_e32 v[34:35], v[34:35], v[48:49]
	v_add_f64_e32 v[56:57], v[44:45], v[40:41]
	s_delay_alu instid0(VALU_DEP_3) | instskip(NEXT) | instid1(VALU_DEP_2)
	v_add_f64_e32 v[36:37], v[36:37], v[50:51]
	v_cvt_i32_f64_e32 v21, v[56:57]
	s_delay_alu instid0(VALU_DEP_2) | instskip(SKIP_1) | instid1(VALU_DEP_3)
	v_add_f64_e32 v[34:35], v[36:37], v[34:35]
	v_add_f64_e64 v[36:37], v[42:43], -v[38:39]
	v_cvt_f64_i32_e32 v[54:55], v21
	s_delay_alu instid0(VALU_DEP_3) | instskip(NEXT) | instid1(VALU_DEP_2)
	v_add_f64_e32 v[32:33], v[32:33], v[34:35]
	v_add_f64_e64 v[40:41], v[40:41], -v[54:55]
	s_delay_alu instid0(VALU_DEP_2) | instskip(NEXT) | instid1(VALU_DEP_2)
	v_add_f64_e32 v[32:33], v[36:37], v[32:33]
	v_add_f64_e32 v[46:47], v[44:45], v[40:41]
	s_delay_alu instid0(VALU_DEP_1) | instskip(SKIP_1) | instid1(VALU_DEP_2)
	v_add_f64_e64 v[34:35], v[46:47], -v[40:41]
	v_cmp_le_f64_e32 vcc_lo, 0.5, v[46:47]
	v_add_f64_e64 v[34:35], v[44:45], -v[34:35]
	v_add_co_ci_u32_e64 v36, null, 0, v21, vcc_lo
	v_cndmask_b32_e64 v21, 0, 0x3ff00000, vcc_lo
	s_delay_alu instid0(VALU_DEP_3) | instskip(NEXT) | instid1(VALU_DEP_2)
	v_add_f64_e32 v[32:33], v[32:33], v[34:35]
	v_add_f64_e64 v[34:35], v[46:47], -v[20:21]
	s_delay_alu instid0(VALU_DEP_1) | instskip(NEXT) | instid1(VALU_DEP_1)
	v_add_f64_e32 v[38:39], v[34:35], v[32:33]
	v_mul_f64_e32 v[40:41], 0x3ff921fb54442d18, v[38:39]
	v_add_f64_e64 v[34:35], v[38:39], -v[34:35]
	s_delay_alu instid0(VALU_DEP_2) | instskip(NEXT) | instid1(VALU_DEP_2)
	v_fma_f64 v[42:43], v[38:39], s[2:3], -v[40:41]
	v_add_f64_e64 v[32:33], v[32:33], -v[34:35]
	s_delay_alu instid0(VALU_DEP_2) | instskip(NEXT) | instid1(VALU_DEP_1)
	v_fmac_f64_e32 v[42:43], 0x3c91a62633145c07, v[38:39]
	v_fmac_f64_e32 v[42:43], 0x3ff921fb54442d18, v[32:33]
	s_delay_alu instid0(VALU_DEP_1) | instskip(NEXT) | instid1(VALU_DEP_1)
	v_add_f64_e32 v[32:33], v[40:41], v[42:43]
	v_add_f64_e64 v[34:35], v[32:33], -v[40:41]
	s_delay_alu instid0(VALU_DEP_1)
	v_add_f64_e64 v[34:35], v[42:43], -v[34:35]
.LBB161_223:                            ;   in Loop: Header=BB161_180 Depth=1
	s_and_not1_saveexec_b32 s0, s0
	s_cbranch_execz .LBB161_225
; %bb.224:                              ;   in Loop: Header=BB161_180 Depth=1
	v_mul_f64_e64 v[32:33], |v[12:13]|, s[4:5]
	s_delay_alu instid0(VALU_DEP_1) | instskip(NEXT) | instid1(VALU_DEP_1)
	v_rndne_f64_e32 v[36:37], v[32:33]
	v_fma_f64 v[32:33], v[36:37], s[6:7], |v[12:13]|
	v_mul_f64_e32 v[34:35], 0xbc91a62633145c00, v[36:37]
	s_delay_alu instid0(VALU_DEP_2) | instskip(NEXT) | instid1(VALU_DEP_2)
	v_fmamk_f64 v[42:43], v[36:37], 0xbc91a62633145c00, v[32:33]
	v_add_f64_e32 v[38:39], v[32:33], v[34:35]
	s_delay_alu instid0(VALU_DEP_1) | instskip(NEXT) | instid1(VALU_DEP_3)
	v_add_f64_e64 v[40:41], v[32:33], -v[38:39]
	v_add_f64_e64 v[32:33], v[38:39], -v[42:43]
	s_delay_alu instid0(VALU_DEP_2) | instskip(SKIP_1) | instid1(VALU_DEP_2)
	v_add_f64_e32 v[38:39], v[40:41], v[34:35]
	v_fmamk_f64 v[34:35], v[36:37], 0x3c91a62633145c00, v[34:35]
	v_add_f64_e32 v[32:33], v[32:33], v[38:39]
	s_delay_alu instid0(VALU_DEP_1) | instskip(NEXT) | instid1(VALU_DEP_1)
	v_add_f64_e64 v[34:35], v[32:33], -v[34:35]
	v_fmac_f64_e32 v[34:35], 0xb97b839a252049c0, v[36:37]
	v_cvt_i32_f64_e32 v36, v[36:37]
	s_delay_alu instid0(VALU_DEP_2) | instskip(NEXT) | instid1(VALU_DEP_1)
	v_add_f64_e32 v[32:33], v[42:43], v[34:35]
	v_add_f64_e64 v[38:39], v[32:33], -v[42:43]
	s_delay_alu instid0(VALU_DEP_1)
	v_add_f64_e64 v[34:35], v[34:35], -v[38:39]
.LBB161_225:                            ;   in Loop: Header=BB161_180 Depth=1
	s_or_b32 exec_lo, exec_lo, s0
	v_add_f64_e64 v[38:39], |v[10:11]|, s[8:9]
	v_cmp_nge_f64_e64 vcc_lo, |v[10:11]|, s[10:11]
	v_and_b32_e32 v37, 0x7fffffff, v11
	v_mul_f64_e32 v[56:57], v[32:33], v[32:33]
	v_add_f64_e32 v[58:59], v[34:35], v[34:35]
	v_add_f64_e64 v[40:41], v[38:39], -|v[10:11]|
	s_delay_alu instid0(VALU_DEP_3) | instskip(NEXT) | instid1(VALU_DEP_2)
	v_fma_f64 v[60:61], v[32:33], v[32:33], -v[56:57]
	v_add_f64_e64 v[42:43], v[40:41], -v[38:39]
	v_add_f64_e32 v[40:41], 0x3fe62e42fefa39ef, v[40:41]
	s_delay_alu instid0(VALU_DEP_3) | instskip(NEXT) | instid1(VALU_DEP_3)
	v_fmac_f64_e32 v[60:61], v[32:33], v[58:59]
	v_add_f64_e64 v[42:43], |v[10:11]|, v[42:43]
	s_delay_alu instid0(VALU_DEP_2) | instskip(NEXT) | instid1(VALU_DEP_2)
	v_add_f64_e32 v[56:57], v[56:57], v[60:61]
	v_add_f64_e64 v[40:41], v[42:43], -v[40:41]
	s_delay_alu instid0(VALU_DEP_2) | instskip(NEXT) | instid1(VALU_DEP_1)
	v_fmamk_f64 v[60:61], v[56:57], 0x3ef5e089c751c08c, v[22:23]
	v_fmaak_f64 v[60:61], v[56:57], v[60:61], 0x3f17746f90a8aae0
	s_delay_alu instid0(VALU_DEP_1) | instskip(NEXT) | instid1(VALU_DEP_4)
	v_fmaak_f64 v[60:61], v[56:57], v[60:61], 0xbefbb44da6fbf144
	v_add_f64_e32 v[40:41], 0xbc7abc9e3b39803f, v[40:41]
	s_delay_alu instid0(VALU_DEP_1) | instskip(NEXT) | instid1(VALU_DEP_1)
	v_add_f64_e32 v[42:43], v[38:39], v[40:41]
	v_mul_f64_e32 v[44:45], 0x3ff71547652b82fe, v[42:43]
	v_add_f64_e64 v[38:39], v[38:39], -v[42:43]
	s_delay_alu instid0(VALU_DEP_2) | instskip(NEXT) | instid1(VALU_DEP_2)
	v_rndne_f64_e32 v[44:45], v[44:45]
	v_add_f64_e32 v[38:39], v[40:41], v[38:39]
	s_delay_alu instid0(VALU_DEP_2) | instskip(SKIP_2) | instid1(VALU_DEP_3)
	v_fmac_f64_e32 v[42:43], 0xbfe62e42fefa3000, v[44:45]
	v_mul_f64_e32 v[40:41], 0xbd53de6af278e000, v[44:45]
	v_cvt_i32_f64_e32 v12, v[44:45]
	v_add_f64_e32 v[46:47], v[38:39], v[42:43]
	s_delay_alu instid0(VALU_DEP_1) | instskip(SKIP_1) | instid1(VALU_DEP_2)
	v_add_f64_e32 v[48:49], v[46:47], v[40:41]
	v_add_f64_e64 v[42:43], v[42:43], -v[46:47]
	v_add_f64_e64 v[46:47], v[46:47], -v[48:49]
	s_delay_alu instid0(VALU_DEP_2) | instskip(NEXT) | instid1(VALU_DEP_2)
	v_add_f64_e32 v[38:39], v[38:39], v[42:43]
	v_add_f64_e32 v[40:41], v[46:47], v[40:41]
	s_delay_alu instid0(VALU_DEP_1) | instskip(SKIP_1) | instid1(VALU_DEP_2)
	v_add_f64_e32 v[38:39], v[38:39], v[40:41]
	v_mul_f64_e32 v[40:41], 0xbac9cc01f97b57a0, v[44:45]
	v_add_f64_e32 v[42:43], v[48:49], v[38:39]
	s_delay_alu instid0(VALU_DEP_1) | instskip(SKIP_1) | instid1(VALU_DEP_2)
	v_add_f64_e32 v[46:47], v[42:43], v[40:41]
	v_add_f64_e64 v[48:49], v[48:49], -v[42:43]
	v_add_f64_e64 v[42:43], v[42:43], -v[46:47]
	s_delay_alu instid0(VALU_DEP_2) | instskip(NEXT) | instid1(VALU_DEP_2)
	v_add_f64_e32 v[38:39], v[38:39], v[48:49]
	v_add_f64_e32 v[40:41], v[42:43], v[40:41]
	s_delay_alu instid0(VALU_DEP_1) | instskip(NEXT) | instid1(VALU_DEP_1)
	v_add_f64_e32 v[38:39], v[38:39], v[40:41]
	v_add_f64_e32 v[40:41], v[46:47], v[38:39]
	s_delay_alu instid0(VALU_DEP_1) | instskip(SKIP_1) | instid1(VALU_DEP_2)
	v_add_f64_e64 v[42:43], v[46:47], -v[40:41]
	v_mul_f64_e32 v[46:47], v[40:41], v[40:41]
	v_add_f64_e32 v[38:39], v[38:39], v[42:43]
	s_delay_alu instid0(VALU_DEP_2) | instskip(NEXT) | instid1(VALU_DEP_2)
	v_fma_f64 v[42:43], v[40:41], v[40:41], -v[46:47]
	v_add_f64_e32 v[48:49], v[38:39], v[38:39]
	s_delay_alu instid0(VALU_DEP_1) | instskip(SKIP_1) | instid1(VALU_DEP_1)
	v_fmac_f64_e32 v[42:43], v[40:41], v[48:49]
	v_fmamk_f64 v[48:49], v[40:41], 0x3e5ade156a5dcb37, v[24:25]
	v_fmaak_f64 v[48:49], v[40:41], v[48:49], 0x3ec71dee623fde64
	s_delay_alu instid0(VALU_DEP_1) | instskip(NEXT) | instid1(VALU_DEP_1)
	v_fmaak_f64 v[48:49], v[40:41], v[48:49], 0x3efa01997c89e6b0
	v_fmaak_f64 v[48:49], v[40:41], v[48:49], 0x3f2a01a014761f6e
	s_delay_alu instid0(VALU_DEP_1) | instskip(SKIP_1) | instid1(VALU_DEP_2)
	v_fmaak_f64 v[48:49], v[40:41], v[48:49], 0x3f56c16c1852b7b0
	v_add_f64_e32 v[50:51], v[46:47], v[42:43]
	v_fmaak_f64 v[48:49], v[40:41], v[48:49], 0x3f81111111122322
	s_delay_alu instid0(VALU_DEP_1) | instskip(NEXT) | instid1(VALU_DEP_1)
	v_fmaak_f64 v[48:49], v[40:41], v[48:49], 0x3fa55555555502a1
	v_fmaak_f64 v[48:49], v[40:41], v[48:49], 0x3fc5555555555511
	s_delay_alu instid0(VALU_DEP_1) | instskip(SKIP_1) | instid1(VALU_DEP_2)
	v_fmaak_f64 v[48:49], v[40:41], v[48:49], 0x3fe000000000000b
	v_add_f64_e64 v[46:47], v[50:51], -v[46:47]
	v_mul_f64_e32 v[52:53], v[50:51], v[48:49]
	s_delay_alu instid0(VALU_DEP_2) | instskip(NEXT) | instid1(VALU_DEP_2)
	v_add_f64_e64 v[42:43], v[42:43], -v[46:47]
	v_fma_f64 v[46:47], v[50:51], v[48:49], -v[52:53]
	s_delay_alu instid0(VALU_DEP_1) | instskip(NEXT) | instid1(VALU_DEP_1)
	v_fmac_f64_e32 v[46:47], v[42:43], v[48:49]
	v_add_f64_e32 v[42:43], v[52:53], v[46:47]
	s_delay_alu instid0(VALU_DEP_1) | instskip(SKIP_1) | instid1(VALU_DEP_2)
	v_add_f64_e32 v[48:49], v[40:41], v[42:43]
	v_add_f64_e64 v[50:51], v[42:43], -v[52:53]
	v_add_f64_e64 v[40:41], v[48:49], -v[40:41]
	s_delay_alu instid0(VALU_DEP_2) | instskip(NEXT) | instid1(VALU_DEP_2)
	v_add_f64_e64 v[46:47], v[46:47], -v[50:51]
	v_add_f64_e64 v[40:41], v[42:43], -v[40:41]
	s_delay_alu instid0(VALU_DEP_2) | instskip(NEXT) | instid1(VALU_DEP_1)
	v_add_f64_e32 v[38:39], v[38:39], v[46:47]
	v_add_f64_e32 v[38:39], v[38:39], v[40:41]
	s_delay_alu instid0(VALU_DEP_1) | instskip(NEXT) | instid1(VALU_DEP_1)
	v_add_f64_e32 v[40:41], v[48:49], v[38:39]
	v_add_f64_e32 v[42:43], 1.0, v[40:41]
	v_add_f64_e64 v[46:47], v[40:41], -v[48:49]
	s_delay_alu instid0(VALU_DEP_2) | instskip(NEXT) | instid1(VALU_DEP_2)
	v_add_f64_e32 v[48:49], -1.0, v[42:43]
	v_add_f64_e64 v[38:39], v[38:39], -v[46:47]
	s_delay_alu instid0(VALU_DEP_2) | instskip(NEXT) | instid1(VALU_DEP_1)
	v_add_f64_e64 v[40:41], v[40:41], -v[48:49]
	v_add_f64_e32 v[38:39], v[38:39], v[40:41]
	s_delay_alu instid0(VALU_DEP_1) | instskip(NEXT) | instid1(VALU_DEP_1)
	v_add_f64_e32 v[40:41], v[42:43], v[38:39]
	v_ldexp_f64 v[44:45], v[40:41], v12
	v_add_f64_e64 v[40:41], v[40:41], -v[42:43]
	s_delay_alu instid0(VALU_DEP_2) | instskip(NEXT) | instid1(VALU_DEP_1)
	v_rcp_f64_e32 v[46:47], v[44:45]
	v_add_f64_e64 v[38:39], v[38:39], -v[40:41]
	s_delay_alu instid0(VALU_DEP_1) | instskip(NEXT) | instid1(TRANS32_DEP_1)
	v_ldexp_f64 v[38:39], v[38:39], v12
	v_fma_f64 v[48:49], -v[44:45], v[46:47], 1.0
	s_delay_alu instid0(VALU_DEP_1) | instskip(NEXT) | instid1(VALU_DEP_1)
	v_fmac_f64_e32 v[46:47], v[48:49], v[46:47]
	v_fma_f64 v[48:49], -v[44:45], v[46:47], 1.0
	s_delay_alu instid0(VALU_DEP_1) | instskip(NEXT) | instid1(VALU_DEP_1)
	v_fmac_f64_e32 v[46:47], v[48:49], v[46:47]
	v_mul_f64_e32 v[40:41], v[44:45], v[46:47]
	s_delay_alu instid0(VALU_DEP_1) | instskip(NEXT) | instid1(VALU_DEP_1)
	v_fma_f64 v[42:43], v[46:47], v[44:45], -v[40:41]
	v_fmac_f64_e32 v[42:43], v[46:47], v[38:39]
	s_delay_alu instid0(VALU_DEP_1) | instskip(NEXT) | instid1(VALU_DEP_1)
	v_add_f64_e32 v[48:49], v[40:41], v[42:43]
	v_add_f64_e64 v[50:51], -v[48:49], 1.0
	v_add_f64_e64 v[40:41], v[48:49], -v[40:41]
	s_delay_alu instid0(VALU_DEP_2) | instskip(NEXT) | instid1(VALU_DEP_2)
	v_add_f64_e64 v[52:53], -v[50:51], 1.0
	v_add_f64_e64 v[40:41], v[40:41], -v[42:43]
	s_delay_alu instid0(VALU_DEP_2) | instskip(NEXT) | instid1(VALU_DEP_1)
	v_add_f64_e64 v[42:43], v[52:53], -v[48:49]
	v_add_f64_e32 v[40:41], v[40:41], v[42:43]
	s_delay_alu instid0(VALU_DEP_1) | instskip(NEXT) | instid1(VALU_DEP_1)
	v_add_f64_e32 v[42:43], v[50:51], v[40:41]
	v_mul_f64_e32 v[48:49], v[46:47], v[42:43]
	v_add_f64_e64 v[50:51], v[50:51], -v[42:43]
	s_delay_alu instid0(VALU_DEP_2) | instskip(NEXT) | instid1(VALU_DEP_2)
	v_mul_f64_e32 v[52:53], v[44:45], v[48:49]
	v_add_f64_e32 v[40:41], v[40:41], v[50:51]
	s_delay_alu instid0(VALU_DEP_2) | instskip(NEXT) | instid1(VALU_DEP_1)
	v_fma_f64 v[54:55], v[48:49], v[44:45], -v[52:53]
	v_fmac_f64_e32 v[54:55], v[48:49], v[38:39]
	s_delay_alu instid0(VALU_DEP_1) | instskip(NEXT) | instid1(VALU_DEP_1)
	v_add_f64_e32 v[62:63], v[52:53], v[54:55]
	v_add_f64_e64 v[58:59], v[42:43], -v[62:63]
	v_add_f64_e64 v[50:51], v[62:63], -v[52:53]
	v_fmaak_f64 v[52:53], v[56:57], v[60:61], 0x3f21e634a7943acf
	s_delay_alu instid0(VALU_DEP_1) | instskip(NEXT) | instid1(VALU_DEP_1)
	v_fmaak_f64 v[52:53], v[56:57], v[52:53], 0x3f2d250fdeb68feb
	v_fmaak_f64 v[52:53], v[56:57], v[52:53], 0x3f437fd9b58c4d95
	s_delay_alu instid0(VALU_DEP_1) | instskip(NEXT) | instid1(VALU_DEP_1)
	v_fmaak_f64 v[52:53], v[56:57], v[52:53], 0x3f57d5af15120e2c
	v_fmaak_f64 v[52:53], v[56:57], v[52:53], 0x3f6d6d93e09491df
	v_add_f64_e64 v[42:43], v[42:43], -v[58:59]
	v_add_f64_e64 v[50:51], v[50:51], -v[54:55]
	s_delay_alu instid0(VALU_DEP_2) | instskip(NEXT) | instid1(VALU_DEP_1)
	v_add_f64_e64 v[42:43], v[42:43], -v[62:63]
	v_add_f64_e32 v[40:41], v[40:41], v[42:43]
	v_fmaak_f64 v[42:43], v[56:57], v[52:53], 0x3f8226e12033784d
	v_add_f64_e32 v[52:53], v[46:47], v[48:49]
	s_delay_alu instid0(VALU_DEP_2) | instskip(NEXT) | instid1(VALU_DEP_1)
	v_fmaak_f64 v[42:43], v[56:57], v[42:43], 0x3f9664f49ac36ae2
	v_fmaak_f64 v[42:43], v[56:57], v[42:43], 0x3faba1ba1b451c21
	s_delay_alu instid0(VALU_DEP_1) | instskip(NEXT) | instid1(VALU_DEP_1)
	v_fmaak_f64 v[42:43], v[56:57], v[42:43], 0x3fc11111111185b7
	v_fmaak_f64 v[42:43], v[56:57], v[42:43], 0x3fd55555555554ee
	v_add_f64_e32 v[40:41], v[50:51], v[40:41]
	v_add_f64_e64 v[50:51], v[52:53], -v[46:47]
	s_delay_alu instid0(VALU_DEP_3) | instskip(NEXT) | instid1(VALU_DEP_3)
	v_mul_f64_e32 v[42:43], v[56:57], v[42:43]
	v_add_f64_e32 v[40:41], v[58:59], v[40:41]
	s_delay_alu instid0(VALU_DEP_3) | instskip(NEXT) | instid1(VALU_DEP_3)
	v_add_f64_e64 v[48:49], v[48:49], -v[50:51]
	v_mul_f64_e32 v[54:55], v[32:33], v[42:43]
	s_delay_alu instid0(VALU_DEP_3) | instskip(NEXT) | instid1(VALU_DEP_2)
	v_mul_f64_e32 v[40:41], v[46:47], v[40:41]
	v_add_f64_e32 v[46:47], v[32:33], v[54:55]
	v_fma_f64 v[42:43], v[32:33], v[42:43], -v[54:55]
	s_delay_alu instid0(VALU_DEP_3) | instskip(NEXT) | instid1(VALU_DEP_3)
	v_add_f64_e32 v[40:41], v[48:49], v[40:41]
	v_add_f64_e64 v[32:33], v[46:47], -v[32:33]
	s_delay_alu instid0(VALU_DEP_3) | instskip(NEXT) | instid1(VALU_DEP_3)
	v_add_f64_e32 v[34:35], v[34:35], v[42:43]
	v_add_f64_e32 v[48:49], v[52:53], v[40:41]
	s_delay_alu instid0(VALU_DEP_3) | instskip(NEXT) | instid1(VALU_DEP_2)
	v_add_f64_e64 v[32:33], v[54:55], -v[32:33]
	v_ldexp_f64 v[42:43], v[48:49], -2
	v_add_f64_e64 v[48:49], v[48:49], -v[52:53]
	s_delay_alu instid0(VALU_DEP_3) | instskip(NEXT) | instid1(VALU_DEP_3)
	v_add_f64_e32 v[32:33], v[34:35], v[32:33]
	v_add_f64_e64 v[34:35], v[44:45], -v[42:43]
	s_delay_alu instid0(VALU_DEP_3) | instskip(NEXT) | instid1(VALU_DEP_3)
	v_add_f64_e64 v[40:41], v[40:41], -v[48:49]
	v_add_f64_e32 v[50:51], v[46:47], v[32:33]
	s_delay_alu instid0(VALU_DEP_3) | instskip(NEXT) | instid1(VALU_DEP_3)
	v_add_f64_e64 v[44:45], v[44:45], -v[34:35]
	v_ldexp_f64 v[40:41], v[40:41], -2
	s_delay_alu instid0(VALU_DEP_3) | instskip(NEXT) | instid1(VALU_DEP_2)
	v_rcp_f64_e32 v[52:53], v[50:51]
	v_add_f64_e64 v[42:43], v[44:45], -v[42:43]
	s_delay_alu instid0(TRANS32_DEP_1) | instskip(NEXT) | instid1(VALU_DEP_2)
	v_fma_f64 v[44:45], -v[50:51], v[52:53], 1.0
	v_add_f64_e32 v[38:39], v[38:39], v[42:43]
	s_delay_alu instid0(VALU_DEP_2) | instskip(NEXT) | instid1(VALU_DEP_2)
	v_fmac_f64_e32 v[52:53], v[44:45], v[52:53]
	v_add_f64_e64 v[38:39], v[38:39], -v[40:41]
	s_delay_alu instid0(VALU_DEP_2) | instskip(NEXT) | instid1(VALU_DEP_2)
	v_fma_f64 v[40:41], -v[50:51], v[52:53], 1.0
	v_add_f64_e32 v[34:35], v[34:35], v[38:39]
	s_delay_alu instid0(VALU_DEP_2) | instskip(NEXT) | instid1(VALU_DEP_2)
	v_fmac_f64_e32 v[52:53], v[40:41], v[52:53]
	v_cndmask_b32_e32 v12, 0x7ff00000, v35, vcc_lo
	s_delay_alu instid0(VALU_DEP_3) | instskip(SKIP_3) | instid1(VALU_DEP_3)
	v_cndmask_b32_e32 v21, 0, v34, vcc_lo
	v_cmp_gt_f64_e64 vcc_lo, 0x3e400000, |v[10:11]|
	v_add_f64_e64 v[34:35], v[50:51], -v[46:47]
	v_mul_f64_e32 v[38:39], v[50:51], v[52:53]
	v_dual_cndmask_b32 v12, v12, v37, vcc_lo :: v_dual_cndmask_b32 v10, v21, v10, vcc_lo
	s_delay_alu instid0(VALU_DEP_3) | instskip(NEXT) | instid1(VALU_DEP_2)
	v_add_f64_e64 v[32:33], v[32:33], -v[34:35]
	v_bfi_b32 v11, 0x7fffffff, v12, v11
	s_delay_alu instid0(VALU_DEP_4) | instskip(NEXT) | instid1(VALU_DEP_2)
	v_fma_f64 v[34:35], v[52:53], v[50:51], -v[38:39]
	v_fma_f64 v[40:41], v[10:11], v[10:11], 1.0
	s_delay_alu instid0(VALU_DEP_2) | instskip(NEXT) | instid1(VALU_DEP_2)
	v_fmac_f64_e32 v[34:35], v[52:53], v[32:33]
	v_cmp_gt_f64_e32 vcc_lo, 0x10000000, v[40:41]
	v_cndmask_b32_e64 v12, 0, 0x100, vcc_lo
	s_delay_alu instid0(VALU_DEP_1) | instskip(NEXT) | instid1(VALU_DEP_4)
	v_ldexp_f64 v[32:33], v[40:41], v12
	v_dual_add_f64 v[40:41], v[38:39], v[34:35] :: v_dual_bitop2_b32 v12, 1, v36 bitop3:0x40
	s_delay_alu instid0(VALU_DEP_1) | instskip(NEXT) | instid1(VALU_DEP_3)
	v_cmp_eq_u32_e64 s0, 0, v12
	v_rsq_f64_e32 v[42:43], v[32:33]
	s_delay_alu instid0(VALU_DEP_2) | instskip(SKIP_1) | instid1(VALU_DEP_2)
	v_add_f64_e64 v[44:45], -v[40:41], 1.0
	v_add_f64_e64 v[38:39], v[40:41], -v[38:39]
	v_add_f64_e64 v[48:49], -v[44:45], 1.0
	s_delay_alu instid0(VALU_DEP_2) | instskip(NEXT) | instid1(TRANS32_DEP_1)
	v_add_f64_e64 v[34:35], v[38:39], -v[34:35]
	v_mul_f64_e32 v[46:47], v[32:33], v[42:43]
	v_mul_f64_e32 v[42:43], 0.5, v[42:43]
	s_delay_alu instid0(VALU_DEP_4) | instskip(NEXT) | instid1(VALU_DEP_2)
	v_add_f64_e64 v[38:39], v[48:49], -v[40:41]
	v_fma_f64 v[54:55], -v[42:43], v[46:47], 0.5
	s_delay_alu instid0(VALU_DEP_2) | instskip(NEXT) | instid1(VALU_DEP_2)
	v_add_f64_e32 v[34:35], v[34:35], v[38:39]
	v_fmac_f64_e32 v[46:47], v[46:47], v[54:55]
	v_fmac_f64_e32 v[42:43], v[42:43], v[54:55]
	s_delay_alu instid0(VALU_DEP_3) | instskip(NEXT) | instid1(VALU_DEP_3)
	v_add_f64_e32 v[34:35], v[44:45], v[34:35]
	v_fma_f64 v[38:39], -v[46:47], v[46:47], v[32:33]
	s_delay_alu instid0(VALU_DEP_2) | instskip(NEXT) | instid1(VALU_DEP_2)
	v_mul_f64_e32 v[34:35], v[52:53], v[34:35]
	v_fmac_f64_e32 v[46:47], v[38:39], v[42:43]
	s_delay_alu instid0(VALU_DEP_2) | instskip(NEXT) | instid1(VALU_DEP_2)
	v_add_f64_e32 v[34:35], v[52:53], v[34:35]
	v_fma_f64 v[38:39], -v[46:47], v[46:47], v[32:33]
	s_delay_alu instid0(VALU_DEP_2) | instskip(NEXT) | instid1(VALU_DEP_3)
	v_xor_b32_e32 v21, 0x80000000, v35
	v_cndmask_b32_e64 v12, v34, v50, s0
	v_cndmask_b32_e64 v34, 0, 0xffffff80, vcc_lo
	v_cmp_class_f64_e64 vcc_lo, v[32:33], 0x260
	s_delay_alu instid0(VALU_DEP_4) | instskip(SKIP_1) | instid1(VALU_DEP_2)
	v_cndmask_b32_e64 v21, v21, v51, s0
	v_fmac_f64_e32 v[46:47], v[38:39], v[42:43]
	v_bitop3_b32 v13, v21, v13, 0x80000000 bitop3:0x78
	s_delay_alu instid0(VALU_DEP_1) | instskip(NEXT) | instid1(VALU_DEP_3)
	v_fma_f64 v[36:37], v[12:13], v[12:13], 1.0
	v_ldexp_f64 v[34:35], v[46:47], v34
	s_delay_alu instid0(VALU_DEP_1) | instskip(NEXT) | instid1(VALU_DEP_3)
	v_dual_cndmask_b32 v33, v35, v33 :: v_dual_cndmask_b32 v32, v34, v32
	v_mul_f64_e32 v[34:35], v[10:11], v[36:37]
	s_delay_alu instid0(VALU_DEP_2) | instskip(NEXT) | instid1(VALU_DEP_2)
	v_mul_f64_e32 v[32:33], v[32:33], v[36:37]
	v_fma_f64 v[34:35], v[10:11], v[34:35], 1.0
	s_delay_alu instid0(VALU_DEP_2) | instskip(NEXT) | instid1(VALU_DEP_2)
	v_mul_f64_e32 v[10:11], v[10:11], v[32:33]
	v_div_scale_f64 v[36:37], null, v[34:35], v[34:35], v[12:13]
	s_delay_alu instid0(VALU_DEP_2) | instskip(SKIP_1) | instid1(VALU_DEP_3)
	v_div_scale_f64 v[32:33], null, v[34:35], v[34:35], v[10:11]
	v_div_scale_f64 v[46:47], vcc_lo, v[10:11], v[34:35], v[10:11]
	v_rcp_f64_e32 v[40:41], v[36:37]
	s_delay_alu instid0(VALU_DEP_2) | instskip(NEXT) | instid1(TRANS32_DEP_2)
	v_rcp_f64_e32 v[38:39], v[32:33]
	v_fma_f64 v[44:45], -v[36:37], v[40:41], 1.0
	s_delay_alu instid0(TRANS32_DEP_1) | instskip(NEXT) | instid1(VALU_DEP_2)
	v_fma_f64 v[42:43], -v[32:33], v[38:39], 1.0
	v_fmac_f64_e32 v[40:41], v[40:41], v[44:45]
	s_delay_alu instid0(VALU_DEP_2) | instskip(NEXT) | instid1(VALU_DEP_2)
	v_fmac_f64_e32 v[38:39], v[38:39], v[42:43]
	v_fma_f64 v[44:45], -v[36:37], v[40:41], 1.0
	s_delay_alu instid0(VALU_DEP_2) | instskip(NEXT) | instid1(VALU_DEP_2)
	v_fma_f64 v[42:43], -v[32:33], v[38:39], 1.0
	v_fmac_f64_e32 v[40:41], v[40:41], v[44:45]
	s_delay_alu instid0(VALU_DEP_2) | instskip(SKIP_1) | instid1(VALU_DEP_2)
	v_fmac_f64_e32 v[38:39], v[38:39], v[42:43]
	v_div_scale_f64 v[42:43], s0, v[12:13], v[34:35], v[12:13]
	v_mul_f64_e32 v[44:45], v[46:47], v[38:39]
	s_delay_alu instid0(VALU_DEP_2) | instskip(NEXT) | instid1(VALU_DEP_2)
	v_mul_f64_e32 v[48:49], v[42:43], v[40:41]
	v_fma_f64 v[32:33], -v[32:33], v[44:45], v[46:47]
	s_delay_alu instid0(VALU_DEP_2) | instskip(NEXT) | instid1(VALU_DEP_2)
	v_fma_f64 v[36:37], -v[36:37], v[48:49], v[42:43]
	v_div_fmas_f64 v[32:33], v[32:33], v[38:39], v[44:45]
	s_mov_b32 vcc_lo, s0
	s_delay_alu instid0(VALU_DEP_2) | instskip(NEXT) | instid1(VALU_DEP_2)
	v_div_fmas_f64 v[36:37], v[36:37], v[40:41], v[48:49]
	v_div_fixup_f64 v[10:11], v[32:33], v[34:35], v[10:11]
	s_delay_alu instid0(VALU_DEP_2)
	v_div_fixup_f64 v[12:13], v[36:37], v[34:35], v[12:13]
.LBB161_226:                            ;   in Loop: Header=BB161_180 Depth=1
	s_and_not1_saveexec_b32 s0, s21
	s_cbranch_execz .LBB161_236
; %bb.227:                              ;   in Loop: Header=BB161_180 Depth=1
	s_delay_alu instid0(VALU_DEP_1) | instskip(SKIP_1) | instid1(SALU_CYCLE_1)
	v_cmp_ngt_f64_e64 s21, 0x41d00000, |v[12:13]|
                                        ; implicit-def: $vgpr40
                                        ; implicit-def: $vgpr32_vgpr33
                                        ; implicit-def: $vgpr34_vgpr35
	s_and_saveexec_b32 s22, s21
	s_xor_b32 s22, exec_lo, s22
	s_cbranch_execz .LBB161_229
; %bb.228:                              ;   in Loop: Header=BB161_180 Depth=1
	v_ldexp_f64 v[32:33], |v[12:13]|, 0xffffff80
	v_cmp_le_f64_e64 vcc_lo, 0x7b000000, |v[12:13]|
	v_trig_preop_f64 v[34:35], |v[12:13]|, 0
	v_and_b32_e32 v21, 0x7fffffff, v13
	v_trig_preop_f64 v[36:37], |v[12:13]|, 1
	v_trig_preop_f64 v[46:47], |v[12:13]|, 2
	s_delay_alu instid0(VALU_DEP_3) | instskip(NEXT) | instid1(VALU_DEP_1)
	v_dual_cndmask_b32 v33, v21, v33 :: v_dual_cndmask_b32 v32, v12, v32
	v_mul_f64_e32 v[38:39], v[34:35], v[32:33]
	s_delay_alu instid0(VALU_DEP_4) | instskip(NEXT) | instid1(VALU_DEP_4)
	v_mul_f64_e32 v[40:41], v[36:37], v[32:33]
	v_mul_f64_e32 v[52:53], v[46:47], v[32:33]
	s_delay_alu instid0(VALU_DEP_3) | instskip(NEXT) | instid1(VALU_DEP_3)
	v_fma_f64 v[34:35], v[34:35], v[32:33], -v[38:39]
	v_fma_f64 v[36:37], v[36:37], v[32:33], -v[40:41]
	s_delay_alu instid0(VALU_DEP_3) | instskip(NEXT) | instid1(VALU_DEP_3)
	v_fma_f64 v[32:33], v[46:47], v[32:33], -v[52:53]
	v_add_f64_e32 v[42:43], v[40:41], v[34:35]
	s_delay_alu instid0(VALU_DEP_1) | instskip(SKIP_1) | instid1(VALU_DEP_2)
	v_add_f64_e64 v[44:45], v[42:43], -v[40:41]
	v_add_f64_e32 v[50:51], v[38:39], v[42:43]
	v_add_f64_e64 v[48:49], v[42:43], -v[44:45]
	v_add_f64_e64 v[34:35], v[34:35], -v[44:45]
	s_delay_alu instid0(VALU_DEP_3) | instskip(NEXT) | instid1(VALU_DEP_3)
	v_ldexp_f64 v[44:45], v[50:51], -2
	v_add_f64_e64 v[40:41], v[40:41], -v[48:49]
	v_add_f64_e32 v[48:49], v[52:53], v[36:37]
	s_delay_alu instid0(VALU_DEP_3) | instskip(NEXT) | instid1(VALU_DEP_3)
	v_cmp_neq_f64_e64 vcc_lo, 0x7ff00000, |v[44:45]|
	v_add_f64_e32 v[34:35], v[34:35], v[40:41]
	v_fract_f64_e32 v[40:41], v[44:45]
	s_delay_alu instid0(VALU_DEP_1) | instskip(NEXT) | instid1(VALU_DEP_1)
	v_ldexp_f64 v[40:41], v[40:41], 2
	v_dual_add_f64 v[38:39], v[50:51], -v[38:39] :: v_dual_cndmask_b32 v40, 0, v40, vcc_lo
	s_delay_alu instid0(VALU_DEP_1) | instskip(SKIP_1) | instid1(VALU_DEP_1)
	v_dual_add_f64 v[38:39], v[42:43], -v[38:39] :: v_dual_cndmask_b32 v41, 0, v41, vcc_lo
	v_add_f64_e32 v[42:43], v[48:49], v[34:35]
	v_add_f64_e32 v[44:45], v[38:39], v[42:43]
	v_add_f64_e64 v[54:55], v[42:43], -v[48:49]
	s_delay_alu instid0(VALU_DEP_2) | instskip(NEXT) | instid1(VALU_DEP_2)
	v_add_f64_e32 v[50:51], v[44:45], v[40:41]
	v_add_f64_e64 v[60:61], v[42:43], -v[54:55]
	v_add_f64_e64 v[34:35], v[34:35], -v[54:55]
	;; [unrolled: 1-line block ×3, first 2 shown]
	s_delay_alu instid0(VALU_DEP_4) | instskip(SKIP_1) | instid1(VALU_DEP_3)
	v_cmp_gt_f64_e32 vcc_lo, 0, v[50:51]
	v_add_f64_e64 v[50:51], v[48:49], -v[52:53]
	v_add_f64_e64 v[38:39], v[42:43], -v[38:39]
	v_cndmask_b32_e64 v21, 0, 0x40100000, vcc_lo
	s_delay_alu instid0(VALU_DEP_3) | instskip(SKIP_2) | instid1(VALU_DEP_4)
	v_add_f64_e64 v[58:59], v[48:49], -v[50:51]
	v_add_f64_e64 v[36:37], v[36:37], -v[50:51]
	;; [unrolled: 1-line block ×3, first 2 shown]
	v_add_f64_e32 v[40:41], v[40:41], v[20:21]
	s_delay_alu instid0(VALU_DEP_4) | instskip(NEXT) | instid1(VALU_DEP_3)
	v_add_f64_e64 v[50:51], v[52:53], -v[58:59]
	v_add_f64_e32 v[34:35], v[34:35], v[48:49]
	s_delay_alu instid0(VALU_DEP_3) | instskip(NEXT) | instid1(VALU_DEP_3)
	v_add_f64_e32 v[56:57], v[44:45], v[40:41]
	v_add_f64_e32 v[36:37], v[36:37], v[50:51]
	s_delay_alu instid0(VALU_DEP_2) | instskip(NEXT) | instid1(VALU_DEP_2)
	v_cvt_i32_f64_e32 v21, v[56:57]
	v_add_f64_e32 v[34:35], v[36:37], v[34:35]
	s_delay_alu instid0(VALU_DEP_2) | instskip(NEXT) | instid1(VALU_DEP_2)
	v_cvt_f64_i32_e32 v[54:55], v21
	v_add_f64_e32 v[32:33], v[32:33], v[34:35]
	s_delay_alu instid0(VALU_DEP_2) | instskip(NEXT) | instid1(VALU_DEP_2)
	v_add_f64_e64 v[40:41], v[40:41], -v[54:55]
	v_add_f64_e32 v[32:33], v[38:39], v[32:33]
	s_delay_alu instid0(VALU_DEP_2) | instskip(NEXT) | instid1(VALU_DEP_1)
	v_add_f64_e32 v[36:37], v[44:45], v[40:41]
	v_add_f64_e64 v[34:35], v[36:37], -v[40:41]
	v_cmp_le_f64_e32 vcc_lo, 0.5, v[36:37]
	s_delay_alu instid0(VALU_DEP_2) | instskip(SKIP_2) | instid1(VALU_DEP_3)
	v_add_f64_e64 v[34:35], v[44:45], -v[34:35]
	v_add_co_ci_u32_e64 v40, null, 0, v21, vcc_lo
	v_cndmask_b32_e64 v21, 0, 0x3ff00000, vcc_lo
	v_add_f64_e32 v[32:33], v[32:33], v[34:35]
	s_delay_alu instid0(VALU_DEP_2) | instskip(NEXT) | instid1(VALU_DEP_1)
	v_add_f64_e64 v[34:35], v[36:37], -v[20:21]
	v_add_f64_e32 v[36:37], v[34:35], v[32:33]
	s_delay_alu instid0(VALU_DEP_1) | instskip(SKIP_1) | instid1(VALU_DEP_2)
	v_mul_f64_e32 v[38:39], 0x3ff921fb54442d18, v[36:37]
	v_add_f64_e64 v[34:35], v[36:37], -v[34:35]
	v_fma_f64 v[42:43], v[36:37], s[2:3], -v[38:39]
	s_delay_alu instid0(VALU_DEP_2) | instskip(NEXT) | instid1(VALU_DEP_2)
	v_add_f64_e64 v[32:33], v[32:33], -v[34:35]
	v_fmac_f64_e32 v[42:43], 0x3c91a62633145c07, v[36:37]
	s_delay_alu instid0(VALU_DEP_1) | instskip(NEXT) | instid1(VALU_DEP_1)
	v_fmac_f64_e32 v[42:43], 0x3ff921fb54442d18, v[32:33]
	v_add_f64_e32 v[32:33], v[38:39], v[42:43]
	s_delay_alu instid0(VALU_DEP_1) | instskip(NEXT) | instid1(VALU_DEP_1)
	v_add_f64_e64 v[34:35], v[32:33], -v[38:39]
	v_add_f64_e64 v[34:35], v[42:43], -v[34:35]
	s_and_not1_saveexec_b32 s22, s22
	s_cbranch_execz .LBB161_231
	s_branch .LBB161_230
.LBB161_229:                            ;   in Loop: Header=BB161_180 Depth=1
	s_and_not1_saveexec_b32 s22, s22
	s_cbranch_execz .LBB161_231
.LBB161_230:                            ;   in Loop: Header=BB161_180 Depth=1
	v_mul_f64_e64 v[32:33], |v[12:13]|, s[4:5]
	s_delay_alu instid0(VALU_DEP_1) | instskip(NEXT) | instid1(VALU_DEP_1)
	v_rndne_f64_e32 v[36:37], v[32:33]
	v_fma_f64 v[32:33], v[36:37], s[6:7], |v[12:13]|
	v_mul_f64_e32 v[34:35], 0xbc91a62633145c00, v[36:37]
	s_delay_alu instid0(VALU_DEP_2) | instskip(NEXT) | instid1(VALU_DEP_2)
	v_fmamk_f64 v[42:43], v[36:37], 0xbc91a62633145c00, v[32:33]
	v_add_f64_e32 v[38:39], v[32:33], v[34:35]
	s_delay_alu instid0(VALU_DEP_1) | instskip(NEXT) | instid1(VALU_DEP_3)
	v_add_f64_e64 v[40:41], v[32:33], -v[38:39]
	v_add_f64_e64 v[32:33], v[38:39], -v[42:43]
	s_delay_alu instid0(VALU_DEP_2) | instskip(SKIP_2) | instid1(VALU_DEP_3)
	v_add_f64_e32 v[38:39], v[40:41], v[34:35]
	v_fmamk_f64 v[34:35], v[36:37], 0x3c91a62633145c00, v[34:35]
	v_cvt_i32_f64_e32 v40, v[36:37]
	v_add_f64_e32 v[32:33], v[32:33], v[38:39]
	s_delay_alu instid0(VALU_DEP_1) | instskip(NEXT) | instid1(VALU_DEP_1)
	v_add_f64_e64 v[34:35], v[32:33], -v[34:35]
	v_fmac_f64_e32 v[34:35], 0xb97b839a252049c0, v[36:37]
	s_delay_alu instid0(VALU_DEP_1) | instskip(NEXT) | instid1(VALU_DEP_1)
	v_add_f64_e32 v[32:33], v[42:43], v[34:35]
	v_add_f64_e64 v[38:39], v[32:33], -v[42:43]
	s_delay_alu instid0(VALU_DEP_1)
	v_add_f64_e64 v[34:35], v[34:35], -v[38:39]
.LBB161_231:                            ;   in Loop: Header=BB161_180 Depth=1
	s_or_b32 exec_lo, exec_lo, s22
                                        ; implicit-def: $vgpr41
                                        ; implicit-def: $vgpr36_vgpr37
                                        ; implicit-def: $vgpr38_vgpr39
	s_and_saveexec_b32 s22, s21
	s_delay_alu instid0(SALU_CYCLE_1)
	s_xor_b32 s21, exec_lo, s22
	s_cbranch_execz .LBB161_233
; %bb.232:                              ;   in Loop: Header=BB161_180 Depth=1
	v_ldexp_f64 v[36:37], |v[12:13]|, 0xffffff80
	v_cmp_le_f64_e64 vcc_lo, 0x7b000000, |v[12:13]|
	v_trig_preop_f64 v[38:39], |v[12:13]|, 0
	v_and_b32_e32 v21, 0x7fffffff, v13
	v_trig_preop_f64 v[42:43], |v[12:13]|, 1
	v_trig_preop_f64 v[52:53], |v[12:13]|, 2
	s_delay_alu instid0(VALU_DEP_3) | instskip(NEXT) | instid1(VALU_DEP_1)
	v_dual_cndmask_b32 v37, v21, v37 :: v_dual_cndmask_b32 v36, v12, v36
	v_mul_f64_e32 v[44:45], v[38:39], v[36:37]
	s_delay_alu instid0(VALU_DEP_4) | instskip(NEXT) | instid1(VALU_DEP_4)
	v_mul_f64_e32 v[46:47], v[42:43], v[36:37]
	v_mul_f64_e32 v[58:59], v[52:53], v[36:37]
	s_delay_alu instid0(VALU_DEP_3) | instskip(NEXT) | instid1(VALU_DEP_3)
	v_fma_f64 v[38:39], v[38:39], v[36:37], -v[44:45]
	v_fma_f64 v[42:43], v[42:43], v[36:37], -v[46:47]
	s_delay_alu instid0(VALU_DEP_3) | instskip(NEXT) | instid1(VALU_DEP_3)
	v_fma_f64 v[36:37], v[52:53], v[36:37], -v[58:59]
	v_add_f64_e32 v[48:49], v[46:47], v[38:39]
	s_delay_alu instid0(VALU_DEP_1) | instskip(SKIP_1) | instid1(VALU_DEP_2)
	v_add_f64_e64 v[50:51], v[48:49], -v[46:47]
	v_add_f64_e32 v[56:57], v[44:45], v[48:49]
	v_add_f64_e64 v[54:55], v[48:49], -v[50:51]
	v_add_f64_e64 v[38:39], v[38:39], -v[50:51]
	s_delay_alu instid0(VALU_DEP_3) | instskip(NEXT) | instid1(VALU_DEP_3)
	v_ldexp_f64 v[50:51], v[56:57], -2
	v_add_f64_e64 v[46:47], v[46:47], -v[54:55]
	v_add_f64_e32 v[54:55], v[58:59], v[42:43]
	s_delay_alu instid0(VALU_DEP_3) | instskip(NEXT) | instid1(VALU_DEP_3)
	v_cmp_neq_f64_e64 vcc_lo, 0x7ff00000, |v[50:51]|
	v_add_f64_e32 v[38:39], v[38:39], v[46:47]
	v_fract_f64_e32 v[46:47], v[50:51]
	s_delay_alu instid0(VALU_DEP_1) | instskip(NEXT) | instid1(VALU_DEP_1)
	v_ldexp_f64 v[46:47], v[46:47], 2
	v_dual_add_f64 v[44:45], v[56:57], -v[44:45] :: v_dual_cndmask_b32 v47, 0, v47, vcc_lo
	s_delay_alu instid0(VALU_DEP_1) | instskip(SKIP_1) | instid1(VALU_DEP_1)
	v_dual_add_f64 v[44:45], v[48:49], -v[44:45] :: v_dual_cndmask_b32 v46, 0, v46, vcc_lo
	v_add_f64_e32 v[48:49], v[54:55], v[38:39]
	v_add_f64_e32 v[50:51], v[44:45], v[48:49]
	v_add_f64_e64 v[60:61], v[48:49], -v[54:55]
	s_delay_alu instid0(VALU_DEP_2) | instskip(NEXT) | instid1(VALU_DEP_2)
	v_add_f64_e32 v[56:57], v[50:51], v[46:47]
	v_add_f64_e64 v[66:67], v[48:49], -v[60:61]
	v_add_f64_e64 v[38:39], v[38:39], -v[60:61]
	;; [unrolled: 1-line block ×3, first 2 shown]
	s_delay_alu instid0(VALU_DEP_4) | instskip(SKIP_1) | instid1(VALU_DEP_3)
	v_cmp_gt_f64_e32 vcc_lo, 0, v[56:57]
	v_add_f64_e64 v[56:57], v[54:55], -v[58:59]
	v_add_f64_e64 v[44:45], v[48:49], -v[44:45]
	v_cndmask_b32_e64 v21, 0, 0x40100000, vcc_lo
	s_delay_alu instid0(VALU_DEP_3) | instskip(SKIP_2) | instid1(VALU_DEP_4)
	v_add_f64_e64 v[64:65], v[54:55], -v[56:57]
	v_add_f64_e64 v[42:43], v[42:43], -v[56:57]
	;; [unrolled: 1-line block ×3, first 2 shown]
	v_add_f64_e32 v[46:47], v[46:47], v[20:21]
	s_delay_alu instid0(VALU_DEP_4) | instskip(NEXT) | instid1(VALU_DEP_3)
	v_add_f64_e64 v[56:57], v[58:59], -v[64:65]
	v_add_f64_e32 v[38:39], v[38:39], v[54:55]
	s_delay_alu instid0(VALU_DEP_3) | instskip(NEXT) | instid1(VALU_DEP_3)
	v_add_f64_e32 v[62:63], v[50:51], v[46:47]
	v_add_f64_e32 v[42:43], v[42:43], v[56:57]
	s_delay_alu instid0(VALU_DEP_2) | instskip(NEXT) | instid1(VALU_DEP_2)
	v_cvt_i32_f64_e32 v21, v[62:63]
	v_add_f64_e32 v[38:39], v[42:43], v[38:39]
	s_delay_alu instid0(VALU_DEP_2) | instskip(NEXT) | instid1(VALU_DEP_2)
	v_cvt_f64_i32_e32 v[60:61], v21
	v_add_f64_e32 v[36:37], v[36:37], v[38:39]
	s_delay_alu instid0(VALU_DEP_2) | instskip(NEXT) | instid1(VALU_DEP_2)
	v_add_f64_e64 v[46:47], v[46:47], -v[60:61]
	v_add_f64_e32 v[36:37], v[44:45], v[36:37]
	s_delay_alu instid0(VALU_DEP_2) | instskip(NEXT) | instid1(VALU_DEP_1)
	v_add_f64_e32 v[42:43], v[50:51], v[46:47]
	v_add_f64_e64 v[38:39], v[42:43], -v[46:47]
	v_cmp_le_f64_e32 vcc_lo, 0.5, v[42:43]
	s_delay_alu instid0(VALU_DEP_2) | instskip(SKIP_2) | instid1(VALU_DEP_3)
	v_add_f64_e64 v[38:39], v[50:51], -v[38:39]
	v_add_co_ci_u32_e64 v41, null, 0, v21, vcc_lo
	v_cndmask_b32_e64 v21, 0, 0x3ff00000, vcc_lo
	v_add_f64_e32 v[36:37], v[36:37], v[38:39]
	s_delay_alu instid0(VALU_DEP_2) | instskip(NEXT) | instid1(VALU_DEP_1)
	v_add_f64_e64 v[38:39], v[42:43], -v[20:21]
	v_add_f64_e32 v[42:43], v[38:39], v[36:37]
	s_delay_alu instid0(VALU_DEP_1) | instskip(SKIP_1) | instid1(VALU_DEP_2)
	v_mul_f64_e32 v[44:45], 0x3ff921fb54442d18, v[42:43]
	v_add_f64_e64 v[38:39], v[42:43], -v[38:39]
	v_fma_f64 v[46:47], v[42:43], s[2:3], -v[44:45]
	s_delay_alu instid0(VALU_DEP_2) | instskip(NEXT) | instid1(VALU_DEP_2)
	v_add_f64_e64 v[36:37], v[36:37], -v[38:39]
	v_fmac_f64_e32 v[46:47], 0x3c91a62633145c07, v[42:43]
	s_delay_alu instid0(VALU_DEP_1) | instskip(NEXT) | instid1(VALU_DEP_1)
	v_fmac_f64_e32 v[46:47], 0x3ff921fb54442d18, v[36:37]
	v_add_f64_e32 v[36:37], v[44:45], v[46:47]
	s_delay_alu instid0(VALU_DEP_1) | instskip(NEXT) | instid1(VALU_DEP_1)
	v_add_f64_e64 v[38:39], v[36:37], -v[44:45]
	v_add_f64_e64 v[38:39], v[46:47], -v[38:39]
	s_and_not1_saveexec_b32 s21, s21
	s_cbranch_execnz .LBB161_234
	s_branch .LBB161_235
.LBB161_233:                            ;   in Loop: Header=BB161_180 Depth=1
	s_and_not1_saveexec_b32 s21, s21
	s_cbranch_execz .LBB161_235
.LBB161_234:                            ;   in Loop: Header=BB161_180 Depth=1
	v_mul_f64_e64 v[36:37], |v[12:13]|, s[4:5]
	s_delay_alu instid0(VALU_DEP_1) | instskip(NEXT) | instid1(VALU_DEP_1)
	v_rndne_f64_e32 v[42:43], v[36:37]
	v_fma_f64 v[36:37], v[42:43], s[6:7], |v[12:13]|
	v_mul_f64_e32 v[38:39], 0xbc91a62633145c00, v[42:43]
	v_cvt_i32_f64_e32 v41, v[42:43]
	s_delay_alu instid0(VALU_DEP_3) | instskip(NEXT) | instid1(VALU_DEP_3)
	v_fmamk_f64 v[48:49], v[42:43], 0xbc91a62633145c00, v[36:37]
	v_add_f64_e32 v[44:45], v[36:37], v[38:39]
	s_delay_alu instid0(VALU_DEP_1) | instskip(NEXT) | instid1(VALU_DEP_3)
	v_add_f64_e64 v[46:47], v[36:37], -v[44:45]
	v_add_f64_e64 v[36:37], v[44:45], -v[48:49]
	s_delay_alu instid0(VALU_DEP_2) | instskip(SKIP_1) | instid1(VALU_DEP_2)
	v_add_f64_e32 v[44:45], v[46:47], v[38:39]
	v_fmamk_f64 v[38:39], v[42:43], 0x3c91a62633145c00, v[38:39]
	v_add_f64_e32 v[36:37], v[36:37], v[44:45]
	s_delay_alu instid0(VALU_DEP_1) | instskip(NEXT) | instid1(VALU_DEP_1)
	v_add_f64_e64 v[38:39], v[36:37], -v[38:39]
	v_fmac_f64_e32 v[38:39], 0xb97b839a252049c0, v[42:43]
	s_delay_alu instid0(VALU_DEP_1) | instskip(NEXT) | instid1(VALU_DEP_1)
	v_add_f64_e32 v[36:37], v[48:49], v[38:39]
	v_add_f64_e64 v[44:45], v[36:37], -v[48:49]
	s_delay_alu instid0(VALU_DEP_1)
	v_add_f64_e64 v[38:39], v[38:39], -v[44:45]
.LBB161_235:                            ;   in Loop: Header=BB161_180 Depth=1
	s_or_b32 exec_lo, exec_lo, s21
	v_mul_f64_e32 v[42:43], v[32:33], v[32:33]
	s_delay_alu instid0(VALU_DEP_2) | instskip(SKIP_3) | instid1(VALU_DEP_4)
	v_dual_mul_f64 v[54:55], 0.5, v[34:35] :: v_dual_lshlrev_b32 v21, 30, v40
	v_mul_f64_e32 v[44:45], v[36:37], v[36:37]
	v_mul_f64_e64 v[48:49], |v[10:11]|, s[14:15]
	v_and_b32_e32 v12, 1, v40
	v_xor_b32_e32 v13, v21, v13
	s_delay_alu instid0(VALU_DEP_2)
	v_cmp_eq_u32_e32 vcc_lo, 0, v12
	v_mul_f64_e32 v[46:47], 0.5, v[42:43]
	v_mul_f64_e64 v[56:57], v[32:33], -v[42:43]
	v_fmamk_f64 v[62:63], v[42:43], 0x3de5e0b2f9a43bb8, v[28:29]
	v_mul_f64_e64 v[68:69], v[36:37], -v[44:45]
	v_fmamk_f64 v[70:71], v[44:45], 0x3de5e0b2f9a43bb8, v[28:29]
	v_rndne_f64_e32 v[48:49], v[48:49]
	s_delay_alu instid0(VALU_DEP_4) | instskip(NEXT) | instid1(VALU_DEP_1)
	v_fmaak_f64 v[62:63], v[42:43], v[62:63], 0x3ec71de3796cde01
	v_fmaak_f64 v[62:63], v[42:43], v[62:63], 0xbf2a01a019e83e5c
	s_delay_alu instid0(VALU_DEP_1) | instskip(SKIP_1) | instid1(VALU_DEP_2)
	v_fmaak_f64 v[62:63], v[42:43], v[62:63], 0x3f81111111110bb3
	v_add_f64_e64 v[52:53], -v[46:47], 1.0
	v_fmac_f64_e32 v[54:55], v[56:57], v[62:63]
	v_fma_f64 v[64:65], v[48:49], s[8:9], -|v[10:11]|
	v_cvt_i32_f64_e32 v21, v[48:49]
	s_delay_alu instid0(VALU_DEP_4) | instskip(NEXT) | instid1(VALU_DEP_4)
	v_add_f64_e64 v[60:61], -v[52:53], 1.0
	v_fma_f64 v[54:55], v[42:43], v[54:55], -v[34:35]
	s_delay_alu instid0(VALU_DEP_4) | instskip(NEXT) | instid1(VALU_DEP_3)
	v_fmac_f64_e32 v[64:65], 0xbc7abc9e3b39803f, v[48:49]
	v_add_f64_e64 v[46:47], v[60:61], -v[46:47]
	s_delay_alu instid0(VALU_DEP_3) | instskip(SKIP_2) | instid1(VALU_DEP_2)
	v_fmac_f64_e32 v[54:55], 0xbfc5555555555555, v[56:57]
	v_fmaak_f64 v[60:61], v[44:45], v[70:71], 0x3ec71de3796cde01
	v_fmamk_f64 v[70:71], v[42:43], 0xbda907db46cc5e42, v[26:27]
	v_fmaak_f64 v[60:61], v[44:45], v[60:61], 0xbf2a01a019e83e5c
	s_delay_alu instid0(VALU_DEP_1)
	v_fmaak_f64 v[60:61], v[44:45], v[60:61], 0x3f81111111110bb3
	v_fma_f64 v[34:35], v[32:33], -v[34:35], v[46:47]
	v_add_f64_e64 v[32:33], v[32:33], -v[54:55]
	v_mul_f64_e32 v[66:67], 0.5, v[38:39]
	v_fmaak_f64 v[46:47], v[42:43], v[70:71], 0xbe927e4fa17f65f6
	v_mul_f64_e32 v[70:71], v[44:45], v[44:45]
	s_delay_alu instid0(VALU_DEP_2) | instskip(NEXT) | instid1(VALU_DEP_1)
	v_fmaak_f64 v[46:47], v[42:43], v[46:47], 0x3efa01a019f4ec90
	v_fmaak_f64 v[46:47], v[42:43], v[46:47], 0xbf56c16c16c16967
	v_fmac_f64_e32 v[66:67], v[68:69], v[60:61]
	v_mul_f64_e32 v[60:61], v[42:43], v[42:43]
	s_delay_alu instid0(VALU_DEP_3) | instskip(NEXT) | instid1(VALU_DEP_1)
	v_fmaak_f64 v[42:43], v[42:43], v[46:47], 0x3fa5555555555555
	v_fmac_f64_e32 v[34:35], v[60:61], v[42:43]
	s_delay_alu instid0(VALU_DEP_1) | instskip(NEXT) | instid1(VALU_DEP_1)
	v_add_f64_e32 v[34:35], v[52:53], v[34:35]
	v_dual_cndmask_b32 v12, v34, v32, vcc_lo :: v_dual_cndmask_b32 v34, v35, v33, vcc_lo
	s_delay_alu instid0(VALU_DEP_1) | instskip(SKIP_1) | instid1(VALU_DEP_2)
	v_bitop3_b32 v13, v34, v13, 0x80000000 bitop3:0x78
	v_and_b32_e32 v34, 1, v41
	v_mul_f64_e32 v[12:13], 4.0, v[12:13]
	s_delay_alu instid0(VALU_DEP_2) | instskip(SKIP_1) | instid1(VALU_DEP_1)
	v_cmp_eq_u32_e32 vcc_lo, 0, v34
	v_mul_f64_e32 v[50:51], 0.5, v[44:45]
	v_add_f64_e64 v[58:59], -v[50:51], 1.0
	s_delay_alu instid0(VALU_DEP_1) | instskip(NEXT) | instid1(VALU_DEP_1)
	v_add_f64_e64 v[62:63], -v[58:59], 1.0
	v_add_f64_e64 v[50:51], v[62:63], -v[50:51]
	v_fmamk_f64 v[62:63], v[64:65], 0x3e5ade156a5dcb37, v[24:25]
	s_delay_alu instid0(VALU_DEP_1) | instskip(NEXT) | instid1(VALU_DEP_1)
	v_fmaak_f64 v[62:63], v[64:65], v[62:63], 0x3ec71dee623fde64
	v_fmaak_f64 v[62:63], v[64:65], v[62:63], 0x3efa01997c89e6b0
	s_delay_alu instid0(VALU_DEP_1) | instskip(SKIP_2) | instid1(VALU_DEP_3)
	v_fmaak_f64 v[46:47], v[64:65], v[62:63], 0x3f2a01a014761f6e
	v_fma_f64 v[62:63], v[44:45], v[66:67], -v[38:39]
	v_fmamk_f64 v[66:67], v[44:45], 0xbda907db46cc5e42, v[26:27]
	v_fmaak_f64 v[42:43], v[64:65], v[46:47], 0x3f56c16c1852b7b0
	s_delay_alu instid0(VALU_DEP_2) | instskip(SKIP_1) | instid1(VALU_DEP_3)
	v_fmaak_f64 v[46:47], v[44:45], v[66:67], 0xbe927e4fa17f65f6
	v_fma_f64 v[38:39], v[36:37], -v[38:39], v[50:51]
	v_fmaak_f64 v[42:43], v[64:65], v[42:43], 0x3f81111111122322
	s_delay_alu instid0(VALU_DEP_3) | instskip(NEXT) | instid1(VALU_DEP_2)
	v_fmaak_f64 v[46:47], v[44:45], v[46:47], 0x3efa01a019f4ec90
	v_fmaak_f64 v[42:43], v[64:65], v[42:43], 0x3fa55555555502a1
	s_delay_alu instid0(VALU_DEP_2) | instskip(NEXT) | instid1(VALU_DEP_2)
	v_fmaak_f64 v[46:47], v[44:45], v[46:47], 0xbf56c16c16c16967
	v_fmaak_f64 v[42:43], v[64:65], v[42:43], 0x3fc5555555555511
	s_delay_alu instid0(VALU_DEP_2) | instskip(SKIP_1) | instid1(VALU_DEP_3)
	v_fmaak_f64 v[44:45], v[44:45], v[46:47], 0x3fa5555555555555
	v_fmac_f64_e32 v[62:63], 0xbfc5555555555555, v[68:69]
	v_fmaak_f64 v[42:43], v[64:65], v[42:43], 0x3fe000000000000b
	s_delay_alu instid0(VALU_DEP_1) | instskip(NEXT) | instid1(VALU_DEP_4)
	v_fma_f64 v[42:43], v[64:65], v[42:43], 1.0
	v_fmac_f64_e32 v[38:39], v[70:71], v[44:45]
	s_delay_alu instid0(VALU_DEP_4) | instskip(NEXT) | instid1(VALU_DEP_3)
	v_add_f64_e64 v[36:37], v[36:37], -v[62:63]
	v_fma_f64 v[32:33], v[64:65], v[42:43], 1.0
	s_delay_alu instid0(VALU_DEP_3) | instskip(NEXT) | instid1(VALU_DEP_3)
	v_add_f64_e32 v[38:39], v[58:59], v[38:39]
	v_xor_b32_e32 v35, 0x80000000, v37
	s_delay_alu instid0(VALU_DEP_3) | instskip(NEXT) | instid1(VALU_DEP_2)
	v_ldexp_f64 v[32:33], v[32:33], v21
	v_dual_cndmask_b32 v34, v36, v38 :: v_dual_cndmask_b32 v35, v35, v39
	v_lshlrev_b32_e32 v36, 30, v41
	v_cmp_nlt_f64_e64 vcc_lo, 0x4090cc00, |v[10:11]|
	v_bfi_b32 v21, 0x7fffffff, s18, v11
	s_delay_alu instid0(VALU_DEP_3) | instskip(NEXT) | instid1(VALU_DEP_2)
	v_bitop3_b32 v35, v35, v36, 0x80000000 bitop3:0x78
	v_mov_b64_e32 v[10:11], v[20:21]
	s_delay_alu instid0(VALU_DEP_2) | instskip(SKIP_1) | instid1(VALU_DEP_1)
	v_dual_mul_f64 v[12:13], v[12:13], v[34:35] :: v_dual_cndmask_b32 v33, 0, v33, vcc_lo
	v_cndmask_b32_e32 v32, 0, v32, vcc_lo
	v_mul_f64_e32 v[12:13], v[32:33], v[12:13]
	s_delay_alu instid0(VALU_DEP_1)
	v_mul_f64_e32 v[12:13], v[32:33], v[12:13]
.LBB161_236:                            ;   in Loop: Header=BB161_180 Depth=1
	s_or_b32 exec_lo, exec_lo, s0
.LBB161_237:                            ;   in Loop: Header=BB161_180 Depth=1
	s_and_not1_saveexec_b32 s0, s20
	s_cbranch_execz .LBB161_239
; %bb.238:                              ;   in Loop: Header=BB161_180 Depth=1
	s_delay_alu instid0(VALU_DEP_1) | instskip(NEXT) | instid1(VALU_DEP_1)
	v_add_f64_e64 v[12:13], v[12:13], -v[12:13]
	v_mov_b64_e32 v[10:11], v[12:13]
.LBB161_239:                            ;   in Loop: Header=BB161_180 Depth=1
	s_or_b32 exec_lo, exec_lo, s0
.LBB161_240:                            ;   in Loop: Header=BB161_180 Depth=1
	s_and_not1_saveexec_b32 s20, s1
	s_cbranch_execz .LBB161_256
; %bb.241:                              ;   in Loop: Header=BB161_180 Depth=1
	s_delay_alu instid0(VALU_DEP_1) | instskip(SKIP_1) | instid1(VALU_DEP_1)
	v_and_or_b32 v21, 0xfffff, v11, v10
	s_mov_b32 s0, exec_lo
	v_cmpx_ne_u32_e32 0, v21
	s_xor_b32 s0, exec_lo, s0
	s_cbranch_execz .LBB161_243
; %bb.242:                              ;   in Loop: Header=BB161_180 Depth=1
	s_delay_alu instid0(VALU_DEP_3) | instskip(SKIP_1) | instid1(VALU_DEP_2)
	v_mul_f64_e32 v[32:33], v[10:11], v[12:13]
	v_cmp_eq_f64_e32 vcc_lo, 0, v[12:13]
	v_dual_cndmask_b32 v13, v33, v13 :: v_dual_cndmask_b32 v12, v32, v12
.LBB161_243:                            ;   in Loop: Header=BB161_180 Depth=1
	s_and_not1_saveexec_b32 s21, s0
	s_cbranch_execz .LBB161_255
; %bb.244:                              ;   in Loop: Header=BB161_180 Depth=1
	s_mov_b32 s22, exec_lo
	s_delay_alu instid0(VALU_DEP_1)
	v_cmpx_neq_f64_e64 0x7ff00000, |v[12:13]|
	s_cbranch_execz .LBB161_254
; %bb.245:                              ;   in Loop: Header=BB161_180 Depth=1
	v_cmp_ngt_f64_e64 s0, 0x41d00000, |v[12:13]|
	v_trig_preop_f64 v[40:41], |v[12:13]|, 0
	v_trig_preop_f64 v[38:39], |v[12:13]|, 1
	v_ldexp_f64 v[42:43], |v[12:13]|, 0xffffff80
	v_trig_preop_f64 v[36:37], |v[12:13]|, 2
	v_and_b32_e32 v51, 0x7fffffff, v13
                                        ; implicit-def: $vgpr50
                                        ; implicit-def: $vgpr32_vgpr33
                                        ; implicit-def: $vgpr34_vgpr35
	s_and_saveexec_b32 s1, s0
	s_delay_alu instid0(SALU_CYCLE_1)
	s_xor_b32 s1, exec_lo, s1
	s_cbranch_execz .LBB161_247
; %bb.246:                              ;   in Loop: Header=BB161_180 Depth=1
	v_cmp_le_f64_e64 vcc_lo, 0x7b000000, |v[12:13]|
	s_delay_alu instid0(VALU_DEP_4) | instskip(NEXT) | instid1(VALU_DEP_1)
	v_dual_cndmask_b32 v33, v51, v43 :: v_dual_cndmask_b32 v32, v12, v42
	v_mul_f64_e32 v[34:35], v[40:41], v[32:33]
	v_mul_f64_e32 v[44:45], v[38:39], v[32:33]
	;; [unrolled: 1-line block ×3, first 2 shown]
	s_delay_alu instid0(VALU_DEP_3) | instskip(NEXT) | instid1(VALU_DEP_3)
	v_fma_f64 v[46:47], v[40:41], v[32:33], -v[34:35]
	v_fma_f64 v[60:61], v[38:39], v[32:33], -v[44:45]
	s_delay_alu instid0(VALU_DEP_3) | instskip(NEXT) | instid1(VALU_DEP_3)
	v_fma_f64 v[32:33], v[36:37], v[32:33], -v[58:59]
	v_add_f64_e32 v[48:49], v[44:45], v[46:47]
	s_delay_alu instid0(VALU_DEP_1) | instskip(SKIP_1) | instid1(VALU_DEP_2)
	v_add_f64_e64 v[52:53], v[48:49], -v[44:45]
	v_add_f64_e32 v[56:57], v[34:35], v[48:49]
	v_add_f64_e64 v[54:55], v[48:49], -v[52:53]
	v_add_f64_e64 v[46:47], v[46:47], -v[52:53]
	s_delay_alu instid0(VALU_DEP_3) | instskip(NEXT) | instid1(VALU_DEP_3)
	v_ldexp_f64 v[52:53], v[56:57], -2
	v_add_f64_e64 v[44:45], v[44:45], -v[54:55]
	v_add_f64_e32 v[54:55], v[58:59], v[60:61]
	s_delay_alu instid0(VALU_DEP_3) | instskip(NEXT) | instid1(VALU_DEP_3)
	v_cmp_neq_f64_e64 vcc_lo, 0x7ff00000, |v[52:53]|
	v_add_f64_e32 v[44:45], v[46:47], v[44:45]
	v_fract_f64_e32 v[46:47], v[52:53]
	s_delay_alu instid0(VALU_DEP_1) | instskip(NEXT) | instid1(VALU_DEP_1)
	v_ldexp_f64 v[46:47], v[46:47], 2
	v_cndmask_b32_e32 v47, 0, v47, vcc_lo
	v_add_f64_e64 v[34:35], v[56:57], -v[34:35]
	s_delay_alu instid0(VALU_DEP_3) | instskip(NEXT) | instid1(VALU_DEP_2)
	v_cndmask_b32_e32 v46, 0, v46, vcc_lo
	v_add_f64_e64 v[34:35], v[48:49], -v[34:35]
	v_add_f64_e32 v[48:49], v[54:55], v[44:45]
	s_delay_alu instid0(VALU_DEP_1) | instskip(SKIP_1) | instid1(VALU_DEP_2)
	v_add_f64_e32 v[52:53], v[34:35], v[48:49]
	v_add_f64_e64 v[62:63], v[48:49], -v[54:55]
	v_add_f64_e32 v[56:57], v[52:53], v[46:47]
	s_delay_alu instid0(VALU_DEP_2) | instskip(SKIP_2) | instid1(VALU_DEP_4)
	v_add_f64_e64 v[68:69], v[48:49], -v[62:63]
	v_add_f64_e64 v[44:45], v[44:45], -v[62:63]
	;; [unrolled: 1-line block ×3, first 2 shown]
	v_cmp_gt_f64_e32 vcc_lo, 0, v[56:57]
	v_add_f64_e64 v[56:57], v[54:55], -v[58:59]
	s_delay_alu instid0(VALU_DEP_3) | instskip(SKIP_1) | instid1(VALU_DEP_3)
	v_add_f64_e64 v[34:35], v[48:49], -v[34:35]
	v_cndmask_b32_e64 v21, 0, 0x40100000, vcc_lo
	v_add_f64_e64 v[66:67], v[54:55], -v[56:57]
	v_add_f64_e64 v[56:57], v[60:61], -v[56:57]
	;; [unrolled: 1-line block ×3, first 2 shown]
	s_delay_alu instid0(VALU_DEP_4) | instskip(NEXT) | instid1(VALU_DEP_4)
	v_add_f64_e32 v[46:47], v[46:47], v[20:21]
	v_add_f64_e64 v[60:61], v[58:59], -v[66:67]
	s_delay_alu instid0(VALU_DEP_3) | instskip(NEXT) | instid1(VALU_DEP_3)
	v_add_f64_e32 v[44:45], v[44:45], v[54:55]
	v_add_f64_e32 v[64:65], v[52:53], v[46:47]
	s_delay_alu instid0(VALU_DEP_3) | instskip(NEXT) | instid1(VALU_DEP_2)
	v_add_f64_e32 v[56:57], v[56:57], v[60:61]
	v_cvt_i32_f64_e32 v21, v[64:65]
	s_delay_alu instid0(VALU_DEP_2) | instskip(NEXT) | instid1(VALU_DEP_2)
	v_add_f64_e32 v[44:45], v[56:57], v[44:45]
	v_cvt_f64_i32_e32 v[62:63], v21
	s_delay_alu instid0(VALU_DEP_2) | instskip(NEXT) | instid1(VALU_DEP_2)
	v_add_f64_e32 v[32:33], v[32:33], v[44:45]
	v_add_f64_e64 v[46:47], v[46:47], -v[62:63]
	s_delay_alu instid0(VALU_DEP_2) | instskip(NEXT) | instid1(VALU_DEP_2)
	v_add_f64_e32 v[32:33], v[34:35], v[32:33]
	v_add_f64_e32 v[54:55], v[52:53], v[46:47]
	s_delay_alu instid0(VALU_DEP_1) | instskip(SKIP_1) | instid1(VALU_DEP_2)
	v_add_f64_e64 v[44:45], v[54:55], -v[46:47]
	v_cmp_le_f64_e32 vcc_lo, 0.5, v[54:55]
	v_add_f64_e64 v[34:35], v[52:53], -v[44:45]
	v_add_co_ci_u32_e64 v50, null, 0, v21, vcc_lo
	v_cndmask_b32_e64 v21, 0, 0x3ff00000, vcc_lo
	s_delay_alu instid0(VALU_DEP_3) | instskip(NEXT) | instid1(VALU_DEP_2)
	v_add_f64_e32 v[32:33], v[32:33], v[34:35]
	v_add_f64_e64 v[34:35], v[54:55], -v[20:21]
	s_delay_alu instid0(VALU_DEP_1) | instskip(NEXT) | instid1(VALU_DEP_1)
	v_add_f64_e32 v[44:45], v[34:35], v[32:33]
	v_mul_f64_e32 v[46:47], 0x3ff921fb54442d18, v[44:45]
	v_add_f64_e64 v[34:35], v[44:45], -v[34:35]
	s_delay_alu instid0(VALU_DEP_2) | instskip(NEXT) | instid1(VALU_DEP_2)
	v_fma_f64 v[48:49], v[44:45], s[2:3], -v[46:47]
	v_add_f64_e64 v[32:33], v[32:33], -v[34:35]
	s_delay_alu instid0(VALU_DEP_2) | instskip(NEXT) | instid1(VALU_DEP_1)
	v_fmac_f64_e32 v[48:49], 0x3c91a62633145c07, v[44:45]
	v_fmac_f64_e32 v[48:49], 0x3ff921fb54442d18, v[32:33]
	s_delay_alu instid0(VALU_DEP_1) | instskip(NEXT) | instid1(VALU_DEP_1)
	v_add_f64_e32 v[32:33], v[46:47], v[48:49]
	v_add_f64_e64 v[34:35], v[32:33], -v[46:47]
	s_delay_alu instid0(VALU_DEP_1)
	v_add_f64_e64 v[34:35], v[48:49], -v[34:35]
.LBB161_247:                            ;   in Loop: Header=BB161_180 Depth=1
	s_or_saveexec_b32 s1, s1
	v_mul_f64_e64 v[44:45], |v[12:13]|, s[4:5]
	s_delay_alu instid0(VALU_DEP_1)
	v_rndne_f64_e32 v[48:49], v[44:45]
	s_xor_b32 exec_lo, exec_lo, s1
	s_cbranch_execz .LBB161_249
; %bb.248:                              ;   in Loop: Header=BB161_180 Depth=1
	s_delay_alu instid0(VALU_DEP_1) | instskip(SKIP_2) | instid1(VALU_DEP_3)
	v_fma_f64 v[32:33], v[48:49], s[6:7], |v[12:13]|
	v_mul_f64_e32 v[34:35], 0xbc91a62633145c00, v[48:49]
	v_cvt_i32_f64_e32 v50, v[48:49]
	v_fmamk_f64 v[52:53], v[48:49], 0xbc91a62633145c00, v[32:33]
	s_delay_alu instid0(VALU_DEP_3) | instskip(NEXT) | instid1(VALU_DEP_1)
	v_add_f64_e32 v[44:45], v[32:33], v[34:35]
	v_add_f64_e64 v[46:47], v[32:33], -v[44:45]
	s_delay_alu instid0(VALU_DEP_3) | instskip(NEXT) | instid1(VALU_DEP_2)
	v_add_f64_e64 v[32:33], v[44:45], -v[52:53]
	v_add_f64_e32 v[44:45], v[46:47], v[34:35]
	v_fmamk_f64 v[34:35], v[48:49], 0x3c91a62633145c00, v[34:35]
	s_delay_alu instid0(VALU_DEP_2) | instskip(NEXT) | instid1(VALU_DEP_1)
	v_add_f64_e32 v[32:33], v[32:33], v[44:45]
	v_add_f64_e64 v[34:35], v[32:33], -v[34:35]
	s_delay_alu instid0(VALU_DEP_1) | instskip(NEXT) | instid1(VALU_DEP_1)
	v_fmac_f64_e32 v[34:35], 0xb97b839a252049c0, v[48:49]
	v_add_f64_e32 v[32:33], v[52:53], v[34:35]
	s_delay_alu instid0(VALU_DEP_1) | instskip(NEXT) | instid1(VALU_DEP_1)
	v_add_f64_e64 v[44:45], v[32:33], -v[52:53]
	v_add_f64_e64 v[34:35], v[34:35], -v[44:45]
.LBB161_249:                            ;   in Loop: Header=BB161_180 Depth=1
	s_or_b32 exec_lo, exec_lo, s1
                                        ; implicit-def: $vgpr52
                                        ; implicit-def: $vgpr44_vgpr45
                                        ; implicit-def: $vgpr46_vgpr47
	s_and_saveexec_b32 s1, s0
	s_delay_alu instid0(SALU_CYCLE_1)
	s_xor_b32 s0, exec_lo, s1
	s_cbranch_execz .LBB161_251
; %bb.250:                              ;   in Loop: Header=BB161_180 Depth=1
	v_cmp_le_f64_e64 vcc_lo, 0x7b000000, |v[12:13]|
	v_dual_cndmask_b32 v43, v51, v43 :: v_dual_cndmask_b32 v42, v12, v42
	s_delay_alu instid0(VALU_DEP_1) | instskip(SKIP_2) | instid1(VALU_DEP_3)
	v_mul_f64_e32 v[44:45], v[40:41], v[42:43]
	v_mul_f64_e32 v[46:47], v[38:39], v[42:43]
	;; [unrolled: 1-line block ×3, first 2 shown]
	v_fma_f64 v[40:41], v[40:41], v[42:43], -v[44:45]
	s_delay_alu instid0(VALU_DEP_3) | instskip(NEXT) | instid1(VALU_DEP_3)
	v_fma_f64 v[38:39], v[38:39], v[42:43], -v[46:47]
	v_fma_f64 v[36:37], v[36:37], v[42:43], -v[58:59]
	s_delay_alu instid0(VALU_DEP_3) | instskip(NEXT) | instid1(VALU_DEP_1)
	v_add_f64_e32 v[48:49], v[46:47], v[40:41]
	v_add_f64_e64 v[52:53], v[48:49], -v[46:47]
	v_add_f64_e32 v[56:57], v[44:45], v[48:49]
	s_delay_alu instid0(VALU_DEP_2) | instskip(SKIP_1) | instid1(VALU_DEP_3)
	v_add_f64_e64 v[54:55], v[48:49], -v[52:53]
	v_add_f64_e64 v[40:41], v[40:41], -v[52:53]
	v_ldexp_f64 v[52:53], v[56:57], -2
	v_add_f64_e64 v[44:45], v[56:57], -v[44:45]
	s_delay_alu instid0(VALU_DEP_4) | instskip(SKIP_1) | instid1(VALU_DEP_4)
	v_add_f64_e64 v[46:47], v[46:47], -v[54:55]
	v_add_f64_e32 v[54:55], v[58:59], v[38:39]
	v_cmp_neq_f64_e64 vcc_lo, 0x7ff00000, |v[52:53]|
	s_delay_alu instid0(VALU_DEP_3) | instskip(SKIP_1) | instid1(VALU_DEP_1)
	v_add_f64_e32 v[40:41], v[40:41], v[46:47]
	v_fract_f64_e32 v[46:47], v[52:53]
	v_ldexp_f64 v[46:47], v[46:47], 2
	s_delay_alu instid0(VALU_DEP_1) | instskip(NEXT) | instid1(VALU_DEP_2)
	v_dual_add_f64 v[44:45], v[48:49], -v[44:45] :: v_dual_cndmask_b32 v47, 0, v47, vcc_lo
	v_dual_add_f64 v[48:49], v[54:55], v[40:41] :: v_dual_cndmask_b32 v46, 0, v46, vcc_lo
	s_delay_alu instid0(VALU_DEP_1) | instskip(SKIP_1) | instid1(VALU_DEP_2)
	v_add_f64_e32 v[52:53], v[44:45], v[48:49]
	v_add_f64_e64 v[60:61], v[48:49], -v[54:55]
	v_add_f64_e32 v[56:57], v[52:53], v[46:47]
	s_delay_alu instid0(VALU_DEP_2) | instskip(SKIP_2) | instid1(VALU_DEP_4)
	v_add_f64_e64 v[66:67], v[48:49], -v[60:61]
	v_add_f64_e64 v[40:41], v[40:41], -v[60:61]
	v_add_f64_e64 v[42:43], v[52:53], -v[44:45]
	v_cmp_gt_f64_e32 vcc_lo, 0, v[56:57]
	v_add_f64_e64 v[56:57], v[54:55], -v[58:59]
	s_delay_alu instid0(VALU_DEP_3) | instskip(SKIP_1) | instid1(VALU_DEP_3)
	v_add_f64_e64 v[42:43], v[48:49], -v[42:43]
                                        ; implicit-def: $vgpr48_vgpr49
	v_cndmask_b32_e64 v21, 0, 0x40100000, vcc_lo
	v_add_f64_e64 v[64:65], v[54:55], -v[56:57]
	v_add_f64_e64 v[38:39], v[38:39], -v[56:57]
	;; [unrolled: 1-line block ×3, first 2 shown]
	s_delay_alu instid0(VALU_DEP_4) | instskip(NEXT) | instid1(VALU_DEP_4)
	v_add_f64_e32 v[46:47], v[46:47], v[20:21]
	v_add_f64_e64 v[56:57], v[58:59], -v[64:65]
	s_delay_alu instid0(VALU_DEP_3) | instskip(NEXT) | instid1(VALU_DEP_3)
	v_add_f64_e32 v[40:41], v[40:41], v[54:55]
	v_add_f64_e32 v[62:63], v[52:53], v[46:47]
	s_delay_alu instid0(VALU_DEP_3) | instskip(NEXT) | instid1(VALU_DEP_2)
	v_add_f64_e32 v[38:39], v[38:39], v[56:57]
	v_cvt_i32_f64_e32 v21, v[62:63]
	s_delay_alu instid0(VALU_DEP_2) | instskip(NEXT) | instid1(VALU_DEP_2)
	v_add_f64_e32 v[38:39], v[38:39], v[40:41]
	v_cvt_f64_i32_e32 v[60:61], v21
	s_delay_alu instid0(VALU_DEP_2) | instskip(NEXT) | instid1(VALU_DEP_2)
	v_add_f64_e32 v[36:37], v[36:37], v[38:39]
	v_add_f64_e64 v[46:47], v[46:47], -v[60:61]
	s_delay_alu instid0(VALU_DEP_2) | instskip(NEXT) | instid1(VALU_DEP_2)
	v_add_f64_e32 v[36:37], v[42:43], v[36:37]
	v_add_f64_e32 v[40:41], v[52:53], v[46:47]
	s_delay_alu instid0(VALU_DEP_1) | instskip(SKIP_1) | instid1(VALU_DEP_2)
	v_add_f64_e64 v[38:39], v[40:41], -v[46:47]
	v_cmp_le_f64_e32 vcc_lo, 0.5, v[40:41]
	v_add_f64_e64 v[38:39], v[52:53], -v[38:39]
	v_add_co_ci_u32_e64 v52, null, 0, v21, vcc_lo
	v_cndmask_b32_e64 v21, 0, 0x3ff00000, vcc_lo
	s_delay_alu instid0(VALU_DEP_3) | instskip(NEXT) | instid1(VALU_DEP_2)
	v_add_f64_e32 v[36:37], v[36:37], v[38:39]
	v_add_f64_e64 v[38:39], v[40:41], -v[20:21]
	s_delay_alu instid0(VALU_DEP_1) | instskip(NEXT) | instid1(VALU_DEP_1)
	v_add_f64_e32 v[40:41], v[38:39], v[36:37]
	v_mul_f64_e32 v[42:43], 0x3ff921fb54442d18, v[40:41]
	v_add_f64_e64 v[38:39], v[40:41], -v[38:39]
	s_delay_alu instid0(VALU_DEP_2) | instskip(NEXT) | instid1(VALU_DEP_2)
	v_fma_f64 v[46:47], v[40:41], s[2:3], -v[42:43]
	v_add_f64_e64 v[36:37], v[36:37], -v[38:39]
	s_delay_alu instid0(VALU_DEP_2) | instskip(NEXT) | instid1(VALU_DEP_1)
	v_fmac_f64_e32 v[46:47], 0x3c91a62633145c07, v[40:41]
	v_fmac_f64_e32 v[46:47], 0x3ff921fb54442d18, v[36:37]
	s_delay_alu instid0(VALU_DEP_1) | instskip(NEXT) | instid1(VALU_DEP_1)
	v_add_f64_e32 v[44:45], v[42:43], v[46:47]
	v_add_f64_e64 v[36:37], v[44:45], -v[42:43]
	s_delay_alu instid0(VALU_DEP_1)
	v_add_f64_e64 v[46:47], v[46:47], -v[36:37]
	s_and_not1_saveexec_b32 s0, s0
	s_cbranch_execnz .LBB161_252
	s_branch .LBB161_253
.LBB161_251:                            ;   in Loop: Header=BB161_180 Depth=1
	s_and_not1_saveexec_b32 s0, s0
	s_cbranch_execz .LBB161_253
.LBB161_252:                            ;   in Loop: Header=BB161_180 Depth=1
	s_delay_alu instid0(VALU_DEP_1) | instskip(SKIP_2) | instid1(VALU_DEP_2)
	v_fma_f64 v[36:37], v[48:49], s[6:7], |v[12:13]|
	v_mul_f64_e32 v[38:39], 0xbc91a62633145c00, v[48:49]
	v_cvt_i32_f64_e32 v52, v[48:49]
	v_add_f64_e32 v[40:41], v[36:37], v[38:39]
	s_delay_alu instid0(VALU_DEP_1) | instskip(SKIP_1) | instid1(VALU_DEP_1)
	v_add_f64_e64 v[42:43], v[36:37], -v[40:41]
	v_fmamk_f64 v[36:37], v[48:49], 0xbc91a62633145c00, v[36:37]
	v_add_f64_e64 v[40:41], v[40:41], -v[36:37]
	s_delay_alu instid0(VALU_DEP_3) | instskip(SKIP_1) | instid1(VALU_DEP_2)
	v_add_f64_e32 v[42:43], v[42:43], v[38:39]
	v_fmamk_f64 v[38:39], v[48:49], 0x3c91a62633145c00, v[38:39]
	v_add_f64_e32 v[40:41], v[40:41], v[42:43]
	s_delay_alu instid0(VALU_DEP_1) | instskip(NEXT) | instid1(VALU_DEP_1)
	v_add_f64_e64 v[38:39], v[40:41], -v[38:39]
	v_fmac_f64_e32 v[38:39], 0xb97b839a252049c0, v[48:49]
	s_delay_alu instid0(VALU_DEP_1) | instskip(NEXT) | instid1(VALU_DEP_1)
	v_add_f64_e32 v[44:45], v[36:37], v[38:39]
	v_add_f64_e64 v[36:37], v[44:45], -v[36:37]
	s_delay_alu instid0(VALU_DEP_1)
	v_add_f64_e64 v[46:47], v[38:39], -v[36:37]
.LBB161_253:                            ;   in Loop: Header=BB161_180 Depth=1
	s_or_b32 exec_lo, exec_lo, s0
	v_dual_mul_f64 v[36:37], v[32:33], v[32:33] :: v_dual_bitop2_b32 v21, 1, v50 bitop3:0x40
	s_delay_alu instid0(VALU_DEP_2)
	v_mul_f64_e32 v[64:65], 0.5, v[46:47]
	v_cmp_class_f64_e64 s0, v[12:13], 0x1f8
	v_and_b32_e32 v12, 1, v52
	v_mul_f64_e32 v[38:39], v[44:45], v[44:45]
	v_cmp_eq_u32_e32 vcc_lo, 0, v21
	v_mul_f64_e32 v[56:57], 0.5, v[34:35]
	s_delay_alu instid0(VALU_DEP_4)
	v_cmp_eq_u32_e64 s1, 0, v12
	v_lshlrev_b32_e32 v12, 30, v52
	v_mul_f64_e32 v[40:41], 0.5, v[36:37]
	v_mul_f64_e64 v[58:59], v[32:33], -v[36:37]
	v_fmamk_f64 v[62:63], v[36:37], 0x3de5e0b2f9a43bb8, v[28:29]
	v_fmamk_f64 v[68:69], v[38:39], 0x3de5e0b2f9a43bb8, v[28:29]
	s_delay_alu instid0(VALU_DEP_2) | instskip(NEXT) | instid1(VALU_DEP_2)
	v_fmaak_f64 v[62:63], v[36:37], v[62:63], 0x3ec71de3796cde01
	v_fmaak_f64 v[68:69], v[38:39], v[68:69], 0x3ec71de3796cde01
	s_delay_alu instid0(VALU_DEP_2) | instskip(NEXT) | instid1(VALU_DEP_1)
	v_fmaak_f64 v[62:63], v[36:37], v[62:63], 0xbf2a01a019e83e5c
	v_fmaak_f64 v[62:63], v[36:37], v[62:63], 0x3f81111111110bb3
	v_add_f64_e64 v[48:49], -v[40:41], 1.0
	s_delay_alu instid0(VALU_DEP_2) | instskip(SKIP_1) | instid1(VALU_DEP_3)
	v_fmac_f64_e32 v[56:57], v[58:59], v[62:63]
	v_mul_f64_e32 v[62:63], v[36:37], v[36:37]
	v_add_f64_e64 v[60:61], -v[48:49], 1.0
	s_delay_alu instid0(VALU_DEP_3) | instskip(NEXT) | instid1(VALU_DEP_2)
	v_fma_f64 v[56:57], v[36:37], v[56:57], -v[34:35]
	v_add_f64_e64 v[40:41], v[60:61], -v[40:41]
	s_delay_alu instid0(VALU_DEP_2) | instskip(SKIP_1) | instid1(VALU_DEP_1)
	v_fmac_f64_e32 v[56:57], 0xbfc5555555555555, v[58:59]
	v_fmaak_f64 v[60:61], v[38:39], v[68:69], 0xbf2a01a019e83e5c
	v_fmaak_f64 v[60:61], v[38:39], v[60:61], 0x3f81111111110bb3
	s_delay_alu instid0(VALU_DEP_4) | instskip(NEXT) | instid1(VALU_DEP_4)
	v_fma_f64 v[34:35], v[32:33], -v[34:35], v[40:41]
	v_add_f64_e64 v[32:33], v[32:33], -v[56:57]
	v_mul_f64_e64 v[66:67], v[44:45], -v[38:39]
	s_delay_alu instid0(VALU_DEP_1) | instskip(SKIP_1) | instid1(VALU_DEP_1)
	v_fmac_f64_e32 v[64:65], v[66:67], v[60:61]
	v_fmamk_f64 v[60:61], v[36:37], 0xbda907db46cc5e42, v[26:27]
	v_fmaak_f64 v[40:41], v[36:37], v[60:61], 0xbe927e4fa17f65f6
	s_delay_alu instid0(VALU_DEP_1) | instskip(NEXT) | instid1(VALU_DEP_1)
	v_fmaak_f64 v[40:41], v[36:37], v[40:41], 0x3efa01a019f4ec90
	v_fmaak_f64 v[40:41], v[36:37], v[40:41], 0xbf56c16c16c16967
	s_delay_alu instid0(VALU_DEP_1) | instskip(NEXT) | instid1(VALU_DEP_1)
	v_fmaak_f64 v[36:37], v[36:37], v[40:41], 0x3fa5555555555555
	v_fmac_f64_e32 v[34:35], v[62:63], v[36:37]
	s_delay_alu instid0(VALU_DEP_1) | instskip(NEXT) | instid1(VALU_DEP_1)
	v_add_f64_e32 v[34:35], v[48:49], v[34:35]
	v_dual_cndmask_b32 v21, v34, v32 :: v_dual_lshlrev_b32 v32, 30, v50
	v_mul_f64_e32 v[42:43], 0.5, v[38:39]
	v_fma_f64 v[60:61], v[38:39], v[64:65], -v[46:47]
	v_fmamk_f64 v[64:65], v[38:39], 0xbda907db46cc5e42, v[26:27]
	s_delay_alu instid0(VALU_DEP_4) | instskip(SKIP_1) | instid1(VALU_DEP_3)
	v_dual_mul_f64 v[68:69], v[38:39], v[38:39] :: v_dual_bitop2_b32 v13, v32, v13 bitop3:0x14
	v_cndmask_b32_e32 v32, v35, v33, vcc_lo
	v_fmaak_f64 v[40:41], v[38:39], v[64:65], 0xbe927e4fa17f65f6
	s_delay_alu instid0(VALU_DEP_2) | instskip(NEXT) | instid1(VALU_DEP_1)
	v_bitop3_b32 v13, v32, v13, 0x80000000 bitop3:0x78
	v_cndmask_b32_e64 v13, 0x7ff80000, v13, s0
	s_delay_alu instid0(VALU_DEP_3) | instskip(NEXT) | instid1(VALU_DEP_1)
	v_fmaak_f64 v[36:37], v[38:39], v[40:41], 0x3efa01a019f4ec90
	v_fmaak_f64 v[36:37], v[38:39], v[36:37], 0xbf56c16c16c16967
	s_delay_alu instid0(VALU_DEP_1) | instskip(SKIP_2) | instid1(VALU_DEP_2)
	v_fmaak_f64 v[36:37], v[38:39], v[36:37], 0x3fa5555555555555
	v_add_f64_e64 v[54:55], -v[42:43], 1.0
	v_fmac_f64_e32 v[60:61], 0xbfc5555555555555, v[66:67]
	v_add_f64_e64 v[70:71], -v[54:55], 1.0
	s_delay_alu instid0(VALU_DEP_1) | instskip(NEXT) | instid1(VALU_DEP_1)
	v_add_f64_e64 v[42:43], v[70:71], -v[42:43]
	v_fma_f64 v[42:43], v[44:45], -v[46:47], v[42:43]
	s_delay_alu instid0(VALU_DEP_1) | instskip(SKIP_1) | instid1(VALU_DEP_2)
	v_fmac_f64_e32 v[42:43], v[68:69], v[36:37]
	v_add_f64_e64 v[36:37], v[44:45], -v[60:61]
	v_add_f64_e32 v[38:39], v[54:55], v[42:43]
	s_delay_alu instid0(VALU_DEP_2) | instskip(NEXT) | instid1(VALU_DEP_1)
	v_xor_b32_e32 v34, 0x80000000, v37
	v_dual_cndmask_b32 v34, v34, v39, s1 :: v_dual_cndmask_b32 v33, v36, v38, s1
	s_delay_alu instid0(VALU_DEP_1) | instskip(SKIP_1) | instid1(VALU_DEP_3)
	v_bitop3_b32 v34, v34, v12, 0x80000000 bitop3:0x78
	v_cndmask_b32_e64 v12, 0, v21, s0
	v_cndmask_b32_e64 v32, 0, v33, s0
	s_delay_alu instid0(VALU_DEP_3) | instskip(NEXT) | instid1(VALU_DEP_1)
	v_cndmask_b32_e64 v33, 0x7ff80000, v34, s0
	v_mul_f64_e32 v[12:13], v[12:13], v[32:33]
.LBB161_254:                            ;   in Loop: Header=BB161_180 Depth=1
	s_or_b32 exec_lo, exec_lo, s22
	s_delay_alu instid0(VALU_DEP_1) | instskip(SKIP_1) | instid1(VALU_DEP_2)
	v_bfi_b32 v21, 0x7fffffff, 0, v13
	v_add_nc_u32_e32 v11, -2.0, v11
	v_mov_b64_e32 v[12:13], v[20:21]
.LBB161_255:                            ;   in Loop: Header=BB161_180 Depth=1
	s_or_b32 exec_lo, exec_lo, s21
.LBB161_256:                            ;   in Loop: Header=BB161_180 Depth=1
	s_delay_alu instid0(SALU_CYCLE_1) | instskip(SKIP_3) | instid1(VALU_DEP_1)
	s_or_b32 exec_lo, exec_lo, s20
	s_wait_loadcnt 0x0
	v_and_b32_e32 v21, 0x7fffffff, v7
	s_mov_b32 s0, exec_lo
	v_cmpx_gt_u32_e32 0x7ff00000, v21
	s_xor_b32 s1, exec_lo, s0
	s_cbranch_execz .LBB161_278
; %bb.257:                              ;   in Loop: Header=BB161_180 Depth=1
	v_cmp_class_f64_e64 s0, v[8:9], 0x1f8
	s_and_saveexec_b32 s20, s0
	s_delay_alu instid0(SALU_CYCLE_1)
	s_xor_b32 s20, exec_lo, s20
	s_cbranch_execz .LBB161_275
; %bb.258:                              ;   in Loop: Header=BB161_180 Depth=1
	s_mov_b32 s0, exec_lo
	v_cmpx_gt_u32_e32 0x40360000, v21
	s_xor_b32 s21, exec_lo, s0
	s_cbranch_execz .LBB161_264
; %bb.259:                              ;   in Loop: Header=BB161_180 Depth=1
	v_cmp_ngt_f64_e64 s0, 0x41d00000, |v[8:9]|
                                        ; implicit-def: $vgpr36
                                        ; implicit-def: $vgpr32_vgpr33
                                        ; implicit-def: $vgpr34_vgpr35
	s_and_saveexec_b32 s22, s0
	s_delay_alu instid0(SALU_CYCLE_1)
	s_xor_b32 s0, exec_lo, s22
	s_cbranch_execz .LBB161_261
; %bb.260:                              ;   in Loop: Header=BB161_180 Depth=1
	v_ldexp_f64 v[32:33], |v[8:9]|, 0xffffff80
	v_cmp_le_f64_e64 vcc_lo, 0x7b000000, |v[8:9]|
	v_trig_preop_f64 v[34:35], |v[8:9]|, 0
	v_and_b32_e32 v21, 0x7fffffff, v9
	v_trig_preop_f64 v[36:37], |v[8:9]|, 1
	v_trig_preop_f64 v[46:47], |v[8:9]|, 2
	s_delay_alu instid0(VALU_DEP_3) | instskip(NEXT) | instid1(VALU_DEP_1)
	v_dual_cndmask_b32 v33, v21, v33 :: v_dual_cndmask_b32 v32, v8, v32
	v_mul_f64_e32 v[38:39], v[34:35], v[32:33]
	s_delay_alu instid0(VALU_DEP_4) | instskip(NEXT) | instid1(VALU_DEP_4)
	v_mul_f64_e32 v[40:41], v[36:37], v[32:33]
	v_mul_f64_e32 v[52:53], v[46:47], v[32:33]
	s_delay_alu instid0(VALU_DEP_3) | instskip(NEXT) | instid1(VALU_DEP_3)
	v_fma_f64 v[34:35], v[34:35], v[32:33], -v[38:39]
	v_fma_f64 v[36:37], v[36:37], v[32:33], -v[40:41]
	s_delay_alu instid0(VALU_DEP_3) | instskip(NEXT) | instid1(VALU_DEP_3)
	v_fma_f64 v[32:33], v[46:47], v[32:33], -v[52:53]
	v_add_f64_e32 v[42:43], v[40:41], v[34:35]
	s_delay_alu instid0(VALU_DEP_1) | instskip(SKIP_1) | instid1(VALU_DEP_2)
	v_add_f64_e64 v[44:45], v[42:43], -v[40:41]
	v_add_f64_e32 v[50:51], v[38:39], v[42:43]
	v_add_f64_e64 v[48:49], v[42:43], -v[44:45]
	v_add_f64_e64 v[34:35], v[34:35], -v[44:45]
	s_delay_alu instid0(VALU_DEP_3) | instskip(NEXT) | instid1(VALU_DEP_3)
	v_ldexp_f64 v[44:45], v[50:51], -2
	v_add_f64_e64 v[40:41], v[40:41], -v[48:49]
	v_add_f64_e32 v[48:49], v[52:53], v[36:37]
	s_delay_alu instid0(VALU_DEP_3) | instskip(NEXT) | instid1(VALU_DEP_3)
	v_cmp_neq_f64_e64 vcc_lo, 0x7ff00000, |v[44:45]|
	v_add_f64_e32 v[34:35], v[34:35], v[40:41]
	v_fract_f64_e32 v[40:41], v[44:45]
	s_delay_alu instid0(VALU_DEP_1) | instskip(NEXT) | instid1(VALU_DEP_1)
	v_ldexp_f64 v[40:41], v[40:41], 2
	v_dual_add_f64 v[38:39], v[50:51], -v[38:39] :: v_dual_cndmask_b32 v40, 0, v40, vcc_lo
	s_delay_alu instid0(VALU_DEP_1) | instskip(SKIP_1) | instid1(VALU_DEP_1)
	v_dual_add_f64 v[38:39], v[42:43], -v[38:39] :: v_dual_cndmask_b32 v41, 0, v41, vcc_lo
	v_add_f64_e32 v[42:43], v[48:49], v[34:35]
	v_add_f64_e32 v[44:45], v[38:39], v[42:43]
	v_add_f64_e64 v[54:55], v[42:43], -v[48:49]
	s_delay_alu instid0(VALU_DEP_2) | instskip(NEXT) | instid1(VALU_DEP_2)
	v_add_f64_e32 v[50:51], v[44:45], v[40:41]
	v_add_f64_e64 v[60:61], v[42:43], -v[54:55]
	v_add_f64_e64 v[34:35], v[34:35], -v[54:55]
	;; [unrolled: 1-line block ×3, first 2 shown]
	s_delay_alu instid0(VALU_DEP_4) | instskip(SKIP_2) | instid1(VALU_DEP_2)
	v_cmp_gt_f64_e32 vcc_lo, 0, v[50:51]
	v_add_f64_e64 v[50:51], v[48:49], -v[52:53]
	v_cndmask_b32_e64 v21, 0, 0x40100000, vcc_lo
	v_add_f64_e64 v[58:59], v[48:49], -v[50:51]
	v_add_f64_e64 v[36:37], v[36:37], -v[50:51]
	;; [unrolled: 1-line block ×3, first 2 shown]
	s_delay_alu instid0(VALU_DEP_4) | instskip(NEXT) | instid1(VALU_DEP_4)
	v_add_f64_e32 v[40:41], v[40:41], v[20:21]
	v_add_f64_e64 v[50:51], v[52:53], -v[58:59]
	s_delay_alu instid0(VALU_DEP_3) | instskip(NEXT) | instid1(VALU_DEP_3)
	v_add_f64_e32 v[34:35], v[34:35], v[48:49]
	v_add_f64_e32 v[56:57], v[44:45], v[40:41]
	s_delay_alu instid0(VALU_DEP_3) | instskip(NEXT) | instid1(VALU_DEP_2)
	v_add_f64_e32 v[36:37], v[36:37], v[50:51]
	v_cvt_i32_f64_e32 v21, v[56:57]
	s_delay_alu instid0(VALU_DEP_2) | instskip(SKIP_1) | instid1(VALU_DEP_3)
	v_add_f64_e32 v[34:35], v[36:37], v[34:35]
	v_add_f64_e64 v[36:37], v[42:43], -v[38:39]
	v_cvt_f64_i32_e32 v[54:55], v21
	s_delay_alu instid0(VALU_DEP_3) | instskip(NEXT) | instid1(VALU_DEP_2)
	v_add_f64_e32 v[32:33], v[32:33], v[34:35]
	v_add_f64_e64 v[40:41], v[40:41], -v[54:55]
	s_delay_alu instid0(VALU_DEP_2) | instskip(NEXT) | instid1(VALU_DEP_2)
	v_add_f64_e32 v[32:33], v[36:37], v[32:33]
	v_add_f64_e32 v[46:47], v[44:45], v[40:41]
	s_delay_alu instid0(VALU_DEP_1) | instskip(SKIP_1) | instid1(VALU_DEP_2)
	v_add_f64_e64 v[34:35], v[46:47], -v[40:41]
	v_cmp_le_f64_e32 vcc_lo, 0.5, v[46:47]
	v_add_f64_e64 v[34:35], v[44:45], -v[34:35]
	v_add_co_ci_u32_e64 v36, null, 0, v21, vcc_lo
	v_cndmask_b32_e64 v21, 0, 0x3ff00000, vcc_lo
	s_delay_alu instid0(VALU_DEP_3) | instskip(NEXT) | instid1(VALU_DEP_2)
	v_add_f64_e32 v[32:33], v[32:33], v[34:35]
	v_add_f64_e64 v[34:35], v[46:47], -v[20:21]
	s_delay_alu instid0(VALU_DEP_1) | instskip(NEXT) | instid1(VALU_DEP_1)
	v_add_f64_e32 v[38:39], v[34:35], v[32:33]
	v_mul_f64_e32 v[40:41], 0x3ff921fb54442d18, v[38:39]
	v_add_f64_e64 v[34:35], v[38:39], -v[34:35]
	s_delay_alu instid0(VALU_DEP_2) | instskip(NEXT) | instid1(VALU_DEP_2)
	v_fma_f64 v[42:43], v[38:39], s[2:3], -v[40:41]
	v_add_f64_e64 v[32:33], v[32:33], -v[34:35]
	s_delay_alu instid0(VALU_DEP_2) | instskip(NEXT) | instid1(VALU_DEP_1)
	v_fmac_f64_e32 v[42:43], 0x3c91a62633145c07, v[38:39]
	v_fmac_f64_e32 v[42:43], 0x3ff921fb54442d18, v[32:33]
	s_delay_alu instid0(VALU_DEP_1) | instskip(NEXT) | instid1(VALU_DEP_1)
	v_add_f64_e32 v[32:33], v[40:41], v[42:43]
	v_add_f64_e64 v[34:35], v[32:33], -v[40:41]
	s_delay_alu instid0(VALU_DEP_1)
	v_add_f64_e64 v[34:35], v[42:43], -v[34:35]
.LBB161_261:                            ;   in Loop: Header=BB161_180 Depth=1
	s_and_not1_saveexec_b32 s0, s0
	s_cbranch_execz .LBB161_263
; %bb.262:                              ;   in Loop: Header=BB161_180 Depth=1
	v_mul_f64_e64 v[32:33], |v[8:9]|, s[4:5]
	s_delay_alu instid0(VALU_DEP_1) | instskip(NEXT) | instid1(VALU_DEP_1)
	v_rndne_f64_e32 v[36:37], v[32:33]
	v_fma_f64 v[32:33], v[36:37], s[6:7], |v[8:9]|
	v_mul_f64_e32 v[34:35], 0xbc91a62633145c00, v[36:37]
	s_delay_alu instid0(VALU_DEP_2) | instskip(NEXT) | instid1(VALU_DEP_2)
	v_fmamk_f64 v[42:43], v[36:37], 0xbc91a62633145c00, v[32:33]
	v_add_f64_e32 v[38:39], v[32:33], v[34:35]
	s_delay_alu instid0(VALU_DEP_1) | instskip(NEXT) | instid1(VALU_DEP_3)
	v_add_f64_e64 v[40:41], v[32:33], -v[38:39]
	v_add_f64_e64 v[32:33], v[38:39], -v[42:43]
	s_delay_alu instid0(VALU_DEP_2) | instskip(SKIP_1) | instid1(VALU_DEP_2)
	v_add_f64_e32 v[38:39], v[40:41], v[34:35]
	v_fmamk_f64 v[34:35], v[36:37], 0x3c91a62633145c00, v[34:35]
	v_add_f64_e32 v[32:33], v[32:33], v[38:39]
	s_delay_alu instid0(VALU_DEP_1) | instskip(NEXT) | instid1(VALU_DEP_1)
	v_add_f64_e64 v[34:35], v[32:33], -v[34:35]
	v_fmac_f64_e32 v[34:35], 0xb97b839a252049c0, v[36:37]
	v_cvt_i32_f64_e32 v36, v[36:37]
	s_delay_alu instid0(VALU_DEP_2) | instskip(NEXT) | instid1(VALU_DEP_1)
	v_add_f64_e32 v[32:33], v[42:43], v[34:35]
	v_add_f64_e64 v[38:39], v[32:33], -v[42:43]
	s_delay_alu instid0(VALU_DEP_1)
	v_add_f64_e64 v[34:35], v[34:35], -v[38:39]
.LBB161_263:                            ;   in Loop: Header=BB161_180 Depth=1
	s_or_b32 exec_lo, exec_lo, s0
	v_add_f64_e64 v[38:39], |v[6:7]|, s[8:9]
	v_cmp_nge_f64_e64 vcc_lo, |v[6:7]|, s[10:11]
	v_and_b32_e32 v37, 0x7fffffff, v7
	v_mul_f64_e32 v[56:57], v[32:33], v[32:33]
	v_add_f64_e32 v[58:59], v[34:35], v[34:35]
	v_add_f64_e64 v[40:41], v[38:39], -|v[6:7]|
	s_delay_alu instid0(VALU_DEP_3) | instskip(NEXT) | instid1(VALU_DEP_2)
	v_fma_f64 v[60:61], v[32:33], v[32:33], -v[56:57]
	v_add_f64_e64 v[42:43], v[40:41], -v[38:39]
	v_add_f64_e32 v[40:41], 0x3fe62e42fefa39ef, v[40:41]
	s_delay_alu instid0(VALU_DEP_3) | instskip(NEXT) | instid1(VALU_DEP_3)
	v_fmac_f64_e32 v[60:61], v[32:33], v[58:59]
	v_add_f64_e64 v[42:43], |v[6:7]|, v[42:43]
	s_delay_alu instid0(VALU_DEP_2) | instskip(NEXT) | instid1(VALU_DEP_2)
	v_add_f64_e32 v[56:57], v[56:57], v[60:61]
	v_add_f64_e64 v[40:41], v[42:43], -v[40:41]
	s_delay_alu instid0(VALU_DEP_2) | instskip(NEXT) | instid1(VALU_DEP_1)
	v_fmamk_f64 v[60:61], v[56:57], 0x3ef5e089c751c08c, v[22:23]
	v_fmaak_f64 v[60:61], v[56:57], v[60:61], 0x3f17746f90a8aae0
	s_delay_alu instid0(VALU_DEP_1) | instskip(NEXT) | instid1(VALU_DEP_4)
	v_fmaak_f64 v[60:61], v[56:57], v[60:61], 0xbefbb44da6fbf144
	v_add_f64_e32 v[40:41], 0xbc7abc9e3b39803f, v[40:41]
	s_delay_alu instid0(VALU_DEP_1) | instskip(NEXT) | instid1(VALU_DEP_1)
	v_add_f64_e32 v[42:43], v[38:39], v[40:41]
	v_mul_f64_e32 v[44:45], 0x3ff71547652b82fe, v[42:43]
	v_add_f64_e64 v[38:39], v[38:39], -v[42:43]
	s_delay_alu instid0(VALU_DEP_2) | instskip(NEXT) | instid1(VALU_DEP_2)
	v_rndne_f64_e32 v[44:45], v[44:45]
	v_add_f64_e32 v[38:39], v[40:41], v[38:39]
	s_delay_alu instid0(VALU_DEP_2) | instskip(SKIP_2) | instid1(VALU_DEP_3)
	v_fmac_f64_e32 v[42:43], 0xbfe62e42fefa3000, v[44:45]
	v_mul_f64_e32 v[40:41], 0xbd53de6af278e000, v[44:45]
	v_cvt_i32_f64_e32 v8, v[44:45]
	v_add_f64_e32 v[46:47], v[38:39], v[42:43]
	s_delay_alu instid0(VALU_DEP_1) | instskip(SKIP_1) | instid1(VALU_DEP_2)
	v_add_f64_e32 v[48:49], v[46:47], v[40:41]
	v_add_f64_e64 v[42:43], v[42:43], -v[46:47]
	v_add_f64_e64 v[46:47], v[46:47], -v[48:49]
	s_delay_alu instid0(VALU_DEP_2) | instskip(NEXT) | instid1(VALU_DEP_2)
	v_add_f64_e32 v[38:39], v[38:39], v[42:43]
	v_add_f64_e32 v[40:41], v[46:47], v[40:41]
	s_delay_alu instid0(VALU_DEP_1) | instskip(SKIP_1) | instid1(VALU_DEP_2)
	v_add_f64_e32 v[38:39], v[38:39], v[40:41]
	v_mul_f64_e32 v[40:41], 0xbac9cc01f97b57a0, v[44:45]
	v_add_f64_e32 v[42:43], v[48:49], v[38:39]
	s_delay_alu instid0(VALU_DEP_1) | instskip(SKIP_1) | instid1(VALU_DEP_2)
	v_add_f64_e32 v[46:47], v[42:43], v[40:41]
	v_add_f64_e64 v[48:49], v[48:49], -v[42:43]
	v_add_f64_e64 v[42:43], v[42:43], -v[46:47]
	s_delay_alu instid0(VALU_DEP_2) | instskip(NEXT) | instid1(VALU_DEP_2)
	v_add_f64_e32 v[38:39], v[38:39], v[48:49]
	v_add_f64_e32 v[40:41], v[42:43], v[40:41]
	s_delay_alu instid0(VALU_DEP_1) | instskip(NEXT) | instid1(VALU_DEP_1)
	v_add_f64_e32 v[38:39], v[38:39], v[40:41]
	v_add_f64_e32 v[40:41], v[46:47], v[38:39]
	s_delay_alu instid0(VALU_DEP_1) | instskip(SKIP_1) | instid1(VALU_DEP_2)
	v_add_f64_e64 v[42:43], v[46:47], -v[40:41]
	v_mul_f64_e32 v[46:47], v[40:41], v[40:41]
	v_add_f64_e32 v[38:39], v[38:39], v[42:43]
	s_delay_alu instid0(VALU_DEP_2) | instskip(NEXT) | instid1(VALU_DEP_2)
	v_fma_f64 v[42:43], v[40:41], v[40:41], -v[46:47]
	v_add_f64_e32 v[48:49], v[38:39], v[38:39]
	s_delay_alu instid0(VALU_DEP_1) | instskip(SKIP_1) | instid1(VALU_DEP_1)
	v_fmac_f64_e32 v[42:43], v[40:41], v[48:49]
	v_fmamk_f64 v[48:49], v[40:41], 0x3e5ade156a5dcb37, v[24:25]
	v_fmaak_f64 v[48:49], v[40:41], v[48:49], 0x3ec71dee623fde64
	s_delay_alu instid0(VALU_DEP_1) | instskip(NEXT) | instid1(VALU_DEP_1)
	v_fmaak_f64 v[48:49], v[40:41], v[48:49], 0x3efa01997c89e6b0
	v_fmaak_f64 v[48:49], v[40:41], v[48:49], 0x3f2a01a014761f6e
	s_delay_alu instid0(VALU_DEP_1) | instskip(SKIP_1) | instid1(VALU_DEP_2)
	v_fmaak_f64 v[48:49], v[40:41], v[48:49], 0x3f56c16c1852b7b0
	v_add_f64_e32 v[50:51], v[46:47], v[42:43]
	v_fmaak_f64 v[48:49], v[40:41], v[48:49], 0x3f81111111122322
	s_delay_alu instid0(VALU_DEP_1) | instskip(NEXT) | instid1(VALU_DEP_1)
	v_fmaak_f64 v[48:49], v[40:41], v[48:49], 0x3fa55555555502a1
	v_fmaak_f64 v[48:49], v[40:41], v[48:49], 0x3fc5555555555511
	s_delay_alu instid0(VALU_DEP_1) | instskip(SKIP_1) | instid1(VALU_DEP_2)
	v_fmaak_f64 v[48:49], v[40:41], v[48:49], 0x3fe000000000000b
	v_add_f64_e64 v[46:47], v[50:51], -v[46:47]
	v_mul_f64_e32 v[52:53], v[50:51], v[48:49]
	s_delay_alu instid0(VALU_DEP_2) | instskip(NEXT) | instid1(VALU_DEP_2)
	v_add_f64_e64 v[42:43], v[42:43], -v[46:47]
	v_fma_f64 v[46:47], v[50:51], v[48:49], -v[52:53]
	s_delay_alu instid0(VALU_DEP_1) | instskip(NEXT) | instid1(VALU_DEP_1)
	v_fmac_f64_e32 v[46:47], v[42:43], v[48:49]
	v_add_f64_e32 v[42:43], v[52:53], v[46:47]
	s_delay_alu instid0(VALU_DEP_1) | instskip(SKIP_1) | instid1(VALU_DEP_2)
	v_add_f64_e32 v[48:49], v[40:41], v[42:43]
	v_add_f64_e64 v[50:51], v[42:43], -v[52:53]
	v_add_f64_e64 v[40:41], v[48:49], -v[40:41]
	s_delay_alu instid0(VALU_DEP_2) | instskip(NEXT) | instid1(VALU_DEP_2)
	v_add_f64_e64 v[46:47], v[46:47], -v[50:51]
	v_add_f64_e64 v[40:41], v[42:43], -v[40:41]
	s_delay_alu instid0(VALU_DEP_2) | instskip(NEXT) | instid1(VALU_DEP_1)
	v_add_f64_e32 v[38:39], v[38:39], v[46:47]
	v_add_f64_e32 v[38:39], v[38:39], v[40:41]
	s_delay_alu instid0(VALU_DEP_1) | instskip(NEXT) | instid1(VALU_DEP_1)
	v_add_f64_e32 v[40:41], v[48:49], v[38:39]
	v_add_f64_e32 v[42:43], 1.0, v[40:41]
	v_add_f64_e64 v[46:47], v[40:41], -v[48:49]
	s_delay_alu instid0(VALU_DEP_2) | instskip(NEXT) | instid1(VALU_DEP_2)
	v_add_f64_e32 v[48:49], -1.0, v[42:43]
	v_add_f64_e64 v[38:39], v[38:39], -v[46:47]
	s_delay_alu instid0(VALU_DEP_2) | instskip(NEXT) | instid1(VALU_DEP_1)
	v_add_f64_e64 v[40:41], v[40:41], -v[48:49]
	v_add_f64_e32 v[38:39], v[38:39], v[40:41]
	s_delay_alu instid0(VALU_DEP_1) | instskip(NEXT) | instid1(VALU_DEP_1)
	v_add_f64_e32 v[40:41], v[42:43], v[38:39]
	v_ldexp_f64 v[44:45], v[40:41], v8
	v_add_f64_e64 v[40:41], v[40:41], -v[42:43]
	s_delay_alu instid0(VALU_DEP_2) | instskip(NEXT) | instid1(VALU_DEP_1)
	v_rcp_f64_e32 v[46:47], v[44:45]
	v_add_f64_e64 v[38:39], v[38:39], -v[40:41]
	s_delay_alu instid0(VALU_DEP_1) | instskip(NEXT) | instid1(TRANS32_DEP_1)
	v_ldexp_f64 v[38:39], v[38:39], v8
	v_fma_f64 v[48:49], -v[44:45], v[46:47], 1.0
	s_delay_alu instid0(VALU_DEP_1) | instskip(NEXT) | instid1(VALU_DEP_1)
	v_fmac_f64_e32 v[46:47], v[48:49], v[46:47]
	v_fma_f64 v[48:49], -v[44:45], v[46:47], 1.0
	s_delay_alu instid0(VALU_DEP_1) | instskip(NEXT) | instid1(VALU_DEP_1)
	v_fmac_f64_e32 v[46:47], v[48:49], v[46:47]
	v_mul_f64_e32 v[40:41], v[44:45], v[46:47]
	s_delay_alu instid0(VALU_DEP_1) | instskip(NEXT) | instid1(VALU_DEP_1)
	v_fma_f64 v[42:43], v[46:47], v[44:45], -v[40:41]
	v_fmac_f64_e32 v[42:43], v[46:47], v[38:39]
	s_delay_alu instid0(VALU_DEP_1) | instskip(NEXT) | instid1(VALU_DEP_1)
	v_add_f64_e32 v[48:49], v[40:41], v[42:43]
	v_add_f64_e64 v[50:51], -v[48:49], 1.0
	v_add_f64_e64 v[40:41], v[48:49], -v[40:41]
	s_delay_alu instid0(VALU_DEP_2) | instskip(NEXT) | instid1(VALU_DEP_2)
	v_add_f64_e64 v[52:53], -v[50:51], 1.0
	v_add_f64_e64 v[40:41], v[40:41], -v[42:43]
	s_delay_alu instid0(VALU_DEP_2) | instskip(NEXT) | instid1(VALU_DEP_1)
	v_add_f64_e64 v[42:43], v[52:53], -v[48:49]
	v_add_f64_e32 v[40:41], v[40:41], v[42:43]
	s_delay_alu instid0(VALU_DEP_1) | instskip(NEXT) | instid1(VALU_DEP_1)
	v_add_f64_e32 v[42:43], v[50:51], v[40:41]
	v_mul_f64_e32 v[48:49], v[46:47], v[42:43]
	v_add_f64_e64 v[50:51], v[50:51], -v[42:43]
	s_delay_alu instid0(VALU_DEP_2) | instskip(NEXT) | instid1(VALU_DEP_2)
	v_mul_f64_e32 v[52:53], v[44:45], v[48:49]
	v_add_f64_e32 v[40:41], v[40:41], v[50:51]
	s_delay_alu instid0(VALU_DEP_2) | instskip(NEXT) | instid1(VALU_DEP_1)
	v_fma_f64 v[54:55], v[48:49], v[44:45], -v[52:53]
	v_fmac_f64_e32 v[54:55], v[48:49], v[38:39]
	s_delay_alu instid0(VALU_DEP_1) | instskip(NEXT) | instid1(VALU_DEP_1)
	v_add_f64_e32 v[62:63], v[52:53], v[54:55]
	v_add_f64_e64 v[58:59], v[42:43], -v[62:63]
	v_add_f64_e64 v[50:51], v[62:63], -v[52:53]
	v_fmaak_f64 v[52:53], v[56:57], v[60:61], 0x3f21e634a7943acf
	s_delay_alu instid0(VALU_DEP_1) | instskip(NEXT) | instid1(VALU_DEP_1)
	v_fmaak_f64 v[52:53], v[56:57], v[52:53], 0x3f2d250fdeb68feb
	v_fmaak_f64 v[52:53], v[56:57], v[52:53], 0x3f437fd9b58c4d95
	s_delay_alu instid0(VALU_DEP_1) | instskip(NEXT) | instid1(VALU_DEP_1)
	v_fmaak_f64 v[52:53], v[56:57], v[52:53], 0x3f57d5af15120e2c
	v_fmaak_f64 v[52:53], v[56:57], v[52:53], 0x3f6d6d93e09491df
	v_add_f64_e64 v[42:43], v[42:43], -v[58:59]
	v_add_f64_e64 v[50:51], v[50:51], -v[54:55]
	s_delay_alu instid0(VALU_DEP_2) | instskip(NEXT) | instid1(VALU_DEP_1)
	v_add_f64_e64 v[42:43], v[42:43], -v[62:63]
	v_add_f64_e32 v[40:41], v[40:41], v[42:43]
	v_fmaak_f64 v[42:43], v[56:57], v[52:53], 0x3f8226e12033784d
	v_add_f64_e32 v[52:53], v[46:47], v[48:49]
	s_delay_alu instid0(VALU_DEP_2) | instskip(NEXT) | instid1(VALU_DEP_1)
	v_fmaak_f64 v[42:43], v[56:57], v[42:43], 0x3f9664f49ac36ae2
	v_fmaak_f64 v[42:43], v[56:57], v[42:43], 0x3faba1ba1b451c21
	s_delay_alu instid0(VALU_DEP_1) | instskip(NEXT) | instid1(VALU_DEP_1)
	v_fmaak_f64 v[42:43], v[56:57], v[42:43], 0x3fc11111111185b7
	v_fmaak_f64 v[42:43], v[56:57], v[42:43], 0x3fd55555555554ee
	v_add_f64_e32 v[40:41], v[50:51], v[40:41]
	v_add_f64_e64 v[50:51], v[52:53], -v[46:47]
	s_delay_alu instid0(VALU_DEP_3) | instskip(NEXT) | instid1(VALU_DEP_3)
	v_mul_f64_e32 v[42:43], v[56:57], v[42:43]
	v_add_f64_e32 v[40:41], v[58:59], v[40:41]
	s_delay_alu instid0(VALU_DEP_3) | instskip(NEXT) | instid1(VALU_DEP_3)
	v_add_f64_e64 v[48:49], v[48:49], -v[50:51]
	v_mul_f64_e32 v[54:55], v[32:33], v[42:43]
	s_delay_alu instid0(VALU_DEP_3) | instskip(NEXT) | instid1(VALU_DEP_2)
	v_mul_f64_e32 v[40:41], v[46:47], v[40:41]
	v_add_f64_e32 v[46:47], v[32:33], v[54:55]
	v_fma_f64 v[42:43], v[32:33], v[42:43], -v[54:55]
	s_delay_alu instid0(VALU_DEP_3) | instskip(NEXT) | instid1(VALU_DEP_3)
	v_add_f64_e32 v[40:41], v[48:49], v[40:41]
	v_add_f64_e64 v[32:33], v[46:47], -v[32:33]
	s_delay_alu instid0(VALU_DEP_3) | instskip(NEXT) | instid1(VALU_DEP_3)
	v_add_f64_e32 v[34:35], v[34:35], v[42:43]
	v_add_f64_e32 v[48:49], v[52:53], v[40:41]
	s_delay_alu instid0(VALU_DEP_3) | instskip(NEXT) | instid1(VALU_DEP_2)
	v_add_f64_e64 v[32:33], v[54:55], -v[32:33]
	v_ldexp_f64 v[42:43], v[48:49], -2
	v_add_f64_e64 v[48:49], v[48:49], -v[52:53]
	s_delay_alu instid0(VALU_DEP_3) | instskip(NEXT) | instid1(VALU_DEP_3)
	v_add_f64_e32 v[32:33], v[34:35], v[32:33]
	v_add_f64_e64 v[34:35], v[44:45], -v[42:43]
	s_delay_alu instid0(VALU_DEP_3) | instskip(NEXT) | instid1(VALU_DEP_3)
	v_add_f64_e64 v[40:41], v[40:41], -v[48:49]
	v_add_f64_e32 v[50:51], v[46:47], v[32:33]
	s_delay_alu instid0(VALU_DEP_3) | instskip(NEXT) | instid1(VALU_DEP_3)
	v_add_f64_e64 v[44:45], v[44:45], -v[34:35]
	v_ldexp_f64 v[40:41], v[40:41], -2
	s_delay_alu instid0(VALU_DEP_3) | instskip(NEXT) | instid1(VALU_DEP_2)
	v_rcp_f64_e32 v[52:53], v[50:51]
	v_add_f64_e64 v[42:43], v[44:45], -v[42:43]
	s_delay_alu instid0(TRANS32_DEP_1) | instskip(NEXT) | instid1(VALU_DEP_2)
	v_fma_f64 v[44:45], -v[50:51], v[52:53], 1.0
	v_add_f64_e32 v[38:39], v[38:39], v[42:43]
	s_delay_alu instid0(VALU_DEP_2) | instskip(NEXT) | instid1(VALU_DEP_2)
	v_fmac_f64_e32 v[52:53], v[44:45], v[52:53]
	v_add_f64_e64 v[38:39], v[38:39], -v[40:41]
	s_delay_alu instid0(VALU_DEP_2) | instskip(NEXT) | instid1(VALU_DEP_2)
	v_fma_f64 v[40:41], -v[50:51], v[52:53], 1.0
	v_add_f64_e32 v[34:35], v[34:35], v[38:39]
	s_delay_alu instid0(VALU_DEP_2) | instskip(NEXT) | instid1(VALU_DEP_2)
	v_fmac_f64_e32 v[52:53], v[40:41], v[52:53]
	v_cndmask_b32_e32 v8, 0x7ff00000, v35, vcc_lo
	s_delay_alu instid0(VALU_DEP_3) | instskip(SKIP_3) | instid1(VALU_DEP_3)
	v_cndmask_b32_e32 v21, 0, v34, vcc_lo
	v_cmp_gt_f64_e64 vcc_lo, 0x3e400000, |v[6:7]|
	v_add_f64_e64 v[34:35], v[50:51], -v[46:47]
	v_mul_f64_e32 v[38:39], v[50:51], v[52:53]
	v_dual_cndmask_b32 v8, v8, v37, vcc_lo :: v_dual_cndmask_b32 v6, v21, v6, vcc_lo
	s_delay_alu instid0(VALU_DEP_3) | instskip(NEXT) | instid1(VALU_DEP_2)
	v_add_f64_e64 v[32:33], v[32:33], -v[34:35]
	v_bfi_b32 v7, 0x7fffffff, v8, v7
	s_delay_alu instid0(VALU_DEP_4) | instskip(NEXT) | instid1(VALU_DEP_2)
	v_fma_f64 v[34:35], v[52:53], v[50:51], -v[38:39]
	v_fma_f64 v[40:41], v[6:7], v[6:7], 1.0
	s_delay_alu instid0(VALU_DEP_2) | instskip(NEXT) | instid1(VALU_DEP_2)
	v_fmac_f64_e32 v[34:35], v[52:53], v[32:33]
	v_cmp_gt_f64_e32 vcc_lo, 0x10000000, v[40:41]
	v_cndmask_b32_e64 v8, 0, 0x100, vcc_lo
	s_delay_alu instid0(VALU_DEP_1) | instskip(NEXT) | instid1(VALU_DEP_4)
	v_ldexp_f64 v[32:33], v[40:41], v8
	v_dual_add_f64 v[40:41], v[38:39], v[34:35] :: v_dual_bitop2_b32 v8, 1, v36 bitop3:0x40
	s_delay_alu instid0(VALU_DEP_1) | instskip(NEXT) | instid1(VALU_DEP_3)
	v_cmp_eq_u32_e64 s0, 0, v8
	v_rsq_f64_e32 v[42:43], v[32:33]
	s_delay_alu instid0(VALU_DEP_2) | instskip(SKIP_1) | instid1(VALU_DEP_2)
	v_add_f64_e64 v[44:45], -v[40:41], 1.0
	v_add_f64_e64 v[38:39], v[40:41], -v[38:39]
	v_add_f64_e64 v[48:49], -v[44:45], 1.0
	s_delay_alu instid0(VALU_DEP_2) | instskip(NEXT) | instid1(TRANS32_DEP_1)
	v_add_f64_e64 v[34:35], v[38:39], -v[34:35]
	v_mul_f64_e32 v[46:47], v[32:33], v[42:43]
	v_mul_f64_e32 v[42:43], 0.5, v[42:43]
	s_delay_alu instid0(VALU_DEP_4) | instskip(NEXT) | instid1(VALU_DEP_2)
	v_add_f64_e64 v[38:39], v[48:49], -v[40:41]
	v_fma_f64 v[54:55], -v[42:43], v[46:47], 0.5
	s_delay_alu instid0(VALU_DEP_2) | instskip(NEXT) | instid1(VALU_DEP_2)
	v_add_f64_e32 v[34:35], v[34:35], v[38:39]
	v_fmac_f64_e32 v[46:47], v[46:47], v[54:55]
	v_fmac_f64_e32 v[42:43], v[42:43], v[54:55]
	s_delay_alu instid0(VALU_DEP_3) | instskip(NEXT) | instid1(VALU_DEP_3)
	v_add_f64_e32 v[34:35], v[44:45], v[34:35]
	v_fma_f64 v[38:39], -v[46:47], v[46:47], v[32:33]
	s_delay_alu instid0(VALU_DEP_2) | instskip(NEXT) | instid1(VALU_DEP_2)
	v_mul_f64_e32 v[34:35], v[52:53], v[34:35]
	v_fmac_f64_e32 v[46:47], v[38:39], v[42:43]
	s_delay_alu instid0(VALU_DEP_2) | instskip(NEXT) | instid1(VALU_DEP_2)
	v_add_f64_e32 v[34:35], v[52:53], v[34:35]
	v_fma_f64 v[38:39], -v[46:47], v[46:47], v[32:33]
	s_delay_alu instid0(VALU_DEP_2) | instskip(NEXT) | instid1(VALU_DEP_3)
	v_xor_b32_e32 v21, 0x80000000, v35
	v_cndmask_b32_e64 v8, v34, v50, s0
	v_cndmask_b32_e64 v34, 0, 0xffffff80, vcc_lo
	v_cmp_class_f64_e64 vcc_lo, v[32:33], 0x260
	s_delay_alu instid0(VALU_DEP_4) | instskip(SKIP_1) | instid1(VALU_DEP_2)
	v_cndmask_b32_e64 v21, v21, v51, s0
	v_fmac_f64_e32 v[46:47], v[38:39], v[42:43]
	v_bitop3_b32 v9, v21, v9, 0x80000000 bitop3:0x78
	s_delay_alu instid0(VALU_DEP_1) | instskip(NEXT) | instid1(VALU_DEP_3)
	v_fma_f64 v[36:37], v[8:9], v[8:9], 1.0
	v_ldexp_f64 v[34:35], v[46:47], v34
	s_delay_alu instid0(VALU_DEP_1) | instskip(NEXT) | instid1(VALU_DEP_3)
	v_dual_cndmask_b32 v33, v35, v33 :: v_dual_cndmask_b32 v32, v34, v32
	v_mul_f64_e32 v[34:35], v[6:7], v[36:37]
	s_delay_alu instid0(VALU_DEP_2) | instskip(NEXT) | instid1(VALU_DEP_2)
	v_mul_f64_e32 v[32:33], v[32:33], v[36:37]
	v_fma_f64 v[34:35], v[6:7], v[34:35], 1.0
	s_delay_alu instid0(VALU_DEP_2) | instskip(NEXT) | instid1(VALU_DEP_2)
	v_mul_f64_e32 v[6:7], v[6:7], v[32:33]
	v_div_scale_f64 v[36:37], null, v[34:35], v[34:35], v[8:9]
	s_delay_alu instid0(VALU_DEP_2) | instskip(SKIP_1) | instid1(VALU_DEP_3)
	v_div_scale_f64 v[32:33], null, v[34:35], v[34:35], v[6:7]
	v_div_scale_f64 v[46:47], vcc_lo, v[6:7], v[34:35], v[6:7]
	v_rcp_f64_e32 v[40:41], v[36:37]
	s_delay_alu instid0(VALU_DEP_2) | instskip(NEXT) | instid1(TRANS32_DEP_2)
	v_rcp_f64_e32 v[38:39], v[32:33]
	v_fma_f64 v[44:45], -v[36:37], v[40:41], 1.0
	s_delay_alu instid0(TRANS32_DEP_1) | instskip(NEXT) | instid1(VALU_DEP_2)
	v_fma_f64 v[42:43], -v[32:33], v[38:39], 1.0
	v_fmac_f64_e32 v[40:41], v[40:41], v[44:45]
	s_delay_alu instid0(VALU_DEP_2) | instskip(NEXT) | instid1(VALU_DEP_2)
	v_fmac_f64_e32 v[38:39], v[38:39], v[42:43]
	v_fma_f64 v[44:45], -v[36:37], v[40:41], 1.0
	s_delay_alu instid0(VALU_DEP_2) | instskip(NEXT) | instid1(VALU_DEP_2)
	v_fma_f64 v[42:43], -v[32:33], v[38:39], 1.0
	v_fmac_f64_e32 v[40:41], v[40:41], v[44:45]
	s_delay_alu instid0(VALU_DEP_2) | instskip(SKIP_1) | instid1(VALU_DEP_2)
	v_fmac_f64_e32 v[38:39], v[38:39], v[42:43]
	v_div_scale_f64 v[42:43], s0, v[8:9], v[34:35], v[8:9]
	v_mul_f64_e32 v[44:45], v[46:47], v[38:39]
	s_delay_alu instid0(VALU_DEP_2) | instskip(NEXT) | instid1(VALU_DEP_2)
	v_mul_f64_e32 v[48:49], v[42:43], v[40:41]
	v_fma_f64 v[32:33], -v[32:33], v[44:45], v[46:47]
	s_delay_alu instid0(VALU_DEP_2) | instskip(NEXT) | instid1(VALU_DEP_2)
	v_fma_f64 v[36:37], -v[36:37], v[48:49], v[42:43]
	v_div_fmas_f64 v[32:33], v[32:33], v[38:39], v[44:45]
	s_mov_b32 vcc_lo, s0
	s_delay_alu instid0(VALU_DEP_2) | instskip(NEXT) | instid1(VALU_DEP_2)
	v_div_fmas_f64 v[36:37], v[36:37], v[40:41], v[48:49]
	v_div_fixup_f64 v[6:7], v[32:33], v[34:35], v[6:7]
	s_delay_alu instid0(VALU_DEP_2)
	v_div_fixup_f64 v[8:9], v[36:37], v[34:35], v[8:9]
.LBB161_264:                            ;   in Loop: Header=BB161_180 Depth=1
	s_and_not1_saveexec_b32 s0, s21
	s_cbranch_execz .LBB161_274
; %bb.265:                              ;   in Loop: Header=BB161_180 Depth=1
	s_delay_alu instid0(VALU_DEP_1) | instskip(SKIP_1) | instid1(SALU_CYCLE_1)
	v_cmp_ngt_f64_e64 s21, 0x41d00000, |v[8:9]|
                                        ; implicit-def: $vgpr40
                                        ; implicit-def: $vgpr32_vgpr33
                                        ; implicit-def: $vgpr34_vgpr35
	s_and_saveexec_b32 s22, s21
	s_xor_b32 s22, exec_lo, s22
	s_cbranch_execz .LBB161_267
; %bb.266:                              ;   in Loop: Header=BB161_180 Depth=1
	v_ldexp_f64 v[32:33], |v[8:9]|, 0xffffff80
	v_cmp_le_f64_e64 vcc_lo, 0x7b000000, |v[8:9]|
	v_trig_preop_f64 v[34:35], |v[8:9]|, 0
	v_and_b32_e32 v21, 0x7fffffff, v9
	v_trig_preop_f64 v[36:37], |v[8:9]|, 1
	v_trig_preop_f64 v[46:47], |v[8:9]|, 2
	s_delay_alu instid0(VALU_DEP_3) | instskip(NEXT) | instid1(VALU_DEP_1)
	v_dual_cndmask_b32 v33, v21, v33 :: v_dual_cndmask_b32 v32, v8, v32
	v_mul_f64_e32 v[38:39], v[34:35], v[32:33]
	s_delay_alu instid0(VALU_DEP_4) | instskip(NEXT) | instid1(VALU_DEP_4)
	v_mul_f64_e32 v[40:41], v[36:37], v[32:33]
	v_mul_f64_e32 v[52:53], v[46:47], v[32:33]
	s_delay_alu instid0(VALU_DEP_3) | instskip(NEXT) | instid1(VALU_DEP_3)
	v_fma_f64 v[34:35], v[34:35], v[32:33], -v[38:39]
	v_fma_f64 v[36:37], v[36:37], v[32:33], -v[40:41]
	s_delay_alu instid0(VALU_DEP_3) | instskip(NEXT) | instid1(VALU_DEP_3)
	v_fma_f64 v[32:33], v[46:47], v[32:33], -v[52:53]
	v_add_f64_e32 v[42:43], v[40:41], v[34:35]
	s_delay_alu instid0(VALU_DEP_1) | instskip(SKIP_1) | instid1(VALU_DEP_2)
	v_add_f64_e64 v[44:45], v[42:43], -v[40:41]
	v_add_f64_e32 v[50:51], v[38:39], v[42:43]
	v_add_f64_e64 v[48:49], v[42:43], -v[44:45]
	v_add_f64_e64 v[34:35], v[34:35], -v[44:45]
	s_delay_alu instid0(VALU_DEP_3) | instskip(NEXT) | instid1(VALU_DEP_3)
	v_ldexp_f64 v[44:45], v[50:51], -2
	v_add_f64_e64 v[40:41], v[40:41], -v[48:49]
	v_add_f64_e32 v[48:49], v[52:53], v[36:37]
	s_delay_alu instid0(VALU_DEP_3) | instskip(NEXT) | instid1(VALU_DEP_3)
	v_cmp_neq_f64_e64 vcc_lo, 0x7ff00000, |v[44:45]|
	v_add_f64_e32 v[34:35], v[34:35], v[40:41]
	v_fract_f64_e32 v[40:41], v[44:45]
	s_delay_alu instid0(VALU_DEP_1) | instskip(NEXT) | instid1(VALU_DEP_1)
	v_ldexp_f64 v[40:41], v[40:41], 2
	v_dual_add_f64 v[38:39], v[50:51], -v[38:39] :: v_dual_cndmask_b32 v40, 0, v40, vcc_lo
	s_delay_alu instid0(VALU_DEP_1) | instskip(SKIP_1) | instid1(VALU_DEP_1)
	v_dual_add_f64 v[38:39], v[42:43], -v[38:39] :: v_dual_cndmask_b32 v41, 0, v41, vcc_lo
	v_add_f64_e32 v[42:43], v[48:49], v[34:35]
	v_add_f64_e32 v[44:45], v[38:39], v[42:43]
	v_add_f64_e64 v[54:55], v[42:43], -v[48:49]
	s_delay_alu instid0(VALU_DEP_2) | instskip(NEXT) | instid1(VALU_DEP_2)
	v_add_f64_e32 v[50:51], v[44:45], v[40:41]
	v_add_f64_e64 v[60:61], v[42:43], -v[54:55]
	v_add_f64_e64 v[34:35], v[34:35], -v[54:55]
	;; [unrolled: 1-line block ×3, first 2 shown]
	s_delay_alu instid0(VALU_DEP_4) | instskip(SKIP_1) | instid1(VALU_DEP_3)
	v_cmp_gt_f64_e32 vcc_lo, 0, v[50:51]
	v_add_f64_e64 v[50:51], v[48:49], -v[52:53]
	v_add_f64_e64 v[38:39], v[42:43], -v[38:39]
	v_cndmask_b32_e64 v21, 0, 0x40100000, vcc_lo
	s_delay_alu instid0(VALU_DEP_3) | instskip(SKIP_2) | instid1(VALU_DEP_4)
	v_add_f64_e64 v[58:59], v[48:49], -v[50:51]
	v_add_f64_e64 v[36:37], v[36:37], -v[50:51]
	;; [unrolled: 1-line block ×3, first 2 shown]
	v_add_f64_e32 v[40:41], v[40:41], v[20:21]
	s_delay_alu instid0(VALU_DEP_4) | instskip(NEXT) | instid1(VALU_DEP_3)
	v_add_f64_e64 v[50:51], v[52:53], -v[58:59]
	v_add_f64_e32 v[34:35], v[34:35], v[48:49]
	s_delay_alu instid0(VALU_DEP_3) | instskip(NEXT) | instid1(VALU_DEP_3)
	v_add_f64_e32 v[56:57], v[44:45], v[40:41]
	v_add_f64_e32 v[36:37], v[36:37], v[50:51]
	s_delay_alu instid0(VALU_DEP_2) | instskip(NEXT) | instid1(VALU_DEP_2)
	v_cvt_i32_f64_e32 v21, v[56:57]
	v_add_f64_e32 v[34:35], v[36:37], v[34:35]
	s_delay_alu instid0(VALU_DEP_2) | instskip(NEXT) | instid1(VALU_DEP_2)
	v_cvt_f64_i32_e32 v[54:55], v21
	v_add_f64_e32 v[32:33], v[32:33], v[34:35]
	s_delay_alu instid0(VALU_DEP_2) | instskip(NEXT) | instid1(VALU_DEP_2)
	v_add_f64_e64 v[40:41], v[40:41], -v[54:55]
	v_add_f64_e32 v[32:33], v[38:39], v[32:33]
	s_delay_alu instid0(VALU_DEP_2) | instskip(NEXT) | instid1(VALU_DEP_1)
	v_add_f64_e32 v[36:37], v[44:45], v[40:41]
	v_add_f64_e64 v[34:35], v[36:37], -v[40:41]
	v_cmp_le_f64_e32 vcc_lo, 0.5, v[36:37]
	s_delay_alu instid0(VALU_DEP_2) | instskip(SKIP_2) | instid1(VALU_DEP_3)
	v_add_f64_e64 v[34:35], v[44:45], -v[34:35]
	v_add_co_ci_u32_e64 v40, null, 0, v21, vcc_lo
	v_cndmask_b32_e64 v21, 0, 0x3ff00000, vcc_lo
	v_add_f64_e32 v[32:33], v[32:33], v[34:35]
	s_delay_alu instid0(VALU_DEP_2) | instskip(NEXT) | instid1(VALU_DEP_1)
	v_add_f64_e64 v[34:35], v[36:37], -v[20:21]
	v_add_f64_e32 v[36:37], v[34:35], v[32:33]
	s_delay_alu instid0(VALU_DEP_1) | instskip(SKIP_1) | instid1(VALU_DEP_2)
	v_mul_f64_e32 v[38:39], 0x3ff921fb54442d18, v[36:37]
	v_add_f64_e64 v[34:35], v[36:37], -v[34:35]
	v_fma_f64 v[42:43], v[36:37], s[2:3], -v[38:39]
	s_delay_alu instid0(VALU_DEP_2) | instskip(NEXT) | instid1(VALU_DEP_2)
	v_add_f64_e64 v[32:33], v[32:33], -v[34:35]
	v_fmac_f64_e32 v[42:43], 0x3c91a62633145c07, v[36:37]
	s_delay_alu instid0(VALU_DEP_1) | instskip(NEXT) | instid1(VALU_DEP_1)
	v_fmac_f64_e32 v[42:43], 0x3ff921fb54442d18, v[32:33]
	v_add_f64_e32 v[32:33], v[38:39], v[42:43]
	s_delay_alu instid0(VALU_DEP_1) | instskip(NEXT) | instid1(VALU_DEP_1)
	v_add_f64_e64 v[34:35], v[32:33], -v[38:39]
	v_add_f64_e64 v[34:35], v[42:43], -v[34:35]
	s_and_not1_saveexec_b32 s22, s22
	s_cbranch_execz .LBB161_269
	s_branch .LBB161_268
.LBB161_267:                            ;   in Loop: Header=BB161_180 Depth=1
	s_and_not1_saveexec_b32 s22, s22
	s_cbranch_execz .LBB161_269
.LBB161_268:                            ;   in Loop: Header=BB161_180 Depth=1
	v_mul_f64_e64 v[32:33], |v[8:9]|, s[4:5]
	s_delay_alu instid0(VALU_DEP_1) | instskip(NEXT) | instid1(VALU_DEP_1)
	v_rndne_f64_e32 v[36:37], v[32:33]
	v_fma_f64 v[32:33], v[36:37], s[6:7], |v[8:9]|
	v_mul_f64_e32 v[34:35], 0xbc91a62633145c00, v[36:37]
	s_delay_alu instid0(VALU_DEP_2) | instskip(NEXT) | instid1(VALU_DEP_2)
	v_fmamk_f64 v[42:43], v[36:37], 0xbc91a62633145c00, v[32:33]
	v_add_f64_e32 v[38:39], v[32:33], v[34:35]
	s_delay_alu instid0(VALU_DEP_1) | instskip(NEXT) | instid1(VALU_DEP_3)
	v_add_f64_e64 v[40:41], v[32:33], -v[38:39]
	v_add_f64_e64 v[32:33], v[38:39], -v[42:43]
	s_delay_alu instid0(VALU_DEP_2) | instskip(SKIP_2) | instid1(VALU_DEP_3)
	v_add_f64_e32 v[38:39], v[40:41], v[34:35]
	v_fmamk_f64 v[34:35], v[36:37], 0x3c91a62633145c00, v[34:35]
	v_cvt_i32_f64_e32 v40, v[36:37]
	v_add_f64_e32 v[32:33], v[32:33], v[38:39]
	s_delay_alu instid0(VALU_DEP_1) | instskip(NEXT) | instid1(VALU_DEP_1)
	v_add_f64_e64 v[34:35], v[32:33], -v[34:35]
	v_fmac_f64_e32 v[34:35], 0xb97b839a252049c0, v[36:37]
	s_delay_alu instid0(VALU_DEP_1) | instskip(NEXT) | instid1(VALU_DEP_1)
	v_add_f64_e32 v[32:33], v[42:43], v[34:35]
	v_add_f64_e64 v[38:39], v[32:33], -v[42:43]
	s_delay_alu instid0(VALU_DEP_1)
	v_add_f64_e64 v[34:35], v[34:35], -v[38:39]
.LBB161_269:                            ;   in Loop: Header=BB161_180 Depth=1
	s_or_b32 exec_lo, exec_lo, s22
                                        ; implicit-def: $vgpr41
                                        ; implicit-def: $vgpr36_vgpr37
                                        ; implicit-def: $vgpr38_vgpr39
	s_and_saveexec_b32 s22, s21
	s_delay_alu instid0(SALU_CYCLE_1)
	s_xor_b32 s21, exec_lo, s22
	s_cbranch_execz .LBB161_271
; %bb.270:                              ;   in Loop: Header=BB161_180 Depth=1
	v_ldexp_f64 v[36:37], |v[8:9]|, 0xffffff80
	v_cmp_le_f64_e64 vcc_lo, 0x7b000000, |v[8:9]|
	v_trig_preop_f64 v[38:39], |v[8:9]|, 0
	v_and_b32_e32 v21, 0x7fffffff, v9
	v_trig_preop_f64 v[42:43], |v[8:9]|, 1
	v_trig_preop_f64 v[52:53], |v[8:9]|, 2
	s_delay_alu instid0(VALU_DEP_3) | instskip(NEXT) | instid1(VALU_DEP_1)
	v_dual_cndmask_b32 v37, v21, v37 :: v_dual_cndmask_b32 v36, v8, v36
	v_mul_f64_e32 v[44:45], v[38:39], v[36:37]
	s_delay_alu instid0(VALU_DEP_4) | instskip(NEXT) | instid1(VALU_DEP_4)
	v_mul_f64_e32 v[46:47], v[42:43], v[36:37]
	v_mul_f64_e32 v[58:59], v[52:53], v[36:37]
	s_delay_alu instid0(VALU_DEP_3) | instskip(NEXT) | instid1(VALU_DEP_3)
	v_fma_f64 v[38:39], v[38:39], v[36:37], -v[44:45]
	v_fma_f64 v[42:43], v[42:43], v[36:37], -v[46:47]
	s_delay_alu instid0(VALU_DEP_3) | instskip(NEXT) | instid1(VALU_DEP_3)
	v_fma_f64 v[36:37], v[52:53], v[36:37], -v[58:59]
	v_add_f64_e32 v[48:49], v[46:47], v[38:39]
	s_delay_alu instid0(VALU_DEP_1) | instskip(SKIP_1) | instid1(VALU_DEP_2)
	v_add_f64_e64 v[50:51], v[48:49], -v[46:47]
	v_add_f64_e32 v[56:57], v[44:45], v[48:49]
	v_add_f64_e64 v[54:55], v[48:49], -v[50:51]
	v_add_f64_e64 v[38:39], v[38:39], -v[50:51]
	s_delay_alu instid0(VALU_DEP_3) | instskip(NEXT) | instid1(VALU_DEP_3)
	v_ldexp_f64 v[50:51], v[56:57], -2
	v_add_f64_e64 v[46:47], v[46:47], -v[54:55]
	v_add_f64_e32 v[54:55], v[58:59], v[42:43]
	s_delay_alu instid0(VALU_DEP_3) | instskip(NEXT) | instid1(VALU_DEP_3)
	v_cmp_neq_f64_e64 vcc_lo, 0x7ff00000, |v[50:51]|
	v_add_f64_e32 v[38:39], v[38:39], v[46:47]
	v_fract_f64_e32 v[46:47], v[50:51]
	s_delay_alu instid0(VALU_DEP_1) | instskip(NEXT) | instid1(VALU_DEP_1)
	v_ldexp_f64 v[46:47], v[46:47], 2
	v_dual_add_f64 v[44:45], v[56:57], -v[44:45] :: v_dual_cndmask_b32 v47, 0, v47, vcc_lo
	s_delay_alu instid0(VALU_DEP_1) | instskip(SKIP_1) | instid1(VALU_DEP_1)
	v_dual_add_f64 v[44:45], v[48:49], -v[44:45] :: v_dual_cndmask_b32 v46, 0, v46, vcc_lo
	v_add_f64_e32 v[48:49], v[54:55], v[38:39]
	v_add_f64_e32 v[50:51], v[44:45], v[48:49]
	v_add_f64_e64 v[60:61], v[48:49], -v[54:55]
	s_delay_alu instid0(VALU_DEP_2) | instskip(NEXT) | instid1(VALU_DEP_2)
	v_add_f64_e32 v[56:57], v[50:51], v[46:47]
	v_add_f64_e64 v[66:67], v[48:49], -v[60:61]
	v_add_f64_e64 v[38:39], v[38:39], -v[60:61]
	;; [unrolled: 1-line block ×3, first 2 shown]
	s_delay_alu instid0(VALU_DEP_4) | instskip(SKIP_1) | instid1(VALU_DEP_3)
	v_cmp_gt_f64_e32 vcc_lo, 0, v[56:57]
	v_add_f64_e64 v[56:57], v[54:55], -v[58:59]
	v_add_f64_e64 v[44:45], v[48:49], -v[44:45]
	v_cndmask_b32_e64 v21, 0, 0x40100000, vcc_lo
	s_delay_alu instid0(VALU_DEP_3) | instskip(SKIP_2) | instid1(VALU_DEP_4)
	v_add_f64_e64 v[64:65], v[54:55], -v[56:57]
	v_add_f64_e64 v[42:43], v[42:43], -v[56:57]
	;; [unrolled: 1-line block ×3, first 2 shown]
	v_add_f64_e32 v[46:47], v[46:47], v[20:21]
	s_delay_alu instid0(VALU_DEP_4) | instskip(NEXT) | instid1(VALU_DEP_3)
	v_add_f64_e64 v[56:57], v[58:59], -v[64:65]
	v_add_f64_e32 v[38:39], v[38:39], v[54:55]
	s_delay_alu instid0(VALU_DEP_3) | instskip(NEXT) | instid1(VALU_DEP_3)
	v_add_f64_e32 v[62:63], v[50:51], v[46:47]
	v_add_f64_e32 v[42:43], v[42:43], v[56:57]
	s_delay_alu instid0(VALU_DEP_2) | instskip(NEXT) | instid1(VALU_DEP_2)
	v_cvt_i32_f64_e32 v21, v[62:63]
	v_add_f64_e32 v[38:39], v[42:43], v[38:39]
	s_delay_alu instid0(VALU_DEP_2) | instskip(NEXT) | instid1(VALU_DEP_2)
	v_cvt_f64_i32_e32 v[60:61], v21
	v_add_f64_e32 v[36:37], v[36:37], v[38:39]
	s_delay_alu instid0(VALU_DEP_2) | instskip(NEXT) | instid1(VALU_DEP_2)
	v_add_f64_e64 v[46:47], v[46:47], -v[60:61]
	v_add_f64_e32 v[36:37], v[44:45], v[36:37]
	s_delay_alu instid0(VALU_DEP_2) | instskip(NEXT) | instid1(VALU_DEP_1)
	v_add_f64_e32 v[42:43], v[50:51], v[46:47]
	v_add_f64_e64 v[38:39], v[42:43], -v[46:47]
	v_cmp_le_f64_e32 vcc_lo, 0.5, v[42:43]
	s_delay_alu instid0(VALU_DEP_2) | instskip(SKIP_2) | instid1(VALU_DEP_3)
	v_add_f64_e64 v[38:39], v[50:51], -v[38:39]
	v_add_co_ci_u32_e64 v41, null, 0, v21, vcc_lo
	v_cndmask_b32_e64 v21, 0, 0x3ff00000, vcc_lo
	v_add_f64_e32 v[36:37], v[36:37], v[38:39]
	s_delay_alu instid0(VALU_DEP_2) | instskip(NEXT) | instid1(VALU_DEP_1)
	v_add_f64_e64 v[38:39], v[42:43], -v[20:21]
	v_add_f64_e32 v[42:43], v[38:39], v[36:37]
	s_delay_alu instid0(VALU_DEP_1) | instskip(SKIP_1) | instid1(VALU_DEP_2)
	v_mul_f64_e32 v[44:45], 0x3ff921fb54442d18, v[42:43]
	v_add_f64_e64 v[38:39], v[42:43], -v[38:39]
	v_fma_f64 v[46:47], v[42:43], s[2:3], -v[44:45]
	s_delay_alu instid0(VALU_DEP_2) | instskip(NEXT) | instid1(VALU_DEP_2)
	v_add_f64_e64 v[36:37], v[36:37], -v[38:39]
	v_fmac_f64_e32 v[46:47], 0x3c91a62633145c07, v[42:43]
	s_delay_alu instid0(VALU_DEP_1) | instskip(NEXT) | instid1(VALU_DEP_1)
	v_fmac_f64_e32 v[46:47], 0x3ff921fb54442d18, v[36:37]
	v_add_f64_e32 v[36:37], v[44:45], v[46:47]
	s_delay_alu instid0(VALU_DEP_1) | instskip(NEXT) | instid1(VALU_DEP_1)
	v_add_f64_e64 v[38:39], v[36:37], -v[44:45]
	v_add_f64_e64 v[38:39], v[46:47], -v[38:39]
	s_and_not1_saveexec_b32 s21, s21
	s_cbranch_execnz .LBB161_272
	s_branch .LBB161_273
.LBB161_271:                            ;   in Loop: Header=BB161_180 Depth=1
	s_and_not1_saveexec_b32 s21, s21
	s_cbranch_execz .LBB161_273
.LBB161_272:                            ;   in Loop: Header=BB161_180 Depth=1
	v_mul_f64_e64 v[36:37], |v[8:9]|, s[4:5]
	s_delay_alu instid0(VALU_DEP_1) | instskip(NEXT) | instid1(VALU_DEP_1)
	v_rndne_f64_e32 v[42:43], v[36:37]
	v_fma_f64 v[36:37], v[42:43], s[6:7], |v[8:9]|
	v_mul_f64_e32 v[38:39], 0xbc91a62633145c00, v[42:43]
	v_cvt_i32_f64_e32 v41, v[42:43]
	s_delay_alu instid0(VALU_DEP_3) | instskip(NEXT) | instid1(VALU_DEP_3)
	v_fmamk_f64 v[48:49], v[42:43], 0xbc91a62633145c00, v[36:37]
	v_add_f64_e32 v[44:45], v[36:37], v[38:39]
	s_delay_alu instid0(VALU_DEP_1) | instskip(NEXT) | instid1(VALU_DEP_3)
	v_add_f64_e64 v[46:47], v[36:37], -v[44:45]
	v_add_f64_e64 v[36:37], v[44:45], -v[48:49]
	s_delay_alu instid0(VALU_DEP_2) | instskip(SKIP_1) | instid1(VALU_DEP_2)
	v_add_f64_e32 v[44:45], v[46:47], v[38:39]
	v_fmamk_f64 v[38:39], v[42:43], 0x3c91a62633145c00, v[38:39]
	v_add_f64_e32 v[36:37], v[36:37], v[44:45]
	s_delay_alu instid0(VALU_DEP_1) | instskip(NEXT) | instid1(VALU_DEP_1)
	v_add_f64_e64 v[38:39], v[36:37], -v[38:39]
	v_fmac_f64_e32 v[38:39], 0xb97b839a252049c0, v[42:43]
	s_delay_alu instid0(VALU_DEP_1) | instskip(NEXT) | instid1(VALU_DEP_1)
	v_add_f64_e32 v[36:37], v[48:49], v[38:39]
	v_add_f64_e64 v[44:45], v[36:37], -v[48:49]
	s_delay_alu instid0(VALU_DEP_1)
	v_add_f64_e64 v[38:39], v[38:39], -v[44:45]
.LBB161_273:                            ;   in Loop: Header=BB161_180 Depth=1
	s_or_b32 exec_lo, exec_lo, s21
	v_mul_f64_e32 v[42:43], v[32:33], v[32:33]
	s_delay_alu instid0(VALU_DEP_2) | instskip(SKIP_3) | instid1(VALU_DEP_4)
	v_dual_mul_f64 v[54:55], 0.5, v[34:35] :: v_dual_lshlrev_b32 v21, 30, v40
	v_mul_f64_e32 v[44:45], v[36:37], v[36:37]
	v_mul_f64_e64 v[48:49], |v[6:7]|, s[14:15]
	v_and_b32_e32 v8, 1, v40
	v_xor_b32_e32 v9, v21, v9
	s_delay_alu instid0(VALU_DEP_2)
	v_cmp_eq_u32_e32 vcc_lo, 0, v8
	v_mul_f64_e32 v[46:47], 0.5, v[42:43]
	v_mul_f64_e64 v[56:57], v[32:33], -v[42:43]
	v_fmamk_f64 v[62:63], v[42:43], 0x3de5e0b2f9a43bb8, v[28:29]
	v_mul_f64_e64 v[68:69], v[36:37], -v[44:45]
	v_fmamk_f64 v[70:71], v[44:45], 0x3de5e0b2f9a43bb8, v[28:29]
	v_rndne_f64_e32 v[48:49], v[48:49]
	s_delay_alu instid0(VALU_DEP_4) | instskip(NEXT) | instid1(VALU_DEP_1)
	v_fmaak_f64 v[62:63], v[42:43], v[62:63], 0x3ec71de3796cde01
	v_fmaak_f64 v[62:63], v[42:43], v[62:63], 0xbf2a01a019e83e5c
	s_delay_alu instid0(VALU_DEP_1) | instskip(SKIP_1) | instid1(VALU_DEP_2)
	v_fmaak_f64 v[62:63], v[42:43], v[62:63], 0x3f81111111110bb3
	v_add_f64_e64 v[52:53], -v[46:47], 1.0
	v_fmac_f64_e32 v[54:55], v[56:57], v[62:63]
	v_fma_f64 v[64:65], v[48:49], s[8:9], -|v[6:7]|
	v_cvt_i32_f64_e32 v21, v[48:49]
	s_delay_alu instid0(VALU_DEP_4) | instskip(NEXT) | instid1(VALU_DEP_4)
	v_add_f64_e64 v[60:61], -v[52:53], 1.0
	v_fma_f64 v[54:55], v[42:43], v[54:55], -v[34:35]
	s_delay_alu instid0(VALU_DEP_4) | instskip(NEXT) | instid1(VALU_DEP_3)
	v_fmac_f64_e32 v[64:65], 0xbc7abc9e3b39803f, v[48:49]
	v_add_f64_e64 v[46:47], v[60:61], -v[46:47]
	s_delay_alu instid0(VALU_DEP_3) | instskip(SKIP_2) | instid1(VALU_DEP_2)
	v_fmac_f64_e32 v[54:55], 0xbfc5555555555555, v[56:57]
	v_fmaak_f64 v[60:61], v[44:45], v[70:71], 0x3ec71de3796cde01
	v_fmamk_f64 v[70:71], v[42:43], 0xbda907db46cc5e42, v[26:27]
	v_fmaak_f64 v[60:61], v[44:45], v[60:61], 0xbf2a01a019e83e5c
	s_delay_alu instid0(VALU_DEP_1)
	v_fmaak_f64 v[60:61], v[44:45], v[60:61], 0x3f81111111110bb3
	v_fma_f64 v[34:35], v[32:33], -v[34:35], v[46:47]
	v_add_f64_e64 v[32:33], v[32:33], -v[54:55]
	v_mul_f64_e32 v[66:67], 0.5, v[38:39]
	v_fmaak_f64 v[46:47], v[42:43], v[70:71], 0xbe927e4fa17f65f6
	v_mul_f64_e32 v[70:71], v[44:45], v[44:45]
	s_delay_alu instid0(VALU_DEP_2) | instskip(NEXT) | instid1(VALU_DEP_1)
	v_fmaak_f64 v[46:47], v[42:43], v[46:47], 0x3efa01a019f4ec90
	v_fmaak_f64 v[46:47], v[42:43], v[46:47], 0xbf56c16c16c16967
	v_fmac_f64_e32 v[66:67], v[68:69], v[60:61]
	v_mul_f64_e32 v[60:61], v[42:43], v[42:43]
	s_delay_alu instid0(VALU_DEP_3) | instskip(NEXT) | instid1(VALU_DEP_1)
	v_fmaak_f64 v[42:43], v[42:43], v[46:47], 0x3fa5555555555555
	v_fmac_f64_e32 v[34:35], v[60:61], v[42:43]
	s_delay_alu instid0(VALU_DEP_1) | instskip(NEXT) | instid1(VALU_DEP_1)
	v_add_f64_e32 v[34:35], v[52:53], v[34:35]
	v_dual_cndmask_b32 v8, v34, v32, vcc_lo :: v_dual_cndmask_b32 v34, v35, v33, vcc_lo
	s_delay_alu instid0(VALU_DEP_1) | instskip(SKIP_1) | instid1(VALU_DEP_2)
	v_bitop3_b32 v9, v34, v9, 0x80000000 bitop3:0x78
	v_and_b32_e32 v34, 1, v41
	v_mul_f64_e32 v[8:9], 4.0, v[8:9]
	s_delay_alu instid0(VALU_DEP_2) | instskip(SKIP_1) | instid1(VALU_DEP_1)
	v_cmp_eq_u32_e32 vcc_lo, 0, v34
	v_mul_f64_e32 v[50:51], 0.5, v[44:45]
	v_add_f64_e64 v[58:59], -v[50:51], 1.0
	s_delay_alu instid0(VALU_DEP_1) | instskip(NEXT) | instid1(VALU_DEP_1)
	v_add_f64_e64 v[62:63], -v[58:59], 1.0
	v_add_f64_e64 v[50:51], v[62:63], -v[50:51]
	v_fmamk_f64 v[62:63], v[64:65], 0x3e5ade156a5dcb37, v[24:25]
	s_delay_alu instid0(VALU_DEP_1) | instskip(NEXT) | instid1(VALU_DEP_1)
	v_fmaak_f64 v[62:63], v[64:65], v[62:63], 0x3ec71dee623fde64
	v_fmaak_f64 v[62:63], v[64:65], v[62:63], 0x3efa01997c89e6b0
	s_delay_alu instid0(VALU_DEP_1) | instskip(SKIP_2) | instid1(VALU_DEP_3)
	v_fmaak_f64 v[46:47], v[64:65], v[62:63], 0x3f2a01a014761f6e
	v_fma_f64 v[62:63], v[44:45], v[66:67], -v[38:39]
	v_fmamk_f64 v[66:67], v[44:45], 0xbda907db46cc5e42, v[26:27]
	v_fmaak_f64 v[42:43], v[64:65], v[46:47], 0x3f56c16c1852b7b0
	s_delay_alu instid0(VALU_DEP_2) | instskip(SKIP_1) | instid1(VALU_DEP_3)
	v_fmaak_f64 v[46:47], v[44:45], v[66:67], 0xbe927e4fa17f65f6
	v_fma_f64 v[38:39], v[36:37], -v[38:39], v[50:51]
	v_fmaak_f64 v[42:43], v[64:65], v[42:43], 0x3f81111111122322
	s_delay_alu instid0(VALU_DEP_3) | instskip(NEXT) | instid1(VALU_DEP_2)
	v_fmaak_f64 v[46:47], v[44:45], v[46:47], 0x3efa01a019f4ec90
	v_fmaak_f64 v[42:43], v[64:65], v[42:43], 0x3fa55555555502a1
	s_delay_alu instid0(VALU_DEP_2) | instskip(NEXT) | instid1(VALU_DEP_2)
	v_fmaak_f64 v[46:47], v[44:45], v[46:47], 0xbf56c16c16c16967
	v_fmaak_f64 v[42:43], v[64:65], v[42:43], 0x3fc5555555555511
	s_delay_alu instid0(VALU_DEP_2) | instskip(SKIP_1) | instid1(VALU_DEP_3)
	v_fmaak_f64 v[44:45], v[44:45], v[46:47], 0x3fa5555555555555
	v_fmac_f64_e32 v[62:63], 0xbfc5555555555555, v[68:69]
	v_fmaak_f64 v[42:43], v[64:65], v[42:43], 0x3fe000000000000b
	s_delay_alu instid0(VALU_DEP_1) | instskip(NEXT) | instid1(VALU_DEP_4)
	v_fma_f64 v[42:43], v[64:65], v[42:43], 1.0
	v_fmac_f64_e32 v[38:39], v[70:71], v[44:45]
	s_delay_alu instid0(VALU_DEP_4) | instskip(NEXT) | instid1(VALU_DEP_3)
	v_add_f64_e64 v[36:37], v[36:37], -v[62:63]
	v_fma_f64 v[32:33], v[64:65], v[42:43], 1.0
	s_delay_alu instid0(VALU_DEP_3) | instskip(NEXT) | instid1(VALU_DEP_3)
	v_add_f64_e32 v[38:39], v[58:59], v[38:39]
	v_xor_b32_e32 v35, 0x80000000, v37
	s_delay_alu instid0(VALU_DEP_3) | instskip(NEXT) | instid1(VALU_DEP_2)
	v_ldexp_f64 v[32:33], v[32:33], v21
	v_dual_cndmask_b32 v34, v36, v38 :: v_dual_cndmask_b32 v35, v35, v39
	v_lshlrev_b32_e32 v36, 30, v41
	v_cmp_nlt_f64_e64 vcc_lo, 0x4090cc00, |v[6:7]|
	v_bfi_b32 v21, 0x7fffffff, s18, v7
	s_delay_alu instid0(VALU_DEP_3) | instskip(NEXT) | instid1(VALU_DEP_2)
	v_bitop3_b32 v35, v35, v36, 0x80000000 bitop3:0x78
	v_mov_b64_e32 v[6:7], v[20:21]
	s_delay_alu instid0(VALU_DEP_2) | instskip(SKIP_1) | instid1(VALU_DEP_1)
	v_dual_mul_f64 v[8:9], v[8:9], v[34:35] :: v_dual_cndmask_b32 v33, 0, v33, vcc_lo
	v_cndmask_b32_e32 v32, 0, v32, vcc_lo
	v_mul_f64_e32 v[8:9], v[32:33], v[8:9]
	s_delay_alu instid0(VALU_DEP_1)
	v_mul_f64_e32 v[8:9], v[32:33], v[8:9]
.LBB161_274:                            ;   in Loop: Header=BB161_180 Depth=1
	s_or_b32 exec_lo, exec_lo, s0
.LBB161_275:                            ;   in Loop: Header=BB161_180 Depth=1
	s_and_not1_saveexec_b32 s0, s20
	s_cbranch_execz .LBB161_277
; %bb.276:                              ;   in Loop: Header=BB161_180 Depth=1
	s_delay_alu instid0(VALU_DEP_1) | instskip(NEXT) | instid1(VALU_DEP_1)
	v_add_f64_e64 v[8:9], v[8:9], -v[8:9]
	v_mov_b64_e32 v[6:7], v[8:9]
.LBB161_277:                            ;   in Loop: Header=BB161_180 Depth=1
	s_or_b32 exec_lo, exec_lo, s0
.LBB161_278:                            ;   in Loop: Header=BB161_180 Depth=1
	s_and_not1_saveexec_b32 s20, s1
	s_cbranch_execz .LBB161_294
; %bb.279:                              ;   in Loop: Header=BB161_180 Depth=1
	s_delay_alu instid0(VALU_DEP_1) | instskip(SKIP_1) | instid1(VALU_DEP_1)
	v_and_or_b32 v21, 0xfffff, v7, v6
	s_mov_b32 s0, exec_lo
	v_cmpx_ne_u32_e32 0, v21
	s_xor_b32 s0, exec_lo, s0
	s_cbranch_execz .LBB161_281
; %bb.280:                              ;   in Loop: Header=BB161_180 Depth=1
	s_delay_alu instid0(VALU_DEP_3) | instskip(SKIP_1) | instid1(VALU_DEP_2)
	v_mul_f64_e32 v[32:33], v[6:7], v[8:9]
	v_cmp_eq_f64_e32 vcc_lo, 0, v[8:9]
	v_dual_cndmask_b32 v9, v33, v9 :: v_dual_cndmask_b32 v8, v32, v8
.LBB161_281:                            ;   in Loop: Header=BB161_180 Depth=1
	s_and_not1_saveexec_b32 s21, s0
	s_cbranch_execz .LBB161_293
; %bb.282:                              ;   in Loop: Header=BB161_180 Depth=1
	s_mov_b32 s22, exec_lo
	s_delay_alu instid0(VALU_DEP_1)
	v_cmpx_neq_f64_e64 0x7ff00000, |v[8:9]|
	s_cbranch_execz .LBB161_292
; %bb.283:                              ;   in Loop: Header=BB161_180 Depth=1
	v_cmp_ngt_f64_e64 s0, 0x41d00000, |v[8:9]|
	v_trig_preop_f64 v[40:41], |v[8:9]|, 0
	v_trig_preop_f64 v[38:39], |v[8:9]|, 1
	v_ldexp_f64 v[42:43], |v[8:9]|, 0xffffff80
	v_trig_preop_f64 v[36:37], |v[8:9]|, 2
	v_and_b32_e32 v51, 0x7fffffff, v9
                                        ; implicit-def: $vgpr50
                                        ; implicit-def: $vgpr32_vgpr33
                                        ; implicit-def: $vgpr34_vgpr35
	s_and_saveexec_b32 s1, s0
	s_delay_alu instid0(SALU_CYCLE_1)
	s_xor_b32 s1, exec_lo, s1
	s_cbranch_execz .LBB161_285
; %bb.284:                              ;   in Loop: Header=BB161_180 Depth=1
	v_cmp_le_f64_e64 vcc_lo, 0x7b000000, |v[8:9]|
	s_delay_alu instid0(VALU_DEP_4) | instskip(NEXT) | instid1(VALU_DEP_1)
	v_dual_cndmask_b32 v33, v51, v43 :: v_dual_cndmask_b32 v32, v8, v42
	v_mul_f64_e32 v[34:35], v[40:41], v[32:33]
	v_mul_f64_e32 v[44:45], v[38:39], v[32:33]
	;; [unrolled: 1-line block ×3, first 2 shown]
	s_delay_alu instid0(VALU_DEP_3) | instskip(NEXT) | instid1(VALU_DEP_3)
	v_fma_f64 v[46:47], v[40:41], v[32:33], -v[34:35]
	v_fma_f64 v[60:61], v[38:39], v[32:33], -v[44:45]
	s_delay_alu instid0(VALU_DEP_3) | instskip(NEXT) | instid1(VALU_DEP_3)
	v_fma_f64 v[32:33], v[36:37], v[32:33], -v[58:59]
	v_add_f64_e32 v[48:49], v[44:45], v[46:47]
	s_delay_alu instid0(VALU_DEP_1) | instskip(SKIP_1) | instid1(VALU_DEP_2)
	v_add_f64_e64 v[52:53], v[48:49], -v[44:45]
	v_add_f64_e32 v[56:57], v[34:35], v[48:49]
	v_add_f64_e64 v[54:55], v[48:49], -v[52:53]
	v_add_f64_e64 v[46:47], v[46:47], -v[52:53]
	s_delay_alu instid0(VALU_DEP_3) | instskip(NEXT) | instid1(VALU_DEP_3)
	v_ldexp_f64 v[52:53], v[56:57], -2
	v_add_f64_e64 v[44:45], v[44:45], -v[54:55]
	v_add_f64_e32 v[54:55], v[58:59], v[60:61]
	s_delay_alu instid0(VALU_DEP_3) | instskip(NEXT) | instid1(VALU_DEP_3)
	v_cmp_neq_f64_e64 vcc_lo, 0x7ff00000, |v[52:53]|
	v_add_f64_e32 v[44:45], v[46:47], v[44:45]
	v_fract_f64_e32 v[46:47], v[52:53]
	s_delay_alu instid0(VALU_DEP_1) | instskip(NEXT) | instid1(VALU_DEP_1)
	v_ldexp_f64 v[46:47], v[46:47], 2
	v_cndmask_b32_e32 v47, 0, v47, vcc_lo
	v_add_f64_e64 v[34:35], v[56:57], -v[34:35]
	s_delay_alu instid0(VALU_DEP_3) | instskip(NEXT) | instid1(VALU_DEP_2)
	v_cndmask_b32_e32 v46, 0, v46, vcc_lo
	v_add_f64_e64 v[34:35], v[48:49], -v[34:35]
	v_add_f64_e32 v[48:49], v[54:55], v[44:45]
	s_delay_alu instid0(VALU_DEP_1) | instskip(SKIP_1) | instid1(VALU_DEP_2)
	v_add_f64_e32 v[52:53], v[34:35], v[48:49]
	v_add_f64_e64 v[62:63], v[48:49], -v[54:55]
	v_add_f64_e32 v[56:57], v[52:53], v[46:47]
	s_delay_alu instid0(VALU_DEP_2) | instskip(SKIP_2) | instid1(VALU_DEP_4)
	v_add_f64_e64 v[68:69], v[48:49], -v[62:63]
	v_add_f64_e64 v[44:45], v[44:45], -v[62:63]
	;; [unrolled: 1-line block ×3, first 2 shown]
	v_cmp_gt_f64_e32 vcc_lo, 0, v[56:57]
	v_add_f64_e64 v[56:57], v[54:55], -v[58:59]
	s_delay_alu instid0(VALU_DEP_3) | instskip(SKIP_1) | instid1(VALU_DEP_3)
	v_add_f64_e64 v[34:35], v[48:49], -v[34:35]
	v_cndmask_b32_e64 v21, 0, 0x40100000, vcc_lo
	v_add_f64_e64 v[66:67], v[54:55], -v[56:57]
	v_add_f64_e64 v[56:57], v[60:61], -v[56:57]
	;; [unrolled: 1-line block ×3, first 2 shown]
	s_delay_alu instid0(VALU_DEP_4) | instskip(NEXT) | instid1(VALU_DEP_4)
	v_add_f64_e32 v[46:47], v[46:47], v[20:21]
	v_add_f64_e64 v[60:61], v[58:59], -v[66:67]
	s_delay_alu instid0(VALU_DEP_3) | instskip(NEXT) | instid1(VALU_DEP_3)
	v_add_f64_e32 v[44:45], v[44:45], v[54:55]
	v_add_f64_e32 v[64:65], v[52:53], v[46:47]
	s_delay_alu instid0(VALU_DEP_3) | instskip(NEXT) | instid1(VALU_DEP_2)
	v_add_f64_e32 v[56:57], v[56:57], v[60:61]
	v_cvt_i32_f64_e32 v21, v[64:65]
	s_delay_alu instid0(VALU_DEP_2) | instskip(NEXT) | instid1(VALU_DEP_2)
	v_add_f64_e32 v[44:45], v[56:57], v[44:45]
	v_cvt_f64_i32_e32 v[62:63], v21
	s_delay_alu instid0(VALU_DEP_2) | instskip(NEXT) | instid1(VALU_DEP_2)
	v_add_f64_e32 v[32:33], v[32:33], v[44:45]
	v_add_f64_e64 v[46:47], v[46:47], -v[62:63]
	s_delay_alu instid0(VALU_DEP_2) | instskip(NEXT) | instid1(VALU_DEP_2)
	v_add_f64_e32 v[32:33], v[34:35], v[32:33]
	v_add_f64_e32 v[54:55], v[52:53], v[46:47]
	s_delay_alu instid0(VALU_DEP_1) | instskip(SKIP_1) | instid1(VALU_DEP_2)
	v_add_f64_e64 v[44:45], v[54:55], -v[46:47]
	v_cmp_le_f64_e32 vcc_lo, 0.5, v[54:55]
	v_add_f64_e64 v[34:35], v[52:53], -v[44:45]
	v_add_co_ci_u32_e64 v50, null, 0, v21, vcc_lo
	v_cndmask_b32_e64 v21, 0, 0x3ff00000, vcc_lo
	s_delay_alu instid0(VALU_DEP_3) | instskip(NEXT) | instid1(VALU_DEP_2)
	v_add_f64_e32 v[32:33], v[32:33], v[34:35]
	v_add_f64_e64 v[34:35], v[54:55], -v[20:21]
	s_delay_alu instid0(VALU_DEP_1) | instskip(NEXT) | instid1(VALU_DEP_1)
	v_add_f64_e32 v[44:45], v[34:35], v[32:33]
	v_mul_f64_e32 v[46:47], 0x3ff921fb54442d18, v[44:45]
	v_add_f64_e64 v[34:35], v[44:45], -v[34:35]
	s_delay_alu instid0(VALU_DEP_2) | instskip(NEXT) | instid1(VALU_DEP_2)
	v_fma_f64 v[48:49], v[44:45], s[2:3], -v[46:47]
	v_add_f64_e64 v[32:33], v[32:33], -v[34:35]
	s_delay_alu instid0(VALU_DEP_2) | instskip(NEXT) | instid1(VALU_DEP_1)
	v_fmac_f64_e32 v[48:49], 0x3c91a62633145c07, v[44:45]
	v_fmac_f64_e32 v[48:49], 0x3ff921fb54442d18, v[32:33]
	s_delay_alu instid0(VALU_DEP_1) | instskip(NEXT) | instid1(VALU_DEP_1)
	v_add_f64_e32 v[32:33], v[46:47], v[48:49]
	v_add_f64_e64 v[34:35], v[32:33], -v[46:47]
	s_delay_alu instid0(VALU_DEP_1)
	v_add_f64_e64 v[34:35], v[48:49], -v[34:35]
.LBB161_285:                            ;   in Loop: Header=BB161_180 Depth=1
	s_or_saveexec_b32 s1, s1
	v_mul_f64_e64 v[44:45], |v[8:9]|, s[4:5]
	s_delay_alu instid0(VALU_DEP_1)
	v_rndne_f64_e32 v[48:49], v[44:45]
	s_xor_b32 exec_lo, exec_lo, s1
	s_cbranch_execz .LBB161_287
; %bb.286:                              ;   in Loop: Header=BB161_180 Depth=1
	s_delay_alu instid0(VALU_DEP_1) | instskip(SKIP_2) | instid1(VALU_DEP_3)
	v_fma_f64 v[32:33], v[48:49], s[6:7], |v[8:9]|
	v_mul_f64_e32 v[34:35], 0xbc91a62633145c00, v[48:49]
	v_cvt_i32_f64_e32 v50, v[48:49]
	v_fmamk_f64 v[52:53], v[48:49], 0xbc91a62633145c00, v[32:33]
	s_delay_alu instid0(VALU_DEP_3) | instskip(NEXT) | instid1(VALU_DEP_1)
	v_add_f64_e32 v[44:45], v[32:33], v[34:35]
	v_add_f64_e64 v[46:47], v[32:33], -v[44:45]
	s_delay_alu instid0(VALU_DEP_3) | instskip(NEXT) | instid1(VALU_DEP_2)
	v_add_f64_e64 v[32:33], v[44:45], -v[52:53]
	v_add_f64_e32 v[44:45], v[46:47], v[34:35]
	v_fmamk_f64 v[34:35], v[48:49], 0x3c91a62633145c00, v[34:35]
	s_delay_alu instid0(VALU_DEP_2) | instskip(NEXT) | instid1(VALU_DEP_1)
	v_add_f64_e32 v[32:33], v[32:33], v[44:45]
	v_add_f64_e64 v[34:35], v[32:33], -v[34:35]
	s_delay_alu instid0(VALU_DEP_1) | instskip(NEXT) | instid1(VALU_DEP_1)
	v_fmac_f64_e32 v[34:35], 0xb97b839a252049c0, v[48:49]
	v_add_f64_e32 v[32:33], v[52:53], v[34:35]
	s_delay_alu instid0(VALU_DEP_1) | instskip(NEXT) | instid1(VALU_DEP_1)
	v_add_f64_e64 v[44:45], v[32:33], -v[52:53]
	v_add_f64_e64 v[34:35], v[34:35], -v[44:45]
.LBB161_287:                            ;   in Loop: Header=BB161_180 Depth=1
	s_or_b32 exec_lo, exec_lo, s1
                                        ; implicit-def: $vgpr52
                                        ; implicit-def: $vgpr44_vgpr45
                                        ; implicit-def: $vgpr46_vgpr47
	s_and_saveexec_b32 s1, s0
	s_delay_alu instid0(SALU_CYCLE_1)
	s_xor_b32 s0, exec_lo, s1
	s_cbranch_execz .LBB161_289
; %bb.288:                              ;   in Loop: Header=BB161_180 Depth=1
	v_cmp_le_f64_e64 vcc_lo, 0x7b000000, |v[8:9]|
	v_dual_cndmask_b32 v43, v51, v43 :: v_dual_cndmask_b32 v42, v8, v42
	s_delay_alu instid0(VALU_DEP_1) | instskip(SKIP_2) | instid1(VALU_DEP_3)
	v_mul_f64_e32 v[44:45], v[40:41], v[42:43]
	v_mul_f64_e32 v[46:47], v[38:39], v[42:43]
	;; [unrolled: 1-line block ×3, first 2 shown]
	v_fma_f64 v[40:41], v[40:41], v[42:43], -v[44:45]
	s_delay_alu instid0(VALU_DEP_3) | instskip(NEXT) | instid1(VALU_DEP_3)
	v_fma_f64 v[38:39], v[38:39], v[42:43], -v[46:47]
	v_fma_f64 v[36:37], v[36:37], v[42:43], -v[58:59]
	s_delay_alu instid0(VALU_DEP_3) | instskip(NEXT) | instid1(VALU_DEP_1)
	v_add_f64_e32 v[48:49], v[46:47], v[40:41]
	v_add_f64_e64 v[52:53], v[48:49], -v[46:47]
	v_add_f64_e32 v[56:57], v[44:45], v[48:49]
	s_delay_alu instid0(VALU_DEP_2) | instskip(SKIP_1) | instid1(VALU_DEP_3)
	v_add_f64_e64 v[54:55], v[48:49], -v[52:53]
	v_add_f64_e64 v[40:41], v[40:41], -v[52:53]
	v_ldexp_f64 v[52:53], v[56:57], -2
	v_add_f64_e64 v[44:45], v[56:57], -v[44:45]
	s_delay_alu instid0(VALU_DEP_4) | instskip(SKIP_1) | instid1(VALU_DEP_4)
	v_add_f64_e64 v[46:47], v[46:47], -v[54:55]
	v_add_f64_e32 v[54:55], v[58:59], v[38:39]
	v_cmp_neq_f64_e64 vcc_lo, 0x7ff00000, |v[52:53]|
	s_delay_alu instid0(VALU_DEP_3) | instskip(SKIP_1) | instid1(VALU_DEP_1)
	v_add_f64_e32 v[40:41], v[40:41], v[46:47]
	v_fract_f64_e32 v[46:47], v[52:53]
	v_ldexp_f64 v[46:47], v[46:47], 2
	s_delay_alu instid0(VALU_DEP_1) | instskip(NEXT) | instid1(VALU_DEP_2)
	v_dual_add_f64 v[44:45], v[48:49], -v[44:45] :: v_dual_cndmask_b32 v47, 0, v47, vcc_lo
	v_dual_add_f64 v[48:49], v[54:55], v[40:41] :: v_dual_cndmask_b32 v46, 0, v46, vcc_lo
	s_delay_alu instid0(VALU_DEP_1) | instskip(SKIP_1) | instid1(VALU_DEP_2)
	v_add_f64_e32 v[52:53], v[44:45], v[48:49]
	v_add_f64_e64 v[60:61], v[48:49], -v[54:55]
	v_add_f64_e32 v[56:57], v[52:53], v[46:47]
	s_delay_alu instid0(VALU_DEP_2) | instskip(SKIP_2) | instid1(VALU_DEP_4)
	v_add_f64_e64 v[66:67], v[48:49], -v[60:61]
	v_add_f64_e64 v[40:41], v[40:41], -v[60:61]
	v_add_f64_e64 v[42:43], v[52:53], -v[44:45]
	v_cmp_gt_f64_e32 vcc_lo, 0, v[56:57]
	v_add_f64_e64 v[56:57], v[54:55], -v[58:59]
	s_delay_alu instid0(VALU_DEP_3) | instskip(SKIP_1) | instid1(VALU_DEP_3)
	v_add_f64_e64 v[42:43], v[48:49], -v[42:43]
                                        ; implicit-def: $vgpr48_vgpr49
	v_cndmask_b32_e64 v21, 0, 0x40100000, vcc_lo
	v_add_f64_e64 v[64:65], v[54:55], -v[56:57]
	v_add_f64_e64 v[38:39], v[38:39], -v[56:57]
	;; [unrolled: 1-line block ×3, first 2 shown]
	s_delay_alu instid0(VALU_DEP_4) | instskip(NEXT) | instid1(VALU_DEP_4)
	v_add_f64_e32 v[46:47], v[46:47], v[20:21]
	v_add_f64_e64 v[56:57], v[58:59], -v[64:65]
	s_delay_alu instid0(VALU_DEP_3) | instskip(NEXT) | instid1(VALU_DEP_3)
	v_add_f64_e32 v[40:41], v[40:41], v[54:55]
	v_add_f64_e32 v[62:63], v[52:53], v[46:47]
	s_delay_alu instid0(VALU_DEP_3) | instskip(NEXT) | instid1(VALU_DEP_2)
	v_add_f64_e32 v[38:39], v[38:39], v[56:57]
	v_cvt_i32_f64_e32 v21, v[62:63]
	s_delay_alu instid0(VALU_DEP_2) | instskip(NEXT) | instid1(VALU_DEP_2)
	v_add_f64_e32 v[38:39], v[38:39], v[40:41]
	v_cvt_f64_i32_e32 v[60:61], v21
	s_delay_alu instid0(VALU_DEP_2) | instskip(NEXT) | instid1(VALU_DEP_2)
	v_add_f64_e32 v[36:37], v[36:37], v[38:39]
	v_add_f64_e64 v[46:47], v[46:47], -v[60:61]
	s_delay_alu instid0(VALU_DEP_2) | instskip(NEXT) | instid1(VALU_DEP_2)
	v_add_f64_e32 v[36:37], v[42:43], v[36:37]
	v_add_f64_e32 v[40:41], v[52:53], v[46:47]
	s_delay_alu instid0(VALU_DEP_1) | instskip(SKIP_1) | instid1(VALU_DEP_2)
	v_add_f64_e64 v[38:39], v[40:41], -v[46:47]
	v_cmp_le_f64_e32 vcc_lo, 0.5, v[40:41]
	v_add_f64_e64 v[38:39], v[52:53], -v[38:39]
	v_add_co_ci_u32_e64 v52, null, 0, v21, vcc_lo
	v_cndmask_b32_e64 v21, 0, 0x3ff00000, vcc_lo
	s_delay_alu instid0(VALU_DEP_3) | instskip(NEXT) | instid1(VALU_DEP_2)
	v_add_f64_e32 v[36:37], v[36:37], v[38:39]
	v_add_f64_e64 v[38:39], v[40:41], -v[20:21]
	s_delay_alu instid0(VALU_DEP_1) | instskip(NEXT) | instid1(VALU_DEP_1)
	v_add_f64_e32 v[40:41], v[38:39], v[36:37]
	v_mul_f64_e32 v[42:43], 0x3ff921fb54442d18, v[40:41]
	v_add_f64_e64 v[38:39], v[40:41], -v[38:39]
	s_delay_alu instid0(VALU_DEP_2) | instskip(NEXT) | instid1(VALU_DEP_2)
	v_fma_f64 v[46:47], v[40:41], s[2:3], -v[42:43]
	v_add_f64_e64 v[36:37], v[36:37], -v[38:39]
	s_delay_alu instid0(VALU_DEP_2) | instskip(NEXT) | instid1(VALU_DEP_1)
	v_fmac_f64_e32 v[46:47], 0x3c91a62633145c07, v[40:41]
	v_fmac_f64_e32 v[46:47], 0x3ff921fb54442d18, v[36:37]
	s_delay_alu instid0(VALU_DEP_1) | instskip(NEXT) | instid1(VALU_DEP_1)
	v_add_f64_e32 v[44:45], v[42:43], v[46:47]
	v_add_f64_e64 v[36:37], v[44:45], -v[42:43]
	s_delay_alu instid0(VALU_DEP_1)
	v_add_f64_e64 v[46:47], v[46:47], -v[36:37]
	s_and_not1_saveexec_b32 s0, s0
	s_cbranch_execnz .LBB161_290
	s_branch .LBB161_291
.LBB161_289:                            ;   in Loop: Header=BB161_180 Depth=1
	s_and_not1_saveexec_b32 s0, s0
	s_cbranch_execz .LBB161_291
.LBB161_290:                            ;   in Loop: Header=BB161_180 Depth=1
	s_delay_alu instid0(VALU_DEP_1) | instskip(SKIP_2) | instid1(VALU_DEP_2)
	v_fma_f64 v[36:37], v[48:49], s[6:7], |v[8:9]|
	v_mul_f64_e32 v[38:39], 0xbc91a62633145c00, v[48:49]
	v_cvt_i32_f64_e32 v52, v[48:49]
	v_add_f64_e32 v[40:41], v[36:37], v[38:39]
	s_delay_alu instid0(VALU_DEP_1) | instskip(SKIP_1) | instid1(VALU_DEP_1)
	v_add_f64_e64 v[42:43], v[36:37], -v[40:41]
	v_fmamk_f64 v[36:37], v[48:49], 0xbc91a62633145c00, v[36:37]
	v_add_f64_e64 v[40:41], v[40:41], -v[36:37]
	s_delay_alu instid0(VALU_DEP_3) | instskip(SKIP_1) | instid1(VALU_DEP_2)
	v_add_f64_e32 v[42:43], v[42:43], v[38:39]
	v_fmamk_f64 v[38:39], v[48:49], 0x3c91a62633145c00, v[38:39]
	v_add_f64_e32 v[40:41], v[40:41], v[42:43]
	s_delay_alu instid0(VALU_DEP_1) | instskip(NEXT) | instid1(VALU_DEP_1)
	v_add_f64_e64 v[38:39], v[40:41], -v[38:39]
	v_fmac_f64_e32 v[38:39], 0xb97b839a252049c0, v[48:49]
	s_delay_alu instid0(VALU_DEP_1) | instskip(NEXT) | instid1(VALU_DEP_1)
	v_add_f64_e32 v[44:45], v[36:37], v[38:39]
	v_add_f64_e64 v[36:37], v[44:45], -v[36:37]
	s_delay_alu instid0(VALU_DEP_1)
	v_add_f64_e64 v[46:47], v[38:39], -v[36:37]
.LBB161_291:                            ;   in Loop: Header=BB161_180 Depth=1
	s_or_b32 exec_lo, exec_lo, s0
	v_dual_mul_f64 v[36:37], v[32:33], v[32:33] :: v_dual_bitop2_b32 v21, 1, v50 bitop3:0x40
	s_delay_alu instid0(VALU_DEP_2)
	v_mul_f64_e32 v[64:65], 0.5, v[46:47]
	v_cmp_class_f64_e64 s0, v[8:9], 0x1f8
	v_and_b32_e32 v8, 1, v52
	v_mul_f64_e32 v[38:39], v[44:45], v[44:45]
	v_cmp_eq_u32_e32 vcc_lo, 0, v21
	v_mul_f64_e32 v[56:57], 0.5, v[34:35]
	s_delay_alu instid0(VALU_DEP_4)
	v_cmp_eq_u32_e64 s1, 0, v8
	v_lshlrev_b32_e32 v8, 30, v52
	v_mul_f64_e32 v[40:41], 0.5, v[36:37]
	v_mul_f64_e64 v[58:59], v[32:33], -v[36:37]
	v_fmamk_f64 v[62:63], v[36:37], 0x3de5e0b2f9a43bb8, v[28:29]
	v_fmamk_f64 v[68:69], v[38:39], 0x3de5e0b2f9a43bb8, v[28:29]
	s_delay_alu instid0(VALU_DEP_2) | instskip(NEXT) | instid1(VALU_DEP_2)
	v_fmaak_f64 v[62:63], v[36:37], v[62:63], 0x3ec71de3796cde01
	v_fmaak_f64 v[68:69], v[38:39], v[68:69], 0x3ec71de3796cde01
	s_delay_alu instid0(VALU_DEP_2) | instskip(NEXT) | instid1(VALU_DEP_1)
	v_fmaak_f64 v[62:63], v[36:37], v[62:63], 0xbf2a01a019e83e5c
	v_fmaak_f64 v[62:63], v[36:37], v[62:63], 0x3f81111111110bb3
	v_add_f64_e64 v[48:49], -v[40:41], 1.0
	s_delay_alu instid0(VALU_DEP_2) | instskip(SKIP_1) | instid1(VALU_DEP_3)
	v_fmac_f64_e32 v[56:57], v[58:59], v[62:63]
	v_mul_f64_e32 v[62:63], v[36:37], v[36:37]
	v_add_f64_e64 v[60:61], -v[48:49], 1.0
	s_delay_alu instid0(VALU_DEP_3) | instskip(NEXT) | instid1(VALU_DEP_2)
	v_fma_f64 v[56:57], v[36:37], v[56:57], -v[34:35]
	v_add_f64_e64 v[40:41], v[60:61], -v[40:41]
	s_delay_alu instid0(VALU_DEP_2) | instskip(SKIP_1) | instid1(VALU_DEP_1)
	v_fmac_f64_e32 v[56:57], 0xbfc5555555555555, v[58:59]
	v_fmaak_f64 v[60:61], v[38:39], v[68:69], 0xbf2a01a019e83e5c
	v_fmaak_f64 v[60:61], v[38:39], v[60:61], 0x3f81111111110bb3
	s_delay_alu instid0(VALU_DEP_4) | instskip(NEXT) | instid1(VALU_DEP_4)
	v_fma_f64 v[34:35], v[32:33], -v[34:35], v[40:41]
	v_add_f64_e64 v[32:33], v[32:33], -v[56:57]
	v_mul_f64_e64 v[66:67], v[44:45], -v[38:39]
	s_delay_alu instid0(VALU_DEP_1) | instskip(SKIP_1) | instid1(VALU_DEP_1)
	v_fmac_f64_e32 v[64:65], v[66:67], v[60:61]
	v_fmamk_f64 v[60:61], v[36:37], 0xbda907db46cc5e42, v[26:27]
	v_fmaak_f64 v[40:41], v[36:37], v[60:61], 0xbe927e4fa17f65f6
	s_delay_alu instid0(VALU_DEP_1) | instskip(NEXT) | instid1(VALU_DEP_1)
	v_fmaak_f64 v[40:41], v[36:37], v[40:41], 0x3efa01a019f4ec90
	v_fmaak_f64 v[40:41], v[36:37], v[40:41], 0xbf56c16c16c16967
	s_delay_alu instid0(VALU_DEP_1) | instskip(NEXT) | instid1(VALU_DEP_1)
	v_fmaak_f64 v[36:37], v[36:37], v[40:41], 0x3fa5555555555555
	v_fmac_f64_e32 v[34:35], v[62:63], v[36:37]
	s_delay_alu instid0(VALU_DEP_1) | instskip(NEXT) | instid1(VALU_DEP_1)
	v_add_f64_e32 v[34:35], v[48:49], v[34:35]
	v_dual_cndmask_b32 v21, v34, v32 :: v_dual_lshlrev_b32 v32, 30, v50
	v_mul_f64_e32 v[42:43], 0.5, v[38:39]
	v_fma_f64 v[60:61], v[38:39], v[64:65], -v[46:47]
	v_fmamk_f64 v[64:65], v[38:39], 0xbda907db46cc5e42, v[26:27]
	s_delay_alu instid0(VALU_DEP_4) | instskip(SKIP_1) | instid1(VALU_DEP_3)
	v_dual_mul_f64 v[68:69], v[38:39], v[38:39] :: v_dual_bitop2_b32 v9, v32, v9 bitop3:0x14
	v_cndmask_b32_e32 v32, v35, v33, vcc_lo
	v_fmaak_f64 v[40:41], v[38:39], v[64:65], 0xbe927e4fa17f65f6
	s_delay_alu instid0(VALU_DEP_2) | instskip(NEXT) | instid1(VALU_DEP_1)
	v_bitop3_b32 v9, v32, v9, 0x80000000 bitop3:0x78
	v_cndmask_b32_e64 v9, 0x7ff80000, v9, s0
	s_delay_alu instid0(VALU_DEP_3) | instskip(NEXT) | instid1(VALU_DEP_1)
	v_fmaak_f64 v[36:37], v[38:39], v[40:41], 0x3efa01a019f4ec90
	v_fmaak_f64 v[36:37], v[38:39], v[36:37], 0xbf56c16c16c16967
	s_delay_alu instid0(VALU_DEP_1) | instskip(SKIP_2) | instid1(VALU_DEP_2)
	v_fmaak_f64 v[36:37], v[38:39], v[36:37], 0x3fa5555555555555
	v_add_f64_e64 v[54:55], -v[42:43], 1.0
	v_fmac_f64_e32 v[60:61], 0xbfc5555555555555, v[66:67]
	v_add_f64_e64 v[70:71], -v[54:55], 1.0
	s_delay_alu instid0(VALU_DEP_1) | instskip(NEXT) | instid1(VALU_DEP_1)
	v_add_f64_e64 v[42:43], v[70:71], -v[42:43]
	v_fma_f64 v[42:43], v[44:45], -v[46:47], v[42:43]
	s_delay_alu instid0(VALU_DEP_1) | instskip(SKIP_1) | instid1(VALU_DEP_2)
	v_fmac_f64_e32 v[42:43], v[68:69], v[36:37]
	v_add_f64_e64 v[36:37], v[44:45], -v[60:61]
	v_add_f64_e32 v[38:39], v[54:55], v[42:43]
	s_delay_alu instid0(VALU_DEP_2) | instskip(NEXT) | instid1(VALU_DEP_1)
	v_xor_b32_e32 v34, 0x80000000, v37
	v_dual_cndmask_b32 v34, v34, v39, s1 :: v_dual_cndmask_b32 v33, v36, v38, s1
	s_delay_alu instid0(VALU_DEP_1) | instskip(SKIP_1) | instid1(VALU_DEP_3)
	v_bitop3_b32 v34, v34, v8, 0x80000000 bitop3:0x78
	v_cndmask_b32_e64 v8, 0, v21, s0
	v_cndmask_b32_e64 v32, 0, v33, s0
	s_delay_alu instid0(VALU_DEP_3) | instskip(NEXT) | instid1(VALU_DEP_1)
	v_cndmask_b32_e64 v33, 0x7ff80000, v34, s0
	v_mul_f64_e32 v[8:9], v[8:9], v[32:33]
.LBB161_292:                            ;   in Loop: Header=BB161_180 Depth=1
	s_or_b32 exec_lo, exec_lo, s22
	s_delay_alu instid0(VALU_DEP_1) | instskip(SKIP_1) | instid1(VALU_DEP_2)
	v_bfi_b32 v21, 0x7fffffff, 0, v9
	v_add_nc_u32_e32 v7, -2.0, v7
	v_mov_b64_e32 v[8:9], v[20:21]
.LBB161_293:                            ;   in Loop: Header=BB161_180 Depth=1
	s_or_b32 exec_lo, exec_lo, s21
.LBB161_294:                            ;   in Loop: Header=BB161_180 Depth=1
	s_delay_alu instid0(SALU_CYCLE_1) | instskip(SKIP_2) | instid1(VALU_DEP_1)
	s_or_b32 exec_lo, exec_lo, s20
	v_and_b32_e32 v21, 0x7fffffff, v3
	s_mov_b32 s0, exec_lo
	v_cmpx_gt_u32_e32 0x7ff00000, v21
	s_xor_b32 s1, exec_lo, s0
	s_cbranch_execz .LBB161_316
; %bb.295:                              ;   in Loop: Header=BB161_180 Depth=1
	v_cmp_class_f64_e64 s0, v[4:5], 0x1f8
	s_and_saveexec_b32 s20, s0
	s_delay_alu instid0(SALU_CYCLE_1)
	s_xor_b32 s20, exec_lo, s20
	s_cbranch_execz .LBB161_313
; %bb.296:                              ;   in Loop: Header=BB161_180 Depth=1
	s_mov_b32 s0, exec_lo
	v_cmpx_gt_u32_e32 0x40360000, v21
	s_xor_b32 s21, exec_lo, s0
	s_cbranch_execz .LBB161_302
; %bb.297:                              ;   in Loop: Header=BB161_180 Depth=1
	v_cmp_ngt_f64_e64 s0, 0x41d00000, |v[4:5]|
                                        ; implicit-def: $vgpr36
                                        ; implicit-def: $vgpr32_vgpr33
                                        ; implicit-def: $vgpr34_vgpr35
	s_and_saveexec_b32 s22, s0
	s_delay_alu instid0(SALU_CYCLE_1)
	s_xor_b32 s0, exec_lo, s22
	s_cbranch_execz .LBB161_299
; %bb.298:                              ;   in Loop: Header=BB161_180 Depth=1
	v_ldexp_f64 v[32:33], |v[4:5]|, 0xffffff80
	v_cmp_le_f64_e64 vcc_lo, 0x7b000000, |v[4:5]|
	v_trig_preop_f64 v[34:35], |v[4:5]|, 0
	v_and_b32_e32 v21, 0x7fffffff, v5
	v_trig_preop_f64 v[36:37], |v[4:5]|, 1
	v_trig_preop_f64 v[46:47], |v[4:5]|, 2
	s_delay_alu instid0(VALU_DEP_3) | instskip(NEXT) | instid1(VALU_DEP_1)
	v_dual_cndmask_b32 v33, v21, v33 :: v_dual_cndmask_b32 v32, v4, v32
	v_mul_f64_e32 v[38:39], v[34:35], v[32:33]
	s_delay_alu instid0(VALU_DEP_4) | instskip(NEXT) | instid1(VALU_DEP_4)
	v_mul_f64_e32 v[40:41], v[36:37], v[32:33]
	v_mul_f64_e32 v[52:53], v[46:47], v[32:33]
	s_delay_alu instid0(VALU_DEP_3) | instskip(NEXT) | instid1(VALU_DEP_3)
	v_fma_f64 v[34:35], v[34:35], v[32:33], -v[38:39]
	v_fma_f64 v[36:37], v[36:37], v[32:33], -v[40:41]
	s_delay_alu instid0(VALU_DEP_3) | instskip(NEXT) | instid1(VALU_DEP_3)
	v_fma_f64 v[32:33], v[46:47], v[32:33], -v[52:53]
	v_add_f64_e32 v[42:43], v[40:41], v[34:35]
	s_delay_alu instid0(VALU_DEP_1) | instskip(SKIP_1) | instid1(VALU_DEP_2)
	v_add_f64_e64 v[44:45], v[42:43], -v[40:41]
	v_add_f64_e32 v[50:51], v[38:39], v[42:43]
	v_add_f64_e64 v[48:49], v[42:43], -v[44:45]
	v_add_f64_e64 v[34:35], v[34:35], -v[44:45]
	s_delay_alu instid0(VALU_DEP_3) | instskip(NEXT) | instid1(VALU_DEP_3)
	v_ldexp_f64 v[44:45], v[50:51], -2
	v_add_f64_e64 v[40:41], v[40:41], -v[48:49]
	v_add_f64_e32 v[48:49], v[52:53], v[36:37]
	s_delay_alu instid0(VALU_DEP_3) | instskip(NEXT) | instid1(VALU_DEP_3)
	v_cmp_neq_f64_e64 vcc_lo, 0x7ff00000, |v[44:45]|
	v_add_f64_e32 v[34:35], v[34:35], v[40:41]
	v_fract_f64_e32 v[40:41], v[44:45]
	s_delay_alu instid0(VALU_DEP_1) | instskip(NEXT) | instid1(VALU_DEP_1)
	v_ldexp_f64 v[40:41], v[40:41], 2
	v_dual_add_f64 v[38:39], v[50:51], -v[38:39] :: v_dual_cndmask_b32 v40, 0, v40, vcc_lo
	s_delay_alu instid0(VALU_DEP_1) | instskip(SKIP_1) | instid1(VALU_DEP_1)
	v_dual_add_f64 v[38:39], v[42:43], -v[38:39] :: v_dual_cndmask_b32 v41, 0, v41, vcc_lo
	v_add_f64_e32 v[42:43], v[48:49], v[34:35]
	v_add_f64_e32 v[44:45], v[38:39], v[42:43]
	v_add_f64_e64 v[54:55], v[42:43], -v[48:49]
	s_delay_alu instid0(VALU_DEP_2) | instskip(NEXT) | instid1(VALU_DEP_2)
	v_add_f64_e32 v[50:51], v[44:45], v[40:41]
	v_add_f64_e64 v[60:61], v[42:43], -v[54:55]
	v_add_f64_e64 v[34:35], v[34:35], -v[54:55]
	;; [unrolled: 1-line block ×3, first 2 shown]
	s_delay_alu instid0(VALU_DEP_4) | instskip(SKIP_2) | instid1(VALU_DEP_2)
	v_cmp_gt_f64_e32 vcc_lo, 0, v[50:51]
	v_add_f64_e64 v[50:51], v[48:49], -v[52:53]
	v_cndmask_b32_e64 v21, 0, 0x40100000, vcc_lo
	v_add_f64_e64 v[58:59], v[48:49], -v[50:51]
	v_add_f64_e64 v[36:37], v[36:37], -v[50:51]
	;; [unrolled: 1-line block ×3, first 2 shown]
	s_delay_alu instid0(VALU_DEP_4) | instskip(NEXT) | instid1(VALU_DEP_4)
	v_add_f64_e32 v[40:41], v[40:41], v[20:21]
	v_add_f64_e64 v[50:51], v[52:53], -v[58:59]
	s_delay_alu instid0(VALU_DEP_3) | instskip(NEXT) | instid1(VALU_DEP_3)
	v_add_f64_e32 v[34:35], v[34:35], v[48:49]
	v_add_f64_e32 v[56:57], v[44:45], v[40:41]
	s_delay_alu instid0(VALU_DEP_3) | instskip(NEXT) | instid1(VALU_DEP_2)
	v_add_f64_e32 v[36:37], v[36:37], v[50:51]
	v_cvt_i32_f64_e32 v21, v[56:57]
	s_delay_alu instid0(VALU_DEP_2) | instskip(SKIP_1) | instid1(VALU_DEP_3)
	v_add_f64_e32 v[34:35], v[36:37], v[34:35]
	v_add_f64_e64 v[36:37], v[42:43], -v[38:39]
	v_cvt_f64_i32_e32 v[54:55], v21
	s_delay_alu instid0(VALU_DEP_3) | instskip(NEXT) | instid1(VALU_DEP_2)
	v_add_f64_e32 v[32:33], v[32:33], v[34:35]
	v_add_f64_e64 v[40:41], v[40:41], -v[54:55]
	s_delay_alu instid0(VALU_DEP_2) | instskip(NEXT) | instid1(VALU_DEP_2)
	v_add_f64_e32 v[32:33], v[36:37], v[32:33]
	v_add_f64_e32 v[46:47], v[44:45], v[40:41]
	s_delay_alu instid0(VALU_DEP_1) | instskip(SKIP_1) | instid1(VALU_DEP_2)
	v_add_f64_e64 v[34:35], v[46:47], -v[40:41]
	v_cmp_le_f64_e32 vcc_lo, 0.5, v[46:47]
	v_add_f64_e64 v[34:35], v[44:45], -v[34:35]
	v_add_co_ci_u32_e64 v36, null, 0, v21, vcc_lo
	v_cndmask_b32_e64 v21, 0, 0x3ff00000, vcc_lo
	s_delay_alu instid0(VALU_DEP_3) | instskip(NEXT) | instid1(VALU_DEP_2)
	v_add_f64_e32 v[32:33], v[32:33], v[34:35]
	v_add_f64_e64 v[34:35], v[46:47], -v[20:21]
	s_delay_alu instid0(VALU_DEP_1) | instskip(NEXT) | instid1(VALU_DEP_1)
	v_add_f64_e32 v[38:39], v[34:35], v[32:33]
	v_mul_f64_e32 v[40:41], 0x3ff921fb54442d18, v[38:39]
	v_add_f64_e64 v[34:35], v[38:39], -v[34:35]
	s_delay_alu instid0(VALU_DEP_2) | instskip(NEXT) | instid1(VALU_DEP_2)
	v_fma_f64 v[42:43], v[38:39], s[2:3], -v[40:41]
	v_add_f64_e64 v[32:33], v[32:33], -v[34:35]
	s_delay_alu instid0(VALU_DEP_2) | instskip(NEXT) | instid1(VALU_DEP_1)
	v_fmac_f64_e32 v[42:43], 0x3c91a62633145c07, v[38:39]
	v_fmac_f64_e32 v[42:43], 0x3ff921fb54442d18, v[32:33]
	s_delay_alu instid0(VALU_DEP_1) | instskip(NEXT) | instid1(VALU_DEP_1)
	v_add_f64_e32 v[32:33], v[40:41], v[42:43]
	v_add_f64_e64 v[34:35], v[32:33], -v[40:41]
	s_delay_alu instid0(VALU_DEP_1)
	v_add_f64_e64 v[34:35], v[42:43], -v[34:35]
.LBB161_299:                            ;   in Loop: Header=BB161_180 Depth=1
	s_and_not1_saveexec_b32 s0, s0
	s_cbranch_execz .LBB161_301
; %bb.300:                              ;   in Loop: Header=BB161_180 Depth=1
	v_mul_f64_e64 v[32:33], |v[4:5]|, s[4:5]
	s_delay_alu instid0(VALU_DEP_1) | instskip(NEXT) | instid1(VALU_DEP_1)
	v_rndne_f64_e32 v[36:37], v[32:33]
	v_fma_f64 v[32:33], v[36:37], s[6:7], |v[4:5]|
	v_mul_f64_e32 v[34:35], 0xbc91a62633145c00, v[36:37]
	s_delay_alu instid0(VALU_DEP_2) | instskip(NEXT) | instid1(VALU_DEP_2)
	v_fmamk_f64 v[42:43], v[36:37], 0xbc91a62633145c00, v[32:33]
	v_add_f64_e32 v[38:39], v[32:33], v[34:35]
	s_delay_alu instid0(VALU_DEP_1) | instskip(NEXT) | instid1(VALU_DEP_3)
	v_add_f64_e64 v[40:41], v[32:33], -v[38:39]
	v_add_f64_e64 v[32:33], v[38:39], -v[42:43]
	s_delay_alu instid0(VALU_DEP_2) | instskip(SKIP_1) | instid1(VALU_DEP_2)
	v_add_f64_e32 v[38:39], v[40:41], v[34:35]
	v_fmamk_f64 v[34:35], v[36:37], 0x3c91a62633145c00, v[34:35]
	v_add_f64_e32 v[32:33], v[32:33], v[38:39]
	s_delay_alu instid0(VALU_DEP_1) | instskip(NEXT) | instid1(VALU_DEP_1)
	v_add_f64_e64 v[34:35], v[32:33], -v[34:35]
	v_fmac_f64_e32 v[34:35], 0xb97b839a252049c0, v[36:37]
	v_cvt_i32_f64_e32 v36, v[36:37]
	s_delay_alu instid0(VALU_DEP_2) | instskip(NEXT) | instid1(VALU_DEP_1)
	v_add_f64_e32 v[32:33], v[42:43], v[34:35]
	v_add_f64_e64 v[38:39], v[32:33], -v[42:43]
	s_delay_alu instid0(VALU_DEP_1)
	v_add_f64_e64 v[34:35], v[34:35], -v[38:39]
.LBB161_301:                            ;   in Loop: Header=BB161_180 Depth=1
	s_or_b32 exec_lo, exec_lo, s0
	v_add_f64_e64 v[38:39], |v[2:3]|, s[8:9]
	v_cmp_nge_f64_e64 vcc_lo, |v[2:3]|, s[10:11]
	v_and_b32_e32 v37, 0x7fffffff, v3
	v_mul_f64_e32 v[56:57], v[32:33], v[32:33]
	v_add_f64_e32 v[58:59], v[34:35], v[34:35]
	v_add_f64_e64 v[40:41], v[38:39], -|v[2:3]|
	s_delay_alu instid0(VALU_DEP_3) | instskip(NEXT) | instid1(VALU_DEP_2)
	v_fma_f64 v[60:61], v[32:33], v[32:33], -v[56:57]
	v_add_f64_e64 v[42:43], v[40:41], -v[38:39]
	v_add_f64_e32 v[40:41], 0x3fe62e42fefa39ef, v[40:41]
	s_delay_alu instid0(VALU_DEP_3) | instskip(NEXT) | instid1(VALU_DEP_3)
	v_fmac_f64_e32 v[60:61], v[32:33], v[58:59]
	v_add_f64_e64 v[42:43], |v[2:3]|, v[42:43]
	s_delay_alu instid0(VALU_DEP_2) | instskip(NEXT) | instid1(VALU_DEP_2)
	v_add_f64_e32 v[56:57], v[56:57], v[60:61]
	v_add_f64_e64 v[40:41], v[42:43], -v[40:41]
	s_delay_alu instid0(VALU_DEP_2) | instskip(NEXT) | instid1(VALU_DEP_1)
	v_fmamk_f64 v[60:61], v[56:57], 0x3ef5e089c751c08c, v[22:23]
	v_fmaak_f64 v[60:61], v[56:57], v[60:61], 0x3f17746f90a8aae0
	s_delay_alu instid0(VALU_DEP_1) | instskip(NEXT) | instid1(VALU_DEP_4)
	v_fmaak_f64 v[60:61], v[56:57], v[60:61], 0xbefbb44da6fbf144
	v_add_f64_e32 v[40:41], 0xbc7abc9e3b39803f, v[40:41]
	s_delay_alu instid0(VALU_DEP_1) | instskip(NEXT) | instid1(VALU_DEP_1)
	v_add_f64_e32 v[42:43], v[38:39], v[40:41]
	v_mul_f64_e32 v[44:45], 0x3ff71547652b82fe, v[42:43]
	v_add_f64_e64 v[38:39], v[38:39], -v[42:43]
	s_delay_alu instid0(VALU_DEP_2) | instskip(NEXT) | instid1(VALU_DEP_2)
	v_rndne_f64_e32 v[44:45], v[44:45]
	v_add_f64_e32 v[38:39], v[40:41], v[38:39]
	s_delay_alu instid0(VALU_DEP_2) | instskip(SKIP_2) | instid1(VALU_DEP_3)
	v_fmac_f64_e32 v[42:43], 0xbfe62e42fefa3000, v[44:45]
	v_mul_f64_e32 v[40:41], 0xbd53de6af278e000, v[44:45]
	v_cvt_i32_f64_e32 v4, v[44:45]
	v_add_f64_e32 v[46:47], v[38:39], v[42:43]
	s_delay_alu instid0(VALU_DEP_1) | instskip(SKIP_1) | instid1(VALU_DEP_2)
	v_add_f64_e32 v[48:49], v[46:47], v[40:41]
	v_add_f64_e64 v[42:43], v[42:43], -v[46:47]
	v_add_f64_e64 v[46:47], v[46:47], -v[48:49]
	s_delay_alu instid0(VALU_DEP_2) | instskip(NEXT) | instid1(VALU_DEP_2)
	v_add_f64_e32 v[38:39], v[38:39], v[42:43]
	v_add_f64_e32 v[40:41], v[46:47], v[40:41]
	s_delay_alu instid0(VALU_DEP_1) | instskip(SKIP_1) | instid1(VALU_DEP_2)
	v_add_f64_e32 v[38:39], v[38:39], v[40:41]
	v_mul_f64_e32 v[40:41], 0xbac9cc01f97b57a0, v[44:45]
	v_add_f64_e32 v[42:43], v[48:49], v[38:39]
	s_delay_alu instid0(VALU_DEP_1) | instskip(SKIP_1) | instid1(VALU_DEP_2)
	v_add_f64_e32 v[46:47], v[42:43], v[40:41]
	v_add_f64_e64 v[48:49], v[48:49], -v[42:43]
	v_add_f64_e64 v[42:43], v[42:43], -v[46:47]
	s_delay_alu instid0(VALU_DEP_2) | instskip(NEXT) | instid1(VALU_DEP_2)
	v_add_f64_e32 v[38:39], v[38:39], v[48:49]
	v_add_f64_e32 v[40:41], v[42:43], v[40:41]
	s_delay_alu instid0(VALU_DEP_1) | instskip(NEXT) | instid1(VALU_DEP_1)
	v_add_f64_e32 v[38:39], v[38:39], v[40:41]
	v_add_f64_e32 v[40:41], v[46:47], v[38:39]
	s_delay_alu instid0(VALU_DEP_1) | instskip(SKIP_1) | instid1(VALU_DEP_2)
	v_add_f64_e64 v[42:43], v[46:47], -v[40:41]
	v_mul_f64_e32 v[46:47], v[40:41], v[40:41]
	v_add_f64_e32 v[38:39], v[38:39], v[42:43]
	s_delay_alu instid0(VALU_DEP_2) | instskip(NEXT) | instid1(VALU_DEP_2)
	v_fma_f64 v[42:43], v[40:41], v[40:41], -v[46:47]
	v_add_f64_e32 v[48:49], v[38:39], v[38:39]
	s_delay_alu instid0(VALU_DEP_1) | instskip(SKIP_1) | instid1(VALU_DEP_1)
	v_fmac_f64_e32 v[42:43], v[40:41], v[48:49]
	v_fmamk_f64 v[48:49], v[40:41], 0x3e5ade156a5dcb37, v[24:25]
	v_fmaak_f64 v[48:49], v[40:41], v[48:49], 0x3ec71dee623fde64
	s_delay_alu instid0(VALU_DEP_1) | instskip(NEXT) | instid1(VALU_DEP_1)
	v_fmaak_f64 v[48:49], v[40:41], v[48:49], 0x3efa01997c89e6b0
	v_fmaak_f64 v[48:49], v[40:41], v[48:49], 0x3f2a01a014761f6e
	s_delay_alu instid0(VALU_DEP_1) | instskip(SKIP_1) | instid1(VALU_DEP_2)
	v_fmaak_f64 v[48:49], v[40:41], v[48:49], 0x3f56c16c1852b7b0
	v_add_f64_e32 v[50:51], v[46:47], v[42:43]
	v_fmaak_f64 v[48:49], v[40:41], v[48:49], 0x3f81111111122322
	s_delay_alu instid0(VALU_DEP_1) | instskip(NEXT) | instid1(VALU_DEP_1)
	v_fmaak_f64 v[48:49], v[40:41], v[48:49], 0x3fa55555555502a1
	v_fmaak_f64 v[48:49], v[40:41], v[48:49], 0x3fc5555555555511
	s_delay_alu instid0(VALU_DEP_1) | instskip(SKIP_1) | instid1(VALU_DEP_2)
	v_fmaak_f64 v[48:49], v[40:41], v[48:49], 0x3fe000000000000b
	v_add_f64_e64 v[46:47], v[50:51], -v[46:47]
	v_mul_f64_e32 v[52:53], v[50:51], v[48:49]
	s_delay_alu instid0(VALU_DEP_2) | instskip(NEXT) | instid1(VALU_DEP_2)
	v_add_f64_e64 v[42:43], v[42:43], -v[46:47]
	v_fma_f64 v[46:47], v[50:51], v[48:49], -v[52:53]
	s_delay_alu instid0(VALU_DEP_1) | instskip(NEXT) | instid1(VALU_DEP_1)
	v_fmac_f64_e32 v[46:47], v[42:43], v[48:49]
	v_add_f64_e32 v[42:43], v[52:53], v[46:47]
	s_delay_alu instid0(VALU_DEP_1) | instskip(SKIP_1) | instid1(VALU_DEP_2)
	v_add_f64_e32 v[48:49], v[40:41], v[42:43]
	v_add_f64_e64 v[50:51], v[42:43], -v[52:53]
	v_add_f64_e64 v[40:41], v[48:49], -v[40:41]
	s_delay_alu instid0(VALU_DEP_2) | instskip(NEXT) | instid1(VALU_DEP_2)
	v_add_f64_e64 v[46:47], v[46:47], -v[50:51]
	v_add_f64_e64 v[40:41], v[42:43], -v[40:41]
	s_delay_alu instid0(VALU_DEP_2) | instskip(NEXT) | instid1(VALU_DEP_1)
	v_add_f64_e32 v[38:39], v[38:39], v[46:47]
	v_add_f64_e32 v[38:39], v[38:39], v[40:41]
	s_delay_alu instid0(VALU_DEP_1) | instskip(NEXT) | instid1(VALU_DEP_1)
	v_add_f64_e32 v[40:41], v[48:49], v[38:39]
	v_add_f64_e32 v[42:43], 1.0, v[40:41]
	v_add_f64_e64 v[46:47], v[40:41], -v[48:49]
	s_delay_alu instid0(VALU_DEP_2) | instskip(NEXT) | instid1(VALU_DEP_2)
	v_add_f64_e32 v[48:49], -1.0, v[42:43]
	v_add_f64_e64 v[38:39], v[38:39], -v[46:47]
	s_delay_alu instid0(VALU_DEP_2) | instskip(NEXT) | instid1(VALU_DEP_1)
	v_add_f64_e64 v[40:41], v[40:41], -v[48:49]
	v_add_f64_e32 v[38:39], v[38:39], v[40:41]
	s_delay_alu instid0(VALU_DEP_1) | instskip(NEXT) | instid1(VALU_DEP_1)
	v_add_f64_e32 v[40:41], v[42:43], v[38:39]
	v_ldexp_f64 v[44:45], v[40:41], v4
	v_add_f64_e64 v[40:41], v[40:41], -v[42:43]
	s_delay_alu instid0(VALU_DEP_2) | instskip(NEXT) | instid1(VALU_DEP_1)
	v_rcp_f64_e32 v[46:47], v[44:45]
	v_add_f64_e64 v[38:39], v[38:39], -v[40:41]
	s_delay_alu instid0(VALU_DEP_1) | instskip(NEXT) | instid1(TRANS32_DEP_1)
	v_ldexp_f64 v[38:39], v[38:39], v4
	v_fma_f64 v[48:49], -v[44:45], v[46:47], 1.0
	s_delay_alu instid0(VALU_DEP_1) | instskip(NEXT) | instid1(VALU_DEP_1)
	v_fmac_f64_e32 v[46:47], v[48:49], v[46:47]
	v_fma_f64 v[48:49], -v[44:45], v[46:47], 1.0
	s_delay_alu instid0(VALU_DEP_1) | instskip(NEXT) | instid1(VALU_DEP_1)
	v_fmac_f64_e32 v[46:47], v[48:49], v[46:47]
	v_mul_f64_e32 v[40:41], v[44:45], v[46:47]
	s_delay_alu instid0(VALU_DEP_1) | instskip(NEXT) | instid1(VALU_DEP_1)
	v_fma_f64 v[42:43], v[46:47], v[44:45], -v[40:41]
	v_fmac_f64_e32 v[42:43], v[46:47], v[38:39]
	s_delay_alu instid0(VALU_DEP_1) | instskip(NEXT) | instid1(VALU_DEP_1)
	v_add_f64_e32 v[48:49], v[40:41], v[42:43]
	v_add_f64_e64 v[50:51], -v[48:49], 1.0
	v_add_f64_e64 v[40:41], v[48:49], -v[40:41]
	s_delay_alu instid0(VALU_DEP_2) | instskip(NEXT) | instid1(VALU_DEP_2)
	v_add_f64_e64 v[52:53], -v[50:51], 1.0
	v_add_f64_e64 v[40:41], v[40:41], -v[42:43]
	s_delay_alu instid0(VALU_DEP_2) | instskip(NEXT) | instid1(VALU_DEP_1)
	v_add_f64_e64 v[42:43], v[52:53], -v[48:49]
	v_add_f64_e32 v[40:41], v[40:41], v[42:43]
	s_delay_alu instid0(VALU_DEP_1) | instskip(NEXT) | instid1(VALU_DEP_1)
	v_add_f64_e32 v[42:43], v[50:51], v[40:41]
	v_mul_f64_e32 v[48:49], v[46:47], v[42:43]
	v_add_f64_e64 v[50:51], v[50:51], -v[42:43]
	s_delay_alu instid0(VALU_DEP_2) | instskip(NEXT) | instid1(VALU_DEP_2)
	v_mul_f64_e32 v[52:53], v[44:45], v[48:49]
	v_add_f64_e32 v[40:41], v[40:41], v[50:51]
	s_delay_alu instid0(VALU_DEP_2) | instskip(NEXT) | instid1(VALU_DEP_1)
	v_fma_f64 v[54:55], v[48:49], v[44:45], -v[52:53]
	v_fmac_f64_e32 v[54:55], v[48:49], v[38:39]
	s_delay_alu instid0(VALU_DEP_1) | instskip(NEXT) | instid1(VALU_DEP_1)
	v_add_f64_e32 v[62:63], v[52:53], v[54:55]
	v_add_f64_e64 v[58:59], v[42:43], -v[62:63]
	v_add_f64_e64 v[50:51], v[62:63], -v[52:53]
	v_fmaak_f64 v[52:53], v[56:57], v[60:61], 0x3f21e634a7943acf
	s_delay_alu instid0(VALU_DEP_1) | instskip(NEXT) | instid1(VALU_DEP_1)
	v_fmaak_f64 v[52:53], v[56:57], v[52:53], 0x3f2d250fdeb68feb
	v_fmaak_f64 v[52:53], v[56:57], v[52:53], 0x3f437fd9b58c4d95
	s_delay_alu instid0(VALU_DEP_1) | instskip(NEXT) | instid1(VALU_DEP_1)
	v_fmaak_f64 v[52:53], v[56:57], v[52:53], 0x3f57d5af15120e2c
	v_fmaak_f64 v[52:53], v[56:57], v[52:53], 0x3f6d6d93e09491df
	v_add_f64_e64 v[42:43], v[42:43], -v[58:59]
	v_add_f64_e64 v[50:51], v[50:51], -v[54:55]
	s_delay_alu instid0(VALU_DEP_2) | instskip(NEXT) | instid1(VALU_DEP_1)
	v_add_f64_e64 v[42:43], v[42:43], -v[62:63]
	v_add_f64_e32 v[40:41], v[40:41], v[42:43]
	v_fmaak_f64 v[42:43], v[56:57], v[52:53], 0x3f8226e12033784d
	v_add_f64_e32 v[52:53], v[46:47], v[48:49]
	s_delay_alu instid0(VALU_DEP_2) | instskip(NEXT) | instid1(VALU_DEP_1)
	v_fmaak_f64 v[42:43], v[56:57], v[42:43], 0x3f9664f49ac36ae2
	v_fmaak_f64 v[42:43], v[56:57], v[42:43], 0x3faba1ba1b451c21
	s_delay_alu instid0(VALU_DEP_1) | instskip(NEXT) | instid1(VALU_DEP_1)
	v_fmaak_f64 v[42:43], v[56:57], v[42:43], 0x3fc11111111185b7
	v_fmaak_f64 v[42:43], v[56:57], v[42:43], 0x3fd55555555554ee
	v_add_f64_e32 v[40:41], v[50:51], v[40:41]
	v_add_f64_e64 v[50:51], v[52:53], -v[46:47]
	s_delay_alu instid0(VALU_DEP_3) | instskip(NEXT) | instid1(VALU_DEP_3)
	v_mul_f64_e32 v[42:43], v[56:57], v[42:43]
	v_add_f64_e32 v[40:41], v[58:59], v[40:41]
	s_delay_alu instid0(VALU_DEP_3) | instskip(NEXT) | instid1(VALU_DEP_3)
	v_add_f64_e64 v[48:49], v[48:49], -v[50:51]
	v_mul_f64_e32 v[54:55], v[32:33], v[42:43]
	s_delay_alu instid0(VALU_DEP_3) | instskip(NEXT) | instid1(VALU_DEP_2)
	v_mul_f64_e32 v[40:41], v[46:47], v[40:41]
	v_add_f64_e32 v[46:47], v[32:33], v[54:55]
	v_fma_f64 v[42:43], v[32:33], v[42:43], -v[54:55]
	s_delay_alu instid0(VALU_DEP_3) | instskip(NEXT) | instid1(VALU_DEP_3)
	v_add_f64_e32 v[40:41], v[48:49], v[40:41]
	v_add_f64_e64 v[32:33], v[46:47], -v[32:33]
	s_delay_alu instid0(VALU_DEP_3) | instskip(NEXT) | instid1(VALU_DEP_3)
	v_add_f64_e32 v[34:35], v[34:35], v[42:43]
	v_add_f64_e32 v[48:49], v[52:53], v[40:41]
	s_delay_alu instid0(VALU_DEP_3) | instskip(NEXT) | instid1(VALU_DEP_2)
	v_add_f64_e64 v[32:33], v[54:55], -v[32:33]
	v_ldexp_f64 v[42:43], v[48:49], -2
	v_add_f64_e64 v[48:49], v[48:49], -v[52:53]
	s_delay_alu instid0(VALU_DEP_3) | instskip(NEXT) | instid1(VALU_DEP_3)
	v_add_f64_e32 v[32:33], v[34:35], v[32:33]
	v_add_f64_e64 v[34:35], v[44:45], -v[42:43]
	s_delay_alu instid0(VALU_DEP_3) | instskip(NEXT) | instid1(VALU_DEP_3)
	v_add_f64_e64 v[40:41], v[40:41], -v[48:49]
	v_add_f64_e32 v[50:51], v[46:47], v[32:33]
	s_delay_alu instid0(VALU_DEP_3) | instskip(NEXT) | instid1(VALU_DEP_3)
	v_add_f64_e64 v[44:45], v[44:45], -v[34:35]
	v_ldexp_f64 v[40:41], v[40:41], -2
	s_delay_alu instid0(VALU_DEP_3) | instskip(NEXT) | instid1(VALU_DEP_2)
	v_rcp_f64_e32 v[52:53], v[50:51]
	v_add_f64_e64 v[42:43], v[44:45], -v[42:43]
	s_delay_alu instid0(TRANS32_DEP_1) | instskip(NEXT) | instid1(VALU_DEP_2)
	v_fma_f64 v[44:45], -v[50:51], v[52:53], 1.0
	v_add_f64_e32 v[38:39], v[38:39], v[42:43]
	s_delay_alu instid0(VALU_DEP_2) | instskip(NEXT) | instid1(VALU_DEP_2)
	v_fmac_f64_e32 v[52:53], v[44:45], v[52:53]
	v_add_f64_e64 v[38:39], v[38:39], -v[40:41]
	s_delay_alu instid0(VALU_DEP_2) | instskip(NEXT) | instid1(VALU_DEP_2)
	v_fma_f64 v[40:41], -v[50:51], v[52:53], 1.0
	v_add_f64_e32 v[34:35], v[34:35], v[38:39]
	s_delay_alu instid0(VALU_DEP_2) | instskip(NEXT) | instid1(VALU_DEP_2)
	v_fmac_f64_e32 v[52:53], v[40:41], v[52:53]
	v_cndmask_b32_e32 v4, 0x7ff00000, v35, vcc_lo
	s_delay_alu instid0(VALU_DEP_3) | instskip(SKIP_3) | instid1(VALU_DEP_3)
	v_cndmask_b32_e32 v21, 0, v34, vcc_lo
	v_cmp_gt_f64_e64 vcc_lo, 0x3e400000, |v[2:3]|
	v_add_f64_e64 v[34:35], v[50:51], -v[46:47]
	v_mul_f64_e32 v[38:39], v[50:51], v[52:53]
	v_dual_cndmask_b32 v4, v4, v37, vcc_lo :: v_dual_cndmask_b32 v2, v21, v2, vcc_lo
	s_delay_alu instid0(VALU_DEP_3) | instskip(NEXT) | instid1(VALU_DEP_2)
	v_add_f64_e64 v[32:33], v[32:33], -v[34:35]
	v_bfi_b32 v3, 0x7fffffff, v4, v3
	s_delay_alu instid0(VALU_DEP_4) | instskip(NEXT) | instid1(VALU_DEP_2)
	v_fma_f64 v[34:35], v[52:53], v[50:51], -v[38:39]
	v_fma_f64 v[40:41], v[2:3], v[2:3], 1.0
	s_delay_alu instid0(VALU_DEP_2) | instskip(NEXT) | instid1(VALU_DEP_2)
	v_fmac_f64_e32 v[34:35], v[52:53], v[32:33]
	v_cmp_gt_f64_e32 vcc_lo, 0x10000000, v[40:41]
	v_cndmask_b32_e64 v4, 0, 0x100, vcc_lo
	s_delay_alu instid0(VALU_DEP_1) | instskip(NEXT) | instid1(VALU_DEP_4)
	v_ldexp_f64 v[32:33], v[40:41], v4
	v_dual_add_f64 v[40:41], v[38:39], v[34:35] :: v_dual_bitop2_b32 v4, 1, v36 bitop3:0x40
	s_delay_alu instid0(VALU_DEP_1) | instskip(NEXT) | instid1(VALU_DEP_3)
	v_cmp_eq_u32_e64 s0, 0, v4
	v_rsq_f64_e32 v[42:43], v[32:33]
	s_delay_alu instid0(VALU_DEP_2) | instskip(SKIP_1) | instid1(VALU_DEP_2)
	v_add_f64_e64 v[44:45], -v[40:41], 1.0
	v_add_f64_e64 v[38:39], v[40:41], -v[38:39]
	v_add_f64_e64 v[48:49], -v[44:45], 1.0
	s_delay_alu instid0(VALU_DEP_2) | instskip(NEXT) | instid1(TRANS32_DEP_1)
	v_add_f64_e64 v[34:35], v[38:39], -v[34:35]
	v_mul_f64_e32 v[46:47], v[32:33], v[42:43]
	v_mul_f64_e32 v[42:43], 0.5, v[42:43]
	s_delay_alu instid0(VALU_DEP_4) | instskip(NEXT) | instid1(VALU_DEP_2)
	v_add_f64_e64 v[38:39], v[48:49], -v[40:41]
	v_fma_f64 v[54:55], -v[42:43], v[46:47], 0.5
	s_delay_alu instid0(VALU_DEP_2) | instskip(NEXT) | instid1(VALU_DEP_2)
	v_add_f64_e32 v[34:35], v[34:35], v[38:39]
	v_fmac_f64_e32 v[46:47], v[46:47], v[54:55]
	v_fmac_f64_e32 v[42:43], v[42:43], v[54:55]
	s_delay_alu instid0(VALU_DEP_3) | instskip(NEXT) | instid1(VALU_DEP_3)
	v_add_f64_e32 v[34:35], v[44:45], v[34:35]
	v_fma_f64 v[38:39], -v[46:47], v[46:47], v[32:33]
	s_delay_alu instid0(VALU_DEP_2) | instskip(NEXT) | instid1(VALU_DEP_2)
	v_mul_f64_e32 v[34:35], v[52:53], v[34:35]
	v_fmac_f64_e32 v[46:47], v[38:39], v[42:43]
	s_delay_alu instid0(VALU_DEP_2) | instskip(NEXT) | instid1(VALU_DEP_2)
	v_add_f64_e32 v[34:35], v[52:53], v[34:35]
	v_fma_f64 v[38:39], -v[46:47], v[46:47], v[32:33]
	s_delay_alu instid0(VALU_DEP_2) | instskip(NEXT) | instid1(VALU_DEP_3)
	v_xor_b32_e32 v21, 0x80000000, v35
	v_cndmask_b32_e64 v4, v34, v50, s0
	v_cndmask_b32_e64 v34, 0, 0xffffff80, vcc_lo
	v_cmp_class_f64_e64 vcc_lo, v[32:33], 0x260
	s_delay_alu instid0(VALU_DEP_4) | instskip(SKIP_1) | instid1(VALU_DEP_2)
	v_cndmask_b32_e64 v21, v21, v51, s0
	v_fmac_f64_e32 v[46:47], v[38:39], v[42:43]
	v_bitop3_b32 v5, v21, v5, 0x80000000 bitop3:0x78
	s_delay_alu instid0(VALU_DEP_1) | instskip(NEXT) | instid1(VALU_DEP_3)
	v_fma_f64 v[36:37], v[4:5], v[4:5], 1.0
	v_ldexp_f64 v[34:35], v[46:47], v34
	s_delay_alu instid0(VALU_DEP_1) | instskip(NEXT) | instid1(VALU_DEP_3)
	v_dual_cndmask_b32 v33, v35, v33 :: v_dual_cndmask_b32 v32, v34, v32
	v_mul_f64_e32 v[34:35], v[2:3], v[36:37]
	s_delay_alu instid0(VALU_DEP_2) | instskip(NEXT) | instid1(VALU_DEP_2)
	v_mul_f64_e32 v[32:33], v[32:33], v[36:37]
	v_fma_f64 v[34:35], v[2:3], v[34:35], 1.0
	s_delay_alu instid0(VALU_DEP_2) | instskip(NEXT) | instid1(VALU_DEP_2)
	v_mul_f64_e32 v[2:3], v[2:3], v[32:33]
	v_div_scale_f64 v[36:37], null, v[34:35], v[34:35], v[4:5]
	s_delay_alu instid0(VALU_DEP_2) | instskip(SKIP_1) | instid1(VALU_DEP_3)
	v_div_scale_f64 v[32:33], null, v[34:35], v[34:35], v[2:3]
	v_div_scale_f64 v[46:47], vcc_lo, v[2:3], v[34:35], v[2:3]
	v_rcp_f64_e32 v[40:41], v[36:37]
	s_delay_alu instid0(VALU_DEP_2) | instskip(NEXT) | instid1(TRANS32_DEP_2)
	v_rcp_f64_e32 v[38:39], v[32:33]
	v_fma_f64 v[44:45], -v[36:37], v[40:41], 1.0
	s_delay_alu instid0(TRANS32_DEP_1) | instskip(NEXT) | instid1(VALU_DEP_2)
	v_fma_f64 v[42:43], -v[32:33], v[38:39], 1.0
	v_fmac_f64_e32 v[40:41], v[40:41], v[44:45]
	s_delay_alu instid0(VALU_DEP_2) | instskip(NEXT) | instid1(VALU_DEP_2)
	v_fmac_f64_e32 v[38:39], v[38:39], v[42:43]
	v_fma_f64 v[44:45], -v[36:37], v[40:41], 1.0
	s_delay_alu instid0(VALU_DEP_2) | instskip(NEXT) | instid1(VALU_DEP_2)
	v_fma_f64 v[42:43], -v[32:33], v[38:39], 1.0
	v_fmac_f64_e32 v[40:41], v[40:41], v[44:45]
	s_delay_alu instid0(VALU_DEP_2) | instskip(SKIP_1) | instid1(VALU_DEP_2)
	v_fmac_f64_e32 v[38:39], v[38:39], v[42:43]
	v_div_scale_f64 v[42:43], s0, v[4:5], v[34:35], v[4:5]
	v_mul_f64_e32 v[44:45], v[46:47], v[38:39]
	s_delay_alu instid0(VALU_DEP_2) | instskip(NEXT) | instid1(VALU_DEP_2)
	v_mul_f64_e32 v[48:49], v[42:43], v[40:41]
	v_fma_f64 v[32:33], -v[32:33], v[44:45], v[46:47]
	s_delay_alu instid0(VALU_DEP_2) | instskip(NEXT) | instid1(VALU_DEP_2)
	v_fma_f64 v[36:37], -v[36:37], v[48:49], v[42:43]
	v_div_fmas_f64 v[32:33], v[32:33], v[38:39], v[44:45]
	s_mov_b32 vcc_lo, s0
	s_delay_alu instid0(VALU_DEP_2) | instskip(NEXT) | instid1(VALU_DEP_2)
	v_div_fmas_f64 v[36:37], v[36:37], v[40:41], v[48:49]
	v_div_fixup_f64 v[2:3], v[32:33], v[34:35], v[2:3]
	s_delay_alu instid0(VALU_DEP_2)
	v_div_fixup_f64 v[4:5], v[36:37], v[34:35], v[4:5]
.LBB161_302:                            ;   in Loop: Header=BB161_180 Depth=1
	s_and_not1_saveexec_b32 s0, s21
	s_cbranch_execz .LBB161_312
; %bb.303:                              ;   in Loop: Header=BB161_180 Depth=1
	s_delay_alu instid0(VALU_DEP_1) | instskip(SKIP_1) | instid1(SALU_CYCLE_1)
	v_cmp_ngt_f64_e64 s21, 0x41d00000, |v[4:5]|
                                        ; implicit-def: $vgpr40
                                        ; implicit-def: $vgpr32_vgpr33
                                        ; implicit-def: $vgpr34_vgpr35
	s_and_saveexec_b32 s22, s21
	s_xor_b32 s22, exec_lo, s22
	s_cbranch_execz .LBB161_305
; %bb.304:                              ;   in Loop: Header=BB161_180 Depth=1
	v_ldexp_f64 v[32:33], |v[4:5]|, 0xffffff80
	v_cmp_le_f64_e64 vcc_lo, 0x7b000000, |v[4:5]|
	v_trig_preop_f64 v[34:35], |v[4:5]|, 0
	v_and_b32_e32 v21, 0x7fffffff, v5
	v_trig_preop_f64 v[36:37], |v[4:5]|, 1
	v_trig_preop_f64 v[46:47], |v[4:5]|, 2
	s_delay_alu instid0(VALU_DEP_3) | instskip(NEXT) | instid1(VALU_DEP_1)
	v_dual_cndmask_b32 v33, v21, v33 :: v_dual_cndmask_b32 v32, v4, v32
	v_mul_f64_e32 v[38:39], v[34:35], v[32:33]
	s_delay_alu instid0(VALU_DEP_4) | instskip(NEXT) | instid1(VALU_DEP_4)
	v_mul_f64_e32 v[40:41], v[36:37], v[32:33]
	v_mul_f64_e32 v[52:53], v[46:47], v[32:33]
	s_delay_alu instid0(VALU_DEP_3) | instskip(NEXT) | instid1(VALU_DEP_3)
	v_fma_f64 v[34:35], v[34:35], v[32:33], -v[38:39]
	v_fma_f64 v[36:37], v[36:37], v[32:33], -v[40:41]
	s_delay_alu instid0(VALU_DEP_3) | instskip(NEXT) | instid1(VALU_DEP_3)
	v_fma_f64 v[32:33], v[46:47], v[32:33], -v[52:53]
	v_add_f64_e32 v[42:43], v[40:41], v[34:35]
	s_delay_alu instid0(VALU_DEP_1) | instskip(SKIP_1) | instid1(VALU_DEP_2)
	v_add_f64_e64 v[44:45], v[42:43], -v[40:41]
	v_add_f64_e32 v[50:51], v[38:39], v[42:43]
	v_add_f64_e64 v[48:49], v[42:43], -v[44:45]
	v_add_f64_e64 v[34:35], v[34:35], -v[44:45]
	s_delay_alu instid0(VALU_DEP_3) | instskip(NEXT) | instid1(VALU_DEP_3)
	v_ldexp_f64 v[44:45], v[50:51], -2
	v_add_f64_e64 v[40:41], v[40:41], -v[48:49]
	v_add_f64_e32 v[48:49], v[52:53], v[36:37]
	s_delay_alu instid0(VALU_DEP_3) | instskip(NEXT) | instid1(VALU_DEP_3)
	v_cmp_neq_f64_e64 vcc_lo, 0x7ff00000, |v[44:45]|
	v_add_f64_e32 v[34:35], v[34:35], v[40:41]
	v_fract_f64_e32 v[40:41], v[44:45]
	s_delay_alu instid0(VALU_DEP_1) | instskip(NEXT) | instid1(VALU_DEP_1)
	v_ldexp_f64 v[40:41], v[40:41], 2
	v_dual_add_f64 v[38:39], v[50:51], -v[38:39] :: v_dual_cndmask_b32 v40, 0, v40, vcc_lo
	s_delay_alu instid0(VALU_DEP_1) | instskip(SKIP_1) | instid1(VALU_DEP_1)
	v_dual_add_f64 v[38:39], v[42:43], -v[38:39] :: v_dual_cndmask_b32 v41, 0, v41, vcc_lo
	v_add_f64_e32 v[42:43], v[48:49], v[34:35]
	v_add_f64_e32 v[44:45], v[38:39], v[42:43]
	v_add_f64_e64 v[54:55], v[42:43], -v[48:49]
	s_delay_alu instid0(VALU_DEP_2) | instskip(NEXT) | instid1(VALU_DEP_2)
	v_add_f64_e32 v[50:51], v[44:45], v[40:41]
	v_add_f64_e64 v[60:61], v[42:43], -v[54:55]
	v_add_f64_e64 v[34:35], v[34:35], -v[54:55]
	;; [unrolled: 1-line block ×3, first 2 shown]
	s_delay_alu instid0(VALU_DEP_4) | instskip(SKIP_1) | instid1(VALU_DEP_3)
	v_cmp_gt_f64_e32 vcc_lo, 0, v[50:51]
	v_add_f64_e64 v[50:51], v[48:49], -v[52:53]
	v_add_f64_e64 v[38:39], v[42:43], -v[38:39]
	v_cndmask_b32_e64 v21, 0, 0x40100000, vcc_lo
	s_delay_alu instid0(VALU_DEP_3) | instskip(SKIP_2) | instid1(VALU_DEP_4)
	v_add_f64_e64 v[58:59], v[48:49], -v[50:51]
	v_add_f64_e64 v[36:37], v[36:37], -v[50:51]
	;; [unrolled: 1-line block ×3, first 2 shown]
	v_add_f64_e32 v[40:41], v[40:41], v[20:21]
	s_delay_alu instid0(VALU_DEP_4) | instskip(NEXT) | instid1(VALU_DEP_3)
	v_add_f64_e64 v[50:51], v[52:53], -v[58:59]
	v_add_f64_e32 v[34:35], v[34:35], v[48:49]
	s_delay_alu instid0(VALU_DEP_3) | instskip(NEXT) | instid1(VALU_DEP_3)
	v_add_f64_e32 v[56:57], v[44:45], v[40:41]
	v_add_f64_e32 v[36:37], v[36:37], v[50:51]
	s_delay_alu instid0(VALU_DEP_2) | instskip(NEXT) | instid1(VALU_DEP_2)
	v_cvt_i32_f64_e32 v21, v[56:57]
	v_add_f64_e32 v[34:35], v[36:37], v[34:35]
	s_delay_alu instid0(VALU_DEP_2) | instskip(NEXT) | instid1(VALU_DEP_2)
	v_cvt_f64_i32_e32 v[54:55], v21
	v_add_f64_e32 v[32:33], v[32:33], v[34:35]
	s_delay_alu instid0(VALU_DEP_2) | instskip(NEXT) | instid1(VALU_DEP_2)
	v_add_f64_e64 v[40:41], v[40:41], -v[54:55]
	v_add_f64_e32 v[32:33], v[38:39], v[32:33]
	s_delay_alu instid0(VALU_DEP_2) | instskip(NEXT) | instid1(VALU_DEP_1)
	v_add_f64_e32 v[36:37], v[44:45], v[40:41]
	v_add_f64_e64 v[34:35], v[36:37], -v[40:41]
	v_cmp_le_f64_e32 vcc_lo, 0.5, v[36:37]
	s_delay_alu instid0(VALU_DEP_2) | instskip(SKIP_2) | instid1(VALU_DEP_3)
	v_add_f64_e64 v[34:35], v[44:45], -v[34:35]
	v_add_co_ci_u32_e64 v40, null, 0, v21, vcc_lo
	v_cndmask_b32_e64 v21, 0, 0x3ff00000, vcc_lo
	v_add_f64_e32 v[32:33], v[32:33], v[34:35]
	s_delay_alu instid0(VALU_DEP_2) | instskip(NEXT) | instid1(VALU_DEP_1)
	v_add_f64_e64 v[34:35], v[36:37], -v[20:21]
	v_add_f64_e32 v[36:37], v[34:35], v[32:33]
	s_delay_alu instid0(VALU_DEP_1) | instskip(SKIP_1) | instid1(VALU_DEP_2)
	v_mul_f64_e32 v[38:39], 0x3ff921fb54442d18, v[36:37]
	v_add_f64_e64 v[34:35], v[36:37], -v[34:35]
	v_fma_f64 v[42:43], v[36:37], s[2:3], -v[38:39]
	s_delay_alu instid0(VALU_DEP_2) | instskip(NEXT) | instid1(VALU_DEP_2)
	v_add_f64_e64 v[32:33], v[32:33], -v[34:35]
	v_fmac_f64_e32 v[42:43], 0x3c91a62633145c07, v[36:37]
	s_delay_alu instid0(VALU_DEP_1) | instskip(NEXT) | instid1(VALU_DEP_1)
	v_fmac_f64_e32 v[42:43], 0x3ff921fb54442d18, v[32:33]
	v_add_f64_e32 v[32:33], v[38:39], v[42:43]
	s_delay_alu instid0(VALU_DEP_1) | instskip(NEXT) | instid1(VALU_DEP_1)
	v_add_f64_e64 v[34:35], v[32:33], -v[38:39]
	v_add_f64_e64 v[34:35], v[42:43], -v[34:35]
	s_and_not1_saveexec_b32 s22, s22
	s_cbranch_execz .LBB161_307
	s_branch .LBB161_306
.LBB161_305:                            ;   in Loop: Header=BB161_180 Depth=1
	s_and_not1_saveexec_b32 s22, s22
	s_cbranch_execz .LBB161_307
.LBB161_306:                            ;   in Loop: Header=BB161_180 Depth=1
	v_mul_f64_e64 v[32:33], |v[4:5]|, s[4:5]
	s_delay_alu instid0(VALU_DEP_1) | instskip(NEXT) | instid1(VALU_DEP_1)
	v_rndne_f64_e32 v[36:37], v[32:33]
	v_fma_f64 v[32:33], v[36:37], s[6:7], |v[4:5]|
	v_mul_f64_e32 v[34:35], 0xbc91a62633145c00, v[36:37]
	s_delay_alu instid0(VALU_DEP_2) | instskip(NEXT) | instid1(VALU_DEP_2)
	v_fmamk_f64 v[42:43], v[36:37], 0xbc91a62633145c00, v[32:33]
	v_add_f64_e32 v[38:39], v[32:33], v[34:35]
	s_delay_alu instid0(VALU_DEP_1) | instskip(NEXT) | instid1(VALU_DEP_3)
	v_add_f64_e64 v[40:41], v[32:33], -v[38:39]
	v_add_f64_e64 v[32:33], v[38:39], -v[42:43]
	s_delay_alu instid0(VALU_DEP_2) | instskip(SKIP_2) | instid1(VALU_DEP_3)
	v_add_f64_e32 v[38:39], v[40:41], v[34:35]
	v_fmamk_f64 v[34:35], v[36:37], 0x3c91a62633145c00, v[34:35]
	v_cvt_i32_f64_e32 v40, v[36:37]
	v_add_f64_e32 v[32:33], v[32:33], v[38:39]
	s_delay_alu instid0(VALU_DEP_1) | instskip(NEXT) | instid1(VALU_DEP_1)
	v_add_f64_e64 v[34:35], v[32:33], -v[34:35]
	v_fmac_f64_e32 v[34:35], 0xb97b839a252049c0, v[36:37]
	s_delay_alu instid0(VALU_DEP_1) | instskip(NEXT) | instid1(VALU_DEP_1)
	v_add_f64_e32 v[32:33], v[42:43], v[34:35]
	v_add_f64_e64 v[38:39], v[32:33], -v[42:43]
	s_delay_alu instid0(VALU_DEP_1)
	v_add_f64_e64 v[34:35], v[34:35], -v[38:39]
.LBB161_307:                            ;   in Loop: Header=BB161_180 Depth=1
	s_or_b32 exec_lo, exec_lo, s22
                                        ; implicit-def: $vgpr41
                                        ; implicit-def: $vgpr36_vgpr37
                                        ; implicit-def: $vgpr38_vgpr39
	s_and_saveexec_b32 s22, s21
	s_delay_alu instid0(SALU_CYCLE_1)
	s_xor_b32 s21, exec_lo, s22
	s_cbranch_execz .LBB161_309
; %bb.308:                              ;   in Loop: Header=BB161_180 Depth=1
	v_ldexp_f64 v[36:37], |v[4:5]|, 0xffffff80
	v_cmp_le_f64_e64 vcc_lo, 0x7b000000, |v[4:5]|
	v_trig_preop_f64 v[38:39], |v[4:5]|, 0
	v_and_b32_e32 v21, 0x7fffffff, v5
	v_trig_preop_f64 v[42:43], |v[4:5]|, 1
	v_trig_preop_f64 v[52:53], |v[4:5]|, 2
	s_delay_alu instid0(VALU_DEP_3) | instskip(NEXT) | instid1(VALU_DEP_1)
	v_dual_cndmask_b32 v37, v21, v37 :: v_dual_cndmask_b32 v36, v4, v36
	v_mul_f64_e32 v[44:45], v[38:39], v[36:37]
	s_delay_alu instid0(VALU_DEP_4) | instskip(NEXT) | instid1(VALU_DEP_4)
	v_mul_f64_e32 v[46:47], v[42:43], v[36:37]
	v_mul_f64_e32 v[58:59], v[52:53], v[36:37]
	s_delay_alu instid0(VALU_DEP_3) | instskip(NEXT) | instid1(VALU_DEP_3)
	v_fma_f64 v[38:39], v[38:39], v[36:37], -v[44:45]
	v_fma_f64 v[42:43], v[42:43], v[36:37], -v[46:47]
	s_delay_alu instid0(VALU_DEP_3) | instskip(NEXT) | instid1(VALU_DEP_3)
	v_fma_f64 v[36:37], v[52:53], v[36:37], -v[58:59]
	v_add_f64_e32 v[48:49], v[46:47], v[38:39]
	s_delay_alu instid0(VALU_DEP_1) | instskip(SKIP_1) | instid1(VALU_DEP_2)
	v_add_f64_e64 v[50:51], v[48:49], -v[46:47]
	v_add_f64_e32 v[56:57], v[44:45], v[48:49]
	v_add_f64_e64 v[54:55], v[48:49], -v[50:51]
	v_add_f64_e64 v[38:39], v[38:39], -v[50:51]
	s_delay_alu instid0(VALU_DEP_3) | instskip(NEXT) | instid1(VALU_DEP_3)
	v_ldexp_f64 v[50:51], v[56:57], -2
	v_add_f64_e64 v[46:47], v[46:47], -v[54:55]
	v_add_f64_e32 v[54:55], v[58:59], v[42:43]
	s_delay_alu instid0(VALU_DEP_3) | instskip(NEXT) | instid1(VALU_DEP_3)
	v_cmp_neq_f64_e64 vcc_lo, 0x7ff00000, |v[50:51]|
	v_add_f64_e32 v[38:39], v[38:39], v[46:47]
	v_fract_f64_e32 v[46:47], v[50:51]
	s_delay_alu instid0(VALU_DEP_1) | instskip(NEXT) | instid1(VALU_DEP_1)
	v_ldexp_f64 v[46:47], v[46:47], 2
	v_dual_add_f64 v[44:45], v[56:57], -v[44:45] :: v_dual_cndmask_b32 v47, 0, v47, vcc_lo
	s_delay_alu instid0(VALU_DEP_1) | instskip(SKIP_1) | instid1(VALU_DEP_1)
	v_dual_add_f64 v[44:45], v[48:49], -v[44:45] :: v_dual_cndmask_b32 v46, 0, v46, vcc_lo
	v_add_f64_e32 v[48:49], v[54:55], v[38:39]
	v_add_f64_e32 v[50:51], v[44:45], v[48:49]
	v_add_f64_e64 v[60:61], v[48:49], -v[54:55]
	s_delay_alu instid0(VALU_DEP_2) | instskip(NEXT) | instid1(VALU_DEP_2)
	v_add_f64_e32 v[56:57], v[50:51], v[46:47]
	v_add_f64_e64 v[66:67], v[48:49], -v[60:61]
	v_add_f64_e64 v[38:39], v[38:39], -v[60:61]
	;; [unrolled: 1-line block ×3, first 2 shown]
	s_delay_alu instid0(VALU_DEP_4) | instskip(SKIP_1) | instid1(VALU_DEP_3)
	v_cmp_gt_f64_e32 vcc_lo, 0, v[56:57]
	v_add_f64_e64 v[56:57], v[54:55], -v[58:59]
	v_add_f64_e64 v[44:45], v[48:49], -v[44:45]
	v_cndmask_b32_e64 v21, 0, 0x40100000, vcc_lo
	s_delay_alu instid0(VALU_DEP_3) | instskip(SKIP_2) | instid1(VALU_DEP_4)
	v_add_f64_e64 v[64:65], v[54:55], -v[56:57]
	v_add_f64_e64 v[42:43], v[42:43], -v[56:57]
	;; [unrolled: 1-line block ×3, first 2 shown]
	v_add_f64_e32 v[46:47], v[46:47], v[20:21]
	s_delay_alu instid0(VALU_DEP_4) | instskip(NEXT) | instid1(VALU_DEP_3)
	v_add_f64_e64 v[56:57], v[58:59], -v[64:65]
	v_add_f64_e32 v[38:39], v[38:39], v[54:55]
	s_delay_alu instid0(VALU_DEP_3) | instskip(NEXT) | instid1(VALU_DEP_3)
	v_add_f64_e32 v[62:63], v[50:51], v[46:47]
	v_add_f64_e32 v[42:43], v[42:43], v[56:57]
	s_delay_alu instid0(VALU_DEP_2) | instskip(NEXT) | instid1(VALU_DEP_2)
	v_cvt_i32_f64_e32 v21, v[62:63]
	v_add_f64_e32 v[38:39], v[42:43], v[38:39]
	s_delay_alu instid0(VALU_DEP_2) | instskip(NEXT) | instid1(VALU_DEP_2)
	v_cvt_f64_i32_e32 v[60:61], v21
	v_add_f64_e32 v[36:37], v[36:37], v[38:39]
	s_delay_alu instid0(VALU_DEP_2) | instskip(NEXT) | instid1(VALU_DEP_2)
	v_add_f64_e64 v[46:47], v[46:47], -v[60:61]
	v_add_f64_e32 v[36:37], v[44:45], v[36:37]
	s_delay_alu instid0(VALU_DEP_2) | instskip(NEXT) | instid1(VALU_DEP_1)
	v_add_f64_e32 v[42:43], v[50:51], v[46:47]
	v_add_f64_e64 v[38:39], v[42:43], -v[46:47]
	v_cmp_le_f64_e32 vcc_lo, 0.5, v[42:43]
	s_delay_alu instid0(VALU_DEP_2) | instskip(SKIP_2) | instid1(VALU_DEP_3)
	v_add_f64_e64 v[38:39], v[50:51], -v[38:39]
	v_add_co_ci_u32_e64 v41, null, 0, v21, vcc_lo
	v_cndmask_b32_e64 v21, 0, 0x3ff00000, vcc_lo
	v_add_f64_e32 v[36:37], v[36:37], v[38:39]
	s_delay_alu instid0(VALU_DEP_2) | instskip(NEXT) | instid1(VALU_DEP_1)
	v_add_f64_e64 v[38:39], v[42:43], -v[20:21]
	v_add_f64_e32 v[42:43], v[38:39], v[36:37]
	s_delay_alu instid0(VALU_DEP_1) | instskip(SKIP_1) | instid1(VALU_DEP_2)
	v_mul_f64_e32 v[44:45], 0x3ff921fb54442d18, v[42:43]
	v_add_f64_e64 v[38:39], v[42:43], -v[38:39]
	v_fma_f64 v[46:47], v[42:43], s[2:3], -v[44:45]
	s_delay_alu instid0(VALU_DEP_2) | instskip(NEXT) | instid1(VALU_DEP_2)
	v_add_f64_e64 v[36:37], v[36:37], -v[38:39]
	v_fmac_f64_e32 v[46:47], 0x3c91a62633145c07, v[42:43]
	s_delay_alu instid0(VALU_DEP_1) | instskip(NEXT) | instid1(VALU_DEP_1)
	v_fmac_f64_e32 v[46:47], 0x3ff921fb54442d18, v[36:37]
	v_add_f64_e32 v[36:37], v[44:45], v[46:47]
	s_delay_alu instid0(VALU_DEP_1) | instskip(NEXT) | instid1(VALU_DEP_1)
	v_add_f64_e64 v[38:39], v[36:37], -v[44:45]
	v_add_f64_e64 v[38:39], v[46:47], -v[38:39]
	s_and_not1_saveexec_b32 s21, s21
	s_cbranch_execnz .LBB161_310
	s_branch .LBB161_311
.LBB161_309:                            ;   in Loop: Header=BB161_180 Depth=1
	s_and_not1_saveexec_b32 s21, s21
	s_cbranch_execz .LBB161_311
.LBB161_310:                            ;   in Loop: Header=BB161_180 Depth=1
	v_mul_f64_e64 v[36:37], |v[4:5]|, s[4:5]
	s_delay_alu instid0(VALU_DEP_1) | instskip(NEXT) | instid1(VALU_DEP_1)
	v_rndne_f64_e32 v[42:43], v[36:37]
	v_fma_f64 v[36:37], v[42:43], s[6:7], |v[4:5]|
	v_mul_f64_e32 v[38:39], 0xbc91a62633145c00, v[42:43]
	v_cvt_i32_f64_e32 v41, v[42:43]
	s_delay_alu instid0(VALU_DEP_3) | instskip(NEXT) | instid1(VALU_DEP_3)
	v_fmamk_f64 v[48:49], v[42:43], 0xbc91a62633145c00, v[36:37]
	v_add_f64_e32 v[44:45], v[36:37], v[38:39]
	s_delay_alu instid0(VALU_DEP_1) | instskip(NEXT) | instid1(VALU_DEP_3)
	v_add_f64_e64 v[46:47], v[36:37], -v[44:45]
	v_add_f64_e64 v[36:37], v[44:45], -v[48:49]
	s_delay_alu instid0(VALU_DEP_2) | instskip(SKIP_1) | instid1(VALU_DEP_2)
	v_add_f64_e32 v[44:45], v[46:47], v[38:39]
	v_fmamk_f64 v[38:39], v[42:43], 0x3c91a62633145c00, v[38:39]
	v_add_f64_e32 v[36:37], v[36:37], v[44:45]
	s_delay_alu instid0(VALU_DEP_1) | instskip(NEXT) | instid1(VALU_DEP_1)
	v_add_f64_e64 v[38:39], v[36:37], -v[38:39]
	v_fmac_f64_e32 v[38:39], 0xb97b839a252049c0, v[42:43]
	s_delay_alu instid0(VALU_DEP_1) | instskip(NEXT) | instid1(VALU_DEP_1)
	v_add_f64_e32 v[36:37], v[48:49], v[38:39]
	v_add_f64_e64 v[44:45], v[36:37], -v[48:49]
	s_delay_alu instid0(VALU_DEP_1)
	v_add_f64_e64 v[38:39], v[38:39], -v[44:45]
.LBB161_311:                            ;   in Loop: Header=BB161_180 Depth=1
	s_or_b32 exec_lo, exec_lo, s21
	v_mul_f64_e32 v[42:43], v[32:33], v[32:33]
	s_delay_alu instid0(VALU_DEP_2) | instskip(SKIP_3) | instid1(VALU_DEP_4)
	v_dual_mul_f64 v[54:55], 0.5, v[34:35] :: v_dual_lshlrev_b32 v21, 30, v40
	v_mul_f64_e32 v[44:45], v[36:37], v[36:37]
	v_mul_f64_e64 v[48:49], |v[2:3]|, s[14:15]
	v_and_b32_e32 v4, 1, v40
	v_xor_b32_e32 v5, v21, v5
	s_delay_alu instid0(VALU_DEP_2)
	v_cmp_eq_u32_e32 vcc_lo, 0, v4
	v_mul_f64_e32 v[46:47], 0.5, v[42:43]
	v_mul_f64_e64 v[56:57], v[32:33], -v[42:43]
	v_fmamk_f64 v[62:63], v[42:43], 0x3de5e0b2f9a43bb8, v[28:29]
	v_mul_f64_e64 v[68:69], v[36:37], -v[44:45]
	v_fmamk_f64 v[70:71], v[44:45], 0x3de5e0b2f9a43bb8, v[28:29]
	v_rndne_f64_e32 v[48:49], v[48:49]
	s_delay_alu instid0(VALU_DEP_4) | instskip(NEXT) | instid1(VALU_DEP_1)
	v_fmaak_f64 v[62:63], v[42:43], v[62:63], 0x3ec71de3796cde01
	v_fmaak_f64 v[62:63], v[42:43], v[62:63], 0xbf2a01a019e83e5c
	s_delay_alu instid0(VALU_DEP_1) | instskip(SKIP_1) | instid1(VALU_DEP_2)
	v_fmaak_f64 v[62:63], v[42:43], v[62:63], 0x3f81111111110bb3
	v_add_f64_e64 v[52:53], -v[46:47], 1.0
	v_fmac_f64_e32 v[54:55], v[56:57], v[62:63]
	v_fma_f64 v[64:65], v[48:49], s[8:9], -|v[2:3]|
	v_cvt_i32_f64_e32 v21, v[48:49]
	s_delay_alu instid0(VALU_DEP_4) | instskip(NEXT) | instid1(VALU_DEP_4)
	v_add_f64_e64 v[60:61], -v[52:53], 1.0
	v_fma_f64 v[54:55], v[42:43], v[54:55], -v[34:35]
	s_delay_alu instid0(VALU_DEP_4) | instskip(NEXT) | instid1(VALU_DEP_3)
	v_fmac_f64_e32 v[64:65], 0xbc7abc9e3b39803f, v[48:49]
	v_add_f64_e64 v[46:47], v[60:61], -v[46:47]
	s_delay_alu instid0(VALU_DEP_3) | instskip(SKIP_2) | instid1(VALU_DEP_2)
	v_fmac_f64_e32 v[54:55], 0xbfc5555555555555, v[56:57]
	v_fmaak_f64 v[60:61], v[44:45], v[70:71], 0x3ec71de3796cde01
	v_fmamk_f64 v[70:71], v[42:43], 0xbda907db46cc5e42, v[26:27]
	v_fmaak_f64 v[60:61], v[44:45], v[60:61], 0xbf2a01a019e83e5c
	s_delay_alu instid0(VALU_DEP_1)
	v_fmaak_f64 v[60:61], v[44:45], v[60:61], 0x3f81111111110bb3
	v_fma_f64 v[34:35], v[32:33], -v[34:35], v[46:47]
	v_add_f64_e64 v[32:33], v[32:33], -v[54:55]
	v_mul_f64_e32 v[66:67], 0.5, v[38:39]
	v_fmaak_f64 v[46:47], v[42:43], v[70:71], 0xbe927e4fa17f65f6
	v_mul_f64_e32 v[70:71], v[44:45], v[44:45]
	s_delay_alu instid0(VALU_DEP_2) | instskip(NEXT) | instid1(VALU_DEP_1)
	v_fmaak_f64 v[46:47], v[42:43], v[46:47], 0x3efa01a019f4ec90
	v_fmaak_f64 v[46:47], v[42:43], v[46:47], 0xbf56c16c16c16967
	v_fmac_f64_e32 v[66:67], v[68:69], v[60:61]
	v_mul_f64_e32 v[60:61], v[42:43], v[42:43]
	s_delay_alu instid0(VALU_DEP_3) | instskip(NEXT) | instid1(VALU_DEP_1)
	v_fmaak_f64 v[42:43], v[42:43], v[46:47], 0x3fa5555555555555
	v_fmac_f64_e32 v[34:35], v[60:61], v[42:43]
	s_delay_alu instid0(VALU_DEP_1) | instskip(NEXT) | instid1(VALU_DEP_1)
	v_add_f64_e32 v[34:35], v[52:53], v[34:35]
	v_dual_cndmask_b32 v4, v34, v32, vcc_lo :: v_dual_cndmask_b32 v34, v35, v33, vcc_lo
	s_delay_alu instid0(VALU_DEP_1) | instskip(SKIP_1) | instid1(VALU_DEP_2)
	v_bitop3_b32 v5, v34, v5, 0x80000000 bitop3:0x78
	v_and_b32_e32 v34, 1, v41
	v_mul_f64_e32 v[4:5], 4.0, v[4:5]
	s_delay_alu instid0(VALU_DEP_2) | instskip(SKIP_1) | instid1(VALU_DEP_1)
	v_cmp_eq_u32_e32 vcc_lo, 0, v34
	v_mul_f64_e32 v[50:51], 0.5, v[44:45]
	v_add_f64_e64 v[58:59], -v[50:51], 1.0
	s_delay_alu instid0(VALU_DEP_1) | instskip(NEXT) | instid1(VALU_DEP_1)
	v_add_f64_e64 v[62:63], -v[58:59], 1.0
	v_add_f64_e64 v[50:51], v[62:63], -v[50:51]
	v_fmamk_f64 v[62:63], v[64:65], 0x3e5ade156a5dcb37, v[24:25]
	s_delay_alu instid0(VALU_DEP_1) | instskip(NEXT) | instid1(VALU_DEP_1)
	v_fmaak_f64 v[62:63], v[64:65], v[62:63], 0x3ec71dee623fde64
	v_fmaak_f64 v[62:63], v[64:65], v[62:63], 0x3efa01997c89e6b0
	s_delay_alu instid0(VALU_DEP_1) | instskip(SKIP_2) | instid1(VALU_DEP_3)
	v_fmaak_f64 v[46:47], v[64:65], v[62:63], 0x3f2a01a014761f6e
	v_fma_f64 v[62:63], v[44:45], v[66:67], -v[38:39]
	v_fmamk_f64 v[66:67], v[44:45], 0xbda907db46cc5e42, v[26:27]
	v_fmaak_f64 v[42:43], v[64:65], v[46:47], 0x3f56c16c1852b7b0
	s_delay_alu instid0(VALU_DEP_2) | instskip(SKIP_1) | instid1(VALU_DEP_3)
	v_fmaak_f64 v[46:47], v[44:45], v[66:67], 0xbe927e4fa17f65f6
	v_fma_f64 v[38:39], v[36:37], -v[38:39], v[50:51]
	v_fmaak_f64 v[42:43], v[64:65], v[42:43], 0x3f81111111122322
	s_delay_alu instid0(VALU_DEP_3) | instskip(NEXT) | instid1(VALU_DEP_2)
	v_fmaak_f64 v[46:47], v[44:45], v[46:47], 0x3efa01a019f4ec90
	v_fmaak_f64 v[42:43], v[64:65], v[42:43], 0x3fa55555555502a1
	s_delay_alu instid0(VALU_DEP_2) | instskip(NEXT) | instid1(VALU_DEP_2)
	v_fmaak_f64 v[46:47], v[44:45], v[46:47], 0xbf56c16c16c16967
	v_fmaak_f64 v[42:43], v[64:65], v[42:43], 0x3fc5555555555511
	s_delay_alu instid0(VALU_DEP_2) | instskip(SKIP_1) | instid1(VALU_DEP_3)
	v_fmaak_f64 v[44:45], v[44:45], v[46:47], 0x3fa5555555555555
	v_fmac_f64_e32 v[62:63], 0xbfc5555555555555, v[68:69]
	v_fmaak_f64 v[42:43], v[64:65], v[42:43], 0x3fe000000000000b
	s_delay_alu instid0(VALU_DEP_1) | instskip(NEXT) | instid1(VALU_DEP_4)
	v_fma_f64 v[42:43], v[64:65], v[42:43], 1.0
	v_fmac_f64_e32 v[38:39], v[70:71], v[44:45]
	s_delay_alu instid0(VALU_DEP_4) | instskip(NEXT) | instid1(VALU_DEP_3)
	v_add_f64_e64 v[36:37], v[36:37], -v[62:63]
	v_fma_f64 v[32:33], v[64:65], v[42:43], 1.0
	s_delay_alu instid0(VALU_DEP_3) | instskip(NEXT) | instid1(VALU_DEP_3)
	v_add_f64_e32 v[38:39], v[58:59], v[38:39]
	v_xor_b32_e32 v35, 0x80000000, v37
	s_delay_alu instid0(VALU_DEP_3) | instskip(NEXT) | instid1(VALU_DEP_2)
	v_ldexp_f64 v[32:33], v[32:33], v21
	v_dual_cndmask_b32 v34, v36, v38 :: v_dual_cndmask_b32 v35, v35, v39
	v_lshlrev_b32_e32 v36, 30, v41
	v_cmp_nlt_f64_e64 vcc_lo, 0x4090cc00, |v[2:3]|
	v_bfi_b32 v21, 0x7fffffff, s18, v3
	s_delay_alu instid0(VALU_DEP_3) | instskip(NEXT) | instid1(VALU_DEP_2)
	v_bitop3_b32 v35, v35, v36, 0x80000000 bitop3:0x78
	v_mov_b64_e32 v[2:3], v[20:21]
	s_delay_alu instid0(VALU_DEP_2) | instskip(SKIP_1) | instid1(VALU_DEP_1)
	v_dual_mul_f64 v[4:5], v[4:5], v[34:35] :: v_dual_cndmask_b32 v33, 0, v33, vcc_lo
	v_cndmask_b32_e32 v32, 0, v32, vcc_lo
	v_mul_f64_e32 v[4:5], v[32:33], v[4:5]
	s_delay_alu instid0(VALU_DEP_1)
	v_mul_f64_e32 v[4:5], v[32:33], v[4:5]
.LBB161_312:                            ;   in Loop: Header=BB161_180 Depth=1
	s_or_b32 exec_lo, exec_lo, s0
.LBB161_313:                            ;   in Loop: Header=BB161_180 Depth=1
	s_and_not1_saveexec_b32 s0, s20
	s_cbranch_execz .LBB161_315
; %bb.314:                              ;   in Loop: Header=BB161_180 Depth=1
	s_delay_alu instid0(VALU_DEP_1) | instskip(NEXT) | instid1(VALU_DEP_1)
	v_add_f64_e64 v[4:5], v[4:5], -v[4:5]
	v_mov_b64_e32 v[2:3], v[4:5]
.LBB161_315:                            ;   in Loop: Header=BB161_180 Depth=1
	s_or_b32 exec_lo, exec_lo, s0
.LBB161_316:                            ;   in Loop: Header=BB161_180 Depth=1
	s_and_not1_saveexec_b32 s20, s1
	s_cbranch_execz .LBB161_179
; %bb.317:                              ;   in Loop: Header=BB161_180 Depth=1
	s_delay_alu instid0(VALU_DEP_1) | instskip(SKIP_1) | instid1(VALU_DEP_1)
	v_and_or_b32 v21, 0xfffff, v3, v2
	s_mov_b32 s0, exec_lo
	v_cmpx_ne_u32_e32 0, v21
	s_xor_b32 s0, exec_lo, s0
	s_cbranch_execz .LBB161_319
; %bb.318:                              ;   in Loop: Header=BB161_180 Depth=1
	s_delay_alu instid0(VALU_DEP_3) | instskip(SKIP_1) | instid1(VALU_DEP_2)
	v_mul_f64_e32 v[32:33], v[2:3], v[4:5]
	v_cmp_eq_f64_e32 vcc_lo, 0, v[4:5]
	v_dual_cndmask_b32 v5, v33, v5 :: v_dual_cndmask_b32 v4, v32, v4
.LBB161_319:                            ;   in Loop: Header=BB161_180 Depth=1
	s_and_not1_saveexec_b32 s21, s0
	s_cbranch_execz .LBB161_178
; %bb.320:                              ;   in Loop: Header=BB161_180 Depth=1
	s_mov_b32 s22, exec_lo
	s_delay_alu instid0(VALU_DEP_1)
	v_cmpx_neq_f64_e64 0x7ff00000, |v[4:5]|
	s_cbranch_execz .LBB161_177
; %bb.321:                              ;   in Loop: Header=BB161_180 Depth=1
	v_cmp_ngt_f64_e64 s0, 0x41d00000, |v[4:5]|
	v_trig_preop_f64 v[40:41], |v[4:5]|, 0
	v_trig_preop_f64 v[38:39], |v[4:5]|, 1
	v_ldexp_f64 v[42:43], |v[4:5]|, 0xffffff80
	v_trig_preop_f64 v[36:37], |v[4:5]|, 2
	v_and_b32_e32 v51, 0x7fffffff, v5
                                        ; implicit-def: $vgpr50
                                        ; implicit-def: $vgpr32_vgpr33
                                        ; implicit-def: $vgpr34_vgpr35
	s_and_saveexec_b32 s1, s0
	s_delay_alu instid0(SALU_CYCLE_1)
	s_xor_b32 s1, exec_lo, s1
	s_cbranch_execz .LBB161_323
; %bb.322:                              ;   in Loop: Header=BB161_180 Depth=1
	v_cmp_le_f64_e64 vcc_lo, 0x7b000000, |v[4:5]|
	s_delay_alu instid0(VALU_DEP_4) | instskip(NEXT) | instid1(VALU_DEP_1)
	v_dual_cndmask_b32 v33, v51, v43 :: v_dual_cndmask_b32 v32, v4, v42
	v_mul_f64_e32 v[34:35], v[40:41], v[32:33]
	v_mul_f64_e32 v[44:45], v[38:39], v[32:33]
	v_mul_f64_e32 v[58:59], v[36:37], v[32:33]
	s_delay_alu instid0(VALU_DEP_3) | instskip(NEXT) | instid1(VALU_DEP_3)
	v_fma_f64 v[46:47], v[40:41], v[32:33], -v[34:35]
	v_fma_f64 v[60:61], v[38:39], v[32:33], -v[44:45]
	s_delay_alu instid0(VALU_DEP_3) | instskip(NEXT) | instid1(VALU_DEP_3)
	v_fma_f64 v[32:33], v[36:37], v[32:33], -v[58:59]
	v_add_f64_e32 v[48:49], v[44:45], v[46:47]
	s_delay_alu instid0(VALU_DEP_1) | instskip(SKIP_1) | instid1(VALU_DEP_2)
	v_add_f64_e64 v[52:53], v[48:49], -v[44:45]
	v_add_f64_e32 v[56:57], v[34:35], v[48:49]
	v_add_f64_e64 v[54:55], v[48:49], -v[52:53]
	v_add_f64_e64 v[46:47], v[46:47], -v[52:53]
	s_delay_alu instid0(VALU_DEP_3) | instskip(NEXT) | instid1(VALU_DEP_3)
	v_ldexp_f64 v[52:53], v[56:57], -2
	v_add_f64_e64 v[44:45], v[44:45], -v[54:55]
	v_add_f64_e32 v[54:55], v[58:59], v[60:61]
	s_delay_alu instid0(VALU_DEP_3) | instskip(NEXT) | instid1(VALU_DEP_3)
	v_cmp_neq_f64_e64 vcc_lo, 0x7ff00000, |v[52:53]|
	v_add_f64_e32 v[44:45], v[46:47], v[44:45]
	v_fract_f64_e32 v[46:47], v[52:53]
	s_delay_alu instid0(VALU_DEP_1) | instskip(NEXT) | instid1(VALU_DEP_1)
	v_ldexp_f64 v[46:47], v[46:47], 2
	v_cndmask_b32_e32 v47, 0, v47, vcc_lo
	v_add_f64_e64 v[34:35], v[56:57], -v[34:35]
	s_delay_alu instid0(VALU_DEP_3) | instskip(NEXT) | instid1(VALU_DEP_2)
	v_cndmask_b32_e32 v46, 0, v46, vcc_lo
	v_add_f64_e64 v[34:35], v[48:49], -v[34:35]
	v_add_f64_e32 v[48:49], v[54:55], v[44:45]
	s_delay_alu instid0(VALU_DEP_1) | instskip(SKIP_1) | instid1(VALU_DEP_2)
	v_add_f64_e32 v[52:53], v[34:35], v[48:49]
	v_add_f64_e64 v[62:63], v[48:49], -v[54:55]
	v_add_f64_e32 v[56:57], v[52:53], v[46:47]
	s_delay_alu instid0(VALU_DEP_2) | instskip(SKIP_2) | instid1(VALU_DEP_4)
	v_add_f64_e64 v[68:69], v[48:49], -v[62:63]
	v_add_f64_e64 v[44:45], v[44:45], -v[62:63]
	;; [unrolled: 1-line block ×3, first 2 shown]
	v_cmp_gt_f64_e32 vcc_lo, 0, v[56:57]
	v_add_f64_e64 v[56:57], v[54:55], -v[58:59]
	s_delay_alu instid0(VALU_DEP_3) | instskip(SKIP_1) | instid1(VALU_DEP_3)
	v_add_f64_e64 v[34:35], v[48:49], -v[34:35]
	v_cndmask_b32_e64 v21, 0, 0x40100000, vcc_lo
	v_add_f64_e64 v[66:67], v[54:55], -v[56:57]
	v_add_f64_e64 v[56:57], v[60:61], -v[56:57]
	;; [unrolled: 1-line block ×3, first 2 shown]
	s_delay_alu instid0(VALU_DEP_4) | instskip(NEXT) | instid1(VALU_DEP_4)
	v_add_f64_e32 v[46:47], v[46:47], v[20:21]
	v_add_f64_e64 v[60:61], v[58:59], -v[66:67]
	s_delay_alu instid0(VALU_DEP_3) | instskip(NEXT) | instid1(VALU_DEP_3)
	v_add_f64_e32 v[44:45], v[44:45], v[54:55]
	v_add_f64_e32 v[64:65], v[52:53], v[46:47]
	s_delay_alu instid0(VALU_DEP_3) | instskip(NEXT) | instid1(VALU_DEP_2)
	v_add_f64_e32 v[56:57], v[56:57], v[60:61]
	v_cvt_i32_f64_e32 v21, v[64:65]
	s_delay_alu instid0(VALU_DEP_2) | instskip(NEXT) | instid1(VALU_DEP_2)
	v_add_f64_e32 v[44:45], v[56:57], v[44:45]
	v_cvt_f64_i32_e32 v[62:63], v21
	s_delay_alu instid0(VALU_DEP_2) | instskip(NEXT) | instid1(VALU_DEP_2)
	v_add_f64_e32 v[32:33], v[32:33], v[44:45]
	v_add_f64_e64 v[46:47], v[46:47], -v[62:63]
	s_delay_alu instid0(VALU_DEP_2) | instskip(NEXT) | instid1(VALU_DEP_2)
	v_add_f64_e32 v[32:33], v[34:35], v[32:33]
	v_add_f64_e32 v[54:55], v[52:53], v[46:47]
	s_delay_alu instid0(VALU_DEP_1) | instskip(SKIP_1) | instid1(VALU_DEP_2)
	v_add_f64_e64 v[44:45], v[54:55], -v[46:47]
	v_cmp_le_f64_e32 vcc_lo, 0.5, v[54:55]
	v_add_f64_e64 v[34:35], v[52:53], -v[44:45]
	v_add_co_ci_u32_e64 v50, null, 0, v21, vcc_lo
	v_cndmask_b32_e64 v21, 0, 0x3ff00000, vcc_lo
	s_delay_alu instid0(VALU_DEP_3) | instskip(NEXT) | instid1(VALU_DEP_2)
	v_add_f64_e32 v[32:33], v[32:33], v[34:35]
	v_add_f64_e64 v[34:35], v[54:55], -v[20:21]
	s_delay_alu instid0(VALU_DEP_1) | instskip(NEXT) | instid1(VALU_DEP_1)
	v_add_f64_e32 v[44:45], v[34:35], v[32:33]
	v_mul_f64_e32 v[46:47], 0x3ff921fb54442d18, v[44:45]
	v_add_f64_e64 v[34:35], v[44:45], -v[34:35]
	s_delay_alu instid0(VALU_DEP_2) | instskip(NEXT) | instid1(VALU_DEP_2)
	v_fma_f64 v[48:49], v[44:45], s[2:3], -v[46:47]
	v_add_f64_e64 v[32:33], v[32:33], -v[34:35]
	s_delay_alu instid0(VALU_DEP_2) | instskip(NEXT) | instid1(VALU_DEP_1)
	v_fmac_f64_e32 v[48:49], 0x3c91a62633145c07, v[44:45]
	v_fmac_f64_e32 v[48:49], 0x3ff921fb54442d18, v[32:33]
	s_delay_alu instid0(VALU_DEP_1) | instskip(NEXT) | instid1(VALU_DEP_1)
	v_add_f64_e32 v[32:33], v[46:47], v[48:49]
	v_add_f64_e64 v[34:35], v[32:33], -v[46:47]
	s_delay_alu instid0(VALU_DEP_1)
	v_add_f64_e64 v[34:35], v[48:49], -v[34:35]
.LBB161_323:                            ;   in Loop: Header=BB161_180 Depth=1
	s_or_saveexec_b32 s1, s1
	v_mul_f64_e64 v[44:45], |v[4:5]|, s[4:5]
	s_delay_alu instid0(VALU_DEP_1)
	v_rndne_f64_e32 v[48:49], v[44:45]
	s_xor_b32 exec_lo, exec_lo, s1
	s_cbranch_execz .LBB161_325
; %bb.324:                              ;   in Loop: Header=BB161_180 Depth=1
	s_delay_alu instid0(VALU_DEP_1) | instskip(SKIP_2) | instid1(VALU_DEP_3)
	v_fma_f64 v[32:33], v[48:49], s[6:7], |v[4:5]|
	v_mul_f64_e32 v[34:35], 0xbc91a62633145c00, v[48:49]
	v_cvt_i32_f64_e32 v50, v[48:49]
	v_fmamk_f64 v[52:53], v[48:49], 0xbc91a62633145c00, v[32:33]
	s_delay_alu instid0(VALU_DEP_3) | instskip(NEXT) | instid1(VALU_DEP_1)
	v_add_f64_e32 v[44:45], v[32:33], v[34:35]
	v_add_f64_e64 v[46:47], v[32:33], -v[44:45]
	s_delay_alu instid0(VALU_DEP_3) | instskip(NEXT) | instid1(VALU_DEP_2)
	v_add_f64_e64 v[32:33], v[44:45], -v[52:53]
	v_add_f64_e32 v[44:45], v[46:47], v[34:35]
	v_fmamk_f64 v[34:35], v[48:49], 0x3c91a62633145c00, v[34:35]
	s_delay_alu instid0(VALU_DEP_2) | instskip(NEXT) | instid1(VALU_DEP_1)
	v_add_f64_e32 v[32:33], v[32:33], v[44:45]
	v_add_f64_e64 v[34:35], v[32:33], -v[34:35]
	s_delay_alu instid0(VALU_DEP_1) | instskip(NEXT) | instid1(VALU_DEP_1)
	v_fmac_f64_e32 v[34:35], 0xb97b839a252049c0, v[48:49]
	v_add_f64_e32 v[32:33], v[52:53], v[34:35]
	s_delay_alu instid0(VALU_DEP_1) | instskip(NEXT) | instid1(VALU_DEP_1)
	v_add_f64_e64 v[44:45], v[32:33], -v[52:53]
	v_add_f64_e64 v[34:35], v[34:35], -v[44:45]
.LBB161_325:                            ;   in Loop: Header=BB161_180 Depth=1
	s_or_b32 exec_lo, exec_lo, s1
                                        ; implicit-def: $vgpr52
                                        ; implicit-def: $vgpr44_vgpr45
                                        ; implicit-def: $vgpr46_vgpr47
	s_and_saveexec_b32 s1, s0
	s_delay_alu instid0(SALU_CYCLE_1)
	s_xor_b32 s0, exec_lo, s1
	s_cbranch_execz .LBB161_327
; %bb.326:                              ;   in Loop: Header=BB161_180 Depth=1
	v_cmp_le_f64_e64 vcc_lo, 0x7b000000, |v[4:5]|
	v_dual_cndmask_b32 v43, v51, v43 :: v_dual_cndmask_b32 v42, v4, v42
	s_delay_alu instid0(VALU_DEP_1) | instskip(SKIP_2) | instid1(VALU_DEP_3)
	v_mul_f64_e32 v[44:45], v[40:41], v[42:43]
	v_mul_f64_e32 v[46:47], v[38:39], v[42:43]
	;; [unrolled: 1-line block ×3, first 2 shown]
	v_fma_f64 v[40:41], v[40:41], v[42:43], -v[44:45]
	s_delay_alu instid0(VALU_DEP_3) | instskip(NEXT) | instid1(VALU_DEP_3)
	v_fma_f64 v[38:39], v[38:39], v[42:43], -v[46:47]
	v_fma_f64 v[36:37], v[36:37], v[42:43], -v[58:59]
	s_delay_alu instid0(VALU_DEP_3) | instskip(NEXT) | instid1(VALU_DEP_1)
	v_add_f64_e32 v[48:49], v[46:47], v[40:41]
	v_add_f64_e64 v[52:53], v[48:49], -v[46:47]
	v_add_f64_e32 v[56:57], v[44:45], v[48:49]
	s_delay_alu instid0(VALU_DEP_2) | instskip(SKIP_1) | instid1(VALU_DEP_3)
	v_add_f64_e64 v[54:55], v[48:49], -v[52:53]
	v_add_f64_e64 v[40:41], v[40:41], -v[52:53]
	v_ldexp_f64 v[52:53], v[56:57], -2
	v_add_f64_e64 v[44:45], v[56:57], -v[44:45]
	s_delay_alu instid0(VALU_DEP_4) | instskip(SKIP_1) | instid1(VALU_DEP_4)
	v_add_f64_e64 v[46:47], v[46:47], -v[54:55]
	v_add_f64_e32 v[54:55], v[58:59], v[38:39]
	v_cmp_neq_f64_e64 vcc_lo, 0x7ff00000, |v[52:53]|
	s_delay_alu instid0(VALU_DEP_3) | instskip(SKIP_1) | instid1(VALU_DEP_1)
	v_add_f64_e32 v[40:41], v[40:41], v[46:47]
	v_fract_f64_e32 v[46:47], v[52:53]
	v_ldexp_f64 v[46:47], v[46:47], 2
	s_delay_alu instid0(VALU_DEP_1) | instskip(NEXT) | instid1(VALU_DEP_2)
	v_dual_add_f64 v[44:45], v[48:49], -v[44:45] :: v_dual_cndmask_b32 v47, 0, v47, vcc_lo
	v_dual_add_f64 v[48:49], v[54:55], v[40:41] :: v_dual_cndmask_b32 v46, 0, v46, vcc_lo
	s_delay_alu instid0(VALU_DEP_1) | instskip(SKIP_1) | instid1(VALU_DEP_2)
	v_add_f64_e32 v[52:53], v[44:45], v[48:49]
	v_add_f64_e64 v[60:61], v[48:49], -v[54:55]
	v_add_f64_e32 v[56:57], v[52:53], v[46:47]
	s_delay_alu instid0(VALU_DEP_2) | instskip(SKIP_2) | instid1(VALU_DEP_4)
	v_add_f64_e64 v[66:67], v[48:49], -v[60:61]
	v_add_f64_e64 v[40:41], v[40:41], -v[60:61]
	;; [unrolled: 1-line block ×3, first 2 shown]
	v_cmp_gt_f64_e32 vcc_lo, 0, v[56:57]
	v_add_f64_e64 v[56:57], v[54:55], -v[58:59]
	s_delay_alu instid0(VALU_DEP_3) | instskip(SKIP_1) | instid1(VALU_DEP_3)
	v_add_f64_e64 v[42:43], v[48:49], -v[42:43]
                                        ; implicit-def: $vgpr48_vgpr49
	v_cndmask_b32_e64 v21, 0, 0x40100000, vcc_lo
	v_add_f64_e64 v[64:65], v[54:55], -v[56:57]
	v_add_f64_e64 v[38:39], v[38:39], -v[56:57]
	;; [unrolled: 1-line block ×3, first 2 shown]
	s_delay_alu instid0(VALU_DEP_4) | instskip(NEXT) | instid1(VALU_DEP_4)
	v_add_f64_e32 v[46:47], v[46:47], v[20:21]
	v_add_f64_e64 v[56:57], v[58:59], -v[64:65]
	s_delay_alu instid0(VALU_DEP_3) | instskip(NEXT) | instid1(VALU_DEP_3)
	v_add_f64_e32 v[40:41], v[40:41], v[54:55]
	v_add_f64_e32 v[62:63], v[52:53], v[46:47]
	s_delay_alu instid0(VALU_DEP_3) | instskip(NEXT) | instid1(VALU_DEP_2)
	v_add_f64_e32 v[38:39], v[38:39], v[56:57]
	v_cvt_i32_f64_e32 v21, v[62:63]
	s_delay_alu instid0(VALU_DEP_2) | instskip(NEXT) | instid1(VALU_DEP_2)
	v_add_f64_e32 v[38:39], v[38:39], v[40:41]
	v_cvt_f64_i32_e32 v[60:61], v21
	s_delay_alu instid0(VALU_DEP_2) | instskip(NEXT) | instid1(VALU_DEP_2)
	v_add_f64_e32 v[36:37], v[36:37], v[38:39]
	v_add_f64_e64 v[46:47], v[46:47], -v[60:61]
	s_delay_alu instid0(VALU_DEP_2) | instskip(NEXT) | instid1(VALU_DEP_2)
	v_add_f64_e32 v[36:37], v[42:43], v[36:37]
	v_add_f64_e32 v[40:41], v[52:53], v[46:47]
	s_delay_alu instid0(VALU_DEP_1) | instskip(SKIP_1) | instid1(VALU_DEP_2)
	v_add_f64_e64 v[38:39], v[40:41], -v[46:47]
	v_cmp_le_f64_e32 vcc_lo, 0.5, v[40:41]
	v_add_f64_e64 v[38:39], v[52:53], -v[38:39]
	v_add_co_ci_u32_e64 v52, null, 0, v21, vcc_lo
	v_cndmask_b32_e64 v21, 0, 0x3ff00000, vcc_lo
	s_delay_alu instid0(VALU_DEP_3) | instskip(NEXT) | instid1(VALU_DEP_2)
	v_add_f64_e32 v[36:37], v[36:37], v[38:39]
	v_add_f64_e64 v[38:39], v[40:41], -v[20:21]
	s_delay_alu instid0(VALU_DEP_1) | instskip(NEXT) | instid1(VALU_DEP_1)
	v_add_f64_e32 v[40:41], v[38:39], v[36:37]
	v_mul_f64_e32 v[42:43], 0x3ff921fb54442d18, v[40:41]
	v_add_f64_e64 v[38:39], v[40:41], -v[38:39]
	s_delay_alu instid0(VALU_DEP_2) | instskip(NEXT) | instid1(VALU_DEP_2)
	v_fma_f64 v[46:47], v[40:41], s[2:3], -v[42:43]
	v_add_f64_e64 v[36:37], v[36:37], -v[38:39]
	s_delay_alu instid0(VALU_DEP_2) | instskip(NEXT) | instid1(VALU_DEP_1)
	v_fmac_f64_e32 v[46:47], 0x3c91a62633145c07, v[40:41]
	v_fmac_f64_e32 v[46:47], 0x3ff921fb54442d18, v[36:37]
	s_delay_alu instid0(VALU_DEP_1) | instskip(NEXT) | instid1(VALU_DEP_1)
	v_add_f64_e32 v[44:45], v[42:43], v[46:47]
	v_add_f64_e64 v[36:37], v[44:45], -v[42:43]
	s_delay_alu instid0(VALU_DEP_1)
	v_add_f64_e64 v[46:47], v[46:47], -v[36:37]
	s_and_not1_saveexec_b32 s0, s0
	s_cbranch_execz .LBB161_176
	s_branch .LBB161_328
.LBB161_327:                            ;   in Loop: Header=BB161_180 Depth=1
	s_and_not1_saveexec_b32 s0, s0
	s_cbranch_execz .LBB161_176
.LBB161_328:                            ;   in Loop: Header=BB161_180 Depth=1
	s_delay_alu instid0(VALU_DEP_1) | instskip(SKIP_2) | instid1(VALU_DEP_2)
	v_fma_f64 v[36:37], v[48:49], s[6:7], |v[4:5]|
	v_mul_f64_e32 v[38:39], 0xbc91a62633145c00, v[48:49]
	v_cvt_i32_f64_e32 v52, v[48:49]
	v_add_f64_e32 v[40:41], v[36:37], v[38:39]
	s_delay_alu instid0(VALU_DEP_1) | instskip(SKIP_1) | instid1(VALU_DEP_1)
	v_add_f64_e64 v[42:43], v[36:37], -v[40:41]
	v_fmamk_f64 v[36:37], v[48:49], 0xbc91a62633145c00, v[36:37]
	v_add_f64_e64 v[40:41], v[40:41], -v[36:37]
	s_delay_alu instid0(VALU_DEP_3) | instskip(SKIP_1) | instid1(VALU_DEP_2)
	v_add_f64_e32 v[42:43], v[42:43], v[38:39]
	v_fmamk_f64 v[38:39], v[48:49], 0x3c91a62633145c00, v[38:39]
	v_add_f64_e32 v[40:41], v[40:41], v[42:43]
	s_delay_alu instid0(VALU_DEP_1) | instskip(NEXT) | instid1(VALU_DEP_1)
	v_add_f64_e64 v[38:39], v[40:41], -v[38:39]
	v_fmac_f64_e32 v[38:39], 0xb97b839a252049c0, v[48:49]
	s_delay_alu instid0(VALU_DEP_1) | instskip(NEXT) | instid1(VALU_DEP_1)
	v_add_f64_e32 v[44:45], v[36:37], v[38:39]
	v_add_f64_e64 v[36:37], v[44:45], -v[36:37]
	s_delay_alu instid0(VALU_DEP_1)
	v_add_f64_e64 v[46:47], v[38:39], -v[36:37]
	s_branch .LBB161_176
.LBB161_329:
	s_sendmsg sendmsg(MSG_DEALLOC_VGPRS)
	s_endpgm
	.section	.rodata,"a",@progbits
	.p2align	6, 0x0
	.amdhsa_kernel _ZN2at6native12_GLOBAL__N_125multi_tensor_apply_kernelINS1_18TensorListMetadataILi1EEENS1_14UnaryOpFunctorIN3c107complexIdEELi1ELi1ELi0EEEJNS0_4TanhIS8_EEEEEvT_T0_DpT1_
		.amdhsa_group_segment_fixed_size 0
		.amdhsa_private_segment_fixed_size 0
		.amdhsa_kernarg_size 3632
		.amdhsa_user_sgpr_count 2
		.amdhsa_user_sgpr_dispatch_ptr 0
		.amdhsa_user_sgpr_queue_ptr 0
		.amdhsa_user_sgpr_kernarg_segment_ptr 1
		.amdhsa_user_sgpr_dispatch_id 0
		.amdhsa_user_sgpr_kernarg_preload_length 0
		.amdhsa_user_sgpr_kernarg_preload_offset 0
		.amdhsa_user_sgpr_private_segment_size 0
		.amdhsa_wavefront_size32 1
		.amdhsa_uses_dynamic_stack 0
		.amdhsa_enable_private_segment 0
		.amdhsa_system_sgpr_workgroup_id_x 1
		.amdhsa_system_sgpr_workgroup_id_y 0
		.amdhsa_system_sgpr_workgroup_id_z 0
		.amdhsa_system_sgpr_workgroup_info 0
		.amdhsa_system_vgpr_workitem_id 0
		.amdhsa_next_free_vgpr 94
		.amdhsa_next_free_sgpr 39
		.amdhsa_named_barrier_count 0
		.amdhsa_reserve_vcc 1
		.amdhsa_float_round_mode_32 0
		.amdhsa_float_round_mode_16_64 0
		.amdhsa_float_denorm_mode_32 3
		.amdhsa_float_denorm_mode_16_64 3
		.amdhsa_fp16_overflow 0
		.amdhsa_memory_ordered 1
		.amdhsa_forward_progress 1
		.amdhsa_inst_pref_size 255
		.amdhsa_round_robin_scheduling 0
		.amdhsa_exception_fp_ieee_invalid_op 0
		.amdhsa_exception_fp_denorm_src 0
		.amdhsa_exception_fp_ieee_div_zero 0
		.amdhsa_exception_fp_ieee_overflow 0
		.amdhsa_exception_fp_ieee_underflow 0
		.amdhsa_exception_fp_ieee_inexact 0
		.amdhsa_exception_int_div_zero 0
	.end_amdhsa_kernel
	.section	.text._ZN2at6native12_GLOBAL__N_125multi_tensor_apply_kernelINS1_18TensorListMetadataILi1EEENS1_14UnaryOpFunctorIN3c107complexIdEELi1ELi1ELi0EEEJNS0_4TanhIS8_EEEEEvT_T0_DpT1_,"axG",@progbits,_ZN2at6native12_GLOBAL__N_125multi_tensor_apply_kernelINS1_18TensorListMetadataILi1EEENS1_14UnaryOpFunctorIN3c107complexIdEELi1ELi1ELi0EEEJNS0_4TanhIS8_EEEEEvT_T0_DpT1_,comdat
.Lfunc_end161:
	.size	_ZN2at6native12_GLOBAL__N_125multi_tensor_apply_kernelINS1_18TensorListMetadataILi1EEENS1_14UnaryOpFunctorIN3c107complexIdEELi1ELi1ELi0EEEJNS0_4TanhIS8_EEEEEvT_T0_DpT1_, .Lfunc_end161-_ZN2at6native12_GLOBAL__N_125multi_tensor_apply_kernelINS1_18TensorListMetadataILi1EEENS1_14UnaryOpFunctorIN3c107complexIdEELi1ELi1ELi0EEEJNS0_4TanhIS8_EEEEEvT_T0_DpT1_
                                        ; -- End function
	.set _ZN2at6native12_GLOBAL__N_125multi_tensor_apply_kernelINS1_18TensorListMetadataILi1EEENS1_14UnaryOpFunctorIN3c107complexIdEELi1ELi1ELi0EEEJNS0_4TanhIS8_EEEEEvT_T0_DpT1_.num_vgpr, 94
	.set _ZN2at6native12_GLOBAL__N_125multi_tensor_apply_kernelINS1_18TensorListMetadataILi1EEENS1_14UnaryOpFunctorIN3c107complexIdEELi1ELi1ELi0EEEJNS0_4TanhIS8_EEEEEvT_T0_DpT1_.num_agpr, 0
	.set _ZN2at6native12_GLOBAL__N_125multi_tensor_apply_kernelINS1_18TensorListMetadataILi1EEENS1_14UnaryOpFunctorIN3c107complexIdEELi1ELi1ELi0EEEJNS0_4TanhIS8_EEEEEvT_T0_DpT1_.numbered_sgpr, 39
	.set _ZN2at6native12_GLOBAL__N_125multi_tensor_apply_kernelINS1_18TensorListMetadataILi1EEENS1_14UnaryOpFunctorIN3c107complexIdEELi1ELi1ELi0EEEJNS0_4TanhIS8_EEEEEvT_T0_DpT1_.num_named_barrier, 0
	.set _ZN2at6native12_GLOBAL__N_125multi_tensor_apply_kernelINS1_18TensorListMetadataILi1EEENS1_14UnaryOpFunctorIN3c107complexIdEELi1ELi1ELi0EEEJNS0_4TanhIS8_EEEEEvT_T0_DpT1_.private_seg_size, 0
	.set _ZN2at6native12_GLOBAL__N_125multi_tensor_apply_kernelINS1_18TensorListMetadataILi1EEENS1_14UnaryOpFunctorIN3c107complexIdEELi1ELi1ELi0EEEJNS0_4TanhIS8_EEEEEvT_T0_DpT1_.uses_vcc, 1
	.set _ZN2at6native12_GLOBAL__N_125multi_tensor_apply_kernelINS1_18TensorListMetadataILi1EEENS1_14UnaryOpFunctorIN3c107complexIdEELi1ELi1ELi0EEEJNS0_4TanhIS8_EEEEEvT_T0_DpT1_.uses_flat_scratch, 0
	.set _ZN2at6native12_GLOBAL__N_125multi_tensor_apply_kernelINS1_18TensorListMetadataILi1EEENS1_14UnaryOpFunctorIN3c107complexIdEELi1ELi1ELi0EEEJNS0_4TanhIS8_EEEEEvT_T0_DpT1_.has_dyn_sized_stack, 0
	.set _ZN2at6native12_GLOBAL__N_125multi_tensor_apply_kernelINS1_18TensorListMetadataILi1EEENS1_14UnaryOpFunctorIN3c107complexIdEELi1ELi1ELi0EEEJNS0_4TanhIS8_EEEEEvT_T0_DpT1_.has_recursion, 0
	.set _ZN2at6native12_GLOBAL__N_125multi_tensor_apply_kernelINS1_18TensorListMetadataILi1EEENS1_14UnaryOpFunctorIN3c107complexIdEELi1ELi1ELi0EEEJNS0_4TanhIS8_EEEEEvT_T0_DpT1_.has_indirect_call, 0
	.section	.AMDGPU.csdata,"",@progbits
; Kernel info:
; codeLenInByte = 61588
; TotalNumSgprs: 41
; NumVgprs: 94
; ScratchSize: 0
; MemoryBound: 1
; FloatMode: 240
; IeeeMode: 1
; LDSByteSize: 0 bytes/workgroup (compile time only)
; SGPRBlocks: 0
; VGPRBlocks: 5
; NumSGPRsForWavesPerEU: 41
; NumVGPRsForWavesPerEU: 94
; NamedBarCnt: 0
; Occupancy: 10
; WaveLimiterHint : 0
; COMPUTE_PGM_RSRC2:SCRATCH_EN: 0
; COMPUTE_PGM_RSRC2:USER_SGPR: 2
; COMPUTE_PGM_RSRC2:TRAP_HANDLER: 0
; COMPUTE_PGM_RSRC2:TGID_X_EN: 1
; COMPUTE_PGM_RSRC2:TGID_Y_EN: 0
; COMPUTE_PGM_RSRC2:TGID_Z_EN: 0
; COMPUTE_PGM_RSRC2:TIDIG_COMP_CNT: 0
	.section	.text._ZN2at6native12_GLOBAL__N_125multi_tensor_apply_kernelINS1_18TensorListMetadataILi1EEENS1_14UnaryOpFunctorIN3c107complexIfEELi1ELi1ELi0EEEJNS0_4TanhIS8_EEEEEvT_T0_DpT1_,"axG",@progbits,_ZN2at6native12_GLOBAL__N_125multi_tensor_apply_kernelINS1_18TensorListMetadataILi1EEENS1_14UnaryOpFunctorIN3c107complexIfEELi1ELi1ELi0EEEJNS0_4TanhIS8_EEEEEvT_T0_DpT1_,comdat
	.globl	_ZN2at6native12_GLOBAL__N_125multi_tensor_apply_kernelINS1_18TensorListMetadataILi1EEENS1_14UnaryOpFunctorIN3c107complexIfEELi1ELi1ELi0EEEJNS0_4TanhIS8_EEEEEvT_T0_DpT1_ ; -- Begin function _ZN2at6native12_GLOBAL__N_125multi_tensor_apply_kernelINS1_18TensorListMetadataILi1EEENS1_14UnaryOpFunctorIN3c107complexIfEELi1ELi1ELi0EEEJNS0_4TanhIS8_EEEEEvT_T0_DpT1_
	.p2align	8
	.type	_ZN2at6native12_GLOBAL__N_125multi_tensor_apply_kernelINS1_18TensorListMetadataILi1EEENS1_14UnaryOpFunctorIN3c107complexIfEELi1ELi1ELi0EEEJNS0_4TanhIS8_EEEEEvT_T0_DpT1_,@function
_ZN2at6native12_GLOBAL__N_125multi_tensor_apply_kernelINS1_18TensorListMetadataILi1EEENS1_14UnaryOpFunctorIN3c107complexIfEELi1ELi1ELi0EEEJNS0_4TanhIS8_EEEEEvT_T0_DpT1_: ; @_ZN2at6native12_GLOBAL__N_125multi_tensor_apply_kernelINS1_18TensorListMetadataILi1EEENS1_14UnaryOpFunctorIN3c107complexIfEELi1ELi1ELi0EEEJNS0_4TanhIS8_EEEEEvT_T0_DpT1_
; %bb.0:
	s_bfe_u32 s2, ttmp6, 0x4000c
	s_and_b32 s3, ttmp6, 15
	s_add_co_i32 s2, s2, 1
	s_getreg_b32 s4, hwreg(HW_REG_IB_STS2, 6, 4)
	s_mul_i32 s2, ttmp9, s2
	s_delay_alu instid0(SALU_CYCLE_1)
	s_add_co_i32 s3, s3, s2
	s_cmp_eq_u32 s4, 0
	s_cselect_b32 s2, ttmp9, s3
	s_mov_b32 s3, 0
	s_load_u8 s10, s[0:1], s2 offset:0x6e0
	s_add_nc_u64 s[4:5], s[0:1], s[2:3]
	s_mul_u64 s[6:7], s[2:3], 3
	s_delay_alu instid0(SALU_CYCLE_1)
	s_add_nc_u64 s[4:5], s[4:5], s[6:7]
	s_load_b32 s6, s[4:5], 0x820
	s_wait_kmcnt 0x0
	s_clause 0x1
	s_load_b64 s[8:9], s[0:1], s10 offset:0x0 scale_offset
	s_load_b64 s[12:13], s[0:1], s10 offset:0x370 scale_offset
	s_ashr_i32 s7, s6, 31
	s_wait_kmcnt 0x0
	s_and_b64 s[4:5], s[8:9], 31
	s_and_b32 s2, s12, 3
	s_lshl_b64 s[10:11], s[6:7], 19
	s_or_b64 s[2:3], s[4:5], s[2:3]
	s_lshl_b64 s[4:5], s[6:7], 16
	s_cmp_eq_u64 s[2:3], 0
	s_sub_nc_u64 s[12:13], s[12:13], s[4:5]
	s_cbranch_scc1 .LBB162_173
; %bb.1:
	v_cmp_lt_i64_e64 s2, s[12:13], 1
	s_and_b32 vcc_lo, exec_lo, s2
	s_cbranch_vccnz .LBB162_172
; %bb.2:
	s_load_b32 s2, s[0:1], 0xd3c
	v_min_i64 v[2:3], 0x10000, s[12:13]
	v_min_u64 v[6:7], 0x10000, s[12:13]
	v_dual_mov_b32 v5, 0 :: v_dual_lshlrev_b32 v4, 3, v0
	s_mov_b32 s3, 0
	s_add_nc_u64 s[4:5], s[8:9], s[10:11]
	s_mov_b32 s7, s3
	s_delay_alu instid0(VALU_DEP_1)
	v_mov_b32_e32 v1, v5
	v_add_nc_u64_e32 v[10:11], s[4:5], v[4:5]
	s_mov_b32 s31, s3
	v_mov_b32_e32 v19, 0x3f317218
	v_mov_b32_e32 v21, -1.0
	s_mov_b64 s[14:15], 0
	s_mov_b32 s26, 0x7fffff
	s_mov_b64 s[16:17], 0xfe5163ab
	s_mov_b32 s28, 0xbc8cedd3
	s_mov_b32 s29, 0x3c971480
	;; [unrolled: 1-line block ×4, first 2 shown]
	s_wait_kmcnt 0x0
	s_and_b32 s2, s2, 0xffff
	s_mov_b32 s23, s3
	v_add_nc_u64_e32 v[8:9], s[2:3], v[0:1]
	s_lshl_b32 s6, s2, 1
	s_mul_i32 s30, s2, 3
	s_lshl_b32 s18, s2, 2
	s_lshl_b32 s20, s2, 5
	s_mul_u64 s[24:25], s[2:3], 24
	s_lshl_b32 s22, s2, 4
	v_lshlrev_b32_e32 v4, 3, v8
	v_add_nc_u64_e32 v[12:13], s[30:31], v[0:1]
	v_add_nc_u64_e32 v[14:15], s[6:7], v[0:1]
	s_mov_b32 s30, 0x3ab42872
	s_mov_b32 s27, -1.0
	v_add_nc_u64_e32 v[16:17], s[4:5], v[4:5]
	s_mov_b32 s31, 0xb94c1982
	s_mov_b32 s33, 0x37d75334
	s_branch .LBB162_4
.LBB162_3:                              ;   in Loop: Header=BB162_4 Depth=1
	s_wait_xcnt 0x0
	s_or_b32 exec_lo, exec_lo, s2
	s_add_nc_u64 s[14:15], s[14:15], s[18:19]
	v_add_nc_u64_e32 v[10:11], s[20:21], v[10:11]
	v_cmp_ge_i64_e32 vcc_lo, s[14:15], v[2:3]
	v_add_nc_u64_e32 v[16:17], s[20:21], v[16:17]
	s_cbranch_vccnz .LBB162_172
.LBB162_4:                              ; =>This Inner Loop Header: Depth=1
	v_add_nc_u64_e32 v[22:23], s[14:15], v[0:1]
	v_dual_mov_b32 v28, 0 :: v_dual_mov_b32 v29, 0
	s_delay_alu instid0(VALU_DEP_2)
	v_cmp_lt_u64_e64 s2, v[22:23], v[6:7]
	s_and_saveexec_b32 s3, s2
	s_cbranch_execz .LBB162_6
; %bb.5:                                ;   in Loop: Header=BB162_4 Depth=1
	global_load_b64 v[28:29], v[10:11], off
.LBB162_6:                              ;   in Loop: Header=BB162_4 Depth=1
	s_wait_xcnt 0x0
	s_or_b32 exec_lo, exec_lo, s3
	v_add_nc_u64_e32 v[22:23], s[14:15], v[8:9]
	v_dual_mov_b32 v26, 0 :: v_dual_mov_b32 v30, 0
	v_mov_b32_e32 v31, 0
	s_delay_alu instid0(VALU_DEP_3)
	v_cmp_lt_u64_e64 s3, v[22:23], v[6:7]
	s_and_saveexec_b32 s4, s3
	s_cbranch_execz .LBB162_8
; %bb.7:                                ;   in Loop: Header=BB162_4 Depth=1
	global_load_b64 v[30:31], v[16:17], off
.LBB162_8:                              ;   in Loop: Header=BB162_4 Depth=1
	s_wait_xcnt 0x0
	s_or_b32 exec_lo, exec_lo, s4
	v_add_nc_u64_e32 v[22:23], s[14:15], v[14:15]
	v_mov_b32_e32 v27, 0
	s_delay_alu instid0(VALU_DEP_2)
	v_cmp_lt_u64_e64 s4, v[22:23], v[6:7]
	v_add_nc_u64_e32 v[22:23], s[22:23], v[10:11]
	s_and_saveexec_b32 s5, s4
	s_cbranch_execz .LBB162_10
; %bb.9:                                ;   in Loop: Header=BB162_4 Depth=1
	global_load_b64 v[26:27], v[22:23], off
.LBB162_10:                             ;   in Loop: Header=BB162_4 Depth=1
	s_wait_xcnt 0x0
	s_or_b32 exec_lo, exec_lo, s5
	v_add_nc_u64_e32 v[24:25], s[14:15], v[12:13]
	v_dual_mov_b32 v32, 0 :: v_dual_mov_b32 v33, 0
	s_delay_alu instid0(VALU_DEP_2)
	v_cmp_lt_u64_e64 s5, v[24:25], v[6:7]
	v_add_nc_u64_e32 v[24:25], s[24:25], v[10:11]
	s_and_saveexec_b32 s6, s5
	s_cbranch_execz .LBB162_12
; %bb.11:                               ;   in Loop: Header=BB162_4 Depth=1
	global_load_b64 v[32:33], v[24:25], off
.LBB162_12:                             ;   in Loop: Header=BB162_4 Depth=1
	s_wait_xcnt 0x0
	s_or_b32 exec_lo, exec_lo, s6
	s_wait_loadcnt 0x0
	v_and_b32_e32 v18, 0x7fffffff, v28
	s_mov_b32 s6, exec_lo
	s_delay_alu instid0(VALU_DEP_1)
	v_cmpx_gt_u32_e32 0x7f800000, v18
	s_xor_b32 s34, exec_lo, s6
	s_cbranch_execz .LBB162_34
; %bb.13:                               ;   in Loop: Header=BB162_4 Depth=1
	v_cmp_class_f32_e64 s6, v29, 0x1f8
	s_and_saveexec_b32 s7, s6
	s_delay_alu instid0(SALU_CYCLE_1)
	s_xor_b32 s35, exec_lo, s7
	s_cbranch_execz .LBB162_31
; %bb.14:                               ;   in Loop: Header=BB162_4 Depth=1
	v_and_b32_e32 v34, 0x7fffffff, v29
	s_mov_b32 s6, exec_lo
	v_cmpx_gt_u32_e32 0x41300000, v18
	s_xor_b32 s36, exec_lo, s6
	s_cbranch_execz .LBB162_20
; %bb.15:                               ;   in Loop: Header=BB162_4 Depth=1
                                        ; implicit-def: $vgpr4
                                        ; implicit-def: $vgpr35
	s_mov_b32 s7, exec_lo
	v_cmpx_ngt_f32_e64 0x48000000, |v29|
	s_xor_b32 s37, exec_lo, s7
	s_cbranch_execz .LBB162_17
; %bb.16:                               ;   in Loop: Header=BB162_4 Depth=1
	v_and_or_b32 v4, v34, s26, 0x800000
	v_dual_mov_b32 v47, v5 :: v_dual_lshrrev_b32 v20, 23, v34
	v_mov_b32_e32 v49, v5
	s_delay_alu instid0(VALU_DEP_3) | instskip(NEXT) | instid1(VALU_DEP_3)
	v_mul_u64_e32 v[36:37], s[16:17], v[4:5]
	v_dual_mov_b32 v39, v5 :: v_dual_add_nc_u32 v20, 0xffffff88, v20
	s_delay_alu instid0(VALU_DEP_1) | instskip(SKIP_1) | instid1(VALU_DEP_1)
	v_cmp_lt_u32_e32 vcc_lo, 63, v20
	v_cndmask_b32_e64 v35, 0, 0xffffffc0, vcc_lo
	v_add_nc_u32_e32 v20, v35, v20
	s_delay_alu instid0(VALU_DEP_1) | instskip(NEXT) | instid1(VALU_DEP_1)
	v_cmp_lt_u32_e64 s6, 31, v20
	v_cndmask_b32_e64 v35, 0, 0xffffffe0, s6
	v_mov_b32_e32 v38, v37
	s_delay_alu instid0(VALU_DEP_1) | instskip(NEXT) | instid1(VALU_DEP_1)
	v_mad_nc_u64_u32 v[38:39], 0x3c439041, v4, v[38:39]
	v_dual_mov_b32 v41, v5 :: v_dual_mov_b32 v40, v39
	s_delay_alu instid0(VALU_DEP_1) | instskip(NEXT) | instid1(VALU_DEP_1)
	v_mad_nc_u64_u32 v[40:41], 0xdb629599, v4, v[40:41]
	v_dual_mov_b32 v43, v5 :: v_dual_mov_b32 v42, v41
	;; [unrolled: 3-line block ×3, first 2 shown]
	s_delay_alu instid0(VALU_DEP_1) | instskip(NEXT) | instid1(VALU_DEP_1)
	v_mad_nc_u64_u32 v[44:45], 0xfc2757d1, v4, v[44:45]
	v_mov_b32_e32 v46, v45
	s_delay_alu instid0(VALU_DEP_1) | instskip(NEXT) | instid1(VALU_DEP_1)
	v_mad_nc_u64_u32 v[46:47], 0x4e441529, v4, v[46:47]
	v_mov_b32_e32 v48, v47
	s_delay_alu instid0(VALU_DEP_1) | instskip(NEXT) | instid1(VALU_DEP_3)
	v_mad_nc_u64_u32 v[48:49], 0xa2f9836e, v4, v[48:49]
	v_dual_cndmask_b32 v35, v46, v42 :: v_dual_add_nc_u32 v4, v35, v20
	s_delay_alu instid0(VALU_DEP_2) | instskip(NEXT) | instid1(VALU_DEP_2)
	v_cndmask_b32_e32 v39, v49, v46, vcc_lo
	v_cmp_lt_u32_e64 s7, 31, v4
	s_delay_alu instid0(VALU_DEP_4) | instskip(SKIP_1) | instid1(VALU_DEP_3)
	v_cndmask_b32_e32 v37, v48, v44, vcc_lo
	v_cndmask_b32_e32 v41, v44, v40, vcc_lo
	v_cndmask_b32_e64 v20, 0, 0xffffffe0, s7
	s_delay_alu instid0(VALU_DEP_1) | instskip(NEXT) | instid1(VALU_DEP_4)
	v_dual_add_nc_u32 v4, v20, v4 :: v_dual_cndmask_b32 v20, v42, v38, vcc_lo
	v_dual_cndmask_b32 v38, v37, v35, s6 :: v_dual_cndmask_b32 v37, v39, v37, s6
	s_delay_alu instid0(VALU_DEP_2) | instskip(NEXT) | instid1(VALU_DEP_3)
	v_dual_cndmask_b32 v35, v35, v41, s6 :: v_dual_sub_nc_u32 v39, 32, v4
	v_cndmask_b32_e64 v41, v41, v20, s6
	s_delay_alu instid0(VALU_DEP_2) | instskip(NEXT) | instid1(VALU_DEP_2)
	v_dual_cndmask_b32 v37, v37, v38, s7 :: v_dual_cndmask_b32 v38, v38, v35, s7
	v_cndmask_b32_e64 v35, v35, v41, s7
	s_delay_alu instid0(VALU_DEP_2) | instskip(SKIP_2) | instid1(VALU_DEP_4)
	v_alignbit_b32 v42, v37, v38, v39
	v_cndmask_b32_e32 v36, v40, v36, vcc_lo
	v_cmp_eq_u32_e32 vcc_lo, 0, v4
	v_alignbit_b32 v40, v38, v35, v39
	s_delay_alu instid0(VALU_DEP_4) | instskip(NEXT) | instid1(VALU_DEP_1)
	v_cndmask_b32_e32 v4, v42, v37, vcc_lo
	v_bfe_u32 v37, v4, 29, 1
	v_cndmask_b32_e64 v20, v20, v36, s6
	s_delay_alu instid0(VALU_DEP_2) | instskip(NEXT) | instid1(VALU_DEP_2)
	v_dual_cndmask_b32 v36, v40, v38, vcc_lo :: v_dual_sub_nc_u32 v40, 0, v37
	v_cndmask_b32_e64 v20, v41, v20, s7
	s_delay_alu instid0(VALU_DEP_2) | instskip(NEXT) | instid1(VALU_DEP_2)
	v_alignbit_b32 v38, v4, v36, 30
	v_alignbit_b32 v39, v35, v20, v39
	s_delay_alu instid0(VALU_DEP_1) | instskip(NEXT) | instid1(VALU_DEP_1)
	v_dual_cndmask_b32 v35, v39, v35, vcc_lo :: v_dual_bitop2_b32 v38, v38, v40 bitop3:0x14
	v_clz_i32_u32_e32 v39, v38
	s_delay_alu instid0(VALU_DEP_2) | instskip(NEXT) | instid1(VALU_DEP_2)
	v_alignbit_b32 v36, v36, v35, 30
	v_min_u32_e32 v39, 32, v39
	v_alignbit_b32 v20, v35, v20, 30
	s_delay_alu instid0(VALU_DEP_2) | instskip(NEXT) | instid1(VALU_DEP_2)
	v_dual_sub_nc_u32 v36, 31, v39 :: v_dual_bitop2_b32 v35, v36, v40 bitop3:0x14
	v_xor_b32_e32 v20, v20, v40
	v_dual_lshrrev_b32 v40, 29, v4 :: v_dual_lshlrev_b32 v41, 23, v39
	v_lshrrev_b32_e32 v4, 30, v4
	s_delay_alu instid0(VALU_DEP_4) | instskip(NEXT) | instid1(VALU_DEP_4)
	v_alignbit_b32 v38, v38, v35, v36
	v_alignbit_b32 v20, v35, v20, v36
	s_delay_alu instid0(VALU_DEP_4) | instskip(NEXT) | instid1(VALU_DEP_4)
	v_lshlrev_b32_e32 v35, 31, v40
	v_add_nc_u32_e32 v4, v37, v4
	s_delay_alu instid0(VALU_DEP_3) | instskip(NEXT) | instid1(VALU_DEP_3)
	v_alignbit_b32 v36, v38, v20, 9
	v_dual_lshrrev_b32 v38, 9, v38 :: v_dual_bitop2_b32 v40, 0.5, v35 bitop3:0x54
	v_or_b32_e32 v35, 0x33000000, v35
	s_delay_alu instid0(VALU_DEP_3) | instskip(NEXT) | instid1(VALU_DEP_3)
	v_clz_i32_u32_e32 v42, v36
	v_sub_nc_u32_e32 v40, v40, v41
	s_delay_alu instid0(VALU_DEP_2) | instskip(NEXT) | instid1(VALU_DEP_1)
	v_min_u32_e32 v41, 32, v42
	v_add_lshl_u32 v39, v41, v39, 23
	s_delay_alu instid0(VALU_DEP_1) | instskip(SKIP_1) | instid1(VALU_DEP_2)
	v_dual_sub_nc_u32 v35, v35, v39 :: v_dual_bitop2_b32 v38, v38, v40 bitop3:0x54
	v_not_b32_e32 v40, v41
	v_mul_f32_e32 v42, 0x3fc90fda, v38
	s_delay_alu instid0(VALU_DEP_2) | instskip(NEXT) | instid1(VALU_DEP_2)
	v_alignbit_b32 v20, v36, v20, v40
	v_fma_f32 v36, 0x3fc90fda, v38, -v42
	s_delay_alu instid0(VALU_DEP_2) | instskip(NEXT) | instid1(VALU_DEP_2)
	v_lshrrev_b32_e32 v20, 9, v20
	v_fmac_f32_e32 v36, 0x33a22168, v38
	s_delay_alu instid0(VALU_DEP_2) | instskip(NEXT) | instid1(VALU_DEP_1)
	v_or_b32_e32 v20, v35, v20
	v_fmac_f32_e32 v36, 0x3fc90fda, v20
	s_delay_alu instid0(VALU_DEP_1)
	v_add_f32_e32 v35, v42, v36
.LBB162_17:                             ;   in Loop: Header=BB162_4 Depth=1
	s_and_not1_saveexec_b32 s6, s37
; %bb.18:                               ;   in Loop: Header=BB162_4 Depth=1
	v_mul_f32_e64 v4, 0x3f22f983, |v29|
	s_delay_alu instid0(VALU_DEP_1) | instskip(NEXT) | instid1(VALU_DEP_1)
	v_rndne_f32_e32 v4, v4
	v_fma_f32 v35, 0xbfc90fda, v4, |v29|
	s_delay_alu instid0(VALU_DEP_1) | instskip(NEXT) | instid1(VALU_DEP_1)
	v_fmac_f32_e32 v35, 0xb3a22168, v4
	v_fmac_f32_e32 v35, 0xa7c234c4, v4
	v_cvt_i32_f32_e32 v4, v4
; %bb.19:                               ;   in Loop: Header=BB162_4 Depth=1
	s_or_b32 exec_lo, exec_lo, s6
	v_add_f32_e64 v20, 0xbf317218, |v28|
	v_cmp_nlt_f32_e64 vcc_lo, 0x42b2d4fc, |v28|
	v_cmp_gt_f32_e64 s6, 0x39800000, |v28|
	v_and_b32_e32 v4, 1, v4
	s_delay_alu instid0(VALU_DEP_4) | instskip(NEXT) | instid1(VALU_DEP_1)
	v_sub_f32_e64 v37, v20, |v28|
	v_sub_f32_e32 v36, v37, v20
	s_delay_alu instid0(VALU_DEP_1) | instskip(NEXT) | instid1(VALU_DEP_1)
	v_pk_add_f32 v[36:37], v[18:19], v[36:37]
	v_sub_f32_e32 v18, v36, v37
	s_delay_alu instid0(VALU_DEP_1) | instskip(NEXT) | instid1(VALU_DEP_1)
	v_add_f32_e32 v18, 0x3102e308, v18
	v_add_f32_e32 v37, v20, v18
	s_delay_alu instid0(VALU_DEP_1) | instskip(SKIP_1) | instid1(VALU_DEP_2)
	v_mul_f32_e32 v36, 0x3fb8aa3b, v37
	v_sub_f32_e32 v20, v20, v37
	v_rndne_f32_e32 v44, v36
	s_delay_alu instid0(VALU_DEP_2) | instskip(NEXT) | instid1(VALU_DEP_2)
	v_add_f32_e32 v18, v18, v20
	v_fmac_f32_e32 v37, 0xbf317200, v44
	v_mul_f32_e32 v20, 0x35bfbc00, v44
	s_delay_alu instid0(VALU_DEP_2) | instskip(NEXT) | instid1(VALU_DEP_1)
	v_dual_mul_f32 v39, 0x2ea39ef3, v44 :: v_dual_add_f32 v38, v18, v37
	v_dual_sub_f32 v36, v38, v20 :: v_dual_sub_f32 v37, v37, v38
	s_delay_alu instid0(VALU_DEP_1) | instskip(NEXT) | instid1(VALU_DEP_2)
	v_sub_f32_e32 v38, v38, v36
	v_add_f32_e32 v18, v18, v37
	s_delay_alu instid0(VALU_DEP_2) | instskip(NEXT) | instid1(VALU_DEP_1)
	v_sub_f32_e32 v20, v38, v20
	v_add_f32_e32 v18, v18, v20
	s_delay_alu instid0(VALU_DEP_1) | instskip(NEXT) | instid1(VALU_DEP_1)
	v_add_f32_e32 v37, v36, v18
	v_mov_b32_e32 v38, v37
	s_delay_alu instid0(VALU_DEP_1) | instskip(NEXT) | instid1(VALU_DEP_1)
	v_pk_add_f32 v[40:41], v[36:37], v[38:39] neg_lo:[0,1] neg_hi:[0,1]
	v_sub_f32_e32 v20, v37, v41
	s_delay_alu instid0(VALU_DEP_1) | instskip(NEXT) | instid1(VALU_DEP_1)
	v_dual_sub_f32 v20, v20, v39 :: v_dual_add_f32 v18, v18, v40
	v_add_f32_e32 v18, v18, v20
	s_delay_alu instid0(VALU_DEP_1) | instskip(NEXT) | instid1(VALU_DEP_1)
	v_add_f32_e32 v36, v41, v18
	v_sub_f32_e32 v20, v41, v36
	s_delay_alu instid0(VALU_DEP_1) | instskip(SKIP_1) | instid1(VALU_DEP_1)
	v_add_f32_e32 v18, v18, v20
	v_dual_mul_f32 v37, v36, v36 :: v_dual_fmaak_f32 v20, s30, v36, 0x3c091de6
	v_dual_add_f32 v39, v18, v18 :: v_dual_fma_f32 v38, v36, v36, -v37
	s_delay_alu instid0(VALU_DEP_1) | instskip(NEXT) | instid1(VALU_DEP_1)
	v_fmac_f32_e32 v38, v36, v39
	v_dual_add_f32 v39, v37, v38 :: v_dual_fmaak_f32 v20, v36, v20, 0x3d2aadcc
	s_delay_alu instid0(VALU_DEP_1) | instskip(NEXT) | instid1(VALU_DEP_1)
	v_dual_sub_f32 v37, v39, v37 :: v_dual_fmaak_f32 v20, v36, v20, 0x3e2aaa47
	v_dual_sub_f32 v37, v38, v37 :: v_dual_fmaak_f32 v20, v36, v20, 0x3efffffc
	s_delay_alu instid0(VALU_DEP_1) | instskip(NEXT) | instid1(VALU_DEP_1)
	v_mul_f32_e32 v40, v20, v39
	v_fma_f32 v38, v39, v20, -v40
	s_delay_alu instid0(VALU_DEP_1) | instskip(NEXT) | instid1(VALU_DEP_1)
	v_fmac_f32_e32 v38, v37, v20
	v_add_f32_e32 v37, v40, v38
	s_delay_alu instid0(VALU_DEP_1) | instskip(SKIP_1) | instid1(VALU_DEP_2)
	v_sub_f32_e32 v39, v37, v40
	v_mov_b64_e32 v[40:41], s[26:27]
	v_dual_sub_f32 v38, v38, v39 :: v_dual_add_f32 v20, v36, v37
	s_delay_alu instid0(VALU_DEP_1) | instskip(NEXT) | instid1(VALU_DEP_1)
	v_dual_add_f32 v18, v18, v38 :: v_dual_sub_f32 v36, v20, v36
	v_sub_f32_e32 v36, v37, v36
	s_delay_alu instid0(VALU_DEP_1) | instskip(NEXT) | instid1(VALU_DEP_1)
	v_add_f32_e32 v36, v18, v36
	v_add_f32_e32 v38, v20, v36
	s_delay_alu instid0(VALU_DEP_1) | instskip(NEXT) | instid1(VALU_DEP_1)
	v_dual_add_f32 v39, 1.0, v38 :: v_dual_mov_b32 v37, v38
	v_pk_add_f32 v[40:41], v[38:39], v[40:41]
	v_pk_add_f32 v[42:43], v[38:39], v[20:21] neg_lo:[0,1] neg_hi:[0,1]
	v_cvt_i32_f32_e32 v20, v44
	s_delay_alu instid0(VALU_DEP_3) | instskip(NEXT) | instid1(VALU_DEP_1)
	v_mov_b32_e32 v43, v41
	v_pk_add_f32 v[36:37], v[36:37], v[42:43] neg_lo:[0,1] neg_hi:[0,1]
	s_delay_alu instid0(VALU_DEP_1) | instskip(NEXT) | instid1(VALU_DEP_1)
	v_add_f32_e32 v18, v36, v37
	v_add_f32_e32 v36, v39, v18
	s_delay_alu instid0(VALU_DEP_1) | instskip(SKIP_1) | instid1(VALU_DEP_2)
	v_ldexp_f32 v37, v36, v20
	v_sub_f32_e32 v36, v36, v39
	v_rcp_f32_e32 v38, v37
	v_nop
	s_delay_alu instid0(TRANS32_DEP_1) | instskip(NEXT) | instid1(VALU_DEP_1)
	v_dual_sub_f32 v18, v18, v36 :: v_dual_mul_f32 v36, v37, v38
	v_ldexp_f32 v18, v18, v20
	s_delay_alu instid0(VALU_DEP_2) | instskip(NEXT) | instid1(VALU_DEP_1)
	v_fma_f32 v20, v38, v37, -v36
	v_fmac_f32_e32 v20, v38, v18
	s_delay_alu instid0(VALU_DEP_1) | instskip(NEXT) | instid1(VALU_DEP_1)
	v_add_f32_e32 v39, v36, v20
	v_sub_f32_e32 v36, v39, v36
	s_delay_alu instid0(VALU_DEP_1) | instskip(NEXT) | instid1(VALU_DEP_1)
	v_dual_sub_f32 v20, v36, v20 :: v_dual_sub_f32 v40, 1.0, v39
	v_sub_f32_e32 v41, 1.0, v40
	s_delay_alu instid0(VALU_DEP_1) | instskip(NEXT) | instid1(VALU_DEP_1)
	v_sub_f32_e32 v36, v41, v39
	v_add_f32_e32 v20, v20, v36
	s_delay_alu instid0(VALU_DEP_1) | instskip(NEXT) | instid1(VALU_DEP_1)
	v_add_f32_e32 v36, v40, v20
	v_mul_f32_e32 v39, v38, v36
	s_delay_alu instid0(VALU_DEP_1) | instskip(NEXT) | instid1(VALU_DEP_1)
	v_mul_f32_e32 v41, v37, v39
	v_fma_f32 v42, v39, v37, -v41
	s_delay_alu instid0(VALU_DEP_1) | instskip(NEXT) | instid1(VALU_DEP_1)
	v_fmac_f32_e32 v42, v39, v18
	v_dual_add_f32 v43, v41, v42 :: v_dual_sub_f32 v40, v40, v36
	s_delay_alu instid0(VALU_DEP_1) | instskip(NEXT) | instid1(VALU_DEP_2)
	v_sub_f32_e32 v44, v36, v43
	v_dual_add_f32 v20, v20, v40 :: v_dual_sub_f32 v40, v43, v41
	s_delay_alu instid0(VALU_DEP_2) | instskip(NEXT) | instid1(VALU_DEP_2)
	v_sub_f32_e32 v36, v36, v44
	v_sub_f32_e32 v40, v40, v42
	s_delay_alu instid0(VALU_DEP_2) | instskip(NEXT) | instid1(VALU_DEP_1)
	v_sub_f32_e32 v36, v36, v43
	v_dual_add_f32 v20, v20, v36 :: v_dual_add_f32 v36, v38, v39
	s_delay_alu instid0(VALU_DEP_1) | instskip(NEXT) | instid1(VALU_DEP_2)
	v_add_f32_e32 v20, v40, v20
	v_sub_f32_e32 v40, v36, v38
	s_delay_alu instid0(VALU_DEP_2) | instskip(NEXT) | instid1(VALU_DEP_2)
	v_add_f32_e32 v20, v44, v20
	v_sub_f32_e32 v39, v39, v40
	s_delay_alu instid0(VALU_DEP_2) | instskip(NEXT) | instid1(VALU_DEP_1)
	v_mul_f32_e32 v20, v38, v20
	v_add_f32_e32 v20, v39, v20
	s_delay_alu instid0(VALU_DEP_1) | instskip(NEXT) | instid1(VALU_DEP_1)
	v_add_f32_e32 v38, v36, v20
	v_ldexp_f32 v39, v38, -2
	s_delay_alu instid0(VALU_DEP_1) | instskip(NEXT) | instid1(VALU_DEP_1)
	v_dual_sub_f32 v36, v38, v36 :: v_dual_sub_f32 v40, v37, v39
	v_sub_f32_e32 v20, v20, v36
	s_delay_alu instid0(VALU_DEP_2) | instskip(NEXT) | instid1(VALU_DEP_1)
	v_sub_f32_e32 v37, v37, v40
	v_sub_f32_e32 v36, v37, v39
	s_delay_alu instid0(VALU_DEP_1) | instskip(NEXT) | instid1(VALU_DEP_4)
	v_add_f32_e32 v18, v18, v36
	v_ldexp_f32 v20, v20, -2
	s_delay_alu instid0(VALU_DEP_1) | instskip(NEXT) | instid1(VALU_DEP_1)
	v_dual_sub_f32 v18, v18, v20 :: v_dual_mul_f32 v20, v35, v35
	v_add_f32_e32 v18, v40, v18
	s_delay_alu instid0(VALU_DEP_2) | instskip(NEXT) | instid1(VALU_DEP_2)
	v_fmaak_f32 v36, s29, v20, 0xbf039337
	v_cndmask_b32_e32 v18, 0x7f800000, v18, vcc_lo
	s_delay_alu instid0(VALU_DEP_2) | instskip(NEXT) | instid1(VALU_DEP_2)
	v_fmaak_f32 v36, v20, v36, 0x3f93f425
	v_cndmask_b32_e64 v18, v18, |v28|, s6
	s_delay_alu instid0(VALU_DEP_1) | instskip(NEXT) | instid1(VALU_DEP_3)
	v_bfi_b32 v18, 0x7fffffff, v18, v28
	v_rcp_f32_e32 v28, v36
	v_nop
	v_fmaak_f32 v36, s28, v20, 0x3ec54587
	s_delay_alu instid0(VALU_DEP_3)
	v_fma_f32 v37, v18, v18, 1.0
	s_delay_alu instid0(TRANS32_DEP_1) | instid1(VALU_DEP_2)
	v_mul_f32_e32 v28, v36, v28
	s_delay_alu instid0(VALU_DEP_2) | instskip(SKIP_1) | instid1(VALU_DEP_3)
	v_mul_f32_e32 v36, 0x4f800000, v37
	v_cmp_gt_f32_e32 vcc_lo, 0xf800000, v37
	v_mul_f32_e32 v20, v20, v28
	s_delay_alu instid0(VALU_DEP_1) | instskip(NEXT) | instid1(VALU_DEP_1)
	v_dual_cndmask_b32 v28, v37, v36, vcc_lo :: v_dual_fma_f32 v36, v20, v35, v35
	v_sqrt_f32_e32 v37, v28
	s_delay_alu instid0(VALU_DEP_1) | instskip(NEXT) | instid1(TRANS32_DEP_2)
	v_rcp_f32_e32 v38, v36
	v_dual_sub_f32 v39, v36, v35 :: v_dual_add_nc_u32 v40, -1, v37
	s_delay_alu instid0(VALU_DEP_1) | instskip(NEXT) | instid1(VALU_DEP_1)
	v_fma_f32 v41, -v40, v37, v28
	v_cmp_ge_f32_e64 s6, 0, v41
	s_delay_alu instid0(VALU_DEP_3) | instskip(NEXT) | instid1(TRANS32_DEP_1)
	v_fma_f32 v20, v20, v35, -v39
	v_fma_f32 v35, v36, -v38, 1.0
	s_delay_alu instid0(VALU_DEP_1) | instskip(NEXT) | instid1(VALU_DEP_1)
	v_dual_add_nc_u32 v39, 1, v37 :: v_dual_fma_f32 v20, v20, -v38, v35
	v_dual_fma_f32 v35, -v39, v37, v28 :: v_dual_cndmask_b32 v37, v37, v40, s6
	s_delay_alu instid0(VALU_DEP_2) | instskip(NEXT) | instid1(VALU_DEP_2)
	v_fma_f32 v20, v20, -v38, -v38
	v_cmp_lt_f32_e64 s6, 0, v35
	s_delay_alu instid0(VALU_DEP_1) | instskip(SKIP_1) | instid1(VALU_DEP_1)
	v_cndmask_b32_e64 v35, v37, v39, s6
	v_cmp_eq_u32_e64 s6, 0, v4
	v_cndmask_b32_e64 v4, v20, v36, s6
	s_delay_alu instid0(VALU_DEP_3) | instskip(NEXT) | instid1(VALU_DEP_2)
	v_mul_f32_e32 v20, 0x37800000, v35
	v_xor3_b32 v4, v34, v4, v29
	s_delay_alu instid0(VALU_DEP_2) | instskip(SKIP_1) | instid1(VALU_DEP_3)
	v_cndmask_b32_e32 v20, v35, v20, vcc_lo
	v_cmp_class_f32_e64 vcc_lo, v28, 0x260
	v_fma_f32 v29, v4, v4, 1.0
	s_delay_alu instid0(VALU_DEP_1) | instskip(NEXT) | instid1(VALU_DEP_1)
	v_dual_cndmask_b32 v20, v20, v28, vcc_lo :: v_dual_mul_f32 v28, v18, v29
	v_mul_f32_e32 v20, v20, v29
	s_delay_alu instid0(VALU_DEP_2) | instskip(NEXT) | instid1(VALU_DEP_2)
	v_fma_f32 v29, v18, v28, 1.0
	v_mul_f32_e32 v18, v18, v20
	s_delay_alu instid0(VALU_DEP_2) | instskip(NEXT) | instid1(VALU_DEP_2)
	v_div_scale_f32 v28, null, v29, v29, v4
	v_div_scale_f32 v20, null, v29, v29, v18
	v_div_scale_f32 v38, vcc_lo, v18, v29, v18
	s_delay_alu instid0(VALU_DEP_3) | instskip(NEXT) | instid1(VALU_DEP_2)
	v_rcp_f32_e32 v35, v28
	v_rcp_f32_e32 v34, v20
	s_delay_alu instid0(TRANS32_DEP_2) | instskip(NEXT) | instid1(TRANS32_DEP_1)
	v_fma_f32 v37, -v28, v35, 1.0
	v_fma_f32 v36, -v20, v34, 1.0
	s_delay_alu instid0(VALU_DEP_1) | instskip(SKIP_1) | instid1(VALU_DEP_1)
	v_dual_fmac_f32 v35, v37, v35 :: v_dual_fmac_f32 v34, v36, v34
	v_div_scale_f32 v36, s6, v4, v29, v4
	v_dual_mul_f32 v37, v38, v34 :: v_dual_mul_f32 v39, v36, v35
	s_delay_alu instid0(VALU_DEP_1) | instskip(NEXT) | instid1(VALU_DEP_2)
	v_fma_f32 v40, -v20, v37, v38
	v_fma_f32 v41, -v28, v39, v36
	s_delay_alu instid0(VALU_DEP_1) | instskip(NEXT) | instid1(VALU_DEP_1)
	v_dual_fmac_f32 v37, v40, v34 :: v_dual_fmac_f32 v39, v41, v35
	v_fma_f32 v20, -v20, v37, v38
	s_delay_alu instid0(VALU_DEP_2) | instskip(NEXT) | instid1(VALU_DEP_2)
	v_fma_f32 v28, -v28, v39, v36
	v_div_fmas_f32 v20, v20, v34, v37
	s_mov_b32 vcc_lo, s6
	s_delay_alu instid0(VALU_DEP_2) | instskip(NEXT) | instid1(VALU_DEP_2)
	v_div_fmas_f32 v34, v28, v35, v39
	v_div_fixup_f32 v28, v20, v29, v18
	s_delay_alu instid0(VALU_DEP_2)
	v_div_fixup_f32 v29, v34, v29, v4
                                        ; implicit-def: $vgpr34
.LBB162_20:                             ;   in Loop: Header=BB162_4 Depth=1
	s_and_not1_saveexec_b32 s36, s36
	s_cbranch_execz .LBB162_23
; %bb.21:                               ;   in Loop: Header=BB162_4 Depth=1
	v_lshrrev_b32_e32 v18, 23, v34
	s_delay_alu instid0(VALU_DEP_2) | instskip(SKIP_1) | instid1(VALU_DEP_3)
	v_cmp_ngt_f32_e64 s37, 0x48000000, |v29|
	v_and_or_b32 v4, v34, s26, 0x800000
                                        ; implicit-def: $vgpr35
	v_add_nc_u32_e32 v20, 0xffffff88, v18
                                        ; implicit-def: $vgpr18
	s_and_saveexec_b32 s6, s37
	s_delay_alu instid0(SALU_CYCLE_1)
	s_xor_b32 s38, exec_lo, s6
	s_cbranch_execz .LBB162_24
; %bb.22:                               ;   in Loop: Header=BB162_4 Depth=1
	v_mul_u64_e32 v[36:37], s[16:17], v[4:5]
	v_mov_b32_e32 v39, v5
	v_cmp_lt_u32_e32 vcc_lo, 63, v20
	v_mov_b32_e32 v49, v5
	v_cndmask_b32_e64 v18, 0, 0xffffffc0, vcc_lo
	s_delay_alu instid0(VALU_DEP_1) | instskip(NEXT) | instid1(VALU_DEP_1)
	v_add_nc_u32_e32 v18, v18, v20
	v_cmp_lt_u32_e64 s6, 31, v18
	s_delay_alu instid0(VALU_DEP_1) | instskip(SKIP_1) | instid1(VALU_DEP_1)
	v_cndmask_b32_e64 v35, 0, 0xffffffe0, s6
	v_mov_b32_e32 v38, v37
	v_mad_nc_u64_u32 v[38:39], 0x3c439041, v4, v[38:39]
	s_delay_alu instid0(VALU_DEP_1) | instskip(NEXT) | instid1(VALU_DEP_1)
	v_dual_mov_b32 v41, v5 :: v_dual_mov_b32 v40, v39
	v_mad_nc_u64_u32 v[40:41], 0xdb629599, v4, v[40:41]
	s_delay_alu instid0(VALU_DEP_1) | instskip(NEXT) | instid1(VALU_DEP_2)
	v_dual_mov_b32 v43, v5 :: v_dual_mov_b32 v42, v41
	v_cndmask_b32_e32 v36, v40, v36, vcc_lo
	s_delay_alu instid0(VALU_DEP_2) | instskip(NEXT) | instid1(VALU_DEP_1)
	v_mad_nc_u64_u32 v[42:43], 0xf534ddc0, v4, v[42:43]
	v_dual_mov_b32 v45, v5 :: v_dual_mov_b32 v44, v43
	s_delay_alu instid0(VALU_DEP_1) | instskip(NEXT) | instid1(VALU_DEP_1)
	v_mad_nc_u64_u32 v[44:45], 0xfc2757d1, v4, v[44:45]
	v_dual_mov_b32 v47, v5 :: v_dual_mov_b32 v46, v45
	s_delay_alu instid0(VALU_DEP_2) | instskip(NEXT) | instid1(VALU_DEP_2)
	v_cndmask_b32_e32 v43, v44, v40, vcc_lo
	v_mad_nc_u64_u32 v[46:47], 0x4e441529, v4, v[46:47]
	s_delay_alu instid0(VALU_DEP_1) | instskip(NEXT) | instid1(VALU_DEP_1)
	v_dual_mov_b32 v48, v47 :: v_dual_cndmask_b32 v37, v46, v42
	v_mad_nc_u64_u32 v[48:49], 0xa2f9836e, v4, v[48:49]
	s_delay_alu instid0(VALU_DEP_1) | instskip(NEXT) | instid1(VALU_DEP_1)
	v_dual_cndmask_b32 v39, v48, v44 :: v_dual_add_nc_u32 v18, v35, v18
	v_cmp_lt_u32_e64 s7, 31, v18
	s_delay_alu instid0(VALU_DEP_3) | instskip(NEXT) | instid1(VALU_DEP_2)
	v_cndmask_b32_e32 v41, v49, v46, vcc_lo
	v_cndmask_b32_e64 v35, 0, 0xffffffe0, s7
	s_delay_alu instid0(VALU_DEP_1) | instskip(SKIP_1) | instid1(VALU_DEP_4)
	v_add_nc_u32_e32 v18, v35, v18
	v_dual_cndmask_b32 v35, v42, v38, vcc_lo :: v_dual_cndmask_b32 v38, v39, v37, s6
	v_cndmask_b32_e64 v39, v41, v39, s6
	s_delay_alu instid0(VALU_DEP_3) | instskip(NEXT) | instid1(VALU_DEP_3)
	v_dual_cndmask_b32 v37, v37, v43, s6 :: v_dual_sub_nc_u32 v41, 32, v18
	v_cndmask_b32_e64 v42, v43, v35, s6
	v_cmp_eq_u32_e32 vcc_lo, 0, v18
	s_delay_alu instid0(VALU_DEP_3) | instskip(NEXT) | instid1(VALU_DEP_1)
	v_dual_cndmask_b32 v39, v39, v38, s7 :: v_dual_cndmask_b32 v38, v38, v37, s7
	v_alignbit_b32 v43, v39, v38, v41
	s_delay_alu instid0(VALU_DEP_1) | instskip(NEXT) | instid1(VALU_DEP_1)
	v_dual_cndmask_b32 v37, v37, v42, s7 :: v_dual_cndmask_b32 v18, v43, v39, vcc_lo
	v_alignbit_b32 v40, v38, v37, v41
	s_delay_alu instid0(VALU_DEP_1) | instskip(NEXT) | instid1(VALU_DEP_3)
	v_dual_cndmask_b32 v35, v35, v36, s6 :: v_dual_cndmask_b32 v36, v40, v38, vcc_lo
	v_bfe_u32 v38, v18, 29, 1
	s_delay_alu instid0(VALU_DEP_2) | instskip(NEXT) | instid1(VALU_DEP_3)
	v_cndmask_b32_e64 v35, v42, v35, s7
	v_alignbit_b32 v39, v18, v36, 30
	s_delay_alu instid0(VALU_DEP_3) | instskip(NEXT) | instid1(VALU_DEP_3)
	v_sub_nc_u32_e32 v40, 0, v38
	v_alignbit_b32 v41, v37, v35, v41
	s_delay_alu instid0(VALU_DEP_1) | instskip(NEXT) | instid1(VALU_DEP_1)
	v_dual_cndmask_b32 v37, v41, v37, vcc_lo :: v_dual_bitop2_b32 v39, v39, v40 bitop3:0x14
	v_clz_i32_u32_e32 v41, v39
	s_delay_alu instid0(VALU_DEP_2) | instskip(SKIP_1) | instid1(VALU_DEP_3)
	v_alignbit_b32 v36, v36, v37, 30
	v_alignbit_b32 v35, v37, v35, 30
	v_min_u32_e32 v41, 32, v41
	s_delay_alu instid0(VALU_DEP_3) | instskip(NEXT) | instid1(VALU_DEP_3)
	v_xor_b32_e32 v36, v36, v40
	v_dual_lshrrev_b32 v40, 29, v18 :: v_dual_bitop2_b32 v35, v35, v40 bitop3:0x14
	s_delay_alu instid0(VALU_DEP_3) | instskip(NEXT) | instid1(VALU_DEP_1)
	v_dual_sub_nc_u32 v37, 31, v41 :: v_dual_lshlrev_b32 v42, 23, v41
	v_alignbit_b32 v39, v39, v36, v37
	s_delay_alu instid0(VALU_DEP_3) | instskip(NEXT) | instid1(VALU_DEP_4)
	v_alignbit_b32 v35, v36, v35, v37
	v_lshlrev_b32_e32 v36, 31, v40
	s_delay_alu instid0(VALU_DEP_2) | instskip(NEXT) | instid1(VALU_DEP_2)
	v_alignbit_b32 v37, v39, v35, 9
	v_dual_lshrrev_b32 v39, 9, v39 :: v_dual_bitop2_b32 v40, 0.5, v36 bitop3:0x54
	v_or_b32_e32 v36, 0x33000000, v36
	s_delay_alu instid0(VALU_DEP_3) | instskip(NEXT) | instid1(VALU_DEP_3)
	v_clz_i32_u32_e32 v43, v37
	v_sub_nc_u32_e32 v40, v40, v42
	s_delay_alu instid0(VALU_DEP_2) | instskip(NEXT) | instid1(VALU_DEP_1)
	v_min_u32_e32 v42, 32, v43
	v_add_lshl_u32 v41, v42, v41, 23
	s_delay_alu instid0(VALU_DEP_3) | instskip(SKIP_1) | instid1(VALU_DEP_2)
	v_or_b32_e32 v39, v39, v40
	v_not_b32_e32 v40, v42
	v_dual_mul_f32 v43, 0x3fc90fda, v39 :: v_dual_sub_nc_u32 v36, v36, v41
	s_delay_alu instid0(VALU_DEP_2) | instskip(NEXT) | instid1(VALU_DEP_2)
	v_alignbit_b32 v35, v37, v35, v40
	v_fma_f32 v37, 0x3fc90fda, v39, -v43
	s_delay_alu instid0(VALU_DEP_2) | instskip(NEXT) | instid1(VALU_DEP_2)
	v_lshrrev_b32_e32 v35, 9, v35
	v_fmac_f32_e32 v37, 0x33a22168, v39
	s_delay_alu instid0(VALU_DEP_2) | instskip(NEXT) | instid1(VALU_DEP_1)
	v_or_b32_e32 v35, v36, v35
	v_fmac_f32_e32 v37, 0x3fc90fda, v35
	s_delay_alu instid0(VALU_DEP_1) | instskip(NEXT) | instid1(VALU_DEP_1)
	v_dual_add_f32 v18, v43, v37 :: v_dual_lshrrev_b32 v35, 30, v18
	v_add_nc_u32_e32 v35, v38, v35
	s_and_not1_saveexec_b32 s6, s38
	s_branch .LBB162_25
.LBB162_23:                             ;   in Loop: Header=BB162_4 Depth=1
	s_or_b32 exec_lo, exec_lo, s36
	s_and_not1_saveexec_b32 s6, s35
	s_cbranch_execnz .LBB162_32
	s_branch .LBB162_33
.LBB162_24:                             ;   in Loop: Header=BB162_4 Depth=1
	s_and_not1_saveexec_b32 s6, s38
.LBB162_25:                             ;   in Loop: Header=BB162_4 Depth=1
	v_mul_f32_e64 v18, 0x3f22f983, |v29|
	s_delay_alu instid0(VALU_DEP_1) | instskip(NEXT) | instid1(VALU_DEP_1)
	v_rndne_f32_e32 v35, v18
	v_fma_f32 v18, 0xbfc90fda, v35, |v29|
	s_delay_alu instid0(VALU_DEP_1) | instskip(NEXT) | instid1(VALU_DEP_1)
	v_fmac_f32_e32 v18, 0xb3a22168, v35
	v_fmac_f32_e32 v18, 0xa7c234c4, v35
	v_cvt_i32_f32_e32 v35, v35
; %bb.26:                               ;   in Loop: Header=BB162_4 Depth=1
	s_or_b32 exec_lo, exec_lo, s6
                                        ; implicit-def: $vgpr37
                                        ; implicit-def: $vgpr36
	s_and_saveexec_b32 s6, s37
	s_delay_alu instid0(SALU_CYCLE_1)
	s_xor_b32 s37, exec_lo, s6
	s_cbranch_execz .LBB162_28
; %bb.27:                               ;   in Loop: Header=BB162_4 Depth=1
	v_mul_u64_e32 v[36:37], s[16:17], v[4:5]
	v_mov_b32_e32 v39, v5
	v_cmp_lt_u32_e32 vcc_lo, 63, v20
	s_delay_alu instid0(VALU_DEP_3) | instskip(SKIP_1) | instid1(VALU_DEP_2)
	v_mov_b32_e32 v38, v37
	v_cndmask_b32_e64 v37, 0, 0xffffffc0, vcc_lo
	v_mad_nc_u64_u32 v[38:39], 0x3c439041, v4, v[38:39]
	s_delay_alu instid0(VALU_DEP_1) | instskip(NEXT) | instid1(VALU_DEP_1)
	v_dual_mov_b32 v41, v5 :: v_dual_mov_b32 v40, v39
	v_mad_nc_u64_u32 v[40:41], 0xdb629599, v4, v[40:41]
	s_delay_alu instid0(VALU_DEP_1) | instskip(NEXT) | instid1(VALU_DEP_2)
	v_dual_mov_b32 v43, v5 :: v_dual_mov_b32 v42, v41
	v_cndmask_b32_e32 v36, v40, v36, vcc_lo
	s_delay_alu instid0(VALU_DEP_2) | instskip(NEXT) | instid1(VALU_DEP_1)
	v_mad_nc_u64_u32 v[42:43], 0xf534ddc0, v4, v[42:43]
	v_dual_mov_b32 v45, v5 :: v_dual_mov_b32 v44, v43
	s_delay_alu instid0(VALU_DEP_1) | instskip(NEXT) | instid1(VALU_DEP_1)
	v_mad_nc_u64_u32 v[44:45], 0xfc2757d1, v4, v[44:45]
	v_dual_mov_b32 v47, v5 :: v_dual_mov_b32 v46, v45
	s_delay_alu instid0(VALU_DEP_1) | instskip(SKIP_1) | instid1(VALU_DEP_2)
	v_mad_nc_u64_u32 v[46:47], 0x4e441529, v4, v[46:47]
	v_add_nc_u32_e32 v20, v37, v20
	v_dual_mov_b32 v49, v5 :: v_dual_mov_b32 v48, v47
	s_delay_alu instid0(VALU_DEP_2) | instskip(NEXT) | instid1(VALU_DEP_2)
	v_cmp_lt_u32_e64 s6, 31, v20
	v_mad_nc_u64_u32 v[48:49], 0xa2f9836e, v4, v[48:49]
	s_delay_alu instid0(VALU_DEP_2) | instskip(NEXT) | instid1(VALU_DEP_1)
	v_cndmask_b32_e64 v37, 0, 0xffffffe0, s6
	v_dual_cndmask_b32 v37, v46, v42 :: v_dual_add_nc_u32 v4, v37, v20
	s_delay_alu instid0(VALU_DEP_1) | instskip(NEXT) | instid1(VALU_DEP_4)
	v_cmp_lt_u32_e64 s7, 31, v4
	v_dual_cndmask_b32 v39, v48, v44, vcc_lo :: v_dual_cndmask_b32 v41, v49, v46, vcc_lo
	v_cndmask_b32_e32 v43, v44, v40, vcc_lo
	s_delay_alu instid0(VALU_DEP_3) | instskip(NEXT) | instid1(VALU_DEP_1)
	v_cndmask_b32_e64 v20, 0, 0xffffffe0, s7
	v_dual_add_nc_u32 v4, v20, v4 :: v_dual_cndmask_b32 v20, v42, v38, vcc_lo
	s_delay_alu instid0(VALU_DEP_4) | instskip(NEXT) | instid1(VALU_DEP_2)
	v_dual_cndmask_b32 v38, v39, v37, s6 :: v_dual_cndmask_b32 v39, v41, v39, s6
	v_dual_cndmask_b32 v37, v37, v43, s6 :: v_dual_sub_nc_u32 v41, 32, v4
	s_delay_alu instid0(VALU_DEP_3) | instskip(SKIP_1) | instid1(VALU_DEP_3)
	v_cndmask_b32_e64 v42, v43, v20, s6
	v_cmp_eq_u32_e32 vcc_lo, 0, v4
	v_dual_cndmask_b32 v39, v39, v38, s7 :: v_dual_cndmask_b32 v38, v38, v37, s7
	v_cndmask_b32_e64 v20, v20, v36, s6
	s_delay_alu instid0(VALU_DEP_2) | instskip(NEXT) | instid1(VALU_DEP_1)
	v_alignbit_b32 v43, v39, v38, v41
	v_dual_cndmask_b32 v37, v37, v42, s7 :: v_dual_cndmask_b32 v4, v43, v39, vcc_lo
	s_delay_alu instid0(VALU_DEP_1) | instskip(NEXT) | instid1(VALU_DEP_1)
	v_alignbit_b32 v40, v38, v37, v41
	v_cndmask_b32_e32 v36, v40, v38, vcc_lo
	s_delay_alu instid0(VALU_DEP_3) | instskip(NEXT) | instid1(VALU_DEP_1)
	v_bfe_u32 v38, v4, 29, 1
	v_dual_sub_nc_u32 v40, 0, v38 :: v_dual_cndmask_b32 v20, v42, v20, s7
	s_delay_alu instid0(VALU_DEP_3) | instskip(NEXT) | instid1(VALU_DEP_2)
	v_alignbit_b32 v39, v4, v36, 30
	v_alignbit_b32 v41, v37, v20, v41
	s_delay_alu instid0(VALU_DEP_1) | instskip(NEXT) | instid1(VALU_DEP_1)
	v_dual_cndmask_b32 v37, v41, v37, vcc_lo :: v_dual_bitop2_b32 v39, v39, v40 bitop3:0x14
	v_clz_i32_u32_e32 v41, v39
	s_delay_alu instid0(VALU_DEP_2) | instskip(NEXT) | instid1(VALU_DEP_2)
	v_alignbit_b32 v36, v36, v37, 30
	v_min_u32_e32 v41, 32, v41
	v_alignbit_b32 v20, v37, v20, 30
	s_delay_alu instid0(VALU_DEP_2) | instskip(NEXT) | instid1(VALU_DEP_2)
	v_dual_sub_nc_u32 v37, 31, v41 :: v_dual_bitop2_b32 v36, v36, v40 bitop3:0x14
	v_xor_b32_e32 v20, v20, v40
	v_dual_lshrrev_b32 v40, 29, v4 :: v_dual_lshlrev_b32 v42, 23, v41
	v_lshrrev_b32_e32 v4, 30, v4
	s_delay_alu instid0(VALU_DEP_4) | instskip(NEXT) | instid1(VALU_DEP_4)
	v_alignbit_b32 v39, v39, v36, v37
	v_alignbit_b32 v20, v36, v20, v37
	s_delay_alu instid0(VALU_DEP_4) | instskip(NEXT) | instid1(VALU_DEP_2)
	v_lshlrev_b32_e32 v36, 31, v40
	v_alignbit_b32 v37, v39, v20, 9
	s_delay_alu instid0(VALU_DEP_2) | instskip(SKIP_1) | instid1(VALU_DEP_3)
	v_dual_lshrrev_b32 v39, 9, v39 :: v_dual_bitop2_b32 v40, 0.5, v36 bitop3:0x54
	v_or_b32_e32 v36, 0x33000000, v36
	v_clz_i32_u32_e32 v43, v37
	s_delay_alu instid0(VALU_DEP_3) | instskip(NEXT) | instid1(VALU_DEP_2)
	v_sub_nc_u32_e32 v40, v40, v42
	v_min_u32_e32 v42, 32, v43
	s_delay_alu instid0(VALU_DEP_1) | instskip(NEXT) | instid1(VALU_DEP_3)
	v_add_lshl_u32 v41, v42, v41, 23
	v_or_b32_e32 v39, v39, v40
	v_not_b32_e32 v40, v42
	s_delay_alu instid0(VALU_DEP_2) | instskip(NEXT) | instid1(VALU_DEP_2)
	v_dual_mul_f32 v43, 0x3fc90fda, v39 :: v_dual_sub_nc_u32 v36, v36, v41
	v_alignbit_b32 v20, v37, v20, v40
	s_delay_alu instid0(VALU_DEP_2) | instskip(NEXT) | instid1(VALU_DEP_1)
	v_fma_f32 v37, 0x3fc90fda, v39, -v43
	v_dual_fmac_f32 v37, 0x33a22168, v39 :: v_dual_lshrrev_b32 v20, 9, v20
	s_delay_alu instid0(VALU_DEP_1) | instskip(NEXT) | instid1(VALU_DEP_1)
	v_or_b32_e32 v20, v36, v20
	v_fmac_f32_e32 v37, 0x3fc90fda, v20
	s_delay_alu instid0(VALU_DEP_1)
	v_dual_add_f32 v36, v43, v37 :: v_dual_add_nc_u32 v37, v38, v4
	s_and_not1_saveexec_b32 s6, s37
	s_cbranch_execnz .LBB162_29
	s_branch .LBB162_30
.LBB162_28:                             ;   in Loop: Header=BB162_4 Depth=1
	s_and_not1_saveexec_b32 s6, s37
.LBB162_29:                             ;   in Loop: Header=BB162_4 Depth=1
	v_mul_f32_e64 v4, 0x3f22f983, |v29|
	s_delay_alu instid0(VALU_DEP_1) | instskip(NEXT) | instid1(VALU_DEP_1)
	v_rndne_f32_e32 v4, v4
	v_fma_f32 v36, 0xbfc90fda, v4, |v29|
	v_cvt_i32_f32_e32 v37, v4
	s_delay_alu instid0(VALU_DEP_2) | instskip(NEXT) | instid1(VALU_DEP_1)
	v_fmac_f32_e32 v36, 0xb3a22168, v4
	v_fmac_f32_e32 v36, 0xa7c234c4, v4
.LBB162_30:                             ;   in Loop: Header=BB162_4 Depth=1
	s_or_b32 exec_lo, exec_lo, s6
	v_dual_mul_f32 v4, v18, v18 :: v_dual_bitop2_b32 v20, 1, v35 bitop3:0x40
	v_lshlrev_b32_e32 v35, 30, v35
	v_mul_f32_e64 v38, 0xbfb8aa3b, |v28|
	s_delay_alu instid0(VALU_DEP_3) | instskip(NEXT) | instid1(VALU_DEP_4)
	v_fmaak_f32 v40, s33, v4, 0xbab64f3b
	v_cmp_eq_u32_e32 vcc_lo, 0, v20
	s_delay_alu instid0(VALU_DEP_4) | instskip(NEXT) | instid1(VALU_DEP_4)
	v_bitop3_b32 v34, v34, v35, 0x80000000 bitop3:0x78
	v_rndne_f32_e32 v35, v38
	v_fma_f32 v42, 0xbfb8aa3b, |v28|, -v38
	s_delay_alu instid0(VALU_DEP_2) | instskip(NEXT) | instid1(VALU_DEP_2)
	v_dual_fmaak_f32 v39, s31, v4, 0x3c0881c4 :: v_dual_sub_f32 v38, v38, v35
	v_fma_f32 v42, 0xb2a5705f, |v28|, v42
	s_delay_alu instid0(VALU_DEP_2) | instskip(SKIP_1) | instid1(VALU_DEP_3)
	v_fmaak_f32 v39, v4, v39, 0xbe2aaa9d
	v_cvt_i32_f32_e32 v35, v35
	v_add_f32_e32 v38, v38, v42
	s_delay_alu instid0(VALU_DEP_3) | instskip(SKIP_1) | instid1(VALU_DEP_3)
	v_dual_fmaak_f32 v40, v4, v40, 0x3d2aabf7 :: v_dual_mul_f32 v39, v4, v39
	v_mul_f32_e32 v41, v36, v36
	v_exp_f32_e32 v20, v38
	s_delay_alu instid0(VALU_DEP_2) | instskip(NEXT) | instid1(VALU_DEP_2)
	v_fmaak_f32 v40, v4, v40, 0xbf000004
	v_dual_fmac_f32 v18, v18, v39 :: v_dual_fmaak_f32 v43, s31, v41, 0x3c0881c4
	v_fmaak_f32 v44, s33, v41, 0xbab64f3b
	s_delay_alu instid0(VALU_DEP_3) | instskip(NEXT) | instid1(TRANS32_DEP_1)
	v_fma_f32 v4, v4, v40, 1.0
	v_ldexp_f32 v20, v20, v35
	s_delay_alu instid0(VALU_DEP_2) | instskip(NEXT) | instid1(VALU_DEP_1)
	v_dual_fmaak_f32 v43, v41, v43, 0xbe2aaa9d :: v_dual_cndmask_b32 v4, v4, v18
	v_dual_fmaak_f32 v39, v41, v44, 0x3d2aabf7 :: v_dual_mul_f32 v40, v41, v43
	s_delay_alu instid0(VALU_DEP_2) | instskip(NEXT) | instid1(VALU_DEP_2)
	v_xor3_b32 v4, v34, v4, v29
	v_fmaak_f32 v18, v41, v39, 0xbf000004
	s_delay_alu instid0(VALU_DEP_3) | instskip(NEXT) | instid1(VALU_DEP_3)
	v_dual_fmac_f32 v36, v36, v40 :: v_dual_lshlrev_b32 v29, 30, v37
	v_mul_f32_e32 v4, 4.0, v4
	s_delay_alu instid0(VALU_DEP_3) | instskip(SKIP_1) | instid1(VALU_DEP_1)
	v_fma_f32 v18, v41, v18, 1.0
	v_and_b32_e32 v38, 1, v37
	v_cmp_eq_u32_e32 vcc_lo, 0, v38
	s_delay_alu instid0(VALU_DEP_3) | instskip(SKIP_1) | instid1(VALU_DEP_2)
	v_cndmask_b32_e64 v18, -v36, v18, vcc_lo
	v_cmp_nlt_f32_e64 vcc_lo, 0x42ce8ed0, |v28|
	v_bitop3_b32 v18, v29, v18, 0x80000000 bitop3:0x6c
	v_cndmask_b32_e32 v20, 0, v20, vcc_lo
	v_cmp_ngt_f32_e64 vcc_lo, 0xc2b17218, |v28|
	v_bfi_b32 v28, 0x7fffffff, 1.0, v28
	s_delay_alu instid0(VALU_DEP_4) | instskip(NEXT) | instid1(VALU_DEP_4)
	v_mul_f32_e32 v4, v4, v18
	v_cndmask_b32_e32 v20, 0x7f800000, v20, vcc_lo
	s_delay_alu instid0(VALU_DEP_1) | instskip(NEXT) | instid1(VALU_DEP_1)
	v_mul_f32_e32 v4, v20, v4
	v_mul_f32_e32 v29, v20, v4
	s_or_b32 exec_lo, exec_lo, s36
.LBB162_31:                             ;   in Loop: Header=BB162_4 Depth=1
	s_and_not1_saveexec_b32 s6, s35
.LBB162_32:                             ;   in Loop: Header=BB162_4 Depth=1
	s_delay_alu instid0(VALU_DEP_1) | instskip(NEXT) | instid1(VALU_DEP_1)
	v_sub_f32_e32 v29, v29, v29
	v_mov_b32_e32 v28, v29
.LBB162_33:                             ;   in Loop: Header=BB162_4 Depth=1
	s_or_b32 exec_lo, exec_lo, s6
.LBB162_34:                             ;   in Loop: Header=BB162_4 Depth=1
	s_and_not1_saveexec_b32 s34, s34
	s_cbranch_execz .LBB162_50
; %bb.35:                               ;   in Loop: Header=BB162_4 Depth=1
	s_delay_alu instid0(VALU_DEP_1) | instskip(SKIP_1) | instid1(VALU_DEP_1)
	v_and_b32_e32 v4, 0x7fffff, v28
	s_mov_b32 s6, exec_lo
	v_cmpx_ne_u32_e32 0, v4
	s_xor_b32 s6, exec_lo, s6
; %bb.36:                               ;   in Loop: Header=BB162_4 Depth=1
	v_mul_f32_e32 v4, v29, v28
	v_cmp_eq_f32_e32 vcc_lo, 0, v29
	s_delay_alu instid0(VALU_DEP_2)
	v_cndmask_b32_e32 v29, v4, v29, vcc_lo
; %bb.37:                               ;   in Loop: Header=BB162_4 Depth=1
	s_and_not1_saveexec_b32 s35, s6
	s_cbranch_execz .LBB162_49
; %bb.38:                               ;   in Loop: Header=BB162_4 Depth=1
	s_mov_b32 s36, exec_lo
	s_delay_alu instid0(VALU_DEP_1)
	v_cmpx_neq_f32_e64 0x7f800000, |v29|
	s_cbranch_execz .LBB162_48
; %bb.39:                               ;   in Loop: Header=BB162_4 Depth=1
	v_and_b32_e32 v18, 0x7fffffff, v29
	v_cmp_ngt_f32_e64 s37, 0x48000000, |v29|
                                        ; implicit-def: $vgpr34
	s_delay_alu instid0(VALU_DEP_2) | instskip(SKIP_1) | instid1(VALU_DEP_2)
	v_lshrrev_b32_e32 v20, 23, v18
	v_and_or_b32 v4, v18, s26, 0x800000
	v_add_nc_u32_e32 v35, 0xffffff88, v20
                                        ; implicit-def: $vgpr20
	s_and_saveexec_b32 s6, s37
	s_delay_alu instid0(SALU_CYCLE_1)
	s_xor_b32 s38, exec_lo, s6
	s_cbranch_execz .LBB162_41
; %bb.40:                               ;   in Loop: Header=BB162_4 Depth=1
	v_mul_u64_e32 v[36:37], s[16:17], v[4:5]
	v_mov_b32_e32 v39, v5
	v_cmp_lt_u32_e32 vcc_lo, 63, v35
	v_mov_b32_e32 v49, v5
	v_cndmask_b32_e64 v20, 0, 0xffffffc0, vcc_lo
	s_delay_alu instid0(VALU_DEP_1) | instskip(NEXT) | instid1(VALU_DEP_1)
	v_add_nc_u32_e32 v20, v20, v35
	v_cmp_lt_u32_e64 s6, 31, v20
	s_delay_alu instid0(VALU_DEP_1) | instskip(NEXT) | instid1(VALU_DEP_1)
	v_cndmask_b32_e64 v34, 0, 0xffffffe0, s6
	v_dual_add_nc_u32 v20, v34, v20 :: v_dual_mov_b32 v38, v37
	s_delay_alu instid0(VALU_DEP_1) | instskip(NEXT) | instid1(VALU_DEP_2)
	v_cmp_lt_u32_e64 s7, 31, v20
	v_mad_nc_u64_u32 v[38:39], 0x3c439041, v4, v[38:39]
	v_mov_b32_e32 v41, v5
	s_delay_alu instid0(VALU_DEP_3) | instskip(NEXT) | instid1(VALU_DEP_3)
	v_cndmask_b32_e64 v34, 0, 0xffffffe0, s7
	v_mov_b32_e32 v40, v39
	s_delay_alu instid0(VALU_DEP_1) | instskip(NEXT) | instid1(VALU_DEP_1)
	v_mad_nc_u64_u32 v[40:41], 0xdb629599, v4, v[40:41]
	v_dual_mov_b32 v43, v5 :: v_dual_mov_b32 v42, v41
	s_delay_alu instid0(VALU_DEP_2) | instskip(NEXT) | instid1(VALU_DEP_2)
	v_cndmask_b32_e32 v36, v40, v36, vcc_lo
	v_mad_nc_u64_u32 v[42:43], 0xf534ddc0, v4, v[42:43]
	s_delay_alu instid0(VALU_DEP_1) | instskip(NEXT) | instid1(VALU_DEP_1)
	v_dual_mov_b32 v45, v5 :: v_dual_mov_b32 v44, v43
	v_mad_nc_u64_u32 v[44:45], 0xfc2757d1, v4, v[44:45]
	s_delay_alu instid0(VALU_DEP_1) | instskip(NEXT) | instid1(VALU_DEP_2)
	v_dual_mov_b32 v47, v5 :: v_dual_mov_b32 v46, v45
	v_cndmask_b32_e32 v43, v44, v40, vcc_lo
	s_delay_alu instid0(VALU_DEP_2) | instskip(NEXT) | instid1(VALU_DEP_1)
	v_mad_nc_u64_u32 v[46:47], 0x4e441529, v4, v[46:47]
	v_mov_b32_e32 v48, v47
	s_delay_alu instid0(VALU_DEP_1) | instskip(NEXT) | instid1(VALU_DEP_1)
	v_mad_nc_u64_u32 v[48:49], 0xa2f9836e, v4, v[48:49]
	v_dual_cndmask_b32 v37, v46, v42, vcc_lo :: v_dual_cndmask_b32 v39, v48, v44, vcc_lo
	s_delay_alu instid0(VALU_DEP_2) | instskip(NEXT) | instid1(VALU_DEP_2)
	v_dual_cndmask_b32 v41, v49, v46 :: v_dual_add_nc_u32 v20, v34, v20
	v_dual_cndmask_b32 v34, v42, v38, vcc_lo :: v_dual_cndmask_b32 v38, v39, v37, s6
	s_delay_alu instid0(VALU_DEP_2) | instskip(NEXT) | instid1(VALU_DEP_3)
	v_cndmask_b32_e64 v39, v41, v39, s6
	v_dual_cndmask_b32 v37, v37, v43, s6 :: v_dual_sub_nc_u32 v41, 32, v20
	s_delay_alu instid0(VALU_DEP_3) | instskip(SKIP_1) | instid1(VALU_DEP_3)
	v_cndmask_b32_e64 v42, v43, v34, s6
	v_cmp_eq_u32_e32 vcc_lo, 0, v20
	v_dual_cndmask_b32 v39, v39, v38, s7 :: v_dual_cndmask_b32 v38, v38, v37, s7
	s_delay_alu instid0(VALU_DEP_1) | instskip(NEXT) | instid1(VALU_DEP_1)
	v_alignbit_b32 v43, v39, v38, v41
	v_dual_cndmask_b32 v37, v37, v42, s7 :: v_dual_cndmask_b32 v20, v43, v39, vcc_lo
	s_delay_alu instid0(VALU_DEP_1) | instskip(NEXT) | instid1(VALU_DEP_1)
	v_alignbit_b32 v40, v38, v37, v41
	v_dual_cndmask_b32 v34, v34, v36, s6 :: v_dual_cndmask_b32 v36, v40, v38, vcc_lo
	s_delay_alu instid0(VALU_DEP_3) | instskip(NEXT) | instid1(VALU_DEP_2)
	v_bfe_u32 v38, v20, 29, 1
	v_alignbit_b32 v39, v20, v36, 30
	s_delay_alu instid0(VALU_DEP_2) | instskip(NEXT) | instid1(VALU_DEP_1)
	v_sub_nc_u32_e32 v40, 0, v38
	v_dual_cndmask_b32 v34, v42, v34, s7 :: v_dual_bitop2_b32 v39, v39, v40 bitop3:0x14
	s_delay_alu instid0(VALU_DEP_1) | instskip(NEXT) | instid1(VALU_DEP_1)
	v_alignbit_b32 v41, v37, v34, v41
	v_cndmask_b32_e32 v37, v41, v37, vcc_lo
	s_delay_alu instid0(VALU_DEP_3) | instskip(NEXT) | instid1(VALU_DEP_2)
	v_clz_i32_u32_e32 v41, v39
	v_alignbit_b32 v36, v36, v37, 30
	s_delay_alu instid0(VALU_DEP_2) | instskip(SKIP_1) | instid1(VALU_DEP_2)
	v_min_u32_e32 v41, 32, v41
	v_alignbit_b32 v34, v37, v34, 30
	v_dual_sub_nc_u32 v37, 31, v41 :: v_dual_bitop2_b32 v36, v36, v40 bitop3:0x14
	s_delay_alu instid0(VALU_DEP_2) | instskip(SKIP_1) | instid1(VALU_DEP_3)
	v_xor_b32_e32 v34, v34, v40
	v_dual_lshrrev_b32 v40, 29, v20 :: v_dual_lshlrev_b32 v42, 23, v41
	v_alignbit_b32 v39, v39, v36, v37
	s_delay_alu instid0(VALU_DEP_3) | instskip(NEXT) | instid1(VALU_DEP_3)
	v_alignbit_b32 v34, v36, v34, v37
	v_lshlrev_b32_e32 v36, 31, v40
	s_delay_alu instid0(VALU_DEP_2) | instskip(NEXT) | instid1(VALU_DEP_2)
	v_alignbit_b32 v37, v39, v34, 9
	v_dual_lshrrev_b32 v39, 9, v39 :: v_dual_bitop2_b32 v40, 0.5, v36 bitop3:0x54
	v_or_b32_e32 v36, 0x33000000, v36
	s_delay_alu instid0(VALU_DEP_3) | instskip(NEXT) | instid1(VALU_DEP_3)
	v_clz_i32_u32_e32 v43, v37
	v_sub_nc_u32_e32 v40, v40, v42
	s_delay_alu instid0(VALU_DEP_2) | instskip(NEXT) | instid1(VALU_DEP_1)
	v_min_u32_e32 v42, 32, v43
	v_add_lshl_u32 v41, v42, v41, 23
	s_delay_alu instid0(VALU_DEP_3) | instskip(SKIP_1) | instid1(VALU_DEP_2)
	v_or_b32_e32 v39, v39, v40
	v_not_b32_e32 v40, v42
	v_dual_mul_f32 v43, 0x3fc90fda, v39 :: v_dual_sub_nc_u32 v36, v36, v41
	s_delay_alu instid0(VALU_DEP_2) | instskip(NEXT) | instid1(VALU_DEP_2)
	v_alignbit_b32 v34, v37, v34, v40
	v_fma_f32 v37, 0x3fc90fda, v39, -v43
	s_delay_alu instid0(VALU_DEP_1) | instskip(NEXT) | instid1(VALU_DEP_1)
	v_dual_fmac_f32 v37, 0x33a22168, v39 :: v_dual_lshrrev_b32 v34, 9, v34
	v_or_b32_e32 v34, v36, v34
	s_delay_alu instid0(VALU_DEP_1) | instskip(NEXT) | instid1(VALU_DEP_1)
	v_dual_fmac_f32 v37, 0x3fc90fda, v34 :: v_dual_lshrrev_b32 v34, 30, v20
	v_dual_add_f32 v20, v43, v37 :: v_dual_add_nc_u32 v34, v38, v34
.LBB162_41:                             ;   in Loop: Header=BB162_4 Depth=1
	s_or_saveexec_b32 s6, s38
	v_mul_f32_e64 v36, 0x3f22f983, |v29|
	s_delay_alu instid0(VALU_DEP_1)
	v_rndne_f32_e32 v38, v36
	s_xor_b32 exec_lo, exec_lo, s6
; %bb.42:                               ;   in Loop: Header=BB162_4 Depth=1
	s_delay_alu instid0(VALU_DEP_1) | instskip(SKIP_1) | instid1(VALU_DEP_2)
	v_fma_f32 v20, 0xbfc90fda, v38, |v29|
	v_cvt_i32_f32_e32 v34, v38
	v_fmac_f32_e32 v20, 0xb3a22168, v38
	s_delay_alu instid0(VALU_DEP_1)
	v_fmac_f32_e32 v20, 0xa7c234c4, v38
; %bb.43:                               ;   in Loop: Header=BB162_4 Depth=1
	s_or_b32 exec_lo, exec_lo, s6
                                        ; implicit-def: $vgpr37
                                        ; implicit-def: $vgpr36
	s_and_saveexec_b32 s6, s37
	s_delay_alu instid0(SALU_CYCLE_1)
	s_xor_b32 s37, exec_lo, s6
	s_cbranch_execz .LBB162_45
; %bb.44:                               ;   in Loop: Header=BB162_4 Depth=1
	v_mul_u64_e32 v[36:37], s[16:17], v[4:5]
	v_mov_b32_e32 v39, v5
	v_cmp_lt_u32_e32 vcc_lo, 63, v35
	s_delay_alu instid0(VALU_DEP_3) | instskip(SKIP_1) | instid1(VALU_DEP_2)
	v_mov_b32_e32 v38, v37
	v_cndmask_b32_e64 v37, 0, 0xffffffc0, vcc_lo
	v_mad_nc_u64_u32 v[38:39], 0x3c439041, v4, v[38:39]
	s_delay_alu instid0(VALU_DEP_1) | instskip(NEXT) | instid1(VALU_DEP_1)
	v_dual_mov_b32 v41, v5 :: v_dual_mov_b32 v40, v39
	v_mad_nc_u64_u32 v[40:41], 0xdb629599, v4, v[40:41]
	s_delay_alu instid0(VALU_DEP_1) | instskip(NEXT) | instid1(VALU_DEP_2)
	v_dual_mov_b32 v43, v5 :: v_dual_mov_b32 v42, v41
	v_cndmask_b32_e32 v36, v40, v36, vcc_lo
	s_delay_alu instid0(VALU_DEP_2) | instskip(NEXT) | instid1(VALU_DEP_1)
	v_mad_nc_u64_u32 v[42:43], 0xf534ddc0, v4, v[42:43]
	v_dual_mov_b32 v45, v5 :: v_dual_mov_b32 v44, v43
	s_delay_alu instid0(VALU_DEP_1) | instskip(NEXT) | instid1(VALU_DEP_1)
	v_mad_nc_u64_u32 v[44:45], 0xfc2757d1, v4, v[44:45]
	v_dual_mov_b32 v47, v5 :: v_dual_mov_b32 v46, v45
	s_delay_alu instid0(VALU_DEP_2) | instskip(NEXT) | instid1(VALU_DEP_2)
	v_cndmask_b32_e32 v43, v44, v40, vcc_lo
	v_mad_nc_u64_u32 v[46:47], 0x4e441529, v4, v[46:47]
	v_add_nc_u32_e32 v35, v37, v35
	s_delay_alu instid0(VALU_DEP_2) | instskip(NEXT) | instid1(VALU_DEP_2)
	v_dual_mov_b32 v49, v5 :: v_dual_mov_b32 v48, v47
	v_cmp_lt_u32_e64 s6, 31, v35
	s_delay_alu instid0(VALU_DEP_2) | instskip(NEXT) | instid1(VALU_DEP_2)
	v_mad_nc_u64_u32 v[48:49], 0xa2f9836e, v4, v[48:49]
	v_cndmask_b32_e64 v37, 0, 0xffffffe0, s6
	s_delay_alu instid0(VALU_DEP_1) | instskip(NEXT) | instid1(VALU_DEP_3)
	v_dual_cndmask_b32 v37, v46, v42 :: v_dual_add_nc_u32 v4, v37, v35
	v_cndmask_b32_e32 v39, v48, v44, vcc_lo
	s_delay_alu instid0(VALU_DEP_2) | instskip(SKIP_1) | instid1(VALU_DEP_2)
	v_cmp_lt_u32_e64 s7, 31, v4
	v_cndmask_b32_e32 v41, v49, v46, vcc_lo
	v_cndmask_b32_e64 v35, 0, 0xffffffe0, s7
	s_delay_alu instid0(VALU_DEP_1) | instskip(NEXT) | instid1(VALU_DEP_3)
	v_dual_cndmask_b32 v35, v42, v38 :: v_dual_add_nc_u32 v4, v35, v4
	v_dual_cndmask_b32 v38, v39, v37, s6 :: v_dual_cndmask_b32 v39, v41, v39, s6
	s_delay_alu instid0(VALU_DEP_2) | instskip(NEXT) | instid1(VALU_DEP_3)
	v_dual_cndmask_b32 v37, v37, v43, s6 :: v_dual_sub_nc_u32 v41, 32, v4
	v_cndmask_b32_e64 v42, v43, v35, s6
	v_cmp_eq_u32_e32 vcc_lo, 0, v4
	s_delay_alu instid0(VALU_DEP_3) | instskip(NEXT) | instid1(VALU_DEP_1)
	v_dual_cndmask_b32 v39, v39, v38, s7 :: v_dual_cndmask_b32 v38, v38, v37, s7
	v_alignbit_b32 v43, v39, v38, v41
	s_delay_alu instid0(VALU_DEP_1) | instskip(NEXT) | instid1(VALU_DEP_1)
	v_dual_cndmask_b32 v37, v37, v42, s7 :: v_dual_cndmask_b32 v4, v43, v39, vcc_lo
	v_alignbit_b32 v40, v38, v37, v41
	s_delay_alu instid0(VALU_DEP_1) | instskip(NEXT) | instid1(VALU_DEP_3)
	v_dual_cndmask_b32 v35, v35, v36, s6 :: v_dual_cndmask_b32 v36, v40, v38, vcc_lo
	v_bfe_u32 v38, v4, 29, 1
	s_delay_alu instid0(VALU_DEP_2) | instskip(NEXT) | instid1(VALU_DEP_3)
	v_cndmask_b32_e64 v35, v42, v35, s7
	v_alignbit_b32 v39, v4, v36, 30
	s_delay_alu instid0(VALU_DEP_3) | instskip(NEXT) | instid1(VALU_DEP_3)
	v_sub_nc_u32_e32 v40, 0, v38
	v_alignbit_b32 v41, v37, v35, v41
	s_delay_alu instid0(VALU_DEP_1) | instskip(NEXT) | instid1(VALU_DEP_1)
	v_dual_cndmask_b32 v37, v41, v37, vcc_lo :: v_dual_bitop2_b32 v39, v39, v40 bitop3:0x14
	v_clz_i32_u32_e32 v41, v39
	s_delay_alu instid0(VALU_DEP_2) | instskip(SKIP_1) | instid1(VALU_DEP_3)
	v_alignbit_b32 v36, v36, v37, 30
	v_alignbit_b32 v35, v37, v35, 30
	v_min_u32_e32 v41, 32, v41
	s_delay_alu instid0(VALU_DEP_3) | instskip(NEXT) | instid1(VALU_DEP_3)
	v_xor_b32_e32 v36, v36, v40
	v_xor_b32_e32 v35, v35, v40
	v_dual_lshrrev_b32 v40, 29, v4 :: v_dual_lshrrev_b32 v4, 30, v4
	s_delay_alu instid0(VALU_DEP_4) | instskip(NEXT) | instid1(VALU_DEP_1)
	v_dual_sub_nc_u32 v37, 31, v41 :: v_dual_lshlrev_b32 v42, 23, v41
	v_alignbit_b32 v39, v39, v36, v37
	s_delay_alu instid0(VALU_DEP_4) | instskip(NEXT) | instid1(VALU_DEP_4)
	v_alignbit_b32 v35, v36, v35, v37
	v_lshlrev_b32_e32 v36, 31, v40
	s_delay_alu instid0(VALU_DEP_2) | instskip(NEXT) | instid1(VALU_DEP_2)
	v_alignbit_b32 v37, v39, v35, 9
	v_dual_lshrrev_b32 v39, 9, v39 :: v_dual_bitop2_b32 v40, 0.5, v36 bitop3:0x54
	v_or_b32_e32 v36, 0x33000000, v36
	s_delay_alu instid0(VALU_DEP_3) | instskip(NEXT) | instid1(VALU_DEP_3)
	v_clz_i32_u32_e32 v43, v37
	v_sub_nc_u32_e32 v40, v40, v42
	s_delay_alu instid0(VALU_DEP_2) | instskip(NEXT) | instid1(VALU_DEP_1)
	v_min_u32_e32 v42, 32, v43
	v_add_lshl_u32 v41, v42, v41, 23
	s_delay_alu instid0(VALU_DEP_3) | instskip(SKIP_1) | instid1(VALU_DEP_2)
	v_or_b32_e32 v39, v39, v40
	v_not_b32_e32 v40, v42
	v_dual_mul_f32 v43, 0x3fc90fda, v39 :: v_dual_sub_nc_u32 v36, v36, v41
	s_delay_alu instid0(VALU_DEP_2) | instskip(NEXT) | instid1(VALU_DEP_2)
	v_alignbit_b32 v35, v37, v35, v40
	v_fma_f32 v37, 0x3fc90fda, v39, -v43
	s_delay_alu instid0(VALU_DEP_2) | instskip(NEXT) | instid1(VALU_DEP_2)
	v_lshrrev_b32_e32 v35, 9, v35
	v_fmac_f32_e32 v37, 0x33a22168, v39
	s_delay_alu instid0(VALU_DEP_2) | instskip(NEXT) | instid1(VALU_DEP_1)
	v_or_b32_e32 v35, v36, v35
	v_fmac_f32_e32 v37, 0x3fc90fda, v35
	s_delay_alu instid0(VALU_DEP_1)
	v_dual_add_f32 v36, v43, v37 :: v_dual_add_nc_u32 v37, v38, v4
                                        ; implicit-def: $vgpr38
	s_and_not1_saveexec_b32 s6, s37
	s_cbranch_execnz .LBB162_46
	s_branch .LBB162_47
.LBB162_45:                             ;   in Loop: Header=BB162_4 Depth=1
	s_and_not1_saveexec_b32 s6, s37
.LBB162_46:                             ;   in Loop: Header=BB162_4 Depth=1
	v_fma_f32 v36, 0xbfc90fda, v38, |v29|
	v_cvt_i32_f32_e32 v37, v38
	s_delay_alu instid0(VALU_DEP_2) | instskip(NEXT) | instid1(VALU_DEP_1)
	v_fmac_f32_e32 v36, 0xb3a22168, v38
	v_fmac_f32_e32 v36, 0xa7c234c4, v38
.LBB162_47:                             ;   in Loop: Header=BB162_4 Depth=1
	s_or_b32 exec_lo, exec_lo, s6
	s_delay_alu instid0(VALU_DEP_1) | instskip(SKIP_1) | instid1(VALU_DEP_2)
	v_mul_f32_e32 v35, v36, v36
	v_dual_mul_f32 v4, v20, v20 :: v_dual_bitop2_b32 v38, 1, v34 bitop3:0x40
	v_dual_fmaak_f32 v41, s31, v35, 0x3c0881c4 :: v_dual_lshlrev_b32 v34, 30, v34
	s_delay_alu instid0(VALU_DEP_2) | instskip(NEXT) | instid1(VALU_DEP_2)
	v_cmp_eq_u32_e32 vcc_lo, 0, v38
	v_bitop3_b32 v18, v18, v34, 0x80000000 bitop3:0x78
	s_delay_alu instid0(VALU_DEP_3) | instskip(NEXT) | instid1(VALU_DEP_1)
	v_fmaak_f32 v41, v35, v41, 0xbe2aaa9d
	v_dual_fmaak_f32 v42, s33, v35, 0xbab64f3b :: v_dual_mul_f32 v41, v35, v41
	v_fmaak_f32 v39, s31, v4, 0x3c0881c4
	s_delay_alu instid0(VALU_DEP_2) | instskip(NEXT) | instid1(VALU_DEP_3)
	v_fmaak_f32 v42, v35, v42, 0x3d2aabf7
	v_fmac_f32_e32 v36, v36, v41
	s_delay_alu instid0(VALU_DEP_3) | instskip(SKIP_1) | instid1(VALU_DEP_2)
	v_fmaak_f32 v39, v4, v39, 0xbe2aaa9d
	v_fmaak_f32 v40, s33, v4, 0xbab64f3b
	v_dual_fmaak_f32 v42, v35, v42, 0xbf000004 :: v_dual_mul_f32 v39, v4, v39
	s_delay_alu instid0(VALU_DEP_2) | instskip(NEXT) | instid1(VALU_DEP_2)
	v_fmaak_f32 v40, v4, v40, 0x3d2aabf7
	v_fma_f32 v35, v35, v42, 1.0
	v_dual_lshlrev_b32 v37, 30, v37 :: v_dual_bitop2_b32 v43, 1, v37 bitop3:0x40
	s_delay_alu instid0(VALU_DEP_4) | instskip(NEXT) | instid1(VALU_DEP_4)
	v_fmac_f32_e32 v20, v20, v39
	v_fmaak_f32 v40, v4, v40, 0xbf000004
	s_delay_alu instid0(VALU_DEP_1) | instskip(NEXT) | instid1(VALU_DEP_1)
	v_fma_f32 v4, v4, v40, 1.0
	v_cndmask_b32_e32 v4, v4, v20, vcc_lo
	v_cmp_eq_u32_e32 vcc_lo, 0, v43
	s_delay_alu instid0(VALU_DEP_2) | instskip(SKIP_2) | instid1(VALU_DEP_2)
	v_xor3_b32 v4, v18, v4, v29
	v_cndmask_b32_e64 v20, -v36, v35, vcc_lo
	v_cmp_class_f32_e64 vcc_lo, v29, 0x1f8
	v_bitop3_b32 v18, v37, v20, 0x80000000 bitop3:0x6c
	s_delay_alu instid0(VALU_DEP_1) | instskip(NEXT) | instid1(VALU_DEP_1)
	v_mul_f32_e32 v4, v4, v18
	v_cndmask_b32_e32 v29, 0x7fc00000, v4, vcc_lo
.LBB162_48:                             ;   in Loop: Header=BB162_4 Depth=1
	s_or_b32 exec_lo, exec_lo, s36
	v_add_nc_u32_e32 v28, -2.0, v28
	s_delay_alu instid0(VALU_DEP_2)
	v_bfi_b32 v29, 0x7fffffff, 0, v29
.LBB162_49:                             ;   in Loop: Header=BB162_4 Depth=1
	s_or_b32 exec_lo, exec_lo, s35
.LBB162_50:                             ;   in Loop: Header=BB162_4 Depth=1
	s_delay_alu instid0(SALU_CYCLE_1) | instskip(SKIP_2) | instid1(VALU_DEP_1)
	s_or_b32 exec_lo, exec_lo, s34
	v_and_b32_e32 v18, 0x7fffffff, v30
	s_mov_b32 s6, exec_lo
	v_cmpx_gt_u32_e32 0x7f800000, v18
	s_xor_b32 s34, exec_lo, s6
	s_cbranch_execz .LBB162_72
; %bb.51:                               ;   in Loop: Header=BB162_4 Depth=1
	v_cmp_class_f32_e64 s6, v31, 0x1f8
	s_and_saveexec_b32 s7, s6
	s_delay_alu instid0(SALU_CYCLE_1)
	s_xor_b32 s35, exec_lo, s7
	s_cbranch_execz .LBB162_69
; %bb.52:                               ;   in Loop: Header=BB162_4 Depth=1
	v_and_b32_e32 v34, 0x7fffffff, v31
	s_mov_b32 s6, exec_lo
	v_cmpx_gt_u32_e32 0x41300000, v18
	s_xor_b32 s36, exec_lo, s6
	s_cbranch_execz .LBB162_58
; %bb.53:                               ;   in Loop: Header=BB162_4 Depth=1
                                        ; implicit-def: $vgpr4
                                        ; implicit-def: $vgpr35
	s_mov_b32 s7, exec_lo
	v_cmpx_ngt_f32_e64 0x48000000, |v31|
	s_xor_b32 s37, exec_lo, s7
	s_cbranch_execz .LBB162_55
; %bb.54:                               ;   in Loop: Header=BB162_4 Depth=1
	v_and_or_b32 v4, v34, s26, 0x800000
	v_dual_mov_b32 v47, v5 :: v_dual_lshrrev_b32 v20, 23, v34
	v_mov_b32_e32 v49, v5
	s_delay_alu instid0(VALU_DEP_3) | instskip(NEXT) | instid1(VALU_DEP_3)
	v_mul_u64_e32 v[36:37], s[16:17], v[4:5]
	v_dual_mov_b32 v39, v5 :: v_dual_add_nc_u32 v20, 0xffffff88, v20
	s_delay_alu instid0(VALU_DEP_1) | instskip(SKIP_1) | instid1(VALU_DEP_1)
	v_cmp_lt_u32_e32 vcc_lo, 63, v20
	v_cndmask_b32_e64 v35, 0, 0xffffffc0, vcc_lo
	v_add_nc_u32_e32 v20, v35, v20
	s_delay_alu instid0(VALU_DEP_1) | instskip(NEXT) | instid1(VALU_DEP_1)
	v_cmp_lt_u32_e64 s6, 31, v20
	v_cndmask_b32_e64 v35, 0, 0xffffffe0, s6
	v_mov_b32_e32 v38, v37
	s_delay_alu instid0(VALU_DEP_1) | instskip(NEXT) | instid1(VALU_DEP_1)
	v_mad_nc_u64_u32 v[38:39], 0x3c439041, v4, v[38:39]
	v_dual_mov_b32 v41, v5 :: v_dual_mov_b32 v40, v39
	s_delay_alu instid0(VALU_DEP_1) | instskip(NEXT) | instid1(VALU_DEP_1)
	v_mad_nc_u64_u32 v[40:41], 0xdb629599, v4, v[40:41]
	v_dual_mov_b32 v43, v5 :: v_dual_mov_b32 v42, v41
	;; [unrolled: 3-line block ×3, first 2 shown]
	s_delay_alu instid0(VALU_DEP_1) | instskip(NEXT) | instid1(VALU_DEP_1)
	v_mad_nc_u64_u32 v[44:45], 0xfc2757d1, v4, v[44:45]
	v_mov_b32_e32 v46, v45
	s_delay_alu instid0(VALU_DEP_1) | instskip(NEXT) | instid1(VALU_DEP_1)
	v_mad_nc_u64_u32 v[46:47], 0x4e441529, v4, v[46:47]
	v_mov_b32_e32 v48, v47
	s_delay_alu instid0(VALU_DEP_1) | instskip(NEXT) | instid1(VALU_DEP_3)
	v_mad_nc_u64_u32 v[48:49], 0xa2f9836e, v4, v[48:49]
	v_dual_cndmask_b32 v35, v46, v42 :: v_dual_add_nc_u32 v4, v35, v20
	s_delay_alu instid0(VALU_DEP_2) | instskip(NEXT) | instid1(VALU_DEP_2)
	v_cndmask_b32_e32 v39, v49, v46, vcc_lo
	v_cmp_lt_u32_e64 s7, 31, v4
	s_delay_alu instid0(VALU_DEP_4) | instskip(SKIP_1) | instid1(VALU_DEP_3)
	v_cndmask_b32_e32 v37, v48, v44, vcc_lo
	v_cndmask_b32_e32 v41, v44, v40, vcc_lo
	v_cndmask_b32_e64 v20, 0, 0xffffffe0, s7
	s_delay_alu instid0(VALU_DEP_1) | instskip(NEXT) | instid1(VALU_DEP_4)
	v_dual_add_nc_u32 v4, v20, v4 :: v_dual_cndmask_b32 v20, v42, v38, vcc_lo
	v_dual_cndmask_b32 v38, v37, v35, s6 :: v_dual_cndmask_b32 v37, v39, v37, s6
	s_delay_alu instid0(VALU_DEP_2) | instskip(NEXT) | instid1(VALU_DEP_3)
	v_dual_cndmask_b32 v35, v35, v41, s6 :: v_dual_sub_nc_u32 v39, 32, v4
	v_cndmask_b32_e64 v41, v41, v20, s6
	s_delay_alu instid0(VALU_DEP_2) | instskip(NEXT) | instid1(VALU_DEP_2)
	v_dual_cndmask_b32 v37, v37, v38, s7 :: v_dual_cndmask_b32 v38, v38, v35, s7
	v_cndmask_b32_e64 v35, v35, v41, s7
	s_delay_alu instid0(VALU_DEP_2) | instskip(SKIP_2) | instid1(VALU_DEP_4)
	v_alignbit_b32 v42, v37, v38, v39
	v_cndmask_b32_e32 v36, v40, v36, vcc_lo
	v_cmp_eq_u32_e32 vcc_lo, 0, v4
	v_alignbit_b32 v40, v38, v35, v39
	s_delay_alu instid0(VALU_DEP_4) | instskip(NEXT) | instid1(VALU_DEP_1)
	v_cndmask_b32_e32 v4, v42, v37, vcc_lo
	v_bfe_u32 v37, v4, 29, 1
	v_cndmask_b32_e64 v20, v20, v36, s6
	s_delay_alu instid0(VALU_DEP_2) | instskip(NEXT) | instid1(VALU_DEP_2)
	v_dual_cndmask_b32 v36, v40, v38, vcc_lo :: v_dual_sub_nc_u32 v40, 0, v37
	v_cndmask_b32_e64 v20, v41, v20, s7
	s_delay_alu instid0(VALU_DEP_2) | instskip(NEXT) | instid1(VALU_DEP_2)
	v_alignbit_b32 v38, v4, v36, 30
	v_alignbit_b32 v39, v35, v20, v39
	s_delay_alu instid0(VALU_DEP_1) | instskip(NEXT) | instid1(VALU_DEP_1)
	v_dual_cndmask_b32 v35, v39, v35, vcc_lo :: v_dual_bitop2_b32 v38, v38, v40 bitop3:0x14
	v_clz_i32_u32_e32 v39, v38
	s_delay_alu instid0(VALU_DEP_2) | instskip(NEXT) | instid1(VALU_DEP_2)
	v_alignbit_b32 v36, v36, v35, 30
	v_min_u32_e32 v39, 32, v39
	v_alignbit_b32 v20, v35, v20, 30
	s_delay_alu instid0(VALU_DEP_2) | instskip(NEXT) | instid1(VALU_DEP_2)
	v_dual_sub_nc_u32 v36, 31, v39 :: v_dual_bitop2_b32 v35, v36, v40 bitop3:0x14
	v_xor_b32_e32 v20, v20, v40
	v_dual_lshrrev_b32 v40, 29, v4 :: v_dual_lshlrev_b32 v41, 23, v39
	v_lshrrev_b32_e32 v4, 30, v4
	s_delay_alu instid0(VALU_DEP_4) | instskip(NEXT) | instid1(VALU_DEP_4)
	v_alignbit_b32 v38, v38, v35, v36
	v_alignbit_b32 v20, v35, v20, v36
	s_delay_alu instid0(VALU_DEP_4) | instskip(NEXT) | instid1(VALU_DEP_4)
	v_lshlrev_b32_e32 v35, 31, v40
	v_add_nc_u32_e32 v4, v37, v4
	s_delay_alu instid0(VALU_DEP_3) | instskip(NEXT) | instid1(VALU_DEP_3)
	v_alignbit_b32 v36, v38, v20, 9
	v_dual_lshrrev_b32 v38, 9, v38 :: v_dual_bitop2_b32 v40, 0.5, v35 bitop3:0x54
	v_or_b32_e32 v35, 0x33000000, v35
	s_delay_alu instid0(VALU_DEP_3) | instskip(NEXT) | instid1(VALU_DEP_3)
	v_clz_i32_u32_e32 v42, v36
	v_sub_nc_u32_e32 v40, v40, v41
	s_delay_alu instid0(VALU_DEP_2) | instskip(NEXT) | instid1(VALU_DEP_1)
	v_min_u32_e32 v41, 32, v42
	v_add_lshl_u32 v39, v41, v39, 23
	s_delay_alu instid0(VALU_DEP_1) | instskip(SKIP_1) | instid1(VALU_DEP_2)
	v_dual_sub_nc_u32 v35, v35, v39 :: v_dual_bitop2_b32 v38, v38, v40 bitop3:0x54
	v_not_b32_e32 v40, v41
	v_mul_f32_e32 v42, 0x3fc90fda, v38
	s_delay_alu instid0(VALU_DEP_2) | instskip(NEXT) | instid1(VALU_DEP_2)
	v_alignbit_b32 v20, v36, v20, v40
	v_fma_f32 v36, 0x3fc90fda, v38, -v42
	s_delay_alu instid0(VALU_DEP_2) | instskip(NEXT) | instid1(VALU_DEP_2)
	v_lshrrev_b32_e32 v20, 9, v20
	v_fmac_f32_e32 v36, 0x33a22168, v38
	s_delay_alu instid0(VALU_DEP_2) | instskip(NEXT) | instid1(VALU_DEP_1)
	v_or_b32_e32 v20, v35, v20
	v_fmac_f32_e32 v36, 0x3fc90fda, v20
	s_delay_alu instid0(VALU_DEP_1)
	v_add_f32_e32 v35, v42, v36
.LBB162_55:                             ;   in Loop: Header=BB162_4 Depth=1
	s_and_not1_saveexec_b32 s6, s37
; %bb.56:                               ;   in Loop: Header=BB162_4 Depth=1
	v_mul_f32_e64 v4, 0x3f22f983, |v31|
	s_delay_alu instid0(VALU_DEP_1) | instskip(NEXT) | instid1(VALU_DEP_1)
	v_rndne_f32_e32 v4, v4
	v_fma_f32 v35, 0xbfc90fda, v4, |v31|
	s_delay_alu instid0(VALU_DEP_1) | instskip(NEXT) | instid1(VALU_DEP_1)
	v_fmac_f32_e32 v35, 0xb3a22168, v4
	v_fmac_f32_e32 v35, 0xa7c234c4, v4
	v_cvt_i32_f32_e32 v4, v4
; %bb.57:                               ;   in Loop: Header=BB162_4 Depth=1
	s_or_b32 exec_lo, exec_lo, s6
	v_add_f32_e64 v20, 0xbf317218, |v30|
	v_cmp_nlt_f32_e64 vcc_lo, 0x42b2d4fc, |v30|
	v_cmp_gt_f32_e64 s6, 0x39800000, |v30|
	v_and_b32_e32 v4, 1, v4
	s_delay_alu instid0(VALU_DEP_4) | instskip(NEXT) | instid1(VALU_DEP_1)
	v_sub_f32_e64 v37, v20, |v30|
	v_sub_f32_e32 v36, v37, v20
	s_delay_alu instid0(VALU_DEP_1) | instskip(NEXT) | instid1(VALU_DEP_1)
	v_pk_add_f32 v[36:37], v[18:19], v[36:37]
	v_sub_f32_e32 v18, v36, v37
	s_delay_alu instid0(VALU_DEP_1) | instskip(NEXT) | instid1(VALU_DEP_1)
	v_add_f32_e32 v18, 0x3102e308, v18
	v_add_f32_e32 v37, v20, v18
	s_delay_alu instid0(VALU_DEP_1) | instskip(SKIP_1) | instid1(VALU_DEP_2)
	v_mul_f32_e32 v36, 0x3fb8aa3b, v37
	v_sub_f32_e32 v20, v20, v37
	v_rndne_f32_e32 v44, v36
	s_delay_alu instid0(VALU_DEP_2) | instskip(NEXT) | instid1(VALU_DEP_2)
	v_add_f32_e32 v18, v18, v20
	v_fmac_f32_e32 v37, 0xbf317200, v44
	v_mul_f32_e32 v20, 0x35bfbc00, v44
	s_delay_alu instid0(VALU_DEP_2) | instskip(NEXT) | instid1(VALU_DEP_1)
	v_dual_mul_f32 v39, 0x2ea39ef3, v44 :: v_dual_add_f32 v38, v18, v37
	v_dual_sub_f32 v36, v38, v20 :: v_dual_sub_f32 v37, v37, v38
	s_delay_alu instid0(VALU_DEP_1) | instskip(NEXT) | instid1(VALU_DEP_2)
	v_sub_f32_e32 v38, v38, v36
	v_add_f32_e32 v18, v18, v37
	s_delay_alu instid0(VALU_DEP_2) | instskip(NEXT) | instid1(VALU_DEP_1)
	v_sub_f32_e32 v20, v38, v20
	v_add_f32_e32 v18, v18, v20
	s_delay_alu instid0(VALU_DEP_1) | instskip(NEXT) | instid1(VALU_DEP_1)
	v_add_f32_e32 v37, v36, v18
	v_mov_b32_e32 v38, v37
	s_delay_alu instid0(VALU_DEP_1) | instskip(NEXT) | instid1(VALU_DEP_1)
	v_pk_add_f32 v[40:41], v[36:37], v[38:39] neg_lo:[0,1] neg_hi:[0,1]
	v_sub_f32_e32 v20, v37, v41
	s_delay_alu instid0(VALU_DEP_1) | instskip(NEXT) | instid1(VALU_DEP_1)
	v_dual_sub_f32 v20, v20, v39 :: v_dual_add_f32 v18, v18, v40
	v_add_f32_e32 v18, v18, v20
	s_delay_alu instid0(VALU_DEP_1) | instskip(NEXT) | instid1(VALU_DEP_1)
	v_add_f32_e32 v36, v41, v18
	v_sub_f32_e32 v20, v41, v36
	s_delay_alu instid0(VALU_DEP_1) | instskip(SKIP_1) | instid1(VALU_DEP_1)
	v_add_f32_e32 v18, v18, v20
	v_dual_mul_f32 v37, v36, v36 :: v_dual_fmaak_f32 v20, s30, v36, 0x3c091de6
	v_dual_add_f32 v39, v18, v18 :: v_dual_fma_f32 v38, v36, v36, -v37
	s_delay_alu instid0(VALU_DEP_1) | instskip(NEXT) | instid1(VALU_DEP_1)
	v_fmac_f32_e32 v38, v36, v39
	v_dual_add_f32 v39, v37, v38 :: v_dual_fmaak_f32 v20, v36, v20, 0x3d2aadcc
	s_delay_alu instid0(VALU_DEP_1) | instskip(NEXT) | instid1(VALU_DEP_1)
	v_dual_sub_f32 v37, v39, v37 :: v_dual_fmaak_f32 v20, v36, v20, 0x3e2aaa47
	v_dual_sub_f32 v37, v38, v37 :: v_dual_fmaak_f32 v20, v36, v20, 0x3efffffc
	s_delay_alu instid0(VALU_DEP_1) | instskip(NEXT) | instid1(VALU_DEP_1)
	v_mul_f32_e32 v40, v20, v39
	v_fma_f32 v38, v39, v20, -v40
	s_delay_alu instid0(VALU_DEP_1) | instskip(NEXT) | instid1(VALU_DEP_1)
	v_fmac_f32_e32 v38, v37, v20
	v_add_f32_e32 v37, v40, v38
	s_delay_alu instid0(VALU_DEP_1) | instskip(SKIP_1) | instid1(VALU_DEP_2)
	v_sub_f32_e32 v39, v37, v40
	v_mov_b64_e32 v[40:41], s[26:27]
	v_dual_sub_f32 v38, v38, v39 :: v_dual_add_f32 v20, v36, v37
	s_delay_alu instid0(VALU_DEP_1) | instskip(NEXT) | instid1(VALU_DEP_1)
	v_dual_add_f32 v18, v18, v38 :: v_dual_sub_f32 v36, v20, v36
	v_sub_f32_e32 v36, v37, v36
	s_delay_alu instid0(VALU_DEP_1) | instskip(NEXT) | instid1(VALU_DEP_1)
	v_add_f32_e32 v36, v18, v36
	v_add_f32_e32 v38, v20, v36
	s_delay_alu instid0(VALU_DEP_1) | instskip(NEXT) | instid1(VALU_DEP_1)
	v_dual_add_f32 v39, 1.0, v38 :: v_dual_mov_b32 v37, v38
	v_pk_add_f32 v[40:41], v[38:39], v[40:41]
	v_pk_add_f32 v[42:43], v[38:39], v[20:21] neg_lo:[0,1] neg_hi:[0,1]
	v_cvt_i32_f32_e32 v20, v44
	s_delay_alu instid0(VALU_DEP_3) | instskip(NEXT) | instid1(VALU_DEP_1)
	v_mov_b32_e32 v43, v41
	v_pk_add_f32 v[36:37], v[36:37], v[42:43] neg_lo:[0,1] neg_hi:[0,1]
	s_delay_alu instid0(VALU_DEP_1) | instskip(NEXT) | instid1(VALU_DEP_1)
	v_add_f32_e32 v18, v36, v37
	v_add_f32_e32 v36, v39, v18
	s_delay_alu instid0(VALU_DEP_1) | instskip(SKIP_1) | instid1(VALU_DEP_2)
	v_ldexp_f32 v37, v36, v20
	v_sub_f32_e32 v36, v36, v39
	v_rcp_f32_e32 v38, v37
	v_nop
	s_delay_alu instid0(TRANS32_DEP_1) | instskip(NEXT) | instid1(VALU_DEP_1)
	v_dual_sub_f32 v18, v18, v36 :: v_dual_mul_f32 v36, v37, v38
	v_ldexp_f32 v18, v18, v20
	s_delay_alu instid0(VALU_DEP_2) | instskip(NEXT) | instid1(VALU_DEP_1)
	v_fma_f32 v20, v38, v37, -v36
	v_fmac_f32_e32 v20, v38, v18
	s_delay_alu instid0(VALU_DEP_1) | instskip(NEXT) | instid1(VALU_DEP_1)
	v_add_f32_e32 v39, v36, v20
	v_sub_f32_e32 v36, v39, v36
	s_delay_alu instid0(VALU_DEP_1) | instskip(NEXT) | instid1(VALU_DEP_1)
	v_dual_sub_f32 v20, v36, v20 :: v_dual_sub_f32 v40, 1.0, v39
	v_sub_f32_e32 v41, 1.0, v40
	s_delay_alu instid0(VALU_DEP_1) | instskip(NEXT) | instid1(VALU_DEP_1)
	v_sub_f32_e32 v36, v41, v39
	v_add_f32_e32 v20, v20, v36
	s_delay_alu instid0(VALU_DEP_1) | instskip(NEXT) | instid1(VALU_DEP_1)
	v_add_f32_e32 v36, v40, v20
	v_mul_f32_e32 v39, v38, v36
	s_delay_alu instid0(VALU_DEP_1) | instskip(NEXT) | instid1(VALU_DEP_1)
	v_mul_f32_e32 v41, v37, v39
	v_fma_f32 v42, v39, v37, -v41
	s_delay_alu instid0(VALU_DEP_1) | instskip(NEXT) | instid1(VALU_DEP_1)
	v_fmac_f32_e32 v42, v39, v18
	v_dual_add_f32 v43, v41, v42 :: v_dual_sub_f32 v40, v40, v36
	s_delay_alu instid0(VALU_DEP_1) | instskip(NEXT) | instid1(VALU_DEP_2)
	v_sub_f32_e32 v44, v36, v43
	v_dual_add_f32 v20, v20, v40 :: v_dual_sub_f32 v40, v43, v41
	s_delay_alu instid0(VALU_DEP_2) | instskip(NEXT) | instid1(VALU_DEP_2)
	v_sub_f32_e32 v36, v36, v44
	v_sub_f32_e32 v40, v40, v42
	s_delay_alu instid0(VALU_DEP_2) | instskip(NEXT) | instid1(VALU_DEP_1)
	v_sub_f32_e32 v36, v36, v43
	v_dual_add_f32 v20, v20, v36 :: v_dual_add_f32 v36, v38, v39
	s_delay_alu instid0(VALU_DEP_1) | instskip(NEXT) | instid1(VALU_DEP_2)
	v_add_f32_e32 v20, v40, v20
	v_sub_f32_e32 v40, v36, v38
	s_delay_alu instid0(VALU_DEP_2) | instskip(NEXT) | instid1(VALU_DEP_2)
	v_add_f32_e32 v20, v44, v20
	v_sub_f32_e32 v39, v39, v40
	s_delay_alu instid0(VALU_DEP_2) | instskip(NEXT) | instid1(VALU_DEP_1)
	v_mul_f32_e32 v20, v38, v20
	v_add_f32_e32 v20, v39, v20
	s_delay_alu instid0(VALU_DEP_1) | instskip(NEXT) | instid1(VALU_DEP_1)
	v_add_f32_e32 v38, v36, v20
	v_ldexp_f32 v39, v38, -2
	s_delay_alu instid0(VALU_DEP_1) | instskip(NEXT) | instid1(VALU_DEP_1)
	v_dual_sub_f32 v36, v38, v36 :: v_dual_sub_f32 v40, v37, v39
	v_sub_f32_e32 v20, v20, v36
	s_delay_alu instid0(VALU_DEP_2) | instskip(NEXT) | instid1(VALU_DEP_1)
	v_sub_f32_e32 v37, v37, v40
	v_sub_f32_e32 v36, v37, v39
	s_delay_alu instid0(VALU_DEP_1) | instskip(NEXT) | instid1(VALU_DEP_4)
	v_add_f32_e32 v18, v18, v36
	v_ldexp_f32 v20, v20, -2
	s_delay_alu instid0(VALU_DEP_1) | instskip(NEXT) | instid1(VALU_DEP_1)
	v_dual_sub_f32 v18, v18, v20 :: v_dual_mul_f32 v20, v35, v35
	v_add_f32_e32 v18, v40, v18
	s_delay_alu instid0(VALU_DEP_2) | instskip(NEXT) | instid1(VALU_DEP_2)
	v_fmaak_f32 v36, s29, v20, 0xbf039337
	v_cndmask_b32_e32 v18, 0x7f800000, v18, vcc_lo
	s_delay_alu instid0(VALU_DEP_2) | instskip(NEXT) | instid1(VALU_DEP_2)
	v_fmaak_f32 v36, v20, v36, 0x3f93f425
	v_cndmask_b32_e64 v18, v18, |v30|, s6
	s_delay_alu instid0(VALU_DEP_1) | instskip(NEXT) | instid1(VALU_DEP_3)
	v_bfi_b32 v18, 0x7fffffff, v18, v30
	v_rcp_f32_e32 v30, v36
	v_nop
	v_fmaak_f32 v36, s28, v20, 0x3ec54587
	s_delay_alu instid0(VALU_DEP_3)
	v_fma_f32 v37, v18, v18, 1.0
	s_delay_alu instid0(TRANS32_DEP_1) | instid1(VALU_DEP_2)
	v_mul_f32_e32 v30, v36, v30
	s_delay_alu instid0(VALU_DEP_2) | instskip(SKIP_1) | instid1(VALU_DEP_2)
	v_mul_f32_e32 v36, 0x4f800000, v37
	v_cmp_gt_f32_e32 vcc_lo, 0xf800000, v37
	v_dual_mul_f32 v20, v20, v30 :: v_dual_cndmask_b32 v30, v37, v36, vcc_lo
	s_delay_alu instid0(VALU_DEP_1) | instskip(NEXT) | instid1(VALU_DEP_2)
	v_fma_f32 v36, v20, v35, v35
	v_sqrt_f32_e32 v37, v30
	s_delay_alu instid0(VALU_DEP_1) | instskip(NEXT) | instid1(TRANS32_DEP_2)
	v_rcp_f32_e32 v38, v36
	v_dual_sub_f32 v39, v36, v35 :: v_dual_add_nc_u32 v40, -1, v37
	s_delay_alu instid0(VALU_DEP_1) | instskip(NEXT) | instid1(TRANS32_DEP_1)
	v_fma_f32 v20, v20, v35, -v39
	v_fma_f32 v35, v36, -v38, 1.0
	s_delay_alu instid0(VALU_DEP_3) | instskip(NEXT) | instid1(VALU_DEP_1)
	v_dual_add_nc_u32 v39, 1, v37 :: v_dual_fma_f32 v41, -v40, v37, v30
	v_dual_fma_f32 v20, v20, -v38, v35 :: v_dual_fma_f32 v35, -v39, v37, v30
	s_delay_alu instid0(VALU_DEP_2) | instskip(NEXT) | instid1(VALU_DEP_1)
	v_cmp_ge_f32_e64 s6, 0, v41
	v_cndmask_b32_e64 v37, v37, v40, s6
	s_delay_alu instid0(VALU_DEP_3) | instskip(NEXT) | instid1(VALU_DEP_1)
	v_cmp_lt_f32_e64 s6, 0, v35
	v_dual_fma_f32 v20, v20, -v38, -v38 :: v_dual_cndmask_b32 v35, v37, v39, s6
	v_cmp_eq_u32_e64 s6, 0, v4
	s_delay_alu instid0(VALU_DEP_1) | instskip(NEXT) | instid1(VALU_DEP_3)
	v_cndmask_b32_e64 v4, v20, v36, s6
	v_mul_f32_e32 v20, 0x37800000, v35
	s_delay_alu instid0(VALU_DEP_1) | instskip(SKIP_1) | instid1(VALU_DEP_2)
	v_cndmask_b32_e32 v20, v35, v20, vcc_lo
	v_cmp_class_f32_e64 vcc_lo, v30, 0x260
	v_cndmask_b32_e32 v20, v20, v30, vcc_lo
	v_xor3_b32 v4, v34, v4, v31
	s_delay_alu instid0(VALU_DEP_1) | instskip(NEXT) | instid1(VALU_DEP_1)
	v_fma_f32 v31, v4, v4, 1.0
	v_dual_mul_f32 v30, v18, v31 :: v_dual_mul_f32 v20, v20, v31
	s_delay_alu instid0(VALU_DEP_1) | instskip(NEXT) | instid1(VALU_DEP_2)
	v_fma_f32 v31, v18, v30, 1.0
	v_mul_f32_e32 v18, v18, v20
	s_delay_alu instid0(VALU_DEP_2) | instskip(NEXT) | instid1(VALU_DEP_2)
	v_div_scale_f32 v30, null, v31, v31, v4
	v_div_scale_f32 v20, null, v31, v31, v18
	s_delay_alu instid0(VALU_DEP_2) | instskip(NEXT) | instid1(VALU_DEP_1)
	v_rcp_f32_e32 v35, v30
	v_rcp_f32_e32 v34, v20
	s_delay_alu instid0(TRANS32_DEP_2) | instskip(NEXT) | instid1(TRANS32_DEP_1)
	v_fma_f32 v37, -v30, v35, 1.0
	v_fma_f32 v36, -v20, v34, 1.0
	s_delay_alu instid0(VALU_DEP_1) | instskip(SKIP_2) | instid1(VALU_DEP_1)
	v_dual_fmac_f32 v35, v37, v35 :: v_dual_fmac_f32 v34, v36, v34
	v_div_scale_f32 v38, vcc_lo, v18, v31, v18
	v_div_scale_f32 v36, s6, v4, v31, v4
	v_dual_mul_f32 v37, v38, v34 :: v_dual_mul_f32 v39, v36, v35
	s_delay_alu instid0(VALU_DEP_1) | instskip(NEXT) | instid1(VALU_DEP_1)
	v_dual_fma_f32 v40, -v20, v37, v38 :: v_dual_fma_f32 v41, -v30, v39, v36
	v_dual_fmac_f32 v37, v40, v34 :: v_dual_fmac_f32 v39, v41, v35
	s_delay_alu instid0(VALU_DEP_1) | instskip(NEXT) | instid1(VALU_DEP_1)
	v_dual_fma_f32 v20, -v20, v37, v38 :: v_dual_fma_f32 v30, -v30, v39, v36
	v_div_fmas_f32 v20, v20, v34, v37
	s_mov_b32 vcc_lo, s6
	s_delay_alu instid0(VALU_DEP_2) | instskip(NEXT) | instid1(VALU_DEP_2)
	v_div_fmas_f32 v34, v30, v35, v39
	v_div_fixup_f32 v30, v20, v31, v18
	s_delay_alu instid0(VALU_DEP_2)
	v_div_fixup_f32 v31, v34, v31, v4
                                        ; implicit-def: $vgpr34
.LBB162_58:                             ;   in Loop: Header=BB162_4 Depth=1
	s_and_not1_saveexec_b32 s36, s36
	s_cbranch_execz .LBB162_68
; %bb.59:                               ;   in Loop: Header=BB162_4 Depth=1
	v_lshrrev_b32_e32 v18, 23, v34
	s_delay_alu instid0(VALU_DEP_2) | instskip(SKIP_1) | instid1(VALU_DEP_3)
	v_cmp_ngt_f32_e64 s37, 0x48000000, |v31|
	v_and_or_b32 v4, v34, s26, 0x800000
                                        ; implicit-def: $vgpr35
	v_add_nc_u32_e32 v20, 0xffffff88, v18
                                        ; implicit-def: $vgpr18
	s_and_saveexec_b32 s6, s37
	s_delay_alu instid0(SALU_CYCLE_1)
	s_xor_b32 s38, exec_lo, s6
	s_cbranch_execz .LBB162_61
; %bb.60:                               ;   in Loop: Header=BB162_4 Depth=1
	v_mul_u64_e32 v[36:37], s[16:17], v[4:5]
	v_mov_b32_e32 v39, v5
	v_cmp_lt_u32_e32 vcc_lo, 63, v20
	v_mov_b32_e32 v49, v5
	v_cndmask_b32_e64 v18, 0, 0xffffffc0, vcc_lo
	s_delay_alu instid0(VALU_DEP_1) | instskip(NEXT) | instid1(VALU_DEP_1)
	v_add_nc_u32_e32 v18, v18, v20
	v_cmp_lt_u32_e64 s6, 31, v18
	s_delay_alu instid0(VALU_DEP_1) | instskip(SKIP_1) | instid1(VALU_DEP_1)
	v_cndmask_b32_e64 v35, 0, 0xffffffe0, s6
	v_mov_b32_e32 v38, v37
	v_mad_nc_u64_u32 v[38:39], 0x3c439041, v4, v[38:39]
	s_delay_alu instid0(VALU_DEP_1) | instskip(NEXT) | instid1(VALU_DEP_1)
	v_dual_mov_b32 v41, v5 :: v_dual_mov_b32 v40, v39
	v_mad_nc_u64_u32 v[40:41], 0xdb629599, v4, v[40:41]
	s_delay_alu instid0(VALU_DEP_1) | instskip(NEXT) | instid1(VALU_DEP_2)
	v_dual_mov_b32 v43, v5 :: v_dual_mov_b32 v42, v41
	v_cndmask_b32_e32 v36, v40, v36, vcc_lo
	s_delay_alu instid0(VALU_DEP_2) | instskip(NEXT) | instid1(VALU_DEP_1)
	v_mad_nc_u64_u32 v[42:43], 0xf534ddc0, v4, v[42:43]
	v_dual_mov_b32 v45, v5 :: v_dual_mov_b32 v44, v43
	s_delay_alu instid0(VALU_DEP_1) | instskip(NEXT) | instid1(VALU_DEP_1)
	v_mad_nc_u64_u32 v[44:45], 0xfc2757d1, v4, v[44:45]
	v_dual_mov_b32 v47, v5 :: v_dual_mov_b32 v46, v45
	s_delay_alu instid0(VALU_DEP_2) | instskip(NEXT) | instid1(VALU_DEP_2)
	v_cndmask_b32_e32 v43, v44, v40, vcc_lo
	v_mad_nc_u64_u32 v[46:47], 0x4e441529, v4, v[46:47]
	s_delay_alu instid0(VALU_DEP_1) | instskip(NEXT) | instid1(VALU_DEP_1)
	v_dual_mov_b32 v48, v47 :: v_dual_cndmask_b32 v37, v46, v42
	v_mad_nc_u64_u32 v[48:49], 0xa2f9836e, v4, v[48:49]
	s_delay_alu instid0(VALU_DEP_1) | instskip(NEXT) | instid1(VALU_DEP_1)
	v_dual_cndmask_b32 v39, v48, v44 :: v_dual_add_nc_u32 v18, v35, v18
	v_cmp_lt_u32_e64 s7, 31, v18
	s_delay_alu instid0(VALU_DEP_3) | instskip(NEXT) | instid1(VALU_DEP_2)
	v_cndmask_b32_e32 v41, v49, v46, vcc_lo
	v_cndmask_b32_e64 v35, 0, 0xffffffe0, s7
	s_delay_alu instid0(VALU_DEP_1) | instskip(SKIP_1) | instid1(VALU_DEP_4)
	v_add_nc_u32_e32 v18, v35, v18
	v_dual_cndmask_b32 v35, v42, v38, vcc_lo :: v_dual_cndmask_b32 v38, v39, v37, s6
	v_cndmask_b32_e64 v39, v41, v39, s6
	s_delay_alu instid0(VALU_DEP_3) | instskip(NEXT) | instid1(VALU_DEP_3)
	v_dual_cndmask_b32 v37, v37, v43, s6 :: v_dual_sub_nc_u32 v41, 32, v18
	v_cndmask_b32_e64 v42, v43, v35, s6
	v_cmp_eq_u32_e32 vcc_lo, 0, v18
	s_delay_alu instid0(VALU_DEP_3) | instskip(NEXT) | instid1(VALU_DEP_1)
	v_dual_cndmask_b32 v39, v39, v38, s7 :: v_dual_cndmask_b32 v38, v38, v37, s7
	v_alignbit_b32 v43, v39, v38, v41
	s_delay_alu instid0(VALU_DEP_1) | instskip(NEXT) | instid1(VALU_DEP_1)
	v_dual_cndmask_b32 v37, v37, v42, s7 :: v_dual_cndmask_b32 v18, v43, v39, vcc_lo
	v_alignbit_b32 v40, v38, v37, v41
	s_delay_alu instid0(VALU_DEP_1) | instskip(NEXT) | instid1(VALU_DEP_3)
	v_dual_cndmask_b32 v35, v35, v36, s6 :: v_dual_cndmask_b32 v36, v40, v38, vcc_lo
	v_bfe_u32 v38, v18, 29, 1
	s_delay_alu instid0(VALU_DEP_2) | instskip(NEXT) | instid1(VALU_DEP_3)
	v_cndmask_b32_e64 v35, v42, v35, s7
	v_alignbit_b32 v39, v18, v36, 30
	s_delay_alu instid0(VALU_DEP_3) | instskip(NEXT) | instid1(VALU_DEP_3)
	v_sub_nc_u32_e32 v40, 0, v38
	v_alignbit_b32 v41, v37, v35, v41
	s_delay_alu instid0(VALU_DEP_1) | instskip(NEXT) | instid1(VALU_DEP_1)
	v_dual_cndmask_b32 v37, v41, v37, vcc_lo :: v_dual_bitop2_b32 v39, v39, v40 bitop3:0x14
	v_clz_i32_u32_e32 v41, v39
	s_delay_alu instid0(VALU_DEP_2) | instskip(SKIP_1) | instid1(VALU_DEP_3)
	v_alignbit_b32 v36, v36, v37, 30
	v_alignbit_b32 v35, v37, v35, 30
	v_min_u32_e32 v41, 32, v41
	s_delay_alu instid0(VALU_DEP_3) | instskip(NEXT) | instid1(VALU_DEP_3)
	v_xor_b32_e32 v36, v36, v40
	v_dual_lshrrev_b32 v40, 29, v18 :: v_dual_bitop2_b32 v35, v35, v40 bitop3:0x14
	s_delay_alu instid0(VALU_DEP_3) | instskip(NEXT) | instid1(VALU_DEP_1)
	v_dual_sub_nc_u32 v37, 31, v41 :: v_dual_lshlrev_b32 v42, 23, v41
	v_alignbit_b32 v39, v39, v36, v37
	s_delay_alu instid0(VALU_DEP_3) | instskip(NEXT) | instid1(VALU_DEP_4)
	v_alignbit_b32 v35, v36, v35, v37
	v_lshlrev_b32_e32 v36, 31, v40
	s_delay_alu instid0(VALU_DEP_2) | instskip(NEXT) | instid1(VALU_DEP_2)
	v_alignbit_b32 v37, v39, v35, 9
	v_dual_lshrrev_b32 v39, 9, v39 :: v_dual_bitop2_b32 v40, 0.5, v36 bitop3:0x54
	v_or_b32_e32 v36, 0x33000000, v36
	s_delay_alu instid0(VALU_DEP_3) | instskip(NEXT) | instid1(VALU_DEP_3)
	v_clz_i32_u32_e32 v43, v37
	v_sub_nc_u32_e32 v40, v40, v42
	s_delay_alu instid0(VALU_DEP_2) | instskip(NEXT) | instid1(VALU_DEP_1)
	v_min_u32_e32 v42, 32, v43
	v_add_lshl_u32 v41, v42, v41, 23
	s_delay_alu instid0(VALU_DEP_3) | instskip(SKIP_1) | instid1(VALU_DEP_2)
	v_or_b32_e32 v39, v39, v40
	v_not_b32_e32 v40, v42
	v_dual_mul_f32 v43, 0x3fc90fda, v39 :: v_dual_sub_nc_u32 v36, v36, v41
	s_delay_alu instid0(VALU_DEP_2) | instskip(NEXT) | instid1(VALU_DEP_2)
	v_alignbit_b32 v35, v37, v35, v40
	v_fma_f32 v37, 0x3fc90fda, v39, -v43
	s_delay_alu instid0(VALU_DEP_2) | instskip(NEXT) | instid1(VALU_DEP_2)
	v_lshrrev_b32_e32 v35, 9, v35
	v_fmac_f32_e32 v37, 0x33a22168, v39
	s_delay_alu instid0(VALU_DEP_2) | instskip(NEXT) | instid1(VALU_DEP_1)
	v_or_b32_e32 v35, v36, v35
	v_fmac_f32_e32 v37, 0x3fc90fda, v35
	s_delay_alu instid0(VALU_DEP_1) | instskip(NEXT) | instid1(VALU_DEP_1)
	v_dual_add_f32 v18, v43, v37 :: v_dual_lshrrev_b32 v35, 30, v18
	v_add_nc_u32_e32 v35, v38, v35
	s_and_not1_saveexec_b32 s6, s38
	s_branch .LBB162_62
.LBB162_61:                             ;   in Loop: Header=BB162_4 Depth=1
	s_and_not1_saveexec_b32 s6, s38
.LBB162_62:                             ;   in Loop: Header=BB162_4 Depth=1
	v_mul_f32_e64 v18, 0x3f22f983, |v31|
	s_delay_alu instid0(VALU_DEP_1) | instskip(NEXT) | instid1(VALU_DEP_1)
	v_rndne_f32_e32 v35, v18
	v_fma_f32 v18, 0xbfc90fda, v35, |v31|
	s_delay_alu instid0(VALU_DEP_1) | instskip(NEXT) | instid1(VALU_DEP_1)
	v_fmac_f32_e32 v18, 0xb3a22168, v35
	v_fmac_f32_e32 v18, 0xa7c234c4, v35
	v_cvt_i32_f32_e32 v35, v35
; %bb.63:                               ;   in Loop: Header=BB162_4 Depth=1
	s_or_b32 exec_lo, exec_lo, s6
                                        ; implicit-def: $vgpr37
                                        ; implicit-def: $vgpr36
	s_and_saveexec_b32 s6, s37
	s_delay_alu instid0(SALU_CYCLE_1)
	s_xor_b32 s37, exec_lo, s6
	s_cbranch_execz .LBB162_65
; %bb.64:                               ;   in Loop: Header=BB162_4 Depth=1
	v_mul_u64_e32 v[36:37], s[16:17], v[4:5]
	v_mov_b32_e32 v39, v5
	v_cmp_lt_u32_e32 vcc_lo, 63, v20
	s_delay_alu instid0(VALU_DEP_3) | instskip(SKIP_1) | instid1(VALU_DEP_2)
	v_mov_b32_e32 v38, v37
	v_cndmask_b32_e64 v37, 0, 0xffffffc0, vcc_lo
	v_mad_nc_u64_u32 v[38:39], 0x3c439041, v4, v[38:39]
	s_delay_alu instid0(VALU_DEP_1) | instskip(NEXT) | instid1(VALU_DEP_1)
	v_dual_mov_b32 v41, v5 :: v_dual_mov_b32 v40, v39
	v_mad_nc_u64_u32 v[40:41], 0xdb629599, v4, v[40:41]
	s_delay_alu instid0(VALU_DEP_1) | instskip(NEXT) | instid1(VALU_DEP_2)
	v_dual_mov_b32 v43, v5 :: v_dual_mov_b32 v42, v41
	v_cndmask_b32_e32 v36, v40, v36, vcc_lo
	s_delay_alu instid0(VALU_DEP_2) | instskip(NEXT) | instid1(VALU_DEP_1)
	v_mad_nc_u64_u32 v[42:43], 0xf534ddc0, v4, v[42:43]
	v_dual_mov_b32 v45, v5 :: v_dual_mov_b32 v44, v43
	s_delay_alu instid0(VALU_DEP_1) | instskip(NEXT) | instid1(VALU_DEP_1)
	v_mad_nc_u64_u32 v[44:45], 0xfc2757d1, v4, v[44:45]
	v_dual_mov_b32 v47, v5 :: v_dual_mov_b32 v46, v45
	s_delay_alu instid0(VALU_DEP_1) | instskip(SKIP_1) | instid1(VALU_DEP_2)
	v_mad_nc_u64_u32 v[46:47], 0x4e441529, v4, v[46:47]
	v_add_nc_u32_e32 v20, v37, v20
	v_dual_mov_b32 v49, v5 :: v_dual_mov_b32 v48, v47
	s_delay_alu instid0(VALU_DEP_2) | instskip(NEXT) | instid1(VALU_DEP_2)
	v_cmp_lt_u32_e64 s6, 31, v20
	v_mad_nc_u64_u32 v[48:49], 0xa2f9836e, v4, v[48:49]
	s_delay_alu instid0(VALU_DEP_2) | instskip(NEXT) | instid1(VALU_DEP_1)
	v_cndmask_b32_e64 v37, 0, 0xffffffe0, s6
	v_dual_cndmask_b32 v37, v46, v42 :: v_dual_add_nc_u32 v4, v37, v20
	s_delay_alu instid0(VALU_DEP_1) | instskip(NEXT) | instid1(VALU_DEP_4)
	v_cmp_lt_u32_e64 s7, 31, v4
	v_dual_cndmask_b32 v39, v48, v44, vcc_lo :: v_dual_cndmask_b32 v41, v49, v46, vcc_lo
	v_cndmask_b32_e32 v43, v44, v40, vcc_lo
	s_delay_alu instid0(VALU_DEP_3) | instskip(NEXT) | instid1(VALU_DEP_1)
	v_cndmask_b32_e64 v20, 0, 0xffffffe0, s7
	v_dual_add_nc_u32 v4, v20, v4 :: v_dual_cndmask_b32 v20, v42, v38, vcc_lo
	s_delay_alu instid0(VALU_DEP_4) | instskip(NEXT) | instid1(VALU_DEP_2)
	v_dual_cndmask_b32 v38, v39, v37, s6 :: v_dual_cndmask_b32 v39, v41, v39, s6
	v_dual_cndmask_b32 v37, v37, v43, s6 :: v_dual_sub_nc_u32 v41, 32, v4
	s_delay_alu instid0(VALU_DEP_3) | instskip(SKIP_1) | instid1(VALU_DEP_3)
	v_cndmask_b32_e64 v42, v43, v20, s6
	v_cmp_eq_u32_e32 vcc_lo, 0, v4
	v_dual_cndmask_b32 v39, v39, v38, s7 :: v_dual_cndmask_b32 v38, v38, v37, s7
	v_cndmask_b32_e64 v20, v20, v36, s6
	s_delay_alu instid0(VALU_DEP_2) | instskip(NEXT) | instid1(VALU_DEP_1)
	v_alignbit_b32 v43, v39, v38, v41
	v_dual_cndmask_b32 v37, v37, v42, s7 :: v_dual_cndmask_b32 v4, v43, v39, vcc_lo
	s_delay_alu instid0(VALU_DEP_1) | instskip(NEXT) | instid1(VALU_DEP_1)
	v_alignbit_b32 v40, v38, v37, v41
	v_cndmask_b32_e32 v36, v40, v38, vcc_lo
	s_delay_alu instid0(VALU_DEP_3) | instskip(NEXT) | instid1(VALU_DEP_1)
	v_bfe_u32 v38, v4, 29, 1
	v_dual_sub_nc_u32 v40, 0, v38 :: v_dual_cndmask_b32 v20, v42, v20, s7
	s_delay_alu instid0(VALU_DEP_3) | instskip(NEXT) | instid1(VALU_DEP_2)
	v_alignbit_b32 v39, v4, v36, 30
	v_alignbit_b32 v41, v37, v20, v41
	s_delay_alu instid0(VALU_DEP_1) | instskip(NEXT) | instid1(VALU_DEP_1)
	v_dual_cndmask_b32 v37, v41, v37, vcc_lo :: v_dual_bitop2_b32 v39, v39, v40 bitop3:0x14
	v_clz_i32_u32_e32 v41, v39
	s_delay_alu instid0(VALU_DEP_2) | instskip(NEXT) | instid1(VALU_DEP_2)
	v_alignbit_b32 v36, v36, v37, 30
	v_min_u32_e32 v41, 32, v41
	v_alignbit_b32 v20, v37, v20, 30
	s_delay_alu instid0(VALU_DEP_2) | instskip(NEXT) | instid1(VALU_DEP_2)
	v_dual_sub_nc_u32 v37, 31, v41 :: v_dual_bitop2_b32 v36, v36, v40 bitop3:0x14
	v_xor_b32_e32 v20, v20, v40
	v_dual_lshrrev_b32 v40, 29, v4 :: v_dual_lshlrev_b32 v42, 23, v41
	v_lshrrev_b32_e32 v4, 30, v4
	s_delay_alu instid0(VALU_DEP_4) | instskip(NEXT) | instid1(VALU_DEP_4)
	v_alignbit_b32 v39, v39, v36, v37
	v_alignbit_b32 v20, v36, v20, v37
	s_delay_alu instid0(VALU_DEP_4) | instskip(NEXT) | instid1(VALU_DEP_2)
	v_lshlrev_b32_e32 v36, 31, v40
	v_alignbit_b32 v37, v39, v20, 9
	s_delay_alu instid0(VALU_DEP_2) | instskip(SKIP_1) | instid1(VALU_DEP_3)
	v_dual_lshrrev_b32 v39, 9, v39 :: v_dual_bitop2_b32 v40, 0.5, v36 bitop3:0x54
	v_or_b32_e32 v36, 0x33000000, v36
	v_clz_i32_u32_e32 v43, v37
	s_delay_alu instid0(VALU_DEP_3) | instskip(NEXT) | instid1(VALU_DEP_2)
	v_sub_nc_u32_e32 v40, v40, v42
	v_min_u32_e32 v42, 32, v43
	s_delay_alu instid0(VALU_DEP_1) | instskip(NEXT) | instid1(VALU_DEP_3)
	v_add_lshl_u32 v41, v42, v41, 23
	v_or_b32_e32 v39, v39, v40
	v_not_b32_e32 v40, v42
	s_delay_alu instid0(VALU_DEP_2) | instskip(NEXT) | instid1(VALU_DEP_2)
	v_dual_mul_f32 v43, 0x3fc90fda, v39 :: v_dual_sub_nc_u32 v36, v36, v41
	v_alignbit_b32 v20, v37, v20, v40
	s_delay_alu instid0(VALU_DEP_2) | instskip(NEXT) | instid1(VALU_DEP_1)
	v_fma_f32 v37, 0x3fc90fda, v39, -v43
	v_dual_fmac_f32 v37, 0x33a22168, v39 :: v_dual_lshrrev_b32 v20, 9, v20
	s_delay_alu instid0(VALU_DEP_1) | instskip(NEXT) | instid1(VALU_DEP_1)
	v_or_b32_e32 v20, v36, v20
	v_fmac_f32_e32 v37, 0x3fc90fda, v20
	s_delay_alu instid0(VALU_DEP_1)
	v_dual_add_f32 v36, v43, v37 :: v_dual_add_nc_u32 v37, v38, v4
	s_and_not1_saveexec_b32 s6, s37
	s_cbranch_execnz .LBB162_66
	s_branch .LBB162_67
.LBB162_65:                             ;   in Loop: Header=BB162_4 Depth=1
	s_and_not1_saveexec_b32 s6, s37
.LBB162_66:                             ;   in Loop: Header=BB162_4 Depth=1
	v_mul_f32_e64 v4, 0x3f22f983, |v31|
	s_delay_alu instid0(VALU_DEP_1) | instskip(NEXT) | instid1(VALU_DEP_1)
	v_rndne_f32_e32 v4, v4
	v_fma_f32 v36, 0xbfc90fda, v4, |v31|
	v_cvt_i32_f32_e32 v37, v4
	s_delay_alu instid0(VALU_DEP_2) | instskip(NEXT) | instid1(VALU_DEP_1)
	v_fmac_f32_e32 v36, 0xb3a22168, v4
	v_fmac_f32_e32 v36, 0xa7c234c4, v4
.LBB162_67:                             ;   in Loop: Header=BB162_4 Depth=1
	s_or_b32 exec_lo, exec_lo, s6
	v_dual_mul_f32 v4, v18, v18 :: v_dual_bitop2_b32 v20, 1, v35 bitop3:0x40
	v_lshlrev_b32_e32 v35, 30, v35
	v_mul_f32_e64 v38, 0xbfb8aa3b, |v30|
	s_delay_alu instid0(VALU_DEP_3) | instskip(NEXT) | instid1(VALU_DEP_4)
	v_fmaak_f32 v40, s33, v4, 0xbab64f3b
	v_cmp_eq_u32_e32 vcc_lo, 0, v20
	s_delay_alu instid0(VALU_DEP_4) | instskip(NEXT) | instid1(VALU_DEP_4)
	v_bitop3_b32 v34, v34, v35, 0x80000000 bitop3:0x78
	v_rndne_f32_e32 v35, v38
	v_fma_f32 v42, 0xbfb8aa3b, |v30|, -v38
	s_delay_alu instid0(VALU_DEP_2) | instskip(NEXT) | instid1(VALU_DEP_2)
	v_dual_fmaak_f32 v39, s31, v4, 0x3c0881c4 :: v_dual_sub_f32 v38, v38, v35
	v_fma_f32 v42, 0xb2a5705f, |v30|, v42
	s_delay_alu instid0(VALU_DEP_2) | instskip(SKIP_1) | instid1(VALU_DEP_3)
	v_fmaak_f32 v39, v4, v39, 0xbe2aaa9d
	v_cvt_i32_f32_e32 v35, v35
	v_add_f32_e32 v38, v38, v42
	s_delay_alu instid0(VALU_DEP_3) | instskip(SKIP_1) | instid1(VALU_DEP_3)
	v_dual_fmaak_f32 v40, v4, v40, 0x3d2aabf7 :: v_dual_mul_f32 v39, v4, v39
	v_mul_f32_e32 v41, v36, v36
	v_exp_f32_e32 v20, v38
	s_delay_alu instid0(VALU_DEP_2) | instskip(NEXT) | instid1(VALU_DEP_2)
	v_fmaak_f32 v40, v4, v40, 0xbf000004
	v_dual_fmac_f32 v18, v18, v39 :: v_dual_fmaak_f32 v43, s31, v41, 0x3c0881c4
	v_fmaak_f32 v44, s33, v41, 0xbab64f3b
	s_delay_alu instid0(VALU_DEP_3) | instskip(NEXT) | instid1(TRANS32_DEP_1)
	v_fma_f32 v4, v4, v40, 1.0
	v_ldexp_f32 v20, v20, v35
	s_delay_alu instid0(VALU_DEP_2) | instskip(NEXT) | instid1(VALU_DEP_1)
	v_dual_fmaak_f32 v43, v41, v43, 0xbe2aaa9d :: v_dual_cndmask_b32 v4, v4, v18
	v_dual_fmaak_f32 v39, v41, v44, 0x3d2aabf7 :: v_dual_mul_f32 v40, v41, v43
	s_delay_alu instid0(VALU_DEP_2) | instskip(NEXT) | instid1(VALU_DEP_2)
	v_xor3_b32 v4, v34, v4, v31
	v_fmaak_f32 v18, v41, v39, 0xbf000004
	s_delay_alu instid0(VALU_DEP_3) | instskip(NEXT) | instid1(VALU_DEP_3)
	v_dual_fmac_f32 v36, v36, v40 :: v_dual_lshlrev_b32 v31, 30, v37
	v_mul_f32_e32 v4, 4.0, v4
	s_delay_alu instid0(VALU_DEP_3) | instskip(SKIP_1) | instid1(VALU_DEP_1)
	v_fma_f32 v18, v41, v18, 1.0
	v_and_b32_e32 v38, 1, v37
	v_cmp_eq_u32_e32 vcc_lo, 0, v38
	s_delay_alu instid0(VALU_DEP_3) | instskip(SKIP_1) | instid1(VALU_DEP_2)
	v_cndmask_b32_e64 v18, -v36, v18, vcc_lo
	v_cmp_nlt_f32_e64 vcc_lo, 0x42ce8ed0, |v30|
	v_bitop3_b32 v18, v31, v18, 0x80000000 bitop3:0x6c
	v_cndmask_b32_e32 v20, 0, v20, vcc_lo
	v_cmp_ngt_f32_e64 vcc_lo, 0xc2b17218, |v30|
	v_bfi_b32 v30, 0x7fffffff, 1.0, v30
	s_delay_alu instid0(VALU_DEP_4) | instskip(NEXT) | instid1(VALU_DEP_4)
	v_mul_f32_e32 v4, v4, v18
	v_cndmask_b32_e32 v20, 0x7f800000, v20, vcc_lo
	s_delay_alu instid0(VALU_DEP_1) | instskip(NEXT) | instid1(VALU_DEP_1)
	v_mul_f32_e32 v4, v20, v4
	v_mul_f32_e32 v31, v20, v4
.LBB162_68:                             ;   in Loop: Header=BB162_4 Depth=1
	s_or_b32 exec_lo, exec_lo, s36
.LBB162_69:                             ;   in Loop: Header=BB162_4 Depth=1
	s_and_not1_saveexec_b32 s6, s35
; %bb.70:                               ;   in Loop: Header=BB162_4 Depth=1
	s_delay_alu instid0(VALU_DEP_1) | instskip(NEXT) | instid1(VALU_DEP_1)
	v_sub_f32_e32 v31, v31, v31
	v_mov_b32_e32 v30, v31
; %bb.71:                               ;   in Loop: Header=BB162_4 Depth=1
	s_or_b32 exec_lo, exec_lo, s6
.LBB162_72:                             ;   in Loop: Header=BB162_4 Depth=1
	s_and_not1_saveexec_b32 s34, s34
	s_cbranch_execz .LBB162_88
; %bb.73:                               ;   in Loop: Header=BB162_4 Depth=1
	s_delay_alu instid0(VALU_DEP_1) | instskip(SKIP_1) | instid1(VALU_DEP_1)
	v_and_b32_e32 v4, 0x7fffff, v30
	s_mov_b32 s6, exec_lo
	v_cmpx_ne_u32_e32 0, v4
	s_xor_b32 s6, exec_lo, s6
; %bb.74:                               ;   in Loop: Header=BB162_4 Depth=1
	v_mul_f32_e32 v4, v31, v30
	v_cmp_eq_f32_e32 vcc_lo, 0, v31
	s_delay_alu instid0(VALU_DEP_2)
	v_cndmask_b32_e32 v31, v4, v31, vcc_lo
; %bb.75:                               ;   in Loop: Header=BB162_4 Depth=1
	s_and_not1_saveexec_b32 s35, s6
	s_cbranch_execz .LBB162_87
; %bb.76:                               ;   in Loop: Header=BB162_4 Depth=1
	s_mov_b32 s36, exec_lo
	s_delay_alu instid0(VALU_DEP_1)
	v_cmpx_neq_f32_e64 0x7f800000, |v31|
	s_cbranch_execz .LBB162_86
; %bb.77:                               ;   in Loop: Header=BB162_4 Depth=1
	v_and_b32_e32 v18, 0x7fffffff, v31
	v_cmp_ngt_f32_e64 s37, 0x48000000, |v31|
                                        ; implicit-def: $vgpr34
	s_delay_alu instid0(VALU_DEP_2) | instskip(SKIP_1) | instid1(VALU_DEP_2)
	v_lshrrev_b32_e32 v20, 23, v18
	v_and_or_b32 v4, v18, s26, 0x800000
	v_add_nc_u32_e32 v35, 0xffffff88, v20
                                        ; implicit-def: $vgpr20
	s_and_saveexec_b32 s6, s37
	s_delay_alu instid0(SALU_CYCLE_1)
	s_xor_b32 s38, exec_lo, s6
	s_cbranch_execz .LBB162_79
; %bb.78:                               ;   in Loop: Header=BB162_4 Depth=1
	v_mul_u64_e32 v[36:37], s[16:17], v[4:5]
	v_mov_b32_e32 v39, v5
	v_cmp_lt_u32_e32 vcc_lo, 63, v35
	v_mov_b32_e32 v49, v5
	v_cndmask_b32_e64 v20, 0, 0xffffffc0, vcc_lo
	s_delay_alu instid0(VALU_DEP_1) | instskip(NEXT) | instid1(VALU_DEP_1)
	v_add_nc_u32_e32 v20, v20, v35
	v_cmp_lt_u32_e64 s6, 31, v20
	s_delay_alu instid0(VALU_DEP_1) | instskip(NEXT) | instid1(VALU_DEP_1)
	v_cndmask_b32_e64 v34, 0, 0xffffffe0, s6
	v_dual_add_nc_u32 v20, v34, v20 :: v_dual_mov_b32 v38, v37
	s_delay_alu instid0(VALU_DEP_1) | instskip(NEXT) | instid1(VALU_DEP_2)
	v_cmp_lt_u32_e64 s7, 31, v20
	v_mad_nc_u64_u32 v[38:39], 0x3c439041, v4, v[38:39]
	v_mov_b32_e32 v41, v5
	s_delay_alu instid0(VALU_DEP_3) | instskip(NEXT) | instid1(VALU_DEP_3)
	v_cndmask_b32_e64 v34, 0, 0xffffffe0, s7
	v_mov_b32_e32 v40, v39
	s_delay_alu instid0(VALU_DEP_1) | instskip(NEXT) | instid1(VALU_DEP_1)
	v_mad_nc_u64_u32 v[40:41], 0xdb629599, v4, v[40:41]
	v_dual_mov_b32 v43, v5 :: v_dual_mov_b32 v42, v41
	s_delay_alu instid0(VALU_DEP_2) | instskip(NEXT) | instid1(VALU_DEP_2)
	v_cndmask_b32_e32 v36, v40, v36, vcc_lo
	v_mad_nc_u64_u32 v[42:43], 0xf534ddc0, v4, v[42:43]
	s_delay_alu instid0(VALU_DEP_1) | instskip(NEXT) | instid1(VALU_DEP_1)
	v_dual_mov_b32 v45, v5 :: v_dual_mov_b32 v44, v43
	v_mad_nc_u64_u32 v[44:45], 0xfc2757d1, v4, v[44:45]
	s_delay_alu instid0(VALU_DEP_1) | instskip(NEXT) | instid1(VALU_DEP_2)
	v_dual_mov_b32 v47, v5 :: v_dual_mov_b32 v46, v45
	v_cndmask_b32_e32 v43, v44, v40, vcc_lo
	s_delay_alu instid0(VALU_DEP_2) | instskip(NEXT) | instid1(VALU_DEP_1)
	v_mad_nc_u64_u32 v[46:47], 0x4e441529, v4, v[46:47]
	v_mov_b32_e32 v48, v47
	s_delay_alu instid0(VALU_DEP_1) | instskip(NEXT) | instid1(VALU_DEP_1)
	v_mad_nc_u64_u32 v[48:49], 0xa2f9836e, v4, v[48:49]
	v_dual_cndmask_b32 v37, v46, v42, vcc_lo :: v_dual_cndmask_b32 v39, v48, v44, vcc_lo
	s_delay_alu instid0(VALU_DEP_2) | instskip(NEXT) | instid1(VALU_DEP_2)
	v_dual_cndmask_b32 v41, v49, v46 :: v_dual_add_nc_u32 v20, v34, v20
	v_dual_cndmask_b32 v34, v42, v38, vcc_lo :: v_dual_cndmask_b32 v38, v39, v37, s6
	s_delay_alu instid0(VALU_DEP_2) | instskip(NEXT) | instid1(VALU_DEP_3)
	v_cndmask_b32_e64 v39, v41, v39, s6
	v_dual_cndmask_b32 v37, v37, v43, s6 :: v_dual_sub_nc_u32 v41, 32, v20
	s_delay_alu instid0(VALU_DEP_3) | instskip(SKIP_1) | instid1(VALU_DEP_3)
	v_cndmask_b32_e64 v42, v43, v34, s6
	v_cmp_eq_u32_e32 vcc_lo, 0, v20
	v_dual_cndmask_b32 v39, v39, v38, s7 :: v_dual_cndmask_b32 v38, v38, v37, s7
	s_delay_alu instid0(VALU_DEP_1) | instskip(NEXT) | instid1(VALU_DEP_1)
	v_alignbit_b32 v43, v39, v38, v41
	v_dual_cndmask_b32 v37, v37, v42, s7 :: v_dual_cndmask_b32 v20, v43, v39, vcc_lo
	s_delay_alu instid0(VALU_DEP_1) | instskip(NEXT) | instid1(VALU_DEP_1)
	v_alignbit_b32 v40, v38, v37, v41
	v_dual_cndmask_b32 v34, v34, v36, s6 :: v_dual_cndmask_b32 v36, v40, v38, vcc_lo
	s_delay_alu instid0(VALU_DEP_3) | instskip(NEXT) | instid1(VALU_DEP_2)
	v_bfe_u32 v38, v20, 29, 1
	v_alignbit_b32 v39, v20, v36, 30
	s_delay_alu instid0(VALU_DEP_2) | instskip(NEXT) | instid1(VALU_DEP_1)
	v_sub_nc_u32_e32 v40, 0, v38
	v_dual_cndmask_b32 v34, v42, v34, s7 :: v_dual_bitop2_b32 v39, v39, v40 bitop3:0x14
	s_delay_alu instid0(VALU_DEP_1) | instskip(NEXT) | instid1(VALU_DEP_1)
	v_alignbit_b32 v41, v37, v34, v41
	v_cndmask_b32_e32 v37, v41, v37, vcc_lo
	s_delay_alu instid0(VALU_DEP_3) | instskip(NEXT) | instid1(VALU_DEP_2)
	v_clz_i32_u32_e32 v41, v39
	v_alignbit_b32 v36, v36, v37, 30
	s_delay_alu instid0(VALU_DEP_2) | instskip(SKIP_1) | instid1(VALU_DEP_2)
	v_min_u32_e32 v41, 32, v41
	v_alignbit_b32 v34, v37, v34, 30
	v_dual_sub_nc_u32 v37, 31, v41 :: v_dual_bitop2_b32 v36, v36, v40 bitop3:0x14
	s_delay_alu instid0(VALU_DEP_2) | instskip(SKIP_1) | instid1(VALU_DEP_3)
	v_xor_b32_e32 v34, v34, v40
	v_dual_lshrrev_b32 v40, 29, v20 :: v_dual_lshlrev_b32 v42, 23, v41
	v_alignbit_b32 v39, v39, v36, v37
	s_delay_alu instid0(VALU_DEP_3) | instskip(NEXT) | instid1(VALU_DEP_3)
	v_alignbit_b32 v34, v36, v34, v37
	v_lshlrev_b32_e32 v36, 31, v40
	s_delay_alu instid0(VALU_DEP_2) | instskip(NEXT) | instid1(VALU_DEP_2)
	v_alignbit_b32 v37, v39, v34, 9
	v_dual_lshrrev_b32 v39, 9, v39 :: v_dual_bitop2_b32 v40, 0.5, v36 bitop3:0x54
	v_or_b32_e32 v36, 0x33000000, v36
	s_delay_alu instid0(VALU_DEP_3) | instskip(NEXT) | instid1(VALU_DEP_3)
	v_clz_i32_u32_e32 v43, v37
	v_sub_nc_u32_e32 v40, v40, v42
	s_delay_alu instid0(VALU_DEP_2) | instskip(NEXT) | instid1(VALU_DEP_1)
	v_min_u32_e32 v42, 32, v43
	v_add_lshl_u32 v41, v42, v41, 23
	s_delay_alu instid0(VALU_DEP_3) | instskip(SKIP_1) | instid1(VALU_DEP_2)
	v_or_b32_e32 v39, v39, v40
	v_not_b32_e32 v40, v42
	v_dual_mul_f32 v43, 0x3fc90fda, v39 :: v_dual_sub_nc_u32 v36, v36, v41
	s_delay_alu instid0(VALU_DEP_2) | instskip(NEXT) | instid1(VALU_DEP_2)
	v_alignbit_b32 v34, v37, v34, v40
	v_fma_f32 v37, 0x3fc90fda, v39, -v43
	s_delay_alu instid0(VALU_DEP_1) | instskip(NEXT) | instid1(VALU_DEP_1)
	v_dual_fmac_f32 v37, 0x33a22168, v39 :: v_dual_lshrrev_b32 v34, 9, v34
	v_or_b32_e32 v34, v36, v34
	s_delay_alu instid0(VALU_DEP_1) | instskip(NEXT) | instid1(VALU_DEP_1)
	v_dual_fmac_f32 v37, 0x3fc90fda, v34 :: v_dual_lshrrev_b32 v34, 30, v20
	v_dual_add_f32 v20, v43, v37 :: v_dual_add_nc_u32 v34, v38, v34
.LBB162_79:                             ;   in Loop: Header=BB162_4 Depth=1
	s_or_saveexec_b32 s6, s38
	v_mul_f32_e64 v36, 0x3f22f983, |v31|
	s_delay_alu instid0(VALU_DEP_1)
	v_rndne_f32_e32 v38, v36
	s_xor_b32 exec_lo, exec_lo, s6
; %bb.80:                               ;   in Loop: Header=BB162_4 Depth=1
	s_delay_alu instid0(VALU_DEP_1) | instskip(SKIP_1) | instid1(VALU_DEP_2)
	v_fma_f32 v20, 0xbfc90fda, v38, |v31|
	v_cvt_i32_f32_e32 v34, v38
	v_fmac_f32_e32 v20, 0xb3a22168, v38
	s_delay_alu instid0(VALU_DEP_1)
	v_fmac_f32_e32 v20, 0xa7c234c4, v38
; %bb.81:                               ;   in Loop: Header=BB162_4 Depth=1
	s_or_b32 exec_lo, exec_lo, s6
                                        ; implicit-def: $vgpr37
                                        ; implicit-def: $vgpr36
	s_and_saveexec_b32 s6, s37
	s_delay_alu instid0(SALU_CYCLE_1)
	s_xor_b32 s37, exec_lo, s6
	s_cbranch_execz .LBB162_83
; %bb.82:                               ;   in Loop: Header=BB162_4 Depth=1
	v_mul_u64_e32 v[36:37], s[16:17], v[4:5]
	v_mov_b32_e32 v39, v5
	v_cmp_lt_u32_e32 vcc_lo, 63, v35
	s_delay_alu instid0(VALU_DEP_3) | instskip(SKIP_1) | instid1(VALU_DEP_2)
	v_mov_b32_e32 v38, v37
	v_cndmask_b32_e64 v37, 0, 0xffffffc0, vcc_lo
	v_mad_nc_u64_u32 v[38:39], 0x3c439041, v4, v[38:39]
	s_delay_alu instid0(VALU_DEP_1) | instskip(NEXT) | instid1(VALU_DEP_1)
	v_dual_mov_b32 v41, v5 :: v_dual_mov_b32 v40, v39
	v_mad_nc_u64_u32 v[40:41], 0xdb629599, v4, v[40:41]
	s_delay_alu instid0(VALU_DEP_1) | instskip(NEXT) | instid1(VALU_DEP_2)
	v_dual_mov_b32 v43, v5 :: v_dual_mov_b32 v42, v41
	v_cndmask_b32_e32 v36, v40, v36, vcc_lo
	s_delay_alu instid0(VALU_DEP_2) | instskip(NEXT) | instid1(VALU_DEP_1)
	v_mad_nc_u64_u32 v[42:43], 0xf534ddc0, v4, v[42:43]
	v_dual_mov_b32 v45, v5 :: v_dual_mov_b32 v44, v43
	s_delay_alu instid0(VALU_DEP_1) | instskip(NEXT) | instid1(VALU_DEP_1)
	v_mad_nc_u64_u32 v[44:45], 0xfc2757d1, v4, v[44:45]
	v_dual_mov_b32 v47, v5 :: v_dual_mov_b32 v46, v45
	s_delay_alu instid0(VALU_DEP_2) | instskip(NEXT) | instid1(VALU_DEP_2)
	v_cndmask_b32_e32 v43, v44, v40, vcc_lo
	v_mad_nc_u64_u32 v[46:47], 0x4e441529, v4, v[46:47]
	v_add_nc_u32_e32 v35, v37, v35
	s_delay_alu instid0(VALU_DEP_2) | instskip(NEXT) | instid1(VALU_DEP_2)
	v_dual_mov_b32 v49, v5 :: v_dual_mov_b32 v48, v47
	v_cmp_lt_u32_e64 s6, 31, v35
	s_delay_alu instid0(VALU_DEP_2) | instskip(NEXT) | instid1(VALU_DEP_2)
	v_mad_nc_u64_u32 v[48:49], 0xa2f9836e, v4, v[48:49]
	v_cndmask_b32_e64 v37, 0, 0xffffffe0, s6
	s_delay_alu instid0(VALU_DEP_1) | instskip(NEXT) | instid1(VALU_DEP_3)
	v_dual_cndmask_b32 v37, v46, v42 :: v_dual_add_nc_u32 v4, v37, v35
	v_cndmask_b32_e32 v39, v48, v44, vcc_lo
	s_delay_alu instid0(VALU_DEP_2) | instskip(SKIP_1) | instid1(VALU_DEP_2)
	v_cmp_lt_u32_e64 s7, 31, v4
	v_cndmask_b32_e32 v41, v49, v46, vcc_lo
	v_cndmask_b32_e64 v35, 0, 0xffffffe0, s7
	s_delay_alu instid0(VALU_DEP_1) | instskip(NEXT) | instid1(VALU_DEP_3)
	v_dual_cndmask_b32 v35, v42, v38 :: v_dual_add_nc_u32 v4, v35, v4
	v_dual_cndmask_b32 v38, v39, v37, s6 :: v_dual_cndmask_b32 v39, v41, v39, s6
	s_delay_alu instid0(VALU_DEP_2) | instskip(NEXT) | instid1(VALU_DEP_3)
	v_dual_cndmask_b32 v37, v37, v43, s6 :: v_dual_sub_nc_u32 v41, 32, v4
	v_cndmask_b32_e64 v42, v43, v35, s6
	v_cmp_eq_u32_e32 vcc_lo, 0, v4
	s_delay_alu instid0(VALU_DEP_3) | instskip(NEXT) | instid1(VALU_DEP_1)
	v_dual_cndmask_b32 v39, v39, v38, s7 :: v_dual_cndmask_b32 v38, v38, v37, s7
	v_alignbit_b32 v43, v39, v38, v41
	s_delay_alu instid0(VALU_DEP_1) | instskip(NEXT) | instid1(VALU_DEP_1)
	v_dual_cndmask_b32 v37, v37, v42, s7 :: v_dual_cndmask_b32 v4, v43, v39, vcc_lo
	v_alignbit_b32 v40, v38, v37, v41
	s_delay_alu instid0(VALU_DEP_1) | instskip(NEXT) | instid1(VALU_DEP_3)
	v_dual_cndmask_b32 v35, v35, v36, s6 :: v_dual_cndmask_b32 v36, v40, v38, vcc_lo
	v_bfe_u32 v38, v4, 29, 1
	s_delay_alu instid0(VALU_DEP_2) | instskip(NEXT) | instid1(VALU_DEP_3)
	v_cndmask_b32_e64 v35, v42, v35, s7
	v_alignbit_b32 v39, v4, v36, 30
	s_delay_alu instid0(VALU_DEP_3) | instskip(NEXT) | instid1(VALU_DEP_3)
	v_sub_nc_u32_e32 v40, 0, v38
	v_alignbit_b32 v41, v37, v35, v41
	s_delay_alu instid0(VALU_DEP_1) | instskip(NEXT) | instid1(VALU_DEP_1)
	v_dual_cndmask_b32 v37, v41, v37, vcc_lo :: v_dual_bitop2_b32 v39, v39, v40 bitop3:0x14
	v_clz_i32_u32_e32 v41, v39
	s_delay_alu instid0(VALU_DEP_2) | instskip(SKIP_1) | instid1(VALU_DEP_3)
	v_alignbit_b32 v36, v36, v37, 30
	v_alignbit_b32 v35, v37, v35, 30
	v_min_u32_e32 v41, 32, v41
	s_delay_alu instid0(VALU_DEP_3) | instskip(NEXT) | instid1(VALU_DEP_3)
	v_xor_b32_e32 v36, v36, v40
	v_xor_b32_e32 v35, v35, v40
	v_dual_lshrrev_b32 v40, 29, v4 :: v_dual_lshrrev_b32 v4, 30, v4
	s_delay_alu instid0(VALU_DEP_4) | instskip(NEXT) | instid1(VALU_DEP_1)
	v_dual_sub_nc_u32 v37, 31, v41 :: v_dual_lshlrev_b32 v42, 23, v41
	v_alignbit_b32 v39, v39, v36, v37
	s_delay_alu instid0(VALU_DEP_4) | instskip(NEXT) | instid1(VALU_DEP_4)
	v_alignbit_b32 v35, v36, v35, v37
	v_lshlrev_b32_e32 v36, 31, v40
	s_delay_alu instid0(VALU_DEP_2) | instskip(NEXT) | instid1(VALU_DEP_2)
	v_alignbit_b32 v37, v39, v35, 9
	v_dual_lshrrev_b32 v39, 9, v39 :: v_dual_bitop2_b32 v40, 0.5, v36 bitop3:0x54
	v_or_b32_e32 v36, 0x33000000, v36
	s_delay_alu instid0(VALU_DEP_3) | instskip(NEXT) | instid1(VALU_DEP_3)
	v_clz_i32_u32_e32 v43, v37
	v_sub_nc_u32_e32 v40, v40, v42
	s_delay_alu instid0(VALU_DEP_2) | instskip(NEXT) | instid1(VALU_DEP_1)
	v_min_u32_e32 v42, 32, v43
	v_add_lshl_u32 v41, v42, v41, 23
	s_delay_alu instid0(VALU_DEP_3) | instskip(SKIP_1) | instid1(VALU_DEP_2)
	v_or_b32_e32 v39, v39, v40
	v_not_b32_e32 v40, v42
	v_dual_mul_f32 v43, 0x3fc90fda, v39 :: v_dual_sub_nc_u32 v36, v36, v41
	s_delay_alu instid0(VALU_DEP_2) | instskip(NEXT) | instid1(VALU_DEP_2)
	v_alignbit_b32 v35, v37, v35, v40
	v_fma_f32 v37, 0x3fc90fda, v39, -v43
	s_delay_alu instid0(VALU_DEP_2) | instskip(NEXT) | instid1(VALU_DEP_2)
	v_lshrrev_b32_e32 v35, 9, v35
	v_fmac_f32_e32 v37, 0x33a22168, v39
	s_delay_alu instid0(VALU_DEP_2) | instskip(NEXT) | instid1(VALU_DEP_1)
	v_or_b32_e32 v35, v36, v35
	v_fmac_f32_e32 v37, 0x3fc90fda, v35
	s_delay_alu instid0(VALU_DEP_1)
	v_dual_add_f32 v36, v43, v37 :: v_dual_add_nc_u32 v37, v38, v4
                                        ; implicit-def: $vgpr38
	s_and_not1_saveexec_b32 s6, s37
	s_cbranch_execnz .LBB162_84
	s_branch .LBB162_85
.LBB162_83:                             ;   in Loop: Header=BB162_4 Depth=1
	s_and_not1_saveexec_b32 s6, s37
.LBB162_84:                             ;   in Loop: Header=BB162_4 Depth=1
	v_fma_f32 v36, 0xbfc90fda, v38, |v31|
	v_cvt_i32_f32_e32 v37, v38
	s_delay_alu instid0(VALU_DEP_2) | instskip(NEXT) | instid1(VALU_DEP_1)
	v_fmac_f32_e32 v36, 0xb3a22168, v38
	v_fmac_f32_e32 v36, 0xa7c234c4, v38
.LBB162_85:                             ;   in Loop: Header=BB162_4 Depth=1
	s_or_b32 exec_lo, exec_lo, s6
	s_delay_alu instid0(VALU_DEP_1) | instskip(SKIP_1) | instid1(VALU_DEP_2)
	v_mul_f32_e32 v35, v36, v36
	v_dual_mul_f32 v4, v20, v20 :: v_dual_bitop2_b32 v38, 1, v34 bitop3:0x40
	v_dual_fmaak_f32 v41, s31, v35, 0x3c0881c4 :: v_dual_lshlrev_b32 v34, 30, v34
	s_delay_alu instid0(VALU_DEP_2) | instskip(NEXT) | instid1(VALU_DEP_2)
	v_cmp_eq_u32_e32 vcc_lo, 0, v38
	v_bitop3_b32 v18, v18, v34, 0x80000000 bitop3:0x78
	s_delay_alu instid0(VALU_DEP_3) | instskip(NEXT) | instid1(VALU_DEP_1)
	v_fmaak_f32 v41, v35, v41, 0xbe2aaa9d
	v_dual_fmaak_f32 v42, s33, v35, 0xbab64f3b :: v_dual_mul_f32 v41, v35, v41
	v_fmaak_f32 v39, s31, v4, 0x3c0881c4
	s_delay_alu instid0(VALU_DEP_2) | instskip(NEXT) | instid1(VALU_DEP_3)
	v_fmaak_f32 v42, v35, v42, 0x3d2aabf7
	v_fmac_f32_e32 v36, v36, v41
	s_delay_alu instid0(VALU_DEP_3) | instskip(SKIP_1) | instid1(VALU_DEP_2)
	v_fmaak_f32 v39, v4, v39, 0xbe2aaa9d
	v_fmaak_f32 v40, s33, v4, 0xbab64f3b
	v_dual_fmaak_f32 v42, v35, v42, 0xbf000004 :: v_dual_mul_f32 v39, v4, v39
	s_delay_alu instid0(VALU_DEP_2) | instskip(NEXT) | instid1(VALU_DEP_2)
	v_fmaak_f32 v40, v4, v40, 0x3d2aabf7
	v_fma_f32 v35, v35, v42, 1.0
	v_dual_lshlrev_b32 v37, 30, v37 :: v_dual_bitop2_b32 v43, 1, v37 bitop3:0x40
	s_delay_alu instid0(VALU_DEP_4) | instskip(NEXT) | instid1(VALU_DEP_4)
	v_fmac_f32_e32 v20, v20, v39
	v_fmaak_f32 v40, v4, v40, 0xbf000004
	s_delay_alu instid0(VALU_DEP_1) | instskip(NEXT) | instid1(VALU_DEP_1)
	v_fma_f32 v4, v4, v40, 1.0
	v_cndmask_b32_e32 v4, v4, v20, vcc_lo
	v_cmp_eq_u32_e32 vcc_lo, 0, v43
	s_delay_alu instid0(VALU_DEP_2) | instskip(SKIP_2) | instid1(VALU_DEP_2)
	v_xor3_b32 v4, v18, v4, v31
	v_cndmask_b32_e64 v20, -v36, v35, vcc_lo
	v_cmp_class_f32_e64 vcc_lo, v31, 0x1f8
	v_bitop3_b32 v18, v37, v20, 0x80000000 bitop3:0x6c
	s_delay_alu instid0(VALU_DEP_1) | instskip(NEXT) | instid1(VALU_DEP_1)
	v_mul_f32_e32 v4, v4, v18
	v_cndmask_b32_e32 v31, 0x7fc00000, v4, vcc_lo
.LBB162_86:                             ;   in Loop: Header=BB162_4 Depth=1
	s_or_b32 exec_lo, exec_lo, s36
	v_add_nc_u32_e32 v30, -2.0, v30
	s_delay_alu instid0(VALU_DEP_2)
	v_bfi_b32 v31, 0x7fffffff, 0, v31
.LBB162_87:                             ;   in Loop: Header=BB162_4 Depth=1
	s_or_b32 exec_lo, exec_lo, s35
.LBB162_88:                             ;   in Loop: Header=BB162_4 Depth=1
	s_delay_alu instid0(SALU_CYCLE_1) | instskip(SKIP_2) | instid1(VALU_DEP_1)
	s_or_b32 exec_lo, exec_lo, s34
	v_and_b32_e32 v18, 0x7fffffff, v26
	s_mov_b32 s6, exec_lo
	v_cmpx_gt_u32_e32 0x7f800000, v18
	s_xor_b32 s34, exec_lo, s6
	s_cbranch_execz .LBB162_110
; %bb.89:                               ;   in Loop: Header=BB162_4 Depth=1
	v_cmp_class_f32_e64 s6, v27, 0x1f8
	s_and_saveexec_b32 s7, s6
	s_delay_alu instid0(SALU_CYCLE_1)
	s_xor_b32 s35, exec_lo, s7
	s_cbranch_execz .LBB162_107
; %bb.90:                               ;   in Loop: Header=BB162_4 Depth=1
	v_and_b32_e32 v34, 0x7fffffff, v27
	s_mov_b32 s6, exec_lo
	v_cmpx_gt_u32_e32 0x41300000, v18
	s_xor_b32 s36, exec_lo, s6
	s_cbranch_execz .LBB162_96
; %bb.91:                               ;   in Loop: Header=BB162_4 Depth=1
                                        ; implicit-def: $vgpr4
                                        ; implicit-def: $vgpr35
	s_mov_b32 s7, exec_lo
	v_cmpx_ngt_f32_e64 0x48000000, |v27|
	s_xor_b32 s37, exec_lo, s7
	s_cbranch_execz .LBB162_93
; %bb.92:                               ;   in Loop: Header=BB162_4 Depth=1
	v_and_or_b32 v4, v34, s26, 0x800000
	v_dual_mov_b32 v47, v5 :: v_dual_lshrrev_b32 v20, 23, v34
	v_mov_b32_e32 v49, v5
	s_delay_alu instid0(VALU_DEP_3) | instskip(NEXT) | instid1(VALU_DEP_3)
	v_mul_u64_e32 v[36:37], s[16:17], v[4:5]
	v_dual_mov_b32 v39, v5 :: v_dual_add_nc_u32 v20, 0xffffff88, v20
	s_delay_alu instid0(VALU_DEP_1) | instskip(SKIP_1) | instid1(VALU_DEP_1)
	v_cmp_lt_u32_e32 vcc_lo, 63, v20
	v_cndmask_b32_e64 v35, 0, 0xffffffc0, vcc_lo
	v_add_nc_u32_e32 v20, v35, v20
	s_delay_alu instid0(VALU_DEP_1) | instskip(NEXT) | instid1(VALU_DEP_1)
	v_cmp_lt_u32_e64 s6, 31, v20
	v_cndmask_b32_e64 v35, 0, 0xffffffe0, s6
	v_mov_b32_e32 v38, v37
	s_delay_alu instid0(VALU_DEP_1) | instskip(NEXT) | instid1(VALU_DEP_1)
	v_mad_nc_u64_u32 v[38:39], 0x3c439041, v4, v[38:39]
	v_dual_mov_b32 v41, v5 :: v_dual_mov_b32 v40, v39
	s_delay_alu instid0(VALU_DEP_1) | instskip(NEXT) | instid1(VALU_DEP_1)
	v_mad_nc_u64_u32 v[40:41], 0xdb629599, v4, v[40:41]
	v_dual_mov_b32 v43, v5 :: v_dual_mov_b32 v42, v41
	;; [unrolled: 3-line block ×3, first 2 shown]
	s_delay_alu instid0(VALU_DEP_1) | instskip(NEXT) | instid1(VALU_DEP_1)
	v_mad_nc_u64_u32 v[44:45], 0xfc2757d1, v4, v[44:45]
	v_mov_b32_e32 v46, v45
	s_delay_alu instid0(VALU_DEP_1) | instskip(NEXT) | instid1(VALU_DEP_1)
	v_mad_nc_u64_u32 v[46:47], 0x4e441529, v4, v[46:47]
	v_mov_b32_e32 v48, v47
	s_delay_alu instid0(VALU_DEP_1) | instskip(NEXT) | instid1(VALU_DEP_3)
	v_mad_nc_u64_u32 v[48:49], 0xa2f9836e, v4, v[48:49]
	v_dual_cndmask_b32 v35, v46, v42 :: v_dual_add_nc_u32 v4, v35, v20
	s_delay_alu instid0(VALU_DEP_2) | instskip(NEXT) | instid1(VALU_DEP_2)
	v_cndmask_b32_e32 v39, v49, v46, vcc_lo
	v_cmp_lt_u32_e64 s7, 31, v4
	s_delay_alu instid0(VALU_DEP_4) | instskip(SKIP_1) | instid1(VALU_DEP_3)
	v_cndmask_b32_e32 v37, v48, v44, vcc_lo
	v_cndmask_b32_e32 v41, v44, v40, vcc_lo
	v_cndmask_b32_e64 v20, 0, 0xffffffe0, s7
	s_delay_alu instid0(VALU_DEP_1) | instskip(NEXT) | instid1(VALU_DEP_4)
	v_dual_add_nc_u32 v4, v20, v4 :: v_dual_cndmask_b32 v20, v42, v38, vcc_lo
	v_dual_cndmask_b32 v38, v37, v35, s6 :: v_dual_cndmask_b32 v37, v39, v37, s6
	s_delay_alu instid0(VALU_DEP_2) | instskip(NEXT) | instid1(VALU_DEP_3)
	v_dual_cndmask_b32 v35, v35, v41, s6 :: v_dual_sub_nc_u32 v39, 32, v4
	v_cndmask_b32_e64 v41, v41, v20, s6
	s_delay_alu instid0(VALU_DEP_2) | instskip(NEXT) | instid1(VALU_DEP_2)
	v_dual_cndmask_b32 v37, v37, v38, s7 :: v_dual_cndmask_b32 v38, v38, v35, s7
	v_cndmask_b32_e64 v35, v35, v41, s7
	s_delay_alu instid0(VALU_DEP_2) | instskip(SKIP_2) | instid1(VALU_DEP_4)
	v_alignbit_b32 v42, v37, v38, v39
	v_cndmask_b32_e32 v36, v40, v36, vcc_lo
	v_cmp_eq_u32_e32 vcc_lo, 0, v4
	v_alignbit_b32 v40, v38, v35, v39
	s_delay_alu instid0(VALU_DEP_4) | instskip(NEXT) | instid1(VALU_DEP_1)
	v_cndmask_b32_e32 v4, v42, v37, vcc_lo
	v_bfe_u32 v37, v4, 29, 1
	v_cndmask_b32_e64 v20, v20, v36, s6
	s_delay_alu instid0(VALU_DEP_2) | instskip(NEXT) | instid1(VALU_DEP_2)
	v_dual_cndmask_b32 v36, v40, v38, vcc_lo :: v_dual_sub_nc_u32 v40, 0, v37
	v_cndmask_b32_e64 v20, v41, v20, s7
	s_delay_alu instid0(VALU_DEP_2) | instskip(NEXT) | instid1(VALU_DEP_2)
	v_alignbit_b32 v38, v4, v36, 30
	v_alignbit_b32 v39, v35, v20, v39
	s_delay_alu instid0(VALU_DEP_1) | instskip(NEXT) | instid1(VALU_DEP_1)
	v_dual_cndmask_b32 v35, v39, v35, vcc_lo :: v_dual_bitop2_b32 v38, v38, v40 bitop3:0x14
	v_clz_i32_u32_e32 v39, v38
	s_delay_alu instid0(VALU_DEP_2) | instskip(NEXT) | instid1(VALU_DEP_2)
	v_alignbit_b32 v36, v36, v35, 30
	v_min_u32_e32 v39, 32, v39
	v_alignbit_b32 v20, v35, v20, 30
	s_delay_alu instid0(VALU_DEP_2) | instskip(NEXT) | instid1(VALU_DEP_2)
	v_dual_sub_nc_u32 v36, 31, v39 :: v_dual_bitop2_b32 v35, v36, v40 bitop3:0x14
	v_xor_b32_e32 v20, v20, v40
	v_dual_lshrrev_b32 v40, 29, v4 :: v_dual_lshlrev_b32 v41, 23, v39
	v_lshrrev_b32_e32 v4, 30, v4
	s_delay_alu instid0(VALU_DEP_4) | instskip(NEXT) | instid1(VALU_DEP_4)
	v_alignbit_b32 v38, v38, v35, v36
	v_alignbit_b32 v20, v35, v20, v36
	s_delay_alu instid0(VALU_DEP_4) | instskip(NEXT) | instid1(VALU_DEP_4)
	v_lshlrev_b32_e32 v35, 31, v40
	v_add_nc_u32_e32 v4, v37, v4
	s_delay_alu instid0(VALU_DEP_3) | instskip(NEXT) | instid1(VALU_DEP_3)
	v_alignbit_b32 v36, v38, v20, 9
	v_dual_lshrrev_b32 v38, 9, v38 :: v_dual_bitop2_b32 v40, 0.5, v35 bitop3:0x54
	v_or_b32_e32 v35, 0x33000000, v35
	s_delay_alu instid0(VALU_DEP_3) | instskip(NEXT) | instid1(VALU_DEP_3)
	v_clz_i32_u32_e32 v42, v36
	v_sub_nc_u32_e32 v40, v40, v41
	s_delay_alu instid0(VALU_DEP_2) | instskip(NEXT) | instid1(VALU_DEP_1)
	v_min_u32_e32 v41, 32, v42
	v_add_lshl_u32 v39, v41, v39, 23
	s_delay_alu instid0(VALU_DEP_1) | instskip(SKIP_1) | instid1(VALU_DEP_2)
	v_dual_sub_nc_u32 v35, v35, v39 :: v_dual_bitop2_b32 v38, v38, v40 bitop3:0x54
	v_not_b32_e32 v40, v41
	v_mul_f32_e32 v42, 0x3fc90fda, v38
	s_delay_alu instid0(VALU_DEP_2) | instskip(NEXT) | instid1(VALU_DEP_2)
	v_alignbit_b32 v20, v36, v20, v40
	v_fma_f32 v36, 0x3fc90fda, v38, -v42
	s_delay_alu instid0(VALU_DEP_2) | instskip(NEXT) | instid1(VALU_DEP_2)
	v_lshrrev_b32_e32 v20, 9, v20
	v_fmac_f32_e32 v36, 0x33a22168, v38
	s_delay_alu instid0(VALU_DEP_2) | instskip(NEXT) | instid1(VALU_DEP_1)
	v_or_b32_e32 v20, v35, v20
	v_fmac_f32_e32 v36, 0x3fc90fda, v20
	s_delay_alu instid0(VALU_DEP_1)
	v_add_f32_e32 v35, v42, v36
.LBB162_93:                             ;   in Loop: Header=BB162_4 Depth=1
	s_and_not1_saveexec_b32 s6, s37
; %bb.94:                               ;   in Loop: Header=BB162_4 Depth=1
	v_mul_f32_e64 v4, 0x3f22f983, |v27|
	s_delay_alu instid0(VALU_DEP_1) | instskip(NEXT) | instid1(VALU_DEP_1)
	v_rndne_f32_e32 v4, v4
	v_fma_f32 v35, 0xbfc90fda, v4, |v27|
	s_delay_alu instid0(VALU_DEP_1) | instskip(NEXT) | instid1(VALU_DEP_1)
	v_fmac_f32_e32 v35, 0xb3a22168, v4
	v_fmac_f32_e32 v35, 0xa7c234c4, v4
	v_cvt_i32_f32_e32 v4, v4
; %bb.95:                               ;   in Loop: Header=BB162_4 Depth=1
	s_or_b32 exec_lo, exec_lo, s6
	v_add_f32_e64 v20, 0xbf317218, |v26|
	v_cmp_nlt_f32_e64 vcc_lo, 0x42b2d4fc, |v26|
	v_cmp_gt_f32_e64 s6, 0x39800000, |v26|
	v_and_b32_e32 v4, 1, v4
	s_delay_alu instid0(VALU_DEP_4) | instskip(NEXT) | instid1(VALU_DEP_1)
	v_sub_f32_e64 v37, v20, |v26|
	v_sub_f32_e32 v36, v37, v20
	s_delay_alu instid0(VALU_DEP_1) | instskip(NEXT) | instid1(VALU_DEP_1)
	v_pk_add_f32 v[36:37], v[18:19], v[36:37]
	v_sub_f32_e32 v18, v36, v37
	s_delay_alu instid0(VALU_DEP_1) | instskip(NEXT) | instid1(VALU_DEP_1)
	v_add_f32_e32 v18, 0x3102e308, v18
	v_add_f32_e32 v37, v20, v18
	s_delay_alu instid0(VALU_DEP_1) | instskip(SKIP_1) | instid1(VALU_DEP_2)
	v_mul_f32_e32 v36, 0x3fb8aa3b, v37
	v_sub_f32_e32 v20, v20, v37
	v_rndne_f32_e32 v44, v36
	s_delay_alu instid0(VALU_DEP_2) | instskip(NEXT) | instid1(VALU_DEP_2)
	v_add_f32_e32 v18, v18, v20
	v_fmac_f32_e32 v37, 0xbf317200, v44
	v_mul_f32_e32 v20, 0x35bfbc00, v44
	s_delay_alu instid0(VALU_DEP_2) | instskip(NEXT) | instid1(VALU_DEP_1)
	v_dual_mul_f32 v39, 0x2ea39ef3, v44 :: v_dual_add_f32 v38, v18, v37
	v_dual_sub_f32 v36, v38, v20 :: v_dual_sub_f32 v37, v37, v38
	s_delay_alu instid0(VALU_DEP_1) | instskip(NEXT) | instid1(VALU_DEP_2)
	v_sub_f32_e32 v38, v38, v36
	v_add_f32_e32 v18, v18, v37
	s_delay_alu instid0(VALU_DEP_2) | instskip(NEXT) | instid1(VALU_DEP_1)
	v_sub_f32_e32 v20, v38, v20
	v_add_f32_e32 v18, v18, v20
	s_delay_alu instid0(VALU_DEP_1) | instskip(NEXT) | instid1(VALU_DEP_1)
	v_add_f32_e32 v37, v36, v18
	v_mov_b32_e32 v38, v37
	s_delay_alu instid0(VALU_DEP_1) | instskip(NEXT) | instid1(VALU_DEP_1)
	v_pk_add_f32 v[40:41], v[36:37], v[38:39] neg_lo:[0,1] neg_hi:[0,1]
	v_sub_f32_e32 v20, v37, v41
	s_delay_alu instid0(VALU_DEP_1) | instskip(NEXT) | instid1(VALU_DEP_1)
	v_dual_sub_f32 v20, v20, v39 :: v_dual_add_f32 v18, v18, v40
	v_add_f32_e32 v18, v18, v20
	s_delay_alu instid0(VALU_DEP_1) | instskip(NEXT) | instid1(VALU_DEP_1)
	v_add_f32_e32 v36, v41, v18
	v_sub_f32_e32 v20, v41, v36
	s_delay_alu instid0(VALU_DEP_1) | instskip(SKIP_1) | instid1(VALU_DEP_1)
	v_add_f32_e32 v18, v18, v20
	v_dual_mul_f32 v37, v36, v36 :: v_dual_fmaak_f32 v20, s30, v36, 0x3c091de6
	v_dual_add_f32 v39, v18, v18 :: v_dual_fma_f32 v38, v36, v36, -v37
	s_delay_alu instid0(VALU_DEP_1) | instskip(NEXT) | instid1(VALU_DEP_1)
	v_fmac_f32_e32 v38, v36, v39
	v_dual_add_f32 v39, v37, v38 :: v_dual_fmaak_f32 v20, v36, v20, 0x3d2aadcc
	s_delay_alu instid0(VALU_DEP_1) | instskip(NEXT) | instid1(VALU_DEP_1)
	v_dual_sub_f32 v37, v39, v37 :: v_dual_fmaak_f32 v20, v36, v20, 0x3e2aaa47
	v_dual_sub_f32 v37, v38, v37 :: v_dual_fmaak_f32 v20, v36, v20, 0x3efffffc
	s_delay_alu instid0(VALU_DEP_1) | instskip(NEXT) | instid1(VALU_DEP_1)
	v_mul_f32_e32 v40, v20, v39
	v_fma_f32 v38, v39, v20, -v40
	s_delay_alu instid0(VALU_DEP_1) | instskip(NEXT) | instid1(VALU_DEP_1)
	v_fmac_f32_e32 v38, v37, v20
	v_add_f32_e32 v37, v40, v38
	s_delay_alu instid0(VALU_DEP_1) | instskip(SKIP_1) | instid1(VALU_DEP_2)
	v_sub_f32_e32 v39, v37, v40
	v_mov_b64_e32 v[40:41], s[26:27]
	v_dual_sub_f32 v38, v38, v39 :: v_dual_add_f32 v20, v36, v37
	s_delay_alu instid0(VALU_DEP_1) | instskip(NEXT) | instid1(VALU_DEP_1)
	v_dual_add_f32 v18, v18, v38 :: v_dual_sub_f32 v36, v20, v36
	v_sub_f32_e32 v36, v37, v36
	s_delay_alu instid0(VALU_DEP_1) | instskip(NEXT) | instid1(VALU_DEP_1)
	v_add_f32_e32 v36, v18, v36
	v_add_f32_e32 v38, v20, v36
	s_delay_alu instid0(VALU_DEP_1) | instskip(NEXT) | instid1(VALU_DEP_1)
	v_dual_add_f32 v39, 1.0, v38 :: v_dual_mov_b32 v37, v38
	v_pk_add_f32 v[40:41], v[38:39], v[40:41]
	v_pk_add_f32 v[42:43], v[38:39], v[20:21] neg_lo:[0,1] neg_hi:[0,1]
	v_cvt_i32_f32_e32 v20, v44
	s_delay_alu instid0(VALU_DEP_3) | instskip(NEXT) | instid1(VALU_DEP_1)
	v_mov_b32_e32 v43, v41
	v_pk_add_f32 v[36:37], v[36:37], v[42:43] neg_lo:[0,1] neg_hi:[0,1]
	s_delay_alu instid0(VALU_DEP_1) | instskip(NEXT) | instid1(VALU_DEP_1)
	v_add_f32_e32 v18, v36, v37
	v_add_f32_e32 v36, v39, v18
	s_delay_alu instid0(VALU_DEP_1) | instskip(SKIP_1) | instid1(VALU_DEP_2)
	v_ldexp_f32 v37, v36, v20
	v_sub_f32_e32 v36, v36, v39
	v_rcp_f32_e32 v38, v37
	v_nop
	s_delay_alu instid0(TRANS32_DEP_1) | instskip(NEXT) | instid1(VALU_DEP_1)
	v_dual_sub_f32 v18, v18, v36 :: v_dual_mul_f32 v36, v37, v38
	v_ldexp_f32 v18, v18, v20
	s_delay_alu instid0(VALU_DEP_2) | instskip(NEXT) | instid1(VALU_DEP_1)
	v_fma_f32 v20, v38, v37, -v36
	v_fmac_f32_e32 v20, v38, v18
	s_delay_alu instid0(VALU_DEP_1) | instskip(NEXT) | instid1(VALU_DEP_1)
	v_add_f32_e32 v39, v36, v20
	v_sub_f32_e32 v36, v39, v36
	s_delay_alu instid0(VALU_DEP_1) | instskip(NEXT) | instid1(VALU_DEP_1)
	v_dual_sub_f32 v20, v36, v20 :: v_dual_sub_f32 v40, 1.0, v39
	v_sub_f32_e32 v41, 1.0, v40
	s_delay_alu instid0(VALU_DEP_1) | instskip(NEXT) | instid1(VALU_DEP_1)
	v_sub_f32_e32 v36, v41, v39
	v_add_f32_e32 v20, v20, v36
	s_delay_alu instid0(VALU_DEP_1) | instskip(NEXT) | instid1(VALU_DEP_1)
	v_add_f32_e32 v36, v40, v20
	v_mul_f32_e32 v39, v38, v36
	s_delay_alu instid0(VALU_DEP_1) | instskip(NEXT) | instid1(VALU_DEP_1)
	v_mul_f32_e32 v41, v37, v39
	v_fma_f32 v42, v39, v37, -v41
	s_delay_alu instid0(VALU_DEP_1) | instskip(NEXT) | instid1(VALU_DEP_1)
	v_fmac_f32_e32 v42, v39, v18
	v_dual_add_f32 v43, v41, v42 :: v_dual_sub_f32 v40, v40, v36
	s_delay_alu instid0(VALU_DEP_1) | instskip(NEXT) | instid1(VALU_DEP_2)
	v_sub_f32_e32 v44, v36, v43
	v_dual_add_f32 v20, v20, v40 :: v_dual_sub_f32 v40, v43, v41
	s_delay_alu instid0(VALU_DEP_2) | instskip(NEXT) | instid1(VALU_DEP_2)
	v_sub_f32_e32 v36, v36, v44
	v_sub_f32_e32 v40, v40, v42
	s_delay_alu instid0(VALU_DEP_2) | instskip(NEXT) | instid1(VALU_DEP_1)
	v_sub_f32_e32 v36, v36, v43
	v_dual_add_f32 v20, v20, v36 :: v_dual_add_f32 v36, v38, v39
	s_delay_alu instid0(VALU_DEP_1) | instskip(NEXT) | instid1(VALU_DEP_2)
	v_add_f32_e32 v20, v40, v20
	v_sub_f32_e32 v40, v36, v38
	s_delay_alu instid0(VALU_DEP_2) | instskip(NEXT) | instid1(VALU_DEP_2)
	v_add_f32_e32 v20, v44, v20
	v_sub_f32_e32 v39, v39, v40
	s_delay_alu instid0(VALU_DEP_2) | instskip(NEXT) | instid1(VALU_DEP_1)
	v_mul_f32_e32 v20, v38, v20
	v_add_f32_e32 v20, v39, v20
	s_delay_alu instid0(VALU_DEP_1) | instskip(NEXT) | instid1(VALU_DEP_1)
	v_add_f32_e32 v38, v36, v20
	v_ldexp_f32 v39, v38, -2
	s_delay_alu instid0(VALU_DEP_1) | instskip(NEXT) | instid1(VALU_DEP_1)
	v_dual_sub_f32 v36, v38, v36 :: v_dual_sub_f32 v40, v37, v39
	v_sub_f32_e32 v20, v20, v36
	s_delay_alu instid0(VALU_DEP_2) | instskip(NEXT) | instid1(VALU_DEP_1)
	v_sub_f32_e32 v37, v37, v40
	v_sub_f32_e32 v36, v37, v39
	s_delay_alu instid0(VALU_DEP_1) | instskip(NEXT) | instid1(VALU_DEP_4)
	v_add_f32_e32 v18, v18, v36
	v_ldexp_f32 v20, v20, -2
	s_delay_alu instid0(VALU_DEP_1) | instskip(NEXT) | instid1(VALU_DEP_1)
	v_dual_sub_f32 v18, v18, v20 :: v_dual_mul_f32 v20, v35, v35
	v_add_f32_e32 v18, v40, v18
	s_delay_alu instid0(VALU_DEP_2) | instskip(NEXT) | instid1(VALU_DEP_2)
	v_fmaak_f32 v36, s29, v20, 0xbf039337
	v_cndmask_b32_e32 v18, 0x7f800000, v18, vcc_lo
	s_delay_alu instid0(VALU_DEP_2) | instskip(NEXT) | instid1(VALU_DEP_2)
	v_fmaak_f32 v36, v20, v36, 0x3f93f425
	v_cndmask_b32_e64 v18, v18, |v26|, s6
	s_delay_alu instid0(VALU_DEP_1) | instskip(NEXT) | instid1(VALU_DEP_3)
	v_bfi_b32 v18, 0x7fffffff, v18, v26
	v_rcp_f32_e32 v26, v36
	v_nop
	v_fmaak_f32 v36, s28, v20, 0x3ec54587
	s_delay_alu instid0(VALU_DEP_3)
	v_fma_f32 v37, v18, v18, 1.0
	s_delay_alu instid0(TRANS32_DEP_1) | instid1(VALU_DEP_2)
	v_mul_f32_e32 v26, v36, v26
	s_delay_alu instid0(VALU_DEP_2) | instskip(SKIP_1) | instid1(VALU_DEP_2)
	v_mul_f32_e32 v36, 0x4f800000, v37
	v_cmp_gt_f32_e32 vcc_lo, 0xf800000, v37
	v_dual_mul_f32 v20, v20, v26 :: v_dual_cndmask_b32 v26, v37, v36, vcc_lo
	s_delay_alu instid0(VALU_DEP_1) | instskip(NEXT) | instid1(VALU_DEP_2)
	v_fma_f32 v36, v20, v35, v35
	v_sqrt_f32_e32 v37, v26
	s_delay_alu instid0(VALU_DEP_1) | instskip(NEXT) | instid1(TRANS32_DEP_2)
	v_rcp_f32_e32 v38, v36
	v_dual_sub_f32 v39, v36, v35 :: v_dual_add_nc_u32 v40, -1, v37
	s_delay_alu instid0(VALU_DEP_1) | instskip(NEXT) | instid1(TRANS32_DEP_1)
	v_fma_f32 v20, v20, v35, -v39
	v_fma_f32 v35, v36, -v38, 1.0
	s_delay_alu instid0(VALU_DEP_3) | instskip(NEXT) | instid1(VALU_DEP_1)
	v_dual_add_nc_u32 v39, 1, v37 :: v_dual_fma_f32 v41, -v40, v37, v26
	v_dual_fma_f32 v20, v20, -v38, v35 :: v_dual_fma_f32 v35, -v39, v37, v26
	s_delay_alu instid0(VALU_DEP_2) | instskip(NEXT) | instid1(VALU_DEP_1)
	v_cmp_ge_f32_e64 s6, 0, v41
	v_cndmask_b32_e64 v37, v37, v40, s6
	s_delay_alu instid0(VALU_DEP_3) | instskip(NEXT) | instid1(VALU_DEP_1)
	v_cmp_lt_f32_e64 s6, 0, v35
	v_dual_fma_f32 v20, v20, -v38, -v38 :: v_dual_cndmask_b32 v35, v37, v39, s6
	v_cmp_eq_u32_e64 s6, 0, v4
	s_delay_alu instid0(VALU_DEP_1) | instskip(NEXT) | instid1(VALU_DEP_3)
	v_cndmask_b32_e64 v4, v20, v36, s6
	v_mul_f32_e32 v20, 0x37800000, v35
	s_delay_alu instid0(VALU_DEP_1) | instskip(SKIP_1) | instid1(VALU_DEP_2)
	v_cndmask_b32_e32 v20, v35, v20, vcc_lo
	v_cmp_class_f32_e64 vcc_lo, v26, 0x260
	v_cndmask_b32_e32 v20, v20, v26, vcc_lo
	v_xor3_b32 v4, v34, v4, v27
	s_delay_alu instid0(VALU_DEP_1) | instskip(NEXT) | instid1(VALU_DEP_1)
	v_fma_f32 v27, v4, v4, 1.0
	v_dual_mul_f32 v26, v18, v27 :: v_dual_mul_f32 v20, v20, v27
	s_delay_alu instid0(VALU_DEP_1) | instskip(NEXT) | instid1(VALU_DEP_2)
	v_fma_f32 v27, v18, v26, 1.0
	v_mul_f32_e32 v18, v18, v20
	s_delay_alu instid0(VALU_DEP_2) | instskip(NEXT) | instid1(VALU_DEP_2)
	v_div_scale_f32 v26, null, v27, v27, v4
	v_div_scale_f32 v20, null, v27, v27, v18
	s_delay_alu instid0(VALU_DEP_2) | instskip(NEXT) | instid1(VALU_DEP_1)
	v_rcp_f32_e32 v35, v26
	v_rcp_f32_e32 v34, v20
	s_delay_alu instid0(TRANS32_DEP_2) | instskip(NEXT) | instid1(TRANS32_DEP_1)
	v_fma_f32 v37, -v26, v35, 1.0
	v_fma_f32 v36, -v20, v34, 1.0
	s_delay_alu instid0(VALU_DEP_1) | instskip(SKIP_2) | instid1(VALU_DEP_1)
	v_dual_fmac_f32 v35, v37, v35 :: v_dual_fmac_f32 v34, v36, v34
	v_div_scale_f32 v38, vcc_lo, v18, v27, v18
	v_div_scale_f32 v36, s6, v4, v27, v4
	v_dual_mul_f32 v37, v38, v34 :: v_dual_mul_f32 v39, v36, v35
	s_delay_alu instid0(VALU_DEP_1) | instskip(NEXT) | instid1(VALU_DEP_1)
	v_dual_fma_f32 v40, -v20, v37, v38 :: v_dual_fma_f32 v41, -v26, v39, v36
	v_dual_fmac_f32 v37, v40, v34 :: v_dual_fmac_f32 v39, v41, v35
	s_delay_alu instid0(VALU_DEP_1) | instskip(NEXT) | instid1(VALU_DEP_1)
	v_dual_fma_f32 v20, -v20, v37, v38 :: v_dual_fma_f32 v26, -v26, v39, v36
	v_div_fmas_f32 v20, v20, v34, v37
	s_mov_b32 vcc_lo, s6
	s_delay_alu instid0(VALU_DEP_2) | instskip(NEXT) | instid1(VALU_DEP_2)
	v_div_fmas_f32 v34, v26, v35, v39
	v_div_fixup_f32 v26, v20, v27, v18
	s_delay_alu instid0(VALU_DEP_2)
	v_div_fixup_f32 v27, v34, v27, v4
                                        ; implicit-def: $vgpr34
.LBB162_96:                             ;   in Loop: Header=BB162_4 Depth=1
	s_and_not1_saveexec_b32 s36, s36
	s_cbranch_execz .LBB162_106
; %bb.97:                               ;   in Loop: Header=BB162_4 Depth=1
	v_lshrrev_b32_e32 v18, 23, v34
	s_delay_alu instid0(VALU_DEP_2) | instskip(SKIP_1) | instid1(VALU_DEP_3)
	v_cmp_ngt_f32_e64 s37, 0x48000000, |v27|
	v_and_or_b32 v4, v34, s26, 0x800000
                                        ; implicit-def: $vgpr35
	v_add_nc_u32_e32 v20, 0xffffff88, v18
                                        ; implicit-def: $vgpr18
	s_and_saveexec_b32 s6, s37
	s_delay_alu instid0(SALU_CYCLE_1)
	s_xor_b32 s38, exec_lo, s6
	s_cbranch_execz .LBB162_99
; %bb.98:                               ;   in Loop: Header=BB162_4 Depth=1
	v_mul_u64_e32 v[36:37], s[16:17], v[4:5]
	v_mov_b32_e32 v39, v5
	v_cmp_lt_u32_e32 vcc_lo, 63, v20
	v_mov_b32_e32 v49, v5
	v_cndmask_b32_e64 v18, 0, 0xffffffc0, vcc_lo
	s_delay_alu instid0(VALU_DEP_1) | instskip(NEXT) | instid1(VALU_DEP_1)
	v_add_nc_u32_e32 v18, v18, v20
	v_cmp_lt_u32_e64 s6, 31, v18
	s_delay_alu instid0(VALU_DEP_1) | instskip(SKIP_1) | instid1(VALU_DEP_1)
	v_cndmask_b32_e64 v35, 0, 0xffffffe0, s6
	v_mov_b32_e32 v38, v37
	v_mad_nc_u64_u32 v[38:39], 0x3c439041, v4, v[38:39]
	s_delay_alu instid0(VALU_DEP_1) | instskip(NEXT) | instid1(VALU_DEP_1)
	v_dual_mov_b32 v41, v5 :: v_dual_mov_b32 v40, v39
	v_mad_nc_u64_u32 v[40:41], 0xdb629599, v4, v[40:41]
	s_delay_alu instid0(VALU_DEP_1) | instskip(NEXT) | instid1(VALU_DEP_2)
	v_dual_mov_b32 v43, v5 :: v_dual_mov_b32 v42, v41
	v_cndmask_b32_e32 v36, v40, v36, vcc_lo
	s_delay_alu instid0(VALU_DEP_2) | instskip(NEXT) | instid1(VALU_DEP_1)
	v_mad_nc_u64_u32 v[42:43], 0xf534ddc0, v4, v[42:43]
	v_dual_mov_b32 v45, v5 :: v_dual_mov_b32 v44, v43
	s_delay_alu instid0(VALU_DEP_1) | instskip(NEXT) | instid1(VALU_DEP_1)
	v_mad_nc_u64_u32 v[44:45], 0xfc2757d1, v4, v[44:45]
	v_dual_mov_b32 v47, v5 :: v_dual_mov_b32 v46, v45
	s_delay_alu instid0(VALU_DEP_2) | instskip(NEXT) | instid1(VALU_DEP_2)
	v_cndmask_b32_e32 v43, v44, v40, vcc_lo
	v_mad_nc_u64_u32 v[46:47], 0x4e441529, v4, v[46:47]
	s_delay_alu instid0(VALU_DEP_1) | instskip(NEXT) | instid1(VALU_DEP_1)
	v_dual_mov_b32 v48, v47 :: v_dual_cndmask_b32 v37, v46, v42
	v_mad_nc_u64_u32 v[48:49], 0xa2f9836e, v4, v[48:49]
	s_delay_alu instid0(VALU_DEP_1) | instskip(NEXT) | instid1(VALU_DEP_1)
	v_dual_cndmask_b32 v39, v48, v44 :: v_dual_add_nc_u32 v18, v35, v18
	v_cmp_lt_u32_e64 s7, 31, v18
	s_delay_alu instid0(VALU_DEP_3) | instskip(NEXT) | instid1(VALU_DEP_2)
	v_cndmask_b32_e32 v41, v49, v46, vcc_lo
	v_cndmask_b32_e64 v35, 0, 0xffffffe0, s7
	s_delay_alu instid0(VALU_DEP_1) | instskip(SKIP_1) | instid1(VALU_DEP_4)
	v_add_nc_u32_e32 v18, v35, v18
	v_dual_cndmask_b32 v35, v42, v38, vcc_lo :: v_dual_cndmask_b32 v38, v39, v37, s6
	v_cndmask_b32_e64 v39, v41, v39, s6
	s_delay_alu instid0(VALU_DEP_3) | instskip(NEXT) | instid1(VALU_DEP_3)
	v_dual_cndmask_b32 v37, v37, v43, s6 :: v_dual_sub_nc_u32 v41, 32, v18
	v_cndmask_b32_e64 v42, v43, v35, s6
	v_cmp_eq_u32_e32 vcc_lo, 0, v18
	s_delay_alu instid0(VALU_DEP_3) | instskip(NEXT) | instid1(VALU_DEP_1)
	v_dual_cndmask_b32 v39, v39, v38, s7 :: v_dual_cndmask_b32 v38, v38, v37, s7
	v_alignbit_b32 v43, v39, v38, v41
	s_delay_alu instid0(VALU_DEP_1) | instskip(NEXT) | instid1(VALU_DEP_1)
	v_dual_cndmask_b32 v37, v37, v42, s7 :: v_dual_cndmask_b32 v18, v43, v39, vcc_lo
	v_alignbit_b32 v40, v38, v37, v41
	s_delay_alu instid0(VALU_DEP_1) | instskip(NEXT) | instid1(VALU_DEP_3)
	v_dual_cndmask_b32 v35, v35, v36, s6 :: v_dual_cndmask_b32 v36, v40, v38, vcc_lo
	v_bfe_u32 v38, v18, 29, 1
	s_delay_alu instid0(VALU_DEP_2) | instskip(NEXT) | instid1(VALU_DEP_3)
	v_cndmask_b32_e64 v35, v42, v35, s7
	v_alignbit_b32 v39, v18, v36, 30
	s_delay_alu instid0(VALU_DEP_3) | instskip(NEXT) | instid1(VALU_DEP_3)
	v_sub_nc_u32_e32 v40, 0, v38
	v_alignbit_b32 v41, v37, v35, v41
	s_delay_alu instid0(VALU_DEP_1) | instskip(NEXT) | instid1(VALU_DEP_1)
	v_dual_cndmask_b32 v37, v41, v37, vcc_lo :: v_dual_bitop2_b32 v39, v39, v40 bitop3:0x14
	v_clz_i32_u32_e32 v41, v39
	s_delay_alu instid0(VALU_DEP_2) | instskip(SKIP_1) | instid1(VALU_DEP_3)
	v_alignbit_b32 v36, v36, v37, 30
	v_alignbit_b32 v35, v37, v35, 30
	v_min_u32_e32 v41, 32, v41
	s_delay_alu instid0(VALU_DEP_3) | instskip(NEXT) | instid1(VALU_DEP_3)
	v_xor_b32_e32 v36, v36, v40
	v_dual_lshrrev_b32 v40, 29, v18 :: v_dual_bitop2_b32 v35, v35, v40 bitop3:0x14
	s_delay_alu instid0(VALU_DEP_3) | instskip(NEXT) | instid1(VALU_DEP_1)
	v_dual_sub_nc_u32 v37, 31, v41 :: v_dual_lshlrev_b32 v42, 23, v41
	v_alignbit_b32 v39, v39, v36, v37
	s_delay_alu instid0(VALU_DEP_3) | instskip(NEXT) | instid1(VALU_DEP_4)
	v_alignbit_b32 v35, v36, v35, v37
	v_lshlrev_b32_e32 v36, 31, v40
	s_delay_alu instid0(VALU_DEP_2) | instskip(NEXT) | instid1(VALU_DEP_2)
	v_alignbit_b32 v37, v39, v35, 9
	v_dual_lshrrev_b32 v39, 9, v39 :: v_dual_bitop2_b32 v40, 0.5, v36 bitop3:0x54
	v_or_b32_e32 v36, 0x33000000, v36
	s_delay_alu instid0(VALU_DEP_3) | instskip(NEXT) | instid1(VALU_DEP_3)
	v_clz_i32_u32_e32 v43, v37
	v_sub_nc_u32_e32 v40, v40, v42
	s_delay_alu instid0(VALU_DEP_2) | instskip(NEXT) | instid1(VALU_DEP_1)
	v_min_u32_e32 v42, 32, v43
	v_add_lshl_u32 v41, v42, v41, 23
	s_delay_alu instid0(VALU_DEP_3) | instskip(SKIP_1) | instid1(VALU_DEP_2)
	v_or_b32_e32 v39, v39, v40
	v_not_b32_e32 v40, v42
	v_dual_mul_f32 v43, 0x3fc90fda, v39 :: v_dual_sub_nc_u32 v36, v36, v41
	s_delay_alu instid0(VALU_DEP_2) | instskip(NEXT) | instid1(VALU_DEP_2)
	v_alignbit_b32 v35, v37, v35, v40
	v_fma_f32 v37, 0x3fc90fda, v39, -v43
	s_delay_alu instid0(VALU_DEP_2) | instskip(NEXT) | instid1(VALU_DEP_2)
	v_lshrrev_b32_e32 v35, 9, v35
	v_fmac_f32_e32 v37, 0x33a22168, v39
	s_delay_alu instid0(VALU_DEP_2) | instskip(NEXT) | instid1(VALU_DEP_1)
	v_or_b32_e32 v35, v36, v35
	v_fmac_f32_e32 v37, 0x3fc90fda, v35
	s_delay_alu instid0(VALU_DEP_1) | instskip(NEXT) | instid1(VALU_DEP_1)
	v_dual_add_f32 v18, v43, v37 :: v_dual_lshrrev_b32 v35, 30, v18
	v_add_nc_u32_e32 v35, v38, v35
	s_and_not1_saveexec_b32 s6, s38
	s_branch .LBB162_100
.LBB162_99:                             ;   in Loop: Header=BB162_4 Depth=1
	s_and_not1_saveexec_b32 s6, s38
.LBB162_100:                            ;   in Loop: Header=BB162_4 Depth=1
	v_mul_f32_e64 v18, 0x3f22f983, |v27|
	s_delay_alu instid0(VALU_DEP_1) | instskip(NEXT) | instid1(VALU_DEP_1)
	v_rndne_f32_e32 v35, v18
	v_fma_f32 v18, 0xbfc90fda, v35, |v27|
	s_delay_alu instid0(VALU_DEP_1) | instskip(NEXT) | instid1(VALU_DEP_1)
	v_fmac_f32_e32 v18, 0xb3a22168, v35
	v_fmac_f32_e32 v18, 0xa7c234c4, v35
	v_cvt_i32_f32_e32 v35, v35
; %bb.101:                              ;   in Loop: Header=BB162_4 Depth=1
	s_or_b32 exec_lo, exec_lo, s6
                                        ; implicit-def: $vgpr37
                                        ; implicit-def: $vgpr36
	s_and_saveexec_b32 s6, s37
	s_delay_alu instid0(SALU_CYCLE_1)
	s_xor_b32 s37, exec_lo, s6
	s_cbranch_execz .LBB162_103
; %bb.102:                              ;   in Loop: Header=BB162_4 Depth=1
	v_mul_u64_e32 v[36:37], s[16:17], v[4:5]
	v_mov_b32_e32 v39, v5
	v_cmp_lt_u32_e32 vcc_lo, 63, v20
	s_delay_alu instid0(VALU_DEP_3) | instskip(SKIP_1) | instid1(VALU_DEP_2)
	v_mov_b32_e32 v38, v37
	v_cndmask_b32_e64 v37, 0, 0xffffffc0, vcc_lo
	v_mad_nc_u64_u32 v[38:39], 0x3c439041, v4, v[38:39]
	s_delay_alu instid0(VALU_DEP_1) | instskip(NEXT) | instid1(VALU_DEP_1)
	v_dual_mov_b32 v41, v5 :: v_dual_mov_b32 v40, v39
	v_mad_nc_u64_u32 v[40:41], 0xdb629599, v4, v[40:41]
	s_delay_alu instid0(VALU_DEP_1) | instskip(NEXT) | instid1(VALU_DEP_2)
	v_dual_mov_b32 v43, v5 :: v_dual_mov_b32 v42, v41
	v_cndmask_b32_e32 v36, v40, v36, vcc_lo
	s_delay_alu instid0(VALU_DEP_2) | instskip(NEXT) | instid1(VALU_DEP_1)
	v_mad_nc_u64_u32 v[42:43], 0xf534ddc0, v4, v[42:43]
	v_dual_mov_b32 v45, v5 :: v_dual_mov_b32 v44, v43
	s_delay_alu instid0(VALU_DEP_1) | instskip(NEXT) | instid1(VALU_DEP_1)
	v_mad_nc_u64_u32 v[44:45], 0xfc2757d1, v4, v[44:45]
	v_dual_mov_b32 v47, v5 :: v_dual_mov_b32 v46, v45
	s_delay_alu instid0(VALU_DEP_1) | instskip(SKIP_1) | instid1(VALU_DEP_2)
	v_mad_nc_u64_u32 v[46:47], 0x4e441529, v4, v[46:47]
	v_add_nc_u32_e32 v20, v37, v20
	v_dual_mov_b32 v49, v5 :: v_dual_mov_b32 v48, v47
	s_delay_alu instid0(VALU_DEP_2) | instskip(NEXT) | instid1(VALU_DEP_2)
	v_cmp_lt_u32_e64 s6, 31, v20
	v_mad_nc_u64_u32 v[48:49], 0xa2f9836e, v4, v[48:49]
	s_delay_alu instid0(VALU_DEP_2) | instskip(NEXT) | instid1(VALU_DEP_1)
	v_cndmask_b32_e64 v37, 0, 0xffffffe0, s6
	v_dual_cndmask_b32 v37, v46, v42 :: v_dual_add_nc_u32 v4, v37, v20
	s_delay_alu instid0(VALU_DEP_1) | instskip(NEXT) | instid1(VALU_DEP_4)
	v_cmp_lt_u32_e64 s7, 31, v4
	v_dual_cndmask_b32 v39, v48, v44, vcc_lo :: v_dual_cndmask_b32 v41, v49, v46, vcc_lo
	v_cndmask_b32_e32 v43, v44, v40, vcc_lo
	s_delay_alu instid0(VALU_DEP_3) | instskip(NEXT) | instid1(VALU_DEP_1)
	v_cndmask_b32_e64 v20, 0, 0xffffffe0, s7
	v_dual_add_nc_u32 v4, v20, v4 :: v_dual_cndmask_b32 v20, v42, v38, vcc_lo
	s_delay_alu instid0(VALU_DEP_4) | instskip(NEXT) | instid1(VALU_DEP_2)
	v_dual_cndmask_b32 v38, v39, v37, s6 :: v_dual_cndmask_b32 v39, v41, v39, s6
	v_dual_cndmask_b32 v37, v37, v43, s6 :: v_dual_sub_nc_u32 v41, 32, v4
	s_delay_alu instid0(VALU_DEP_3) | instskip(SKIP_1) | instid1(VALU_DEP_3)
	v_cndmask_b32_e64 v42, v43, v20, s6
	v_cmp_eq_u32_e32 vcc_lo, 0, v4
	v_dual_cndmask_b32 v39, v39, v38, s7 :: v_dual_cndmask_b32 v38, v38, v37, s7
	v_cndmask_b32_e64 v20, v20, v36, s6
	s_delay_alu instid0(VALU_DEP_2) | instskip(NEXT) | instid1(VALU_DEP_1)
	v_alignbit_b32 v43, v39, v38, v41
	v_dual_cndmask_b32 v37, v37, v42, s7 :: v_dual_cndmask_b32 v4, v43, v39, vcc_lo
	s_delay_alu instid0(VALU_DEP_1) | instskip(NEXT) | instid1(VALU_DEP_1)
	v_alignbit_b32 v40, v38, v37, v41
	v_cndmask_b32_e32 v36, v40, v38, vcc_lo
	s_delay_alu instid0(VALU_DEP_3) | instskip(NEXT) | instid1(VALU_DEP_1)
	v_bfe_u32 v38, v4, 29, 1
	v_dual_sub_nc_u32 v40, 0, v38 :: v_dual_cndmask_b32 v20, v42, v20, s7
	s_delay_alu instid0(VALU_DEP_3) | instskip(NEXT) | instid1(VALU_DEP_2)
	v_alignbit_b32 v39, v4, v36, 30
	v_alignbit_b32 v41, v37, v20, v41
	s_delay_alu instid0(VALU_DEP_1) | instskip(NEXT) | instid1(VALU_DEP_1)
	v_dual_cndmask_b32 v37, v41, v37, vcc_lo :: v_dual_bitop2_b32 v39, v39, v40 bitop3:0x14
	v_clz_i32_u32_e32 v41, v39
	s_delay_alu instid0(VALU_DEP_2) | instskip(NEXT) | instid1(VALU_DEP_2)
	v_alignbit_b32 v36, v36, v37, 30
	v_min_u32_e32 v41, 32, v41
	v_alignbit_b32 v20, v37, v20, 30
	s_delay_alu instid0(VALU_DEP_2) | instskip(NEXT) | instid1(VALU_DEP_2)
	v_dual_sub_nc_u32 v37, 31, v41 :: v_dual_bitop2_b32 v36, v36, v40 bitop3:0x14
	v_xor_b32_e32 v20, v20, v40
	v_dual_lshrrev_b32 v40, 29, v4 :: v_dual_lshlrev_b32 v42, 23, v41
	v_lshrrev_b32_e32 v4, 30, v4
	s_delay_alu instid0(VALU_DEP_4) | instskip(NEXT) | instid1(VALU_DEP_4)
	v_alignbit_b32 v39, v39, v36, v37
	v_alignbit_b32 v20, v36, v20, v37
	s_delay_alu instid0(VALU_DEP_4) | instskip(NEXT) | instid1(VALU_DEP_2)
	v_lshlrev_b32_e32 v36, 31, v40
	v_alignbit_b32 v37, v39, v20, 9
	s_delay_alu instid0(VALU_DEP_2) | instskip(SKIP_1) | instid1(VALU_DEP_3)
	v_dual_lshrrev_b32 v39, 9, v39 :: v_dual_bitop2_b32 v40, 0.5, v36 bitop3:0x54
	v_or_b32_e32 v36, 0x33000000, v36
	v_clz_i32_u32_e32 v43, v37
	s_delay_alu instid0(VALU_DEP_3) | instskip(NEXT) | instid1(VALU_DEP_2)
	v_sub_nc_u32_e32 v40, v40, v42
	v_min_u32_e32 v42, 32, v43
	s_delay_alu instid0(VALU_DEP_1) | instskip(NEXT) | instid1(VALU_DEP_3)
	v_add_lshl_u32 v41, v42, v41, 23
	v_or_b32_e32 v39, v39, v40
	v_not_b32_e32 v40, v42
	s_delay_alu instid0(VALU_DEP_2) | instskip(NEXT) | instid1(VALU_DEP_2)
	v_dual_mul_f32 v43, 0x3fc90fda, v39 :: v_dual_sub_nc_u32 v36, v36, v41
	v_alignbit_b32 v20, v37, v20, v40
	s_delay_alu instid0(VALU_DEP_2) | instskip(NEXT) | instid1(VALU_DEP_1)
	v_fma_f32 v37, 0x3fc90fda, v39, -v43
	v_dual_fmac_f32 v37, 0x33a22168, v39 :: v_dual_lshrrev_b32 v20, 9, v20
	s_delay_alu instid0(VALU_DEP_1) | instskip(NEXT) | instid1(VALU_DEP_1)
	v_or_b32_e32 v20, v36, v20
	v_fmac_f32_e32 v37, 0x3fc90fda, v20
	s_delay_alu instid0(VALU_DEP_1)
	v_dual_add_f32 v36, v43, v37 :: v_dual_add_nc_u32 v37, v38, v4
	s_and_not1_saveexec_b32 s6, s37
	s_cbranch_execnz .LBB162_104
	s_branch .LBB162_105
.LBB162_103:                            ;   in Loop: Header=BB162_4 Depth=1
	s_and_not1_saveexec_b32 s6, s37
.LBB162_104:                            ;   in Loop: Header=BB162_4 Depth=1
	v_mul_f32_e64 v4, 0x3f22f983, |v27|
	s_delay_alu instid0(VALU_DEP_1) | instskip(NEXT) | instid1(VALU_DEP_1)
	v_rndne_f32_e32 v4, v4
	v_fma_f32 v36, 0xbfc90fda, v4, |v27|
	v_cvt_i32_f32_e32 v37, v4
	s_delay_alu instid0(VALU_DEP_2) | instskip(NEXT) | instid1(VALU_DEP_1)
	v_fmac_f32_e32 v36, 0xb3a22168, v4
	v_fmac_f32_e32 v36, 0xa7c234c4, v4
.LBB162_105:                            ;   in Loop: Header=BB162_4 Depth=1
	s_or_b32 exec_lo, exec_lo, s6
	v_dual_mul_f32 v4, v18, v18 :: v_dual_bitop2_b32 v20, 1, v35 bitop3:0x40
	v_lshlrev_b32_e32 v35, 30, v35
	v_mul_f32_e64 v38, 0xbfb8aa3b, |v26|
	s_delay_alu instid0(VALU_DEP_3) | instskip(NEXT) | instid1(VALU_DEP_4)
	v_fmaak_f32 v40, s33, v4, 0xbab64f3b
	v_cmp_eq_u32_e32 vcc_lo, 0, v20
	s_delay_alu instid0(VALU_DEP_4) | instskip(NEXT) | instid1(VALU_DEP_4)
	v_bitop3_b32 v34, v34, v35, 0x80000000 bitop3:0x78
	v_rndne_f32_e32 v35, v38
	v_fma_f32 v42, 0xbfb8aa3b, |v26|, -v38
	s_delay_alu instid0(VALU_DEP_2) | instskip(NEXT) | instid1(VALU_DEP_2)
	v_dual_fmaak_f32 v39, s31, v4, 0x3c0881c4 :: v_dual_sub_f32 v38, v38, v35
	v_fma_f32 v42, 0xb2a5705f, |v26|, v42
	s_delay_alu instid0(VALU_DEP_2) | instskip(SKIP_1) | instid1(VALU_DEP_3)
	v_fmaak_f32 v39, v4, v39, 0xbe2aaa9d
	v_cvt_i32_f32_e32 v35, v35
	v_add_f32_e32 v38, v38, v42
	s_delay_alu instid0(VALU_DEP_3) | instskip(SKIP_1) | instid1(VALU_DEP_3)
	v_dual_fmaak_f32 v40, v4, v40, 0x3d2aabf7 :: v_dual_mul_f32 v39, v4, v39
	v_mul_f32_e32 v41, v36, v36
	v_exp_f32_e32 v20, v38
	s_delay_alu instid0(VALU_DEP_2) | instskip(NEXT) | instid1(VALU_DEP_2)
	v_fmaak_f32 v40, v4, v40, 0xbf000004
	v_dual_fmac_f32 v18, v18, v39 :: v_dual_fmaak_f32 v43, s31, v41, 0x3c0881c4
	v_fmaak_f32 v44, s33, v41, 0xbab64f3b
	s_delay_alu instid0(VALU_DEP_3) | instskip(NEXT) | instid1(TRANS32_DEP_1)
	v_fma_f32 v4, v4, v40, 1.0
	v_ldexp_f32 v20, v20, v35
	s_delay_alu instid0(VALU_DEP_2) | instskip(NEXT) | instid1(VALU_DEP_1)
	v_dual_fmaak_f32 v43, v41, v43, 0xbe2aaa9d :: v_dual_cndmask_b32 v4, v4, v18
	v_dual_fmaak_f32 v39, v41, v44, 0x3d2aabf7 :: v_dual_mul_f32 v40, v41, v43
	s_delay_alu instid0(VALU_DEP_2) | instskip(NEXT) | instid1(VALU_DEP_2)
	v_xor3_b32 v4, v34, v4, v27
	v_fmaak_f32 v18, v41, v39, 0xbf000004
	s_delay_alu instid0(VALU_DEP_3) | instskip(NEXT) | instid1(VALU_DEP_3)
	v_dual_fmac_f32 v36, v36, v40 :: v_dual_lshlrev_b32 v27, 30, v37
	v_mul_f32_e32 v4, 4.0, v4
	s_delay_alu instid0(VALU_DEP_3) | instskip(SKIP_1) | instid1(VALU_DEP_1)
	v_fma_f32 v18, v41, v18, 1.0
	v_and_b32_e32 v38, 1, v37
	v_cmp_eq_u32_e32 vcc_lo, 0, v38
	s_delay_alu instid0(VALU_DEP_3) | instskip(SKIP_1) | instid1(VALU_DEP_2)
	v_cndmask_b32_e64 v18, -v36, v18, vcc_lo
	v_cmp_nlt_f32_e64 vcc_lo, 0x42ce8ed0, |v26|
	v_bitop3_b32 v18, v27, v18, 0x80000000 bitop3:0x6c
	v_cndmask_b32_e32 v20, 0, v20, vcc_lo
	v_cmp_ngt_f32_e64 vcc_lo, 0xc2b17218, |v26|
	v_bfi_b32 v26, 0x7fffffff, 1.0, v26
	s_delay_alu instid0(VALU_DEP_4) | instskip(NEXT) | instid1(VALU_DEP_4)
	v_mul_f32_e32 v4, v4, v18
	v_cndmask_b32_e32 v20, 0x7f800000, v20, vcc_lo
	s_delay_alu instid0(VALU_DEP_1) | instskip(NEXT) | instid1(VALU_DEP_1)
	v_mul_f32_e32 v4, v20, v4
	v_mul_f32_e32 v27, v20, v4
.LBB162_106:                            ;   in Loop: Header=BB162_4 Depth=1
	s_or_b32 exec_lo, exec_lo, s36
.LBB162_107:                            ;   in Loop: Header=BB162_4 Depth=1
	s_and_not1_saveexec_b32 s6, s35
; %bb.108:                              ;   in Loop: Header=BB162_4 Depth=1
	s_delay_alu instid0(VALU_DEP_1) | instskip(NEXT) | instid1(VALU_DEP_1)
	v_sub_f32_e32 v27, v27, v27
	v_mov_b32_e32 v26, v27
; %bb.109:                              ;   in Loop: Header=BB162_4 Depth=1
	s_or_b32 exec_lo, exec_lo, s6
.LBB162_110:                            ;   in Loop: Header=BB162_4 Depth=1
	s_and_not1_saveexec_b32 s34, s34
	s_cbranch_execz .LBB162_126
; %bb.111:                              ;   in Loop: Header=BB162_4 Depth=1
	s_delay_alu instid0(VALU_DEP_1) | instskip(SKIP_1) | instid1(VALU_DEP_1)
	v_and_b32_e32 v4, 0x7fffff, v26
	s_mov_b32 s6, exec_lo
	v_cmpx_ne_u32_e32 0, v4
	s_xor_b32 s6, exec_lo, s6
; %bb.112:                              ;   in Loop: Header=BB162_4 Depth=1
	v_mul_f32_e32 v4, v27, v26
	v_cmp_eq_f32_e32 vcc_lo, 0, v27
	s_delay_alu instid0(VALU_DEP_2)
	v_cndmask_b32_e32 v27, v4, v27, vcc_lo
; %bb.113:                              ;   in Loop: Header=BB162_4 Depth=1
	s_and_not1_saveexec_b32 s35, s6
	s_cbranch_execz .LBB162_125
; %bb.114:                              ;   in Loop: Header=BB162_4 Depth=1
	s_mov_b32 s36, exec_lo
	s_delay_alu instid0(VALU_DEP_1)
	v_cmpx_neq_f32_e64 0x7f800000, |v27|
	s_cbranch_execz .LBB162_124
; %bb.115:                              ;   in Loop: Header=BB162_4 Depth=1
	v_and_b32_e32 v18, 0x7fffffff, v27
	v_cmp_ngt_f32_e64 s37, 0x48000000, |v27|
                                        ; implicit-def: $vgpr34
	s_delay_alu instid0(VALU_DEP_2) | instskip(SKIP_1) | instid1(VALU_DEP_2)
	v_lshrrev_b32_e32 v20, 23, v18
	v_and_or_b32 v4, v18, s26, 0x800000
	v_add_nc_u32_e32 v35, 0xffffff88, v20
                                        ; implicit-def: $vgpr20
	s_and_saveexec_b32 s6, s37
	s_delay_alu instid0(SALU_CYCLE_1)
	s_xor_b32 s38, exec_lo, s6
	s_cbranch_execz .LBB162_117
; %bb.116:                              ;   in Loop: Header=BB162_4 Depth=1
	v_mul_u64_e32 v[36:37], s[16:17], v[4:5]
	v_mov_b32_e32 v39, v5
	v_cmp_lt_u32_e32 vcc_lo, 63, v35
	v_mov_b32_e32 v49, v5
	v_cndmask_b32_e64 v20, 0, 0xffffffc0, vcc_lo
	s_delay_alu instid0(VALU_DEP_1) | instskip(NEXT) | instid1(VALU_DEP_1)
	v_add_nc_u32_e32 v20, v20, v35
	v_cmp_lt_u32_e64 s6, 31, v20
	s_delay_alu instid0(VALU_DEP_1) | instskip(NEXT) | instid1(VALU_DEP_1)
	v_cndmask_b32_e64 v34, 0, 0xffffffe0, s6
	v_dual_add_nc_u32 v20, v34, v20 :: v_dual_mov_b32 v38, v37
	s_delay_alu instid0(VALU_DEP_1) | instskip(NEXT) | instid1(VALU_DEP_2)
	v_cmp_lt_u32_e64 s7, 31, v20
	v_mad_nc_u64_u32 v[38:39], 0x3c439041, v4, v[38:39]
	v_mov_b32_e32 v41, v5
	s_delay_alu instid0(VALU_DEP_3) | instskip(NEXT) | instid1(VALU_DEP_3)
	v_cndmask_b32_e64 v34, 0, 0xffffffe0, s7
	v_mov_b32_e32 v40, v39
	s_delay_alu instid0(VALU_DEP_1) | instskip(NEXT) | instid1(VALU_DEP_1)
	v_mad_nc_u64_u32 v[40:41], 0xdb629599, v4, v[40:41]
	v_dual_mov_b32 v43, v5 :: v_dual_mov_b32 v42, v41
	s_delay_alu instid0(VALU_DEP_2) | instskip(NEXT) | instid1(VALU_DEP_2)
	v_cndmask_b32_e32 v36, v40, v36, vcc_lo
	v_mad_nc_u64_u32 v[42:43], 0xf534ddc0, v4, v[42:43]
	s_delay_alu instid0(VALU_DEP_1) | instskip(NEXT) | instid1(VALU_DEP_1)
	v_dual_mov_b32 v45, v5 :: v_dual_mov_b32 v44, v43
	v_mad_nc_u64_u32 v[44:45], 0xfc2757d1, v4, v[44:45]
	s_delay_alu instid0(VALU_DEP_1) | instskip(NEXT) | instid1(VALU_DEP_2)
	v_dual_mov_b32 v47, v5 :: v_dual_mov_b32 v46, v45
	v_cndmask_b32_e32 v43, v44, v40, vcc_lo
	s_delay_alu instid0(VALU_DEP_2) | instskip(NEXT) | instid1(VALU_DEP_1)
	v_mad_nc_u64_u32 v[46:47], 0x4e441529, v4, v[46:47]
	v_mov_b32_e32 v48, v47
	s_delay_alu instid0(VALU_DEP_1) | instskip(NEXT) | instid1(VALU_DEP_1)
	v_mad_nc_u64_u32 v[48:49], 0xa2f9836e, v4, v[48:49]
	v_dual_cndmask_b32 v37, v46, v42, vcc_lo :: v_dual_cndmask_b32 v39, v48, v44, vcc_lo
	s_delay_alu instid0(VALU_DEP_2) | instskip(NEXT) | instid1(VALU_DEP_2)
	v_dual_cndmask_b32 v41, v49, v46 :: v_dual_add_nc_u32 v20, v34, v20
	v_dual_cndmask_b32 v34, v42, v38, vcc_lo :: v_dual_cndmask_b32 v38, v39, v37, s6
	s_delay_alu instid0(VALU_DEP_2) | instskip(NEXT) | instid1(VALU_DEP_3)
	v_cndmask_b32_e64 v39, v41, v39, s6
	v_dual_cndmask_b32 v37, v37, v43, s6 :: v_dual_sub_nc_u32 v41, 32, v20
	s_delay_alu instid0(VALU_DEP_3) | instskip(SKIP_1) | instid1(VALU_DEP_3)
	v_cndmask_b32_e64 v42, v43, v34, s6
	v_cmp_eq_u32_e32 vcc_lo, 0, v20
	v_dual_cndmask_b32 v39, v39, v38, s7 :: v_dual_cndmask_b32 v38, v38, v37, s7
	s_delay_alu instid0(VALU_DEP_1) | instskip(NEXT) | instid1(VALU_DEP_1)
	v_alignbit_b32 v43, v39, v38, v41
	v_dual_cndmask_b32 v37, v37, v42, s7 :: v_dual_cndmask_b32 v20, v43, v39, vcc_lo
	s_delay_alu instid0(VALU_DEP_1) | instskip(NEXT) | instid1(VALU_DEP_1)
	v_alignbit_b32 v40, v38, v37, v41
	v_dual_cndmask_b32 v34, v34, v36, s6 :: v_dual_cndmask_b32 v36, v40, v38, vcc_lo
	s_delay_alu instid0(VALU_DEP_3) | instskip(NEXT) | instid1(VALU_DEP_2)
	v_bfe_u32 v38, v20, 29, 1
	v_alignbit_b32 v39, v20, v36, 30
	s_delay_alu instid0(VALU_DEP_2) | instskip(NEXT) | instid1(VALU_DEP_1)
	v_sub_nc_u32_e32 v40, 0, v38
	v_dual_cndmask_b32 v34, v42, v34, s7 :: v_dual_bitop2_b32 v39, v39, v40 bitop3:0x14
	s_delay_alu instid0(VALU_DEP_1) | instskip(NEXT) | instid1(VALU_DEP_1)
	v_alignbit_b32 v41, v37, v34, v41
	v_cndmask_b32_e32 v37, v41, v37, vcc_lo
	s_delay_alu instid0(VALU_DEP_3) | instskip(NEXT) | instid1(VALU_DEP_2)
	v_clz_i32_u32_e32 v41, v39
	v_alignbit_b32 v36, v36, v37, 30
	s_delay_alu instid0(VALU_DEP_2) | instskip(SKIP_1) | instid1(VALU_DEP_2)
	v_min_u32_e32 v41, 32, v41
	v_alignbit_b32 v34, v37, v34, 30
	v_dual_sub_nc_u32 v37, 31, v41 :: v_dual_bitop2_b32 v36, v36, v40 bitop3:0x14
	s_delay_alu instid0(VALU_DEP_2) | instskip(SKIP_1) | instid1(VALU_DEP_3)
	v_xor_b32_e32 v34, v34, v40
	v_dual_lshrrev_b32 v40, 29, v20 :: v_dual_lshlrev_b32 v42, 23, v41
	v_alignbit_b32 v39, v39, v36, v37
	s_delay_alu instid0(VALU_DEP_3) | instskip(NEXT) | instid1(VALU_DEP_3)
	v_alignbit_b32 v34, v36, v34, v37
	v_lshlrev_b32_e32 v36, 31, v40
	s_delay_alu instid0(VALU_DEP_2) | instskip(NEXT) | instid1(VALU_DEP_2)
	v_alignbit_b32 v37, v39, v34, 9
	v_dual_lshrrev_b32 v39, 9, v39 :: v_dual_bitop2_b32 v40, 0.5, v36 bitop3:0x54
	v_or_b32_e32 v36, 0x33000000, v36
	s_delay_alu instid0(VALU_DEP_3) | instskip(NEXT) | instid1(VALU_DEP_3)
	v_clz_i32_u32_e32 v43, v37
	v_sub_nc_u32_e32 v40, v40, v42
	s_delay_alu instid0(VALU_DEP_2) | instskip(NEXT) | instid1(VALU_DEP_1)
	v_min_u32_e32 v42, 32, v43
	v_add_lshl_u32 v41, v42, v41, 23
	s_delay_alu instid0(VALU_DEP_3) | instskip(SKIP_1) | instid1(VALU_DEP_2)
	v_or_b32_e32 v39, v39, v40
	v_not_b32_e32 v40, v42
	v_dual_mul_f32 v43, 0x3fc90fda, v39 :: v_dual_sub_nc_u32 v36, v36, v41
	s_delay_alu instid0(VALU_DEP_2) | instskip(NEXT) | instid1(VALU_DEP_2)
	v_alignbit_b32 v34, v37, v34, v40
	v_fma_f32 v37, 0x3fc90fda, v39, -v43
	s_delay_alu instid0(VALU_DEP_1) | instskip(NEXT) | instid1(VALU_DEP_1)
	v_dual_fmac_f32 v37, 0x33a22168, v39 :: v_dual_lshrrev_b32 v34, 9, v34
	v_or_b32_e32 v34, v36, v34
	s_delay_alu instid0(VALU_DEP_1) | instskip(NEXT) | instid1(VALU_DEP_1)
	v_dual_fmac_f32 v37, 0x3fc90fda, v34 :: v_dual_lshrrev_b32 v34, 30, v20
	v_dual_add_f32 v20, v43, v37 :: v_dual_add_nc_u32 v34, v38, v34
.LBB162_117:                            ;   in Loop: Header=BB162_4 Depth=1
	s_or_saveexec_b32 s6, s38
	v_mul_f32_e64 v36, 0x3f22f983, |v27|
	s_delay_alu instid0(VALU_DEP_1)
	v_rndne_f32_e32 v38, v36
	s_xor_b32 exec_lo, exec_lo, s6
; %bb.118:                              ;   in Loop: Header=BB162_4 Depth=1
	s_delay_alu instid0(VALU_DEP_1) | instskip(SKIP_1) | instid1(VALU_DEP_2)
	v_fma_f32 v20, 0xbfc90fda, v38, |v27|
	v_cvt_i32_f32_e32 v34, v38
	v_fmac_f32_e32 v20, 0xb3a22168, v38
	s_delay_alu instid0(VALU_DEP_1)
	v_fmac_f32_e32 v20, 0xa7c234c4, v38
; %bb.119:                              ;   in Loop: Header=BB162_4 Depth=1
	s_or_b32 exec_lo, exec_lo, s6
                                        ; implicit-def: $vgpr37
                                        ; implicit-def: $vgpr36
	s_and_saveexec_b32 s6, s37
	s_delay_alu instid0(SALU_CYCLE_1)
	s_xor_b32 s37, exec_lo, s6
	s_cbranch_execz .LBB162_121
; %bb.120:                              ;   in Loop: Header=BB162_4 Depth=1
	v_mul_u64_e32 v[36:37], s[16:17], v[4:5]
	v_mov_b32_e32 v39, v5
	v_cmp_lt_u32_e32 vcc_lo, 63, v35
	s_delay_alu instid0(VALU_DEP_3) | instskip(SKIP_1) | instid1(VALU_DEP_2)
	v_mov_b32_e32 v38, v37
	v_cndmask_b32_e64 v37, 0, 0xffffffc0, vcc_lo
	v_mad_nc_u64_u32 v[38:39], 0x3c439041, v4, v[38:39]
	s_delay_alu instid0(VALU_DEP_1) | instskip(NEXT) | instid1(VALU_DEP_1)
	v_dual_mov_b32 v41, v5 :: v_dual_mov_b32 v40, v39
	v_mad_nc_u64_u32 v[40:41], 0xdb629599, v4, v[40:41]
	s_delay_alu instid0(VALU_DEP_1) | instskip(NEXT) | instid1(VALU_DEP_2)
	v_dual_mov_b32 v43, v5 :: v_dual_mov_b32 v42, v41
	v_cndmask_b32_e32 v36, v40, v36, vcc_lo
	s_delay_alu instid0(VALU_DEP_2) | instskip(NEXT) | instid1(VALU_DEP_1)
	v_mad_nc_u64_u32 v[42:43], 0xf534ddc0, v4, v[42:43]
	v_dual_mov_b32 v45, v5 :: v_dual_mov_b32 v44, v43
	s_delay_alu instid0(VALU_DEP_1) | instskip(NEXT) | instid1(VALU_DEP_1)
	v_mad_nc_u64_u32 v[44:45], 0xfc2757d1, v4, v[44:45]
	v_dual_mov_b32 v47, v5 :: v_dual_mov_b32 v46, v45
	s_delay_alu instid0(VALU_DEP_2) | instskip(NEXT) | instid1(VALU_DEP_2)
	v_cndmask_b32_e32 v43, v44, v40, vcc_lo
	v_mad_nc_u64_u32 v[46:47], 0x4e441529, v4, v[46:47]
	v_add_nc_u32_e32 v35, v37, v35
	s_delay_alu instid0(VALU_DEP_2) | instskip(NEXT) | instid1(VALU_DEP_2)
	v_dual_mov_b32 v49, v5 :: v_dual_mov_b32 v48, v47
	v_cmp_lt_u32_e64 s6, 31, v35
	s_delay_alu instid0(VALU_DEP_2) | instskip(NEXT) | instid1(VALU_DEP_2)
	v_mad_nc_u64_u32 v[48:49], 0xa2f9836e, v4, v[48:49]
	v_cndmask_b32_e64 v37, 0, 0xffffffe0, s6
	s_delay_alu instid0(VALU_DEP_1) | instskip(NEXT) | instid1(VALU_DEP_3)
	v_dual_cndmask_b32 v37, v46, v42 :: v_dual_add_nc_u32 v4, v37, v35
	v_cndmask_b32_e32 v39, v48, v44, vcc_lo
	s_delay_alu instid0(VALU_DEP_2) | instskip(SKIP_1) | instid1(VALU_DEP_2)
	v_cmp_lt_u32_e64 s7, 31, v4
	v_cndmask_b32_e32 v41, v49, v46, vcc_lo
	v_cndmask_b32_e64 v35, 0, 0xffffffe0, s7
	s_delay_alu instid0(VALU_DEP_1) | instskip(NEXT) | instid1(VALU_DEP_3)
	v_dual_cndmask_b32 v35, v42, v38 :: v_dual_add_nc_u32 v4, v35, v4
	v_dual_cndmask_b32 v38, v39, v37, s6 :: v_dual_cndmask_b32 v39, v41, v39, s6
	s_delay_alu instid0(VALU_DEP_2) | instskip(NEXT) | instid1(VALU_DEP_3)
	v_dual_cndmask_b32 v37, v37, v43, s6 :: v_dual_sub_nc_u32 v41, 32, v4
	v_cndmask_b32_e64 v42, v43, v35, s6
	v_cmp_eq_u32_e32 vcc_lo, 0, v4
	s_delay_alu instid0(VALU_DEP_3) | instskip(NEXT) | instid1(VALU_DEP_1)
	v_dual_cndmask_b32 v39, v39, v38, s7 :: v_dual_cndmask_b32 v38, v38, v37, s7
	v_alignbit_b32 v43, v39, v38, v41
	s_delay_alu instid0(VALU_DEP_1) | instskip(NEXT) | instid1(VALU_DEP_1)
	v_dual_cndmask_b32 v37, v37, v42, s7 :: v_dual_cndmask_b32 v4, v43, v39, vcc_lo
	v_alignbit_b32 v40, v38, v37, v41
	s_delay_alu instid0(VALU_DEP_1) | instskip(NEXT) | instid1(VALU_DEP_3)
	v_dual_cndmask_b32 v35, v35, v36, s6 :: v_dual_cndmask_b32 v36, v40, v38, vcc_lo
	v_bfe_u32 v38, v4, 29, 1
	s_delay_alu instid0(VALU_DEP_2) | instskip(NEXT) | instid1(VALU_DEP_3)
	v_cndmask_b32_e64 v35, v42, v35, s7
	v_alignbit_b32 v39, v4, v36, 30
	s_delay_alu instid0(VALU_DEP_3) | instskip(NEXT) | instid1(VALU_DEP_3)
	v_sub_nc_u32_e32 v40, 0, v38
	v_alignbit_b32 v41, v37, v35, v41
	s_delay_alu instid0(VALU_DEP_1) | instskip(NEXT) | instid1(VALU_DEP_1)
	v_dual_cndmask_b32 v37, v41, v37, vcc_lo :: v_dual_bitop2_b32 v39, v39, v40 bitop3:0x14
	v_clz_i32_u32_e32 v41, v39
	s_delay_alu instid0(VALU_DEP_2) | instskip(SKIP_1) | instid1(VALU_DEP_3)
	v_alignbit_b32 v36, v36, v37, 30
	v_alignbit_b32 v35, v37, v35, 30
	v_min_u32_e32 v41, 32, v41
	s_delay_alu instid0(VALU_DEP_3) | instskip(NEXT) | instid1(VALU_DEP_3)
	v_xor_b32_e32 v36, v36, v40
	v_xor_b32_e32 v35, v35, v40
	v_dual_lshrrev_b32 v40, 29, v4 :: v_dual_lshrrev_b32 v4, 30, v4
	s_delay_alu instid0(VALU_DEP_4) | instskip(NEXT) | instid1(VALU_DEP_1)
	v_dual_sub_nc_u32 v37, 31, v41 :: v_dual_lshlrev_b32 v42, 23, v41
	v_alignbit_b32 v39, v39, v36, v37
	s_delay_alu instid0(VALU_DEP_4) | instskip(NEXT) | instid1(VALU_DEP_4)
	v_alignbit_b32 v35, v36, v35, v37
	v_lshlrev_b32_e32 v36, 31, v40
	s_delay_alu instid0(VALU_DEP_2) | instskip(NEXT) | instid1(VALU_DEP_2)
	v_alignbit_b32 v37, v39, v35, 9
	v_dual_lshrrev_b32 v39, 9, v39 :: v_dual_bitop2_b32 v40, 0.5, v36 bitop3:0x54
	v_or_b32_e32 v36, 0x33000000, v36
	s_delay_alu instid0(VALU_DEP_3) | instskip(NEXT) | instid1(VALU_DEP_3)
	v_clz_i32_u32_e32 v43, v37
	v_sub_nc_u32_e32 v40, v40, v42
	s_delay_alu instid0(VALU_DEP_2) | instskip(NEXT) | instid1(VALU_DEP_1)
	v_min_u32_e32 v42, 32, v43
	v_add_lshl_u32 v41, v42, v41, 23
	s_delay_alu instid0(VALU_DEP_3) | instskip(SKIP_1) | instid1(VALU_DEP_2)
	v_or_b32_e32 v39, v39, v40
	v_not_b32_e32 v40, v42
	v_dual_mul_f32 v43, 0x3fc90fda, v39 :: v_dual_sub_nc_u32 v36, v36, v41
	s_delay_alu instid0(VALU_DEP_2) | instskip(NEXT) | instid1(VALU_DEP_2)
	v_alignbit_b32 v35, v37, v35, v40
	v_fma_f32 v37, 0x3fc90fda, v39, -v43
	s_delay_alu instid0(VALU_DEP_2) | instskip(NEXT) | instid1(VALU_DEP_2)
	v_lshrrev_b32_e32 v35, 9, v35
	v_fmac_f32_e32 v37, 0x33a22168, v39
	s_delay_alu instid0(VALU_DEP_2) | instskip(NEXT) | instid1(VALU_DEP_1)
	v_or_b32_e32 v35, v36, v35
	v_fmac_f32_e32 v37, 0x3fc90fda, v35
	s_delay_alu instid0(VALU_DEP_1)
	v_dual_add_f32 v36, v43, v37 :: v_dual_add_nc_u32 v37, v38, v4
                                        ; implicit-def: $vgpr38
	s_and_not1_saveexec_b32 s6, s37
	s_cbranch_execnz .LBB162_122
	s_branch .LBB162_123
.LBB162_121:                            ;   in Loop: Header=BB162_4 Depth=1
	s_and_not1_saveexec_b32 s6, s37
.LBB162_122:                            ;   in Loop: Header=BB162_4 Depth=1
	v_fma_f32 v36, 0xbfc90fda, v38, |v27|
	v_cvt_i32_f32_e32 v37, v38
	s_delay_alu instid0(VALU_DEP_2) | instskip(NEXT) | instid1(VALU_DEP_1)
	v_fmac_f32_e32 v36, 0xb3a22168, v38
	v_fmac_f32_e32 v36, 0xa7c234c4, v38
.LBB162_123:                            ;   in Loop: Header=BB162_4 Depth=1
	s_or_b32 exec_lo, exec_lo, s6
	s_delay_alu instid0(VALU_DEP_1) | instskip(SKIP_1) | instid1(VALU_DEP_2)
	v_mul_f32_e32 v35, v36, v36
	v_dual_mul_f32 v4, v20, v20 :: v_dual_bitop2_b32 v38, 1, v34 bitop3:0x40
	v_dual_fmaak_f32 v41, s31, v35, 0x3c0881c4 :: v_dual_lshlrev_b32 v34, 30, v34
	s_delay_alu instid0(VALU_DEP_2) | instskip(NEXT) | instid1(VALU_DEP_2)
	v_cmp_eq_u32_e32 vcc_lo, 0, v38
	v_bitop3_b32 v18, v18, v34, 0x80000000 bitop3:0x78
	s_delay_alu instid0(VALU_DEP_3) | instskip(NEXT) | instid1(VALU_DEP_1)
	v_fmaak_f32 v41, v35, v41, 0xbe2aaa9d
	v_dual_fmaak_f32 v42, s33, v35, 0xbab64f3b :: v_dual_mul_f32 v41, v35, v41
	v_fmaak_f32 v39, s31, v4, 0x3c0881c4
	s_delay_alu instid0(VALU_DEP_2) | instskip(NEXT) | instid1(VALU_DEP_3)
	v_fmaak_f32 v42, v35, v42, 0x3d2aabf7
	v_fmac_f32_e32 v36, v36, v41
	s_delay_alu instid0(VALU_DEP_3) | instskip(SKIP_1) | instid1(VALU_DEP_2)
	v_fmaak_f32 v39, v4, v39, 0xbe2aaa9d
	v_fmaak_f32 v40, s33, v4, 0xbab64f3b
	v_dual_fmaak_f32 v42, v35, v42, 0xbf000004 :: v_dual_mul_f32 v39, v4, v39
	s_delay_alu instid0(VALU_DEP_2) | instskip(NEXT) | instid1(VALU_DEP_2)
	v_fmaak_f32 v40, v4, v40, 0x3d2aabf7
	v_fma_f32 v35, v35, v42, 1.0
	v_dual_lshlrev_b32 v37, 30, v37 :: v_dual_bitop2_b32 v43, 1, v37 bitop3:0x40
	s_delay_alu instid0(VALU_DEP_4) | instskip(NEXT) | instid1(VALU_DEP_4)
	v_fmac_f32_e32 v20, v20, v39
	v_fmaak_f32 v40, v4, v40, 0xbf000004
	s_delay_alu instid0(VALU_DEP_1) | instskip(NEXT) | instid1(VALU_DEP_1)
	v_fma_f32 v4, v4, v40, 1.0
	v_cndmask_b32_e32 v4, v4, v20, vcc_lo
	v_cmp_eq_u32_e32 vcc_lo, 0, v43
	s_delay_alu instid0(VALU_DEP_2) | instskip(SKIP_2) | instid1(VALU_DEP_2)
	v_xor3_b32 v4, v18, v4, v27
	v_cndmask_b32_e64 v20, -v36, v35, vcc_lo
	v_cmp_class_f32_e64 vcc_lo, v27, 0x1f8
	v_bitop3_b32 v18, v37, v20, 0x80000000 bitop3:0x6c
	s_delay_alu instid0(VALU_DEP_1) | instskip(NEXT) | instid1(VALU_DEP_1)
	v_mul_f32_e32 v4, v4, v18
	v_cndmask_b32_e32 v27, 0x7fc00000, v4, vcc_lo
.LBB162_124:                            ;   in Loop: Header=BB162_4 Depth=1
	s_or_b32 exec_lo, exec_lo, s36
	v_add_nc_u32_e32 v26, -2.0, v26
	s_delay_alu instid0(VALU_DEP_2)
	v_bfi_b32 v27, 0x7fffffff, 0, v27
.LBB162_125:                            ;   in Loop: Header=BB162_4 Depth=1
	s_or_b32 exec_lo, exec_lo, s35
.LBB162_126:                            ;   in Loop: Header=BB162_4 Depth=1
	s_delay_alu instid0(SALU_CYCLE_1) | instskip(SKIP_2) | instid1(VALU_DEP_1)
	s_or_b32 exec_lo, exec_lo, s34
	v_and_b32_e32 v18, 0x7fffffff, v32
	s_mov_b32 s6, exec_lo
	v_cmpx_gt_u32_e32 0x7f800000, v18
	s_xor_b32 s34, exec_lo, s6
	s_cbranch_execz .LBB162_137
; %bb.127:                              ;   in Loop: Header=BB162_4 Depth=1
	v_cmp_class_f32_e64 s6, v33, 0x1f8
	s_and_saveexec_b32 s7, s6
	s_delay_alu instid0(SALU_CYCLE_1)
	s_xor_b32 s35, exec_lo, s7
	s_cbranch_execz .LBB162_164
; %bb.128:                              ;   in Loop: Header=BB162_4 Depth=1
	v_and_b32_e32 v34, 0x7fffffff, v33
	s_mov_b32 s6, exec_lo
	v_cmpx_gt_u32_e32 0x41300000, v18
	s_xor_b32 s36, exec_lo, s6
	s_cbranch_execz .LBB162_134
; %bb.129:                              ;   in Loop: Header=BB162_4 Depth=1
                                        ; implicit-def: $vgpr4
                                        ; implicit-def: $vgpr35
	s_mov_b32 s7, exec_lo
	v_cmpx_ngt_f32_e64 0x48000000, |v33|
	s_xor_b32 s37, exec_lo, s7
	s_cbranch_execz .LBB162_131
; %bb.130:                              ;   in Loop: Header=BB162_4 Depth=1
	v_and_or_b32 v4, v34, s26, 0x800000
	v_dual_mov_b32 v47, v5 :: v_dual_lshrrev_b32 v20, 23, v34
	v_mov_b32_e32 v49, v5
	s_delay_alu instid0(VALU_DEP_3) | instskip(NEXT) | instid1(VALU_DEP_3)
	v_mul_u64_e32 v[36:37], s[16:17], v[4:5]
	v_dual_mov_b32 v39, v5 :: v_dual_add_nc_u32 v20, 0xffffff88, v20
	s_delay_alu instid0(VALU_DEP_1) | instskip(SKIP_1) | instid1(VALU_DEP_1)
	v_cmp_lt_u32_e32 vcc_lo, 63, v20
	v_cndmask_b32_e64 v35, 0, 0xffffffc0, vcc_lo
	v_add_nc_u32_e32 v20, v35, v20
	s_delay_alu instid0(VALU_DEP_1) | instskip(NEXT) | instid1(VALU_DEP_1)
	v_cmp_lt_u32_e64 s6, 31, v20
	v_cndmask_b32_e64 v35, 0, 0xffffffe0, s6
	v_mov_b32_e32 v38, v37
	s_delay_alu instid0(VALU_DEP_1) | instskip(NEXT) | instid1(VALU_DEP_1)
	v_mad_nc_u64_u32 v[38:39], 0x3c439041, v4, v[38:39]
	v_dual_mov_b32 v41, v5 :: v_dual_mov_b32 v40, v39
	s_delay_alu instid0(VALU_DEP_1) | instskip(NEXT) | instid1(VALU_DEP_1)
	v_mad_nc_u64_u32 v[40:41], 0xdb629599, v4, v[40:41]
	v_dual_mov_b32 v43, v5 :: v_dual_mov_b32 v42, v41
	s_delay_alu instid0(VALU_DEP_1) | instskip(NEXT) | instid1(VALU_DEP_1)
	v_mad_nc_u64_u32 v[42:43], 0xf534ddc0, v4, v[42:43]
	v_dual_mov_b32 v45, v5 :: v_dual_mov_b32 v44, v43
	s_delay_alu instid0(VALU_DEP_1) | instskip(NEXT) | instid1(VALU_DEP_1)
	v_mad_nc_u64_u32 v[44:45], 0xfc2757d1, v4, v[44:45]
	v_mov_b32_e32 v46, v45
	s_delay_alu instid0(VALU_DEP_1) | instskip(NEXT) | instid1(VALU_DEP_1)
	v_mad_nc_u64_u32 v[46:47], 0x4e441529, v4, v[46:47]
	v_mov_b32_e32 v48, v47
	s_delay_alu instid0(VALU_DEP_1) | instskip(NEXT) | instid1(VALU_DEP_3)
	v_mad_nc_u64_u32 v[48:49], 0xa2f9836e, v4, v[48:49]
	v_dual_cndmask_b32 v35, v46, v42 :: v_dual_add_nc_u32 v4, v35, v20
	s_delay_alu instid0(VALU_DEP_2) | instskip(NEXT) | instid1(VALU_DEP_2)
	v_cndmask_b32_e32 v39, v49, v46, vcc_lo
	v_cmp_lt_u32_e64 s7, 31, v4
	s_delay_alu instid0(VALU_DEP_4) | instskip(SKIP_1) | instid1(VALU_DEP_3)
	v_cndmask_b32_e32 v37, v48, v44, vcc_lo
	v_cndmask_b32_e32 v41, v44, v40, vcc_lo
	v_cndmask_b32_e64 v20, 0, 0xffffffe0, s7
	s_delay_alu instid0(VALU_DEP_1) | instskip(NEXT) | instid1(VALU_DEP_4)
	v_dual_add_nc_u32 v4, v20, v4 :: v_dual_cndmask_b32 v20, v42, v38, vcc_lo
	v_dual_cndmask_b32 v38, v37, v35, s6 :: v_dual_cndmask_b32 v37, v39, v37, s6
	s_delay_alu instid0(VALU_DEP_2) | instskip(NEXT) | instid1(VALU_DEP_3)
	v_dual_cndmask_b32 v35, v35, v41, s6 :: v_dual_sub_nc_u32 v39, 32, v4
	v_cndmask_b32_e64 v41, v41, v20, s6
	s_delay_alu instid0(VALU_DEP_2) | instskip(NEXT) | instid1(VALU_DEP_2)
	v_dual_cndmask_b32 v37, v37, v38, s7 :: v_dual_cndmask_b32 v38, v38, v35, s7
	v_cndmask_b32_e64 v35, v35, v41, s7
	s_delay_alu instid0(VALU_DEP_2) | instskip(SKIP_2) | instid1(VALU_DEP_4)
	v_alignbit_b32 v42, v37, v38, v39
	v_cndmask_b32_e32 v36, v40, v36, vcc_lo
	v_cmp_eq_u32_e32 vcc_lo, 0, v4
	v_alignbit_b32 v40, v38, v35, v39
	s_delay_alu instid0(VALU_DEP_4) | instskip(NEXT) | instid1(VALU_DEP_1)
	v_cndmask_b32_e32 v4, v42, v37, vcc_lo
	v_bfe_u32 v37, v4, 29, 1
	v_cndmask_b32_e64 v20, v20, v36, s6
	s_delay_alu instid0(VALU_DEP_2) | instskip(NEXT) | instid1(VALU_DEP_2)
	v_dual_cndmask_b32 v36, v40, v38, vcc_lo :: v_dual_sub_nc_u32 v40, 0, v37
	v_cndmask_b32_e64 v20, v41, v20, s7
	s_delay_alu instid0(VALU_DEP_2) | instskip(NEXT) | instid1(VALU_DEP_2)
	v_alignbit_b32 v38, v4, v36, 30
	v_alignbit_b32 v39, v35, v20, v39
	s_delay_alu instid0(VALU_DEP_1) | instskip(NEXT) | instid1(VALU_DEP_1)
	v_dual_cndmask_b32 v35, v39, v35, vcc_lo :: v_dual_bitop2_b32 v38, v38, v40 bitop3:0x14
	v_clz_i32_u32_e32 v39, v38
	s_delay_alu instid0(VALU_DEP_2) | instskip(NEXT) | instid1(VALU_DEP_2)
	v_alignbit_b32 v36, v36, v35, 30
	v_min_u32_e32 v39, 32, v39
	v_alignbit_b32 v20, v35, v20, 30
	s_delay_alu instid0(VALU_DEP_2) | instskip(NEXT) | instid1(VALU_DEP_2)
	v_dual_sub_nc_u32 v36, 31, v39 :: v_dual_bitop2_b32 v35, v36, v40 bitop3:0x14
	v_xor_b32_e32 v20, v20, v40
	v_dual_lshrrev_b32 v40, 29, v4 :: v_dual_lshlrev_b32 v41, 23, v39
	v_lshrrev_b32_e32 v4, 30, v4
	s_delay_alu instid0(VALU_DEP_4) | instskip(NEXT) | instid1(VALU_DEP_4)
	v_alignbit_b32 v38, v38, v35, v36
	v_alignbit_b32 v20, v35, v20, v36
	s_delay_alu instid0(VALU_DEP_4) | instskip(NEXT) | instid1(VALU_DEP_4)
	v_lshlrev_b32_e32 v35, 31, v40
	v_add_nc_u32_e32 v4, v37, v4
	s_delay_alu instid0(VALU_DEP_3) | instskip(NEXT) | instid1(VALU_DEP_3)
	v_alignbit_b32 v36, v38, v20, 9
	v_dual_lshrrev_b32 v38, 9, v38 :: v_dual_bitop2_b32 v40, 0.5, v35 bitop3:0x54
	v_or_b32_e32 v35, 0x33000000, v35
	s_delay_alu instid0(VALU_DEP_3) | instskip(NEXT) | instid1(VALU_DEP_3)
	v_clz_i32_u32_e32 v42, v36
	v_sub_nc_u32_e32 v40, v40, v41
	s_delay_alu instid0(VALU_DEP_2) | instskip(NEXT) | instid1(VALU_DEP_1)
	v_min_u32_e32 v41, 32, v42
	v_add_lshl_u32 v39, v41, v39, 23
	s_delay_alu instid0(VALU_DEP_1) | instskip(SKIP_1) | instid1(VALU_DEP_2)
	v_dual_sub_nc_u32 v35, v35, v39 :: v_dual_bitop2_b32 v38, v38, v40 bitop3:0x54
	v_not_b32_e32 v40, v41
	v_mul_f32_e32 v42, 0x3fc90fda, v38
	s_delay_alu instid0(VALU_DEP_2) | instskip(NEXT) | instid1(VALU_DEP_2)
	v_alignbit_b32 v20, v36, v20, v40
	v_fma_f32 v36, 0x3fc90fda, v38, -v42
	s_delay_alu instid0(VALU_DEP_2) | instskip(NEXT) | instid1(VALU_DEP_2)
	v_lshrrev_b32_e32 v20, 9, v20
	v_fmac_f32_e32 v36, 0x33a22168, v38
	s_delay_alu instid0(VALU_DEP_2) | instskip(NEXT) | instid1(VALU_DEP_1)
	v_or_b32_e32 v20, v35, v20
	v_fmac_f32_e32 v36, 0x3fc90fda, v20
	s_delay_alu instid0(VALU_DEP_1)
	v_add_f32_e32 v35, v42, v36
.LBB162_131:                            ;   in Loop: Header=BB162_4 Depth=1
	s_and_not1_saveexec_b32 s6, s37
; %bb.132:                              ;   in Loop: Header=BB162_4 Depth=1
	v_mul_f32_e64 v4, 0x3f22f983, |v33|
	s_delay_alu instid0(VALU_DEP_1) | instskip(NEXT) | instid1(VALU_DEP_1)
	v_rndne_f32_e32 v4, v4
	v_fma_f32 v35, 0xbfc90fda, v4, |v33|
	s_delay_alu instid0(VALU_DEP_1) | instskip(NEXT) | instid1(VALU_DEP_1)
	v_fmac_f32_e32 v35, 0xb3a22168, v4
	v_fmac_f32_e32 v35, 0xa7c234c4, v4
	v_cvt_i32_f32_e32 v4, v4
; %bb.133:                              ;   in Loop: Header=BB162_4 Depth=1
	s_or_b32 exec_lo, exec_lo, s6
	v_add_f32_e64 v20, 0xbf317218, |v32|
	v_cmp_nlt_f32_e64 vcc_lo, 0x42b2d4fc, |v32|
	v_cmp_gt_f32_e64 s6, 0x39800000, |v32|
	v_and_b32_e32 v4, 1, v4
	s_delay_alu instid0(VALU_DEP_4) | instskip(NEXT) | instid1(VALU_DEP_1)
	v_sub_f32_e64 v37, v20, |v32|
	v_sub_f32_e32 v36, v37, v20
	s_delay_alu instid0(VALU_DEP_1) | instskip(NEXT) | instid1(VALU_DEP_1)
	v_pk_add_f32 v[36:37], v[18:19], v[36:37]
	v_sub_f32_e32 v18, v36, v37
	s_delay_alu instid0(VALU_DEP_1) | instskip(NEXT) | instid1(VALU_DEP_1)
	v_add_f32_e32 v18, 0x3102e308, v18
	v_add_f32_e32 v37, v20, v18
	s_delay_alu instid0(VALU_DEP_1) | instskip(SKIP_1) | instid1(VALU_DEP_2)
	v_mul_f32_e32 v36, 0x3fb8aa3b, v37
	v_sub_f32_e32 v20, v20, v37
	v_rndne_f32_e32 v44, v36
	s_delay_alu instid0(VALU_DEP_2) | instskip(NEXT) | instid1(VALU_DEP_2)
	v_add_f32_e32 v18, v18, v20
	v_fmac_f32_e32 v37, 0xbf317200, v44
	v_mul_f32_e32 v20, 0x35bfbc00, v44
	s_delay_alu instid0(VALU_DEP_2) | instskip(NEXT) | instid1(VALU_DEP_1)
	v_dual_mul_f32 v39, 0x2ea39ef3, v44 :: v_dual_add_f32 v38, v18, v37
	v_dual_sub_f32 v36, v38, v20 :: v_dual_sub_f32 v37, v37, v38
	s_delay_alu instid0(VALU_DEP_1) | instskip(NEXT) | instid1(VALU_DEP_2)
	v_sub_f32_e32 v38, v38, v36
	v_add_f32_e32 v18, v18, v37
	s_delay_alu instid0(VALU_DEP_2) | instskip(NEXT) | instid1(VALU_DEP_1)
	v_sub_f32_e32 v20, v38, v20
	v_add_f32_e32 v18, v18, v20
	s_delay_alu instid0(VALU_DEP_1) | instskip(NEXT) | instid1(VALU_DEP_1)
	v_add_f32_e32 v37, v36, v18
	v_mov_b32_e32 v38, v37
	s_delay_alu instid0(VALU_DEP_1) | instskip(NEXT) | instid1(VALU_DEP_1)
	v_pk_add_f32 v[40:41], v[36:37], v[38:39] neg_lo:[0,1] neg_hi:[0,1]
	v_sub_f32_e32 v20, v37, v41
	s_delay_alu instid0(VALU_DEP_1) | instskip(NEXT) | instid1(VALU_DEP_1)
	v_dual_sub_f32 v20, v20, v39 :: v_dual_add_f32 v18, v18, v40
	v_add_f32_e32 v18, v18, v20
	s_delay_alu instid0(VALU_DEP_1) | instskip(NEXT) | instid1(VALU_DEP_1)
	v_add_f32_e32 v36, v41, v18
	v_sub_f32_e32 v20, v41, v36
	s_delay_alu instid0(VALU_DEP_1) | instskip(SKIP_1) | instid1(VALU_DEP_1)
	v_add_f32_e32 v18, v18, v20
	v_dual_mul_f32 v37, v36, v36 :: v_dual_fmaak_f32 v20, s30, v36, 0x3c091de6
	v_dual_add_f32 v39, v18, v18 :: v_dual_fma_f32 v38, v36, v36, -v37
	s_delay_alu instid0(VALU_DEP_1) | instskip(NEXT) | instid1(VALU_DEP_1)
	v_fmac_f32_e32 v38, v36, v39
	v_dual_add_f32 v39, v37, v38 :: v_dual_fmaak_f32 v20, v36, v20, 0x3d2aadcc
	s_delay_alu instid0(VALU_DEP_1) | instskip(NEXT) | instid1(VALU_DEP_1)
	v_dual_sub_f32 v37, v39, v37 :: v_dual_fmaak_f32 v20, v36, v20, 0x3e2aaa47
	v_dual_sub_f32 v37, v38, v37 :: v_dual_fmaak_f32 v20, v36, v20, 0x3efffffc
	s_delay_alu instid0(VALU_DEP_1) | instskip(NEXT) | instid1(VALU_DEP_1)
	v_mul_f32_e32 v40, v20, v39
	v_fma_f32 v38, v39, v20, -v40
	s_delay_alu instid0(VALU_DEP_1) | instskip(NEXT) | instid1(VALU_DEP_1)
	v_fmac_f32_e32 v38, v37, v20
	v_add_f32_e32 v37, v40, v38
	s_delay_alu instid0(VALU_DEP_1) | instskip(SKIP_1) | instid1(VALU_DEP_2)
	v_sub_f32_e32 v39, v37, v40
	v_mov_b64_e32 v[40:41], s[26:27]
	v_dual_sub_f32 v38, v38, v39 :: v_dual_add_f32 v20, v36, v37
	s_delay_alu instid0(VALU_DEP_1) | instskip(NEXT) | instid1(VALU_DEP_1)
	v_dual_add_f32 v18, v18, v38 :: v_dual_sub_f32 v36, v20, v36
	v_sub_f32_e32 v36, v37, v36
	s_delay_alu instid0(VALU_DEP_1) | instskip(NEXT) | instid1(VALU_DEP_1)
	v_add_f32_e32 v36, v18, v36
	v_add_f32_e32 v38, v20, v36
	s_delay_alu instid0(VALU_DEP_1) | instskip(NEXT) | instid1(VALU_DEP_1)
	v_dual_add_f32 v39, 1.0, v38 :: v_dual_mov_b32 v37, v38
	v_pk_add_f32 v[40:41], v[38:39], v[40:41]
	v_pk_add_f32 v[42:43], v[38:39], v[20:21] neg_lo:[0,1] neg_hi:[0,1]
	v_cvt_i32_f32_e32 v20, v44
	s_delay_alu instid0(VALU_DEP_3) | instskip(NEXT) | instid1(VALU_DEP_1)
	v_mov_b32_e32 v43, v41
	v_pk_add_f32 v[36:37], v[36:37], v[42:43] neg_lo:[0,1] neg_hi:[0,1]
	s_delay_alu instid0(VALU_DEP_1) | instskip(NEXT) | instid1(VALU_DEP_1)
	v_add_f32_e32 v18, v36, v37
	v_add_f32_e32 v36, v39, v18
	s_delay_alu instid0(VALU_DEP_1) | instskip(SKIP_1) | instid1(VALU_DEP_2)
	v_ldexp_f32 v37, v36, v20
	v_sub_f32_e32 v36, v36, v39
	v_rcp_f32_e32 v38, v37
	v_nop
	s_delay_alu instid0(TRANS32_DEP_1) | instskip(NEXT) | instid1(VALU_DEP_1)
	v_dual_sub_f32 v18, v18, v36 :: v_dual_mul_f32 v36, v37, v38
	v_ldexp_f32 v18, v18, v20
	s_delay_alu instid0(VALU_DEP_2) | instskip(NEXT) | instid1(VALU_DEP_1)
	v_fma_f32 v20, v38, v37, -v36
	v_fmac_f32_e32 v20, v38, v18
	s_delay_alu instid0(VALU_DEP_1) | instskip(NEXT) | instid1(VALU_DEP_1)
	v_add_f32_e32 v39, v36, v20
	v_sub_f32_e32 v36, v39, v36
	s_delay_alu instid0(VALU_DEP_1) | instskip(NEXT) | instid1(VALU_DEP_1)
	v_dual_sub_f32 v20, v36, v20 :: v_dual_sub_f32 v40, 1.0, v39
	v_sub_f32_e32 v41, 1.0, v40
	s_delay_alu instid0(VALU_DEP_1) | instskip(NEXT) | instid1(VALU_DEP_1)
	v_sub_f32_e32 v36, v41, v39
	v_add_f32_e32 v20, v20, v36
	s_delay_alu instid0(VALU_DEP_1) | instskip(NEXT) | instid1(VALU_DEP_1)
	v_add_f32_e32 v36, v40, v20
	v_mul_f32_e32 v39, v38, v36
	s_delay_alu instid0(VALU_DEP_1) | instskip(NEXT) | instid1(VALU_DEP_1)
	v_mul_f32_e32 v41, v37, v39
	v_fma_f32 v42, v39, v37, -v41
	s_delay_alu instid0(VALU_DEP_1) | instskip(NEXT) | instid1(VALU_DEP_1)
	v_fmac_f32_e32 v42, v39, v18
	v_dual_add_f32 v43, v41, v42 :: v_dual_sub_f32 v40, v40, v36
	s_delay_alu instid0(VALU_DEP_1) | instskip(NEXT) | instid1(VALU_DEP_2)
	v_sub_f32_e32 v44, v36, v43
	v_dual_add_f32 v20, v20, v40 :: v_dual_sub_f32 v40, v43, v41
	s_delay_alu instid0(VALU_DEP_2) | instskip(NEXT) | instid1(VALU_DEP_2)
	v_sub_f32_e32 v36, v36, v44
	v_sub_f32_e32 v40, v40, v42
	s_delay_alu instid0(VALU_DEP_2) | instskip(NEXT) | instid1(VALU_DEP_1)
	v_sub_f32_e32 v36, v36, v43
	v_dual_add_f32 v20, v20, v36 :: v_dual_add_f32 v36, v38, v39
	s_delay_alu instid0(VALU_DEP_1) | instskip(NEXT) | instid1(VALU_DEP_2)
	v_add_f32_e32 v20, v40, v20
	v_sub_f32_e32 v40, v36, v38
	s_delay_alu instid0(VALU_DEP_2) | instskip(NEXT) | instid1(VALU_DEP_2)
	v_add_f32_e32 v20, v44, v20
	v_sub_f32_e32 v39, v39, v40
	s_delay_alu instid0(VALU_DEP_2) | instskip(NEXT) | instid1(VALU_DEP_1)
	v_mul_f32_e32 v20, v38, v20
	v_add_f32_e32 v20, v39, v20
	s_delay_alu instid0(VALU_DEP_1) | instskip(NEXT) | instid1(VALU_DEP_1)
	v_add_f32_e32 v38, v36, v20
	v_ldexp_f32 v39, v38, -2
	s_delay_alu instid0(VALU_DEP_1) | instskip(NEXT) | instid1(VALU_DEP_1)
	v_dual_sub_f32 v36, v38, v36 :: v_dual_sub_f32 v40, v37, v39
	v_sub_f32_e32 v20, v20, v36
	s_delay_alu instid0(VALU_DEP_2) | instskip(NEXT) | instid1(VALU_DEP_1)
	v_sub_f32_e32 v37, v37, v40
	v_sub_f32_e32 v36, v37, v39
	s_delay_alu instid0(VALU_DEP_1) | instskip(NEXT) | instid1(VALU_DEP_4)
	v_add_f32_e32 v18, v18, v36
	v_ldexp_f32 v20, v20, -2
	s_delay_alu instid0(VALU_DEP_1) | instskip(NEXT) | instid1(VALU_DEP_1)
	v_dual_sub_f32 v18, v18, v20 :: v_dual_mul_f32 v20, v35, v35
	v_add_f32_e32 v18, v40, v18
	s_delay_alu instid0(VALU_DEP_2) | instskip(NEXT) | instid1(VALU_DEP_2)
	v_fmaak_f32 v36, s29, v20, 0xbf039337
	v_cndmask_b32_e32 v18, 0x7f800000, v18, vcc_lo
	s_delay_alu instid0(VALU_DEP_2) | instskip(NEXT) | instid1(VALU_DEP_2)
	v_fmaak_f32 v36, v20, v36, 0x3f93f425
	v_cndmask_b32_e64 v18, v18, |v32|, s6
	s_delay_alu instid0(VALU_DEP_1) | instskip(NEXT) | instid1(VALU_DEP_3)
	v_bfi_b32 v18, 0x7fffffff, v18, v32
	v_rcp_f32_e32 v32, v36
	v_nop
	v_fmaak_f32 v36, s28, v20, 0x3ec54587
	s_delay_alu instid0(VALU_DEP_3)
	v_fma_f32 v37, v18, v18, 1.0
	s_delay_alu instid0(TRANS32_DEP_1) | instid1(VALU_DEP_2)
	v_mul_f32_e32 v32, v36, v32
	s_delay_alu instid0(VALU_DEP_2) | instskip(SKIP_1) | instid1(VALU_DEP_3)
	v_mul_f32_e32 v36, 0x4f800000, v37
	v_cmp_gt_f32_e32 vcc_lo, 0xf800000, v37
	v_mul_f32_e32 v20, v20, v32
	s_delay_alu instid0(VALU_DEP_1) | instskip(NEXT) | instid1(VALU_DEP_1)
	v_dual_cndmask_b32 v32, v37, v36, vcc_lo :: v_dual_fma_f32 v36, v20, v35, v35
	v_sqrt_f32_e32 v37, v32
	s_delay_alu instid0(VALU_DEP_1) | instskip(NEXT) | instid1(TRANS32_DEP_2)
	v_rcp_f32_e32 v38, v36
	v_dual_sub_f32 v39, v36, v35 :: v_dual_add_nc_u32 v40, -1, v37
	s_delay_alu instid0(VALU_DEP_1) | instskip(NEXT) | instid1(VALU_DEP_1)
	v_fma_f32 v41, -v40, v37, v32
	v_cmp_ge_f32_e64 s6, 0, v41
	s_delay_alu instid0(VALU_DEP_3) | instskip(NEXT) | instid1(TRANS32_DEP_1)
	v_fma_f32 v20, v20, v35, -v39
	v_fma_f32 v35, v36, -v38, 1.0
	s_delay_alu instid0(VALU_DEP_1) | instskip(NEXT) | instid1(VALU_DEP_1)
	v_dual_add_nc_u32 v39, 1, v37 :: v_dual_fma_f32 v20, v20, -v38, v35
	v_dual_fma_f32 v35, -v39, v37, v32 :: v_dual_cndmask_b32 v37, v37, v40, s6
	s_delay_alu instid0(VALU_DEP_2) | instskip(NEXT) | instid1(VALU_DEP_2)
	v_fma_f32 v20, v20, -v38, -v38
	v_cmp_lt_f32_e64 s6, 0, v35
	s_delay_alu instid0(VALU_DEP_1) | instskip(SKIP_1) | instid1(VALU_DEP_1)
	v_cndmask_b32_e64 v35, v37, v39, s6
	v_cmp_eq_u32_e64 s6, 0, v4
	v_cndmask_b32_e64 v4, v20, v36, s6
	s_delay_alu instid0(VALU_DEP_3) | instskip(NEXT) | instid1(VALU_DEP_2)
	v_mul_f32_e32 v20, 0x37800000, v35
	v_xor3_b32 v4, v34, v4, v33
	s_delay_alu instid0(VALU_DEP_2) | instskip(SKIP_1) | instid1(VALU_DEP_3)
	v_cndmask_b32_e32 v20, v35, v20, vcc_lo
	v_cmp_class_f32_e64 vcc_lo, v32, 0x260
	v_fma_f32 v33, v4, v4, 1.0
	s_delay_alu instid0(VALU_DEP_1) | instskip(NEXT) | instid1(VALU_DEP_1)
	v_dual_cndmask_b32 v20, v20, v32, vcc_lo :: v_dual_mul_f32 v32, v18, v33
	v_mul_f32_e32 v20, v20, v33
	s_delay_alu instid0(VALU_DEP_2) | instskip(NEXT) | instid1(VALU_DEP_2)
	v_fma_f32 v33, v18, v32, 1.0
	v_mul_f32_e32 v18, v18, v20
	s_delay_alu instid0(VALU_DEP_2) | instskip(NEXT) | instid1(VALU_DEP_2)
	v_div_scale_f32 v32, null, v33, v33, v4
	v_div_scale_f32 v20, null, v33, v33, v18
	v_div_scale_f32 v38, vcc_lo, v18, v33, v18
	s_delay_alu instid0(VALU_DEP_3) | instskip(NEXT) | instid1(VALU_DEP_2)
	v_rcp_f32_e32 v35, v32
	v_rcp_f32_e32 v34, v20
	s_delay_alu instid0(TRANS32_DEP_2) | instskip(NEXT) | instid1(TRANS32_DEP_1)
	v_fma_f32 v37, -v32, v35, 1.0
	v_fma_f32 v36, -v20, v34, 1.0
	s_delay_alu instid0(VALU_DEP_1) | instskip(SKIP_1) | instid1(VALU_DEP_1)
	v_dual_fmac_f32 v35, v37, v35 :: v_dual_fmac_f32 v34, v36, v34
	v_div_scale_f32 v36, s6, v4, v33, v4
	v_dual_mul_f32 v37, v38, v34 :: v_dual_mul_f32 v39, v36, v35
	s_delay_alu instid0(VALU_DEP_1) | instskip(NEXT) | instid1(VALU_DEP_2)
	v_fma_f32 v40, -v20, v37, v38
	v_fma_f32 v41, -v32, v39, v36
	s_delay_alu instid0(VALU_DEP_1) | instskip(NEXT) | instid1(VALU_DEP_1)
	v_dual_fmac_f32 v37, v40, v34 :: v_dual_fmac_f32 v39, v41, v35
	v_fma_f32 v20, -v20, v37, v38
	s_delay_alu instid0(VALU_DEP_2) | instskip(NEXT) | instid1(VALU_DEP_2)
	v_fma_f32 v32, -v32, v39, v36
	v_div_fmas_f32 v20, v20, v34, v37
	s_mov_b32 vcc_lo, s6
	s_delay_alu instid0(VALU_DEP_2) | instskip(NEXT) | instid1(VALU_DEP_2)
	v_div_fmas_f32 v34, v32, v35, v39
	v_div_fixup_f32 v32, v20, v33, v18
	s_delay_alu instid0(VALU_DEP_2)
	v_div_fixup_f32 v33, v34, v33, v4
                                        ; implicit-def: $vgpr34
.LBB162_134:                            ;   in Loop: Header=BB162_4 Depth=1
	s_and_not1_saveexec_b32 s36, s36
	s_cbranch_execz .LBB162_163
; %bb.135:                              ;   in Loop: Header=BB162_4 Depth=1
	v_lshrrev_b32_e32 v18, 23, v34
	s_delay_alu instid0(VALU_DEP_2) | instskip(SKIP_1) | instid1(VALU_DEP_3)
	v_cmp_ngt_f32_e64 s37, 0x48000000, |v33|
	v_and_or_b32 v4, v34, s26, 0x800000
                                        ; implicit-def: $vgpr35
	v_add_nc_u32_e32 v20, 0xffffff88, v18
                                        ; implicit-def: $vgpr18
	s_and_saveexec_b32 s6, s37
	s_delay_alu instid0(SALU_CYCLE_1)
	s_xor_b32 s38, exec_lo, s6
	s_cbranch_execz .LBB162_148
; %bb.136:                              ;   in Loop: Header=BB162_4 Depth=1
	v_mul_u64_e32 v[36:37], s[16:17], v[4:5]
	v_mov_b32_e32 v39, v5
	v_cmp_lt_u32_e32 vcc_lo, 63, v20
	v_mov_b32_e32 v49, v5
	v_cndmask_b32_e64 v18, 0, 0xffffffc0, vcc_lo
	s_delay_alu instid0(VALU_DEP_1) | instskip(NEXT) | instid1(VALU_DEP_1)
	v_add_nc_u32_e32 v18, v18, v20
	v_cmp_lt_u32_e64 s6, 31, v18
	s_delay_alu instid0(VALU_DEP_1) | instskip(SKIP_1) | instid1(VALU_DEP_1)
	v_cndmask_b32_e64 v35, 0, 0xffffffe0, s6
	v_mov_b32_e32 v38, v37
	v_mad_nc_u64_u32 v[38:39], 0x3c439041, v4, v[38:39]
	s_delay_alu instid0(VALU_DEP_1) | instskip(NEXT) | instid1(VALU_DEP_1)
	v_dual_mov_b32 v41, v5 :: v_dual_mov_b32 v40, v39
	v_mad_nc_u64_u32 v[40:41], 0xdb629599, v4, v[40:41]
	s_delay_alu instid0(VALU_DEP_1) | instskip(NEXT) | instid1(VALU_DEP_2)
	v_dual_mov_b32 v43, v5 :: v_dual_mov_b32 v42, v41
	v_cndmask_b32_e32 v36, v40, v36, vcc_lo
	s_delay_alu instid0(VALU_DEP_2) | instskip(NEXT) | instid1(VALU_DEP_1)
	v_mad_nc_u64_u32 v[42:43], 0xf534ddc0, v4, v[42:43]
	v_dual_mov_b32 v45, v5 :: v_dual_mov_b32 v44, v43
	s_delay_alu instid0(VALU_DEP_1) | instskip(NEXT) | instid1(VALU_DEP_1)
	v_mad_nc_u64_u32 v[44:45], 0xfc2757d1, v4, v[44:45]
	v_dual_mov_b32 v47, v5 :: v_dual_mov_b32 v46, v45
	s_delay_alu instid0(VALU_DEP_2) | instskip(NEXT) | instid1(VALU_DEP_2)
	v_cndmask_b32_e32 v43, v44, v40, vcc_lo
	v_mad_nc_u64_u32 v[46:47], 0x4e441529, v4, v[46:47]
	s_delay_alu instid0(VALU_DEP_1) | instskip(NEXT) | instid1(VALU_DEP_1)
	v_dual_mov_b32 v48, v47 :: v_dual_cndmask_b32 v37, v46, v42
	v_mad_nc_u64_u32 v[48:49], 0xa2f9836e, v4, v[48:49]
	s_delay_alu instid0(VALU_DEP_1) | instskip(NEXT) | instid1(VALU_DEP_1)
	v_dual_cndmask_b32 v39, v48, v44 :: v_dual_add_nc_u32 v18, v35, v18
	v_cmp_lt_u32_e64 s7, 31, v18
	s_delay_alu instid0(VALU_DEP_3) | instskip(NEXT) | instid1(VALU_DEP_2)
	v_cndmask_b32_e32 v41, v49, v46, vcc_lo
	v_cndmask_b32_e64 v35, 0, 0xffffffe0, s7
	s_delay_alu instid0(VALU_DEP_1) | instskip(SKIP_1) | instid1(VALU_DEP_4)
	v_add_nc_u32_e32 v18, v35, v18
	v_dual_cndmask_b32 v35, v42, v38, vcc_lo :: v_dual_cndmask_b32 v38, v39, v37, s6
	v_cndmask_b32_e64 v39, v41, v39, s6
	s_delay_alu instid0(VALU_DEP_3) | instskip(NEXT) | instid1(VALU_DEP_3)
	v_dual_cndmask_b32 v37, v37, v43, s6 :: v_dual_sub_nc_u32 v41, 32, v18
	v_cndmask_b32_e64 v42, v43, v35, s6
	v_cmp_eq_u32_e32 vcc_lo, 0, v18
	s_delay_alu instid0(VALU_DEP_3) | instskip(NEXT) | instid1(VALU_DEP_1)
	v_dual_cndmask_b32 v39, v39, v38, s7 :: v_dual_cndmask_b32 v38, v38, v37, s7
	v_alignbit_b32 v43, v39, v38, v41
	s_delay_alu instid0(VALU_DEP_1) | instskip(NEXT) | instid1(VALU_DEP_1)
	v_dual_cndmask_b32 v37, v37, v42, s7 :: v_dual_cndmask_b32 v18, v43, v39, vcc_lo
	v_alignbit_b32 v40, v38, v37, v41
	s_delay_alu instid0(VALU_DEP_1) | instskip(NEXT) | instid1(VALU_DEP_3)
	v_dual_cndmask_b32 v35, v35, v36, s6 :: v_dual_cndmask_b32 v36, v40, v38, vcc_lo
	v_bfe_u32 v38, v18, 29, 1
	s_delay_alu instid0(VALU_DEP_2) | instskip(NEXT) | instid1(VALU_DEP_3)
	v_cndmask_b32_e64 v35, v42, v35, s7
	v_alignbit_b32 v39, v18, v36, 30
	s_delay_alu instid0(VALU_DEP_3) | instskip(NEXT) | instid1(VALU_DEP_3)
	v_sub_nc_u32_e32 v40, 0, v38
	v_alignbit_b32 v41, v37, v35, v41
	s_delay_alu instid0(VALU_DEP_1) | instskip(NEXT) | instid1(VALU_DEP_1)
	v_dual_cndmask_b32 v37, v41, v37, vcc_lo :: v_dual_bitop2_b32 v39, v39, v40 bitop3:0x14
	v_clz_i32_u32_e32 v41, v39
	s_delay_alu instid0(VALU_DEP_2) | instskip(SKIP_1) | instid1(VALU_DEP_3)
	v_alignbit_b32 v36, v36, v37, 30
	v_alignbit_b32 v35, v37, v35, 30
	v_min_u32_e32 v41, 32, v41
	s_delay_alu instid0(VALU_DEP_3) | instskip(NEXT) | instid1(VALU_DEP_3)
	v_xor_b32_e32 v36, v36, v40
	v_dual_lshrrev_b32 v40, 29, v18 :: v_dual_bitop2_b32 v35, v35, v40 bitop3:0x14
	s_delay_alu instid0(VALU_DEP_3) | instskip(NEXT) | instid1(VALU_DEP_1)
	v_dual_sub_nc_u32 v37, 31, v41 :: v_dual_lshlrev_b32 v42, 23, v41
	v_alignbit_b32 v39, v39, v36, v37
	s_delay_alu instid0(VALU_DEP_3) | instskip(NEXT) | instid1(VALU_DEP_4)
	v_alignbit_b32 v35, v36, v35, v37
	v_lshlrev_b32_e32 v36, 31, v40
	s_delay_alu instid0(VALU_DEP_2) | instskip(NEXT) | instid1(VALU_DEP_2)
	v_alignbit_b32 v37, v39, v35, 9
	v_dual_lshrrev_b32 v39, 9, v39 :: v_dual_bitop2_b32 v40, 0.5, v36 bitop3:0x54
	v_or_b32_e32 v36, 0x33000000, v36
	s_delay_alu instid0(VALU_DEP_3) | instskip(NEXT) | instid1(VALU_DEP_3)
	v_clz_i32_u32_e32 v43, v37
	v_sub_nc_u32_e32 v40, v40, v42
	s_delay_alu instid0(VALU_DEP_2) | instskip(NEXT) | instid1(VALU_DEP_1)
	v_min_u32_e32 v42, 32, v43
	v_add_lshl_u32 v41, v42, v41, 23
	s_delay_alu instid0(VALU_DEP_3) | instskip(SKIP_1) | instid1(VALU_DEP_2)
	v_or_b32_e32 v39, v39, v40
	v_not_b32_e32 v40, v42
	v_dual_mul_f32 v43, 0x3fc90fda, v39 :: v_dual_sub_nc_u32 v36, v36, v41
	s_delay_alu instid0(VALU_DEP_2) | instskip(NEXT) | instid1(VALU_DEP_2)
	v_alignbit_b32 v35, v37, v35, v40
	v_fma_f32 v37, 0x3fc90fda, v39, -v43
	s_delay_alu instid0(VALU_DEP_2) | instskip(NEXT) | instid1(VALU_DEP_2)
	v_lshrrev_b32_e32 v35, 9, v35
	v_fmac_f32_e32 v37, 0x33a22168, v39
	s_delay_alu instid0(VALU_DEP_2) | instskip(NEXT) | instid1(VALU_DEP_1)
	v_or_b32_e32 v35, v36, v35
	v_fmac_f32_e32 v37, 0x3fc90fda, v35
	s_delay_alu instid0(VALU_DEP_1) | instskip(NEXT) | instid1(VALU_DEP_1)
	v_dual_add_f32 v18, v43, v37 :: v_dual_lshrrev_b32 v35, 30, v18
	v_add_nc_u32_e32 v35, v38, v35
	s_and_not1_saveexec_b32 s6, s38
	s_branch .LBB162_149
.LBB162_137:                            ;   in Loop: Header=BB162_4 Depth=1
	s_and_not1_saveexec_b32 s34, s34
	s_cbranch_execz .LBB162_167
.LBB162_138:                            ;   in Loop: Header=BB162_4 Depth=1
	s_delay_alu instid0(VALU_DEP_1) | instskip(SKIP_1) | instid1(VALU_DEP_1)
	v_and_b32_e32 v4, 0x7fffff, v32
	s_mov_b32 s6, exec_lo
	v_cmpx_ne_u32_e32 0, v4
	s_xor_b32 s6, exec_lo, s6
; %bb.139:                              ;   in Loop: Header=BB162_4 Depth=1
	v_mul_f32_e32 v4, v33, v32
	v_cmp_eq_f32_e32 vcc_lo, 0, v33
	s_delay_alu instid0(VALU_DEP_2)
	v_cndmask_b32_e32 v33, v4, v33, vcc_lo
; %bb.140:                              ;   in Loop: Header=BB162_4 Depth=1
	s_and_not1_saveexec_b32 s35, s6
	s_cbranch_execz .LBB162_156
; %bb.141:                              ;   in Loop: Header=BB162_4 Depth=1
	s_mov_b32 s36, exec_lo
	s_delay_alu instid0(VALU_DEP_1)
	v_cmpx_neq_f32_e64 0x7f800000, |v33|
	s_cbranch_execz .LBB162_155
; %bb.142:                              ;   in Loop: Header=BB162_4 Depth=1
	v_and_b32_e32 v18, 0x7fffffff, v33
	v_cmp_ngt_f32_e64 s37, 0x48000000, |v33|
                                        ; implicit-def: $vgpr34
	s_delay_alu instid0(VALU_DEP_2) | instskip(SKIP_1) | instid1(VALU_DEP_2)
	v_lshrrev_b32_e32 v20, 23, v18
	v_and_or_b32 v4, v18, s26, 0x800000
	v_add_nc_u32_e32 v35, 0xffffff88, v20
                                        ; implicit-def: $vgpr20
	s_and_saveexec_b32 s6, s37
	s_delay_alu instid0(SALU_CYCLE_1)
	s_xor_b32 s38, exec_lo, s6
	s_cbranch_execz .LBB162_144
; %bb.143:                              ;   in Loop: Header=BB162_4 Depth=1
	v_mul_u64_e32 v[36:37], s[16:17], v[4:5]
	v_mov_b32_e32 v39, v5
	v_cmp_lt_u32_e32 vcc_lo, 63, v35
	v_mov_b32_e32 v49, v5
	v_cndmask_b32_e64 v20, 0, 0xffffffc0, vcc_lo
	s_delay_alu instid0(VALU_DEP_1) | instskip(NEXT) | instid1(VALU_DEP_1)
	v_add_nc_u32_e32 v20, v20, v35
	v_cmp_lt_u32_e64 s6, 31, v20
	s_delay_alu instid0(VALU_DEP_1) | instskip(NEXT) | instid1(VALU_DEP_1)
	v_cndmask_b32_e64 v34, 0, 0xffffffe0, s6
	v_dual_add_nc_u32 v20, v34, v20 :: v_dual_mov_b32 v38, v37
	s_delay_alu instid0(VALU_DEP_1) | instskip(NEXT) | instid1(VALU_DEP_2)
	v_cmp_lt_u32_e64 s7, 31, v20
	v_mad_nc_u64_u32 v[38:39], 0x3c439041, v4, v[38:39]
	v_mov_b32_e32 v41, v5
	s_delay_alu instid0(VALU_DEP_3) | instskip(NEXT) | instid1(VALU_DEP_3)
	v_cndmask_b32_e64 v34, 0, 0xffffffe0, s7
	v_mov_b32_e32 v40, v39
	s_delay_alu instid0(VALU_DEP_1) | instskip(NEXT) | instid1(VALU_DEP_1)
	v_mad_nc_u64_u32 v[40:41], 0xdb629599, v4, v[40:41]
	v_dual_mov_b32 v43, v5 :: v_dual_mov_b32 v42, v41
	s_delay_alu instid0(VALU_DEP_2) | instskip(NEXT) | instid1(VALU_DEP_2)
	v_cndmask_b32_e32 v36, v40, v36, vcc_lo
	v_mad_nc_u64_u32 v[42:43], 0xf534ddc0, v4, v[42:43]
	s_delay_alu instid0(VALU_DEP_1) | instskip(NEXT) | instid1(VALU_DEP_1)
	v_dual_mov_b32 v45, v5 :: v_dual_mov_b32 v44, v43
	v_mad_nc_u64_u32 v[44:45], 0xfc2757d1, v4, v[44:45]
	s_delay_alu instid0(VALU_DEP_1) | instskip(NEXT) | instid1(VALU_DEP_2)
	v_dual_mov_b32 v47, v5 :: v_dual_mov_b32 v46, v45
	v_cndmask_b32_e32 v43, v44, v40, vcc_lo
	s_delay_alu instid0(VALU_DEP_2) | instskip(NEXT) | instid1(VALU_DEP_1)
	v_mad_nc_u64_u32 v[46:47], 0x4e441529, v4, v[46:47]
	v_mov_b32_e32 v48, v47
	s_delay_alu instid0(VALU_DEP_1) | instskip(NEXT) | instid1(VALU_DEP_1)
	v_mad_nc_u64_u32 v[48:49], 0xa2f9836e, v4, v[48:49]
	v_dual_cndmask_b32 v37, v46, v42, vcc_lo :: v_dual_cndmask_b32 v39, v48, v44, vcc_lo
	s_delay_alu instid0(VALU_DEP_2) | instskip(NEXT) | instid1(VALU_DEP_2)
	v_dual_cndmask_b32 v41, v49, v46 :: v_dual_add_nc_u32 v20, v34, v20
	v_dual_cndmask_b32 v34, v42, v38, vcc_lo :: v_dual_cndmask_b32 v38, v39, v37, s6
	s_delay_alu instid0(VALU_DEP_2) | instskip(NEXT) | instid1(VALU_DEP_3)
	v_cndmask_b32_e64 v39, v41, v39, s6
	v_dual_cndmask_b32 v37, v37, v43, s6 :: v_dual_sub_nc_u32 v41, 32, v20
	s_delay_alu instid0(VALU_DEP_3) | instskip(SKIP_1) | instid1(VALU_DEP_3)
	v_cndmask_b32_e64 v42, v43, v34, s6
	v_cmp_eq_u32_e32 vcc_lo, 0, v20
	v_dual_cndmask_b32 v39, v39, v38, s7 :: v_dual_cndmask_b32 v38, v38, v37, s7
	s_delay_alu instid0(VALU_DEP_1) | instskip(NEXT) | instid1(VALU_DEP_1)
	v_alignbit_b32 v43, v39, v38, v41
	v_dual_cndmask_b32 v37, v37, v42, s7 :: v_dual_cndmask_b32 v20, v43, v39, vcc_lo
	s_delay_alu instid0(VALU_DEP_1) | instskip(NEXT) | instid1(VALU_DEP_1)
	v_alignbit_b32 v40, v38, v37, v41
	v_dual_cndmask_b32 v34, v34, v36, s6 :: v_dual_cndmask_b32 v36, v40, v38, vcc_lo
	s_delay_alu instid0(VALU_DEP_3) | instskip(NEXT) | instid1(VALU_DEP_2)
	v_bfe_u32 v38, v20, 29, 1
	v_alignbit_b32 v39, v20, v36, 30
	s_delay_alu instid0(VALU_DEP_2) | instskip(NEXT) | instid1(VALU_DEP_1)
	v_sub_nc_u32_e32 v40, 0, v38
	v_dual_cndmask_b32 v34, v42, v34, s7 :: v_dual_bitop2_b32 v39, v39, v40 bitop3:0x14
	s_delay_alu instid0(VALU_DEP_1) | instskip(NEXT) | instid1(VALU_DEP_1)
	v_alignbit_b32 v41, v37, v34, v41
	v_cndmask_b32_e32 v37, v41, v37, vcc_lo
	s_delay_alu instid0(VALU_DEP_3) | instskip(NEXT) | instid1(VALU_DEP_2)
	v_clz_i32_u32_e32 v41, v39
	v_alignbit_b32 v36, v36, v37, 30
	s_delay_alu instid0(VALU_DEP_2) | instskip(SKIP_1) | instid1(VALU_DEP_2)
	v_min_u32_e32 v41, 32, v41
	v_alignbit_b32 v34, v37, v34, 30
	v_dual_sub_nc_u32 v37, 31, v41 :: v_dual_bitop2_b32 v36, v36, v40 bitop3:0x14
	s_delay_alu instid0(VALU_DEP_2) | instskip(SKIP_1) | instid1(VALU_DEP_3)
	v_xor_b32_e32 v34, v34, v40
	v_dual_lshrrev_b32 v40, 29, v20 :: v_dual_lshlrev_b32 v42, 23, v41
	v_alignbit_b32 v39, v39, v36, v37
	s_delay_alu instid0(VALU_DEP_3) | instskip(NEXT) | instid1(VALU_DEP_3)
	v_alignbit_b32 v34, v36, v34, v37
	v_lshlrev_b32_e32 v36, 31, v40
	s_delay_alu instid0(VALU_DEP_2) | instskip(NEXT) | instid1(VALU_DEP_2)
	v_alignbit_b32 v37, v39, v34, 9
	v_dual_lshrrev_b32 v39, 9, v39 :: v_dual_bitop2_b32 v40, 0.5, v36 bitop3:0x54
	v_or_b32_e32 v36, 0x33000000, v36
	s_delay_alu instid0(VALU_DEP_3) | instskip(NEXT) | instid1(VALU_DEP_3)
	v_clz_i32_u32_e32 v43, v37
	v_sub_nc_u32_e32 v40, v40, v42
	s_delay_alu instid0(VALU_DEP_2) | instskip(NEXT) | instid1(VALU_DEP_1)
	v_min_u32_e32 v42, 32, v43
	v_add_lshl_u32 v41, v42, v41, 23
	s_delay_alu instid0(VALU_DEP_3) | instskip(SKIP_1) | instid1(VALU_DEP_2)
	v_or_b32_e32 v39, v39, v40
	v_not_b32_e32 v40, v42
	v_dual_mul_f32 v43, 0x3fc90fda, v39 :: v_dual_sub_nc_u32 v36, v36, v41
	s_delay_alu instid0(VALU_DEP_2) | instskip(NEXT) | instid1(VALU_DEP_2)
	v_alignbit_b32 v34, v37, v34, v40
	v_fma_f32 v37, 0x3fc90fda, v39, -v43
	s_delay_alu instid0(VALU_DEP_1) | instskip(NEXT) | instid1(VALU_DEP_1)
	v_dual_fmac_f32 v37, 0x33a22168, v39 :: v_dual_lshrrev_b32 v34, 9, v34
	v_or_b32_e32 v34, v36, v34
	s_delay_alu instid0(VALU_DEP_1) | instskip(NEXT) | instid1(VALU_DEP_1)
	v_dual_fmac_f32 v37, 0x3fc90fda, v34 :: v_dual_lshrrev_b32 v34, 30, v20
	v_dual_add_f32 v20, v43, v37 :: v_dual_add_nc_u32 v34, v38, v34
.LBB162_144:                            ;   in Loop: Header=BB162_4 Depth=1
	s_or_saveexec_b32 s6, s38
	v_mul_f32_e64 v36, 0x3f22f983, |v33|
	s_delay_alu instid0(VALU_DEP_1)
	v_rndne_f32_e32 v38, v36
	s_xor_b32 exec_lo, exec_lo, s6
; %bb.145:                              ;   in Loop: Header=BB162_4 Depth=1
	s_delay_alu instid0(VALU_DEP_1) | instskip(SKIP_1) | instid1(VALU_DEP_2)
	v_fma_f32 v20, 0xbfc90fda, v38, |v33|
	v_cvt_i32_f32_e32 v34, v38
	v_fmac_f32_e32 v20, 0xb3a22168, v38
	s_delay_alu instid0(VALU_DEP_1)
	v_fmac_f32_e32 v20, 0xa7c234c4, v38
; %bb.146:                              ;   in Loop: Header=BB162_4 Depth=1
	s_or_b32 exec_lo, exec_lo, s6
                                        ; implicit-def: $vgpr37
                                        ; implicit-def: $vgpr36
	s_and_saveexec_b32 s6, s37
	s_delay_alu instid0(SALU_CYCLE_1)
	s_xor_b32 s37, exec_lo, s6
	s_cbranch_execz .LBB162_152
; %bb.147:                              ;   in Loop: Header=BB162_4 Depth=1
	v_mul_u64_e32 v[36:37], s[16:17], v[4:5]
	v_mov_b32_e32 v39, v5
	v_cmp_lt_u32_e32 vcc_lo, 63, v35
	s_delay_alu instid0(VALU_DEP_3) | instskip(SKIP_1) | instid1(VALU_DEP_2)
	v_mov_b32_e32 v38, v37
	v_cndmask_b32_e64 v37, 0, 0xffffffc0, vcc_lo
	v_mad_nc_u64_u32 v[38:39], 0x3c439041, v4, v[38:39]
	s_delay_alu instid0(VALU_DEP_1) | instskip(NEXT) | instid1(VALU_DEP_1)
	v_dual_mov_b32 v41, v5 :: v_dual_mov_b32 v40, v39
	v_mad_nc_u64_u32 v[40:41], 0xdb629599, v4, v[40:41]
	s_delay_alu instid0(VALU_DEP_1) | instskip(NEXT) | instid1(VALU_DEP_2)
	v_dual_mov_b32 v43, v5 :: v_dual_mov_b32 v42, v41
	v_cndmask_b32_e32 v36, v40, v36, vcc_lo
	s_delay_alu instid0(VALU_DEP_2) | instskip(NEXT) | instid1(VALU_DEP_1)
	v_mad_nc_u64_u32 v[42:43], 0xf534ddc0, v4, v[42:43]
	v_dual_mov_b32 v45, v5 :: v_dual_mov_b32 v44, v43
	s_delay_alu instid0(VALU_DEP_1) | instskip(NEXT) | instid1(VALU_DEP_1)
	v_mad_nc_u64_u32 v[44:45], 0xfc2757d1, v4, v[44:45]
	v_dual_mov_b32 v47, v5 :: v_dual_mov_b32 v46, v45
	s_delay_alu instid0(VALU_DEP_2) | instskip(NEXT) | instid1(VALU_DEP_2)
	v_cndmask_b32_e32 v43, v44, v40, vcc_lo
	v_mad_nc_u64_u32 v[46:47], 0x4e441529, v4, v[46:47]
	v_add_nc_u32_e32 v35, v37, v35
	s_delay_alu instid0(VALU_DEP_2) | instskip(NEXT) | instid1(VALU_DEP_2)
	v_dual_mov_b32 v49, v5 :: v_dual_mov_b32 v48, v47
	v_cmp_lt_u32_e64 s6, 31, v35
	s_delay_alu instid0(VALU_DEP_2) | instskip(NEXT) | instid1(VALU_DEP_2)
	v_mad_nc_u64_u32 v[48:49], 0xa2f9836e, v4, v[48:49]
	v_cndmask_b32_e64 v37, 0, 0xffffffe0, s6
	s_delay_alu instid0(VALU_DEP_1) | instskip(NEXT) | instid1(VALU_DEP_3)
	v_dual_cndmask_b32 v37, v46, v42 :: v_dual_add_nc_u32 v4, v37, v35
	v_cndmask_b32_e32 v39, v48, v44, vcc_lo
	s_delay_alu instid0(VALU_DEP_2) | instskip(SKIP_1) | instid1(VALU_DEP_2)
	v_cmp_lt_u32_e64 s7, 31, v4
	v_cndmask_b32_e32 v41, v49, v46, vcc_lo
	v_cndmask_b32_e64 v35, 0, 0xffffffe0, s7
	s_delay_alu instid0(VALU_DEP_1) | instskip(NEXT) | instid1(VALU_DEP_3)
	v_dual_cndmask_b32 v35, v42, v38 :: v_dual_add_nc_u32 v4, v35, v4
	v_dual_cndmask_b32 v38, v39, v37, s6 :: v_dual_cndmask_b32 v39, v41, v39, s6
	s_delay_alu instid0(VALU_DEP_2) | instskip(NEXT) | instid1(VALU_DEP_3)
	v_dual_cndmask_b32 v37, v37, v43, s6 :: v_dual_sub_nc_u32 v41, 32, v4
	v_cndmask_b32_e64 v42, v43, v35, s6
	v_cmp_eq_u32_e32 vcc_lo, 0, v4
	s_delay_alu instid0(VALU_DEP_3) | instskip(NEXT) | instid1(VALU_DEP_1)
	v_dual_cndmask_b32 v39, v39, v38, s7 :: v_dual_cndmask_b32 v38, v38, v37, s7
	v_alignbit_b32 v43, v39, v38, v41
	s_delay_alu instid0(VALU_DEP_1) | instskip(NEXT) | instid1(VALU_DEP_1)
	v_dual_cndmask_b32 v37, v37, v42, s7 :: v_dual_cndmask_b32 v4, v43, v39, vcc_lo
	v_alignbit_b32 v40, v38, v37, v41
	s_delay_alu instid0(VALU_DEP_1) | instskip(NEXT) | instid1(VALU_DEP_3)
	v_dual_cndmask_b32 v35, v35, v36, s6 :: v_dual_cndmask_b32 v36, v40, v38, vcc_lo
	v_bfe_u32 v38, v4, 29, 1
	s_delay_alu instid0(VALU_DEP_2) | instskip(NEXT) | instid1(VALU_DEP_3)
	v_cndmask_b32_e64 v35, v42, v35, s7
	v_alignbit_b32 v39, v4, v36, 30
	s_delay_alu instid0(VALU_DEP_3) | instskip(NEXT) | instid1(VALU_DEP_3)
	v_sub_nc_u32_e32 v40, 0, v38
	v_alignbit_b32 v41, v37, v35, v41
	s_delay_alu instid0(VALU_DEP_1) | instskip(NEXT) | instid1(VALU_DEP_1)
	v_dual_cndmask_b32 v37, v41, v37, vcc_lo :: v_dual_bitop2_b32 v39, v39, v40 bitop3:0x14
	v_clz_i32_u32_e32 v41, v39
	s_delay_alu instid0(VALU_DEP_2) | instskip(SKIP_1) | instid1(VALU_DEP_3)
	v_alignbit_b32 v36, v36, v37, 30
	v_alignbit_b32 v35, v37, v35, 30
	v_min_u32_e32 v41, 32, v41
	s_delay_alu instid0(VALU_DEP_3) | instskip(NEXT) | instid1(VALU_DEP_3)
	v_xor_b32_e32 v36, v36, v40
	v_xor_b32_e32 v35, v35, v40
	v_dual_lshrrev_b32 v40, 29, v4 :: v_dual_lshrrev_b32 v4, 30, v4
	s_delay_alu instid0(VALU_DEP_4) | instskip(NEXT) | instid1(VALU_DEP_1)
	v_dual_sub_nc_u32 v37, 31, v41 :: v_dual_lshlrev_b32 v42, 23, v41
	v_alignbit_b32 v39, v39, v36, v37
	s_delay_alu instid0(VALU_DEP_4) | instskip(NEXT) | instid1(VALU_DEP_4)
	v_alignbit_b32 v35, v36, v35, v37
	v_lshlrev_b32_e32 v36, 31, v40
	s_delay_alu instid0(VALU_DEP_2) | instskip(NEXT) | instid1(VALU_DEP_2)
	v_alignbit_b32 v37, v39, v35, 9
	v_dual_lshrrev_b32 v39, 9, v39 :: v_dual_bitop2_b32 v40, 0.5, v36 bitop3:0x54
	v_or_b32_e32 v36, 0x33000000, v36
	s_delay_alu instid0(VALU_DEP_3) | instskip(NEXT) | instid1(VALU_DEP_3)
	v_clz_i32_u32_e32 v43, v37
	v_sub_nc_u32_e32 v40, v40, v42
	s_delay_alu instid0(VALU_DEP_2) | instskip(NEXT) | instid1(VALU_DEP_1)
	v_min_u32_e32 v42, 32, v43
	v_add_lshl_u32 v41, v42, v41, 23
	s_delay_alu instid0(VALU_DEP_3) | instskip(SKIP_1) | instid1(VALU_DEP_2)
	v_or_b32_e32 v39, v39, v40
	v_not_b32_e32 v40, v42
	v_dual_mul_f32 v43, 0x3fc90fda, v39 :: v_dual_sub_nc_u32 v36, v36, v41
	s_delay_alu instid0(VALU_DEP_2) | instskip(NEXT) | instid1(VALU_DEP_2)
	v_alignbit_b32 v35, v37, v35, v40
	v_fma_f32 v37, 0x3fc90fda, v39, -v43
	s_delay_alu instid0(VALU_DEP_2) | instskip(NEXT) | instid1(VALU_DEP_2)
	v_lshrrev_b32_e32 v35, 9, v35
	v_fmac_f32_e32 v37, 0x33a22168, v39
	s_delay_alu instid0(VALU_DEP_2) | instskip(NEXT) | instid1(VALU_DEP_1)
	v_or_b32_e32 v35, v36, v35
	v_fmac_f32_e32 v37, 0x3fc90fda, v35
	s_delay_alu instid0(VALU_DEP_1)
	v_dual_add_f32 v36, v43, v37 :: v_dual_add_nc_u32 v37, v38, v4
                                        ; implicit-def: $vgpr38
	s_and_not1_saveexec_b32 s6, s37
	s_cbranch_execnz .LBB162_153
	s_branch .LBB162_154
.LBB162_148:                            ;   in Loop: Header=BB162_4 Depth=1
	s_and_not1_saveexec_b32 s6, s38
.LBB162_149:                            ;   in Loop: Header=BB162_4 Depth=1
	v_mul_f32_e64 v18, 0x3f22f983, |v33|
	s_delay_alu instid0(VALU_DEP_1) | instskip(NEXT) | instid1(VALU_DEP_1)
	v_rndne_f32_e32 v35, v18
	v_fma_f32 v18, 0xbfc90fda, v35, |v33|
	s_delay_alu instid0(VALU_DEP_1) | instskip(NEXT) | instid1(VALU_DEP_1)
	v_fmac_f32_e32 v18, 0xb3a22168, v35
	v_fmac_f32_e32 v18, 0xa7c234c4, v35
	v_cvt_i32_f32_e32 v35, v35
; %bb.150:                              ;   in Loop: Header=BB162_4 Depth=1
	s_or_b32 exec_lo, exec_lo, s6
                                        ; implicit-def: $vgpr37
                                        ; implicit-def: $vgpr36
	s_and_saveexec_b32 s6, s37
	s_delay_alu instid0(SALU_CYCLE_1)
	s_xor_b32 s37, exec_lo, s6
	s_cbranch_execz .LBB162_160
; %bb.151:                              ;   in Loop: Header=BB162_4 Depth=1
	v_mul_u64_e32 v[36:37], s[16:17], v[4:5]
	v_mov_b32_e32 v39, v5
	v_cmp_lt_u32_e32 vcc_lo, 63, v20
	s_delay_alu instid0(VALU_DEP_3) | instskip(SKIP_1) | instid1(VALU_DEP_2)
	v_mov_b32_e32 v38, v37
	v_cndmask_b32_e64 v37, 0, 0xffffffc0, vcc_lo
	v_mad_nc_u64_u32 v[38:39], 0x3c439041, v4, v[38:39]
	s_delay_alu instid0(VALU_DEP_1) | instskip(NEXT) | instid1(VALU_DEP_1)
	v_dual_mov_b32 v41, v5 :: v_dual_mov_b32 v40, v39
	v_mad_nc_u64_u32 v[40:41], 0xdb629599, v4, v[40:41]
	s_delay_alu instid0(VALU_DEP_1) | instskip(NEXT) | instid1(VALU_DEP_2)
	v_dual_mov_b32 v43, v5 :: v_dual_mov_b32 v42, v41
	v_cndmask_b32_e32 v36, v40, v36, vcc_lo
	s_delay_alu instid0(VALU_DEP_2) | instskip(NEXT) | instid1(VALU_DEP_1)
	v_mad_nc_u64_u32 v[42:43], 0xf534ddc0, v4, v[42:43]
	v_dual_mov_b32 v45, v5 :: v_dual_mov_b32 v44, v43
	s_delay_alu instid0(VALU_DEP_1) | instskip(NEXT) | instid1(VALU_DEP_1)
	v_mad_nc_u64_u32 v[44:45], 0xfc2757d1, v4, v[44:45]
	v_dual_mov_b32 v47, v5 :: v_dual_mov_b32 v46, v45
	s_delay_alu instid0(VALU_DEP_1) | instskip(SKIP_1) | instid1(VALU_DEP_2)
	v_mad_nc_u64_u32 v[46:47], 0x4e441529, v4, v[46:47]
	v_add_nc_u32_e32 v20, v37, v20
	v_dual_mov_b32 v49, v5 :: v_dual_mov_b32 v48, v47
	s_delay_alu instid0(VALU_DEP_2) | instskip(NEXT) | instid1(VALU_DEP_2)
	v_cmp_lt_u32_e64 s6, 31, v20
	v_mad_nc_u64_u32 v[48:49], 0xa2f9836e, v4, v[48:49]
	s_delay_alu instid0(VALU_DEP_2) | instskip(NEXT) | instid1(VALU_DEP_1)
	v_cndmask_b32_e64 v37, 0, 0xffffffe0, s6
	v_dual_cndmask_b32 v37, v46, v42 :: v_dual_add_nc_u32 v4, v37, v20
	s_delay_alu instid0(VALU_DEP_1) | instskip(NEXT) | instid1(VALU_DEP_4)
	v_cmp_lt_u32_e64 s7, 31, v4
	v_dual_cndmask_b32 v39, v48, v44, vcc_lo :: v_dual_cndmask_b32 v41, v49, v46, vcc_lo
	v_cndmask_b32_e32 v43, v44, v40, vcc_lo
	s_delay_alu instid0(VALU_DEP_3) | instskip(NEXT) | instid1(VALU_DEP_1)
	v_cndmask_b32_e64 v20, 0, 0xffffffe0, s7
	v_dual_add_nc_u32 v4, v20, v4 :: v_dual_cndmask_b32 v20, v42, v38, vcc_lo
	s_delay_alu instid0(VALU_DEP_4) | instskip(NEXT) | instid1(VALU_DEP_2)
	v_dual_cndmask_b32 v38, v39, v37, s6 :: v_dual_cndmask_b32 v39, v41, v39, s6
	v_dual_cndmask_b32 v37, v37, v43, s6 :: v_dual_sub_nc_u32 v41, 32, v4
	s_delay_alu instid0(VALU_DEP_3) | instskip(SKIP_1) | instid1(VALU_DEP_3)
	v_cndmask_b32_e64 v42, v43, v20, s6
	v_cmp_eq_u32_e32 vcc_lo, 0, v4
	v_dual_cndmask_b32 v39, v39, v38, s7 :: v_dual_cndmask_b32 v38, v38, v37, s7
	v_cndmask_b32_e64 v20, v20, v36, s6
	s_delay_alu instid0(VALU_DEP_2) | instskip(NEXT) | instid1(VALU_DEP_1)
	v_alignbit_b32 v43, v39, v38, v41
	v_dual_cndmask_b32 v37, v37, v42, s7 :: v_dual_cndmask_b32 v4, v43, v39, vcc_lo
	s_delay_alu instid0(VALU_DEP_1) | instskip(NEXT) | instid1(VALU_DEP_1)
	v_alignbit_b32 v40, v38, v37, v41
	v_cndmask_b32_e32 v36, v40, v38, vcc_lo
	s_delay_alu instid0(VALU_DEP_3) | instskip(NEXT) | instid1(VALU_DEP_1)
	v_bfe_u32 v38, v4, 29, 1
	v_dual_sub_nc_u32 v40, 0, v38 :: v_dual_cndmask_b32 v20, v42, v20, s7
	s_delay_alu instid0(VALU_DEP_3) | instskip(NEXT) | instid1(VALU_DEP_2)
	v_alignbit_b32 v39, v4, v36, 30
	v_alignbit_b32 v41, v37, v20, v41
	s_delay_alu instid0(VALU_DEP_1) | instskip(NEXT) | instid1(VALU_DEP_1)
	v_dual_cndmask_b32 v37, v41, v37, vcc_lo :: v_dual_bitop2_b32 v39, v39, v40 bitop3:0x14
	v_clz_i32_u32_e32 v41, v39
	s_delay_alu instid0(VALU_DEP_2) | instskip(NEXT) | instid1(VALU_DEP_2)
	v_alignbit_b32 v36, v36, v37, 30
	v_min_u32_e32 v41, 32, v41
	v_alignbit_b32 v20, v37, v20, 30
	s_delay_alu instid0(VALU_DEP_2) | instskip(NEXT) | instid1(VALU_DEP_2)
	v_dual_sub_nc_u32 v37, 31, v41 :: v_dual_bitop2_b32 v36, v36, v40 bitop3:0x14
	v_xor_b32_e32 v20, v20, v40
	v_dual_lshrrev_b32 v40, 29, v4 :: v_dual_lshlrev_b32 v42, 23, v41
	v_lshrrev_b32_e32 v4, 30, v4
	s_delay_alu instid0(VALU_DEP_4) | instskip(NEXT) | instid1(VALU_DEP_4)
	v_alignbit_b32 v39, v39, v36, v37
	v_alignbit_b32 v20, v36, v20, v37
	s_delay_alu instid0(VALU_DEP_4) | instskip(NEXT) | instid1(VALU_DEP_2)
	v_lshlrev_b32_e32 v36, 31, v40
	v_alignbit_b32 v37, v39, v20, 9
	s_delay_alu instid0(VALU_DEP_2) | instskip(SKIP_1) | instid1(VALU_DEP_3)
	v_dual_lshrrev_b32 v39, 9, v39 :: v_dual_bitop2_b32 v40, 0.5, v36 bitop3:0x54
	v_or_b32_e32 v36, 0x33000000, v36
	v_clz_i32_u32_e32 v43, v37
	s_delay_alu instid0(VALU_DEP_3) | instskip(NEXT) | instid1(VALU_DEP_2)
	v_sub_nc_u32_e32 v40, v40, v42
	v_min_u32_e32 v42, 32, v43
	s_delay_alu instid0(VALU_DEP_1) | instskip(NEXT) | instid1(VALU_DEP_3)
	v_add_lshl_u32 v41, v42, v41, 23
	v_or_b32_e32 v39, v39, v40
	v_not_b32_e32 v40, v42
	s_delay_alu instid0(VALU_DEP_2) | instskip(NEXT) | instid1(VALU_DEP_2)
	v_dual_mul_f32 v43, 0x3fc90fda, v39 :: v_dual_sub_nc_u32 v36, v36, v41
	v_alignbit_b32 v20, v37, v20, v40
	s_delay_alu instid0(VALU_DEP_2) | instskip(NEXT) | instid1(VALU_DEP_1)
	v_fma_f32 v37, 0x3fc90fda, v39, -v43
	v_dual_fmac_f32 v37, 0x33a22168, v39 :: v_dual_lshrrev_b32 v20, 9, v20
	s_delay_alu instid0(VALU_DEP_1) | instskip(NEXT) | instid1(VALU_DEP_1)
	v_or_b32_e32 v20, v36, v20
	v_fmac_f32_e32 v37, 0x3fc90fda, v20
	s_delay_alu instid0(VALU_DEP_1)
	v_dual_add_f32 v36, v43, v37 :: v_dual_add_nc_u32 v37, v38, v4
	s_and_not1_saveexec_b32 s6, s37
	s_cbranch_execnz .LBB162_161
	s_branch .LBB162_162
.LBB162_152:                            ;   in Loop: Header=BB162_4 Depth=1
	s_and_not1_saveexec_b32 s6, s37
.LBB162_153:                            ;   in Loop: Header=BB162_4 Depth=1
	v_fma_f32 v36, 0xbfc90fda, v38, |v33|
	v_cvt_i32_f32_e32 v37, v38
	s_delay_alu instid0(VALU_DEP_2) | instskip(NEXT) | instid1(VALU_DEP_1)
	v_fmac_f32_e32 v36, 0xb3a22168, v38
	v_fmac_f32_e32 v36, 0xa7c234c4, v38
.LBB162_154:                            ;   in Loop: Header=BB162_4 Depth=1
	s_or_b32 exec_lo, exec_lo, s6
	s_delay_alu instid0(VALU_DEP_1) | instskip(SKIP_1) | instid1(VALU_DEP_2)
	v_mul_f32_e32 v35, v36, v36
	v_dual_mul_f32 v4, v20, v20 :: v_dual_bitop2_b32 v38, 1, v34 bitop3:0x40
	v_dual_fmaak_f32 v41, s31, v35, 0x3c0881c4 :: v_dual_lshlrev_b32 v34, 30, v34
	s_delay_alu instid0(VALU_DEP_2) | instskip(NEXT) | instid1(VALU_DEP_2)
	v_cmp_eq_u32_e32 vcc_lo, 0, v38
	v_bitop3_b32 v18, v18, v34, 0x80000000 bitop3:0x78
	s_delay_alu instid0(VALU_DEP_3) | instskip(NEXT) | instid1(VALU_DEP_1)
	v_fmaak_f32 v41, v35, v41, 0xbe2aaa9d
	v_dual_fmaak_f32 v42, s33, v35, 0xbab64f3b :: v_dual_mul_f32 v41, v35, v41
	v_fmaak_f32 v39, s31, v4, 0x3c0881c4
	s_delay_alu instid0(VALU_DEP_2) | instskip(NEXT) | instid1(VALU_DEP_3)
	v_fmaak_f32 v42, v35, v42, 0x3d2aabf7
	v_fmac_f32_e32 v36, v36, v41
	s_delay_alu instid0(VALU_DEP_3) | instskip(SKIP_1) | instid1(VALU_DEP_2)
	v_fmaak_f32 v39, v4, v39, 0xbe2aaa9d
	v_fmaak_f32 v40, s33, v4, 0xbab64f3b
	v_dual_fmaak_f32 v42, v35, v42, 0xbf000004 :: v_dual_mul_f32 v39, v4, v39
	s_delay_alu instid0(VALU_DEP_2) | instskip(NEXT) | instid1(VALU_DEP_2)
	v_fmaak_f32 v40, v4, v40, 0x3d2aabf7
	v_fma_f32 v35, v35, v42, 1.0
	v_dual_lshlrev_b32 v37, 30, v37 :: v_dual_bitop2_b32 v43, 1, v37 bitop3:0x40
	s_delay_alu instid0(VALU_DEP_4) | instskip(NEXT) | instid1(VALU_DEP_4)
	v_fmac_f32_e32 v20, v20, v39
	v_fmaak_f32 v40, v4, v40, 0xbf000004
	s_delay_alu instid0(VALU_DEP_1) | instskip(NEXT) | instid1(VALU_DEP_1)
	v_fma_f32 v4, v4, v40, 1.0
	v_cndmask_b32_e32 v4, v4, v20, vcc_lo
	v_cmp_eq_u32_e32 vcc_lo, 0, v43
	s_delay_alu instid0(VALU_DEP_2) | instskip(SKIP_2) | instid1(VALU_DEP_2)
	v_xor3_b32 v4, v18, v4, v33
	v_cndmask_b32_e64 v20, -v36, v35, vcc_lo
	v_cmp_class_f32_e64 vcc_lo, v33, 0x1f8
	v_bitop3_b32 v18, v37, v20, 0x80000000 bitop3:0x6c
	s_delay_alu instid0(VALU_DEP_1) | instskip(NEXT) | instid1(VALU_DEP_1)
	v_mul_f32_e32 v4, v4, v18
	v_cndmask_b32_e32 v33, 0x7fc00000, v4, vcc_lo
.LBB162_155:                            ;   in Loop: Header=BB162_4 Depth=1
	s_or_b32 exec_lo, exec_lo, s36
	v_add_nc_u32_e32 v32, -2.0, v32
	s_delay_alu instid0(VALU_DEP_2)
	v_bfi_b32 v33, 0x7fffffff, 0, v33
.LBB162_156:                            ;   in Loop: Header=BB162_4 Depth=1
	s_or_b32 exec_lo, exec_lo, s35
	s_delay_alu instid0(SALU_CYCLE_1) | instskip(SKIP_1) | instid1(SALU_CYCLE_1)
	s_or_b32 exec_lo, exec_lo, s34
	s_and_saveexec_b32 s6, s2
	s_xor_b32 s2, exec_lo, s6
	s_cbranch_execnz .LBB162_168
.LBB162_157:                            ;   in Loop: Header=BB162_4 Depth=1
	s_or_b32 exec_lo, exec_lo, s2
	s_and_saveexec_b32 s2, s3
	s_cbranch_execz .LBB162_169
.LBB162_158:                            ;   in Loop: Header=BB162_4 Depth=1
	global_store_b64 v[16:17], v[30:31], off
	s_wait_xcnt 0x0
	s_or_b32 exec_lo, exec_lo, s2
	s_and_saveexec_b32 s2, s4
	s_cbranch_execnz .LBB162_170
.LBB162_159:                            ;   in Loop: Header=BB162_4 Depth=1
	s_or_b32 exec_lo, exec_lo, s2
	s_and_saveexec_b32 s2, s5
	s_cbranch_execz .LBB162_3
	s_branch .LBB162_171
.LBB162_160:                            ;   in Loop: Header=BB162_4 Depth=1
	s_and_not1_saveexec_b32 s6, s37
.LBB162_161:                            ;   in Loop: Header=BB162_4 Depth=1
	v_mul_f32_e64 v4, 0x3f22f983, |v33|
	s_delay_alu instid0(VALU_DEP_1) | instskip(NEXT) | instid1(VALU_DEP_1)
	v_rndne_f32_e32 v4, v4
	v_fma_f32 v36, 0xbfc90fda, v4, |v33|
	v_cvt_i32_f32_e32 v37, v4
	s_delay_alu instid0(VALU_DEP_2) | instskip(NEXT) | instid1(VALU_DEP_1)
	v_fmac_f32_e32 v36, 0xb3a22168, v4
	v_fmac_f32_e32 v36, 0xa7c234c4, v4
.LBB162_162:                            ;   in Loop: Header=BB162_4 Depth=1
	s_or_b32 exec_lo, exec_lo, s6
	v_dual_mul_f32 v4, v18, v18 :: v_dual_bitop2_b32 v20, 1, v35 bitop3:0x40
	v_lshlrev_b32_e32 v35, 30, v35
	v_mul_f32_e64 v38, 0xbfb8aa3b, |v32|
	s_delay_alu instid0(VALU_DEP_3) | instskip(NEXT) | instid1(VALU_DEP_4)
	v_fmaak_f32 v40, s33, v4, 0xbab64f3b
	v_cmp_eq_u32_e32 vcc_lo, 0, v20
	s_delay_alu instid0(VALU_DEP_4) | instskip(NEXT) | instid1(VALU_DEP_4)
	v_bitop3_b32 v34, v34, v35, 0x80000000 bitop3:0x78
	v_rndne_f32_e32 v35, v38
	v_fma_f32 v42, 0xbfb8aa3b, |v32|, -v38
	s_delay_alu instid0(VALU_DEP_2) | instskip(NEXT) | instid1(VALU_DEP_2)
	v_dual_fmaak_f32 v39, s31, v4, 0x3c0881c4 :: v_dual_sub_f32 v38, v38, v35
	v_fma_f32 v42, 0xb2a5705f, |v32|, v42
	s_delay_alu instid0(VALU_DEP_2) | instskip(SKIP_1) | instid1(VALU_DEP_3)
	v_fmaak_f32 v39, v4, v39, 0xbe2aaa9d
	v_cvt_i32_f32_e32 v35, v35
	v_add_f32_e32 v38, v38, v42
	s_delay_alu instid0(VALU_DEP_3) | instskip(SKIP_1) | instid1(VALU_DEP_3)
	v_dual_fmaak_f32 v40, v4, v40, 0x3d2aabf7 :: v_dual_mul_f32 v39, v4, v39
	v_mul_f32_e32 v41, v36, v36
	v_exp_f32_e32 v20, v38
	s_delay_alu instid0(VALU_DEP_2) | instskip(NEXT) | instid1(VALU_DEP_2)
	v_fmaak_f32 v40, v4, v40, 0xbf000004
	v_dual_fmac_f32 v18, v18, v39 :: v_dual_fmaak_f32 v43, s31, v41, 0x3c0881c4
	v_fmaak_f32 v44, s33, v41, 0xbab64f3b
	s_delay_alu instid0(VALU_DEP_3) | instskip(NEXT) | instid1(TRANS32_DEP_1)
	v_fma_f32 v4, v4, v40, 1.0
	v_ldexp_f32 v20, v20, v35
	s_delay_alu instid0(VALU_DEP_2) | instskip(NEXT) | instid1(VALU_DEP_1)
	v_dual_fmaak_f32 v43, v41, v43, 0xbe2aaa9d :: v_dual_cndmask_b32 v4, v4, v18
	v_dual_fmaak_f32 v39, v41, v44, 0x3d2aabf7 :: v_dual_mul_f32 v40, v41, v43
	s_delay_alu instid0(VALU_DEP_2) | instskip(NEXT) | instid1(VALU_DEP_2)
	v_xor3_b32 v4, v34, v4, v33
	v_fmaak_f32 v18, v41, v39, 0xbf000004
	s_delay_alu instid0(VALU_DEP_3) | instskip(NEXT) | instid1(VALU_DEP_3)
	v_dual_fmac_f32 v36, v36, v40 :: v_dual_lshlrev_b32 v33, 30, v37
	v_mul_f32_e32 v4, 4.0, v4
	s_delay_alu instid0(VALU_DEP_3) | instskip(SKIP_1) | instid1(VALU_DEP_1)
	v_fma_f32 v18, v41, v18, 1.0
	v_and_b32_e32 v38, 1, v37
	v_cmp_eq_u32_e32 vcc_lo, 0, v38
	s_delay_alu instid0(VALU_DEP_3) | instskip(SKIP_1) | instid1(VALU_DEP_2)
	v_cndmask_b32_e64 v18, -v36, v18, vcc_lo
	v_cmp_nlt_f32_e64 vcc_lo, 0x42ce8ed0, |v32|
	v_bitop3_b32 v18, v33, v18, 0x80000000 bitop3:0x6c
	v_cndmask_b32_e32 v20, 0, v20, vcc_lo
	v_cmp_ngt_f32_e64 vcc_lo, 0xc2b17218, |v32|
	v_bfi_b32 v32, 0x7fffffff, 1.0, v32
	s_delay_alu instid0(VALU_DEP_4) | instskip(NEXT) | instid1(VALU_DEP_4)
	v_mul_f32_e32 v4, v4, v18
	v_cndmask_b32_e32 v20, 0x7f800000, v20, vcc_lo
	s_delay_alu instid0(VALU_DEP_1) | instskip(NEXT) | instid1(VALU_DEP_1)
	v_mul_f32_e32 v4, v20, v4
	v_mul_f32_e32 v33, v20, v4
.LBB162_163:                            ;   in Loop: Header=BB162_4 Depth=1
	s_or_b32 exec_lo, exec_lo, s36
.LBB162_164:                            ;   in Loop: Header=BB162_4 Depth=1
	s_and_not1_saveexec_b32 s6, s35
; %bb.165:                              ;   in Loop: Header=BB162_4 Depth=1
	s_delay_alu instid0(VALU_DEP_1) | instskip(NEXT) | instid1(VALU_DEP_1)
	v_sub_f32_e32 v33, v33, v33
	v_mov_b32_e32 v32, v33
; %bb.166:                              ;   in Loop: Header=BB162_4 Depth=1
	s_or_b32 exec_lo, exec_lo, s6
	s_and_not1_saveexec_b32 s34, s34
	s_cbranch_execnz .LBB162_138
.LBB162_167:                            ;   in Loop: Header=BB162_4 Depth=1
	s_or_b32 exec_lo, exec_lo, s34
	s_and_saveexec_b32 s6, s2
	s_delay_alu instid0(SALU_CYCLE_1)
	s_xor_b32 s2, exec_lo, s6
	s_cbranch_execz .LBB162_157
.LBB162_168:                            ;   in Loop: Header=BB162_4 Depth=1
	global_store_b64 v[10:11], v[28:29], off
	s_wait_xcnt 0x0
	s_or_b32 exec_lo, exec_lo, s2
	s_and_saveexec_b32 s2, s3
	s_cbranch_execnz .LBB162_158
.LBB162_169:                            ;   in Loop: Header=BB162_4 Depth=1
	s_or_b32 exec_lo, exec_lo, s2
	s_and_saveexec_b32 s2, s4
	s_cbranch_execz .LBB162_159
.LBB162_170:                            ;   in Loop: Header=BB162_4 Depth=1
	global_store_b64 v[22:23], v[26:27], off
	s_wait_xcnt 0x0
	s_or_b32 exec_lo, exec_lo, s2
	s_and_saveexec_b32 s2, s5
	s_cbranch_execz .LBB162_3
.LBB162_171:                            ;   in Loop: Header=BB162_4 Depth=1
	global_store_b64 v[24:25], v[32:33], off
	s_branch .LBB162_3
.LBB162_172:
	s_cbranch_execz .LBB162_174
	s_branch .LBB162_329
.LBB162_173:
.LBB162_174:
	v_min_i64 v[14:15], 0x10000, s[12:13]
	v_dual_mov_b32 v17, 0 :: v_dual_lshlrev_b32 v16, 2, v0
	s_mov_b32 s2, exec_lo
	s_delay_alu instid0(VALU_DEP_1)
	v_cmpx_lt_i64_e64 v[16:17], v[14:15]
	s_cbranch_execz .LBB162_329
; %bb.175:
	s_load_b32 s2, s[0:1], 0xd3c
	v_dual_mov_b32 v1, v17 :: v_dual_lshlrev_b32 v16, 5, v0
	s_wait_xcnt 0x0
	s_add_nc_u64 s[0:1], s[8:9], s[10:11]
	v_mov_b32_e32 v19, 0x3f317218
	v_mov_b32_e32 v23, -1.0
	s_mov_b32 s3, 0
	v_add_nc_u64_e32 v[20:21], s[0:1], v[16:17]
	s_mov_b32 s6, 0x7fffff
	s_mov_b64 s[4:5], 0xfe5163ab
	s_mov_b32 s10, 0xbc8cedd3
	s_mov_b32 s11, 0x3c971480
	s_mov_b32 s12, 0x3ab42872
	s_mov_b32 s7, -1.0
	s_mov_b32 s13, 0xb94c1982
	s_mov_b32 s14, 0x37d75334
	;; [unrolled: 1-line block ×4, first 2 shown]
	s_wait_kmcnt 0x0
	s_and_b32 s2, s2, 0xffff
	s_delay_alu instid0(SALU_CYCLE_1)
	s_lshl_b32 s8, s2, 5
	s_branch .LBB162_180
.LBB162_176:                            ;   in Loop: Header=BB162_180 Depth=1
	s_or_b32 exec_lo, exec_lo, s0
	s_delay_alu instid0(VALU_DEP_1) | instskip(SKIP_2) | instid1(VALU_DEP_3)
	v_dual_mul_f32 v13, v3, v3 :: v_dual_mul_f32 v16, v18, v18
	v_and_b32_e32 v29, 1, v22
	v_dual_lshlrev_b32 v12, 30, v12 :: v_dual_bitop2_b32 v24, 1, v12 bitop3:0x40
	v_dual_fmaak_f32 v25, s13, v13, 0x3c0881c4 :: v_dual_lshlrev_b32 v22, 30, v22
	s_delay_alu instid0(VALU_DEP_4) | instskip(NEXT) | instid1(VALU_DEP_3)
	v_fmaak_f32 v27, s13, v16, 0x3c0881c4
	v_cmp_eq_u32_e32 vcc_lo, 0, v24
	s_delay_alu instid0(VALU_DEP_4) | instskip(NEXT) | instid1(VALU_DEP_3)
	v_bitop3_b32 v2, v2, v12, 0x80000000 bitop3:0x78
	v_fmaak_f32 v27, v16, v27, 0xbe2aaa9d
	s_delay_alu instid0(VALU_DEP_1) | instskip(NEXT) | instid1(VALU_DEP_1)
	v_dual_fmaak_f32 v26, s14, v13, 0xbab64f3b :: v_dual_mul_f32 v27, v16, v27
	v_dual_fmaak_f32 v25, v13, v25, 0xbe2aaa9d :: v_dual_fmac_f32 v18, v18, v27
	s_delay_alu instid0(VALU_DEP_1) | instskip(NEXT) | instid1(VALU_DEP_1)
	v_dual_fmaak_f32 v28, s14, v16, 0xbab64f3b :: v_dual_mul_f32 v25, v13, v25
	v_dual_fmaak_f32 v26, v13, v26, 0x3d2aabf7 :: v_dual_fmac_f32 v3, v3, v25
	s_delay_alu instid0(VALU_DEP_1) | instskip(NEXT) | instid1(VALU_DEP_1)
	v_fmaak_f32 v26, v13, v26, 0xbf000004
	v_fma_f32 v13, v13, v26, 1.0
	s_delay_alu instid0(VALU_DEP_1) | instskip(NEXT) | instid1(VALU_DEP_1)
	v_dual_fmaak_f32 v28, v16, v28, 0x3d2aabf7 :: v_dual_cndmask_b32 v3, v13, v3
	v_fmaak_f32 v28, v16, v28, 0xbf000004
	v_cmp_eq_u32_e32 vcc_lo, 0, v29
	s_delay_alu instid0(VALU_DEP_3) | instskip(NEXT) | instid1(VALU_DEP_3)
	v_xor3_b32 v2, v2, v3, v5
	v_fma_f32 v16, v16, v28, 1.0
	s_delay_alu instid0(VALU_DEP_1) | instskip(SKIP_1) | instid1(VALU_DEP_2)
	v_cndmask_b32_e64 v12, -v18, v16, vcc_lo
	v_cmp_class_f32_e64 vcc_lo, v5, 0x1f8
	v_bitop3_b32 v3, v22, v12, 0x80000000 bitop3:0x6c
	s_delay_alu instid0(VALU_DEP_1) | instskip(NEXT) | instid1(VALU_DEP_1)
	v_mul_f32_e32 v2, v2, v3
	v_cndmask_b32_e32 v5, 0x7fc00000, v2, vcc_lo
.LBB162_177:                            ;   in Loop: Header=BB162_180 Depth=1
	s_or_b32 exec_lo, exec_lo, s18
	v_add_nc_u32_e32 v4, -2.0, v4
	s_delay_alu instid0(VALU_DEP_2)
	v_bfi_b32 v13, 0x7fffffff, 0, v5
.LBB162_178:                            ;   in Loop: Header=BB162_180 Depth=1
	s_or_b32 exec_lo, exec_lo, s17
	s_delay_alu instid0(VALU_DEP_2)
	v_mov_b32_e32 v12, v4
.LBB162_179:                            ;   in Loop: Header=BB162_180 Depth=1
	s_or_b32 exec_lo, exec_lo, s16
	v_add_nc_u64_e32 v[0:1], s[2:3], v[0:1]
	s_clause 0x1
	global_store_b128 v[20:21], v[6:9], off
	global_store_b128 v[20:21], v[10:13], off offset:16
	s_wait_xcnt 0x0
	v_add_nc_u64_e32 v[20:21], s[8:9], v[20:21]
	v_lshlrev_b64_e32 v[2:3], 2, v[0:1]
	s_delay_alu instid0(VALU_DEP_1) | instskip(SKIP_1) | instid1(SALU_CYCLE_1)
	v_cmp_ge_i64_e32 vcc_lo, v[2:3], v[14:15]
	s_or_b32 s15, vcc_lo, s15
	s_and_not1_b32 exec_lo, exec_lo, s15
	s_cbranch_execz .LBB162_329
.LBB162_180:                            ; =>This Inner Loop Header: Depth=1
	s_clause 0x1
	global_load_b128 v[10:13], v[20:21], off
	global_load_b128 v[2:5], v[20:21], off offset:16
                                        ; implicit-def: $vgpr7
	s_mov_b32 s0, exec_lo
	s_wait_loadcnt 0x1
	v_and_b32_e32 v18, 0x7fffffff, v10
	s_wait_xcnt 0x0
	s_delay_alu instid0(VALU_DEP_1)
	v_cmpx_gt_u32_e32 0x7f800000, v18
	s_xor_b32 s16, exec_lo, s0
	s_cbranch_execz .LBB162_202
; %bb.181:                              ;   in Loop: Header=BB162_180 Depth=1
	v_cmp_class_f32_e64 s0, v11, 0x1f8
                                        ; implicit-def: $vgpr7
	s_and_saveexec_b32 s1, s0
	s_delay_alu instid0(SALU_CYCLE_1)
	s_xor_b32 s17, exec_lo, s1
	s_cbranch_execz .LBB162_199
; %bb.182:                              ;   in Loop: Header=BB162_180 Depth=1
	v_and_b32_e32 v8, 0x7fffffff, v11
                                        ; implicit-def: $vgpr7
	s_mov_b32 s0, exec_lo
	v_cmpx_gt_u32_e32 0x41300000, v18
	s_xor_b32 s18, exec_lo, s0
	s_cbranch_execz .LBB162_188
; %bb.183:                              ;   in Loop: Header=BB162_180 Depth=1
                                        ; implicit-def: $vgpr6
                                        ; implicit-def: $vgpr7
	s_mov_b32 s1, exec_lo
	v_cmpx_ngt_f32_e64 0x48000000, |v11|
	s_xor_b32 s19, exec_lo, s1
	s_cbranch_execz .LBB162_185
; %bb.184:                              ;   in Loop: Header=BB162_180 Depth=1
	v_and_or_b32 v16, v8, s6, 0x800000
	v_mov_b32_e32 v33, v17
	s_delay_alu instid0(VALU_DEP_2) | instskip(NEXT) | instid1(VALU_DEP_1)
	v_mul_u64_e32 v[6:7], s[4:5], v[16:17]
	v_dual_mov_b32 v25, v17 :: v_dual_mov_b32 v24, v7
	v_lshrrev_b32_e32 v7, 23, v8
	s_delay_alu instid0(VALU_DEP_2) | instskip(SKIP_1) | instid1(VALU_DEP_3)
	v_mad_nc_u64_u32 v[24:25], 0x3c439041, v16, v[24:25]
	v_mov_b32_e32 v27, v17
	v_add_nc_u32_e32 v7, 0xffffff88, v7
	s_delay_alu instid0(VALU_DEP_1) | instskip(NEXT) | instid1(VALU_DEP_4)
	v_cmp_lt_u32_e32 vcc_lo, 63, v7
	v_mov_b32_e32 v26, v25
	v_cndmask_b32_e64 v9, 0, 0xffffffc0, vcc_lo
	s_delay_alu instid0(VALU_DEP_2) | instskip(NEXT) | instid1(VALU_DEP_1)
	v_mad_nc_u64_u32 v[26:27], 0xdb629599, v16, v[26:27]
	v_dual_mov_b32 v29, v17 :: v_dual_mov_b32 v28, v27
	s_delay_alu instid0(VALU_DEP_2) | instskip(NEXT) | instid1(VALU_DEP_2)
	v_cndmask_b32_e32 v6, v26, v6, vcc_lo
	v_mad_nc_u64_u32 v[28:29], 0xf534ddc0, v16, v[28:29]
	s_delay_alu instid0(VALU_DEP_1) | instskip(NEXT) | instid1(VALU_DEP_1)
	v_dual_mov_b32 v31, v17 :: v_dual_mov_b32 v30, v29
	v_mad_nc_u64_u32 v[30:31], 0xfc2757d1, v16, v[30:31]
	s_delay_alu instid0(VALU_DEP_1) | instskip(NEXT) | instid1(VALU_DEP_1)
	v_dual_mov_b32 v32, v31 :: v_dual_cndmask_b32 v27, v30, v26
	v_mad_nc_u64_u32 v[32:33], 0x4e441529, v16, v[32:33]
	v_add_nc_u32_e32 v7, v9, v7
	s_delay_alu instid0(VALU_DEP_2) | instskip(NEXT) | instid1(VALU_DEP_1)
	v_dual_mov_b32 v35, v17 :: v_dual_mov_b32 v34, v33
	v_mad_nc_u64_u32 v[34:35], 0xa2f9836e, v16, v[34:35]
	s_delay_alu instid0(VALU_DEP_4) | instskip(NEXT) | instid1(VALU_DEP_4)
	v_cndmask_b32_e32 v16, v32, v28, vcc_lo
	v_cmp_lt_u32_e64 s0, 31, v7
	s_delay_alu instid0(VALU_DEP_1) | instskip(NEXT) | instid1(VALU_DEP_1)
	v_cndmask_b32_e64 v9, 0, 0xffffffe0, s0
	v_dual_cndmask_b32 v22, v34, v30 :: v_dual_add_nc_u32 v7, v9, v7
	v_cndmask_b32_e32 v25, v35, v32, vcc_lo
	s_delay_alu instid0(VALU_DEP_2) | instskip(NEXT) | instid1(VALU_DEP_1)
	v_cmp_lt_u32_e64 s1, 31, v7
	v_cndmask_b32_e64 v9, 0, 0xffffffe0, s1
	s_delay_alu instid0(VALU_DEP_1) | instskip(NEXT) | instid1(VALU_DEP_4)
	v_dual_add_nc_u32 v7, v9, v7 :: v_dual_cndmask_b32 v9, v28, v24, vcc_lo
	v_dual_cndmask_b32 v24, v22, v16, s0 :: v_dual_cndmask_b32 v22, v25, v22, s0
	v_cndmask_b32_e64 v16, v16, v27, s0
	s_delay_alu instid0(VALU_DEP_3) | instskip(SKIP_1) | instid1(VALU_DEP_4)
	v_dual_sub_nc_u32 v25, 32, v7 :: v_dual_cndmask_b32 v27, v27, v9, s0
	v_cmp_eq_u32_e32 vcc_lo, 0, v7
	v_cndmask_b32_e64 v22, v22, v24, s1
	s_delay_alu instid0(VALU_DEP_4) | instskip(NEXT) | instid1(VALU_DEP_4)
	v_dual_cndmask_b32 v24, v24, v16, s1 :: v_dual_cndmask_b32 v6, v9, v6, s0
	v_cndmask_b32_e64 v16, v16, v27, s1
	s_delay_alu instid0(VALU_DEP_2) | instskip(NEXT) | instid1(VALU_DEP_3)
	v_alignbit_b32 v28, v22, v24, v25
	v_cndmask_b32_e64 v6, v27, v6, s1
	s_delay_alu instid0(VALU_DEP_3) | instskip(NEXT) | instid1(VALU_DEP_3)
	v_alignbit_b32 v26, v24, v16, v25
	v_cndmask_b32_e32 v7, v28, v22, vcc_lo
	s_delay_alu instid0(VALU_DEP_3) | instskip(NEXT) | instid1(VALU_DEP_3)
	v_alignbit_b32 v25, v16, v6, v25
	v_cndmask_b32_e32 v9, v26, v24, vcc_lo
	s_delay_alu instid0(VALU_DEP_3) | instskip(NEXT) | instid1(VALU_DEP_3)
	v_bfe_u32 v22, v7, 29, 1
	v_cndmask_b32_e32 v16, v25, v16, vcc_lo
	s_delay_alu instid0(VALU_DEP_3) | instskip(NEXT) | instid1(VALU_DEP_3)
	v_alignbit_b32 v24, v7, v9, 30
	v_sub_nc_u32_e32 v26, 0, v22
	s_delay_alu instid0(VALU_DEP_3) | instskip(SKIP_1) | instid1(VALU_DEP_3)
	v_alignbit_b32 v9, v9, v16, 30
	v_alignbit_b32 v6, v16, v6, 30
	v_xor_b32_e32 v24, v24, v26
	s_delay_alu instid0(VALU_DEP_1) | instskip(NEXT) | instid1(VALU_DEP_1)
	v_clz_i32_u32_e32 v25, v24
	v_min_u32_e32 v25, 32, v25
	s_delay_alu instid0(VALU_DEP_1) | instskip(SKIP_2) | instid1(VALU_DEP_3)
	v_dual_sub_nc_u32 v16, 31, v25 :: v_dual_bitop2_b32 v9, v9, v26 bitop3:0x14
	v_dual_lshlrev_b32 v27, 23, v25 :: v_dual_bitop2_b32 v6, v6, v26 bitop3:0x14
	v_lshrrev_b32_e32 v26, 29, v7
	v_alignbit_b32 v24, v24, v9, v16
	s_delay_alu instid0(VALU_DEP_3) | instskip(NEXT) | instid1(VALU_DEP_3)
	v_alignbit_b32 v6, v9, v6, v16
	v_lshlrev_b32_e32 v9, 31, v26
	s_delay_alu instid0(VALU_DEP_2) | instskip(NEXT) | instid1(VALU_DEP_2)
	v_alignbit_b32 v16, v24, v6, 9
	v_dual_lshrrev_b32 v24, 9, v24 :: v_dual_bitop2_b32 v26, 0.5, v9 bitop3:0x54
	v_or_b32_e32 v9, 0x33000000, v9
	s_delay_alu instid0(VALU_DEP_3) | instskip(NEXT) | instid1(VALU_DEP_3)
	v_clz_i32_u32_e32 v28, v16
	v_sub_nc_u32_e32 v26, v26, v27
	s_delay_alu instid0(VALU_DEP_2) | instskip(NEXT) | instid1(VALU_DEP_1)
	v_min_u32_e32 v27, 32, v28
	v_add_lshl_u32 v25, v27, v25, 23
	s_delay_alu instid0(VALU_DEP_1) | instskip(SKIP_1) | instid1(VALU_DEP_2)
	v_dual_sub_nc_u32 v9, v9, v25 :: v_dual_bitop2_b32 v24, v24, v26 bitop3:0x54
	v_not_b32_e32 v26, v27
	v_mul_f32_e32 v28, 0x3fc90fda, v24
	s_delay_alu instid0(VALU_DEP_2) | instskip(NEXT) | instid1(VALU_DEP_2)
	v_alignbit_b32 v6, v16, v6, v26
	v_fma_f32 v16, 0x3fc90fda, v24, -v28
	s_delay_alu instid0(VALU_DEP_2) | instskip(NEXT) | instid1(VALU_DEP_2)
	v_lshrrev_b32_e32 v6, 9, v6
	v_fmac_f32_e32 v16, 0x33a22168, v24
	s_delay_alu instid0(VALU_DEP_2) | instskip(NEXT) | instid1(VALU_DEP_1)
	v_or_b32_e32 v6, v9, v6
	v_fmac_f32_e32 v16, 0x3fc90fda, v6
	s_delay_alu instid0(VALU_DEP_1) | instskip(NEXT) | instid1(VALU_DEP_1)
	v_dual_add_f32 v7, v28, v16 :: v_dual_lshrrev_b32 v6, 30, v7
	v_add_nc_u32_e32 v6, v22, v6
.LBB162_185:                            ;   in Loop: Header=BB162_180 Depth=1
	s_and_not1_saveexec_b32 s0, s19
; %bb.186:                              ;   in Loop: Header=BB162_180 Depth=1
	v_mul_f32_e64 v6, 0x3f22f983, |v11|
	s_delay_alu instid0(VALU_DEP_1) | instskip(NEXT) | instid1(VALU_DEP_1)
	v_rndne_f32_e32 v6, v6
	v_fma_f32 v7, 0xbfc90fda, v6, |v11|
	s_delay_alu instid0(VALU_DEP_1) | instskip(NEXT) | instid1(VALU_DEP_1)
	v_fmac_f32_e32 v7, 0xb3a22168, v6
	v_fmac_f32_e32 v7, 0xa7c234c4, v6
	v_cvt_i32_f32_e32 v6, v6
; %bb.187:                              ;   in Loop: Header=BB162_180 Depth=1
	s_or_b32 exec_lo, exec_lo, s0
	v_add_f32_e64 v9, 0xbf317218, |v10|
	v_cmp_nlt_f32_e64 vcc_lo, 0x42b2d4fc, |v10|
	v_cmp_gt_f32_e64 s0, 0x39800000, |v10|
	s_delay_alu instid0(VALU_DEP_3) | instskip(NEXT) | instid1(VALU_DEP_1)
	v_sub_f32_e64 v25, v9, |v10|
	v_sub_f32_e32 v24, v25, v9
	s_delay_alu instid0(VALU_DEP_1) | instskip(NEXT) | instid1(VALU_DEP_1)
	v_pk_add_f32 v[24:25], v[18:19], v[24:25]
	v_sub_f32_e32 v16, v24, v25
	s_delay_alu instid0(VALU_DEP_1) | instskip(NEXT) | instid1(VALU_DEP_1)
	v_add_f32_e32 v16, 0x3102e308, v16
	v_add_f32_e32 v18, v9, v16
	s_delay_alu instid0(VALU_DEP_1) | instskip(NEXT) | instid1(VALU_DEP_1)
	v_dual_mul_f32 v22, 0x3fb8aa3b, v18 :: v_dual_sub_f32 v9, v9, v18
	v_rndne_f32_e32 v32, v22
	s_delay_alu instid0(VALU_DEP_1) | instskip(SKIP_1) | instid1(VALU_DEP_2)
	v_dual_add_f32 v9, v16, v9 :: v_dual_fmac_f32 v18, 0xbf317200, v32
	v_mul_f32_e32 v16, 0x35bfbc00, v32
	v_dual_mul_f32 v27, 0x2ea39ef3, v32 :: v_dual_add_f32 v22, v9, v18
	s_delay_alu instid0(VALU_DEP_1) | instskip(SKIP_1) | instid1(VALU_DEP_1)
	v_sub_f32_e32 v24, v22, v16
	v_sub_f32_e32 v18, v18, v22
	v_dual_sub_f32 v22, v22, v24 :: v_dual_add_f32 v9, v9, v18
	s_delay_alu instid0(VALU_DEP_1) | instskip(NEXT) | instid1(VALU_DEP_1)
	v_sub_f32_e32 v16, v22, v16
	v_add_f32_e32 v9, v9, v16
	s_delay_alu instid0(VALU_DEP_1) | instskip(NEXT) | instid1(VALU_DEP_1)
	v_add_f32_e32 v25, v24, v9
	v_mov_b32_e32 v26, v25
	s_delay_alu instid0(VALU_DEP_1) | instskip(NEXT) | instid1(VALU_DEP_1)
	v_pk_add_f32 v[28:29], v[24:25], v[26:27] neg_lo:[0,1] neg_hi:[0,1]
	v_sub_f32_e32 v16, v25, v29
	s_delay_alu instid0(VALU_DEP_1) | instskip(NEXT) | instid1(VALU_DEP_1)
	v_dual_add_f32 v9, v9, v28 :: v_dual_sub_f32 v16, v16, v27
	v_add_f32_e32 v9, v9, v16
	s_delay_alu instid0(VALU_DEP_1) | instskip(NEXT) | instid1(VALU_DEP_1)
	v_add_f32_e32 v16, v29, v9
	v_dual_mul_f32 v22, v16, v16 :: v_dual_sub_f32 v18, v29, v16
	v_mov_b64_e32 v[28:29], s[6:7]
	s_delay_alu instid0(VALU_DEP_2) | instskip(NEXT) | instid1(VALU_DEP_1)
	v_dual_fma_f32 v24, v16, v16, -v22 :: v_dual_add_f32 v9, v9, v18
	v_add_f32_e32 v25, v9, v9
	s_delay_alu instid0(VALU_DEP_1) | instskip(NEXT) | instid1(VALU_DEP_1)
	v_fmac_f32_e32 v24, v16, v25
	v_add_f32_e32 v25, v22, v24
	v_fmaak_f32 v18, s12, v16, 0x3c091de6
	s_delay_alu instid0(VALU_DEP_2) | instskip(NEXT) | instid1(VALU_DEP_2)
	v_sub_f32_e32 v22, v25, v22
	v_fmaak_f32 v18, v16, v18, 0x3d2aadcc
	s_delay_alu instid0(VALU_DEP_2) | instskip(NEXT) | instid1(VALU_DEP_2)
	v_sub_f32_e32 v22, v24, v22
	v_fmaak_f32 v18, v16, v18, 0x3e2aaa47
	s_delay_alu instid0(VALU_DEP_1) | instskip(NEXT) | instid1(VALU_DEP_1)
	v_fmaak_f32 v18, v16, v18, 0x3efffffc
	v_mul_f32_e32 v26, v18, v25
	s_delay_alu instid0(VALU_DEP_1) | instskip(NEXT) | instid1(VALU_DEP_1)
	v_fma_f32 v24, v25, v18, -v26
	v_fmac_f32_e32 v24, v22, v18
	s_delay_alu instid0(VALU_DEP_1) | instskip(NEXT) | instid1(VALU_DEP_1)
	v_add_f32_e32 v18, v26, v24
	v_add_f32_e32 v22, v16, v18
	s_delay_alu instid0(VALU_DEP_1) | instskip(SKIP_1) | instid1(VALU_DEP_1)
	v_sub_f32_e32 v16, v22, v16
	v_sub_f32_e32 v25, v18, v26
	v_dual_sub_f32 v24, v24, v25 :: v_dual_sub_f32 v16, v18, v16
	s_delay_alu instid0(VALU_DEP_1) | instskip(NEXT) | instid1(VALU_DEP_1)
	v_add_f32_e32 v9, v9, v24
	v_add_f32_e32 v24, v9, v16
	v_cvt_i32_f32_e32 v16, v32
	s_delay_alu instid0(VALU_DEP_2) | instskip(NEXT) | instid1(VALU_DEP_1)
	v_add_f32_e32 v26, v22, v24
	v_dual_add_f32 v27, 1.0, v26 :: v_dual_mov_b32 v25, v26
	s_delay_alu instid0(VALU_DEP_1) | instskip(SKIP_1) | instid1(VALU_DEP_2)
	v_pk_add_f32 v[28:29], v[26:27], v[28:29]
	v_pk_add_f32 v[30:31], v[26:27], v[22:23] neg_lo:[0,1] neg_hi:[0,1]
	v_mov_b32_e32 v31, v29
	s_delay_alu instid0(VALU_DEP_1) | instskip(NEXT) | instid1(VALU_DEP_1)
	v_pk_add_f32 v[24:25], v[24:25], v[30:31] neg_lo:[0,1] neg_hi:[0,1]
	v_add_f32_e32 v9, v24, v25
	s_delay_alu instid0(VALU_DEP_1) | instskip(NEXT) | instid1(VALU_DEP_1)
	v_add_f32_e32 v18, v27, v9
	v_ldexp_f32 v22, v18, v16
	s_delay_alu instid0(VALU_DEP_1)
	v_rcp_f32_e32 v24, v22
	v_sub_f32_e32 v18, v18, v27
	s_delay_alu instid0(TRANS32_DEP_1) | instid1(VALU_DEP_1)
	v_dual_sub_f32 v9, v9, v18 :: v_dual_mul_f32 v18, v22, v24
	s_delay_alu instid0(VALU_DEP_1) | instskip(NEXT) | instid1(VALU_DEP_2)
	v_ldexp_f32 v9, v9, v16
	v_fma_f32 v16, v24, v22, -v18
	s_delay_alu instid0(VALU_DEP_1) | instskip(NEXT) | instid1(VALU_DEP_1)
	v_fmac_f32_e32 v16, v24, v9
	v_add_f32_e32 v25, v18, v16
	s_delay_alu instid0(VALU_DEP_1) | instskip(NEXT) | instid1(VALU_DEP_1)
	v_sub_f32_e32 v26, 1.0, v25
	v_sub_f32_e32 v27, 1.0, v26
	v_sub_f32_e32 v18, v25, v18
	s_delay_alu instid0(VALU_DEP_1) | instskip(NEXT) | instid1(VALU_DEP_1)
	v_dual_sub_f32 v16, v18, v16 :: v_dual_sub_f32 v18, v27, v25
	v_add_f32_e32 v16, v16, v18
	s_delay_alu instid0(VALU_DEP_1) | instskip(NEXT) | instid1(VALU_DEP_1)
	v_add_f32_e32 v18, v26, v16
	v_mul_f32_e32 v25, v24, v18
	s_delay_alu instid0(VALU_DEP_1) | instskip(NEXT) | instid1(VALU_DEP_1)
	v_mul_f32_e32 v27, v22, v25
	v_fma_f32 v28, v25, v22, -v27
	s_delay_alu instid0(VALU_DEP_1) | instskip(NEXT) | instid1(VALU_DEP_1)
	v_dual_sub_f32 v26, v26, v18 :: v_dual_fmac_f32 v28, v25, v9
	v_dual_add_f32 v16, v16, v26 :: v_dual_add_f32 v29, v27, v28
	s_delay_alu instid0(VALU_DEP_1) | instskip(NEXT) | instid1(VALU_DEP_1)
	v_dual_sub_f32 v30, v18, v29 :: v_dual_sub_f32 v26, v29, v27
	v_sub_f32_e32 v18, v18, v30
	s_delay_alu instid0(VALU_DEP_2) | instskip(NEXT) | instid1(VALU_DEP_2)
	v_sub_f32_e32 v26, v26, v28
	v_sub_f32_e32 v18, v18, v29
	s_delay_alu instid0(VALU_DEP_1) | instskip(NEXT) | instid1(VALU_DEP_1)
	v_add_f32_e32 v16, v16, v18
	v_dual_add_f32 v18, v24, v25 :: v_dual_add_f32 v16, v26, v16
	s_delay_alu instid0(VALU_DEP_1) | instskip(NEXT) | instid1(VALU_DEP_1)
	v_sub_f32_e32 v26, v18, v24
	v_dual_add_f32 v16, v30, v16 :: v_dual_sub_f32 v25, v25, v26
	s_delay_alu instid0(VALU_DEP_1) | instskip(NEXT) | instid1(VALU_DEP_1)
	v_mul_f32_e32 v16, v24, v16
	v_add_f32_e32 v16, v25, v16
	s_delay_alu instid0(VALU_DEP_1) | instskip(NEXT) | instid1(VALU_DEP_1)
	v_add_f32_e32 v24, v18, v16
	v_ldexp_f32 v25, v24, -2
	s_delay_alu instid0(VALU_DEP_1) | instskip(NEXT) | instid1(VALU_DEP_1)
	v_dual_sub_f32 v18, v24, v18 :: v_dual_sub_f32 v26, v22, v25
	v_sub_f32_e32 v22, v22, v26
	s_delay_alu instid0(VALU_DEP_1) | instskip(NEXT) | instid1(VALU_DEP_1)
	v_dual_sub_f32 v16, v16, v18 :: v_dual_sub_f32 v18, v22, v25
	v_ldexp_f32 v16, v16, -2
	s_delay_alu instid0(VALU_DEP_2) | instskip(NEXT) | instid1(VALU_DEP_1)
	v_add_f32_e32 v9, v9, v18
	v_dual_sub_f32 v9, v9, v16 :: v_dual_mul_f32 v16, v7, v7
	s_delay_alu instid0(VALU_DEP_1) | instskip(SKIP_1) | instid1(VALU_DEP_2)
	v_dual_add_f32 v9, v26, v9 :: v_dual_fmaak_f32 v18, s11, v16, 0xbf039337
	v_fmaak_f32 v22, s10, v16, 0x3ec54587
	v_fmaak_f32 v18, v16, v18, 0x3f93f425
	s_delay_alu instid0(VALU_DEP_1) | instskip(SKIP_1) | instid1(TRANS32_DEP_1)
	v_rcp_f32_e32 v18, v18
	v_nop
	v_dual_cndmask_b32 v9, 0x7f800000, v9 :: v_dual_mul_f32 v18, v22, v18
	s_delay_alu instid0(VALU_DEP_1) | instskip(NEXT) | instid1(VALU_DEP_2)
	v_cndmask_b32_e64 v9, v9, |v10|, s0
	v_mul_f32_e32 v16, v16, v18
	s_delay_alu instid0(VALU_DEP_2) | instskip(NEXT) | instid1(VALU_DEP_1)
	v_bfi_b32 v9, 0x7fffffff, v9, v10
	v_fma_f32 v24, v9, v9, 1.0
	s_delay_alu instid0(VALU_DEP_1) | instskip(SKIP_1) | instid1(VALU_DEP_2)
	v_mul_f32_e32 v22, 0x4f800000, v24
	v_cmp_gt_f32_e32 vcc_lo, 0xf800000, v24
	v_cndmask_b32_e32 v18, v24, v22, vcc_lo
	v_fma_f32 v22, v16, v7, v7
	s_delay_alu instid0(VALU_DEP_2) | instskip(NEXT) | instid1(VALU_DEP_1)
	v_sqrt_f32_e32 v24, v18
	v_sub_f32_e32 v26, v22, v7
	s_delay_alu instid0(VALU_DEP_1) | instskip(SKIP_1) | instid1(TRANS32_DEP_2)
	v_fma_f32 v7, v16, v7, -v26
	v_rcp_f32_e32 v25, v22
	v_dual_add_nc_u32 v27, -1, v24 :: v_dual_add_nc_u32 v26, 1, v24
	s_delay_alu instid0(VALU_DEP_1) | instskip(NEXT) | instid1(TRANS32_DEP_1)
	v_fma_f32 v28, -v27, v24, v18
	v_fma_f32 v16, v22, -v25, 1.0
	s_delay_alu instid0(VALU_DEP_1) | instskip(NEXT) | instid1(VALU_DEP_3)
	v_dual_fma_f32 v7, v7, -v25, v16 :: v_dual_fma_f32 v16, -v26, v24, v18
	v_cmp_ge_f32_e64 s0, 0, v28
	s_delay_alu instid0(VALU_DEP_1) | instskip(NEXT) | instid1(VALU_DEP_3)
	v_dual_cndmask_b32 v24, v24, v27, s0 :: v_dual_bitop2_b32 v6, 1, v6 bitop3:0x40
	v_fma_f32 v7, v7, -v25, -v25
	s_delay_alu instid0(VALU_DEP_4) | instskip(NEXT) | instid1(VALU_DEP_1)
	v_cmp_lt_f32_e64 s0, 0, v16
	v_cndmask_b32_e64 v16, v24, v26, s0
	s_delay_alu instid0(VALU_DEP_4) | instskip(NEXT) | instid1(VALU_DEP_1)
	v_cmp_eq_u32_e64 s0, 0, v6
	v_cndmask_b32_e64 v6, v7, v22, s0
	s_delay_alu instid0(VALU_DEP_3) | instskip(NEXT) | instid1(VALU_DEP_2)
	v_mul_f32_e32 v7, 0x37800000, v16
	v_xor3_b32 v8, v8, v6, v11
	s_delay_alu instid0(VALU_DEP_2) | instskip(SKIP_1) | instid1(VALU_DEP_3)
	v_cndmask_b32_e32 v6, v16, v7, vcc_lo
	v_cmp_class_f32_e64 vcc_lo, v18, 0x260
	v_fma_f32 v7, v8, v8, 1.0
	s_delay_alu instid0(VALU_DEP_1) | instskip(NEXT) | instid1(VALU_DEP_1)
	v_dual_cndmask_b32 v6, v6, v18, vcc_lo :: v_dual_mul_f32 v16, v9, v7
	v_mul_f32_e32 v6, v6, v7
	s_delay_alu instid0(VALU_DEP_2) | instskip(NEXT) | instid1(VALU_DEP_2)
	v_fma_f32 v7, v9, v16, 1.0
	v_mul_f32_e32 v6, v9, v6
	s_delay_alu instid0(VALU_DEP_2) | instskip(NEXT) | instid1(VALU_DEP_2)
	v_div_scale_f32 v16, null, v7, v7, v8
	v_div_scale_f32 v9, null, v7, v7, v6
	v_div_scale_f32 v26, vcc_lo, v6, v7, v6
	s_delay_alu instid0(VALU_DEP_3) | instskip(NEXT) | instid1(VALU_DEP_2)
	v_rcp_f32_e32 v22, v16
	v_rcp_f32_e32 v18, v9
	s_delay_alu instid0(TRANS32_DEP_2) | instskip(NEXT) | instid1(TRANS32_DEP_1)
	v_fma_f32 v25, -v16, v22, 1.0
	v_fma_f32 v24, -v9, v18, 1.0
	s_delay_alu instid0(VALU_DEP_2) | instskip(NEXT) | instid1(VALU_DEP_2)
	v_fmac_f32_e32 v22, v25, v22
	v_fmac_f32_e32 v18, v24, v18
	v_div_scale_f32 v24, s0, v8, v7, v8
	s_delay_alu instid0(VALU_DEP_2) | instskip(NEXT) | instid1(VALU_DEP_1)
	v_mul_f32_e32 v25, v26, v18
	v_fma_f32 v28, -v9, v25, v26
	s_delay_alu instid0(VALU_DEP_1) | instskip(NEXT) | instid1(VALU_DEP_1)
	v_fmac_f32_e32 v25, v28, v18
	v_dual_mul_f32 v27, v24, v22 :: v_dual_fma_f32 v9, -v9, v25, v26
	s_delay_alu instid0(VALU_DEP_1) | instskip(NEXT) | instid1(VALU_DEP_2)
	v_fma_f32 v29, -v16, v27, v24
	v_div_fmas_f32 v9, v9, v18, v25
	s_delay_alu instid0(VALU_DEP_2) | instskip(SKIP_1) | instid1(VALU_DEP_2)
	v_fmac_f32_e32 v27, v29, v22
	s_mov_b32 vcc_lo, s0
	v_div_fixup_f32 v6, v9, v7, v6
	s_delay_alu instid0(VALU_DEP_2) | instskip(NEXT) | instid1(VALU_DEP_1)
	v_fma_f32 v16, -v16, v27, v24
	v_div_fmas_f32 v16, v16, v22, v27
	s_delay_alu instid0(VALU_DEP_1)
	v_div_fixup_f32 v7, v16, v7, v8
                                        ; implicit-def: $vgpr8
.LBB162_188:                            ;   in Loop: Header=BB162_180 Depth=1
	s_and_not1_saveexec_b32 s18, s18
	s_cbranch_execz .LBB162_191
; %bb.189:                              ;   in Loop: Header=BB162_180 Depth=1
	v_lshrrev_b32_e32 v6, 23, v8
	v_cmp_ngt_f32_e64 s19, 0x48000000, |v11|
	v_and_or_b32 v16, v8, s6, 0x800000
                                        ; implicit-def: $vgpr9
	s_delay_alu instid0(VALU_DEP_3) | instskip(SKIP_1) | instid1(SALU_CYCLE_1)
	v_add_nc_u32_e32 v7, 0xffffff88, v6
                                        ; implicit-def: $vgpr6
	s_and_saveexec_b32 s0, s19
	s_xor_b32 s20, exec_lo, s0
	s_cbranch_execz .LBB162_192
; %bb.190:                              ;   in Loop: Header=BB162_180 Depth=1
	v_mul_u64_e32 v[24:25], s[4:5], v[16:17]
	v_mov_b32_e32 v27, v17
	v_cmp_lt_u32_e32 vcc_lo, 63, v7
	v_mov_b32_e32 v37, v17
	v_cndmask_b32_e64 v6, 0, 0xffffffc0, vcc_lo
	s_delay_alu instid0(VALU_DEP_1) | instskip(NEXT) | instid1(VALU_DEP_1)
	v_add_nc_u32_e32 v6, v6, v7
	v_cmp_lt_u32_e64 s0, 31, v6
	s_delay_alu instid0(VALU_DEP_1) | instskip(NEXT) | instid1(VALU_DEP_1)
	v_cndmask_b32_e64 v9, 0, 0xffffffe0, s0
	v_add_nc_u32_e32 v6, v9, v6
	v_mov_b32_e32 v26, v25
	s_delay_alu instid0(VALU_DEP_2) | instskip(NEXT) | instid1(VALU_DEP_2)
	v_cmp_lt_u32_e64 s1, 31, v6
	v_mad_nc_u64_u32 v[26:27], 0x3c439041, v16, v[26:27]
	v_mov_b32_e32 v29, v17
	s_delay_alu instid0(VALU_DEP_3) | instskip(NEXT) | instid1(VALU_DEP_3)
	v_cndmask_b32_e64 v9, 0, 0xffffffe0, s1
	v_mov_b32_e32 v28, v27
	s_delay_alu instid0(VALU_DEP_1) | instskip(NEXT) | instid1(VALU_DEP_1)
	v_mad_nc_u64_u32 v[28:29], 0xdb629599, v16, v[28:29]
	v_dual_mov_b32 v31, v17 :: v_dual_mov_b32 v30, v29
	s_delay_alu instid0(VALU_DEP_2) | instskip(NEXT) | instid1(VALU_DEP_2)
	v_cndmask_b32_e32 v24, v28, v24, vcc_lo
	v_mad_nc_u64_u32 v[30:31], 0xf534ddc0, v16, v[30:31]
	s_delay_alu instid0(VALU_DEP_1) | instskip(NEXT) | instid1(VALU_DEP_1)
	v_dual_mov_b32 v33, v17 :: v_dual_mov_b32 v32, v31
	v_mad_nc_u64_u32 v[32:33], 0xfc2757d1, v16, v[32:33]
	s_delay_alu instid0(VALU_DEP_1) | instskip(NEXT) | instid1(VALU_DEP_2)
	v_dual_mov_b32 v35, v17 :: v_dual_mov_b32 v34, v33
	v_cndmask_b32_e32 v27, v32, v28, vcc_lo
	s_delay_alu instid0(VALU_DEP_2) | instskip(NEXT) | instid1(VALU_DEP_1)
	v_mad_nc_u64_u32 v[34:35], 0x4e441529, v16, v[34:35]
	v_mov_b32_e32 v36, v35
	s_delay_alu instid0(VALU_DEP_1) | instskip(NEXT) | instid1(VALU_DEP_1)
	v_mad_nc_u64_u32 v[36:37], 0xa2f9836e, v16, v[36:37]
	v_dual_cndmask_b32 v18, v34, v30, vcc_lo :: v_dual_cndmask_b32 v22, v36, v32, vcc_lo
	s_delay_alu instid0(VALU_DEP_2) | instskip(SKIP_2) | instid1(VALU_DEP_4)
	v_cndmask_b32_e32 v25, v37, v34, vcc_lo
	v_add_nc_u32_e32 v6, v9, v6
	v_cndmask_b32_e32 v9, v30, v26, vcc_lo
	v_cndmask_b32_e64 v26, v22, v18, s0
	v_cndmask_b32_e64 v18, v18, v27, s0
	s_delay_alu instid0(VALU_DEP_4) | instskip(NEXT) | instid1(VALU_DEP_4)
	v_cmp_eq_u32_e32 vcc_lo, 0, v6
	v_dual_cndmask_b32 v27, v27, v9, s0 :: v_dual_cndmask_b32 v22, v25, v22, s0
	v_dual_sub_nc_u32 v25, 32, v6 :: v_dual_cndmask_b32 v9, v9, v24, s0
	s_delay_alu instid0(VALU_DEP_2) | instskip(NEXT) | instid1(VALU_DEP_2)
	v_cndmask_b32_e64 v22, v22, v26, s1
	v_dual_cndmask_b32 v26, v26, v18, s1 :: v_dual_cndmask_b32 v9, v27, v9, s1
	v_cndmask_b32_e64 v18, v18, v27, s1
	s_delay_alu instid0(VALU_DEP_2) | instskip(NEXT) | instid1(VALU_DEP_1)
	v_alignbit_b32 v29, v22, v26, v25
	v_cndmask_b32_e32 v6, v29, v22, vcc_lo
	s_delay_alu instid0(VALU_DEP_1) | instskip(NEXT) | instid1(VALU_DEP_1)
	v_bfe_u32 v24, v6, 29, 1
	v_sub_nc_u32_e32 v27, 0, v24
	v_alignbit_b32 v28, v26, v18, v25
	v_alignbit_b32 v25, v18, v9, v25
	s_delay_alu instid0(VALU_DEP_1) | instskip(NEXT) | instid1(VALU_DEP_1)
	v_cndmask_b32_e32 v18, v25, v18, vcc_lo
	v_alignbit_b32 v9, v18, v9, 30
	s_delay_alu instid0(VALU_DEP_1) | instskip(NEXT) | instid1(VALU_DEP_1)
	v_dual_cndmask_b32 v22, v28, v26, vcc_lo :: v_dual_bitop2_b32 v9, v9, v27 bitop3:0x14
	v_alignbit_b32 v26, v6, v22, 30
	v_alignbit_b32 v22, v22, v18, 30
	s_delay_alu instid0(VALU_DEP_2) | instskip(NEXT) | instid1(VALU_DEP_2)
	v_xor_b32_e32 v26, v26, v27
	v_dual_lshrrev_b32 v27, 29, v6 :: v_dual_bitop2_b32 v18, v22, v27 bitop3:0x14
	s_delay_alu instid0(VALU_DEP_2) | instskip(NEXT) | instid1(VALU_DEP_1)
	v_clz_i32_u32_e32 v25, v26
	v_min_u32_e32 v25, 32, v25
	s_delay_alu instid0(VALU_DEP_1) | instskip(NEXT) | instid1(VALU_DEP_1)
	v_dual_sub_nc_u32 v22, 31, v25 :: v_dual_lshlrev_b32 v28, 23, v25
	v_alignbit_b32 v26, v26, v18, v22
	v_alignbit_b32 v9, v18, v9, v22
	v_lshlrev_b32_e32 v18, 31, v27
	s_delay_alu instid0(VALU_DEP_2) | instskip(NEXT) | instid1(VALU_DEP_2)
	v_alignbit_b32 v22, v26, v9, 9
	v_or_b32_e32 v27, 0.5, v18
	v_lshrrev_b32_e32 v26, 9, v26
	v_or_b32_e32 v18, 0x33000000, v18
	s_delay_alu instid0(VALU_DEP_4) | instskip(NEXT) | instid1(VALU_DEP_4)
	v_clz_i32_u32_e32 v29, v22
	v_sub_nc_u32_e32 v27, v27, v28
	s_delay_alu instid0(VALU_DEP_2) | instskip(NEXT) | instid1(VALU_DEP_2)
	v_min_u32_e32 v28, 32, v29
	v_or_b32_e32 v26, v26, v27
	s_delay_alu instid0(VALU_DEP_2) | instskip(SKIP_1) | instid1(VALU_DEP_2)
	v_not_b32_e32 v27, v28
	v_add_lshl_u32 v25, v28, v25, 23
	v_alignbit_b32 v9, v22, v9, v27
	s_delay_alu instid0(VALU_DEP_2) | instskip(NEXT) | instid1(VALU_DEP_2)
	v_sub_nc_u32_e32 v18, v18, v25
	v_lshrrev_b32_e32 v9, 9, v9
	s_delay_alu instid0(VALU_DEP_1) | instskip(SKIP_1) | instid1(VALU_DEP_1)
	v_or_b32_e32 v9, v18, v9
	v_mul_f32_e32 v29, 0x3fc90fda, v26
	v_fma_f32 v22, 0x3fc90fda, v26, -v29
	s_delay_alu instid0(VALU_DEP_1) | instskip(NEXT) | instid1(VALU_DEP_1)
	v_fmac_f32_e32 v22, 0x33a22168, v26
	v_dual_fmac_f32 v22, 0x3fc90fda, v9 :: v_dual_lshrrev_b32 v9, 30, v6
	s_delay_alu instid0(VALU_DEP_1)
	v_dual_add_f32 v6, v29, v22 :: v_dual_add_nc_u32 v9, v24, v9
	s_and_not1_saveexec_b32 s0, s20
	s_branch .LBB162_193
.LBB162_191:                            ;   in Loop: Header=BB162_180 Depth=1
	s_or_b32 exec_lo, exec_lo, s18
	s_and_not1_saveexec_b32 s0, s17
	s_cbranch_execnz .LBB162_200
	s_branch .LBB162_201
.LBB162_192:                            ;   in Loop: Header=BB162_180 Depth=1
	s_and_not1_saveexec_b32 s0, s20
.LBB162_193:                            ;   in Loop: Header=BB162_180 Depth=1
	v_mul_f32_e64 v6, 0x3f22f983, |v11|
	s_delay_alu instid0(VALU_DEP_1) | instskip(NEXT) | instid1(VALU_DEP_1)
	v_rndne_f32_e32 v9, v6
	v_fma_f32 v6, 0xbfc90fda, v9, |v11|
	s_delay_alu instid0(VALU_DEP_1) | instskip(NEXT) | instid1(VALU_DEP_1)
	v_fmac_f32_e32 v6, 0xb3a22168, v9
	v_fmac_f32_e32 v6, 0xa7c234c4, v9
	v_cvt_i32_f32_e32 v9, v9
; %bb.194:                              ;   in Loop: Header=BB162_180 Depth=1
	s_or_b32 exec_lo, exec_lo, s0
                                        ; implicit-def: $vgpr22
                                        ; implicit-def: $vgpr18
	s_and_saveexec_b32 s0, s19
	s_delay_alu instid0(SALU_CYCLE_1)
	s_xor_b32 s19, exec_lo, s0
	s_cbranch_execz .LBB162_196
; %bb.195:                              ;   in Loop: Header=BB162_180 Depth=1
	v_mul_u64_e32 v[24:25], s[4:5], v[16:17]
	v_mov_b32_e32 v27, v17
	v_cmp_lt_u32_e32 vcc_lo, 63, v7
	v_mov_b32_e32 v37, v17
	v_cndmask_b32_e64 v18, 0, 0xffffffc0, vcc_lo
	s_delay_alu instid0(VALU_DEP_1) | instskip(NEXT) | instid1(VALU_DEP_1)
	v_add_nc_u32_e32 v7, v18, v7
	v_cmp_lt_u32_e64 s0, 31, v7
	s_delay_alu instid0(VALU_DEP_1) | instskip(NEXT) | instid1(VALU_DEP_1)
	v_cndmask_b32_e64 v18, 0, 0xffffffe0, s0
	v_dual_mov_b32 v26, v25 :: v_dual_add_nc_u32 v7, v18, v7
	s_delay_alu instid0(VALU_DEP_1) | instskip(NEXT) | instid1(VALU_DEP_2)
	v_cmp_lt_u32_e64 s1, 31, v7
	v_mad_nc_u64_u32 v[26:27], 0x3c439041, v16, v[26:27]
	s_delay_alu instid0(VALU_DEP_1) | instskip(NEXT) | instid1(VALU_DEP_1)
	v_dual_mov_b32 v29, v17 :: v_dual_mov_b32 v28, v27
	v_mad_nc_u64_u32 v[28:29], 0xdb629599, v16, v[28:29]
	s_delay_alu instid0(VALU_DEP_1) | instskip(NEXT) | instid1(VALU_DEP_2)
	v_dual_mov_b32 v31, v17 :: v_dual_mov_b32 v30, v29
	v_cndmask_b32_e32 v24, v28, v24, vcc_lo
	s_delay_alu instid0(VALU_DEP_2) | instskip(NEXT) | instid1(VALU_DEP_1)
	v_mad_nc_u64_u32 v[30:31], 0xf534ddc0, v16, v[30:31]
	v_dual_mov_b32 v33, v17 :: v_dual_mov_b32 v32, v31
	s_delay_alu instid0(VALU_DEP_1) | instskip(NEXT) | instid1(VALU_DEP_1)
	v_mad_nc_u64_u32 v[32:33], 0xfc2757d1, v16, v[32:33]
	v_dual_mov_b32 v35, v17 :: v_dual_mov_b32 v34, v33
	s_delay_alu instid0(VALU_DEP_2) | instskip(NEXT) | instid1(VALU_DEP_2)
	v_cndmask_b32_e32 v27, v32, v28, vcc_lo
	v_mad_nc_u64_u32 v[34:35], 0x4e441529, v16, v[34:35]
	s_delay_alu instid0(VALU_DEP_1) | instskip(NEXT) | instid1(VALU_DEP_1)
	v_mov_b32_e32 v36, v35
	v_mad_nc_u64_u32 v[36:37], 0xa2f9836e, v16, v[36:37]
	v_cndmask_b32_e64 v16, 0, 0xffffffe0, s1
	s_delay_alu instid0(VALU_DEP_1) | instskip(NEXT) | instid1(VALU_DEP_3)
	v_dual_cndmask_b32 v18, v34, v30 :: v_dual_add_nc_u32 v7, v16, v7
	v_dual_cndmask_b32 v16, v30, v26, vcc_lo :: v_dual_cndmask_b32 v22, v36, v32, vcc_lo
	s_delay_alu instid0(VALU_DEP_4) | instskip(NEXT) | instid1(VALU_DEP_3)
	v_cndmask_b32_e32 v25, v37, v34, vcc_lo
	v_cmp_eq_u32_e32 vcc_lo, 0, v7
	s_delay_alu instid0(VALU_DEP_3) | instskip(NEXT) | instid1(VALU_DEP_3)
	v_cndmask_b32_e64 v26, v22, v18, s0
	v_dual_cndmask_b32 v22, v25, v22, s0 :: v_dual_cndmask_b32 v18, v18, v27, s0
	v_dual_sub_nc_u32 v25, 32, v7 :: v_dual_cndmask_b32 v27, v27, v16, s0
	s_delay_alu instid0(VALU_DEP_2) | instskip(NEXT) | instid1(VALU_DEP_1)
	v_dual_cndmask_b32 v16, v16, v24, s0 :: v_dual_cndmask_b32 v22, v22, v26, s1
	v_dual_cndmask_b32 v26, v26, v18, s1 :: v_dual_cndmask_b32 v16, v27, v16, s1
	s_delay_alu instid0(VALU_DEP_1) | instskip(NEXT) | instid1(VALU_DEP_1)
	v_alignbit_b32 v29, v22, v26, v25
	v_dual_cndmask_b32 v18, v18, v27, s1 :: v_dual_cndmask_b32 v7, v29, v22, vcc_lo
	s_delay_alu instid0(VALU_DEP_1) | instskip(NEXT) | instid1(VALU_DEP_4)
	v_alignbit_b32 v28, v26, v18, v25
	v_alignbit_b32 v25, v18, v16, v25
	s_delay_alu instid0(VALU_DEP_3) | instskip(NEXT) | instid1(VALU_DEP_3)
	v_bfe_u32 v24, v7, 29, 1
	v_cndmask_b32_e32 v22, v28, v26, vcc_lo
	s_delay_alu instid0(VALU_DEP_2) | instskip(NEXT) | instid1(VALU_DEP_2)
	v_dual_cndmask_b32 v18, v25, v18 :: v_dual_sub_nc_u32 v27, 0, v24
	v_alignbit_b32 v26, v7, v22, 30
	s_delay_alu instid0(VALU_DEP_2) | instskip(SKIP_1) | instid1(VALU_DEP_3)
	v_alignbit_b32 v22, v22, v18, 30
	v_alignbit_b32 v16, v18, v16, 30
	v_xor_b32_e32 v26, v26, v27
	s_delay_alu instid0(VALU_DEP_2) | instskip(NEXT) | instid1(VALU_DEP_2)
	v_xor_b32_e32 v16, v16, v27
	v_clz_i32_u32_e32 v25, v26
	s_delay_alu instid0(VALU_DEP_1) | instskip(SKIP_2) | instid1(VALU_DEP_3)
	v_min_u32_e32 v25, 32, v25
	v_xor_b32_e32 v18, v22, v27
	v_dual_lshrrev_b32 v27, 29, v7 :: v_dual_lshrrev_b32 v7, 30, v7
	v_dual_sub_nc_u32 v22, 31, v25 :: v_dual_lshlrev_b32 v28, 23, v25
	s_delay_alu instid0(VALU_DEP_1) | instskip(SKIP_1) | instid1(VALU_DEP_4)
	v_alignbit_b32 v26, v26, v18, v22
	v_alignbit_b32 v16, v18, v16, v22
	v_lshlrev_b32_e32 v18, 31, v27
	s_delay_alu instid0(VALU_DEP_2) | instskip(NEXT) | instid1(VALU_DEP_2)
	v_alignbit_b32 v22, v26, v16, 9
	v_or_b32_e32 v27, 0.5, v18
	v_lshrrev_b32_e32 v26, 9, v26
	v_or_b32_e32 v18, 0x33000000, v18
	s_delay_alu instid0(VALU_DEP_4) | instskip(NEXT) | instid1(VALU_DEP_4)
	v_clz_i32_u32_e32 v29, v22
	v_sub_nc_u32_e32 v27, v27, v28
	s_delay_alu instid0(VALU_DEP_2) | instskip(NEXT) | instid1(VALU_DEP_2)
	v_min_u32_e32 v28, 32, v29
	v_or_b32_e32 v26, v26, v27
	s_delay_alu instid0(VALU_DEP_2) | instskip(SKIP_1) | instid1(VALU_DEP_2)
	v_not_b32_e32 v27, v28
	v_add_lshl_u32 v25, v28, v25, 23
	v_alignbit_b32 v16, v22, v16, v27
	s_delay_alu instid0(VALU_DEP_1) | instskip(NEXT) | instid1(VALU_DEP_1)
	v_dual_sub_nc_u32 v18, v18, v25 :: v_dual_lshrrev_b32 v16, 9, v16
	v_or_b32_e32 v16, v18, v16
	v_mul_f32_e32 v29, 0x3fc90fda, v26
	s_delay_alu instid0(VALU_DEP_1) | instskip(NEXT) | instid1(VALU_DEP_1)
	v_fma_f32 v22, 0x3fc90fda, v26, -v29
	v_fmac_f32_e32 v22, 0x33a22168, v26
	s_delay_alu instid0(VALU_DEP_1) | instskip(NEXT) | instid1(VALU_DEP_1)
	v_fmac_f32_e32 v22, 0x3fc90fda, v16
	v_dual_add_f32 v18, v29, v22 :: v_dual_add_nc_u32 v22, v24, v7
	s_and_not1_saveexec_b32 s0, s19
	s_cbranch_execnz .LBB162_197
	s_branch .LBB162_198
.LBB162_196:                            ;   in Loop: Header=BB162_180 Depth=1
	s_and_not1_saveexec_b32 s0, s19
.LBB162_197:                            ;   in Loop: Header=BB162_180 Depth=1
	v_mul_f32_e64 v7, 0x3f22f983, |v11|
	s_delay_alu instid0(VALU_DEP_1) | instskip(NEXT) | instid1(VALU_DEP_1)
	v_rndne_f32_e32 v7, v7
	v_fma_f32 v18, 0xbfc90fda, v7, |v11|
	v_cvt_i32_f32_e32 v22, v7
	s_delay_alu instid0(VALU_DEP_2) | instskip(NEXT) | instid1(VALU_DEP_1)
	v_fmac_f32_e32 v18, 0xb3a22168, v7
	v_fmac_f32_e32 v18, 0xa7c234c4, v7
.LBB162_198:                            ;   in Loop: Header=BB162_180 Depth=1
	s_or_b32 exec_lo, exec_lo, s0
	v_dual_mul_f32 v7, v6, v6 :: v_dual_bitop2_b32 v16, 1, v9 bitop3:0x40
	v_lshlrev_b32_e32 v9, 30, v9
	v_mul_f32_e64 v24, 0xbfb8aa3b, |v10|
	s_delay_alu instid0(VALU_DEP_3) | instskip(NEXT) | instid1(VALU_DEP_4)
	v_fmaak_f32 v26, s14, v7, 0xbab64f3b
	v_cmp_eq_u32_e32 vcc_lo, 0, v16
	s_delay_alu instid0(VALU_DEP_4) | instskip(NEXT) | instid1(VALU_DEP_4)
	v_bitop3_b32 v8, v8, v9, 0x80000000 bitop3:0x78
	v_rndne_f32_e32 v9, v24
	v_fmaak_f32 v25, s13, v7, 0x3c0881c4
	v_fma_f32 v28, 0xbfb8aa3b, |v10|, -v24
	v_fmaak_f32 v26, v7, v26, 0x3d2aabf7
	s_delay_alu instid0(VALU_DEP_4) | instskip(SKIP_1) | instid1(VALU_DEP_4)
	v_sub_f32_e32 v24, v24, v9
	v_cvt_i32_f32_e32 v9, v9
	v_fma_f32 v28, 0xb2a5705f, |v10|, v28
	v_fmaak_f32 v25, v7, v25, 0xbe2aaa9d
	v_fmaak_f32 v26, v7, v26, 0xbf000004
	s_delay_alu instid0(VALU_DEP_3) | instskip(NEXT) | instid1(VALU_DEP_3)
	v_dual_add_f32 v24, v24, v28 :: v_dual_mul_f32 v27, v18, v18
	v_mul_f32_e32 v25, v7, v25
	s_delay_alu instid0(VALU_DEP_3) | instskip(NEXT) | instid1(VALU_DEP_3)
	v_fma_f32 v7, v7, v26, 1.0
	v_exp_f32_e32 v16, v24
	s_delay_alu instid0(VALU_DEP_2) | instskip(SKIP_1) | instid1(VALU_DEP_2)
	v_dual_fmaak_f32 v29, s13, v27, 0x3c0881c4 :: v_dual_fmac_f32 v6, v6, v25
	v_fmaak_f32 v30, s14, v27, 0xbab64f3b
	v_fmaak_f32 v29, v27, v29, 0xbe2aaa9d
	s_delay_alu instid0(VALU_DEP_3) | instskip(NEXT) | instid1(VALU_DEP_2)
	v_cndmask_b32_e32 v6, v7, v6, vcc_lo
	v_mul_f32_e32 v26, v27, v29
	s_delay_alu instid0(VALU_DEP_2)
	v_xor3_b32 v6, v8, v6, v11
	v_ldexp_f32 v8, v16, v9
	v_lshlrev_b32_e32 v9, 30, v22
	v_fmaak_f32 v25, v27, v30, 0x3d2aabf7
	v_and_b32_e32 v24, 1, v22
	v_fmac_f32_e32 v18, v18, v26
	s_delay_alu instid0(VALU_DEP_3) | instskip(NEXT) | instid1(VALU_DEP_3)
	v_dual_mul_f32 v6, 4.0, v6 :: v_dual_fmaak_f32 v7, v27, v25, 0xbf000004
	v_cmp_eq_u32_e32 vcc_lo, 0, v24
	s_delay_alu instid0(VALU_DEP_2) | instskip(NEXT) | instid1(VALU_DEP_1)
	v_fma_f32 v7, v27, v7, 1.0
	v_cndmask_b32_e64 v7, -v18, v7, vcc_lo
	v_cmp_nlt_f32_e64 vcc_lo, 0x42ce8ed0, |v10|
	s_delay_alu instid0(VALU_DEP_2) | instskip(SKIP_2) | instid1(VALU_DEP_3)
	v_bitop3_b32 v7, v9, v7, 0x80000000 bitop3:0x6c
	v_cndmask_b32_e32 v8, 0, v8, vcc_lo
	v_cmp_ngt_f32_e64 vcc_lo, 0xc2b17218, |v10|
	v_mul_f32_e32 v6, v6, v7
	s_delay_alu instid0(VALU_DEP_3) | instskip(NEXT) | instid1(VALU_DEP_1)
	v_cndmask_b32_e32 v8, 0x7f800000, v8, vcc_lo
	v_mul_f32_e32 v7, v8, v6
	v_bfi_b32 v6, 0x7fffffff, 1.0, v10
	s_delay_alu instid0(VALU_DEP_2)
	v_mul_f32_e32 v7, v8, v7
	s_or_b32 exec_lo, exec_lo, s18
.LBB162_199:                            ;   in Loop: Header=BB162_180 Depth=1
	s_and_not1_saveexec_b32 s0, s17
.LBB162_200:                            ;   in Loop: Header=BB162_180 Depth=1
	v_sub_f32_e32 v7, v11, v11
	s_delay_alu instid0(VALU_DEP_1)
	v_mov_b32_e32 v6, v7
.LBB162_201:                            ;   in Loop: Header=BB162_180 Depth=1
	s_or_b32 exec_lo, exec_lo, s0
.LBB162_202:                            ;   in Loop: Header=BB162_180 Depth=1
	s_and_not1_saveexec_b32 s16, s16
	s_cbranch_execz .LBB162_218
; %bb.203:                              ;   in Loop: Header=BB162_180 Depth=1
	v_and_b32_e32 v6, 0x7fffff, v10
	s_mov_b32 s0, exec_lo
                                        ; implicit-def: $vgpr7
	s_delay_alu instid0(VALU_DEP_1)
	v_cmpx_ne_u32_e32 0, v6
	s_xor_b32 s0, exec_lo, s0
; %bb.204:                              ;   in Loop: Header=BB162_180 Depth=1
	v_mul_f32_e32 v6, v10, v11
	v_cmp_eq_f32_e32 vcc_lo, 0, v11
	s_delay_alu instid0(VALU_DEP_2)
	v_cndmask_b32_e32 v7, v6, v11, vcc_lo
; %bb.205:                              ;   in Loop: Header=BB162_180 Depth=1
	s_and_not1_saveexec_b32 s17, s0
	s_cbranch_execz .LBB162_217
; %bb.206:                              ;   in Loop: Header=BB162_180 Depth=1
	s_mov_b32 s18, exec_lo
	v_cmpx_neq_f32_e64 0x7f800000, |v11|
	s_cbranch_execz .LBB162_216
; %bb.207:                              ;   in Loop: Header=BB162_180 Depth=1
	v_and_b32_e32 v6, 0x7fffffff, v11
	v_cmp_ngt_f32_e64 s19, 0x48000000, |v11|
                                        ; implicit-def: $vgpr8
	s_delay_alu instid0(VALU_DEP_2) | instskip(SKIP_1) | instid1(VALU_DEP_2)
	v_lshrrev_b32_e32 v7, 23, v6
	v_and_or_b32 v16, v6, s6, 0x800000
	v_add_nc_u32_e32 v9, 0xffffff88, v7
                                        ; implicit-def: $vgpr7
	s_and_saveexec_b32 s0, s19
	s_delay_alu instid0(SALU_CYCLE_1)
	s_xor_b32 s20, exec_lo, s0
	s_cbranch_execz .LBB162_209
; %bb.208:                              ;   in Loop: Header=BB162_180 Depth=1
	v_mul_u64_e32 v[24:25], s[4:5], v[16:17]
	v_mov_b32_e32 v27, v17
	v_cmp_lt_u32_e32 vcc_lo, 63, v9
	v_mov_b32_e32 v37, v17
	v_cndmask_b32_e64 v7, 0, 0xffffffc0, vcc_lo
	s_delay_alu instid0(VALU_DEP_1) | instskip(NEXT) | instid1(VALU_DEP_1)
	v_add_nc_u32_e32 v7, v7, v9
	v_cmp_lt_u32_e64 s0, 31, v7
	s_delay_alu instid0(VALU_DEP_1) | instskip(NEXT) | instid1(VALU_DEP_1)
	v_cndmask_b32_e64 v8, 0, 0xffffffe0, s0
	v_dual_mov_b32 v26, v25 :: v_dual_add_nc_u32 v7, v8, v7
	s_delay_alu instid0(VALU_DEP_1) | instskip(NEXT) | instid1(VALU_DEP_2)
	v_cmp_lt_u32_e64 s1, 31, v7
	v_mad_nc_u64_u32 v[26:27], 0x3c439041, v16, v[26:27]
	v_mov_b32_e32 v29, v17
	s_delay_alu instid0(VALU_DEP_3) | instskip(NEXT) | instid1(VALU_DEP_3)
	v_cndmask_b32_e64 v8, 0, 0xffffffe0, s1
	v_mov_b32_e32 v28, v27
	s_delay_alu instid0(VALU_DEP_1) | instskip(NEXT) | instid1(VALU_DEP_1)
	v_mad_nc_u64_u32 v[28:29], 0xdb629599, v16, v[28:29]
	v_dual_mov_b32 v31, v17 :: v_dual_mov_b32 v30, v29
	s_delay_alu instid0(VALU_DEP_2) | instskip(NEXT) | instid1(VALU_DEP_2)
	v_cndmask_b32_e32 v24, v28, v24, vcc_lo
	v_mad_nc_u64_u32 v[30:31], 0xf534ddc0, v16, v[30:31]
	v_dual_mov_b32 v33, v17 :: v_dual_add_nc_u32 v7, v8, v7
	s_delay_alu instid0(VALU_DEP_2) | instskip(NEXT) | instid1(VALU_DEP_1)
	v_dual_cndmask_b32 v8, v30, v26, vcc_lo :: v_dual_mov_b32 v32, v31
	v_mad_nc_u64_u32 v[32:33], 0xfc2757d1, v16, v[32:33]
	s_delay_alu instid0(VALU_DEP_1) | instskip(NEXT) | instid1(VALU_DEP_2)
	v_dual_mov_b32 v35, v17 :: v_dual_mov_b32 v34, v33
	v_cndmask_b32_e32 v27, v32, v28, vcc_lo
	s_delay_alu instid0(VALU_DEP_2) | instskip(NEXT) | instid1(VALU_DEP_1)
	v_mad_nc_u64_u32 v[34:35], 0x4e441529, v16, v[34:35]
	v_mov_b32_e32 v36, v35
	s_delay_alu instid0(VALU_DEP_1) | instskip(NEXT) | instid1(VALU_DEP_1)
	v_mad_nc_u64_u32 v[36:37], 0xa2f9836e, v16, v[36:37]
	v_dual_cndmask_b32 v18, v34, v30, vcc_lo :: v_dual_cndmask_b32 v22, v36, v32, vcc_lo
	s_delay_alu instid0(VALU_DEP_2) | instskip(SKIP_1) | instid1(VALU_DEP_3)
	v_cndmask_b32_e32 v25, v37, v34, vcc_lo
	v_cmp_eq_u32_e32 vcc_lo, 0, v7
	v_cndmask_b32_e64 v26, v22, v18, s0
	s_delay_alu instid0(VALU_DEP_3) | instskip(SKIP_1) | instid1(VALU_DEP_2)
	v_dual_cndmask_b32 v22, v25, v22, s0 :: v_dual_cndmask_b32 v18, v18, v27, s0
	v_dual_sub_nc_u32 v25, 32, v7 :: v_dual_cndmask_b32 v27, v27, v8, s0
	v_dual_cndmask_b32 v8, v8, v24, s0 :: v_dual_cndmask_b32 v22, v22, v26, s1
	s_delay_alu instid0(VALU_DEP_1) | instskip(NEXT) | instid1(VALU_DEP_1)
	v_dual_cndmask_b32 v26, v26, v18, s1 :: v_dual_cndmask_b32 v8, v27, v8, s1
	v_alignbit_b32 v29, v22, v26, v25
	s_delay_alu instid0(VALU_DEP_1) | instskip(NEXT) | instid1(VALU_DEP_1)
	v_dual_cndmask_b32 v18, v18, v27, s1 :: v_dual_cndmask_b32 v7, v29, v22, vcc_lo
	v_alignbit_b32 v28, v26, v18, v25
	s_delay_alu instid0(VALU_DEP_4) | instskip(NEXT) | instid1(VALU_DEP_3)
	v_alignbit_b32 v25, v18, v8, v25
	v_bfe_u32 v24, v7, 29, 1
	s_delay_alu instid0(VALU_DEP_3) | instskip(NEXT) | instid1(VALU_DEP_2)
	v_cndmask_b32_e32 v22, v28, v26, vcc_lo
	v_dual_cndmask_b32 v18, v25, v18 :: v_dual_sub_nc_u32 v27, 0, v24
	s_delay_alu instid0(VALU_DEP_2) | instskip(NEXT) | instid1(VALU_DEP_2)
	v_alignbit_b32 v26, v7, v22, 30
	v_alignbit_b32 v22, v22, v18, 30
	;; [unrolled: 1-line block ×3, first 2 shown]
	s_delay_alu instid0(VALU_DEP_3) | instskip(NEXT) | instid1(VALU_DEP_2)
	v_xor_b32_e32 v26, v26, v27
	v_xor_b32_e32 v8, v8, v27
	s_delay_alu instid0(VALU_DEP_2) | instskip(NEXT) | instid1(VALU_DEP_1)
	v_clz_i32_u32_e32 v25, v26
	v_min_u32_e32 v25, 32, v25
	v_xor_b32_e32 v18, v22, v27
	s_delay_alu instid0(VALU_DEP_2) | instskip(SKIP_1) | instid1(VALU_DEP_1)
	v_dual_lshrrev_b32 v27, 29, v7 :: v_dual_lshlrev_b32 v28, 23, v25
	v_sub_nc_u32_e32 v22, 31, v25
	v_alignbit_b32 v26, v26, v18, v22
	v_alignbit_b32 v8, v18, v8, v22
	s_delay_alu instid0(VALU_DEP_4) | instskip(NEXT) | instid1(VALU_DEP_2)
	v_lshlrev_b32_e32 v18, 31, v27
	v_alignbit_b32 v22, v26, v8, 9
	s_delay_alu instid0(VALU_DEP_2) | instskip(SKIP_2) | instid1(VALU_DEP_4)
	v_or_b32_e32 v27, 0.5, v18
	v_lshrrev_b32_e32 v26, 9, v26
	v_or_b32_e32 v18, 0x33000000, v18
	v_clz_i32_u32_e32 v29, v22
	s_delay_alu instid0(VALU_DEP_4) | instskip(NEXT) | instid1(VALU_DEP_2)
	v_sub_nc_u32_e32 v27, v27, v28
	v_min_u32_e32 v28, 32, v29
	s_delay_alu instid0(VALU_DEP_2) | instskip(NEXT) | instid1(VALU_DEP_2)
	v_or_b32_e32 v26, v26, v27
	v_not_b32_e32 v27, v28
	v_add_lshl_u32 v25, v28, v25, 23
	s_delay_alu instid0(VALU_DEP_2) | instskip(NEXT) | instid1(VALU_DEP_1)
	v_alignbit_b32 v8, v22, v8, v27
	v_dual_sub_nc_u32 v18, v18, v25 :: v_dual_lshrrev_b32 v8, 9, v8
	s_delay_alu instid0(VALU_DEP_1) | instskip(SKIP_1) | instid1(VALU_DEP_1)
	v_or_b32_e32 v8, v18, v8
	v_mul_f32_e32 v29, 0x3fc90fda, v26
	v_fma_f32 v22, 0x3fc90fda, v26, -v29
	s_delay_alu instid0(VALU_DEP_1) | instskip(NEXT) | instid1(VALU_DEP_1)
	v_fmac_f32_e32 v22, 0x33a22168, v26
	v_fmac_f32_e32 v22, 0x3fc90fda, v8
	s_delay_alu instid0(VALU_DEP_1) | instskip(NEXT) | instid1(VALU_DEP_1)
	v_dual_add_f32 v7, v29, v22 :: v_dual_lshrrev_b32 v8, 30, v7
	v_add_nc_u32_e32 v8, v24, v8
.LBB162_209:                            ;   in Loop: Header=BB162_180 Depth=1
	s_or_saveexec_b32 s0, s20
	v_mul_f32_e64 v18, 0x3f22f983, |v11|
	s_delay_alu instid0(VALU_DEP_1)
	v_rndne_f32_e32 v24, v18
	s_xor_b32 exec_lo, exec_lo, s0
; %bb.210:                              ;   in Loop: Header=BB162_180 Depth=1
	s_delay_alu instid0(VALU_DEP_1) | instskip(SKIP_1) | instid1(VALU_DEP_2)
	v_fma_f32 v7, 0xbfc90fda, v24, |v11|
	v_cvt_i32_f32_e32 v8, v24
	v_fmac_f32_e32 v7, 0xb3a22168, v24
	s_delay_alu instid0(VALU_DEP_1)
	v_fmac_f32_e32 v7, 0xa7c234c4, v24
; %bb.211:                              ;   in Loop: Header=BB162_180 Depth=1
	s_or_b32 exec_lo, exec_lo, s0
                                        ; implicit-def: $vgpr22
                                        ; implicit-def: $vgpr18
	s_and_saveexec_b32 s0, s19
	s_delay_alu instid0(SALU_CYCLE_1)
	s_xor_b32 s19, exec_lo, s0
	s_cbranch_execz .LBB162_213
; %bb.212:                              ;   in Loop: Header=BB162_180 Depth=1
	v_mul_u64_e32 v[24:25], s[4:5], v[16:17]
	v_mov_b32_e32 v27, v17
	v_cmp_lt_u32_e32 vcc_lo, 63, v9
	v_mov_b32_e32 v37, v17
	v_cndmask_b32_e64 v18, 0, 0xffffffc0, vcc_lo
	s_delay_alu instid0(VALU_DEP_1) | instskip(NEXT) | instid1(VALU_DEP_1)
	v_add_nc_u32_e32 v9, v18, v9
	v_cmp_lt_u32_e64 s0, 31, v9
	s_delay_alu instid0(VALU_DEP_1) | instskip(NEXT) | instid1(VALU_DEP_1)
	v_cndmask_b32_e64 v18, 0, 0xffffffe0, s0
	v_dual_mov_b32 v26, v25 :: v_dual_add_nc_u32 v9, v18, v9
	s_delay_alu instid0(VALU_DEP_1) | instskip(NEXT) | instid1(VALU_DEP_2)
	v_cmp_lt_u32_e64 s1, 31, v9
	v_mad_nc_u64_u32 v[26:27], 0x3c439041, v16, v[26:27]
	s_delay_alu instid0(VALU_DEP_1) | instskip(NEXT) | instid1(VALU_DEP_1)
	v_dual_mov_b32 v29, v17 :: v_dual_mov_b32 v28, v27
	v_mad_nc_u64_u32 v[28:29], 0xdb629599, v16, v[28:29]
	s_delay_alu instid0(VALU_DEP_1) | instskip(NEXT) | instid1(VALU_DEP_2)
	v_dual_mov_b32 v31, v17 :: v_dual_mov_b32 v30, v29
	v_cndmask_b32_e32 v24, v28, v24, vcc_lo
	s_delay_alu instid0(VALU_DEP_2) | instskip(NEXT) | instid1(VALU_DEP_1)
	v_mad_nc_u64_u32 v[30:31], 0xf534ddc0, v16, v[30:31]
	v_dual_mov_b32 v33, v17 :: v_dual_mov_b32 v32, v31
	s_delay_alu instid0(VALU_DEP_1) | instskip(NEXT) | instid1(VALU_DEP_1)
	v_mad_nc_u64_u32 v[32:33], 0xfc2757d1, v16, v[32:33]
	v_dual_mov_b32 v35, v17 :: v_dual_mov_b32 v34, v33
	s_delay_alu instid0(VALU_DEP_2) | instskip(NEXT) | instid1(VALU_DEP_2)
	v_cndmask_b32_e32 v27, v32, v28, vcc_lo
	v_mad_nc_u64_u32 v[34:35], 0x4e441529, v16, v[34:35]
	s_delay_alu instid0(VALU_DEP_1) | instskip(NEXT) | instid1(VALU_DEP_1)
	v_mov_b32_e32 v36, v35
	v_mad_nc_u64_u32 v[36:37], 0xa2f9836e, v16, v[36:37]
	v_cndmask_b32_e64 v16, 0, 0xffffffe0, s1
	s_delay_alu instid0(VALU_DEP_1) | instskip(NEXT) | instid1(VALU_DEP_3)
	v_dual_cndmask_b32 v18, v34, v30 :: v_dual_add_nc_u32 v9, v16, v9
	v_dual_cndmask_b32 v16, v30, v26, vcc_lo :: v_dual_cndmask_b32 v22, v36, v32, vcc_lo
	s_delay_alu instid0(VALU_DEP_4) | instskip(NEXT) | instid1(VALU_DEP_3)
	v_cndmask_b32_e32 v25, v37, v34, vcc_lo
	v_cmp_eq_u32_e32 vcc_lo, 0, v9
	s_delay_alu instid0(VALU_DEP_3) | instskip(NEXT) | instid1(VALU_DEP_3)
	v_cndmask_b32_e64 v26, v22, v18, s0
	v_dual_cndmask_b32 v22, v25, v22, s0 :: v_dual_cndmask_b32 v18, v18, v27, s0
	v_dual_sub_nc_u32 v25, 32, v9 :: v_dual_cndmask_b32 v27, v27, v16, s0
	s_delay_alu instid0(VALU_DEP_2) | instskip(NEXT) | instid1(VALU_DEP_1)
	v_dual_cndmask_b32 v16, v16, v24, s0 :: v_dual_cndmask_b32 v22, v22, v26, s1
	v_dual_cndmask_b32 v26, v26, v18, s1 :: v_dual_cndmask_b32 v16, v27, v16, s1
	s_delay_alu instid0(VALU_DEP_1) | instskip(NEXT) | instid1(VALU_DEP_1)
	v_alignbit_b32 v29, v22, v26, v25
	v_dual_cndmask_b32 v18, v18, v27, s1 :: v_dual_cndmask_b32 v9, v29, v22, vcc_lo
	s_delay_alu instid0(VALU_DEP_1) | instskip(NEXT) | instid1(VALU_DEP_4)
	v_alignbit_b32 v28, v26, v18, v25
	v_alignbit_b32 v25, v18, v16, v25
	s_delay_alu instid0(VALU_DEP_3) | instskip(NEXT) | instid1(VALU_DEP_3)
	v_bfe_u32 v24, v9, 29, 1
	v_cndmask_b32_e32 v22, v28, v26, vcc_lo
	s_delay_alu instid0(VALU_DEP_2) | instskip(NEXT) | instid1(VALU_DEP_2)
	v_dual_cndmask_b32 v18, v25, v18 :: v_dual_sub_nc_u32 v27, 0, v24
	v_alignbit_b32 v26, v9, v22, 30
	s_delay_alu instid0(VALU_DEP_2) | instskip(SKIP_1) | instid1(VALU_DEP_3)
	v_alignbit_b32 v22, v22, v18, 30
	v_alignbit_b32 v16, v18, v16, 30
	v_xor_b32_e32 v26, v26, v27
	s_delay_alu instid0(VALU_DEP_2) | instskip(NEXT) | instid1(VALU_DEP_2)
	v_xor_b32_e32 v16, v16, v27
	v_clz_i32_u32_e32 v25, v26
	s_delay_alu instid0(VALU_DEP_1) | instskip(SKIP_2) | instid1(VALU_DEP_3)
	v_min_u32_e32 v25, 32, v25
	v_dual_lshrrev_b32 v27, 29, v9 :: v_dual_bitop2_b32 v18, v22, v27 bitop3:0x14
	v_lshrrev_b32_e32 v9, 30, v9
	v_dual_sub_nc_u32 v22, 31, v25 :: v_dual_lshlrev_b32 v28, 23, v25
	s_delay_alu instid0(VALU_DEP_1) | instskip(SKIP_2) | instid1(VALU_DEP_2)
	v_alignbit_b32 v26, v26, v18, v22
	v_alignbit_b32 v16, v18, v16, v22
	v_lshlrev_b32_e32 v18, 31, v27
	v_alignbit_b32 v22, v26, v16, 9
	s_delay_alu instid0(VALU_DEP_2) | instskip(SKIP_2) | instid1(VALU_DEP_4)
	v_or_b32_e32 v27, 0.5, v18
	v_lshrrev_b32_e32 v26, 9, v26
	v_or_b32_e32 v18, 0x33000000, v18
	v_clz_i32_u32_e32 v29, v22
	s_delay_alu instid0(VALU_DEP_4) | instskip(NEXT) | instid1(VALU_DEP_2)
	v_sub_nc_u32_e32 v27, v27, v28
	v_min_u32_e32 v28, 32, v29
	s_delay_alu instid0(VALU_DEP_2) | instskip(NEXT) | instid1(VALU_DEP_2)
	v_or_b32_e32 v26, v26, v27
	v_not_b32_e32 v27, v28
	v_add_lshl_u32 v25, v28, v25, 23
	s_delay_alu instid0(VALU_DEP_2) | instskip(NEXT) | instid1(VALU_DEP_1)
	v_alignbit_b32 v16, v22, v16, v27
	v_dual_sub_nc_u32 v18, v18, v25 :: v_dual_lshrrev_b32 v16, 9, v16
	s_delay_alu instid0(VALU_DEP_1) | instskip(SKIP_1) | instid1(VALU_DEP_1)
	v_or_b32_e32 v16, v18, v16
	v_mul_f32_e32 v29, 0x3fc90fda, v26
	v_fma_f32 v22, 0x3fc90fda, v26, -v29
	s_delay_alu instid0(VALU_DEP_1) | instskip(NEXT) | instid1(VALU_DEP_1)
	v_fmac_f32_e32 v22, 0x33a22168, v26
	v_fmac_f32_e32 v22, 0x3fc90fda, v16
	s_delay_alu instid0(VALU_DEP_1)
	v_dual_add_f32 v18, v29, v22 :: v_dual_add_nc_u32 v22, v24, v9
                                        ; implicit-def: $vgpr24
	s_and_not1_saveexec_b32 s0, s19
	s_cbranch_execnz .LBB162_214
	s_branch .LBB162_215
.LBB162_213:                            ;   in Loop: Header=BB162_180 Depth=1
	s_and_not1_saveexec_b32 s0, s19
.LBB162_214:                            ;   in Loop: Header=BB162_180 Depth=1
	v_fma_f32 v18, 0xbfc90fda, v24, |v11|
	v_cvt_i32_f32_e32 v22, v24
	s_delay_alu instid0(VALU_DEP_2) | instskip(NEXT) | instid1(VALU_DEP_1)
	v_fmac_f32_e32 v18, 0xb3a22168, v24
	v_fmac_f32_e32 v18, 0xa7c234c4, v24
.LBB162_215:                            ;   in Loop: Header=BB162_180 Depth=1
	s_or_b32 exec_lo, exec_lo, s0
	s_delay_alu instid0(VALU_DEP_1) | instskip(SKIP_2) | instid1(VALU_DEP_3)
	v_dual_mul_f32 v9, v7, v7 :: v_dual_mul_f32 v16, v18, v18
	v_and_b32_e32 v29, 1, v22
	v_dual_lshlrev_b32 v8, 30, v8 :: v_dual_bitop2_b32 v24, 1, v8 bitop3:0x40
	v_dual_fmaak_f32 v25, s13, v9, 0x3c0881c4 :: v_dual_lshlrev_b32 v22, 30, v22
	s_delay_alu instid0(VALU_DEP_4) | instskip(NEXT) | instid1(VALU_DEP_3)
	v_fmaak_f32 v27, s13, v16, 0x3c0881c4
	v_cmp_eq_u32_e32 vcc_lo, 0, v24
	s_delay_alu instid0(VALU_DEP_4) | instskip(NEXT) | instid1(VALU_DEP_3)
	v_bitop3_b32 v6, v6, v8, 0x80000000 bitop3:0x78
	v_fmaak_f32 v27, v16, v27, 0xbe2aaa9d
	s_delay_alu instid0(VALU_DEP_1) | instskip(NEXT) | instid1(VALU_DEP_1)
	v_dual_fmaak_f32 v26, s14, v9, 0xbab64f3b :: v_dual_mul_f32 v27, v16, v27
	v_dual_fmaak_f32 v25, v9, v25, 0xbe2aaa9d :: v_dual_fmac_f32 v18, v18, v27
	s_delay_alu instid0(VALU_DEP_1) | instskip(NEXT) | instid1(VALU_DEP_1)
	v_dual_fmaak_f32 v28, s14, v16, 0xbab64f3b :: v_dual_mul_f32 v25, v9, v25
	v_dual_fmaak_f32 v26, v9, v26, 0x3d2aabf7 :: v_dual_fmac_f32 v7, v7, v25
	s_delay_alu instid0(VALU_DEP_1) | instskip(NEXT) | instid1(VALU_DEP_1)
	v_fmaak_f32 v26, v9, v26, 0xbf000004
	v_fma_f32 v9, v9, v26, 1.0
	s_delay_alu instid0(VALU_DEP_1) | instskip(NEXT) | instid1(VALU_DEP_1)
	v_dual_fmaak_f32 v28, v16, v28, 0x3d2aabf7 :: v_dual_cndmask_b32 v7, v9, v7
	v_fmaak_f32 v28, v16, v28, 0xbf000004
	v_cmp_eq_u32_e32 vcc_lo, 0, v29
	s_delay_alu instid0(VALU_DEP_3) | instskip(NEXT) | instid1(VALU_DEP_3)
	v_xor3_b32 v6, v6, v7, v11
	v_fma_f32 v16, v16, v28, 1.0
	s_delay_alu instid0(VALU_DEP_1) | instskip(SKIP_1) | instid1(VALU_DEP_2)
	v_cndmask_b32_e64 v8, -v18, v16, vcc_lo
	v_cmp_class_f32_e64 vcc_lo, v11, 0x1f8
	v_bitop3_b32 v7, v22, v8, 0x80000000 bitop3:0x6c
	s_delay_alu instid0(VALU_DEP_1) | instskip(NEXT) | instid1(VALU_DEP_1)
	v_mul_f32_e32 v6, v6, v7
	v_cndmask_b32_e32 v11, 0x7fc00000, v6, vcc_lo
.LBB162_216:                            ;   in Loop: Header=BB162_180 Depth=1
	s_or_b32 exec_lo, exec_lo, s18
	v_add_nc_u32_e32 v10, -2.0, v10
	s_delay_alu instid0(VALU_DEP_2)
	v_bfi_b32 v7, 0x7fffffff, 0, v11
.LBB162_217:                            ;   in Loop: Header=BB162_180 Depth=1
	s_or_b32 exec_lo, exec_lo, s17
	s_delay_alu instid0(VALU_DEP_2)
	v_mov_b32_e32 v6, v10
.LBB162_218:                            ;   in Loop: Header=BB162_180 Depth=1
	s_or_b32 exec_lo, exec_lo, s16
	v_and_b32_e32 v18, 0x7fffffff, v12
	s_mov_b32 s0, exec_lo
	s_delay_alu instid0(VALU_DEP_1)
	v_cmpx_gt_u32_e32 0x7f800000, v18
	s_xor_b32 s16, exec_lo, s0
	s_cbranch_execz .LBB162_240
; %bb.219:                              ;   in Loop: Header=BB162_180 Depth=1
	v_cmp_class_f32_e64 s0, v13, 0x1f8
	s_and_saveexec_b32 s1, s0
	s_delay_alu instid0(SALU_CYCLE_1)
	s_xor_b32 s17, exec_lo, s1
	s_cbranch_execz .LBB162_237
; %bb.220:                              ;   in Loop: Header=BB162_180 Depth=1
	v_and_b32_e32 v10, 0x7fffffff, v13
	s_mov_b32 s0, exec_lo
	v_cmpx_gt_u32_e32 0x41300000, v18
	s_xor_b32 s18, exec_lo, s0
	s_cbranch_execz .LBB162_226
; %bb.221:                              ;   in Loop: Header=BB162_180 Depth=1
                                        ; implicit-def: $vgpr8
                                        ; implicit-def: $vgpr9
	s_mov_b32 s1, exec_lo
	v_cmpx_ngt_f32_e64 0x48000000, |v13|
	s_xor_b32 s19, exec_lo, s1
	s_cbranch_execz .LBB162_223
; %bb.222:                              ;   in Loop: Header=BB162_180 Depth=1
	v_and_or_b32 v16, v10, s6, 0x800000
	v_dual_mov_b32 v33, v17 :: v_dual_mov_b32 v35, v17
	s_delay_alu instid0(VALU_DEP_2) | instskip(NEXT) | instid1(VALU_DEP_1)
	v_mul_u64_e32 v[8:9], s[4:5], v[16:17]
	v_dual_mov_b32 v25, v17 :: v_dual_mov_b32 v24, v9
	v_lshrrev_b32_e32 v9, 23, v10
	s_delay_alu instid0(VALU_DEP_2) | instskip(SKIP_1) | instid1(VALU_DEP_3)
	v_mad_nc_u64_u32 v[24:25], 0x3c439041, v16, v[24:25]
	v_mov_b32_e32 v27, v17
	v_add_nc_u32_e32 v9, 0xffffff88, v9
	s_delay_alu instid0(VALU_DEP_1) | instskip(NEXT) | instid1(VALU_DEP_4)
	v_cmp_lt_u32_e32 vcc_lo, 63, v9
	v_mov_b32_e32 v26, v25
	v_cndmask_b32_e64 v11, 0, 0xffffffc0, vcc_lo
	s_delay_alu instid0(VALU_DEP_2) | instskip(NEXT) | instid1(VALU_DEP_2)
	v_mad_nc_u64_u32 v[26:27], 0xdb629599, v16, v[26:27]
	v_dual_mov_b32 v29, v17 :: v_dual_add_nc_u32 v9, v11, v9
	s_delay_alu instid0(VALU_DEP_1) | instskip(NEXT) | instid1(VALU_DEP_3)
	v_cmp_lt_u32_e64 s0, 31, v9
	v_mov_b32_e32 v28, v27
	s_delay_alu instid0(VALU_DEP_2) | instskip(SKIP_1) | instid1(VALU_DEP_3)
	v_cndmask_b32_e64 v11, 0, 0xffffffe0, s0
	v_cndmask_b32_e32 v8, v26, v8, vcc_lo
	v_mad_nc_u64_u32 v[28:29], 0xf534ddc0, v16, v[28:29]
	s_delay_alu instid0(VALU_DEP_3) | instskip(NEXT) | instid1(VALU_DEP_1)
	v_dual_mov_b32 v31, v17 :: v_dual_add_nc_u32 v9, v11, v9
	v_cmp_lt_u32_e64 s1, 31, v9
	s_delay_alu instid0(VALU_DEP_3) | instskip(NEXT) | instid1(VALU_DEP_2)
	v_mov_b32_e32 v30, v29
	v_cndmask_b32_e64 v11, 0, 0xffffffe0, s1
	s_delay_alu instid0(VALU_DEP_2) | instskip(NEXT) | instid1(VALU_DEP_2)
	v_mad_nc_u64_u32 v[30:31], 0xfc2757d1, v16, v[30:31]
	v_dual_add_nc_u32 v9, v11, v9 :: v_dual_cndmask_b32 v11, v28, v24, vcc_lo
	s_delay_alu instid0(VALU_DEP_1) | instskip(NEXT) | instid1(VALU_DEP_3)
	v_cndmask_b32_e64 v8, v11, v8, s0
	v_dual_mov_b32 v32, v31 :: v_dual_cndmask_b32 v27, v30, v26
	s_delay_alu instid0(VALU_DEP_1) | instskip(NEXT) | instid1(VALU_DEP_1)
	v_mad_nc_u64_u32 v[32:33], 0x4e441529, v16, v[32:33]
	v_mov_b32_e32 v34, v33
	s_delay_alu instid0(VALU_DEP_1) | instskip(NEXT) | instid1(VALU_DEP_1)
	v_mad_nc_u64_u32 v[34:35], 0xa2f9836e, v16, v[34:35]
	v_dual_cndmask_b32 v16, v32, v28, vcc_lo :: v_dual_cndmask_b32 v22, v34, v30, vcc_lo
	s_delay_alu instid0(VALU_DEP_2) | instskip(SKIP_1) | instid1(VALU_DEP_2)
	v_cndmask_b32_e32 v25, v35, v32, vcc_lo
	v_cmp_eq_u32_e32 vcc_lo, 0, v9
	v_dual_cndmask_b32 v24, v22, v16, s0 :: v_dual_cndmask_b32 v22, v25, v22, s0
	v_dual_cndmask_b32 v16, v16, v27, s0 :: v_dual_sub_nc_u32 v25, 32, v9
	s_delay_alu instid0(VALU_DEP_2) | instskip(NEXT) | instid1(VALU_DEP_2)
	v_dual_cndmask_b32 v27, v27, v11, s0 :: v_dual_cndmask_b32 v22, v22, v24, s1
	v_cndmask_b32_e64 v24, v24, v16, s1
	s_delay_alu instid0(VALU_DEP_2) | instskip(NEXT) | instid1(VALU_DEP_2)
	v_dual_cndmask_b32 v16, v16, v27, s1 :: v_dual_cndmask_b32 v8, v27, v8, s1
	v_alignbit_b32 v28, v22, v24, v25
	s_delay_alu instid0(VALU_DEP_2) | instskip(NEXT) | instid1(VALU_DEP_3)
	v_alignbit_b32 v26, v24, v16, v25
	v_alignbit_b32 v25, v16, v8, v25
	s_delay_alu instid0(VALU_DEP_2) | instskip(NEXT) | instid1(VALU_DEP_1)
	v_dual_cndmask_b32 v9, v28, v22, vcc_lo :: v_dual_cndmask_b32 v11, v26, v24, vcc_lo
	v_bfe_u32 v22, v9, 29, 1
	s_delay_alu instid0(VALU_DEP_2) | instskip(NEXT) | instid1(VALU_DEP_2)
	v_alignbit_b32 v24, v9, v11, 30
	v_dual_sub_nc_u32 v26, 0, v22 :: v_dual_cndmask_b32 v16, v25, v16, vcc_lo
	s_delay_alu instid0(VALU_DEP_1) | instskip(NEXT) | instid1(VALU_DEP_2)
	v_xor_b32_e32 v24, v24, v26
	v_alignbit_b32 v11, v11, v16, 30
	s_delay_alu instid0(VALU_DEP_2) | instskip(NEXT) | instid1(VALU_DEP_2)
	v_clz_i32_u32_e32 v25, v24
	v_xor_b32_e32 v11, v11, v26
	v_alignbit_b32 v8, v16, v8, 30
	s_delay_alu instid0(VALU_DEP_3) | instskip(NEXT) | instid1(VALU_DEP_2)
	v_min_u32_e32 v25, 32, v25
	v_dual_lshrrev_b32 v26, 29, v9 :: v_dual_bitop2_b32 v8, v8, v26 bitop3:0x14
	s_delay_alu instid0(VALU_DEP_2) | instskip(NEXT) | instid1(VALU_DEP_1)
	v_dual_sub_nc_u32 v16, 31, v25 :: v_dual_lshlrev_b32 v27, 23, v25
	v_alignbit_b32 v24, v24, v11, v16
	s_delay_alu instid0(VALU_DEP_3) | instskip(NEXT) | instid1(VALU_DEP_4)
	v_alignbit_b32 v8, v11, v8, v16
	v_lshlrev_b32_e32 v11, 31, v26
	s_delay_alu instid0(VALU_DEP_2) | instskip(NEXT) | instid1(VALU_DEP_2)
	v_alignbit_b32 v16, v24, v8, 9
	v_dual_lshrrev_b32 v24, 9, v24 :: v_dual_bitop2_b32 v26, 0.5, v11 bitop3:0x54
	v_or_b32_e32 v11, 0x33000000, v11
	s_delay_alu instid0(VALU_DEP_3) | instskip(NEXT) | instid1(VALU_DEP_3)
	v_clz_i32_u32_e32 v28, v16
	v_sub_nc_u32_e32 v26, v26, v27
	s_delay_alu instid0(VALU_DEP_2) | instskip(NEXT) | instid1(VALU_DEP_1)
	v_min_u32_e32 v27, 32, v28
	v_add_lshl_u32 v25, v27, v25, 23
	s_delay_alu instid0(VALU_DEP_1) | instskip(SKIP_1) | instid1(VALU_DEP_1)
	v_dual_sub_nc_u32 v11, v11, v25 :: v_dual_bitop2_b32 v24, v24, v26 bitop3:0x54
	v_not_b32_e32 v26, v27
	v_alignbit_b32 v8, v16, v8, v26
	s_delay_alu instid0(VALU_DEP_1) | instskip(NEXT) | instid1(VALU_DEP_4)
	v_lshrrev_b32_e32 v8, 9, v8
	v_mul_f32_e32 v28, 0x3fc90fda, v24
	s_delay_alu instid0(VALU_DEP_2) | instskip(NEXT) | instid1(VALU_DEP_2)
	v_or_b32_e32 v8, v11, v8
	v_fma_f32 v16, 0x3fc90fda, v24, -v28
	s_delay_alu instid0(VALU_DEP_1) | instskip(NEXT) | instid1(VALU_DEP_1)
	v_fmac_f32_e32 v16, 0x33a22168, v24
	v_fmac_f32_e32 v16, 0x3fc90fda, v8
	s_delay_alu instid0(VALU_DEP_1) | instskip(NEXT) | instid1(VALU_DEP_1)
	v_dual_add_f32 v9, v28, v16 :: v_dual_lshrrev_b32 v8, 30, v9
	v_add_nc_u32_e32 v8, v22, v8
.LBB162_223:                            ;   in Loop: Header=BB162_180 Depth=1
	s_and_not1_saveexec_b32 s0, s19
; %bb.224:                              ;   in Loop: Header=BB162_180 Depth=1
	v_mul_f32_e64 v8, 0x3f22f983, |v13|
	s_delay_alu instid0(VALU_DEP_1) | instskip(NEXT) | instid1(VALU_DEP_1)
	v_rndne_f32_e32 v8, v8
	v_fma_f32 v9, 0xbfc90fda, v8, |v13|
	s_delay_alu instid0(VALU_DEP_1) | instskip(NEXT) | instid1(VALU_DEP_1)
	v_fmac_f32_e32 v9, 0xb3a22168, v8
	v_fmac_f32_e32 v9, 0xa7c234c4, v8
	v_cvt_i32_f32_e32 v8, v8
; %bb.225:                              ;   in Loop: Header=BB162_180 Depth=1
	s_or_b32 exec_lo, exec_lo, s0
	v_add_f32_e64 v11, 0xbf317218, |v12|
	v_cmp_nlt_f32_e64 vcc_lo, 0x42b2d4fc, |v12|
	v_cmp_gt_f32_e64 s0, 0x39800000, |v12|
	v_and_b32_e32 v8, 1, v8
	s_delay_alu instid0(VALU_DEP_4) | instskip(NEXT) | instid1(VALU_DEP_1)
	v_sub_f32_e64 v25, v11, |v12|
	v_sub_f32_e32 v24, v25, v11
	s_delay_alu instid0(VALU_DEP_1) | instskip(NEXT) | instid1(VALU_DEP_1)
	v_pk_add_f32 v[24:25], v[18:19], v[24:25]
	v_sub_f32_e32 v16, v24, v25
	s_delay_alu instid0(VALU_DEP_1) | instskip(NEXT) | instid1(VALU_DEP_1)
	v_add_f32_e32 v16, 0x3102e308, v16
	v_add_f32_e32 v18, v11, v16
	s_delay_alu instid0(VALU_DEP_1) | instskip(NEXT) | instid1(VALU_DEP_1)
	v_dual_sub_f32 v11, v11, v18 :: v_dual_mul_f32 v22, 0x3fb8aa3b, v18
	v_add_f32_e32 v11, v16, v11
	s_delay_alu instid0(VALU_DEP_2) | instskip(NEXT) | instid1(VALU_DEP_1)
	v_rndne_f32_e32 v32, v22
	v_fmac_f32_e32 v18, 0xbf317200, v32
	v_mul_f32_e32 v16, 0x35bfbc00, v32
	s_delay_alu instid0(VALU_DEP_2) | instskip(NEXT) | instid1(VALU_DEP_1)
	v_dual_mul_f32 v27, 0x2ea39ef3, v32 :: v_dual_add_f32 v22, v11, v18
	v_sub_f32_e32 v24, v22, v16
	v_sub_f32_e32 v18, v18, v22
	s_delay_alu instid0(VALU_DEP_1) | instskip(NEXT) | instid1(VALU_DEP_1)
	v_dual_sub_f32 v22, v22, v24 :: v_dual_add_f32 v11, v11, v18
	v_sub_f32_e32 v16, v22, v16
	s_delay_alu instid0(VALU_DEP_1) | instskip(NEXT) | instid1(VALU_DEP_1)
	v_add_f32_e32 v11, v11, v16
	v_add_f32_e32 v25, v24, v11
	s_delay_alu instid0(VALU_DEP_1) | instskip(NEXT) | instid1(VALU_DEP_1)
	v_mov_b32_e32 v26, v25
	v_pk_add_f32 v[28:29], v[24:25], v[26:27] neg_lo:[0,1] neg_hi:[0,1]
	s_delay_alu instid0(VALU_DEP_1) | instskip(NEXT) | instid1(VALU_DEP_1)
	v_dual_sub_f32 v16, v25, v29 :: v_dual_add_f32 v11, v11, v28
	v_sub_f32_e32 v16, v16, v27
	s_delay_alu instid0(VALU_DEP_1) | instskip(NEXT) | instid1(VALU_DEP_1)
	v_add_f32_e32 v11, v11, v16
	v_add_f32_e32 v16, v29, v11
	s_delay_alu instid0(VALU_DEP_1) | instskip(SKIP_1) | instid1(VALU_DEP_2)
	v_sub_f32_e32 v18, v29, v16
	v_mov_b64_e32 v[28:29], s[6:7]
	v_add_f32_e32 v11, v11, v18
	s_delay_alu instid0(VALU_DEP_1) | instskip(SKIP_1) | instid1(VALU_DEP_2)
	v_dual_add_f32 v25, v11, v11 :: v_dual_mul_f32 v22, v16, v16
	v_fmaak_f32 v18, s12, v16, 0x3c091de6
	v_fma_f32 v24, v16, v16, -v22
	s_delay_alu instid0(VALU_DEP_2) | instskip(NEXT) | instid1(VALU_DEP_2)
	v_fmaak_f32 v18, v16, v18, 0x3d2aadcc
	v_fmac_f32_e32 v24, v16, v25
	s_delay_alu instid0(VALU_DEP_1) | instskip(NEXT) | instid1(VALU_DEP_1)
	v_dual_fmaak_f32 v18, v16, v18, 0x3e2aaa47 :: v_dual_add_f32 v25, v22, v24
	v_fmaak_f32 v18, v16, v18, 0x3efffffc
	s_delay_alu instid0(VALU_DEP_1) | instskip(NEXT) | instid1(VALU_DEP_1)
	v_dual_sub_f32 v22, v25, v22 :: v_dual_mul_f32 v26, v18, v25
	v_sub_f32_e32 v22, v24, v22
	s_delay_alu instid0(VALU_DEP_2) | instskip(NEXT) | instid1(VALU_DEP_1)
	v_fma_f32 v24, v25, v18, -v26
	v_fmac_f32_e32 v24, v22, v18
	s_delay_alu instid0(VALU_DEP_1) | instskip(NEXT) | instid1(VALU_DEP_1)
	v_add_f32_e32 v18, v26, v24
	v_add_f32_e32 v22, v16, v18
	s_delay_alu instid0(VALU_DEP_1) | instskip(SKIP_1) | instid1(VALU_DEP_1)
	v_sub_f32_e32 v16, v22, v16
	v_sub_f32_e32 v25, v18, v26
	v_dual_sub_f32 v24, v24, v25 :: v_dual_sub_f32 v16, v18, v16
	s_delay_alu instid0(VALU_DEP_1) | instskip(NEXT) | instid1(VALU_DEP_1)
	v_add_f32_e32 v11, v11, v24
	v_add_f32_e32 v24, v11, v16
	v_cvt_i32_f32_e32 v16, v32
	s_delay_alu instid0(VALU_DEP_2) | instskip(NEXT) | instid1(VALU_DEP_1)
	v_add_f32_e32 v26, v22, v24
	v_dual_add_f32 v27, 1.0, v26 :: v_dual_mov_b32 v25, v26
	s_delay_alu instid0(VALU_DEP_1) | instskip(SKIP_1) | instid1(VALU_DEP_2)
	v_pk_add_f32 v[28:29], v[26:27], v[28:29]
	v_pk_add_f32 v[30:31], v[26:27], v[22:23] neg_lo:[0,1] neg_hi:[0,1]
	v_mov_b32_e32 v31, v29
	s_delay_alu instid0(VALU_DEP_1) | instskip(NEXT) | instid1(VALU_DEP_1)
	v_pk_add_f32 v[24:25], v[24:25], v[30:31] neg_lo:[0,1] neg_hi:[0,1]
	v_add_f32_e32 v11, v24, v25
	s_delay_alu instid0(VALU_DEP_1) | instskip(NEXT) | instid1(VALU_DEP_1)
	v_add_f32_e32 v18, v27, v11
	v_ldexp_f32 v22, v18, v16
	v_sub_f32_e32 v18, v18, v27
	s_delay_alu instid0(VALU_DEP_2) | instskip(SKIP_1) | instid1(TRANS32_DEP_1)
	v_rcp_f32_e32 v24, v22
	v_nop
	v_dual_sub_f32 v11, v11, v18 :: v_dual_mul_f32 v18, v22, v24
	s_delay_alu instid0(VALU_DEP_1) | instskip(NEXT) | instid1(VALU_DEP_2)
	v_ldexp_f32 v11, v11, v16
	v_fma_f32 v16, v24, v22, -v18
	s_delay_alu instid0(VALU_DEP_1) | instskip(NEXT) | instid1(VALU_DEP_1)
	v_fmac_f32_e32 v16, v24, v11
	v_add_f32_e32 v25, v18, v16
	s_delay_alu instid0(VALU_DEP_1) | instskip(NEXT) | instid1(VALU_DEP_1)
	v_sub_f32_e32 v26, 1.0, v25
	v_sub_f32_e32 v27, 1.0, v26
	v_sub_f32_e32 v18, v25, v18
	s_delay_alu instid0(VALU_DEP_1) | instskip(NEXT) | instid1(VALU_DEP_1)
	v_dual_sub_f32 v16, v18, v16 :: v_dual_sub_f32 v18, v27, v25
	v_add_f32_e32 v16, v16, v18
	s_delay_alu instid0(VALU_DEP_1) | instskip(NEXT) | instid1(VALU_DEP_1)
	v_add_f32_e32 v18, v26, v16
	v_mul_f32_e32 v25, v24, v18
	s_delay_alu instid0(VALU_DEP_1) | instskip(NEXT) | instid1(VALU_DEP_1)
	v_mul_f32_e32 v27, v22, v25
	v_fma_f32 v28, v25, v22, -v27
	s_delay_alu instid0(VALU_DEP_1) | instskip(NEXT) | instid1(VALU_DEP_1)
	v_dual_sub_f32 v26, v26, v18 :: v_dual_fmac_f32 v28, v25, v11
	v_dual_add_f32 v16, v16, v26 :: v_dual_add_f32 v29, v27, v28
	s_delay_alu instid0(VALU_DEP_1) | instskip(NEXT) | instid1(VALU_DEP_1)
	v_dual_sub_f32 v30, v18, v29 :: v_dual_sub_f32 v26, v29, v27
	v_sub_f32_e32 v18, v18, v30
	s_delay_alu instid0(VALU_DEP_2) | instskip(NEXT) | instid1(VALU_DEP_2)
	v_sub_f32_e32 v26, v26, v28
	v_sub_f32_e32 v18, v18, v29
	s_delay_alu instid0(VALU_DEP_1) | instskip(NEXT) | instid1(VALU_DEP_1)
	v_add_f32_e32 v16, v16, v18
	v_dual_add_f32 v18, v24, v25 :: v_dual_add_f32 v16, v26, v16
	s_delay_alu instid0(VALU_DEP_1) | instskip(NEXT) | instid1(VALU_DEP_1)
	v_sub_f32_e32 v26, v18, v24
	v_dual_add_f32 v16, v30, v16 :: v_dual_sub_f32 v25, v25, v26
	s_delay_alu instid0(VALU_DEP_1) | instskip(NEXT) | instid1(VALU_DEP_1)
	v_mul_f32_e32 v16, v24, v16
	v_add_f32_e32 v16, v25, v16
	s_delay_alu instid0(VALU_DEP_1) | instskip(NEXT) | instid1(VALU_DEP_1)
	v_add_f32_e32 v24, v18, v16
	v_ldexp_f32 v25, v24, -2
	s_delay_alu instid0(VALU_DEP_1) | instskip(NEXT) | instid1(VALU_DEP_1)
	v_dual_sub_f32 v18, v24, v18 :: v_dual_sub_f32 v26, v22, v25
	v_sub_f32_e32 v22, v22, v26
	s_delay_alu instid0(VALU_DEP_1) | instskip(NEXT) | instid1(VALU_DEP_1)
	v_dual_sub_f32 v16, v16, v18 :: v_dual_sub_f32 v18, v22, v25
	v_ldexp_f32 v16, v16, -2
	s_delay_alu instid0(VALU_DEP_2) | instskip(NEXT) | instid1(VALU_DEP_1)
	v_add_f32_e32 v11, v11, v18
	v_dual_sub_f32 v11, v11, v16 :: v_dual_mul_f32 v16, v9, v9
	s_delay_alu instid0(VALU_DEP_1) | instskip(NEXT) | instid1(VALU_DEP_1)
	v_dual_add_f32 v11, v26, v11 :: v_dual_fmaak_f32 v18, s11, v16, 0xbf039337
	v_cndmask_b32_e32 v11, 0x7f800000, v11, vcc_lo
	s_delay_alu instid0(VALU_DEP_2) | instskip(NEXT) | instid1(VALU_DEP_2)
	v_fmaak_f32 v18, v16, v18, 0x3f93f425
	v_cndmask_b32_e64 v11, v11, |v12|, s0
	s_delay_alu instid0(VALU_DEP_1) | instskip(NEXT) | instid1(VALU_DEP_3)
	v_bfi_b32 v11, 0x7fffffff, v11, v12
	v_rcp_f32_e32 v12, v18
	v_nop
	v_fmaak_f32 v18, s10, v16, 0x3ec54587
	s_delay_alu instid0(VALU_DEP_3)
	v_fma_f32 v22, v11, v11, 1.0
	s_delay_alu instid0(TRANS32_DEP_1) | instid1(VALU_DEP_2)
	v_mul_f32_e32 v12, v18, v12
	s_delay_alu instid0(VALU_DEP_2) | instskip(SKIP_1) | instid1(VALU_DEP_2)
	v_mul_f32_e32 v18, 0x4f800000, v22
	v_cmp_gt_f32_e32 vcc_lo, 0xf800000, v22
	v_dual_mul_f32 v12, v16, v12 :: v_dual_cndmask_b32 v16, v22, v18, vcc_lo
	s_delay_alu instid0(VALU_DEP_1) | instskip(SKIP_1) | instid1(TRANS32_DEP_1)
	v_sqrt_f32_e32 v22, v16
	v_nop
	v_dual_fma_f32 v18, v12, v9, v9 :: v_dual_add_nc_u32 v26, -1, v22
	s_delay_alu instid0(VALU_DEP_1) | instskip(SKIP_1) | instid1(VALU_DEP_1)
	v_rcp_f32_e32 v24, v18
	v_sub_f32_e32 v25, v18, v9
	v_dual_fma_f32 v27, -v26, v22, v16 :: v_dual_fma_f32 v9, v12, v9, -v25
	s_delay_alu instid0(TRANS32_DEP_1) | instskip(SKIP_1) | instid1(VALU_DEP_3)
	v_fma_f32 v12, v18, -v24, 1.0
	v_add_nc_u32_e32 v25, 1, v22
	v_cmp_ge_f32_e64 s0, 0, v27
	s_delay_alu instid0(VALU_DEP_3) | instskip(NEXT) | instid1(VALU_DEP_3)
	v_fma_f32 v9, v9, -v24, v12
	v_fma_f32 v12, -v25, v22, v16
	s_delay_alu instid0(VALU_DEP_3) | instskip(NEXT) | instid1(VALU_DEP_2)
	v_cndmask_b32_e64 v22, v22, v26, s0
	v_cmp_lt_f32_e64 s0, 0, v12
	s_delay_alu instid0(VALU_DEP_1) | instskip(SKIP_1) | instid1(VALU_DEP_1)
	v_dual_fma_f32 v9, v9, -v24, -v24 :: v_dual_cndmask_b32 v12, v22, v25, s0
	v_cmp_eq_u32_e64 s0, 0, v8
	v_cndmask_b32_e64 v8, v9, v18, s0
	s_delay_alu instid0(VALU_DEP_3) | instskip(NEXT) | instid1(VALU_DEP_2)
	v_mul_f32_e32 v9, 0x37800000, v12
	v_xor3_b32 v10, v10, v8, v13
	s_delay_alu instid0(VALU_DEP_2) | instskip(SKIP_1) | instid1(VALU_DEP_3)
	v_cndmask_b32_e32 v8, v12, v9, vcc_lo
	v_cmp_class_f32_e64 vcc_lo, v16, 0x260
	v_fma_f32 v9, v10, v10, 1.0
	s_delay_alu instid0(VALU_DEP_1) | instskip(NEXT) | instid1(VALU_DEP_1)
	v_dual_cndmask_b32 v8, v8, v16, vcc_lo :: v_dual_mul_f32 v12, v11, v9
	v_mul_f32_e32 v8, v8, v9
	s_delay_alu instid0(VALU_DEP_2) | instskip(NEXT) | instid1(VALU_DEP_2)
	v_fma_f32 v9, v11, v12, 1.0
	v_mul_f32_e32 v8, v11, v8
	s_delay_alu instid0(VALU_DEP_2) | instskip(NEXT) | instid1(VALU_DEP_2)
	v_div_scale_f32 v12, null, v9, v9, v10
	v_div_scale_f32 v11, null, v9, v9, v8
	v_div_scale_f32 v24, vcc_lo, v8, v9, v8
	s_delay_alu instid0(VALU_DEP_3) | instskip(NEXT) | instid1(VALU_DEP_2)
	v_rcp_f32_e32 v16, v12
	v_rcp_f32_e32 v13, v11
	s_delay_alu instid0(TRANS32_DEP_2) | instskip(NEXT) | instid1(TRANS32_DEP_1)
	v_fma_f32 v22, -v12, v16, 1.0
	v_fma_f32 v18, -v11, v13, 1.0
	s_delay_alu instid0(VALU_DEP_2) | instskip(NEXT) | instid1(VALU_DEP_2)
	v_fmac_f32_e32 v16, v22, v16
	v_fmac_f32_e32 v13, v18, v13
	v_div_scale_f32 v18, s0, v10, v9, v10
	s_delay_alu instid0(VALU_DEP_1) | instskip(NEXT) | instid1(VALU_DEP_1)
	v_dual_mul_f32 v22, v24, v13 :: v_dual_mul_f32 v25, v18, v16
	v_fma_f32 v26, -v11, v22, v24
	s_delay_alu instid0(VALU_DEP_1) | instskip(NEXT) | instid1(VALU_DEP_1)
	v_fmac_f32_e32 v22, v26, v13
	v_dual_fma_f32 v27, -v12, v25, v18 :: v_dual_fma_f32 v11, -v11, v22, v24
	s_delay_alu instid0(VALU_DEP_1) | instskip(NEXT) | instid1(VALU_DEP_2)
	v_fmac_f32_e32 v25, v27, v16
	v_div_fmas_f32 v11, v11, v13, v22
	s_delay_alu instid0(VALU_DEP_2) | instskip(SKIP_1) | instid1(VALU_DEP_2)
	v_fma_f32 v12, -v12, v25, v18
	s_mov_b32 vcc_lo, s0
	v_div_fixup_f32 v8, v11, v9, v8
	s_delay_alu instid0(VALU_DEP_2) | instskip(NEXT) | instid1(VALU_DEP_1)
	v_div_fmas_f32 v12, v12, v16, v25
	v_div_fixup_f32 v9, v12, v9, v10
                                        ; implicit-def: $vgpr10_vgpr11_vgpr12_vgpr13
                                        ; implicit-def: $vgpr10
.LBB162_226:                            ;   in Loop: Header=BB162_180 Depth=1
	s_and_not1_saveexec_b32 s18, s18
	s_cbranch_execz .LBB162_236
; %bb.227:                              ;   in Loop: Header=BB162_180 Depth=1
	v_lshrrev_b32_e32 v8, 23, v10
	v_cmp_ngt_f32_e64 s19, 0x48000000, |v13|
	v_and_or_b32 v16, v10, s6, 0x800000
                                        ; implicit-def: $vgpr11
	s_delay_alu instid0(VALU_DEP_3) | instskip(SKIP_1) | instid1(SALU_CYCLE_1)
	v_add_nc_u32_e32 v9, 0xffffff88, v8
                                        ; implicit-def: $vgpr8
	s_and_saveexec_b32 s0, s19
	s_xor_b32 s20, exec_lo, s0
	s_cbranch_execz .LBB162_229
; %bb.228:                              ;   in Loop: Header=BB162_180 Depth=1
	v_mul_u64_e32 v[24:25], s[4:5], v[16:17]
	v_mov_b32_e32 v27, v17
	v_cmp_lt_u32_e32 vcc_lo, 63, v9
	v_mov_b32_e32 v37, v17
	v_cndmask_b32_e64 v8, 0, 0xffffffc0, vcc_lo
	s_delay_alu instid0(VALU_DEP_1) | instskip(NEXT) | instid1(VALU_DEP_1)
	v_add_nc_u32_e32 v8, v8, v9
	v_cmp_lt_u32_e64 s0, 31, v8
	s_delay_alu instid0(VALU_DEP_1) | instskip(SKIP_1) | instid1(VALU_DEP_1)
	v_cndmask_b32_e64 v11, 0, 0xffffffe0, s0
	v_mov_b32_e32 v26, v25
	v_mad_nc_u64_u32 v[26:27], 0x3c439041, v16, v[26:27]
	s_delay_alu instid0(VALU_DEP_1) | instskip(NEXT) | instid1(VALU_DEP_1)
	v_dual_mov_b32 v29, v17 :: v_dual_mov_b32 v28, v27
	v_mad_nc_u64_u32 v[28:29], 0xdb629599, v16, v[28:29]
	s_delay_alu instid0(VALU_DEP_1) | instskip(NEXT) | instid1(VALU_DEP_2)
	v_dual_mov_b32 v31, v17 :: v_dual_mov_b32 v30, v29
	v_cndmask_b32_e32 v24, v28, v24, vcc_lo
	s_delay_alu instid0(VALU_DEP_2) | instskip(NEXT) | instid1(VALU_DEP_1)
	v_mad_nc_u64_u32 v[30:31], 0xf534ddc0, v16, v[30:31]
	v_dual_mov_b32 v33, v17 :: v_dual_mov_b32 v32, v31
	s_delay_alu instid0(VALU_DEP_1) | instskip(NEXT) | instid1(VALU_DEP_1)
	v_mad_nc_u64_u32 v[32:33], 0xfc2757d1, v16, v[32:33]
	v_dual_mov_b32 v35, v17 :: v_dual_mov_b32 v34, v33
	s_delay_alu instid0(VALU_DEP_1) | instskip(NEXT) | instid1(VALU_DEP_1)
	v_mad_nc_u64_u32 v[34:35], 0x4e441529, v16, v[34:35]
	v_dual_mov_b32 v36, v35 :: v_dual_cndmask_b32 v18, v34, v30, vcc_lo
	s_delay_alu instid0(VALU_DEP_1) | instskip(NEXT) | instid1(VALU_DEP_1)
	v_mad_nc_u64_u32 v[36:37], 0xa2f9836e, v16, v[36:37]
	v_dual_cndmask_b32 v25, v37, v34 :: v_dual_add_nc_u32 v8, v11, v8
	s_delay_alu instid0(VALU_DEP_1) | instskip(NEXT) | instid1(VALU_DEP_3)
	v_cmp_lt_u32_e64 s1, 31, v8
	v_cndmask_b32_e32 v22, v36, v32, vcc_lo
	v_cndmask_b32_e32 v27, v32, v28, vcc_lo
	s_delay_alu instid0(VALU_DEP_3) | instskip(NEXT) | instid1(VALU_DEP_1)
	v_cndmask_b32_e64 v11, 0, 0xffffffe0, s1
	v_dual_cndmask_b32 v11, v30, v26 :: v_dual_add_nc_u32 v8, v11, v8
	s_delay_alu instid0(VALU_DEP_4) | instskip(NEXT) | instid1(VALU_DEP_4)
	v_cndmask_b32_e64 v26, v22, v18, s0
	v_dual_cndmask_b32 v22, v25, v22, s0 :: v_dual_cndmask_b32 v18, v18, v27, s0
	s_delay_alu instid0(VALU_DEP_3) | instskip(SKIP_1) | instid1(VALU_DEP_3)
	v_dual_sub_nc_u32 v25, 32, v8 :: v_dual_cndmask_b32 v27, v27, v11, s0
	v_cmp_eq_u32_e32 vcc_lo, 0, v8
	v_cndmask_b32_e64 v22, v22, v26, s1
	s_delay_alu instid0(VALU_DEP_4) | instskip(NEXT) | instid1(VALU_DEP_1)
	v_cndmask_b32_e64 v26, v26, v18, s1
	v_alignbit_b32 v29, v22, v26, v25
	s_delay_alu instid0(VALU_DEP_1) | instskip(NEXT) | instid1(VALU_DEP_1)
	v_dual_cndmask_b32 v18, v18, v27, s1 :: v_dual_cndmask_b32 v8, v29, v22, vcc_lo
	v_alignbit_b32 v28, v26, v18, v25
	v_cndmask_b32_e64 v11, v11, v24, s0
	s_delay_alu instid0(VALU_DEP_3) | instskip(NEXT) | instid1(VALU_DEP_2)
	v_bfe_u32 v24, v8, 29, 1
	v_dual_cndmask_b32 v22, v28, v26, vcc_lo :: v_dual_cndmask_b32 v11, v27, v11, s1
	s_delay_alu instid0(VALU_DEP_2) | instskip(NEXT) | instid1(VALU_DEP_2)
	v_sub_nc_u32_e32 v27, 0, v24
	v_alignbit_b32 v26, v8, v22, 30
	s_delay_alu instid0(VALU_DEP_3) | instskip(NEXT) | instid1(VALU_DEP_1)
	v_alignbit_b32 v25, v18, v11, v25
	v_dual_cndmask_b32 v18, v25, v18, vcc_lo :: v_dual_bitop2_b32 v26, v26, v27 bitop3:0x14
	s_delay_alu instid0(VALU_DEP_1) | instskip(NEXT) | instid1(VALU_DEP_2)
	v_clz_i32_u32_e32 v25, v26
	v_alignbit_b32 v22, v22, v18, 30
	v_alignbit_b32 v11, v18, v11, 30
	s_delay_alu instid0(VALU_DEP_3) | instskip(NEXT) | instid1(VALU_DEP_3)
	v_min_u32_e32 v25, 32, v25
	v_xor_b32_e32 v18, v22, v27
	s_delay_alu instid0(VALU_DEP_3) | instskip(NEXT) | instid1(VALU_DEP_3)
	v_dual_lshrrev_b32 v27, 29, v8 :: v_dual_bitop2_b32 v11, v11, v27 bitop3:0x14
	v_dual_sub_nc_u32 v22, 31, v25 :: v_dual_lshlrev_b32 v28, 23, v25
	s_delay_alu instid0(VALU_DEP_1) | instskip(NEXT) | instid1(VALU_DEP_3)
	v_alignbit_b32 v26, v26, v18, v22
	v_alignbit_b32 v11, v18, v11, v22
	s_delay_alu instid0(VALU_DEP_4) | instskip(NEXT) | instid1(VALU_DEP_2)
	v_lshlrev_b32_e32 v18, 31, v27
	v_alignbit_b32 v22, v26, v11, 9
	s_delay_alu instid0(VALU_DEP_2) | instskip(SKIP_2) | instid1(VALU_DEP_4)
	v_or_b32_e32 v27, 0.5, v18
	v_lshrrev_b32_e32 v26, 9, v26
	v_or_b32_e32 v18, 0x33000000, v18
	v_clz_i32_u32_e32 v29, v22
	s_delay_alu instid0(VALU_DEP_4) | instskip(NEXT) | instid1(VALU_DEP_2)
	v_sub_nc_u32_e32 v27, v27, v28
	v_min_u32_e32 v28, 32, v29
	s_delay_alu instid0(VALU_DEP_2) | instskip(NEXT) | instid1(VALU_DEP_2)
	v_or_b32_e32 v26, v26, v27
	v_not_b32_e32 v27, v28
	v_add_lshl_u32 v25, v28, v25, 23
	s_delay_alu instid0(VALU_DEP_2) | instskip(NEXT) | instid1(VALU_DEP_1)
	v_alignbit_b32 v11, v22, v11, v27
	v_dual_sub_nc_u32 v18, v18, v25 :: v_dual_lshrrev_b32 v11, 9, v11
	s_delay_alu instid0(VALU_DEP_1) | instskip(SKIP_1) | instid1(VALU_DEP_1)
	v_or_b32_e32 v11, v18, v11
	v_mul_f32_e32 v29, 0x3fc90fda, v26
	v_fma_f32 v22, 0x3fc90fda, v26, -v29
	s_delay_alu instid0(VALU_DEP_1) | instskip(NEXT) | instid1(VALU_DEP_1)
	v_fmac_f32_e32 v22, 0x33a22168, v26
	v_dual_fmac_f32 v22, 0x3fc90fda, v11 :: v_dual_lshrrev_b32 v11, 30, v8
	s_delay_alu instid0(VALU_DEP_1)
	v_dual_add_f32 v8, v29, v22 :: v_dual_add_nc_u32 v11, v24, v11
	s_and_not1_saveexec_b32 s0, s20
	s_branch .LBB162_230
.LBB162_229:                            ;   in Loop: Header=BB162_180 Depth=1
	s_and_not1_saveexec_b32 s0, s20
.LBB162_230:                            ;   in Loop: Header=BB162_180 Depth=1
	v_mul_f32_e64 v8, 0x3f22f983, |v13|
	s_delay_alu instid0(VALU_DEP_1) | instskip(NEXT) | instid1(VALU_DEP_1)
	v_rndne_f32_e32 v11, v8
	v_fma_f32 v8, 0xbfc90fda, v11, |v13|
	s_delay_alu instid0(VALU_DEP_1) | instskip(NEXT) | instid1(VALU_DEP_1)
	v_fmac_f32_e32 v8, 0xb3a22168, v11
	v_fmac_f32_e32 v8, 0xa7c234c4, v11
	v_cvt_i32_f32_e32 v11, v11
; %bb.231:                              ;   in Loop: Header=BB162_180 Depth=1
	s_or_b32 exec_lo, exec_lo, s0
                                        ; implicit-def: $vgpr22
                                        ; implicit-def: $vgpr18
	s_and_saveexec_b32 s0, s19
	s_delay_alu instid0(SALU_CYCLE_1)
	s_xor_b32 s19, exec_lo, s0
	s_cbranch_execz .LBB162_233
; %bb.232:                              ;   in Loop: Header=BB162_180 Depth=1
	v_mul_u64_e32 v[24:25], s[4:5], v[16:17]
	v_mov_b32_e32 v27, v17
	v_cmp_lt_u32_e32 vcc_lo, 63, v9
	v_mov_b32_e32 v37, v17
	v_cndmask_b32_e64 v18, 0, 0xffffffc0, vcc_lo
	s_delay_alu instid0(VALU_DEP_1) | instskip(NEXT) | instid1(VALU_DEP_1)
	v_add_nc_u32_e32 v9, v18, v9
	v_cmp_lt_u32_e64 s0, 31, v9
	s_delay_alu instid0(VALU_DEP_1) | instskip(NEXT) | instid1(VALU_DEP_1)
	v_cndmask_b32_e64 v18, 0, 0xffffffe0, s0
	v_dual_mov_b32 v26, v25 :: v_dual_add_nc_u32 v9, v18, v9
	s_delay_alu instid0(VALU_DEP_1) | instskip(NEXT) | instid1(VALU_DEP_2)
	v_cmp_lt_u32_e64 s1, 31, v9
	v_mad_nc_u64_u32 v[26:27], 0x3c439041, v16, v[26:27]
	s_delay_alu instid0(VALU_DEP_1) | instskip(NEXT) | instid1(VALU_DEP_1)
	v_dual_mov_b32 v29, v17 :: v_dual_mov_b32 v28, v27
	v_mad_nc_u64_u32 v[28:29], 0xdb629599, v16, v[28:29]
	s_delay_alu instid0(VALU_DEP_1) | instskip(NEXT) | instid1(VALU_DEP_2)
	v_dual_mov_b32 v31, v17 :: v_dual_mov_b32 v30, v29
	v_cndmask_b32_e32 v24, v28, v24, vcc_lo
	s_delay_alu instid0(VALU_DEP_2) | instskip(NEXT) | instid1(VALU_DEP_1)
	v_mad_nc_u64_u32 v[30:31], 0xf534ddc0, v16, v[30:31]
	v_dual_mov_b32 v33, v17 :: v_dual_mov_b32 v32, v31
	s_delay_alu instid0(VALU_DEP_1) | instskip(NEXT) | instid1(VALU_DEP_1)
	v_mad_nc_u64_u32 v[32:33], 0xfc2757d1, v16, v[32:33]
	v_dual_mov_b32 v35, v17 :: v_dual_mov_b32 v34, v33
	s_delay_alu instid0(VALU_DEP_2) | instskip(NEXT) | instid1(VALU_DEP_2)
	v_cndmask_b32_e32 v27, v32, v28, vcc_lo
	v_mad_nc_u64_u32 v[34:35], 0x4e441529, v16, v[34:35]
	s_delay_alu instid0(VALU_DEP_1) | instskip(NEXT) | instid1(VALU_DEP_1)
	v_mov_b32_e32 v36, v35
	v_mad_nc_u64_u32 v[36:37], 0xa2f9836e, v16, v[36:37]
	v_cndmask_b32_e64 v16, 0, 0xffffffe0, s1
	s_delay_alu instid0(VALU_DEP_1) | instskip(NEXT) | instid1(VALU_DEP_3)
	v_dual_cndmask_b32 v18, v34, v30 :: v_dual_add_nc_u32 v9, v16, v9
	v_dual_cndmask_b32 v16, v30, v26, vcc_lo :: v_dual_cndmask_b32 v22, v36, v32, vcc_lo
	s_delay_alu instid0(VALU_DEP_4) | instskip(NEXT) | instid1(VALU_DEP_3)
	v_cndmask_b32_e32 v25, v37, v34, vcc_lo
	v_cmp_eq_u32_e32 vcc_lo, 0, v9
	s_delay_alu instid0(VALU_DEP_3) | instskip(NEXT) | instid1(VALU_DEP_3)
	v_cndmask_b32_e64 v26, v22, v18, s0
	v_dual_cndmask_b32 v22, v25, v22, s0 :: v_dual_cndmask_b32 v18, v18, v27, s0
	v_dual_sub_nc_u32 v25, 32, v9 :: v_dual_cndmask_b32 v27, v27, v16, s0
	s_delay_alu instid0(VALU_DEP_2) | instskip(NEXT) | instid1(VALU_DEP_1)
	v_dual_cndmask_b32 v16, v16, v24, s0 :: v_dual_cndmask_b32 v22, v22, v26, s1
	v_dual_cndmask_b32 v26, v26, v18, s1 :: v_dual_cndmask_b32 v16, v27, v16, s1
	s_delay_alu instid0(VALU_DEP_1) | instskip(NEXT) | instid1(VALU_DEP_1)
	v_alignbit_b32 v29, v22, v26, v25
	v_dual_cndmask_b32 v18, v18, v27, s1 :: v_dual_cndmask_b32 v9, v29, v22, vcc_lo
	s_delay_alu instid0(VALU_DEP_1) | instskip(NEXT) | instid1(VALU_DEP_4)
	v_alignbit_b32 v28, v26, v18, v25
	v_alignbit_b32 v25, v18, v16, v25
	s_delay_alu instid0(VALU_DEP_3) | instskip(NEXT) | instid1(VALU_DEP_3)
	v_bfe_u32 v24, v9, 29, 1
	v_cndmask_b32_e32 v22, v28, v26, vcc_lo
	s_delay_alu instid0(VALU_DEP_2) | instskip(NEXT) | instid1(VALU_DEP_2)
	v_dual_cndmask_b32 v18, v25, v18 :: v_dual_sub_nc_u32 v27, 0, v24
	v_alignbit_b32 v26, v9, v22, 30
	s_delay_alu instid0(VALU_DEP_2) | instskip(SKIP_1) | instid1(VALU_DEP_3)
	v_alignbit_b32 v22, v22, v18, 30
	v_alignbit_b32 v16, v18, v16, 30
	v_xor_b32_e32 v26, v26, v27
	s_delay_alu instid0(VALU_DEP_2) | instskip(NEXT) | instid1(VALU_DEP_2)
	v_xor_b32_e32 v16, v16, v27
	v_clz_i32_u32_e32 v25, v26
	s_delay_alu instid0(VALU_DEP_1) | instskip(SKIP_2) | instid1(VALU_DEP_3)
	v_min_u32_e32 v25, 32, v25
	v_dual_lshrrev_b32 v27, 29, v9 :: v_dual_bitop2_b32 v18, v22, v27 bitop3:0x14
	v_lshrrev_b32_e32 v9, 30, v9
	v_dual_sub_nc_u32 v22, 31, v25 :: v_dual_lshlrev_b32 v28, 23, v25
	s_delay_alu instid0(VALU_DEP_1) | instskip(SKIP_2) | instid1(VALU_DEP_2)
	v_alignbit_b32 v26, v26, v18, v22
	v_alignbit_b32 v16, v18, v16, v22
	v_lshlrev_b32_e32 v18, 31, v27
	v_alignbit_b32 v22, v26, v16, 9
	s_delay_alu instid0(VALU_DEP_2) | instskip(SKIP_2) | instid1(VALU_DEP_4)
	v_or_b32_e32 v27, 0.5, v18
	v_lshrrev_b32_e32 v26, 9, v26
	v_or_b32_e32 v18, 0x33000000, v18
	v_clz_i32_u32_e32 v29, v22
	s_delay_alu instid0(VALU_DEP_4) | instskip(NEXT) | instid1(VALU_DEP_2)
	v_sub_nc_u32_e32 v27, v27, v28
	v_min_u32_e32 v28, 32, v29
	s_delay_alu instid0(VALU_DEP_2) | instskip(NEXT) | instid1(VALU_DEP_2)
	v_or_b32_e32 v26, v26, v27
	v_not_b32_e32 v27, v28
	v_add_lshl_u32 v25, v28, v25, 23
	s_delay_alu instid0(VALU_DEP_2) | instskip(NEXT) | instid1(VALU_DEP_1)
	v_alignbit_b32 v16, v22, v16, v27
	v_dual_sub_nc_u32 v18, v18, v25 :: v_dual_lshrrev_b32 v16, 9, v16
	s_delay_alu instid0(VALU_DEP_1) | instskip(SKIP_1) | instid1(VALU_DEP_1)
	v_or_b32_e32 v16, v18, v16
	v_mul_f32_e32 v29, 0x3fc90fda, v26
	v_fma_f32 v22, 0x3fc90fda, v26, -v29
	s_delay_alu instid0(VALU_DEP_1) | instskip(NEXT) | instid1(VALU_DEP_1)
	v_fmac_f32_e32 v22, 0x33a22168, v26
	v_fmac_f32_e32 v22, 0x3fc90fda, v16
	s_delay_alu instid0(VALU_DEP_1)
	v_dual_add_f32 v18, v29, v22 :: v_dual_add_nc_u32 v22, v24, v9
	s_and_not1_saveexec_b32 s0, s19
	s_cbranch_execnz .LBB162_234
	s_branch .LBB162_235
.LBB162_233:                            ;   in Loop: Header=BB162_180 Depth=1
	s_and_not1_saveexec_b32 s0, s19
.LBB162_234:                            ;   in Loop: Header=BB162_180 Depth=1
	v_mul_f32_e64 v9, 0x3f22f983, |v13|
	s_delay_alu instid0(VALU_DEP_1) | instskip(NEXT) | instid1(VALU_DEP_1)
	v_rndne_f32_e32 v9, v9
	v_fma_f32 v18, 0xbfc90fda, v9, |v13|
	v_cvt_i32_f32_e32 v22, v9
	s_delay_alu instid0(VALU_DEP_2) | instskip(NEXT) | instid1(VALU_DEP_1)
	v_fmac_f32_e32 v18, 0xb3a22168, v9
	v_fmac_f32_e32 v18, 0xa7c234c4, v9
.LBB162_235:                            ;   in Loop: Header=BB162_180 Depth=1
	s_or_b32 exec_lo, exec_lo, s0
	v_dual_mul_f32 v9, v8, v8 :: v_dual_bitop2_b32 v16, 1, v11 bitop3:0x40
	v_lshlrev_b32_e32 v11, 30, v11
	v_mul_f32_e64 v24, 0xbfb8aa3b, |v12|
	s_delay_alu instid0(VALU_DEP_3) | instskip(NEXT) | instid1(VALU_DEP_4)
	v_fmaak_f32 v26, s14, v9, 0xbab64f3b
	v_cmp_eq_u32_e32 vcc_lo, 0, v16
	s_delay_alu instid0(VALU_DEP_4) | instskip(NEXT) | instid1(VALU_DEP_4)
	v_bitop3_b32 v10, v10, v11, 0x80000000 bitop3:0x78
	v_rndne_f32_e32 v11, v24
	v_fmaak_f32 v25, s13, v9, 0x3c0881c4
	v_fma_f32 v28, 0xbfb8aa3b, |v12|, -v24
	v_fmaak_f32 v26, v9, v26, 0x3d2aabf7
	s_delay_alu instid0(VALU_DEP_4) | instskip(SKIP_1) | instid1(VALU_DEP_4)
	v_sub_f32_e32 v24, v24, v11
	v_cvt_i32_f32_e32 v11, v11
	v_fma_f32 v28, 0xb2a5705f, |v12|, v28
	s_delay_alu instid0(VALU_DEP_1) | instskip(NEXT) | instid1(VALU_DEP_1)
	v_dual_fmaak_f32 v25, v9, v25, 0xbe2aaa9d :: v_dual_add_f32 v24, v24, v28
	v_dual_mul_f32 v27, v18, v18 :: v_dual_mul_f32 v25, v9, v25
	v_fmaak_f32 v26, v9, v26, 0xbf000004
	s_delay_alu instid0(VALU_DEP_3) | instskip(NEXT) | instid1(VALU_DEP_2)
	v_exp_f32_e32 v16, v24
	v_dual_fmaak_f32 v29, s13, v27, 0x3c0881c4 :: v_dual_fmac_f32 v8, v8, v25
	s_delay_alu instid0(VALU_DEP_2) | instskip(SKIP_1) | instid1(VALU_DEP_2)
	v_fma_f32 v9, v9, v26, 1.0
	v_fmaak_f32 v30, s14, v27, 0xbab64f3b
	v_dual_fmaak_f32 v29, v27, v29, 0xbe2aaa9d :: v_dual_cndmask_b32 v8, v9, v8
	s_delay_alu instid0(VALU_DEP_1) | instskip(NEXT) | instid1(VALU_DEP_2)
	v_mul_f32_e32 v26, v27, v29
	v_xor3_b32 v8, v10, v8, v13
	v_ldexp_f32 v10, v16, v11
	v_lshlrev_b32_e32 v11, 30, v22
	v_fmaak_f32 v25, v27, v30, 0x3d2aabf7
	s_delay_alu instid0(VALU_DEP_4) | instskip(NEXT) | instid1(VALU_DEP_2)
	v_dual_fmac_f32 v18, v18, v26 :: v_dual_mul_f32 v8, 4.0, v8
	v_fmaak_f32 v9, v27, v25, 0xbf000004
	s_delay_alu instid0(VALU_DEP_1) | instskip(SKIP_1) | instid1(VALU_DEP_1)
	v_fma_f32 v9, v27, v9, 1.0
	v_and_b32_e32 v24, 1, v22
	v_cmp_eq_u32_e32 vcc_lo, 0, v24
	s_delay_alu instid0(VALU_DEP_3) | instskip(SKIP_1) | instid1(VALU_DEP_2)
	v_cndmask_b32_e64 v9, -v18, v9, vcc_lo
	v_cmp_nlt_f32_e64 vcc_lo, 0x42ce8ed0, |v12|
	v_bitop3_b32 v9, v11, v9, 0x80000000 bitop3:0x6c
	v_cndmask_b32_e32 v10, 0, v10, vcc_lo
	v_cmp_ngt_f32_e64 vcc_lo, 0xc2b17218, |v12|
	s_delay_alu instid0(VALU_DEP_3) | instskip(NEXT) | instid1(VALU_DEP_3)
	v_mul_f32_e32 v8, v8, v9
	v_cndmask_b32_e32 v10, 0x7f800000, v10, vcc_lo
	s_delay_alu instid0(VALU_DEP_1) | instskip(SKIP_1) | instid1(VALU_DEP_2)
	v_mul_f32_e32 v9, v10, v8
	v_bfi_b32 v8, 0x7fffffff, 1.0, v12
	v_mul_f32_e32 v9, v10, v9
.LBB162_236:                            ;   in Loop: Header=BB162_180 Depth=1
	s_or_b32 exec_lo, exec_lo, s18
                                        ; implicit-def: $vgpr10_vgpr11_vgpr12_vgpr13
.LBB162_237:                            ;   in Loop: Header=BB162_180 Depth=1
	s_and_not1_saveexec_b32 s0, s17
; %bb.238:                              ;   in Loop: Header=BB162_180 Depth=1
	v_sub_f32_e32 v9, v13, v13
	s_delay_alu instid0(VALU_DEP_1)
	v_mov_b32_e32 v8, v9
; %bb.239:                              ;   in Loop: Header=BB162_180 Depth=1
	s_or_b32 exec_lo, exec_lo, s0
                                        ; implicit-def: $vgpr12
.LBB162_240:                            ;   in Loop: Header=BB162_180 Depth=1
	s_and_not1_saveexec_b32 s16, s16
	s_cbranch_execz .LBB162_256
; %bb.241:                              ;   in Loop: Header=BB162_180 Depth=1
	v_and_b32_e32 v8, 0x7fffff, v12
	s_mov_b32 s0, exec_lo
	s_delay_alu instid0(VALU_DEP_1)
	v_cmpx_ne_u32_e32 0, v8
	s_xor_b32 s0, exec_lo, s0
; %bb.242:                              ;   in Loop: Header=BB162_180 Depth=1
	v_mul_f32_e32 v8, v12, v13
	v_cmp_eq_f32_e32 vcc_lo, 0, v13
	s_delay_alu instid0(VALU_DEP_2)
	v_cndmask_b32_e32 v9, v8, v13, vcc_lo
; %bb.243:                              ;   in Loop: Header=BB162_180 Depth=1
	s_and_not1_saveexec_b32 s17, s0
	s_cbranch_execz .LBB162_255
; %bb.244:                              ;   in Loop: Header=BB162_180 Depth=1
	s_mov_b32 s18, exec_lo
	v_cmpx_neq_f32_e64 0x7f800000, |v13|
	s_cbranch_execz .LBB162_254
; %bb.245:                              ;   in Loop: Header=BB162_180 Depth=1
	v_and_b32_e32 v8, 0x7fffffff, v13
	v_cmp_ngt_f32_e64 s19, 0x48000000, |v13|
                                        ; implicit-def: $vgpr10
	s_delay_alu instid0(VALU_DEP_2) | instskip(SKIP_1) | instid1(VALU_DEP_2)
	v_lshrrev_b32_e32 v9, 23, v8
	v_and_or_b32 v16, v8, s6, 0x800000
	v_add_nc_u32_e32 v11, 0xffffff88, v9
                                        ; implicit-def: $vgpr9
	s_and_saveexec_b32 s0, s19
	s_delay_alu instid0(SALU_CYCLE_1)
	s_xor_b32 s20, exec_lo, s0
	s_cbranch_execz .LBB162_247
; %bb.246:                              ;   in Loop: Header=BB162_180 Depth=1
	v_mul_u64_e32 v[24:25], s[4:5], v[16:17]
	v_mov_b32_e32 v27, v17
	v_cmp_lt_u32_e32 vcc_lo, 63, v11
	v_cndmask_b32_e64 v9, 0, 0xffffffc0, vcc_lo
	s_delay_alu instid0(VALU_DEP_4) | instskip(NEXT) | instid1(VALU_DEP_1)
	v_mov_b32_e32 v26, v25
	v_mad_nc_u64_u32 v[26:27], 0x3c439041, v16, v[26:27]
	s_delay_alu instid0(VALU_DEP_1) | instskip(NEXT) | instid1(VALU_DEP_1)
	v_dual_mov_b32 v29, v17 :: v_dual_mov_b32 v28, v27
	v_mad_nc_u64_u32 v[28:29], 0xdb629599, v16, v[28:29]
	s_delay_alu instid0(VALU_DEP_1) | instskip(NEXT) | instid1(VALU_DEP_2)
	v_dual_mov_b32 v31, v17 :: v_dual_mov_b32 v30, v29
	v_cndmask_b32_e32 v24, v28, v24, vcc_lo
	s_delay_alu instid0(VALU_DEP_2) | instskip(NEXT) | instid1(VALU_DEP_1)
	v_mad_nc_u64_u32 v[30:31], 0xf534ddc0, v16, v[30:31]
	v_dual_mov_b32 v33, v17 :: v_dual_mov_b32 v32, v31
	s_delay_alu instid0(VALU_DEP_1) | instskip(NEXT) | instid1(VALU_DEP_1)
	v_mad_nc_u64_u32 v[32:33], 0xfc2757d1, v16, v[32:33]
	v_dual_mov_b32 v35, v17 :: v_dual_mov_b32 v34, v33
	s_delay_alu instid0(VALU_DEP_2) | instskip(NEXT) | instid1(VALU_DEP_2)
	v_cndmask_b32_e32 v27, v32, v28, vcc_lo
	v_mad_nc_u64_u32 v[34:35], 0x4e441529, v16, v[34:35]
	s_delay_alu instid0(VALU_DEP_1) | instskip(NEXT) | instid1(VALU_DEP_1)
	v_dual_mov_b32 v36, v35 :: v_dual_add_nc_u32 v9, v9, v11
	v_cmp_lt_u32_e64 s0, 31, v9
	s_delay_alu instid0(VALU_DEP_1) | instskip(NEXT) | instid1(VALU_DEP_1)
	v_cndmask_b32_e64 v10, 0, 0xffffffe0, s0
	v_dual_mov_b32 v37, v17 :: v_dual_add_nc_u32 v9, v10, v9
	s_delay_alu instid0(VALU_DEP_1) | instskip(SKIP_1) | instid1(VALU_DEP_3)
	v_mad_nc_u64_u32 v[36:37], 0xa2f9836e, v16, v[36:37]
	v_cndmask_b32_e32 v18, v34, v30, vcc_lo
	v_cmp_lt_u32_e64 s1, 31, v9
	s_delay_alu instid0(VALU_DEP_1) | instskip(NEXT) | instid1(VALU_DEP_4)
	v_cndmask_b32_e64 v10, 0, 0xffffffe0, s1
	v_dual_cndmask_b32 v22, v36, v32 :: v_dual_cndmask_b32 v25, v37, v34
	s_delay_alu instid0(VALU_DEP_2) | instskip(SKIP_1) | instid1(VALU_DEP_3)
	v_add_nc_u32_e32 v9, v10, v9
	v_cndmask_b32_e32 v10, v30, v26, vcc_lo
	v_cndmask_b32_e64 v26, v22, v18, s0
	s_delay_alu instid0(VALU_DEP_3) | instskip(NEXT) | instid1(VALU_DEP_3)
	v_dual_cndmask_b32 v22, v25, v22, s0 :: v_dual_sub_nc_u32 v25, 32, v9
	v_dual_cndmask_b32 v18, v18, v27, s0 :: v_dual_cndmask_b32 v27, v27, v10, s0
	s_delay_alu instid0(VALU_DEP_2) | instskip(SKIP_1) | instid1(VALU_DEP_3)
	v_cndmask_b32_e64 v22, v22, v26, s1
	v_cmp_eq_u32_e32 vcc_lo, 0, v9
	v_cndmask_b32_e64 v26, v26, v18, s1
	s_delay_alu instid0(VALU_DEP_1) | instskip(NEXT) | instid1(VALU_DEP_1)
	v_alignbit_b32 v29, v22, v26, v25
	v_dual_cndmask_b32 v18, v18, v27, s1 :: v_dual_cndmask_b32 v9, v29, v22, vcc_lo
	s_delay_alu instid0(VALU_DEP_1) | instskip(SKIP_1) | instid1(VALU_DEP_3)
	v_alignbit_b32 v28, v26, v18, v25
	v_cndmask_b32_e64 v10, v10, v24, s0
	v_bfe_u32 v24, v9, 29, 1
	s_delay_alu instid0(VALU_DEP_1) | instskip(NEXT) | instid1(VALU_DEP_1)
	v_dual_cndmask_b32 v10, v27, v10, s1 :: v_dual_sub_nc_u32 v27, 0, v24
	v_alignbit_b32 v25, v18, v10, v25
	s_delay_alu instid0(VALU_DEP_1) | instskip(SKIP_1) | instid1(VALU_DEP_1)
	v_cndmask_b32_e32 v18, v25, v18, vcc_lo
	v_cndmask_b32_e32 v22, v28, v26, vcc_lo
	v_alignbit_b32 v26, v9, v22, 30
	s_delay_alu instid0(VALU_DEP_3) | instskip(NEXT) | instid1(VALU_DEP_2)
	v_alignbit_b32 v22, v22, v18, 30
	v_xor_b32_e32 v26, v26, v27
	v_alignbit_b32 v10, v18, v10, 30
	s_delay_alu instid0(VALU_DEP_2) | instskip(NEXT) | instid1(VALU_DEP_2)
	v_clz_i32_u32_e32 v25, v26
	v_xor_b32_e32 v10, v10, v27
	s_delay_alu instid0(VALU_DEP_2) | instskip(SKIP_1) | instid1(VALU_DEP_2)
	v_min_u32_e32 v25, 32, v25
	v_dual_lshrrev_b32 v27, 29, v9 :: v_dual_bitop2_b32 v18, v22, v27 bitop3:0x14
	v_dual_sub_nc_u32 v22, 31, v25 :: v_dual_lshlrev_b32 v28, 23, v25
	s_delay_alu instid0(VALU_DEP_1) | instskip(SKIP_1) | instid1(VALU_DEP_4)
	v_alignbit_b32 v26, v26, v18, v22
	v_alignbit_b32 v10, v18, v10, v22
	v_lshlrev_b32_e32 v18, 31, v27
	s_delay_alu instid0(VALU_DEP_2) | instskip(NEXT) | instid1(VALU_DEP_2)
	v_alignbit_b32 v22, v26, v10, 9
	v_or_b32_e32 v27, 0.5, v18
	v_lshrrev_b32_e32 v26, 9, v26
	v_or_b32_e32 v18, 0x33000000, v18
	s_delay_alu instid0(VALU_DEP_4) | instskip(NEXT) | instid1(VALU_DEP_4)
	v_clz_i32_u32_e32 v29, v22
	v_sub_nc_u32_e32 v27, v27, v28
	s_delay_alu instid0(VALU_DEP_2) | instskip(NEXT) | instid1(VALU_DEP_2)
	v_min_u32_e32 v28, 32, v29
	v_or_b32_e32 v26, v26, v27
	s_delay_alu instid0(VALU_DEP_2) | instskip(SKIP_1) | instid1(VALU_DEP_2)
	v_not_b32_e32 v27, v28
	v_add_lshl_u32 v25, v28, v25, 23
	v_alignbit_b32 v10, v22, v10, v27
	s_delay_alu instid0(VALU_DEP_1) | instskip(SKIP_1) | instid1(VALU_DEP_2)
	v_dual_sub_nc_u32 v18, v18, v25 :: v_dual_lshrrev_b32 v10, 9, v10
	v_mul_f32_e32 v29, 0x3fc90fda, v26
	v_or_b32_e32 v10, v18, v10
	s_delay_alu instid0(VALU_DEP_2) | instskip(NEXT) | instid1(VALU_DEP_1)
	v_fma_f32 v22, 0x3fc90fda, v26, -v29
	v_fmac_f32_e32 v22, 0x33a22168, v26
	s_delay_alu instid0(VALU_DEP_1) | instskip(NEXT) | instid1(VALU_DEP_1)
	v_fmac_f32_e32 v22, 0x3fc90fda, v10
	v_dual_add_f32 v9, v29, v22 :: v_dual_lshrrev_b32 v10, 30, v9
	s_delay_alu instid0(VALU_DEP_1)
	v_add_nc_u32_e32 v10, v24, v10
.LBB162_247:                            ;   in Loop: Header=BB162_180 Depth=1
	s_or_saveexec_b32 s0, s20
	v_mul_f32_e64 v18, 0x3f22f983, |v13|
	s_delay_alu instid0(VALU_DEP_1)
	v_rndne_f32_e32 v24, v18
	s_xor_b32 exec_lo, exec_lo, s0
; %bb.248:                              ;   in Loop: Header=BB162_180 Depth=1
	s_delay_alu instid0(VALU_DEP_1) | instskip(SKIP_1) | instid1(VALU_DEP_2)
	v_fma_f32 v9, 0xbfc90fda, v24, |v13|
	v_cvt_i32_f32_e32 v10, v24
	v_fmac_f32_e32 v9, 0xb3a22168, v24
	s_delay_alu instid0(VALU_DEP_1)
	v_fmac_f32_e32 v9, 0xa7c234c4, v24
; %bb.249:                              ;   in Loop: Header=BB162_180 Depth=1
	s_or_b32 exec_lo, exec_lo, s0
                                        ; implicit-def: $vgpr22
                                        ; implicit-def: $vgpr18
	s_and_saveexec_b32 s0, s19
	s_delay_alu instid0(SALU_CYCLE_1)
	s_xor_b32 s19, exec_lo, s0
	s_cbranch_execz .LBB162_251
; %bb.250:                              ;   in Loop: Header=BB162_180 Depth=1
	v_mul_u64_e32 v[24:25], s[4:5], v[16:17]
	v_mov_b32_e32 v27, v17
	v_cmp_lt_u32_e32 vcc_lo, 63, v11
	v_mov_b32_e32 v37, v17
	v_cndmask_b32_e64 v18, 0, 0xffffffc0, vcc_lo
	s_delay_alu instid0(VALU_DEP_1) | instskip(NEXT) | instid1(VALU_DEP_1)
	v_add_nc_u32_e32 v11, v18, v11
	v_cmp_lt_u32_e64 s0, 31, v11
	s_delay_alu instid0(VALU_DEP_1) | instskip(NEXT) | instid1(VALU_DEP_1)
	v_cndmask_b32_e64 v18, 0, 0xffffffe0, s0
	v_dual_mov_b32 v26, v25 :: v_dual_add_nc_u32 v11, v18, v11
	s_delay_alu instid0(VALU_DEP_1) | instskip(NEXT) | instid1(VALU_DEP_2)
	v_cmp_lt_u32_e64 s1, 31, v11
	v_mad_nc_u64_u32 v[26:27], 0x3c439041, v16, v[26:27]
	s_delay_alu instid0(VALU_DEP_1) | instskip(NEXT) | instid1(VALU_DEP_1)
	v_dual_mov_b32 v29, v17 :: v_dual_mov_b32 v28, v27
	v_mad_nc_u64_u32 v[28:29], 0xdb629599, v16, v[28:29]
	s_delay_alu instid0(VALU_DEP_1) | instskip(NEXT) | instid1(VALU_DEP_2)
	v_dual_mov_b32 v31, v17 :: v_dual_mov_b32 v30, v29
	v_cndmask_b32_e32 v24, v28, v24, vcc_lo
	s_delay_alu instid0(VALU_DEP_2) | instskip(NEXT) | instid1(VALU_DEP_1)
	v_mad_nc_u64_u32 v[30:31], 0xf534ddc0, v16, v[30:31]
	v_dual_mov_b32 v33, v17 :: v_dual_mov_b32 v32, v31
	s_delay_alu instid0(VALU_DEP_1) | instskip(NEXT) | instid1(VALU_DEP_1)
	v_mad_nc_u64_u32 v[32:33], 0xfc2757d1, v16, v[32:33]
	v_dual_mov_b32 v35, v17 :: v_dual_mov_b32 v34, v33
	s_delay_alu instid0(VALU_DEP_2) | instskip(NEXT) | instid1(VALU_DEP_2)
	v_cndmask_b32_e32 v27, v32, v28, vcc_lo
	v_mad_nc_u64_u32 v[34:35], 0x4e441529, v16, v[34:35]
	s_delay_alu instid0(VALU_DEP_1) | instskip(NEXT) | instid1(VALU_DEP_1)
	v_mov_b32_e32 v36, v35
	v_mad_nc_u64_u32 v[36:37], 0xa2f9836e, v16, v[36:37]
	v_cndmask_b32_e64 v16, 0, 0xffffffe0, s1
	s_delay_alu instid0(VALU_DEP_1) | instskip(NEXT) | instid1(VALU_DEP_3)
	v_dual_cndmask_b32 v18, v34, v30 :: v_dual_add_nc_u32 v11, v16, v11
	v_dual_cndmask_b32 v16, v30, v26, vcc_lo :: v_dual_cndmask_b32 v22, v36, v32, vcc_lo
	s_delay_alu instid0(VALU_DEP_4) | instskip(NEXT) | instid1(VALU_DEP_3)
	v_cndmask_b32_e32 v25, v37, v34, vcc_lo
	v_cmp_eq_u32_e32 vcc_lo, 0, v11
	s_delay_alu instid0(VALU_DEP_3) | instskip(NEXT) | instid1(VALU_DEP_3)
	v_cndmask_b32_e64 v26, v22, v18, s0
	v_dual_cndmask_b32 v22, v25, v22, s0 :: v_dual_cndmask_b32 v18, v18, v27, s0
	v_dual_sub_nc_u32 v25, 32, v11 :: v_dual_cndmask_b32 v27, v27, v16, s0
	s_delay_alu instid0(VALU_DEP_2) | instskip(NEXT) | instid1(VALU_DEP_1)
	v_dual_cndmask_b32 v16, v16, v24, s0 :: v_dual_cndmask_b32 v22, v22, v26, s1
	v_dual_cndmask_b32 v26, v26, v18, s1 :: v_dual_cndmask_b32 v16, v27, v16, s1
	s_delay_alu instid0(VALU_DEP_1) | instskip(NEXT) | instid1(VALU_DEP_1)
	v_alignbit_b32 v29, v22, v26, v25
	v_dual_cndmask_b32 v18, v18, v27, s1 :: v_dual_cndmask_b32 v11, v29, v22, vcc_lo
	s_delay_alu instid0(VALU_DEP_1) | instskip(NEXT) | instid1(VALU_DEP_4)
	v_alignbit_b32 v28, v26, v18, v25
	v_alignbit_b32 v25, v18, v16, v25
	s_delay_alu instid0(VALU_DEP_3) | instskip(NEXT) | instid1(VALU_DEP_3)
	v_bfe_u32 v24, v11, 29, 1
	v_cndmask_b32_e32 v22, v28, v26, vcc_lo
	s_delay_alu instid0(VALU_DEP_2) | instskip(NEXT) | instid1(VALU_DEP_2)
	v_dual_cndmask_b32 v18, v25, v18 :: v_dual_sub_nc_u32 v27, 0, v24
	v_alignbit_b32 v26, v11, v22, 30
	s_delay_alu instid0(VALU_DEP_2) | instskip(SKIP_1) | instid1(VALU_DEP_3)
	v_alignbit_b32 v22, v22, v18, 30
	v_alignbit_b32 v16, v18, v16, 30
	v_xor_b32_e32 v26, v26, v27
	s_delay_alu instid0(VALU_DEP_2) | instskip(NEXT) | instid1(VALU_DEP_2)
	v_xor_b32_e32 v16, v16, v27
	v_clz_i32_u32_e32 v25, v26
	s_delay_alu instid0(VALU_DEP_1) | instskip(SKIP_2) | instid1(VALU_DEP_3)
	v_min_u32_e32 v25, 32, v25
	v_xor_b32_e32 v18, v22, v27
	v_dual_lshrrev_b32 v27, 29, v11 :: v_dual_lshrrev_b32 v11, 30, v11
	v_dual_sub_nc_u32 v22, 31, v25 :: v_dual_lshlrev_b32 v28, 23, v25
	s_delay_alu instid0(VALU_DEP_1) | instskip(SKIP_1) | instid1(VALU_DEP_4)
	v_alignbit_b32 v26, v26, v18, v22
	v_alignbit_b32 v16, v18, v16, v22
	v_lshlrev_b32_e32 v18, 31, v27
	s_delay_alu instid0(VALU_DEP_2) | instskip(NEXT) | instid1(VALU_DEP_2)
	v_alignbit_b32 v22, v26, v16, 9
	v_or_b32_e32 v27, 0.5, v18
	v_lshrrev_b32_e32 v26, 9, v26
	v_or_b32_e32 v18, 0x33000000, v18
	s_delay_alu instid0(VALU_DEP_4) | instskip(NEXT) | instid1(VALU_DEP_4)
	v_clz_i32_u32_e32 v29, v22
	v_sub_nc_u32_e32 v27, v27, v28
	s_delay_alu instid0(VALU_DEP_2) | instskip(NEXT) | instid1(VALU_DEP_2)
	v_min_u32_e32 v28, 32, v29
	v_or_b32_e32 v26, v26, v27
	s_delay_alu instid0(VALU_DEP_2) | instskip(SKIP_1) | instid1(VALU_DEP_2)
	v_not_b32_e32 v27, v28
	v_add_lshl_u32 v25, v28, v25, 23
	v_alignbit_b32 v16, v22, v16, v27
	s_delay_alu instid0(VALU_DEP_1) | instskip(NEXT) | instid1(VALU_DEP_1)
	v_dual_sub_nc_u32 v18, v18, v25 :: v_dual_lshrrev_b32 v16, 9, v16
	v_or_b32_e32 v16, v18, v16
	v_mul_f32_e32 v29, 0x3fc90fda, v26
	s_delay_alu instid0(VALU_DEP_1) | instskip(NEXT) | instid1(VALU_DEP_1)
	v_fma_f32 v22, 0x3fc90fda, v26, -v29
	v_fmac_f32_e32 v22, 0x33a22168, v26
	s_delay_alu instid0(VALU_DEP_1) | instskip(NEXT) | instid1(VALU_DEP_1)
	v_fmac_f32_e32 v22, 0x3fc90fda, v16
	v_dual_add_f32 v18, v29, v22 :: v_dual_add_nc_u32 v22, v24, v11
                                        ; implicit-def: $vgpr24
	s_and_not1_saveexec_b32 s0, s19
	s_cbranch_execnz .LBB162_252
	s_branch .LBB162_253
.LBB162_251:                            ;   in Loop: Header=BB162_180 Depth=1
	s_and_not1_saveexec_b32 s0, s19
.LBB162_252:                            ;   in Loop: Header=BB162_180 Depth=1
	v_fma_f32 v18, 0xbfc90fda, v24, |v13|
	v_cvt_i32_f32_e32 v22, v24
	s_delay_alu instid0(VALU_DEP_2) | instskip(NEXT) | instid1(VALU_DEP_1)
	v_fmac_f32_e32 v18, 0xb3a22168, v24
	v_fmac_f32_e32 v18, 0xa7c234c4, v24
.LBB162_253:                            ;   in Loop: Header=BB162_180 Depth=1
	s_or_b32 exec_lo, exec_lo, s0
	s_delay_alu instid0(VALU_DEP_1) | instskip(SKIP_1) | instid1(VALU_DEP_2)
	v_dual_mul_f32 v11, v9, v9 :: v_dual_mul_f32 v16, v18, v18
	v_dual_lshlrev_b32 v10, 30, v10 :: v_dual_bitop2_b32 v24, 1, v10 bitop3:0x40
	v_fmaak_f32 v25, s13, v11, 0x3c0881c4
	s_delay_alu instid0(VALU_DEP_2) | instskip(SKIP_1) | instid1(VALU_DEP_3)
	v_cmp_eq_u32_e32 vcc_lo, 0, v24
	v_dual_lshlrev_b32 v22, 30, v22 :: v_dual_bitop2_b32 v29, 1, v22 bitop3:0x40
	v_fmaak_f32 v25, v11, v25, 0xbe2aaa9d
	v_fmaak_f32 v26, s14, v11, 0xbab64f3b
	v_bitop3_b32 v8, v8, v10, 0x80000000 bitop3:0x78
	s_delay_alu instid0(VALU_DEP_2) | instskip(NEXT) | instid1(VALU_DEP_1)
	v_dual_mul_f32 v25, v11, v25 :: v_dual_fmaak_f32 v26, v11, v26, 0x3d2aabf7
	v_dual_fmac_f32 v9, v9, v25 :: v_dual_fmaak_f32 v26, v11, v26, 0xbf000004
	s_delay_alu instid0(VALU_DEP_1) | instskip(NEXT) | instid1(VALU_DEP_1)
	v_fma_f32 v11, v11, v26, 1.0
	v_cndmask_b32_e32 v9, v11, v9, vcc_lo
	v_cmp_eq_u32_e32 vcc_lo, 0, v29
	s_delay_alu instid0(VALU_DEP_2) | instskip(SKIP_1) | instid1(VALU_DEP_1)
	v_xor3_b32 v8, v8, v9, v13
	v_fmaak_f32 v27, s13, v16, 0x3c0881c4
	v_fmaak_f32 v27, v16, v27, 0xbe2aaa9d
	s_delay_alu instid0(VALU_DEP_1) | instskip(NEXT) | instid1(VALU_DEP_1)
	v_dual_fmaak_f32 v28, s14, v16, 0xbab64f3b :: v_dual_mul_f32 v27, v16, v27
	v_fmaak_f32 v28, v16, v28, 0x3d2aabf7
	s_delay_alu instid0(VALU_DEP_2) | instskip(NEXT) | instid1(VALU_DEP_2)
	v_fmac_f32_e32 v18, v18, v27
	v_fmaak_f32 v28, v16, v28, 0xbf000004
	s_delay_alu instid0(VALU_DEP_1) | instskip(NEXT) | instid1(VALU_DEP_1)
	v_fma_f32 v16, v16, v28, 1.0
	v_cndmask_b32_e64 v10, -v18, v16, vcc_lo
	v_cmp_class_f32_e64 vcc_lo, v13, 0x1f8
	s_delay_alu instid0(VALU_DEP_2) | instskip(NEXT) | instid1(VALU_DEP_1)
	v_bitop3_b32 v9, v22, v10, 0x80000000 bitop3:0x6c
	v_mul_f32_e32 v8, v8, v9
	s_delay_alu instid0(VALU_DEP_1)
	v_cndmask_b32_e32 v13, 0x7fc00000, v8, vcc_lo
.LBB162_254:                            ;   in Loop: Header=BB162_180 Depth=1
	s_or_b32 exec_lo, exec_lo, s18
	v_add_nc_u32_e32 v12, -2.0, v12
	s_delay_alu instid0(VALU_DEP_2)
	v_bfi_b32 v9, 0x7fffffff, 0, v13
.LBB162_255:                            ;   in Loop: Header=BB162_180 Depth=1
	s_or_b32 exec_lo, exec_lo, s17
	s_delay_alu instid0(VALU_DEP_2)
	v_mov_b32_e32 v8, v12
.LBB162_256:                            ;   in Loop: Header=BB162_180 Depth=1
	s_or_b32 exec_lo, exec_lo, s16
	s_wait_loadcnt 0x0
	v_and_b32_e32 v18, 0x7fffffff, v2
                                        ; implicit-def: $vgpr11
	s_mov_b32 s0, exec_lo
	s_delay_alu instid0(VALU_DEP_1)
	v_cmpx_gt_u32_e32 0x7f800000, v18
	s_xor_b32 s16, exec_lo, s0
	s_cbranch_execz .LBB162_278
; %bb.257:                              ;   in Loop: Header=BB162_180 Depth=1
	v_cmp_class_f32_e64 s0, v3, 0x1f8
                                        ; implicit-def: $vgpr11
	s_and_saveexec_b32 s1, s0
	s_delay_alu instid0(SALU_CYCLE_1)
	s_xor_b32 s17, exec_lo, s1
	s_cbranch_execz .LBB162_275
; %bb.258:                              ;   in Loop: Header=BB162_180 Depth=1
	v_and_b32_e32 v12, 0x7fffffff, v3
                                        ; implicit-def: $vgpr11
	s_mov_b32 s0, exec_lo
	v_cmpx_gt_u32_e32 0x41300000, v18
	s_xor_b32 s18, exec_lo, s0
	s_cbranch_execz .LBB162_264
; %bb.259:                              ;   in Loop: Header=BB162_180 Depth=1
                                        ; implicit-def: $vgpr10
                                        ; implicit-def: $vgpr11
	s_mov_b32 s1, exec_lo
	v_cmpx_ngt_f32_e64 0x48000000, |v3|
	s_xor_b32 s19, exec_lo, s1
	s_cbranch_execz .LBB162_261
; %bb.260:                              ;   in Loop: Header=BB162_180 Depth=1
	v_and_or_b32 v16, v12, s6, 0x800000
	v_mov_b32_e32 v33, v17
	s_delay_alu instid0(VALU_DEP_2) | instskip(NEXT) | instid1(VALU_DEP_1)
	v_mul_u64_e32 v[10:11], s[4:5], v[16:17]
	v_dual_mov_b32 v25, v17 :: v_dual_mov_b32 v24, v11
	v_lshrrev_b32_e32 v11, 23, v12
	s_delay_alu instid0(VALU_DEP_2) | instskip(SKIP_1) | instid1(VALU_DEP_3)
	v_mad_nc_u64_u32 v[24:25], 0x3c439041, v16, v[24:25]
	v_mov_b32_e32 v27, v17
	v_add_nc_u32_e32 v11, 0xffffff88, v11
	s_delay_alu instid0(VALU_DEP_1) | instskip(NEXT) | instid1(VALU_DEP_4)
	v_cmp_lt_u32_e32 vcc_lo, 63, v11
	v_mov_b32_e32 v26, v25
	v_cndmask_b32_e64 v13, 0, 0xffffffc0, vcc_lo
	s_delay_alu instid0(VALU_DEP_2) | instskip(NEXT) | instid1(VALU_DEP_1)
	v_mad_nc_u64_u32 v[26:27], 0xdb629599, v16, v[26:27]
	v_dual_mov_b32 v29, v17 :: v_dual_mov_b32 v28, v27
	s_delay_alu instid0(VALU_DEP_2) | instskip(NEXT) | instid1(VALU_DEP_2)
	v_cndmask_b32_e32 v10, v26, v10, vcc_lo
	v_mad_nc_u64_u32 v[28:29], 0xf534ddc0, v16, v[28:29]
	s_delay_alu instid0(VALU_DEP_1) | instskip(NEXT) | instid1(VALU_DEP_1)
	v_dual_mov_b32 v31, v17 :: v_dual_mov_b32 v30, v29
	v_mad_nc_u64_u32 v[30:31], 0xfc2757d1, v16, v[30:31]
	s_delay_alu instid0(VALU_DEP_1) | instskip(NEXT) | instid1(VALU_DEP_1)
	v_dual_mov_b32 v32, v31 :: v_dual_cndmask_b32 v27, v30, v26
	v_mad_nc_u64_u32 v[32:33], 0x4e441529, v16, v[32:33]
	v_add_nc_u32_e32 v11, v13, v11
	s_delay_alu instid0(VALU_DEP_2) | instskip(NEXT) | instid1(VALU_DEP_1)
	v_dual_mov_b32 v35, v17 :: v_dual_mov_b32 v34, v33
	v_mad_nc_u64_u32 v[34:35], 0xa2f9836e, v16, v[34:35]
	s_delay_alu instid0(VALU_DEP_4) | instskip(NEXT) | instid1(VALU_DEP_4)
	v_cndmask_b32_e32 v16, v32, v28, vcc_lo
	v_cmp_lt_u32_e64 s0, 31, v11
	s_delay_alu instid0(VALU_DEP_1) | instskip(NEXT) | instid1(VALU_DEP_1)
	v_cndmask_b32_e64 v13, 0, 0xffffffe0, s0
	v_dual_cndmask_b32 v22, v34, v30 :: v_dual_add_nc_u32 v11, v13, v11
	v_cndmask_b32_e32 v25, v35, v32, vcc_lo
	s_delay_alu instid0(VALU_DEP_2) | instskip(NEXT) | instid1(VALU_DEP_1)
	v_cmp_lt_u32_e64 s1, 31, v11
	v_cndmask_b32_e64 v13, 0, 0xffffffe0, s1
	s_delay_alu instid0(VALU_DEP_1) | instskip(NEXT) | instid1(VALU_DEP_4)
	v_dual_add_nc_u32 v11, v13, v11 :: v_dual_cndmask_b32 v13, v28, v24, vcc_lo
	v_dual_cndmask_b32 v24, v22, v16, s0 :: v_dual_cndmask_b32 v22, v25, v22, s0
	v_cndmask_b32_e64 v16, v16, v27, s0
	s_delay_alu instid0(VALU_DEP_3) | instskip(SKIP_1) | instid1(VALU_DEP_4)
	v_dual_sub_nc_u32 v25, 32, v11 :: v_dual_cndmask_b32 v27, v27, v13, s0
	v_cmp_eq_u32_e32 vcc_lo, 0, v11
	v_cndmask_b32_e64 v22, v22, v24, s1
	s_delay_alu instid0(VALU_DEP_4) | instskip(NEXT) | instid1(VALU_DEP_4)
	v_dual_cndmask_b32 v24, v24, v16, s1 :: v_dual_cndmask_b32 v10, v13, v10, s0
	v_cndmask_b32_e64 v16, v16, v27, s1
	s_delay_alu instid0(VALU_DEP_2) | instskip(NEXT) | instid1(VALU_DEP_3)
	v_alignbit_b32 v28, v22, v24, v25
	v_cndmask_b32_e64 v10, v27, v10, s1
	s_delay_alu instid0(VALU_DEP_3) | instskip(NEXT) | instid1(VALU_DEP_3)
	v_alignbit_b32 v26, v24, v16, v25
	v_cndmask_b32_e32 v11, v28, v22, vcc_lo
	s_delay_alu instid0(VALU_DEP_3) | instskip(NEXT) | instid1(VALU_DEP_3)
	v_alignbit_b32 v25, v16, v10, v25
	v_cndmask_b32_e32 v13, v26, v24, vcc_lo
	s_delay_alu instid0(VALU_DEP_3) | instskip(NEXT) | instid1(VALU_DEP_3)
	v_bfe_u32 v22, v11, 29, 1
	v_cndmask_b32_e32 v16, v25, v16, vcc_lo
	s_delay_alu instid0(VALU_DEP_3) | instskip(NEXT) | instid1(VALU_DEP_3)
	v_alignbit_b32 v24, v11, v13, 30
	v_sub_nc_u32_e32 v26, 0, v22
	s_delay_alu instid0(VALU_DEP_3) | instskip(SKIP_1) | instid1(VALU_DEP_3)
	v_alignbit_b32 v13, v13, v16, 30
	v_alignbit_b32 v10, v16, v10, 30
	v_xor_b32_e32 v24, v24, v26
	s_delay_alu instid0(VALU_DEP_1) | instskip(NEXT) | instid1(VALU_DEP_1)
	v_clz_i32_u32_e32 v25, v24
	v_min_u32_e32 v25, 32, v25
	s_delay_alu instid0(VALU_DEP_1) | instskip(SKIP_2) | instid1(VALU_DEP_3)
	v_dual_sub_nc_u32 v16, 31, v25 :: v_dual_bitop2_b32 v13, v13, v26 bitop3:0x14
	v_dual_lshlrev_b32 v27, 23, v25 :: v_dual_bitop2_b32 v10, v10, v26 bitop3:0x14
	v_lshrrev_b32_e32 v26, 29, v11
	v_alignbit_b32 v24, v24, v13, v16
	s_delay_alu instid0(VALU_DEP_3) | instskip(NEXT) | instid1(VALU_DEP_3)
	v_alignbit_b32 v10, v13, v10, v16
	v_lshlrev_b32_e32 v13, 31, v26
	s_delay_alu instid0(VALU_DEP_2) | instskip(NEXT) | instid1(VALU_DEP_2)
	v_alignbit_b32 v16, v24, v10, 9
	v_dual_lshrrev_b32 v24, 9, v24 :: v_dual_bitop2_b32 v26, 0.5, v13 bitop3:0x54
	v_or_b32_e32 v13, 0x33000000, v13
	s_delay_alu instid0(VALU_DEP_3) | instskip(NEXT) | instid1(VALU_DEP_3)
	v_clz_i32_u32_e32 v28, v16
	v_sub_nc_u32_e32 v26, v26, v27
	s_delay_alu instid0(VALU_DEP_2) | instskip(NEXT) | instid1(VALU_DEP_1)
	v_min_u32_e32 v27, 32, v28
	v_add_lshl_u32 v25, v27, v25, 23
	s_delay_alu instid0(VALU_DEP_1) | instskip(SKIP_1) | instid1(VALU_DEP_2)
	v_dual_sub_nc_u32 v13, v13, v25 :: v_dual_bitop2_b32 v24, v24, v26 bitop3:0x54
	v_not_b32_e32 v26, v27
	v_mul_f32_e32 v28, 0x3fc90fda, v24
	s_delay_alu instid0(VALU_DEP_2) | instskip(NEXT) | instid1(VALU_DEP_2)
	v_alignbit_b32 v10, v16, v10, v26
	v_fma_f32 v16, 0x3fc90fda, v24, -v28
	s_delay_alu instid0(VALU_DEP_2) | instskip(NEXT) | instid1(VALU_DEP_2)
	v_lshrrev_b32_e32 v10, 9, v10
	v_fmac_f32_e32 v16, 0x33a22168, v24
	s_delay_alu instid0(VALU_DEP_2) | instskip(NEXT) | instid1(VALU_DEP_1)
	v_or_b32_e32 v10, v13, v10
	v_fmac_f32_e32 v16, 0x3fc90fda, v10
	s_delay_alu instid0(VALU_DEP_1) | instskip(NEXT) | instid1(VALU_DEP_1)
	v_dual_add_f32 v11, v28, v16 :: v_dual_lshrrev_b32 v10, 30, v11
	v_add_nc_u32_e32 v10, v22, v10
.LBB162_261:                            ;   in Loop: Header=BB162_180 Depth=1
	s_and_not1_saveexec_b32 s0, s19
; %bb.262:                              ;   in Loop: Header=BB162_180 Depth=1
	v_mul_f32_e64 v10, 0x3f22f983, |v3|
	s_delay_alu instid0(VALU_DEP_1) | instskip(NEXT) | instid1(VALU_DEP_1)
	v_rndne_f32_e32 v10, v10
	v_fma_f32 v11, 0xbfc90fda, v10, |v3|
	s_delay_alu instid0(VALU_DEP_1) | instskip(NEXT) | instid1(VALU_DEP_1)
	v_fmac_f32_e32 v11, 0xb3a22168, v10
	v_fmac_f32_e32 v11, 0xa7c234c4, v10
	v_cvt_i32_f32_e32 v10, v10
; %bb.263:                              ;   in Loop: Header=BB162_180 Depth=1
	s_or_b32 exec_lo, exec_lo, s0
	v_add_f32_e64 v13, 0xbf317218, |v2|
	v_cmp_nlt_f32_e64 vcc_lo, 0x42b2d4fc, |v2|
	v_cmp_gt_f32_e64 s0, 0x39800000, |v2|
	s_delay_alu instid0(VALU_DEP_3) | instskip(NEXT) | instid1(VALU_DEP_1)
	v_sub_f32_e64 v25, v13, |v2|
	v_sub_f32_e32 v24, v25, v13
	s_delay_alu instid0(VALU_DEP_1) | instskip(NEXT) | instid1(VALU_DEP_1)
	v_pk_add_f32 v[24:25], v[18:19], v[24:25]
	v_sub_f32_e32 v16, v24, v25
	s_delay_alu instid0(VALU_DEP_1) | instskip(NEXT) | instid1(VALU_DEP_1)
	v_add_f32_e32 v16, 0x3102e308, v16
	v_add_f32_e32 v18, v13, v16
	s_delay_alu instid0(VALU_DEP_1) | instskip(NEXT) | instid1(VALU_DEP_1)
	v_dual_mul_f32 v22, 0x3fb8aa3b, v18 :: v_dual_sub_f32 v13, v13, v18
	v_rndne_f32_e32 v32, v22
	s_delay_alu instid0(VALU_DEP_1) | instskip(SKIP_1) | instid1(VALU_DEP_2)
	v_dual_add_f32 v13, v16, v13 :: v_dual_fmac_f32 v18, 0xbf317200, v32
	v_mul_f32_e32 v16, 0x35bfbc00, v32
	v_dual_mul_f32 v27, 0x2ea39ef3, v32 :: v_dual_add_f32 v22, v13, v18
	s_delay_alu instid0(VALU_DEP_1) | instskip(SKIP_1) | instid1(VALU_DEP_1)
	v_sub_f32_e32 v24, v22, v16
	v_sub_f32_e32 v18, v18, v22
	v_dual_sub_f32 v22, v22, v24 :: v_dual_add_f32 v13, v13, v18
	s_delay_alu instid0(VALU_DEP_1) | instskip(NEXT) | instid1(VALU_DEP_1)
	v_sub_f32_e32 v16, v22, v16
	v_add_f32_e32 v13, v13, v16
	s_delay_alu instid0(VALU_DEP_1) | instskip(NEXT) | instid1(VALU_DEP_1)
	v_add_f32_e32 v25, v24, v13
	v_mov_b32_e32 v26, v25
	s_delay_alu instid0(VALU_DEP_1) | instskip(NEXT) | instid1(VALU_DEP_1)
	v_pk_add_f32 v[28:29], v[24:25], v[26:27] neg_lo:[0,1] neg_hi:[0,1]
	v_sub_f32_e32 v16, v25, v29
	s_delay_alu instid0(VALU_DEP_1) | instskip(NEXT) | instid1(VALU_DEP_1)
	v_dual_add_f32 v13, v13, v28 :: v_dual_sub_f32 v16, v16, v27
	v_add_f32_e32 v13, v13, v16
	s_delay_alu instid0(VALU_DEP_1) | instskip(NEXT) | instid1(VALU_DEP_1)
	v_add_f32_e32 v16, v29, v13
	v_dual_mul_f32 v22, v16, v16 :: v_dual_sub_f32 v18, v29, v16
	v_mov_b64_e32 v[28:29], s[6:7]
	s_delay_alu instid0(VALU_DEP_2) | instskip(NEXT) | instid1(VALU_DEP_1)
	v_dual_fma_f32 v24, v16, v16, -v22 :: v_dual_add_f32 v13, v13, v18
	v_add_f32_e32 v25, v13, v13
	s_delay_alu instid0(VALU_DEP_1) | instskip(NEXT) | instid1(VALU_DEP_1)
	v_fmac_f32_e32 v24, v16, v25
	v_add_f32_e32 v25, v22, v24
	v_fmaak_f32 v18, s12, v16, 0x3c091de6
	s_delay_alu instid0(VALU_DEP_2) | instskip(NEXT) | instid1(VALU_DEP_2)
	v_sub_f32_e32 v22, v25, v22
	v_fmaak_f32 v18, v16, v18, 0x3d2aadcc
	s_delay_alu instid0(VALU_DEP_2) | instskip(NEXT) | instid1(VALU_DEP_2)
	v_sub_f32_e32 v22, v24, v22
	v_fmaak_f32 v18, v16, v18, 0x3e2aaa47
	s_delay_alu instid0(VALU_DEP_1) | instskip(NEXT) | instid1(VALU_DEP_1)
	v_fmaak_f32 v18, v16, v18, 0x3efffffc
	v_mul_f32_e32 v26, v18, v25
	s_delay_alu instid0(VALU_DEP_1) | instskip(NEXT) | instid1(VALU_DEP_1)
	v_fma_f32 v24, v25, v18, -v26
	v_fmac_f32_e32 v24, v22, v18
	s_delay_alu instid0(VALU_DEP_1) | instskip(NEXT) | instid1(VALU_DEP_1)
	v_add_f32_e32 v18, v26, v24
	v_add_f32_e32 v22, v16, v18
	s_delay_alu instid0(VALU_DEP_1) | instskip(SKIP_1) | instid1(VALU_DEP_1)
	v_sub_f32_e32 v16, v22, v16
	v_sub_f32_e32 v25, v18, v26
	v_dual_sub_f32 v24, v24, v25 :: v_dual_sub_f32 v16, v18, v16
	s_delay_alu instid0(VALU_DEP_1) | instskip(NEXT) | instid1(VALU_DEP_1)
	v_add_f32_e32 v13, v13, v24
	v_add_f32_e32 v24, v13, v16
	v_cvt_i32_f32_e32 v16, v32
	s_delay_alu instid0(VALU_DEP_2) | instskip(NEXT) | instid1(VALU_DEP_1)
	v_add_f32_e32 v26, v22, v24
	v_dual_add_f32 v27, 1.0, v26 :: v_dual_mov_b32 v25, v26
	s_delay_alu instid0(VALU_DEP_1) | instskip(SKIP_1) | instid1(VALU_DEP_2)
	v_pk_add_f32 v[28:29], v[26:27], v[28:29]
	v_pk_add_f32 v[30:31], v[26:27], v[22:23] neg_lo:[0,1] neg_hi:[0,1]
	v_mov_b32_e32 v31, v29
	s_delay_alu instid0(VALU_DEP_1) | instskip(NEXT) | instid1(VALU_DEP_1)
	v_pk_add_f32 v[24:25], v[24:25], v[30:31] neg_lo:[0,1] neg_hi:[0,1]
	v_add_f32_e32 v13, v24, v25
	s_delay_alu instid0(VALU_DEP_1) | instskip(NEXT) | instid1(VALU_DEP_1)
	v_add_f32_e32 v18, v27, v13
	v_ldexp_f32 v22, v18, v16
	s_delay_alu instid0(VALU_DEP_1)
	v_rcp_f32_e32 v24, v22
	v_sub_f32_e32 v18, v18, v27
	s_delay_alu instid0(TRANS32_DEP_1) | instid1(VALU_DEP_1)
	v_dual_sub_f32 v13, v13, v18 :: v_dual_mul_f32 v18, v22, v24
	s_delay_alu instid0(VALU_DEP_1) | instskip(NEXT) | instid1(VALU_DEP_2)
	v_ldexp_f32 v13, v13, v16
	v_fma_f32 v16, v24, v22, -v18
	s_delay_alu instid0(VALU_DEP_1) | instskip(NEXT) | instid1(VALU_DEP_1)
	v_fmac_f32_e32 v16, v24, v13
	v_add_f32_e32 v25, v18, v16
	s_delay_alu instid0(VALU_DEP_1) | instskip(NEXT) | instid1(VALU_DEP_1)
	v_sub_f32_e32 v26, 1.0, v25
	v_sub_f32_e32 v27, 1.0, v26
	v_sub_f32_e32 v18, v25, v18
	s_delay_alu instid0(VALU_DEP_1) | instskip(NEXT) | instid1(VALU_DEP_1)
	v_dual_sub_f32 v16, v18, v16 :: v_dual_sub_f32 v18, v27, v25
	v_add_f32_e32 v16, v16, v18
	s_delay_alu instid0(VALU_DEP_1) | instskip(NEXT) | instid1(VALU_DEP_1)
	v_add_f32_e32 v18, v26, v16
	v_mul_f32_e32 v25, v24, v18
	s_delay_alu instid0(VALU_DEP_1) | instskip(NEXT) | instid1(VALU_DEP_1)
	v_mul_f32_e32 v27, v22, v25
	v_fma_f32 v28, v25, v22, -v27
	s_delay_alu instid0(VALU_DEP_1) | instskip(NEXT) | instid1(VALU_DEP_1)
	v_dual_sub_f32 v26, v26, v18 :: v_dual_fmac_f32 v28, v25, v13
	v_dual_add_f32 v16, v16, v26 :: v_dual_add_f32 v29, v27, v28
	s_delay_alu instid0(VALU_DEP_1) | instskip(NEXT) | instid1(VALU_DEP_1)
	v_dual_sub_f32 v30, v18, v29 :: v_dual_sub_f32 v26, v29, v27
	v_sub_f32_e32 v18, v18, v30
	s_delay_alu instid0(VALU_DEP_2) | instskip(NEXT) | instid1(VALU_DEP_2)
	v_sub_f32_e32 v26, v26, v28
	v_sub_f32_e32 v18, v18, v29
	s_delay_alu instid0(VALU_DEP_1) | instskip(NEXT) | instid1(VALU_DEP_1)
	v_add_f32_e32 v16, v16, v18
	v_dual_add_f32 v18, v24, v25 :: v_dual_add_f32 v16, v26, v16
	s_delay_alu instid0(VALU_DEP_1) | instskip(NEXT) | instid1(VALU_DEP_1)
	v_sub_f32_e32 v26, v18, v24
	v_dual_add_f32 v16, v30, v16 :: v_dual_sub_f32 v25, v25, v26
	s_delay_alu instid0(VALU_DEP_1) | instskip(NEXT) | instid1(VALU_DEP_1)
	v_mul_f32_e32 v16, v24, v16
	v_add_f32_e32 v16, v25, v16
	s_delay_alu instid0(VALU_DEP_1) | instskip(NEXT) | instid1(VALU_DEP_1)
	v_add_f32_e32 v24, v18, v16
	v_ldexp_f32 v25, v24, -2
	s_delay_alu instid0(VALU_DEP_1) | instskip(NEXT) | instid1(VALU_DEP_1)
	v_dual_sub_f32 v18, v24, v18 :: v_dual_sub_f32 v26, v22, v25
	v_sub_f32_e32 v22, v22, v26
	s_delay_alu instid0(VALU_DEP_1) | instskip(NEXT) | instid1(VALU_DEP_1)
	v_dual_sub_f32 v16, v16, v18 :: v_dual_sub_f32 v18, v22, v25
	v_ldexp_f32 v16, v16, -2
	s_delay_alu instid0(VALU_DEP_2) | instskip(NEXT) | instid1(VALU_DEP_1)
	v_add_f32_e32 v13, v13, v18
	v_dual_sub_f32 v13, v13, v16 :: v_dual_mul_f32 v16, v11, v11
	s_delay_alu instid0(VALU_DEP_1) | instskip(SKIP_1) | instid1(VALU_DEP_2)
	v_dual_add_f32 v13, v26, v13 :: v_dual_fmaak_f32 v18, s11, v16, 0xbf039337
	v_fmaak_f32 v22, s10, v16, 0x3ec54587
	v_fmaak_f32 v18, v16, v18, 0x3f93f425
	s_delay_alu instid0(VALU_DEP_1) | instskip(SKIP_1) | instid1(TRANS32_DEP_1)
	v_rcp_f32_e32 v18, v18
	v_nop
	v_dual_cndmask_b32 v13, 0x7f800000, v13 :: v_dual_mul_f32 v18, v22, v18
	s_delay_alu instid0(VALU_DEP_1) | instskip(NEXT) | instid1(VALU_DEP_2)
	v_cndmask_b32_e64 v13, v13, |v2|, s0
	v_mul_f32_e32 v16, v16, v18
	s_delay_alu instid0(VALU_DEP_2) | instskip(NEXT) | instid1(VALU_DEP_1)
	v_bfi_b32 v13, 0x7fffffff, v13, v2
	v_fma_f32 v24, v13, v13, 1.0
	s_delay_alu instid0(VALU_DEP_1) | instskip(SKIP_1) | instid1(VALU_DEP_2)
	v_mul_f32_e32 v22, 0x4f800000, v24
	v_cmp_gt_f32_e32 vcc_lo, 0xf800000, v24
	v_cndmask_b32_e32 v18, v24, v22, vcc_lo
	v_fma_f32 v22, v16, v11, v11
	s_delay_alu instid0(VALU_DEP_2) | instskip(NEXT) | instid1(VALU_DEP_1)
	v_sqrt_f32_e32 v24, v18
	v_sub_f32_e32 v26, v22, v11
	s_delay_alu instid0(VALU_DEP_1) | instskip(SKIP_1) | instid1(TRANS32_DEP_2)
	v_fma_f32 v11, v16, v11, -v26
	v_rcp_f32_e32 v25, v22
	v_dual_add_nc_u32 v27, -1, v24 :: v_dual_add_nc_u32 v26, 1, v24
	s_delay_alu instid0(VALU_DEP_1) | instskip(NEXT) | instid1(TRANS32_DEP_1)
	v_fma_f32 v28, -v27, v24, v18
	v_fma_f32 v16, v22, -v25, 1.0
	s_delay_alu instid0(VALU_DEP_1) | instskip(NEXT) | instid1(VALU_DEP_3)
	v_dual_fma_f32 v11, v11, -v25, v16 :: v_dual_fma_f32 v16, -v26, v24, v18
	v_cmp_ge_f32_e64 s0, 0, v28
	s_delay_alu instid0(VALU_DEP_1) | instskip(NEXT) | instid1(VALU_DEP_3)
	v_dual_cndmask_b32 v24, v24, v27, s0 :: v_dual_bitop2_b32 v10, 1, v10 bitop3:0x40
	v_fma_f32 v11, v11, -v25, -v25
	s_delay_alu instid0(VALU_DEP_4) | instskip(NEXT) | instid1(VALU_DEP_1)
	v_cmp_lt_f32_e64 s0, 0, v16
	v_cndmask_b32_e64 v16, v24, v26, s0
	s_delay_alu instid0(VALU_DEP_4) | instskip(NEXT) | instid1(VALU_DEP_1)
	v_cmp_eq_u32_e64 s0, 0, v10
	v_cndmask_b32_e64 v10, v11, v22, s0
	s_delay_alu instid0(VALU_DEP_3) | instskip(NEXT) | instid1(VALU_DEP_2)
	v_mul_f32_e32 v11, 0x37800000, v16
	v_xor3_b32 v12, v12, v10, v3
	s_delay_alu instid0(VALU_DEP_2) | instskip(SKIP_1) | instid1(VALU_DEP_3)
	v_cndmask_b32_e32 v10, v16, v11, vcc_lo
	v_cmp_class_f32_e64 vcc_lo, v18, 0x260
	v_fma_f32 v11, v12, v12, 1.0
	s_delay_alu instid0(VALU_DEP_1) | instskip(NEXT) | instid1(VALU_DEP_1)
	v_dual_cndmask_b32 v10, v10, v18, vcc_lo :: v_dual_mul_f32 v16, v13, v11
	v_mul_f32_e32 v10, v10, v11
	s_delay_alu instid0(VALU_DEP_2) | instskip(NEXT) | instid1(VALU_DEP_2)
	v_fma_f32 v11, v13, v16, 1.0
	v_mul_f32_e32 v10, v13, v10
	s_delay_alu instid0(VALU_DEP_2) | instskip(NEXT) | instid1(VALU_DEP_2)
	v_div_scale_f32 v16, null, v11, v11, v12
	v_div_scale_f32 v13, null, v11, v11, v10
	v_div_scale_f32 v26, vcc_lo, v10, v11, v10
	s_delay_alu instid0(VALU_DEP_3) | instskip(NEXT) | instid1(VALU_DEP_2)
	v_rcp_f32_e32 v22, v16
	v_rcp_f32_e32 v18, v13
	s_delay_alu instid0(TRANS32_DEP_2) | instskip(NEXT) | instid1(TRANS32_DEP_1)
	v_fma_f32 v25, -v16, v22, 1.0
	v_fma_f32 v24, -v13, v18, 1.0
	s_delay_alu instid0(VALU_DEP_2) | instskip(NEXT) | instid1(VALU_DEP_2)
	v_fmac_f32_e32 v22, v25, v22
	v_fmac_f32_e32 v18, v24, v18
	v_div_scale_f32 v24, s0, v12, v11, v12
	s_delay_alu instid0(VALU_DEP_2) | instskip(NEXT) | instid1(VALU_DEP_1)
	v_mul_f32_e32 v25, v26, v18
	v_fma_f32 v28, -v13, v25, v26
	s_delay_alu instid0(VALU_DEP_1) | instskip(NEXT) | instid1(VALU_DEP_1)
	v_fmac_f32_e32 v25, v28, v18
	v_dual_mul_f32 v27, v24, v22 :: v_dual_fma_f32 v13, -v13, v25, v26
	s_delay_alu instid0(VALU_DEP_1) | instskip(NEXT) | instid1(VALU_DEP_2)
	v_fma_f32 v29, -v16, v27, v24
	v_div_fmas_f32 v13, v13, v18, v25
	s_delay_alu instid0(VALU_DEP_2) | instskip(SKIP_1) | instid1(VALU_DEP_2)
	v_fmac_f32_e32 v27, v29, v22
	s_mov_b32 vcc_lo, s0
	v_div_fixup_f32 v10, v13, v11, v10
	s_delay_alu instid0(VALU_DEP_2) | instskip(NEXT) | instid1(VALU_DEP_1)
	v_fma_f32 v16, -v16, v27, v24
	v_div_fmas_f32 v16, v16, v22, v27
	s_delay_alu instid0(VALU_DEP_1)
	v_div_fixup_f32 v11, v16, v11, v12
                                        ; implicit-def: $vgpr12
.LBB162_264:                            ;   in Loop: Header=BB162_180 Depth=1
	s_and_not1_saveexec_b32 s18, s18
	s_cbranch_execz .LBB162_274
; %bb.265:                              ;   in Loop: Header=BB162_180 Depth=1
	v_lshrrev_b32_e32 v10, 23, v12
	v_cmp_ngt_f32_e64 s19, 0x48000000, |v3|
	v_and_or_b32 v16, v12, s6, 0x800000
                                        ; implicit-def: $vgpr13
	s_delay_alu instid0(VALU_DEP_3) | instskip(SKIP_1) | instid1(SALU_CYCLE_1)
	v_add_nc_u32_e32 v11, 0xffffff88, v10
                                        ; implicit-def: $vgpr10
	s_and_saveexec_b32 s0, s19
	s_xor_b32 s20, exec_lo, s0
	s_cbranch_execz .LBB162_267
; %bb.266:                              ;   in Loop: Header=BB162_180 Depth=1
	v_mul_u64_e32 v[24:25], s[4:5], v[16:17]
	v_mov_b32_e32 v27, v17
	v_cmp_lt_u32_e32 vcc_lo, 63, v11
	v_mov_b32_e32 v37, v17
	v_cndmask_b32_e64 v10, 0, 0xffffffc0, vcc_lo
	s_delay_alu instid0(VALU_DEP_1) | instskip(NEXT) | instid1(VALU_DEP_1)
	v_add_nc_u32_e32 v10, v10, v11
	v_cmp_lt_u32_e64 s0, 31, v10
	s_delay_alu instid0(VALU_DEP_1) | instskip(NEXT) | instid1(VALU_DEP_1)
	v_cndmask_b32_e64 v13, 0, 0xffffffe0, s0
	v_add_nc_u32_e32 v10, v13, v10
	v_mov_b32_e32 v26, v25
	s_delay_alu instid0(VALU_DEP_2) | instskip(NEXT) | instid1(VALU_DEP_2)
	v_cmp_lt_u32_e64 s1, 31, v10
	v_mad_nc_u64_u32 v[26:27], 0x3c439041, v16, v[26:27]
	v_mov_b32_e32 v29, v17
	s_delay_alu instid0(VALU_DEP_3) | instskip(NEXT) | instid1(VALU_DEP_3)
	v_cndmask_b32_e64 v13, 0, 0xffffffe0, s1
	v_mov_b32_e32 v28, v27
	s_delay_alu instid0(VALU_DEP_1) | instskip(NEXT) | instid1(VALU_DEP_1)
	v_mad_nc_u64_u32 v[28:29], 0xdb629599, v16, v[28:29]
	v_dual_mov_b32 v31, v17 :: v_dual_mov_b32 v30, v29
	s_delay_alu instid0(VALU_DEP_2) | instskip(NEXT) | instid1(VALU_DEP_2)
	v_cndmask_b32_e32 v24, v28, v24, vcc_lo
	v_mad_nc_u64_u32 v[30:31], 0xf534ddc0, v16, v[30:31]
	s_delay_alu instid0(VALU_DEP_1) | instskip(NEXT) | instid1(VALU_DEP_1)
	v_dual_mov_b32 v33, v17 :: v_dual_mov_b32 v32, v31
	v_mad_nc_u64_u32 v[32:33], 0xfc2757d1, v16, v[32:33]
	s_delay_alu instid0(VALU_DEP_1) | instskip(NEXT) | instid1(VALU_DEP_2)
	v_dual_mov_b32 v35, v17 :: v_dual_mov_b32 v34, v33
	v_cndmask_b32_e32 v27, v32, v28, vcc_lo
	s_delay_alu instid0(VALU_DEP_2) | instskip(NEXT) | instid1(VALU_DEP_1)
	v_mad_nc_u64_u32 v[34:35], 0x4e441529, v16, v[34:35]
	v_mov_b32_e32 v36, v35
	s_delay_alu instid0(VALU_DEP_1) | instskip(NEXT) | instid1(VALU_DEP_1)
	v_mad_nc_u64_u32 v[36:37], 0xa2f9836e, v16, v[36:37]
	v_dual_cndmask_b32 v18, v34, v30, vcc_lo :: v_dual_cndmask_b32 v22, v36, v32, vcc_lo
	s_delay_alu instid0(VALU_DEP_2) | instskip(SKIP_2) | instid1(VALU_DEP_4)
	v_cndmask_b32_e32 v25, v37, v34, vcc_lo
	v_add_nc_u32_e32 v10, v13, v10
	v_cndmask_b32_e32 v13, v30, v26, vcc_lo
	v_cndmask_b32_e64 v26, v22, v18, s0
	v_cndmask_b32_e64 v18, v18, v27, s0
	s_delay_alu instid0(VALU_DEP_4) | instskip(NEXT) | instid1(VALU_DEP_4)
	v_cmp_eq_u32_e32 vcc_lo, 0, v10
	v_dual_cndmask_b32 v27, v27, v13, s0 :: v_dual_cndmask_b32 v22, v25, v22, s0
	v_dual_sub_nc_u32 v25, 32, v10 :: v_dual_cndmask_b32 v13, v13, v24, s0
	s_delay_alu instid0(VALU_DEP_2) | instskip(NEXT) | instid1(VALU_DEP_2)
	v_cndmask_b32_e64 v22, v22, v26, s1
	v_dual_cndmask_b32 v26, v26, v18, s1 :: v_dual_cndmask_b32 v13, v27, v13, s1
	v_cndmask_b32_e64 v18, v18, v27, s1
	s_delay_alu instid0(VALU_DEP_2) | instskip(NEXT) | instid1(VALU_DEP_1)
	v_alignbit_b32 v29, v22, v26, v25
	v_cndmask_b32_e32 v10, v29, v22, vcc_lo
	s_delay_alu instid0(VALU_DEP_1) | instskip(NEXT) | instid1(VALU_DEP_1)
	v_bfe_u32 v24, v10, 29, 1
	v_sub_nc_u32_e32 v27, 0, v24
	v_alignbit_b32 v28, v26, v18, v25
	v_alignbit_b32 v25, v18, v13, v25
	s_delay_alu instid0(VALU_DEP_1) | instskip(NEXT) | instid1(VALU_DEP_1)
	v_cndmask_b32_e32 v18, v25, v18, vcc_lo
	v_alignbit_b32 v13, v18, v13, 30
	s_delay_alu instid0(VALU_DEP_1) | instskip(NEXT) | instid1(VALU_DEP_1)
	v_dual_cndmask_b32 v22, v28, v26, vcc_lo :: v_dual_bitop2_b32 v13, v13, v27 bitop3:0x14
	v_alignbit_b32 v26, v10, v22, 30
	v_alignbit_b32 v22, v22, v18, 30
	s_delay_alu instid0(VALU_DEP_2) | instskip(NEXT) | instid1(VALU_DEP_2)
	v_xor_b32_e32 v26, v26, v27
	v_dual_lshrrev_b32 v27, 29, v10 :: v_dual_bitop2_b32 v18, v22, v27 bitop3:0x14
	s_delay_alu instid0(VALU_DEP_2) | instskip(NEXT) | instid1(VALU_DEP_1)
	v_clz_i32_u32_e32 v25, v26
	v_min_u32_e32 v25, 32, v25
	s_delay_alu instid0(VALU_DEP_1) | instskip(NEXT) | instid1(VALU_DEP_1)
	v_dual_sub_nc_u32 v22, 31, v25 :: v_dual_lshlrev_b32 v28, 23, v25
	v_alignbit_b32 v26, v26, v18, v22
	v_alignbit_b32 v13, v18, v13, v22
	v_lshlrev_b32_e32 v18, 31, v27
	s_delay_alu instid0(VALU_DEP_2) | instskip(NEXT) | instid1(VALU_DEP_2)
	v_alignbit_b32 v22, v26, v13, 9
	v_or_b32_e32 v27, 0.5, v18
	v_lshrrev_b32_e32 v26, 9, v26
	v_or_b32_e32 v18, 0x33000000, v18
	s_delay_alu instid0(VALU_DEP_4) | instskip(NEXT) | instid1(VALU_DEP_4)
	v_clz_i32_u32_e32 v29, v22
	v_sub_nc_u32_e32 v27, v27, v28
	s_delay_alu instid0(VALU_DEP_2) | instskip(NEXT) | instid1(VALU_DEP_2)
	v_min_u32_e32 v28, 32, v29
	v_or_b32_e32 v26, v26, v27
	s_delay_alu instid0(VALU_DEP_2) | instskip(SKIP_1) | instid1(VALU_DEP_2)
	v_not_b32_e32 v27, v28
	v_add_lshl_u32 v25, v28, v25, 23
	v_alignbit_b32 v13, v22, v13, v27
	s_delay_alu instid0(VALU_DEP_2) | instskip(NEXT) | instid1(VALU_DEP_2)
	v_sub_nc_u32_e32 v18, v18, v25
	v_lshrrev_b32_e32 v13, 9, v13
	s_delay_alu instid0(VALU_DEP_1) | instskip(SKIP_1) | instid1(VALU_DEP_1)
	v_or_b32_e32 v13, v18, v13
	v_mul_f32_e32 v29, 0x3fc90fda, v26
	v_fma_f32 v22, 0x3fc90fda, v26, -v29
	s_delay_alu instid0(VALU_DEP_1) | instskip(NEXT) | instid1(VALU_DEP_1)
	v_fmac_f32_e32 v22, 0x33a22168, v26
	v_dual_fmac_f32 v22, 0x3fc90fda, v13 :: v_dual_lshrrev_b32 v13, 30, v10
	s_delay_alu instid0(VALU_DEP_1)
	v_dual_add_f32 v10, v29, v22 :: v_dual_add_nc_u32 v13, v24, v13
	s_and_not1_saveexec_b32 s0, s20
	s_branch .LBB162_268
.LBB162_267:                            ;   in Loop: Header=BB162_180 Depth=1
	s_and_not1_saveexec_b32 s0, s20
.LBB162_268:                            ;   in Loop: Header=BB162_180 Depth=1
	v_mul_f32_e64 v10, 0x3f22f983, |v3|
	s_delay_alu instid0(VALU_DEP_1) | instskip(NEXT) | instid1(VALU_DEP_1)
	v_rndne_f32_e32 v13, v10
	v_fma_f32 v10, 0xbfc90fda, v13, |v3|
	s_delay_alu instid0(VALU_DEP_1) | instskip(NEXT) | instid1(VALU_DEP_1)
	v_fmac_f32_e32 v10, 0xb3a22168, v13
	v_fmac_f32_e32 v10, 0xa7c234c4, v13
	v_cvt_i32_f32_e32 v13, v13
; %bb.269:                              ;   in Loop: Header=BB162_180 Depth=1
	s_or_b32 exec_lo, exec_lo, s0
                                        ; implicit-def: $vgpr22
                                        ; implicit-def: $vgpr18
	s_and_saveexec_b32 s0, s19
	s_delay_alu instid0(SALU_CYCLE_1)
	s_xor_b32 s19, exec_lo, s0
	s_cbranch_execz .LBB162_271
; %bb.270:                              ;   in Loop: Header=BB162_180 Depth=1
	v_mul_u64_e32 v[24:25], s[4:5], v[16:17]
	v_mov_b32_e32 v27, v17
	v_cmp_lt_u32_e32 vcc_lo, 63, v11
	v_mov_b32_e32 v37, v17
	v_cndmask_b32_e64 v18, 0, 0xffffffc0, vcc_lo
	s_delay_alu instid0(VALU_DEP_1) | instskip(NEXT) | instid1(VALU_DEP_1)
	v_add_nc_u32_e32 v11, v18, v11
	v_cmp_lt_u32_e64 s0, 31, v11
	s_delay_alu instid0(VALU_DEP_1) | instskip(NEXT) | instid1(VALU_DEP_1)
	v_cndmask_b32_e64 v18, 0, 0xffffffe0, s0
	v_dual_mov_b32 v26, v25 :: v_dual_add_nc_u32 v11, v18, v11
	s_delay_alu instid0(VALU_DEP_1) | instskip(NEXT) | instid1(VALU_DEP_2)
	v_cmp_lt_u32_e64 s1, 31, v11
	v_mad_nc_u64_u32 v[26:27], 0x3c439041, v16, v[26:27]
	s_delay_alu instid0(VALU_DEP_1) | instskip(NEXT) | instid1(VALU_DEP_1)
	v_dual_mov_b32 v29, v17 :: v_dual_mov_b32 v28, v27
	v_mad_nc_u64_u32 v[28:29], 0xdb629599, v16, v[28:29]
	s_delay_alu instid0(VALU_DEP_1) | instskip(NEXT) | instid1(VALU_DEP_2)
	v_dual_mov_b32 v31, v17 :: v_dual_mov_b32 v30, v29
	v_cndmask_b32_e32 v24, v28, v24, vcc_lo
	s_delay_alu instid0(VALU_DEP_2) | instskip(NEXT) | instid1(VALU_DEP_1)
	v_mad_nc_u64_u32 v[30:31], 0xf534ddc0, v16, v[30:31]
	v_dual_mov_b32 v33, v17 :: v_dual_mov_b32 v32, v31
	s_delay_alu instid0(VALU_DEP_1) | instskip(NEXT) | instid1(VALU_DEP_1)
	v_mad_nc_u64_u32 v[32:33], 0xfc2757d1, v16, v[32:33]
	v_dual_mov_b32 v35, v17 :: v_dual_mov_b32 v34, v33
	s_delay_alu instid0(VALU_DEP_2) | instskip(NEXT) | instid1(VALU_DEP_2)
	v_cndmask_b32_e32 v27, v32, v28, vcc_lo
	v_mad_nc_u64_u32 v[34:35], 0x4e441529, v16, v[34:35]
	s_delay_alu instid0(VALU_DEP_1) | instskip(NEXT) | instid1(VALU_DEP_1)
	v_mov_b32_e32 v36, v35
	v_mad_nc_u64_u32 v[36:37], 0xa2f9836e, v16, v[36:37]
	v_cndmask_b32_e64 v16, 0, 0xffffffe0, s1
	s_delay_alu instid0(VALU_DEP_1) | instskip(NEXT) | instid1(VALU_DEP_3)
	v_dual_cndmask_b32 v18, v34, v30 :: v_dual_add_nc_u32 v11, v16, v11
	v_dual_cndmask_b32 v16, v30, v26, vcc_lo :: v_dual_cndmask_b32 v22, v36, v32, vcc_lo
	s_delay_alu instid0(VALU_DEP_4) | instskip(NEXT) | instid1(VALU_DEP_3)
	v_cndmask_b32_e32 v25, v37, v34, vcc_lo
	v_cmp_eq_u32_e32 vcc_lo, 0, v11
	s_delay_alu instid0(VALU_DEP_3) | instskip(NEXT) | instid1(VALU_DEP_3)
	v_cndmask_b32_e64 v26, v22, v18, s0
	v_dual_cndmask_b32 v22, v25, v22, s0 :: v_dual_cndmask_b32 v18, v18, v27, s0
	v_dual_sub_nc_u32 v25, 32, v11 :: v_dual_cndmask_b32 v27, v27, v16, s0
	s_delay_alu instid0(VALU_DEP_2) | instskip(NEXT) | instid1(VALU_DEP_1)
	v_dual_cndmask_b32 v16, v16, v24, s0 :: v_dual_cndmask_b32 v22, v22, v26, s1
	v_dual_cndmask_b32 v26, v26, v18, s1 :: v_dual_cndmask_b32 v16, v27, v16, s1
	s_delay_alu instid0(VALU_DEP_1) | instskip(NEXT) | instid1(VALU_DEP_1)
	v_alignbit_b32 v29, v22, v26, v25
	v_dual_cndmask_b32 v18, v18, v27, s1 :: v_dual_cndmask_b32 v11, v29, v22, vcc_lo
	s_delay_alu instid0(VALU_DEP_1) | instskip(NEXT) | instid1(VALU_DEP_4)
	v_alignbit_b32 v28, v26, v18, v25
	v_alignbit_b32 v25, v18, v16, v25
	s_delay_alu instid0(VALU_DEP_3) | instskip(NEXT) | instid1(VALU_DEP_3)
	v_bfe_u32 v24, v11, 29, 1
	v_cndmask_b32_e32 v22, v28, v26, vcc_lo
	s_delay_alu instid0(VALU_DEP_2) | instskip(NEXT) | instid1(VALU_DEP_2)
	v_dual_cndmask_b32 v18, v25, v18 :: v_dual_sub_nc_u32 v27, 0, v24
	v_alignbit_b32 v26, v11, v22, 30
	s_delay_alu instid0(VALU_DEP_2) | instskip(SKIP_1) | instid1(VALU_DEP_3)
	v_alignbit_b32 v22, v22, v18, 30
	v_alignbit_b32 v16, v18, v16, 30
	v_xor_b32_e32 v26, v26, v27
	s_delay_alu instid0(VALU_DEP_2) | instskip(NEXT) | instid1(VALU_DEP_2)
	v_xor_b32_e32 v16, v16, v27
	v_clz_i32_u32_e32 v25, v26
	s_delay_alu instid0(VALU_DEP_1) | instskip(SKIP_2) | instid1(VALU_DEP_3)
	v_min_u32_e32 v25, 32, v25
	v_xor_b32_e32 v18, v22, v27
	v_dual_lshrrev_b32 v27, 29, v11 :: v_dual_lshrrev_b32 v11, 30, v11
	v_dual_sub_nc_u32 v22, 31, v25 :: v_dual_lshlrev_b32 v28, 23, v25
	s_delay_alu instid0(VALU_DEP_1) | instskip(SKIP_1) | instid1(VALU_DEP_4)
	v_alignbit_b32 v26, v26, v18, v22
	v_alignbit_b32 v16, v18, v16, v22
	v_lshlrev_b32_e32 v18, 31, v27
	s_delay_alu instid0(VALU_DEP_2) | instskip(NEXT) | instid1(VALU_DEP_2)
	v_alignbit_b32 v22, v26, v16, 9
	v_or_b32_e32 v27, 0.5, v18
	v_lshrrev_b32_e32 v26, 9, v26
	v_or_b32_e32 v18, 0x33000000, v18
	s_delay_alu instid0(VALU_DEP_4) | instskip(NEXT) | instid1(VALU_DEP_4)
	v_clz_i32_u32_e32 v29, v22
	v_sub_nc_u32_e32 v27, v27, v28
	s_delay_alu instid0(VALU_DEP_2) | instskip(NEXT) | instid1(VALU_DEP_2)
	v_min_u32_e32 v28, 32, v29
	v_or_b32_e32 v26, v26, v27
	s_delay_alu instid0(VALU_DEP_2) | instskip(SKIP_1) | instid1(VALU_DEP_2)
	v_not_b32_e32 v27, v28
	v_add_lshl_u32 v25, v28, v25, 23
	v_alignbit_b32 v16, v22, v16, v27
	s_delay_alu instid0(VALU_DEP_1) | instskip(NEXT) | instid1(VALU_DEP_1)
	v_dual_sub_nc_u32 v18, v18, v25 :: v_dual_lshrrev_b32 v16, 9, v16
	v_or_b32_e32 v16, v18, v16
	v_mul_f32_e32 v29, 0x3fc90fda, v26
	s_delay_alu instid0(VALU_DEP_1) | instskip(NEXT) | instid1(VALU_DEP_1)
	v_fma_f32 v22, 0x3fc90fda, v26, -v29
	v_fmac_f32_e32 v22, 0x33a22168, v26
	s_delay_alu instid0(VALU_DEP_1) | instskip(NEXT) | instid1(VALU_DEP_1)
	v_fmac_f32_e32 v22, 0x3fc90fda, v16
	v_dual_add_f32 v18, v29, v22 :: v_dual_add_nc_u32 v22, v24, v11
	s_and_not1_saveexec_b32 s0, s19
	s_cbranch_execnz .LBB162_272
	s_branch .LBB162_273
.LBB162_271:                            ;   in Loop: Header=BB162_180 Depth=1
	s_and_not1_saveexec_b32 s0, s19
.LBB162_272:                            ;   in Loop: Header=BB162_180 Depth=1
	v_mul_f32_e64 v11, 0x3f22f983, |v3|
	s_delay_alu instid0(VALU_DEP_1) | instskip(NEXT) | instid1(VALU_DEP_1)
	v_rndne_f32_e32 v11, v11
	v_fma_f32 v18, 0xbfc90fda, v11, |v3|
	v_cvt_i32_f32_e32 v22, v11
	s_delay_alu instid0(VALU_DEP_2) | instskip(NEXT) | instid1(VALU_DEP_1)
	v_fmac_f32_e32 v18, 0xb3a22168, v11
	v_fmac_f32_e32 v18, 0xa7c234c4, v11
.LBB162_273:                            ;   in Loop: Header=BB162_180 Depth=1
	s_or_b32 exec_lo, exec_lo, s0
	v_dual_mul_f32 v11, v10, v10 :: v_dual_bitop2_b32 v16, 1, v13 bitop3:0x40
	v_lshlrev_b32_e32 v13, 30, v13
	v_mul_f32_e64 v24, 0xbfb8aa3b, |v2|
	s_delay_alu instid0(VALU_DEP_3) | instskip(NEXT) | instid1(VALU_DEP_4)
	v_fmaak_f32 v26, s14, v11, 0xbab64f3b
	v_cmp_eq_u32_e32 vcc_lo, 0, v16
	s_delay_alu instid0(VALU_DEP_4) | instskip(NEXT) | instid1(VALU_DEP_4)
	v_bitop3_b32 v12, v12, v13, 0x80000000 bitop3:0x78
	v_rndne_f32_e32 v13, v24
	v_fmaak_f32 v25, s13, v11, 0x3c0881c4
	v_fma_f32 v28, 0xbfb8aa3b, |v2|, -v24
	v_fmaak_f32 v26, v11, v26, 0x3d2aabf7
	s_delay_alu instid0(VALU_DEP_4) | instskip(SKIP_1) | instid1(VALU_DEP_4)
	v_sub_f32_e32 v24, v24, v13
	v_cvt_i32_f32_e32 v13, v13
	v_fma_f32 v28, 0xb2a5705f, |v2|, v28
	v_fmaak_f32 v25, v11, v25, 0xbe2aaa9d
	v_fmaak_f32 v26, v11, v26, 0xbf000004
	s_delay_alu instid0(VALU_DEP_3) | instskip(NEXT) | instid1(VALU_DEP_3)
	v_dual_add_f32 v24, v24, v28 :: v_dual_mul_f32 v27, v18, v18
	v_mul_f32_e32 v25, v11, v25
	s_delay_alu instid0(VALU_DEP_3) | instskip(NEXT) | instid1(VALU_DEP_3)
	v_fma_f32 v11, v11, v26, 1.0
	v_exp_f32_e32 v16, v24
	s_delay_alu instid0(VALU_DEP_2) | instskip(SKIP_1) | instid1(VALU_DEP_2)
	v_dual_fmaak_f32 v29, s13, v27, 0x3c0881c4 :: v_dual_fmac_f32 v10, v10, v25
	v_fmaak_f32 v30, s14, v27, 0xbab64f3b
	v_fmaak_f32 v29, v27, v29, 0xbe2aaa9d
	s_delay_alu instid0(VALU_DEP_3) | instskip(NEXT) | instid1(VALU_DEP_2)
	v_cndmask_b32_e32 v10, v11, v10, vcc_lo
	v_mul_f32_e32 v26, v27, v29
	s_delay_alu instid0(VALU_DEP_2)
	v_xor3_b32 v10, v12, v10, v3
	v_ldexp_f32 v12, v16, v13
	v_lshlrev_b32_e32 v13, 30, v22
	v_fmaak_f32 v25, v27, v30, 0x3d2aabf7
	v_and_b32_e32 v24, 1, v22
	v_fmac_f32_e32 v18, v18, v26
	s_delay_alu instid0(VALU_DEP_3) | instskip(NEXT) | instid1(VALU_DEP_3)
	v_dual_mul_f32 v10, 4.0, v10 :: v_dual_fmaak_f32 v11, v27, v25, 0xbf000004
	v_cmp_eq_u32_e32 vcc_lo, 0, v24
	s_delay_alu instid0(VALU_DEP_2) | instskip(NEXT) | instid1(VALU_DEP_1)
	v_fma_f32 v11, v27, v11, 1.0
	v_cndmask_b32_e64 v11, -v18, v11, vcc_lo
	v_cmp_nlt_f32_e64 vcc_lo, 0x42ce8ed0, |v2|
	s_delay_alu instid0(VALU_DEP_2) | instskip(SKIP_2) | instid1(VALU_DEP_3)
	v_bitop3_b32 v11, v13, v11, 0x80000000 bitop3:0x6c
	v_cndmask_b32_e32 v12, 0, v12, vcc_lo
	v_cmp_ngt_f32_e64 vcc_lo, 0xc2b17218, |v2|
	v_mul_f32_e32 v10, v10, v11
	s_delay_alu instid0(VALU_DEP_3) | instskip(NEXT) | instid1(VALU_DEP_1)
	v_cndmask_b32_e32 v12, 0x7f800000, v12, vcc_lo
	v_mul_f32_e32 v11, v12, v10
	v_bfi_b32 v10, 0x7fffffff, 1.0, v2
	s_delay_alu instid0(VALU_DEP_2)
	v_mul_f32_e32 v11, v12, v11
.LBB162_274:                            ;   in Loop: Header=BB162_180 Depth=1
	s_or_b32 exec_lo, exec_lo, s18
.LBB162_275:                            ;   in Loop: Header=BB162_180 Depth=1
	s_and_not1_saveexec_b32 s0, s17
; %bb.276:                              ;   in Loop: Header=BB162_180 Depth=1
	v_sub_f32_e32 v11, v3, v3
	s_delay_alu instid0(VALU_DEP_1)
	v_mov_b32_e32 v10, v11
; %bb.277:                              ;   in Loop: Header=BB162_180 Depth=1
	s_or_b32 exec_lo, exec_lo, s0
.LBB162_278:                            ;   in Loop: Header=BB162_180 Depth=1
	s_and_not1_saveexec_b32 s16, s16
	s_cbranch_execz .LBB162_294
; %bb.279:                              ;   in Loop: Header=BB162_180 Depth=1
	v_and_b32_e32 v10, 0x7fffff, v2
	s_mov_b32 s0, exec_lo
                                        ; implicit-def: $vgpr11
	s_delay_alu instid0(VALU_DEP_1)
	v_cmpx_ne_u32_e32 0, v10
	s_xor_b32 s0, exec_lo, s0
; %bb.280:                              ;   in Loop: Header=BB162_180 Depth=1
	v_mul_f32_e32 v10, v2, v3
	v_cmp_eq_f32_e32 vcc_lo, 0, v3
	s_delay_alu instid0(VALU_DEP_2)
	v_cndmask_b32_e32 v11, v10, v3, vcc_lo
; %bb.281:                              ;   in Loop: Header=BB162_180 Depth=1
	s_and_not1_saveexec_b32 s17, s0
	s_cbranch_execz .LBB162_293
; %bb.282:                              ;   in Loop: Header=BB162_180 Depth=1
	s_mov_b32 s18, exec_lo
	v_cmpx_neq_f32_e64 0x7f800000, |v3|
	s_cbranch_execz .LBB162_292
; %bb.283:                              ;   in Loop: Header=BB162_180 Depth=1
	v_and_b32_e32 v10, 0x7fffffff, v3
	v_cmp_ngt_f32_e64 s19, 0x48000000, |v3|
                                        ; implicit-def: $vgpr12
	s_delay_alu instid0(VALU_DEP_2) | instskip(SKIP_1) | instid1(VALU_DEP_2)
	v_lshrrev_b32_e32 v11, 23, v10
	v_and_or_b32 v16, v10, s6, 0x800000
	v_add_nc_u32_e32 v13, 0xffffff88, v11
                                        ; implicit-def: $vgpr11
	s_and_saveexec_b32 s0, s19
	s_delay_alu instid0(SALU_CYCLE_1)
	s_xor_b32 s20, exec_lo, s0
	s_cbranch_execz .LBB162_285
; %bb.284:                              ;   in Loop: Header=BB162_180 Depth=1
	v_mul_u64_e32 v[24:25], s[4:5], v[16:17]
	v_mov_b32_e32 v27, v17
	v_cmp_lt_u32_e32 vcc_lo, 63, v13
	v_mov_b32_e32 v37, v17
	v_cndmask_b32_e64 v11, 0, 0xffffffc0, vcc_lo
	s_delay_alu instid0(VALU_DEP_1) | instskip(NEXT) | instid1(VALU_DEP_1)
	v_add_nc_u32_e32 v11, v11, v13
	v_cmp_lt_u32_e64 s0, 31, v11
	s_delay_alu instid0(VALU_DEP_1) | instskip(NEXT) | instid1(VALU_DEP_1)
	v_cndmask_b32_e64 v12, 0, 0xffffffe0, s0
	v_dual_mov_b32 v26, v25 :: v_dual_add_nc_u32 v11, v12, v11
	s_delay_alu instid0(VALU_DEP_1) | instskip(NEXT) | instid1(VALU_DEP_2)
	v_cmp_lt_u32_e64 s1, 31, v11
	v_mad_nc_u64_u32 v[26:27], 0x3c439041, v16, v[26:27]
	v_mov_b32_e32 v29, v17
	s_delay_alu instid0(VALU_DEP_3) | instskip(NEXT) | instid1(VALU_DEP_3)
	v_cndmask_b32_e64 v12, 0, 0xffffffe0, s1
	v_mov_b32_e32 v28, v27
	s_delay_alu instid0(VALU_DEP_1) | instskip(NEXT) | instid1(VALU_DEP_1)
	v_mad_nc_u64_u32 v[28:29], 0xdb629599, v16, v[28:29]
	v_dual_mov_b32 v31, v17 :: v_dual_mov_b32 v30, v29
	s_delay_alu instid0(VALU_DEP_2) | instskip(NEXT) | instid1(VALU_DEP_2)
	v_cndmask_b32_e32 v24, v28, v24, vcc_lo
	v_mad_nc_u64_u32 v[30:31], 0xf534ddc0, v16, v[30:31]
	v_dual_mov_b32 v33, v17 :: v_dual_add_nc_u32 v11, v12, v11
	s_delay_alu instid0(VALU_DEP_2) | instskip(NEXT) | instid1(VALU_DEP_1)
	v_dual_cndmask_b32 v12, v30, v26, vcc_lo :: v_dual_mov_b32 v32, v31
	v_mad_nc_u64_u32 v[32:33], 0xfc2757d1, v16, v[32:33]
	s_delay_alu instid0(VALU_DEP_1) | instskip(NEXT) | instid1(VALU_DEP_2)
	v_dual_mov_b32 v35, v17 :: v_dual_mov_b32 v34, v33
	v_cndmask_b32_e32 v27, v32, v28, vcc_lo
	s_delay_alu instid0(VALU_DEP_2) | instskip(NEXT) | instid1(VALU_DEP_1)
	v_mad_nc_u64_u32 v[34:35], 0x4e441529, v16, v[34:35]
	v_mov_b32_e32 v36, v35
	s_delay_alu instid0(VALU_DEP_1) | instskip(NEXT) | instid1(VALU_DEP_1)
	v_mad_nc_u64_u32 v[36:37], 0xa2f9836e, v16, v[36:37]
	v_dual_cndmask_b32 v18, v34, v30, vcc_lo :: v_dual_cndmask_b32 v22, v36, v32, vcc_lo
	s_delay_alu instid0(VALU_DEP_2) | instskip(SKIP_1) | instid1(VALU_DEP_3)
	v_cndmask_b32_e32 v25, v37, v34, vcc_lo
	v_cmp_eq_u32_e32 vcc_lo, 0, v11
	v_cndmask_b32_e64 v26, v22, v18, s0
	s_delay_alu instid0(VALU_DEP_3) | instskip(SKIP_1) | instid1(VALU_DEP_2)
	v_dual_cndmask_b32 v22, v25, v22, s0 :: v_dual_cndmask_b32 v18, v18, v27, s0
	v_dual_sub_nc_u32 v25, 32, v11 :: v_dual_cndmask_b32 v27, v27, v12, s0
	v_dual_cndmask_b32 v12, v12, v24, s0 :: v_dual_cndmask_b32 v22, v22, v26, s1
	s_delay_alu instid0(VALU_DEP_1) | instskip(NEXT) | instid1(VALU_DEP_1)
	v_dual_cndmask_b32 v26, v26, v18, s1 :: v_dual_cndmask_b32 v12, v27, v12, s1
	v_alignbit_b32 v29, v22, v26, v25
	s_delay_alu instid0(VALU_DEP_1) | instskip(NEXT) | instid1(VALU_DEP_1)
	v_dual_cndmask_b32 v18, v18, v27, s1 :: v_dual_cndmask_b32 v11, v29, v22, vcc_lo
	v_alignbit_b32 v28, v26, v18, v25
	s_delay_alu instid0(VALU_DEP_4) | instskip(NEXT) | instid1(VALU_DEP_3)
	v_alignbit_b32 v25, v18, v12, v25
	v_bfe_u32 v24, v11, 29, 1
	s_delay_alu instid0(VALU_DEP_3) | instskip(NEXT) | instid1(VALU_DEP_2)
	v_cndmask_b32_e32 v22, v28, v26, vcc_lo
	v_dual_cndmask_b32 v18, v25, v18 :: v_dual_sub_nc_u32 v27, 0, v24
	s_delay_alu instid0(VALU_DEP_2) | instskip(NEXT) | instid1(VALU_DEP_2)
	v_alignbit_b32 v26, v11, v22, 30
	v_alignbit_b32 v22, v22, v18, 30
	v_alignbit_b32 v12, v18, v12, 30
	s_delay_alu instid0(VALU_DEP_3) | instskip(NEXT) | instid1(VALU_DEP_2)
	v_xor_b32_e32 v26, v26, v27
	v_xor_b32_e32 v12, v12, v27
	s_delay_alu instid0(VALU_DEP_2) | instskip(NEXT) | instid1(VALU_DEP_1)
	v_clz_i32_u32_e32 v25, v26
	v_min_u32_e32 v25, 32, v25
	v_xor_b32_e32 v18, v22, v27
	s_delay_alu instid0(VALU_DEP_2) | instskip(SKIP_1) | instid1(VALU_DEP_1)
	v_dual_lshrrev_b32 v27, 29, v11 :: v_dual_lshlrev_b32 v28, 23, v25
	v_sub_nc_u32_e32 v22, 31, v25
	v_alignbit_b32 v26, v26, v18, v22
	v_alignbit_b32 v12, v18, v12, v22
	s_delay_alu instid0(VALU_DEP_4) | instskip(NEXT) | instid1(VALU_DEP_2)
	v_lshlrev_b32_e32 v18, 31, v27
	v_alignbit_b32 v22, v26, v12, 9
	s_delay_alu instid0(VALU_DEP_2) | instskip(SKIP_2) | instid1(VALU_DEP_4)
	v_or_b32_e32 v27, 0.5, v18
	v_lshrrev_b32_e32 v26, 9, v26
	v_or_b32_e32 v18, 0x33000000, v18
	v_clz_i32_u32_e32 v29, v22
	s_delay_alu instid0(VALU_DEP_4) | instskip(NEXT) | instid1(VALU_DEP_2)
	v_sub_nc_u32_e32 v27, v27, v28
	v_min_u32_e32 v28, 32, v29
	s_delay_alu instid0(VALU_DEP_2) | instskip(NEXT) | instid1(VALU_DEP_2)
	v_or_b32_e32 v26, v26, v27
	v_not_b32_e32 v27, v28
	v_add_lshl_u32 v25, v28, v25, 23
	s_delay_alu instid0(VALU_DEP_2) | instskip(NEXT) | instid1(VALU_DEP_1)
	v_alignbit_b32 v12, v22, v12, v27
	v_dual_sub_nc_u32 v18, v18, v25 :: v_dual_lshrrev_b32 v12, 9, v12
	s_delay_alu instid0(VALU_DEP_1) | instskip(SKIP_1) | instid1(VALU_DEP_1)
	v_or_b32_e32 v12, v18, v12
	v_mul_f32_e32 v29, 0x3fc90fda, v26
	v_fma_f32 v22, 0x3fc90fda, v26, -v29
	s_delay_alu instid0(VALU_DEP_1) | instskip(NEXT) | instid1(VALU_DEP_1)
	v_fmac_f32_e32 v22, 0x33a22168, v26
	v_fmac_f32_e32 v22, 0x3fc90fda, v12
	s_delay_alu instid0(VALU_DEP_1) | instskip(NEXT) | instid1(VALU_DEP_1)
	v_dual_add_f32 v11, v29, v22 :: v_dual_lshrrev_b32 v12, 30, v11
	v_add_nc_u32_e32 v12, v24, v12
.LBB162_285:                            ;   in Loop: Header=BB162_180 Depth=1
	s_or_saveexec_b32 s0, s20
	v_mul_f32_e64 v18, 0x3f22f983, |v3|
	s_delay_alu instid0(VALU_DEP_1)
	v_rndne_f32_e32 v24, v18
	s_xor_b32 exec_lo, exec_lo, s0
; %bb.286:                              ;   in Loop: Header=BB162_180 Depth=1
	s_delay_alu instid0(VALU_DEP_1) | instskip(SKIP_1) | instid1(VALU_DEP_2)
	v_fma_f32 v11, 0xbfc90fda, v24, |v3|
	v_cvt_i32_f32_e32 v12, v24
	v_fmac_f32_e32 v11, 0xb3a22168, v24
	s_delay_alu instid0(VALU_DEP_1)
	v_fmac_f32_e32 v11, 0xa7c234c4, v24
; %bb.287:                              ;   in Loop: Header=BB162_180 Depth=1
	s_or_b32 exec_lo, exec_lo, s0
                                        ; implicit-def: $vgpr22
                                        ; implicit-def: $vgpr18
	s_and_saveexec_b32 s0, s19
	s_delay_alu instid0(SALU_CYCLE_1)
	s_xor_b32 s19, exec_lo, s0
	s_cbranch_execz .LBB162_289
; %bb.288:                              ;   in Loop: Header=BB162_180 Depth=1
	v_mul_u64_e32 v[24:25], s[4:5], v[16:17]
	v_mov_b32_e32 v27, v17
	v_cmp_lt_u32_e32 vcc_lo, 63, v13
	v_mov_b32_e32 v37, v17
	v_cndmask_b32_e64 v18, 0, 0xffffffc0, vcc_lo
	s_delay_alu instid0(VALU_DEP_1) | instskip(NEXT) | instid1(VALU_DEP_1)
	v_add_nc_u32_e32 v13, v18, v13
	v_cmp_lt_u32_e64 s0, 31, v13
	s_delay_alu instid0(VALU_DEP_1) | instskip(NEXT) | instid1(VALU_DEP_1)
	v_cndmask_b32_e64 v18, 0, 0xffffffe0, s0
	v_dual_mov_b32 v26, v25 :: v_dual_add_nc_u32 v13, v18, v13
	s_delay_alu instid0(VALU_DEP_1) | instskip(NEXT) | instid1(VALU_DEP_2)
	v_cmp_lt_u32_e64 s1, 31, v13
	v_mad_nc_u64_u32 v[26:27], 0x3c439041, v16, v[26:27]
	s_delay_alu instid0(VALU_DEP_1) | instskip(NEXT) | instid1(VALU_DEP_1)
	v_dual_mov_b32 v29, v17 :: v_dual_mov_b32 v28, v27
	v_mad_nc_u64_u32 v[28:29], 0xdb629599, v16, v[28:29]
	s_delay_alu instid0(VALU_DEP_1) | instskip(NEXT) | instid1(VALU_DEP_2)
	v_dual_mov_b32 v31, v17 :: v_dual_mov_b32 v30, v29
	v_cndmask_b32_e32 v24, v28, v24, vcc_lo
	s_delay_alu instid0(VALU_DEP_2) | instskip(NEXT) | instid1(VALU_DEP_1)
	v_mad_nc_u64_u32 v[30:31], 0xf534ddc0, v16, v[30:31]
	v_dual_mov_b32 v33, v17 :: v_dual_mov_b32 v32, v31
	s_delay_alu instid0(VALU_DEP_1) | instskip(NEXT) | instid1(VALU_DEP_1)
	v_mad_nc_u64_u32 v[32:33], 0xfc2757d1, v16, v[32:33]
	v_dual_mov_b32 v35, v17 :: v_dual_mov_b32 v34, v33
	s_delay_alu instid0(VALU_DEP_2) | instskip(NEXT) | instid1(VALU_DEP_2)
	v_cndmask_b32_e32 v27, v32, v28, vcc_lo
	v_mad_nc_u64_u32 v[34:35], 0x4e441529, v16, v[34:35]
	s_delay_alu instid0(VALU_DEP_1) | instskip(NEXT) | instid1(VALU_DEP_1)
	v_mov_b32_e32 v36, v35
	v_mad_nc_u64_u32 v[36:37], 0xa2f9836e, v16, v[36:37]
	v_cndmask_b32_e64 v16, 0, 0xffffffe0, s1
	s_delay_alu instid0(VALU_DEP_1) | instskip(NEXT) | instid1(VALU_DEP_3)
	v_dual_cndmask_b32 v18, v34, v30 :: v_dual_add_nc_u32 v13, v16, v13
	v_dual_cndmask_b32 v16, v30, v26, vcc_lo :: v_dual_cndmask_b32 v22, v36, v32, vcc_lo
	s_delay_alu instid0(VALU_DEP_4) | instskip(NEXT) | instid1(VALU_DEP_3)
	v_cndmask_b32_e32 v25, v37, v34, vcc_lo
	v_cmp_eq_u32_e32 vcc_lo, 0, v13
	s_delay_alu instid0(VALU_DEP_3) | instskip(NEXT) | instid1(VALU_DEP_3)
	v_cndmask_b32_e64 v26, v22, v18, s0
	v_dual_cndmask_b32 v22, v25, v22, s0 :: v_dual_cndmask_b32 v18, v18, v27, s0
	v_dual_sub_nc_u32 v25, 32, v13 :: v_dual_cndmask_b32 v27, v27, v16, s0
	s_delay_alu instid0(VALU_DEP_2) | instskip(NEXT) | instid1(VALU_DEP_1)
	v_dual_cndmask_b32 v16, v16, v24, s0 :: v_dual_cndmask_b32 v22, v22, v26, s1
	v_dual_cndmask_b32 v26, v26, v18, s1 :: v_dual_cndmask_b32 v16, v27, v16, s1
	s_delay_alu instid0(VALU_DEP_1) | instskip(NEXT) | instid1(VALU_DEP_1)
	v_alignbit_b32 v29, v22, v26, v25
	v_dual_cndmask_b32 v18, v18, v27, s1 :: v_dual_cndmask_b32 v13, v29, v22, vcc_lo
	s_delay_alu instid0(VALU_DEP_1) | instskip(NEXT) | instid1(VALU_DEP_4)
	v_alignbit_b32 v28, v26, v18, v25
	v_alignbit_b32 v25, v18, v16, v25
	s_delay_alu instid0(VALU_DEP_3) | instskip(NEXT) | instid1(VALU_DEP_3)
	v_bfe_u32 v24, v13, 29, 1
	v_cndmask_b32_e32 v22, v28, v26, vcc_lo
	s_delay_alu instid0(VALU_DEP_2) | instskip(NEXT) | instid1(VALU_DEP_2)
	v_dual_cndmask_b32 v18, v25, v18 :: v_dual_sub_nc_u32 v27, 0, v24
	v_alignbit_b32 v26, v13, v22, 30
	s_delay_alu instid0(VALU_DEP_2) | instskip(SKIP_1) | instid1(VALU_DEP_3)
	v_alignbit_b32 v22, v22, v18, 30
	v_alignbit_b32 v16, v18, v16, 30
	v_xor_b32_e32 v26, v26, v27
	s_delay_alu instid0(VALU_DEP_2) | instskip(NEXT) | instid1(VALU_DEP_2)
	v_xor_b32_e32 v16, v16, v27
	v_clz_i32_u32_e32 v25, v26
	s_delay_alu instid0(VALU_DEP_1) | instskip(SKIP_2) | instid1(VALU_DEP_3)
	v_min_u32_e32 v25, 32, v25
	v_dual_lshrrev_b32 v27, 29, v13 :: v_dual_bitop2_b32 v18, v22, v27 bitop3:0x14
	v_lshrrev_b32_e32 v13, 30, v13
	v_dual_sub_nc_u32 v22, 31, v25 :: v_dual_lshlrev_b32 v28, 23, v25
	s_delay_alu instid0(VALU_DEP_1) | instskip(SKIP_2) | instid1(VALU_DEP_2)
	v_alignbit_b32 v26, v26, v18, v22
	v_alignbit_b32 v16, v18, v16, v22
	v_lshlrev_b32_e32 v18, 31, v27
	v_alignbit_b32 v22, v26, v16, 9
	s_delay_alu instid0(VALU_DEP_2) | instskip(SKIP_2) | instid1(VALU_DEP_4)
	v_or_b32_e32 v27, 0.5, v18
	v_lshrrev_b32_e32 v26, 9, v26
	v_or_b32_e32 v18, 0x33000000, v18
	v_clz_i32_u32_e32 v29, v22
	s_delay_alu instid0(VALU_DEP_4) | instskip(NEXT) | instid1(VALU_DEP_2)
	v_sub_nc_u32_e32 v27, v27, v28
	v_min_u32_e32 v28, 32, v29
	s_delay_alu instid0(VALU_DEP_2) | instskip(NEXT) | instid1(VALU_DEP_2)
	v_or_b32_e32 v26, v26, v27
	v_not_b32_e32 v27, v28
	v_add_lshl_u32 v25, v28, v25, 23
	s_delay_alu instid0(VALU_DEP_2) | instskip(NEXT) | instid1(VALU_DEP_1)
	v_alignbit_b32 v16, v22, v16, v27
	v_dual_sub_nc_u32 v18, v18, v25 :: v_dual_lshrrev_b32 v16, 9, v16
	s_delay_alu instid0(VALU_DEP_1) | instskip(SKIP_1) | instid1(VALU_DEP_1)
	v_or_b32_e32 v16, v18, v16
	v_mul_f32_e32 v29, 0x3fc90fda, v26
	v_fma_f32 v22, 0x3fc90fda, v26, -v29
	s_delay_alu instid0(VALU_DEP_1) | instskip(NEXT) | instid1(VALU_DEP_1)
	v_fmac_f32_e32 v22, 0x33a22168, v26
	v_fmac_f32_e32 v22, 0x3fc90fda, v16
	s_delay_alu instid0(VALU_DEP_1)
	v_dual_add_f32 v18, v29, v22 :: v_dual_add_nc_u32 v22, v24, v13
                                        ; implicit-def: $vgpr24
	s_and_not1_saveexec_b32 s0, s19
	s_cbranch_execnz .LBB162_290
	s_branch .LBB162_291
.LBB162_289:                            ;   in Loop: Header=BB162_180 Depth=1
	s_and_not1_saveexec_b32 s0, s19
.LBB162_290:                            ;   in Loop: Header=BB162_180 Depth=1
	v_fma_f32 v18, 0xbfc90fda, v24, |v3|
	v_cvt_i32_f32_e32 v22, v24
	s_delay_alu instid0(VALU_DEP_2) | instskip(NEXT) | instid1(VALU_DEP_1)
	v_fmac_f32_e32 v18, 0xb3a22168, v24
	v_fmac_f32_e32 v18, 0xa7c234c4, v24
.LBB162_291:                            ;   in Loop: Header=BB162_180 Depth=1
	s_or_b32 exec_lo, exec_lo, s0
	s_delay_alu instid0(VALU_DEP_1) | instskip(SKIP_2) | instid1(VALU_DEP_3)
	v_dual_mul_f32 v13, v11, v11 :: v_dual_mul_f32 v16, v18, v18
	v_and_b32_e32 v29, 1, v22
	v_dual_lshlrev_b32 v12, 30, v12 :: v_dual_bitop2_b32 v24, 1, v12 bitop3:0x40
	v_dual_fmaak_f32 v25, s13, v13, 0x3c0881c4 :: v_dual_lshlrev_b32 v22, 30, v22
	s_delay_alu instid0(VALU_DEP_4) | instskip(NEXT) | instid1(VALU_DEP_3)
	v_fmaak_f32 v27, s13, v16, 0x3c0881c4
	v_cmp_eq_u32_e32 vcc_lo, 0, v24
	s_delay_alu instid0(VALU_DEP_4) | instskip(NEXT) | instid1(VALU_DEP_3)
	v_bitop3_b32 v10, v10, v12, 0x80000000 bitop3:0x78
	v_fmaak_f32 v27, v16, v27, 0xbe2aaa9d
	s_delay_alu instid0(VALU_DEP_1) | instskip(NEXT) | instid1(VALU_DEP_1)
	v_dual_fmaak_f32 v26, s14, v13, 0xbab64f3b :: v_dual_mul_f32 v27, v16, v27
	v_dual_fmaak_f32 v25, v13, v25, 0xbe2aaa9d :: v_dual_fmac_f32 v18, v18, v27
	s_delay_alu instid0(VALU_DEP_1) | instskip(NEXT) | instid1(VALU_DEP_1)
	v_dual_fmaak_f32 v28, s14, v16, 0xbab64f3b :: v_dual_mul_f32 v25, v13, v25
	v_dual_fmaak_f32 v26, v13, v26, 0x3d2aabf7 :: v_dual_fmac_f32 v11, v11, v25
	s_delay_alu instid0(VALU_DEP_1) | instskip(NEXT) | instid1(VALU_DEP_1)
	v_fmaak_f32 v26, v13, v26, 0xbf000004
	v_fma_f32 v13, v13, v26, 1.0
	s_delay_alu instid0(VALU_DEP_1) | instskip(NEXT) | instid1(VALU_DEP_1)
	v_dual_fmaak_f32 v28, v16, v28, 0x3d2aabf7 :: v_dual_cndmask_b32 v11, v13, v11
	v_fmaak_f32 v28, v16, v28, 0xbf000004
	v_cmp_eq_u32_e32 vcc_lo, 0, v29
	s_delay_alu instid0(VALU_DEP_3) | instskip(NEXT) | instid1(VALU_DEP_3)
	v_xor3_b32 v10, v10, v11, v3
	v_fma_f32 v16, v16, v28, 1.0
	s_delay_alu instid0(VALU_DEP_1) | instskip(SKIP_1) | instid1(VALU_DEP_2)
	v_cndmask_b32_e64 v12, -v18, v16, vcc_lo
	v_cmp_class_f32_e64 vcc_lo, v3, 0x1f8
	v_bitop3_b32 v11, v22, v12, 0x80000000 bitop3:0x6c
	s_delay_alu instid0(VALU_DEP_1) | instskip(NEXT) | instid1(VALU_DEP_1)
	v_mul_f32_e32 v10, v10, v11
	v_cndmask_b32_e32 v3, 0x7fc00000, v10, vcc_lo
.LBB162_292:                            ;   in Loop: Header=BB162_180 Depth=1
	s_or_b32 exec_lo, exec_lo, s18
	v_add_nc_u32_e32 v2, -2.0, v2
	s_delay_alu instid0(VALU_DEP_2)
	v_bfi_b32 v11, 0x7fffffff, 0, v3
.LBB162_293:                            ;   in Loop: Header=BB162_180 Depth=1
	s_or_b32 exec_lo, exec_lo, s17
	s_delay_alu instid0(VALU_DEP_2)
	v_mov_b32_e32 v10, v2
.LBB162_294:                            ;   in Loop: Header=BB162_180 Depth=1
	s_or_b32 exec_lo, exec_lo, s16
	v_and_b32_e32 v18, 0x7fffffff, v4
	s_mov_b32 s0, exec_lo
	s_delay_alu instid0(VALU_DEP_1)
	v_cmpx_gt_u32_e32 0x7f800000, v18
	s_xor_b32 s16, exec_lo, s0
	s_cbranch_execz .LBB162_316
; %bb.295:                              ;   in Loop: Header=BB162_180 Depth=1
	v_cmp_class_f32_e64 s0, v5, 0x1f8
	s_and_saveexec_b32 s1, s0
	s_delay_alu instid0(SALU_CYCLE_1)
	s_xor_b32 s17, exec_lo, s1
	s_cbranch_execz .LBB162_313
; %bb.296:                              ;   in Loop: Header=BB162_180 Depth=1
	v_and_b32_e32 v2, 0x7fffffff, v5
	s_mov_b32 s0, exec_lo
	v_cmpx_gt_u32_e32 0x41300000, v18
	s_xor_b32 s18, exec_lo, s0
	s_cbranch_execz .LBB162_302
; %bb.297:                              ;   in Loop: Header=BB162_180 Depth=1
                                        ; implicit-def: $vgpr3
                                        ; implicit-def: $vgpr12
	s_mov_b32 s1, exec_lo
	v_cmpx_ngt_f32_e64 0x48000000, |v5|
	s_xor_b32 s19, exec_lo, s1
	s_cbranch_execz .LBB162_299
; %bb.298:                              ;   in Loop: Header=BB162_180 Depth=1
	v_and_or_b32 v16, v2, s6, 0x800000
	v_dual_lshrrev_b32 v3, 23, v2 :: v_dual_mov_b32 v33, v17
	s_delay_alu instid0(VALU_DEP_2) | instskip(SKIP_1) | instid1(VALU_DEP_3)
	v_mul_u64_e32 v[12:13], s[4:5], v[16:17]
	v_mov_b32_e32 v25, v17
	v_add_nc_u32_e32 v3, 0xffffff88, v3
	s_delay_alu instid0(VALU_DEP_1) | instskip(NEXT) | instid1(VALU_DEP_4)
	v_cmp_lt_u32_e32 vcc_lo, 63, v3
	v_mov_b32_e32 v24, v13
	v_cndmask_b32_e64 v13, 0, 0xffffffc0, vcc_lo
	s_delay_alu instid0(VALU_DEP_2) | instskip(NEXT) | instid1(VALU_DEP_1)
	v_mad_nc_u64_u32 v[24:25], 0x3c439041, v16, v[24:25]
	v_dual_mov_b32 v27, v17 :: v_dual_mov_b32 v26, v25
	s_delay_alu instid0(VALU_DEP_1) | instskip(NEXT) | instid1(VALU_DEP_1)
	v_mad_nc_u64_u32 v[26:27], 0xdb629599, v16, v[26:27]
	v_dual_mov_b32 v29, v17 :: v_dual_mov_b32 v28, v27
	s_delay_alu instid0(VALU_DEP_2) | instskip(NEXT) | instid1(VALU_DEP_2)
	v_cndmask_b32_e32 v12, v26, v12, vcc_lo
	v_mad_nc_u64_u32 v[28:29], 0xf534ddc0, v16, v[28:29]
	s_delay_alu instid0(VALU_DEP_1) | instskip(NEXT) | instid1(VALU_DEP_1)
	v_dual_mov_b32 v31, v17 :: v_dual_mov_b32 v30, v29
	v_mad_nc_u64_u32 v[30:31], 0xfc2757d1, v16, v[30:31]
	s_delay_alu instid0(VALU_DEP_1) | instskip(NEXT) | instid1(VALU_DEP_1)
	v_dual_mov_b32 v32, v31 :: v_dual_cndmask_b32 v27, v30, v26
	v_mad_nc_u64_u32 v[32:33], 0x4e441529, v16, v[32:33]
	v_add_nc_u32_e32 v3, v13, v3
	s_delay_alu instid0(VALU_DEP_2) | instskip(NEXT) | instid1(VALU_DEP_1)
	v_dual_mov_b32 v35, v17 :: v_dual_mov_b32 v34, v33
	v_mad_nc_u64_u32 v[34:35], 0xa2f9836e, v16, v[34:35]
	s_delay_alu instid0(VALU_DEP_4) | instskip(NEXT) | instid1(VALU_DEP_4)
	v_cndmask_b32_e32 v16, v32, v28, vcc_lo
	v_cmp_lt_u32_e64 s0, 31, v3
	s_delay_alu instid0(VALU_DEP_1) | instskip(NEXT) | instid1(VALU_DEP_1)
	v_cndmask_b32_e64 v13, 0, 0xffffffe0, s0
	v_dual_cndmask_b32 v22, v34, v30 :: v_dual_add_nc_u32 v3, v13, v3
	v_cndmask_b32_e32 v25, v35, v32, vcc_lo
	s_delay_alu instid0(VALU_DEP_2) | instskip(NEXT) | instid1(VALU_DEP_1)
	v_cmp_lt_u32_e64 s1, 31, v3
	v_cndmask_b32_e64 v13, 0, 0xffffffe0, s1
	s_delay_alu instid0(VALU_DEP_1) | instskip(NEXT) | instid1(VALU_DEP_4)
	v_dual_add_nc_u32 v3, v13, v3 :: v_dual_cndmask_b32 v13, v28, v24, vcc_lo
	v_dual_cndmask_b32 v24, v22, v16, s0 :: v_dual_cndmask_b32 v22, v25, v22, s0
	v_cndmask_b32_e64 v16, v16, v27, s0
	s_delay_alu instid0(VALU_DEP_3) | instskip(SKIP_1) | instid1(VALU_DEP_4)
	v_dual_sub_nc_u32 v25, 32, v3 :: v_dual_cndmask_b32 v27, v27, v13, s0
	v_cmp_eq_u32_e32 vcc_lo, 0, v3
	v_cndmask_b32_e64 v22, v22, v24, s1
	s_delay_alu instid0(VALU_DEP_4) | instskip(NEXT) | instid1(VALU_DEP_4)
	v_cndmask_b32_e64 v24, v24, v16, s1
	v_dual_cndmask_b32 v12, v13, v12, s0 :: v_dual_cndmask_b32 v16, v16, v27, s1
	s_delay_alu instid0(VALU_DEP_2) | instskip(NEXT) | instid1(VALU_DEP_2)
	v_alignbit_b32 v28, v22, v24, v25
	v_alignbit_b32 v26, v24, v16, v25
	s_delay_alu instid0(VALU_DEP_1) | instskip(NEXT) | instid1(VALU_DEP_1)
	v_dual_cndmask_b32 v3, v28, v22, vcc_lo :: v_dual_cndmask_b32 v13, v26, v24, vcc_lo
	v_bfe_u32 v22, v3, 29, 1
	s_delay_alu instid0(VALU_DEP_2) | instskip(NEXT) | instid1(VALU_DEP_2)
	v_alignbit_b32 v24, v3, v13, 30
	v_dual_sub_nc_u32 v26, 0, v22 :: v_dual_cndmask_b32 v12, v27, v12, s1
	s_delay_alu instid0(VALU_DEP_1) | instskip(NEXT) | instid1(VALU_DEP_2)
	v_xor_b32_e32 v24, v24, v26
	v_alignbit_b32 v25, v16, v12, v25
	s_delay_alu instid0(VALU_DEP_1) | instskip(NEXT) | instid1(VALU_DEP_3)
	v_cndmask_b32_e32 v16, v25, v16, vcc_lo
	v_clz_i32_u32_e32 v25, v24
	s_delay_alu instid0(VALU_DEP_2) | instskip(NEXT) | instid1(VALU_DEP_2)
	v_alignbit_b32 v13, v13, v16, 30
	v_min_u32_e32 v25, 32, v25
	s_delay_alu instid0(VALU_DEP_2) | instskip(SKIP_1) | instid1(VALU_DEP_3)
	v_xor_b32_e32 v13, v13, v26
	v_alignbit_b32 v12, v16, v12, 30
	v_dual_sub_nc_u32 v16, 31, v25 :: v_dual_lshlrev_b32 v27, 23, v25
	s_delay_alu instid0(VALU_DEP_2) | instskip(NEXT) | instid1(VALU_DEP_2)
	v_dual_lshrrev_b32 v26, 29, v3 :: v_dual_bitop2_b32 v12, v12, v26 bitop3:0x14
	v_alignbit_b32 v24, v24, v13, v16
	v_lshrrev_b32_e32 v3, 30, v3
	s_delay_alu instid0(VALU_DEP_3) | instskip(NEXT) | instid1(VALU_DEP_2)
	v_alignbit_b32 v12, v13, v12, v16
	v_dual_lshlrev_b32 v13, 31, v26 :: v_dual_add_nc_u32 v3, v22, v3
	s_delay_alu instid0(VALU_DEP_2) | instskip(NEXT) | instid1(VALU_DEP_2)
	v_alignbit_b32 v16, v24, v12, 9
	v_dual_lshrrev_b32 v24, 9, v24 :: v_dual_bitop2_b32 v26, 0.5, v13 bitop3:0x54
	v_or_b32_e32 v13, 0x33000000, v13
	s_delay_alu instid0(VALU_DEP_3) | instskip(NEXT) | instid1(VALU_DEP_3)
	v_clz_i32_u32_e32 v28, v16
	v_sub_nc_u32_e32 v26, v26, v27
	s_delay_alu instid0(VALU_DEP_2) | instskip(NEXT) | instid1(VALU_DEP_1)
	v_min_u32_e32 v27, 32, v28
	v_add_lshl_u32 v25, v27, v25, 23
	s_delay_alu instid0(VALU_DEP_1) | instskip(SKIP_1) | instid1(VALU_DEP_1)
	v_dual_sub_nc_u32 v13, v13, v25 :: v_dual_bitop2_b32 v24, v24, v26 bitop3:0x54
	v_not_b32_e32 v26, v27
	v_alignbit_b32 v12, v16, v12, v26
	s_delay_alu instid0(VALU_DEP_1) | instskip(NEXT) | instid1(VALU_DEP_4)
	v_lshrrev_b32_e32 v12, 9, v12
	v_mul_f32_e32 v28, 0x3fc90fda, v24
	s_delay_alu instid0(VALU_DEP_2) | instskip(NEXT) | instid1(VALU_DEP_2)
	v_or_b32_e32 v12, v13, v12
	v_fma_f32 v16, 0x3fc90fda, v24, -v28
	s_delay_alu instid0(VALU_DEP_1) | instskip(NEXT) | instid1(VALU_DEP_1)
	v_fmac_f32_e32 v16, 0x33a22168, v24
	v_fmac_f32_e32 v16, 0x3fc90fda, v12
	s_delay_alu instid0(VALU_DEP_1)
	v_add_f32_e32 v12, v28, v16
.LBB162_299:                            ;   in Loop: Header=BB162_180 Depth=1
	s_and_not1_saveexec_b32 s0, s19
; %bb.300:                              ;   in Loop: Header=BB162_180 Depth=1
	v_mul_f32_e64 v3, 0x3f22f983, |v5|
	s_delay_alu instid0(VALU_DEP_1) | instskip(NEXT) | instid1(VALU_DEP_1)
	v_rndne_f32_e32 v3, v3
	v_fma_f32 v12, 0xbfc90fda, v3, |v5|
	s_delay_alu instid0(VALU_DEP_1) | instskip(NEXT) | instid1(VALU_DEP_1)
	v_fmac_f32_e32 v12, 0xb3a22168, v3
	v_fmac_f32_e32 v12, 0xa7c234c4, v3
	v_cvt_i32_f32_e32 v3, v3
; %bb.301:                              ;   in Loop: Header=BB162_180 Depth=1
	s_or_b32 exec_lo, exec_lo, s0
	v_add_f32_e64 v13, 0xbf317218, |v4|
	v_cmp_nlt_f32_e64 vcc_lo, 0x42b2d4fc, |v4|
	v_cmp_gt_f32_e64 s0, 0x39800000, |v4|
	v_and_b32_e32 v3, 1, v3
	s_delay_alu instid0(VALU_DEP_4) | instskip(NEXT) | instid1(VALU_DEP_1)
	v_sub_f32_e64 v25, v13, |v4|
	v_sub_f32_e32 v24, v25, v13
	s_delay_alu instid0(VALU_DEP_1) | instskip(NEXT) | instid1(VALU_DEP_1)
	v_pk_add_f32 v[24:25], v[18:19], v[24:25]
	v_sub_f32_e32 v16, v24, v25
	s_delay_alu instid0(VALU_DEP_1) | instskip(NEXT) | instid1(VALU_DEP_1)
	v_add_f32_e32 v16, 0x3102e308, v16
	v_add_f32_e32 v18, v13, v16
	s_delay_alu instid0(VALU_DEP_1) | instskip(NEXT) | instid1(VALU_DEP_1)
	v_dual_mul_f32 v22, 0x3fb8aa3b, v18 :: v_dual_sub_f32 v13, v13, v18
	v_rndne_f32_e32 v32, v22
	s_delay_alu instid0(VALU_DEP_1) | instskip(SKIP_1) | instid1(VALU_DEP_2)
	v_dual_add_f32 v13, v16, v13 :: v_dual_fmac_f32 v18, 0xbf317200, v32
	v_mul_f32_e32 v16, 0x35bfbc00, v32
	v_dual_mul_f32 v27, 0x2ea39ef3, v32 :: v_dual_add_f32 v22, v13, v18
	s_delay_alu instid0(VALU_DEP_1) | instskip(SKIP_1) | instid1(VALU_DEP_1)
	v_sub_f32_e32 v24, v22, v16
	v_sub_f32_e32 v18, v18, v22
	v_dual_sub_f32 v22, v22, v24 :: v_dual_add_f32 v13, v13, v18
	s_delay_alu instid0(VALU_DEP_1) | instskip(NEXT) | instid1(VALU_DEP_1)
	v_sub_f32_e32 v16, v22, v16
	v_add_f32_e32 v13, v13, v16
	s_delay_alu instid0(VALU_DEP_1) | instskip(NEXT) | instid1(VALU_DEP_1)
	v_add_f32_e32 v25, v24, v13
	v_mov_b32_e32 v26, v25
	s_delay_alu instid0(VALU_DEP_1) | instskip(NEXT) | instid1(VALU_DEP_1)
	v_pk_add_f32 v[28:29], v[24:25], v[26:27] neg_lo:[0,1] neg_hi:[0,1]
	v_sub_f32_e32 v16, v25, v29
	s_delay_alu instid0(VALU_DEP_1) | instskip(NEXT) | instid1(VALU_DEP_1)
	v_dual_add_f32 v13, v13, v28 :: v_dual_sub_f32 v16, v16, v27
	v_add_f32_e32 v13, v13, v16
	s_delay_alu instid0(VALU_DEP_1) | instskip(NEXT) | instid1(VALU_DEP_1)
	v_add_f32_e32 v16, v29, v13
	v_dual_mul_f32 v22, v16, v16 :: v_dual_sub_f32 v18, v29, v16
	v_mov_b64_e32 v[28:29], s[6:7]
	s_delay_alu instid0(VALU_DEP_2) | instskip(NEXT) | instid1(VALU_DEP_1)
	v_dual_fma_f32 v24, v16, v16, -v22 :: v_dual_add_f32 v13, v13, v18
	v_add_f32_e32 v25, v13, v13
	s_delay_alu instid0(VALU_DEP_1) | instskip(NEXT) | instid1(VALU_DEP_1)
	v_fmac_f32_e32 v24, v16, v25
	v_add_f32_e32 v25, v22, v24
	v_fmaak_f32 v18, s12, v16, 0x3c091de6
	s_delay_alu instid0(VALU_DEP_2) | instskip(NEXT) | instid1(VALU_DEP_2)
	v_sub_f32_e32 v22, v25, v22
	v_fmaak_f32 v18, v16, v18, 0x3d2aadcc
	s_delay_alu instid0(VALU_DEP_2) | instskip(NEXT) | instid1(VALU_DEP_2)
	v_sub_f32_e32 v22, v24, v22
	v_fmaak_f32 v18, v16, v18, 0x3e2aaa47
	s_delay_alu instid0(VALU_DEP_1) | instskip(NEXT) | instid1(VALU_DEP_1)
	v_fmaak_f32 v18, v16, v18, 0x3efffffc
	v_mul_f32_e32 v26, v18, v25
	s_delay_alu instid0(VALU_DEP_1) | instskip(NEXT) | instid1(VALU_DEP_1)
	v_fma_f32 v24, v25, v18, -v26
	v_fmac_f32_e32 v24, v22, v18
	s_delay_alu instid0(VALU_DEP_1) | instskip(NEXT) | instid1(VALU_DEP_1)
	v_add_f32_e32 v18, v26, v24
	v_add_f32_e32 v22, v16, v18
	s_delay_alu instid0(VALU_DEP_1) | instskip(SKIP_1) | instid1(VALU_DEP_1)
	v_sub_f32_e32 v16, v22, v16
	v_sub_f32_e32 v25, v18, v26
	v_dual_sub_f32 v24, v24, v25 :: v_dual_sub_f32 v16, v18, v16
	s_delay_alu instid0(VALU_DEP_1) | instskip(NEXT) | instid1(VALU_DEP_1)
	v_add_f32_e32 v13, v13, v24
	v_add_f32_e32 v24, v13, v16
	v_cvt_i32_f32_e32 v16, v32
	s_delay_alu instid0(VALU_DEP_2) | instskip(NEXT) | instid1(VALU_DEP_1)
	v_add_f32_e32 v26, v22, v24
	v_dual_add_f32 v27, 1.0, v26 :: v_dual_mov_b32 v25, v26
	s_delay_alu instid0(VALU_DEP_1) | instskip(SKIP_1) | instid1(VALU_DEP_2)
	v_pk_add_f32 v[28:29], v[26:27], v[28:29]
	v_pk_add_f32 v[30:31], v[26:27], v[22:23] neg_lo:[0,1] neg_hi:[0,1]
	v_mov_b32_e32 v31, v29
	s_delay_alu instid0(VALU_DEP_1) | instskip(NEXT) | instid1(VALU_DEP_1)
	v_pk_add_f32 v[24:25], v[24:25], v[30:31] neg_lo:[0,1] neg_hi:[0,1]
	v_add_f32_e32 v13, v24, v25
	s_delay_alu instid0(VALU_DEP_1) | instskip(NEXT) | instid1(VALU_DEP_1)
	v_add_f32_e32 v18, v27, v13
	v_ldexp_f32 v22, v18, v16
	s_delay_alu instid0(VALU_DEP_1)
	v_rcp_f32_e32 v24, v22
	v_sub_f32_e32 v18, v18, v27
	s_delay_alu instid0(TRANS32_DEP_1) | instid1(VALU_DEP_1)
	v_dual_sub_f32 v13, v13, v18 :: v_dual_mul_f32 v18, v22, v24
	s_delay_alu instid0(VALU_DEP_1) | instskip(NEXT) | instid1(VALU_DEP_2)
	v_ldexp_f32 v13, v13, v16
	v_fma_f32 v16, v24, v22, -v18
	s_delay_alu instid0(VALU_DEP_1) | instskip(NEXT) | instid1(VALU_DEP_1)
	v_fmac_f32_e32 v16, v24, v13
	v_add_f32_e32 v25, v18, v16
	s_delay_alu instid0(VALU_DEP_1) | instskip(NEXT) | instid1(VALU_DEP_1)
	v_sub_f32_e32 v26, 1.0, v25
	v_sub_f32_e32 v27, 1.0, v26
	v_sub_f32_e32 v18, v25, v18
	s_delay_alu instid0(VALU_DEP_1) | instskip(NEXT) | instid1(VALU_DEP_1)
	v_dual_sub_f32 v16, v18, v16 :: v_dual_sub_f32 v18, v27, v25
	v_add_f32_e32 v16, v16, v18
	s_delay_alu instid0(VALU_DEP_1) | instskip(NEXT) | instid1(VALU_DEP_1)
	v_add_f32_e32 v18, v26, v16
	v_mul_f32_e32 v25, v24, v18
	s_delay_alu instid0(VALU_DEP_1) | instskip(NEXT) | instid1(VALU_DEP_1)
	v_mul_f32_e32 v27, v22, v25
	v_fma_f32 v28, v25, v22, -v27
	s_delay_alu instid0(VALU_DEP_1) | instskip(NEXT) | instid1(VALU_DEP_1)
	v_dual_sub_f32 v26, v26, v18 :: v_dual_fmac_f32 v28, v25, v13
	v_dual_add_f32 v16, v16, v26 :: v_dual_add_f32 v29, v27, v28
	s_delay_alu instid0(VALU_DEP_1) | instskip(NEXT) | instid1(VALU_DEP_1)
	v_dual_sub_f32 v30, v18, v29 :: v_dual_sub_f32 v26, v29, v27
	v_sub_f32_e32 v18, v18, v30
	s_delay_alu instid0(VALU_DEP_2) | instskip(NEXT) | instid1(VALU_DEP_2)
	v_sub_f32_e32 v26, v26, v28
	v_sub_f32_e32 v18, v18, v29
	s_delay_alu instid0(VALU_DEP_1) | instskip(NEXT) | instid1(VALU_DEP_1)
	v_add_f32_e32 v16, v16, v18
	v_dual_add_f32 v18, v24, v25 :: v_dual_add_f32 v16, v26, v16
	s_delay_alu instid0(VALU_DEP_1) | instskip(NEXT) | instid1(VALU_DEP_1)
	v_sub_f32_e32 v26, v18, v24
	v_dual_add_f32 v16, v30, v16 :: v_dual_sub_f32 v25, v25, v26
	s_delay_alu instid0(VALU_DEP_1) | instskip(NEXT) | instid1(VALU_DEP_1)
	v_mul_f32_e32 v16, v24, v16
	v_add_f32_e32 v16, v25, v16
	s_delay_alu instid0(VALU_DEP_1) | instskip(NEXT) | instid1(VALU_DEP_1)
	v_add_f32_e32 v24, v18, v16
	v_ldexp_f32 v25, v24, -2
	s_delay_alu instid0(VALU_DEP_1) | instskip(NEXT) | instid1(VALU_DEP_1)
	v_dual_sub_f32 v18, v24, v18 :: v_dual_sub_f32 v26, v22, v25
	v_sub_f32_e32 v22, v22, v26
	s_delay_alu instid0(VALU_DEP_1) | instskip(NEXT) | instid1(VALU_DEP_1)
	v_dual_sub_f32 v16, v16, v18 :: v_dual_sub_f32 v18, v22, v25
	v_ldexp_f32 v16, v16, -2
	s_delay_alu instid0(VALU_DEP_2) | instskip(NEXT) | instid1(VALU_DEP_1)
	v_add_f32_e32 v13, v13, v18
	v_sub_f32_e32 v13, v13, v16
	s_delay_alu instid0(VALU_DEP_1) | instskip(NEXT) | instid1(VALU_DEP_1)
	v_dual_mul_f32 v16, v12, v12 :: v_dual_add_f32 v13, v26, v13
	v_fmaak_f32 v18, s11, v16, 0xbf039337
	s_delay_alu instid0(VALU_DEP_2) | instskip(NEXT) | instid1(VALU_DEP_2)
	v_cndmask_b32_e32 v13, 0x7f800000, v13, vcc_lo
	v_fmaak_f32 v18, v16, v18, 0x3f93f425
	s_delay_alu instid0(VALU_DEP_2) | instskip(NEXT) | instid1(VALU_DEP_1)
	v_cndmask_b32_e64 v13, v13, |v4|, s0
	v_bfi_b32 v4, 0x7fffffff, v13, v4
	s_delay_alu instid0(VALU_DEP_3) | instskip(SKIP_2) | instid1(VALU_DEP_3)
	v_rcp_f32_e32 v13, v18
	v_nop
	v_fmaak_f32 v18, s10, v16, 0x3ec54587
	v_fma_f32 v22, v4, v4, 1.0
	s_delay_alu instid0(TRANS32_DEP_1) | instid1(VALU_DEP_1)
	v_dual_mul_f32 v13, v18, v13 :: v_dual_mul_f32 v18, 0x4f800000, v22
	v_cmp_gt_f32_e32 vcc_lo, 0xf800000, v22
	s_delay_alu instid0(VALU_DEP_2) | instskip(NEXT) | instid1(VALU_DEP_1)
	v_dual_mul_f32 v13, v16, v13 :: v_dual_cndmask_b32 v16, v22, v18
	v_fma_f32 v18, v13, v12, v12
	s_delay_alu instid0(VALU_DEP_2) | instskip(NEXT) | instid1(VALU_DEP_1)
	v_sqrt_f32_e32 v22, v16
	v_rcp_f32_e32 v24, v18
	s_delay_alu instid0(TRANS32_DEP_2) | instskip(NEXT) | instid1(VALU_DEP_1)
	v_dual_sub_f32 v25, v18, v12 :: v_dual_add_nc_u32 v26, -1, v22
	v_fma_f32 v12, v13, v12, -v25
	s_delay_alu instid0(TRANS32_DEP_1) | instskip(NEXT) | instid1(VALU_DEP_3)
	v_fma_f32 v13, v18, -v24, 1.0
	v_dual_add_nc_u32 v25, 1, v22 :: v_dual_fma_f32 v27, -v26, v22, v16
	s_delay_alu instid0(VALU_DEP_1) | instskip(NEXT) | instid1(VALU_DEP_2)
	v_dual_fma_f32 v12, v12, -v24, v13 :: v_dual_fma_f32 v13, -v25, v22, v16
	v_cmp_ge_f32_e64 s0, 0, v27
	s_delay_alu instid0(VALU_DEP_1) | instskip(NEXT) | instid1(VALU_DEP_3)
	v_dual_fma_f32 v12, v12, -v24, -v24 :: v_dual_cndmask_b32 v22, v22, v26, s0
	v_cmp_lt_f32_e64 s0, 0, v13
	s_delay_alu instid0(VALU_DEP_1) | instskip(SKIP_1) | instid1(VALU_DEP_1)
	v_cndmask_b32_e64 v13, v22, v25, s0
	v_cmp_eq_u32_e64 s0, 0, v3
	v_cndmask_b32_e64 v3, v12, v18, s0
	s_delay_alu instid0(VALU_DEP_3) | instskip(NEXT) | instid1(VALU_DEP_2)
	v_mul_f32_e32 v12, 0x37800000, v13
	v_xor3_b32 v2, v2, v3, v5
	s_delay_alu instid0(VALU_DEP_1) | instskip(NEXT) | instid1(VALU_DEP_3)
	v_fma_f32 v5, v2, v2, 1.0
	v_cndmask_b32_e32 v3, v13, v12, vcc_lo
	v_cmp_class_f32_e64 vcc_lo, v16, 0x260
	s_delay_alu instid0(VALU_DEP_2) | instskip(NEXT) | instid1(VALU_DEP_1)
	v_dual_mul_f32 v12, v4, v5 :: v_dual_cndmask_b32 v3, v3, v16
	v_mul_f32_e32 v3, v3, v5
	s_delay_alu instid0(VALU_DEP_2) | instskip(NEXT) | instid1(VALU_DEP_1)
	v_fma_f32 v5, v4, v12, 1.0
	v_div_scale_f32 v12, null, v5, v5, v2
	s_delay_alu instid0(VALU_DEP_1) | instskip(SKIP_1) | instid1(TRANS32_DEP_1)
	v_rcp_f32_e32 v16, v12
	v_nop
	v_fma_f32 v22, -v12, v16, 1.0
	s_delay_alu instid0(VALU_DEP_1) | instskip(NEXT) | instid1(VALU_DEP_1)
	v_dual_fmac_f32 v16, v22, v16 :: v_dual_mul_f32 v3, v4, v3
	v_div_scale_f32 v4, null, v5, v5, v3
	s_delay_alu instid0(VALU_DEP_1) | instskip(SKIP_1) | instid1(TRANS32_DEP_1)
	v_rcp_f32_e32 v13, v4
	v_nop
	v_fma_f32 v18, -v4, v13, 1.0
	s_delay_alu instid0(VALU_DEP_1) | instskip(SKIP_2) | instid1(VALU_DEP_1)
	v_fmac_f32_e32 v13, v18, v13
	v_div_scale_f32 v24, vcc_lo, v3, v5, v3
	v_div_scale_f32 v18, s0, v2, v5, v2
	v_dual_mul_f32 v22, v24, v13 :: v_dual_mul_f32 v25, v18, v16
	s_delay_alu instid0(VALU_DEP_1) | instskip(NEXT) | instid1(VALU_DEP_1)
	v_fma_f32 v27, -v12, v25, v18
	v_dual_fma_f32 v26, -v4, v22, v24 :: v_dual_fmac_f32 v25, v27, v16
	s_delay_alu instid0(VALU_DEP_1) | instskip(NEXT) | instid1(VALU_DEP_2)
	v_fmac_f32_e32 v22, v26, v13
	v_fma_f32 v12, -v12, v25, v18
	s_delay_alu instid0(VALU_DEP_2) | instskip(NEXT) | instid1(VALU_DEP_1)
	v_fma_f32 v4, -v4, v22, v24
	v_div_fmas_f32 v4, v4, v13, v22
	s_mov_b32 vcc_lo, s0
	s_delay_alu instid0(VALU_DEP_3) | instskip(NEXT) | instid1(VALU_DEP_2)
	v_div_fmas_f32 v13, v12, v16, v25
	v_div_fixup_f32 v12, v4, v5, v3
	s_delay_alu instid0(VALU_DEP_2)
	v_div_fixup_f32 v13, v13, v5, v2
                                        ; implicit-def: $vgpr2_vgpr3_vgpr4_vgpr5
                                        ; implicit-def: $vgpr2
.LBB162_302:                            ;   in Loop: Header=BB162_180 Depth=1
	s_and_not1_saveexec_b32 s18, s18
	s_cbranch_execz .LBB162_312
; %bb.303:                              ;   in Loop: Header=BB162_180 Depth=1
	v_lshrrev_b32_e32 v3, 23, v2
	v_cmp_ngt_f32_e64 s19, 0x48000000, |v5|
	v_and_or_b32 v16, v2, s6, 0x800000
                                        ; implicit-def: $vgpr13
	s_delay_alu instid0(VALU_DEP_3) | instskip(SKIP_1) | instid1(SALU_CYCLE_1)
	v_add_nc_u32_e32 v12, 0xffffff88, v3
                                        ; implicit-def: $vgpr3
	s_and_saveexec_b32 s0, s19
	s_xor_b32 s20, exec_lo, s0
	s_cbranch_execz .LBB162_305
; %bb.304:                              ;   in Loop: Header=BB162_180 Depth=1
	v_mul_u64_e32 v[24:25], s[4:5], v[16:17]
	v_mov_b32_e32 v27, v17
	v_cmp_lt_u32_e32 vcc_lo, 63, v12
	v_mov_b32_e32 v37, v17
	v_cndmask_b32_e64 v3, 0, 0xffffffc0, vcc_lo
	s_delay_alu instid0(VALU_DEP_1) | instskip(NEXT) | instid1(VALU_DEP_1)
	v_add_nc_u32_e32 v3, v3, v12
	v_cmp_lt_u32_e64 s0, 31, v3
	s_delay_alu instid0(VALU_DEP_1) | instskip(NEXT) | instid1(VALU_DEP_1)
	v_cndmask_b32_e64 v13, 0, 0xffffffe0, s0
	v_add_nc_u32_e32 v3, v13, v3
	v_mov_b32_e32 v26, v25
	s_delay_alu instid0(VALU_DEP_2) | instskip(NEXT) | instid1(VALU_DEP_2)
	v_cmp_lt_u32_e64 s1, 31, v3
	v_mad_nc_u64_u32 v[26:27], 0x3c439041, v16, v[26:27]
	v_mov_b32_e32 v29, v17
	s_delay_alu instid0(VALU_DEP_3) | instskip(NEXT) | instid1(VALU_DEP_3)
	v_cndmask_b32_e64 v13, 0, 0xffffffe0, s1
	v_mov_b32_e32 v28, v27
	s_delay_alu instid0(VALU_DEP_1) | instskip(NEXT) | instid1(VALU_DEP_1)
	v_mad_nc_u64_u32 v[28:29], 0xdb629599, v16, v[28:29]
	v_dual_mov_b32 v31, v17 :: v_dual_mov_b32 v30, v29
	s_delay_alu instid0(VALU_DEP_2) | instskip(NEXT) | instid1(VALU_DEP_2)
	v_cndmask_b32_e32 v24, v28, v24, vcc_lo
	v_mad_nc_u64_u32 v[30:31], 0xf534ddc0, v16, v[30:31]
	v_mov_b32_e32 v33, v17
	s_delay_alu instid0(VALU_DEP_2) | instskip(NEXT) | instid1(VALU_DEP_3)
	v_dual_add_nc_u32 v3, v13, v3 :: v_dual_cndmask_b32 v13, v30, v26, vcc_lo
	v_mov_b32_e32 v32, v31
	s_delay_alu instid0(VALU_DEP_1) | instskip(NEXT) | instid1(VALU_DEP_1)
	v_mad_nc_u64_u32 v[32:33], 0xfc2757d1, v16, v[32:33]
	v_dual_mov_b32 v35, v17 :: v_dual_mov_b32 v34, v33
	s_delay_alu instid0(VALU_DEP_2) | instskip(NEXT) | instid1(VALU_DEP_2)
	v_cndmask_b32_e32 v27, v32, v28, vcc_lo
	v_mad_nc_u64_u32 v[34:35], 0x4e441529, v16, v[34:35]
	s_delay_alu instid0(VALU_DEP_1) | instskip(NEXT) | instid1(VALU_DEP_1)
	v_mov_b32_e32 v36, v35
	v_mad_nc_u64_u32 v[36:37], 0xa2f9836e, v16, v[36:37]
	s_delay_alu instid0(VALU_DEP_1) | instskip(NEXT) | instid1(VALU_DEP_2)
	v_dual_cndmask_b32 v18, v34, v30, vcc_lo :: v_dual_cndmask_b32 v22, v36, v32, vcc_lo
	v_cndmask_b32_e32 v25, v37, v34, vcc_lo
	v_cmp_eq_u32_e32 vcc_lo, 0, v3
	s_delay_alu instid0(VALU_DEP_3) | instskip(NEXT) | instid1(VALU_DEP_3)
	v_cndmask_b32_e64 v26, v22, v18, s0
	v_dual_cndmask_b32 v22, v25, v22, s0 :: v_dual_cndmask_b32 v18, v18, v27, s0
	v_dual_sub_nc_u32 v25, 32, v3 :: v_dual_cndmask_b32 v27, v27, v13, s0
	s_delay_alu instid0(VALU_DEP_2) | instskip(NEXT) | instid1(VALU_DEP_3)
	v_cndmask_b32_e64 v22, v22, v26, s1
	v_cndmask_b32_e64 v26, v26, v18, s1
	s_delay_alu instid0(VALU_DEP_1) | instskip(NEXT) | instid1(VALU_DEP_1)
	v_alignbit_b32 v29, v22, v26, v25
	v_dual_cndmask_b32 v18, v18, v27, s1 :: v_dual_cndmask_b32 v3, v29, v22, vcc_lo
	s_delay_alu instid0(VALU_DEP_1) | instskip(SKIP_1) | instid1(VALU_DEP_3)
	v_alignbit_b32 v28, v26, v18, v25
	v_cndmask_b32_e64 v13, v13, v24, s0
	v_bfe_u32 v24, v3, 29, 1
	s_delay_alu instid0(VALU_DEP_2) | instskip(NEXT) | instid1(VALU_DEP_2)
	v_dual_cndmask_b32 v22, v28, v26, vcc_lo :: v_dual_cndmask_b32 v13, v27, v13, s1
	v_sub_nc_u32_e32 v27, 0, v24
	s_delay_alu instid0(VALU_DEP_2) | instskip(NEXT) | instid1(VALU_DEP_3)
	v_alignbit_b32 v26, v3, v22, 30
	v_alignbit_b32 v25, v18, v13, v25
	s_delay_alu instid0(VALU_DEP_1) | instskip(NEXT) | instid1(VALU_DEP_1)
	v_dual_cndmask_b32 v18, v25, v18, vcc_lo :: v_dual_bitop2_b32 v26, v26, v27 bitop3:0x14
	v_clz_i32_u32_e32 v25, v26
	s_delay_alu instid0(VALU_DEP_2) | instskip(SKIP_1) | instid1(VALU_DEP_3)
	v_alignbit_b32 v22, v22, v18, 30
	v_alignbit_b32 v13, v18, v13, 30
	v_min_u32_e32 v25, 32, v25
	s_delay_alu instid0(VALU_DEP_3) | instskip(NEXT) | instid1(VALU_DEP_3)
	v_xor_b32_e32 v18, v22, v27
	v_xor_b32_e32 v13, v13, v27
	s_delay_alu instid0(VALU_DEP_3) | instskip(SKIP_1) | instid1(VALU_DEP_1)
	v_dual_lshrrev_b32 v27, 29, v3 :: v_dual_lshlrev_b32 v28, 23, v25
	v_sub_nc_u32_e32 v22, 31, v25
	v_alignbit_b32 v26, v26, v18, v22
	s_delay_alu instid0(VALU_DEP_4) | instskip(NEXT) | instid1(VALU_DEP_4)
	v_alignbit_b32 v13, v18, v13, v22
	v_lshlrev_b32_e32 v18, 31, v27
	s_delay_alu instid0(VALU_DEP_2) | instskip(NEXT) | instid1(VALU_DEP_2)
	v_alignbit_b32 v22, v26, v13, 9
	v_or_b32_e32 v27, 0.5, v18
	v_lshrrev_b32_e32 v26, 9, v26
	v_or_b32_e32 v18, 0x33000000, v18
	s_delay_alu instid0(VALU_DEP_4) | instskip(NEXT) | instid1(VALU_DEP_4)
	v_clz_i32_u32_e32 v29, v22
	v_sub_nc_u32_e32 v27, v27, v28
	s_delay_alu instid0(VALU_DEP_2) | instskip(NEXT) | instid1(VALU_DEP_2)
	v_min_u32_e32 v28, 32, v29
	v_or_b32_e32 v26, v26, v27
	s_delay_alu instid0(VALU_DEP_2) | instskip(SKIP_1) | instid1(VALU_DEP_2)
	v_not_b32_e32 v27, v28
	v_add_lshl_u32 v25, v28, v25, 23
	v_alignbit_b32 v13, v22, v13, v27
	s_delay_alu instid0(VALU_DEP_2) | instskip(NEXT) | instid1(VALU_DEP_2)
	v_sub_nc_u32_e32 v18, v18, v25
	v_lshrrev_b32_e32 v13, 9, v13
	s_delay_alu instid0(VALU_DEP_1) | instskip(SKIP_1) | instid1(VALU_DEP_1)
	v_or_b32_e32 v13, v18, v13
	v_mul_f32_e32 v29, 0x3fc90fda, v26
	v_fma_f32 v22, 0x3fc90fda, v26, -v29
	s_delay_alu instid0(VALU_DEP_1) | instskip(NEXT) | instid1(VALU_DEP_1)
	v_fmac_f32_e32 v22, 0x33a22168, v26
	v_dual_fmac_f32 v22, 0x3fc90fda, v13 :: v_dual_lshrrev_b32 v13, 30, v3
	s_delay_alu instid0(VALU_DEP_1)
	v_dual_add_f32 v3, v29, v22 :: v_dual_add_nc_u32 v13, v24, v13
	s_and_not1_saveexec_b32 s0, s20
	s_branch .LBB162_306
.LBB162_305:                            ;   in Loop: Header=BB162_180 Depth=1
	s_and_not1_saveexec_b32 s0, s20
.LBB162_306:                            ;   in Loop: Header=BB162_180 Depth=1
	v_mul_f32_e64 v3, 0x3f22f983, |v5|
	s_delay_alu instid0(VALU_DEP_1) | instskip(NEXT) | instid1(VALU_DEP_1)
	v_rndne_f32_e32 v13, v3
	v_fma_f32 v3, 0xbfc90fda, v13, |v5|
	s_delay_alu instid0(VALU_DEP_1) | instskip(NEXT) | instid1(VALU_DEP_1)
	v_fmac_f32_e32 v3, 0xb3a22168, v13
	v_fmac_f32_e32 v3, 0xa7c234c4, v13
	v_cvt_i32_f32_e32 v13, v13
; %bb.307:                              ;   in Loop: Header=BB162_180 Depth=1
	s_or_b32 exec_lo, exec_lo, s0
                                        ; implicit-def: $vgpr22
                                        ; implicit-def: $vgpr18
	s_and_saveexec_b32 s0, s19
	s_delay_alu instid0(SALU_CYCLE_1)
	s_xor_b32 s19, exec_lo, s0
	s_cbranch_execz .LBB162_309
; %bb.308:                              ;   in Loop: Header=BB162_180 Depth=1
	v_mul_u64_e32 v[24:25], s[4:5], v[16:17]
	v_mov_b32_e32 v27, v17
	v_cmp_lt_u32_e32 vcc_lo, 63, v12
	v_mov_b32_e32 v37, v17
	v_cndmask_b32_e64 v18, 0, 0xffffffc0, vcc_lo
	s_delay_alu instid0(VALU_DEP_1) | instskip(NEXT) | instid1(VALU_DEP_1)
	v_add_nc_u32_e32 v12, v18, v12
	v_cmp_lt_u32_e64 s0, 31, v12
	s_delay_alu instid0(VALU_DEP_1) | instskip(NEXT) | instid1(VALU_DEP_1)
	v_cndmask_b32_e64 v18, 0, 0xffffffe0, s0
	v_dual_add_nc_u32 v12, v18, v12 :: v_dual_mov_b32 v26, v25
	s_delay_alu instid0(VALU_DEP_1) | instskip(NEXT) | instid1(VALU_DEP_2)
	v_cmp_lt_u32_e64 s1, 31, v12
	v_mad_nc_u64_u32 v[26:27], 0x3c439041, v16, v[26:27]
	s_delay_alu instid0(VALU_DEP_1) | instskip(NEXT) | instid1(VALU_DEP_1)
	v_dual_mov_b32 v29, v17 :: v_dual_mov_b32 v28, v27
	v_mad_nc_u64_u32 v[28:29], 0xdb629599, v16, v[28:29]
	s_delay_alu instid0(VALU_DEP_1) | instskip(NEXT) | instid1(VALU_DEP_2)
	v_dual_mov_b32 v31, v17 :: v_dual_mov_b32 v30, v29
	v_cndmask_b32_e32 v24, v28, v24, vcc_lo
	s_delay_alu instid0(VALU_DEP_2) | instskip(NEXT) | instid1(VALU_DEP_1)
	v_mad_nc_u64_u32 v[30:31], 0xf534ddc0, v16, v[30:31]
	v_dual_mov_b32 v33, v17 :: v_dual_mov_b32 v32, v31
	s_delay_alu instid0(VALU_DEP_1) | instskip(NEXT) | instid1(VALU_DEP_1)
	v_mad_nc_u64_u32 v[32:33], 0xfc2757d1, v16, v[32:33]
	v_dual_mov_b32 v35, v17 :: v_dual_mov_b32 v34, v33
	s_delay_alu instid0(VALU_DEP_2) | instskip(NEXT) | instid1(VALU_DEP_2)
	v_cndmask_b32_e32 v27, v32, v28, vcc_lo
	v_mad_nc_u64_u32 v[34:35], 0x4e441529, v16, v[34:35]
	s_delay_alu instid0(VALU_DEP_1) | instskip(NEXT) | instid1(VALU_DEP_1)
	v_mov_b32_e32 v36, v35
	v_mad_nc_u64_u32 v[36:37], 0xa2f9836e, v16, v[36:37]
	v_cndmask_b32_e64 v16, 0, 0xffffffe0, s1
	s_delay_alu instid0(VALU_DEP_1) | instskip(NEXT) | instid1(VALU_DEP_3)
	v_dual_cndmask_b32 v18, v34, v30, vcc_lo :: v_dual_add_nc_u32 v12, v16, v12
	v_dual_cndmask_b32 v16, v30, v26, vcc_lo :: v_dual_cndmask_b32 v22, v36, v32, vcc_lo
	s_delay_alu instid0(VALU_DEP_4) | instskip(NEXT) | instid1(VALU_DEP_3)
	v_cndmask_b32_e32 v25, v37, v34, vcc_lo
	v_cmp_eq_u32_e32 vcc_lo, 0, v12
	s_delay_alu instid0(VALU_DEP_3) | instskip(NEXT) | instid1(VALU_DEP_3)
	v_cndmask_b32_e64 v26, v22, v18, s0
	v_dual_cndmask_b32 v22, v25, v22, s0 :: v_dual_cndmask_b32 v18, v18, v27, s0
	v_sub_nc_u32_e32 v25, 32, v12
	v_cndmask_b32_e64 v27, v27, v16, s0
	s_delay_alu instid0(VALU_DEP_3) | instskip(NEXT) | instid1(VALU_DEP_1)
	v_dual_cndmask_b32 v16, v16, v24, s0 :: v_dual_cndmask_b32 v22, v22, v26, s1
	v_dual_cndmask_b32 v26, v26, v18, s1 :: v_dual_cndmask_b32 v16, v27, v16, s1
	s_delay_alu instid0(VALU_DEP_1) | instskip(NEXT) | instid1(VALU_DEP_1)
	v_alignbit_b32 v29, v22, v26, v25
	v_dual_cndmask_b32 v18, v18, v27, s1 :: v_dual_cndmask_b32 v12, v29, v22, vcc_lo
	s_delay_alu instid0(VALU_DEP_1) | instskip(NEXT) | instid1(VALU_DEP_4)
	v_alignbit_b32 v28, v26, v18, v25
	v_alignbit_b32 v25, v18, v16, v25
	s_delay_alu instid0(VALU_DEP_3) | instskip(NEXT) | instid1(VALU_DEP_3)
	v_bfe_u32 v24, v12, 29, 1
	v_cndmask_b32_e32 v22, v28, v26, vcc_lo
	s_delay_alu instid0(VALU_DEP_2) | instskip(NEXT) | instid1(VALU_DEP_2)
	v_dual_cndmask_b32 v18, v25, v18 :: v_dual_sub_nc_u32 v27, 0, v24
	v_alignbit_b32 v26, v12, v22, 30
	s_delay_alu instid0(VALU_DEP_2) | instskip(SKIP_1) | instid1(VALU_DEP_3)
	v_alignbit_b32 v22, v22, v18, 30
	v_alignbit_b32 v16, v18, v16, 30
	v_xor_b32_e32 v26, v26, v27
	s_delay_alu instid0(VALU_DEP_2) | instskip(NEXT) | instid1(VALU_DEP_2)
	v_xor_b32_e32 v16, v16, v27
	v_clz_i32_u32_e32 v25, v26
	s_delay_alu instid0(VALU_DEP_1) | instskip(SKIP_1) | instid1(VALU_DEP_2)
	v_min_u32_e32 v25, 32, v25
	v_dual_lshrrev_b32 v27, 29, v12 :: v_dual_bitop2_b32 v18, v22, v27 bitop3:0x14
	v_dual_lshrrev_b32 v12, 30, v12 :: v_dual_sub_nc_u32 v22, 31, v25
	v_lshlrev_b32_e32 v28, 23, v25
	s_delay_alu instid0(VALU_DEP_2) | instskip(SKIP_2) | instid1(VALU_DEP_2)
	v_alignbit_b32 v26, v26, v18, v22
	v_alignbit_b32 v16, v18, v16, v22
	v_lshlrev_b32_e32 v18, 31, v27
	v_alignbit_b32 v22, v26, v16, 9
	s_delay_alu instid0(VALU_DEP_2) | instskip(SKIP_2) | instid1(VALU_DEP_4)
	v_or_b32_e32 v27, 0.5, v18
	v_lshrrev_b32_e32 v26, 9, v26
	v_or_b32_e32 v18, 0x33000000, v18
	v_clz_i32_u32_e32 v29, v22
	s_delay_alu instid0(VALU_DEP_4) | instskip(NEXT) | instid1(VALU_DEP_2)
	v_sub_nc_u32_e32 v27, v27, v28
	v_min_u32_e32 v28, 32, v29
	s_delay_alu instid0(VALU_DEP_2) | instskip(NEXT) | instid1(VALU_DEP_2)
	v_or_b32_e32 v26, v26, v27
	v_not_b32_e32 v27, v28
	v_add_lshl_u32 v25, v28, v25, 23
	s_delay_alu instid0(VALU_DEP_2) | instskip(NEXT) | instid1(VALU_DEP_1)
	v_alignbit_b32 v16, v22, v16, v27
	v_dual_sub_nc_u32 v18, v18, v25 :: v_dual_lshrrev_b32 v16, 9, v16
	s_delay_alu instid0(VALU_DEP_1) | instskip(SKIP_1) | instid1(VALU_DEP_1)
	v_or_b32_e32 v16, v18, v16
	v_mul_f32_e32 v29, 0x3fc90fda, v26
	v_fma_f32 v22, 0x3fc90fda, v26, -v29
	s_delay_alu instid0(VALU_DEP_1) | instskip(NEXT) | instid1(VALU_DEP_1)
	v_fmac_f32_e32 v22, 0x33a22168, v26
	v_fmac_f32_e32 v22, 0x3fc90fda, v16
	s_delay_alu instid0(VALU_DEP_1)
	v_dual_add_f32 v18, v29, v22 :: v_dual_add_nc_u32 v22, v24, v12
	s_and_not1_saveexec_b32 s0, s19
	s_cbranch_execnz .LBB162_310
	s_branch .LBB162_311
.LBB162_309:                            ;   in Loop: Header=BB162_180 Depth=1
	s_and_not1_saveexec_b32 s0, s19
.LBB162_310:                            ;   in Loop: Header=BB162_180 Depth=1
	v_mul_f32_e64 v12, 0x3f22f983, |v5|
	s_delay_alu instid0(VALU_DEP_1) | instskip(NEXT) | instid1(VALU_DEP_1)
	v_rndne_f32_e32 v12, v12
	v_fma_f32 v18, 0xbfc90fda, v12, |v5|
	v_cvt_i32_f32_e32 v22, v12
	s_delay_alu instid0(VALU_DEP_2) | instskip(NEXT) | instid1(VALU_DEP_1)
	v_fmac_f32_e32 v18, 0xb3a22168, v12
	v_fmac_f32_e32 v18, 0xa7c234c4, v12
.LBB162_311:                            ;   in Loop: Header=BB162_180 Depth=1
	s_or_b32 exec_lo, exec_lo, s0
	v_dual_mul_f32 v12, v3, v3 :: v_dual_bitop2_b32 v16, 1, v13 bitop3:0x40
	v_lshlrev_b32_e32 v13, 30, v13
	v_mul_f32_e64 v24, 0xbfb8aa3b, |v4|
	s_delay_alu instid0(VALU_DEP_3) | instskip(NEXT) | instid1(VALU_DEP_4)
	v_fmaak_f32 v26, s14, v12, 0xbab64f3b
	v_cmp_eq_u32_e32 vcc_lo, 0, v16
	s_delay_alu instid0(VALU_DEP_4) | instskip(NEXT) | instid1(VALU_DEP_4)
	v_bitop3_b32 v2, v2, v13, 0x80000000 bitop3:0x78
	v_rndne_f32_e32 v13, v24
	v_fmaak_f32 v25, s13, v12, 0x3c0881c4
	v_fma_f32 v28, 0xbfb8aa3b, |v4|, -v24
	s_delay_alu instid0(VALU_DEP_3) | instskip(NEXT) | instid1(VALU_DEP_3)
	v_sub_f32_e32 v24, v24, v13
	v_fmaak_f32 v25, v12, v25, 0xbe2aaa9d
	v_mul_f32_e32 v27, v18, v18
	s_delay_alu instid0(VALU_DEP_4) | instskip(SKIP_1) | instid1(VALU_DEP_4)
	v_fma_f32 v28, 0xb2a5705f, |v4|, v28
	v_cvt_i32_f32_e32 v13, v13
	v_dual_mul_f32 v25, v12, v25 :: v_dual_fmaak_f32 v26, v12, v26, 0x3d2aabf7
	s_delay_alu instid0(VALU_DEP_3) | instskip(NEXT) | instid1(VALU_DEP_2)
	v_dual_fmaak_f32 v29, s13, v27, 0x3c0881c4 :: v_dual_add_f32 v24, v24, v28
	v_dual_fmaak_f32 v30, s14, v27, 0xbab64f3b :: v_dual_fmac_f32 v3, v3, v25
	s_delay_alu instid0(VALU_DEP_3) | instskip(NEXT) | instid1(VALU_DEP_3)
	v_fmaak_f32 v26, v12, v26, 0xbf000004
	v_fmaak_f32 v29, v27, v29, 0xbe2aaa9d
	s_delay_alu instid0(VALU_DEP_4) | instskip(NEXT) | instid1(VALU_DEP_3)
	v_exp_f32_e32 v16, v24
	v_fmaak_f32 v25, v27, v30, 0x3d2aabf7
	s_delay_alu instid0(VALU_DEP_3) | instskip(NEXT) | instid1(VALU_DEP_1)
	v_fma_f32 v12, v12, v26, 1.0
	v_dual_mul_f32 v26, v27, v29 :: v_dual_cndmask_b32 v3, v12, v3
	s_delay_alu instid0(VALU_DEP_1) | instskip(NEXT) | instid1(VALU_DEP_2)
	v_fmac_f32_e32 v18, v18, v26
	v_xor3_b32 v2, v2, v3, v5
	s_delay_alu instid0(TRANS32_DEP_1) | instskip(SKIP_1) | instid1(VALU_DEP_1)
	v_ldexp_f32 v3, v16, v13
	v_fmaak_f32 v12, v27, v25, 0xbf000004
	v_fma_f32 v12, v27, v12, 1.0
	v_and_b32_e32 v24, 1, v22
	s_delay_alu instid0(VALU_DEP_1) | instskip(NEXT) | instid1(VALU_DEP_3)
	v_cmp_eq_u32_e32 vcc_lo, 0, v24
	v_dual_cndmask_b32 v5, -v18, v12, vcc_lo :: v_dual_lshlrev_b32 v12, 30, v22
	v_cmp_nlt_f32_e64 vcc_lo, 0x42ce8ed0, |v4|
	s_delay_alu instid0(VALU_DEP_2) | instskip(SKIP_4) | instid1(VALU_DEP_2)
	v_bitop3_b32 v5, v12, v5, 0x80000000 bitop3:0x6c
	v_cndmask_b32_e32 v3, 0, v3, vcc_lo
	v_cmp_ngt_f32_e64 vcc_lo, 0xc2b17218, |v4|
	v_mul_f32_e32 v2, 4.0, v2
	v_bfi_b32 v12, 0x7fffffff, 1.0, v4
	v_dual_cndmask_b32 v3, 0x7f800000, v3 :: v_dual_mul_f32 v2, v2, v5
	s_delay_alu instid0(VALU_DEP_1) | instskip(NEXT) | instid1(VALU_DEP_1)
	v_mul_f32_e32 v2, v3, v2
	v_mul_f32_e32 v13, v3, v2
.LBB162_312:                            ;   in Loop: Header=BB162_180 Depth=1
	s_or_b32 exec_lo, exec_lo, s18
                                        ; implicit-def: $vgpr2_vgpr3_vgpr4_vgpr5
.LBB162_313:                            ;   in Loop: Header=BB162_180 Depth=1
	s_and_not1_saveexec_b32 s0, s17
; %bb.314:                              ;   in Loop: Header=BB162_180 Depth=1
	v_sub_f32_e32 v13, v5, v5
	s_delay_alu instid0(VALU_DEP_1)
	v_mov_b32_e32 v12, v13
; %bb.315:                              ;   in Loop: Header=BB162_180 Depth=1
	s_or_b32 exec_lo, exec_lo, s0
                                        ; implicit-def: $vgpr4
.LBB162_316:                            ;   in Loop: Header=BB162_180 Depth=1
	s_and_not1_saveexec_b32 s16, s16
	s_cbranch_execz .LBB162_179
; %bb.317:                              ;   in Loop: Header=BB162_180 Depth=1
	v_and_b32_e32 v2, 0x7fffff, v4
	s_mov_b32 s0, exec_lo
	s_delay_alu instid0(VALU_DEP_1)
	v_cmpx_ne_u32_e32 0, v2
	s_xor_b32 s0, exec_lo, s0
; %bb.318:                              ;   in Loop: Header=BB162_180 Depth=1
	v_mul_f32_e32 v2, v4, v5
	v_cmp_eq_f32_e32 vcc_lo, 0, v5
	s_delay_alu instid0(VALU_DEP_2)
	v_cndmask_b32_e32 v13, v2, v5, vcc_lo
; %bb.319:                              ;   in Loop: Header=BB162_180 Depth=1
	s_and_not1_saveexec_b32 s17, s0
	s_cbranch_execz .LBB162_178
; %bb.320:                              ;   in Loop: Header=BB162_180 Depth=1
	s_mov_b32 s18, exec_lo
	v_cmpx_neq_f32_e64 0x7f800000, |v5|
	s_cbranch_execz .LBB162_177
; %bb.321:                              ;   in Loop: Header=BB162_180 Depth=1
	v_and_b32_e32 v2, 0x7fffffff, v5
	v_cmp_ngt_f32_e64 s19, 0x48000000, |v5|
                                        ; implicit-def: $vgpr12
	s_delay_alu instid0(VALU_DEP_2) | instskip(SKIP_1) | instid1(VALU_DEP_2)
	v_lshrrev_b32_e32 v3, 23, v2
	v_and_or_b32 v16, v2, s6, 0x800000
	v_add_nc_u32_e32 v13, 0xffffff88, v3
                                        ; implicit-def: $vgpr3
	s_and_saveexec_b32 s0, s19
	s_delay_alu instid0(SALU_CYCLE_1)
	s_xor_b32 s20, exec_lo, s0
	s_cbranch_execz .LBB162_323
; %bb.322:                              ;   in Loop: Header=BB162_180 Depth=1
	v_mul_u64_e32 v[24:25], s[4:5], v[16:17]
	v_mov_b32_e32 v27, v17
	v_cmp_lt_u32_e32 vcc_lo, 63, v13
	v_mov_b32_e32 v37, v17
	v_cndmask_b32_e64 v3, 0, 0xffffffc0, vcc_lo
	s_delay_alu instid0(VALU_DEP_1) | instskip(NEXT) | instid1(VALU_DEP_1)
	v_add_nc_u32_e32 v3, v3, v13
	v_cmp_lt_u32_e64 s0, 31, v3
	s_delay_alu instid0(VALU_DEP_1) | instskip(NEXT) | instid1(VALU_DEP_1)
	v_cndmask_b32_e64 v12, 0, 0xffffffe0, s0
	v_dual_mov_b32 v26, v25 :: v_dual_add_nc_u32 v3, v12, v3
	s_delay_alu instid0(VALU_DEP_1) | instskip(NEXT) | instid1(VALU_DEP_2)
	v_cmp_lt_u32_e64 s1, 31, v3
	v_mad_nc_u64_u32 v[26:27], 0x3c439041, v16, v[26:27]
	v_mov_b32_e32 v29, v17
	s_delay_alu instid0(VALU_DEP_3) | instskip(NEXT) | instid1(VALU_DEP_3)
	v_cndmask_b32_e64 v12, 0, 0xffffffe0, s1
	v_mov_b32_e32 v28, v27
	s_delay_alu instid0(VALU_DEP_1) | instskip(NEXT) | instid1(VALU_DEP_1)
	v_mad_nc_u64_u32 v[28:29], 0xdb629599, v16, v[28:29]
	v_dual_mov_b32 v31, v17 :: v_dual_mov_b32 v30, v29
	s_delay_alu instid0(VALU_DEP_2) | instskip(NEXT) | instid1(VALU_DEP_2)
	v_cndmask_b32_e32 v24, v28, v24, vcc_lo
	v_mad_nc_u64_u32 v[30:31], 0xf534ddc0, v16, v[30:31]
	v_dual_mov_b32 v33, v17 :: v_dual_add_nc_u32 v3, v12, v3
	s_delay_alu instid0(VALU_DEP_2) | instskip(NEXT) | instid1(VALU_DEP_1)
	v_dual_cndmask_b32 v12, v30, v26, vcc_lo :: v_dual_mov_b32 v32, v31
	v_mad_nc_u64_u32 v[32:33], 0xfc2757d1, v16, v[32:33]
	s_delay_alu instid0(VALU_DEP_1) | instskip(NEXT) | instid1(VALU_DEP_2)
	v_dual_mov_b32 v35, v17 :: v_dual_mov_b32 v34, v33
	v_cndmask_b32_e32 v27, v32, v28, vcc_lo
	s_delay_alu instid0(VALU_DEP_2) | instskip(NEXT) | instid1(VALU_DEP_1)
	v_mad_nc_u64_u32 v[34:35], 0x4e441529, v16, v[34:35]
	v_mov_b32_e32 v36, v35
	s_delay_alu instid0(VALU_DEP_1) | instskip(NEXT) | instid1(VALU_DEP_1)
	v_mad_nc_u64_u32 v[36:37], 0xa2f9836e, v16, v[36:37]
	v_dual_cndmask_b32 v18, v34, v30, vcc_lo :: v_dual_cndmask_b32 v22, v36, v32, vcc_lo
	s_delay_alu instid0(VALU_DEP_2) | instskip(SKIP_1) | instid1(VALU_DEP_3)
	v_cndmask_b32_e32 v25, v37, v34, vcc_lo
	v_cmp_eq_u32_e32 vcc_lo, 0, v3
	v_cndmask_b32_e64 v26, v22, v18, s0
	s_delay_alu instid0(VALU_DEP_3) | instskip(SKIP_1) | instid1(VALU_DEP_2)
	v_dual_cndmask_b32 v22, v25, v22, s0 :: v_dual_cndmask_b32 v18, v18, v27, s0
	v_dual_sub_nc_u32 v25, 32, v3 :: v_dual_cndmask_b32 v27, v27, v12, s0
	v_dual_cndmask_b32 v12, v12, v24, s0 :: v_dual_cndmask_b32 v22, v22, v26, s1
	s_delay_alu instid0(VALU_DEP_1) | instskip(NEXT) | instid1(VALU_DEP_1)
	v_dual_cndmask_b32 v26, v26, v18, s1 :: v_dual_cndmask_b32 v12, v27, v12, s1
	v_alignbit_b32 v29, v22, v26, v25
	s_delay_alu instid0(VALU_DEP_1) | instskip(NEXT) | instid1(VALU_DEP_1)
	v_dual_cndmask_b32 v18, v18, v27, s1 :: v_dual_cndmask_b32 v3, v29, v22, vcc_lo
	v_alignbit_b32 v28, v26, v18, v25
	s_delay_alu instid0(VALU_DEP_4) | instskip(NEXT) | instid1(VALU_DEP_3)
	v_alignbit_b32 v25, v18, v12, v25
	v_bfe_u32 v24, v3, 29, 1
	s_delay_alu instid0(VALU_DEP_3) | instskip(NEXT) | instid1(VALU_DEP_2)
	v_cndmask_b32_e32 v22, v28, v26, vcc_lo
	v_dual_cndmask_b32 v18, v25, v18 :: v_dual_sub_nc_u32 v27, 0, v24
	s_delay_alu instid0(VALU_DEP_2) | instskip(NEXT) | instid1(VALU_DEP_2)
	v_alignbit_b32 v26, v3, v22, 30
	v_alignbit_b32 v22, v22, v18, 30
	;; [unrolled: 1-line block ×3, first 2 shown]
	s_delay_alu instid0(VALU_DEP_3) | instskip(NEXT) | instid1(VALU_DEP_2)
	v_xor_b32_e32 v26, v26, v27
	v_xor_b32_e32 v12, v12, v27
	s_delay_alu instid0(VALU_DEP_2) | instskip(NEXT) | instid1(VALU_DEP_1)
	v_clz_i32_u32_e32 v25, v26
	v_min_u32_e32 v25, 32, v25
	v_xor_b32_e32 v18, v22, v27
	s_delay_alu instid0(VALU_DEP_2) | instskip(SKIP_1) | instid1(VALU_DEP_1)
	v_dual_lshrrev_b32 v27, 29, v3 :: v_dual_lshlrev_b32 v28, 23, v25
	v_sub_nc_u32_e32 v22, 31, v25
	v_alignbit_b32 v26, v26, v18, v22
	v_alignbit_b32 v12, v18, v12, v22
	s_delay_alu instid0(VALU_DEP_4) | instskip(NEXT) | instid1(VALU_DEP_2)
	v_lshlrev_b32_e32 v18, 31, v27
	v_alignbit_b32 v22, v26, v12, 9
	s_delay_alu instid0(VALU_DEP_2) | instskip(SKIP_2) | instid1(VALU_DEP_4)
	v_or_b32_e32 v27, 0.5, v18
	v_lshrrev_b32_e32 v26, 9, v26
	v_or_b32_e32 v18, 0x33000000, v18
	v_clz_i32_u32_e32 v29, v22
	s_delay_alu instid0(VALU_DEP_4) | instskip(NEXT) | instid1(VALU_DEP_2)
	v_sub_nc_u32_e32 v27, v27, v28
	v_min_u32_e32 v28, 32, v29
	s_delay_alu instid0(VALU_DEP_2) | instskip(NEXT) | instid1(VALU_DEP_2)
	v_or_b32_e32 v26, v26, v27
	v_not_b32_e32 v27, v28
	v_add_lshl_u32 v25, v28, v25, 23
	s_delay_alu instid0(VALU_DEP_2) | instskip(NEXT) | instid1(VALU_DEP_1)
	v_alignbit_b32 v12, v22, v12, v27
	v_dual_sub_nc_u32 v18, v18, v25 :: v_dual_lshrrev_b32 v12, 9, v12
	s_delay_alu instid0(VALU_DEP_1) | instskip(SKIP_1) | instid1(VALU_DEP_1)
	v_or_b32_e32 v12, v18, v12
	v_mul_f32_e32 v29, 0x3fc90fda, v26
	v_fma_f32 v22, 0x3fc90fda, v26, -v29
	s_delay_alu instid0(VALU_DEP_1) | instskip(NEXT) | instid1(VALU_DEP_1)
	v_fmac_f32_e32 v22, 0x33a22168, v26
	v_fmac_f32_e32 v22, 0x3fc90fda, v12
	s_delay_alu instid0(VALU_DEP_1) | instskip(NEXT) | instid1(VALU_DEP_1)
	v_dual_add_f32 v3, v29, v22 :: v_dual_lshrrev_b32 v12, 30, v3
	v_add_nc_u32_e32 v12, v24, v12
.LBB162_323:                            ;   in Loop: Header=BB162_180 Depth=1
	s_or_saveexec_b32 s0, s20
	v_mul_f32_e64 v18, 0x3f22f983, |v5|
	s_delay_alu instid0(VALU_DEP_1)
	v_rndne_f32_e32 v24, v18
	s_xor_b32 exec_lo, exec_lo, s0
; %bb.324:                              ;   in Loop: Header=BB162_180 Depth=1
	s_delay_alu instid0(VALU_DEP_1) | instskip(SKIP_1) | instid1(VALU_DEP_2)
	v_fma_f32 v3, 0xbfc90fda, v24, |v5|
	v_cvt_i32_f32_e32 v12, v24
	v_fmac_f32_e32 v3, 0xb3a22168, v24
	s_delay_alu instid0(VALU_DEP_1)
	v_fmac_f32_e32 v3, 0xa7c234c4, v24
; %bb.325:                              ;   in Loop: Header=BB162_180 Depth=1
	s_or_b32 exec_lo, exec_lo, s0
                                        ; implicit-def: $vgpr22
                                        ; implicit-def: $vgpr18
	s_and_saveexec_b32 s0, s19
	s_delay_alu instid0(SALU_CYCLE_1)
	s_xor_b32 s19, exec_lo, s0
	s_cbranch_execz .LBB162_327
; %bb.326:                              ;   in Loop: Header=BB162_180 Depth=1
	v_mul_u64_e32 v[24:25], s[4:5], v[16:17]
	v_mov_b32_e32 v27, v17
	v_cmp_lt_u32_e32 vcc_lo, 63, v13
	v_mov_b32_e32 v37, v17
	v_cndmask_b32_e64 v18, 0, 0xffffffc0, vcc_lo
	s_delay_alu instid0(VALU_DEP_1) | instskip(NEXT) | instid1(VALU_DEP_1)
	v_add_nc_u32_e32 v13, v18, v13
	v_cmp_lt_u32_e64 s0, 31, v13
	s_delay_alu instid0(VALU_DEP_1) | instskip(NEXT) | instid1(VALU_DEP_1)
	v_cndmask_b32_e64 v18, 0, 0xffffffe0, s0
	v_dual_mov_b32 v26, v25 :: v_dual_add_nc_u32 v13, v18, v13
	s_delay_alu instid0(VALU_DEP_1) | instskip(NEXT) | instid1(VALU_DEP_2)
	v_cmp_lt_u32_e64 s1, 31, v13
	v_mad_nc_u64_u32 v[26:27], 0x3c439041, v16, v[26:27]
	s_delay_alu instid0(VALU_DEP_1) | instskip(NEXT) | instid1(VALU_DEP_1)
	v_dual_mov_b32 v29, v17 :: v_dual_mov_b32 v28, v27
	v_mad_nc_u64_u32 v[28:29], 0xdb629599, v16, v[28:29]
	s_delay_alu instid0(VALU_DEP_1) | instskip(NEXT) | instid1(VALU_DEP_2)
	v_dual_mov_b32 v31, v17 :: v_dual_mov_b32 v30, v29
	v_cndmask_b32_e32 v24, v28, v24, vcc_lo
	s_delay_alu instid0(VALU_DEP_2) | instskip(NEXT) | instid1(VALU_DEP_1)
	v_mad_nc_u64_u32 v[30:31], 0xf534ddc0, v16, v[30:31]
	v_dual_mov_b32 v33, v17 :: v_dual_mov_b32 v32, v31
	s_delay_alu instid0(VALU_DEP_1) | instskip(NEXT) | instid1(VALU_DEP_1)
	v_mad_nc_u64_u32 v[32:33], 0xfc2757d1, v16, v[32:33]
	v_dual_mov_b32 v35, v17 :: v_dual_mov_b32 v34, v33
	s_delay_alu instid0(VALU_DEP_2) | instskip(NEXT) | instid1(VALU_DEP_2)
	v_cndmask_b32_e32 v27, v32, v28, vcc_lo
	v_mad_nc_u64_u32 v[34:35], 0x4e441529, v16, v[34:35]
	s_delay_alu instid0(VALU_DEP_1) | instskip(NEXT) | instid1(VALU_DEP_1)
	v_mov_b32_e32 v36, v35
	v_mad_nc_u64_u32 v[36:37], 0xa2f9836e, v16, v[36:37]
	v_cndmask_b32_e64 v16, 0, 0xffffffe0, s1
	s_delay_alu instid0(VALU_DEP_1) | instskip(NEXT) | instid1(VALU_DEP_3)
	v_dual_cndmask_b32 v18, v34, v30 :: v_dual_add_nc_u32 v13, v16, v13
	v_dual_cndmask_b32 v16, v30, v26, vcc_lo :: v_dual_cndmask_b32 v22, v36, v32, vcc_lo
	s_delay_alu instid0(VALU_DEP_4) | instskip(NEXT) | instid1(VALU_DEP_3)
	v_cndmask_b32_e32 v25, v37, v34, vcc_lo
	v_cmp_eq_u32_e32 vcc_lo, 0, v13
	s_delay_alu instid0(VALU_DEP_3) | instskip(NEXT) | instid1(VALU_DEP_3)
	v_cndmask_b32_e64 v26, v22, v18, s0
	v_dual_cndmask_b32 v22, v25, v22, s0 :: v_dual_cndmask_b32 v18, v18, v27, s0
	v_dual_sub_nc_u32 v25, 32, v13 :: v_dual_cndmask_b32 v27, v27, v16, s0
	s_delay_alu instid0(VALU_DEP_2) | instskip(NEXT) | instid1(VALU_DEP_1)
	v_dual_cndmask_b32 v16, v16, v24, s0 :: v_dual_cndmask_b32 v22, v22, v26, s1
	v_dual_cndmask_b32 v26, v26, v18, s1 :: v_dual_cndmask_b32 v16, v27, v16, s1
	s_delay_alu instid0(VALU_DEP_1) | instskip(NEXT) | instid1(VALU_DEP_1)
	v_alignbit_b32 v29, v22, v26, v25
	v_dual_cndmask_b32 v18, v18, v27, s1 :: v_dual_cndmask_b32 v13, v29, v22, vcc_lo
	s_delay_alu instid0(VALU_DEP_1) | instskip(NEXT) | instid1(VALU_DEP_4)
	v_alignbit_b32 v28, v26, v18, v25
	v_alignbit_b32 v25, v18, v16, v25
	s_delay_alu instid0(VALU_DEP_3) | instskip(NEXT) | instid1(VALU_DEP_3)
	v_bfe_u32 v24, v13, 29, 1
	v_cndmask_b32_e32 v22, v28, v26, vcc_lo
	s_delay_alu instid0(VALU_DEP_2) | instskip(NEXT) | instid1(VALU_DEP_2)
	v_dual_cndmask_b32 v18, v25, v18 :: v_dual_sub_nc_u32 v27, 0, v24
	v_alignbit_b32 v26, v13, v22, 30
	s_delay_alu instid0(VALU_DEP_2) | instskip(SKIP_1) | instid1(VALU_DEP_3)
	v_alignbit_b32 v22, v22, v18, 30
	v_alignbit_b32 v16, v18, v16, 30
	v_xor_b32_e32 v26, v26, v27
	s_delay_alu instid0(VALU_DEP_2) | instskip(NEXT) | instid1(VALU_DEP_2)
	v_xor_b32_e32 v16, v16, v27
	v_clz_i32_u32_e32 v25, v26
	s_delay_alu instid0(VALU_DEP_1) | instskip(SKIP_2) | instid1(VALU_DEP_3)
	v_min_u32_e32 v25, 32, v25
	v_dual_lshrrev_b32 v27, 29, v13 :: v_dual_bitop2_b32 v18, v22, v27 bitop3:0x14
	v_lshrrev_b32_e32 v13, 30, v13
	v_dual_sub_nc_u32 v22, 31, v25 :: v_dual_lshlrev_b32 v28, 23, v25
	s_delay_alu instid0(VALU_DEP_1) | instskip(SKIP_2) | instid1(VALU_DEP_2)
	v_alignbit_b32 v26, v26, v18, v22
	v_alignbit_b32 v16, v18, v16, v22
	v_lshlrev_b32_e32 v18, 31, v27
	v_alignbit_b32 v22, v26, v16, 9
	s_delay_alu instid0(VALU_DEP_2) | instskip(SKIP_2) | instid1(VALU_DEP_4)
	v_or_b32_e32 v27, 0.5, v18
	v_lshrrev_b32_e32 v26, 9, v26
	v_or_b32_e32 v18, 0x33000000, v18
	v_clz_i32_u32_e32 v29, v22
	s_delay_alu instid0(VALU_DEP_4) | instskip(NEXT) | instid1(VALU_DEP_2)
	v_sub_nc_u32_e32 v27, v27, v28
	v_min_u32_e32 v28, 32, v29
	s_delay_alu instid0(VALU_DEP_2) | instskip(NEXT) | instid1(VALU_DEP_2)
	v_or_b32_e32 v26, v26, v27
	v_not_b32_e32 v27, v28
	v_add_lshl_u32 v25, v28, v25, 23
	s_delay_alu instid0(VALU_DEP_2) | instskip(NEXT) | instid1(VALU_DEP_1)
	v_alignbit_b32 v16, v22, v16, v27
	v_dual_sub_nc_u32 v18, v18, v25 :: v_dual_lshrrev_b32 v16, 9, v16
	s_delay_alu instid0(VALU_DEP_1) | instskip(SKIP_1) | instid1(VALU_DEP_1)
	v_or_b32_e32 v16, v18, v16
	v_mul_f32_e32 v29, 0x3fc90fda, v26
	v_fma_f32 v22, 0x3fc90fda, v26, -v29
	s_delay_alu instid0(VALU_DEP_1) | instskip(NEXT) | instid1(VALU_DEP_1)
	v_fmac_f32_e32 v22, 0x33a22168, v26
	v_fmac_f32_e32 v22, 0x3fc90fda, v16
	s_delay_alu instid0(VALU_DEP_1)
	v_dual_add_f32 v18, v29, v22 :: v_dual_add_nc_u32 v22, v24, v13
                                        ; implicit-def: $vgpr24
	s_and_not1_saveexec_b32 s0, s19
	s_cbranch_execz .LBB162_176
	s_branch .LBB162_328
.LBB162_327:                            ;   in Loop: Header=BB162_180 Depth=1
	s_and_not1_saveexec_b32 s0, s19
	s_cbranch_execz .LBB162_176
.LBB162_328:                            ;   in Loop: Header=BB162_180 Depth=1
	v_fma_f32 v18, 0xbfc90fda, v24, |v5|
	v_cvt_i32_f32_e32 v22, v24
	s_delay_alu instid0(VALU_DEP_2) | instskip(NEXT) | instid1(VALU_DEP_1)
	v_fmac_f32_e32 v18, 0xb3a22168, v24
	v_fmac_f32_e32 v18, 0xa7c234c4, v24
	s_branch .LBB162_176
.LBB162_329:
	s_endpgm
	.section	.rodata,"a",@progbits
	.p2align	6, 0x0
	.amdhsa_kernel _ZN2at6native12_GLOBAL__N_125multi_tensor_apply_kernelINS1_18TensorListMetadataILi1EEENS1_14UnaryOpFunctorIN3c107complexIfEELi1ELi1ELi0EEEJNS0_4TanhIS8_EEEEEvT_T0_DpT1_
		.amdhsa_group_segment_fixed_size 0
		.amdhsa_private_segment_fixed_size 0
		.amdhsa_kernarg_size 3632
		.amdhsa_user_sgpr_count 2
		.amdhsa_user_sgpr_dispatch_ptr 0
		.amdhsa_user_sgpr_queue_ptr 0
		.amdhsa_user_sgpr_kernarg_segment_ptr 1
		.amdhsa_user_sgpr_dispatch_id 0
		.amdhsa_user_sgpr_kernarg_preload_length 0
		.amdhsa_user_sgpr_kernarg_preload_offset 0
		.amdhsa_user_sgpr_private_segment_size 0
		.amdhsa_wavefront_size32 1
		.amdhsa_uses_dynamic_stack 0
		.amdhsa_enable_private_segment 0
		.amdhsa_system_sgpr_workgroup_id_x 1
		.amdhsa_system_sgpr_workgroup_id_y 0
		.amdhsa_system_sgpr_workgroup_id_z 0
		.amdhsa_system_sgpr_workgroup_info 0
		.amdhsa_system_vgpr_workitem_id 0
		.amdhsa_next_free_vgpr 50
		.amdhsa_next_free_sgpr 39
		.amdhsa_named_barrier_count 0
		.amdhsa_reserve_vcc 1
		.amdhsa_float_round_mode_32 0
		.amdhsa_float_round_mode_16_64 0
		.amdhsa_float_denorm_mode_32 3
		.amdhsa_float_denorm_mode_16_64 3
		.amdhsa_fp16_overflow 0
		.amdhsa_memory_ordered 1
		.amdhsa_forward_progress 1
		.amdhsa_inst_pref_size 255
		.amdhsa_round_robin_scheduling 0
		.amdhsa_exception_fp_ieee_invalid_op 0
		.amdhsa_exception_fp_denorm_src 0
		.amdhsa_exception_fp_ieee_div_zero 0
		.amdhsa_exception_fp_ieee_overflow 0
		.amdhsa_exception_fp_ieee_underflow 0
		.amdhsa_exception_fp_ieee_inexact 0
		.amdhsa_exception_int_div_zero 0
	.end_amdhsa_kernel
	.section	.text._ZN2at6native12_GLOBAL__N_125multi_tensor_apply_kernelINS1_18TensorListMetadataILi1EEENS1_14UnaryOpFunctorIN3c107complexIfEELi1ELi1ELi0EEEJNS0_4TanhIS8_EEEEEvT_T0_DpT1_,"axG",@progbits,_ZN2at6native12_GLOBAL__N_125multi_tensor_apply_kernelINS1_18TensorListMetadataILi1EEENS1_14UnaryOpFunctorIN3c107complexIfEELi1ELi1ELi0EEEJNS0_4TanhIS8_EEEEEvT_T0_DpT1_,comdat
.Lfunc_end162:
	.size	_ZN2at6native12_GLOBAL__N_125multi_tensor_apply_kernelINS1_18TensorListMetadataILi1EEENS1_14UnaryOpFunctorIN3c107complexIfEELi1ELi1ELi0EEEJNS0_4TanhIS8_EEEEEvT_T0_DpT1_, .Lfunc_end162-_ZN2at6native12_GLOBAL__N_125multi_tensor_apply_kernelINS1_18TensorListMetadataILi1EEENS1_14UnaryOpFunctorIN3c107complexIfEELi1ELi1ELi0EEEJNS0_4TanhIS8_EEEEEvT_T0_DpT1_
                                        ; -- End function
	.set _ZN2at6native12_GLOBAL__N_125multi_tensor_apply_kernelINS1_18TensorListMetadataILi1EEENS1_14UnaryOpFunctorIN3c107complexIfEELi1ELi1ELi0EEEJNS0_4TanhIS8_EEEEEvT_T0_DpT1_.num_vgpr, 50
	.set _ZN2at6native12_GLOBAL__N_125multi_tensor_apply_kernelINS1_18TensorListMetadataILi1EEENS1_14UnaryOpFunctorIN3c107complexIfEELi1ELi1ELi0EEEJNS0_4TanhIS8_EEEEEvT_T0_DpT1_.num_agpr, 0
	.set _ZN2at6native12_GLOBAL__N_125multi_tensor_apply_kernelINS1_18TensorListMetadataILi1EEENS1_14UnaryOpFunctorIN3c107complexIfEELi1ELi1ELi0EEEJNS0_4TanhIS8_EEEEEvT_T0_DpT1_.numbered_sgpr, 39
	.set _ZN2at6native12_GLOBAL__N_125multi_tensor_apply_kernelINS1_18TensorListMetadataILi1EEENS1_14UnaryOpFunctorIN3c107complexIfEELi1ELi1ELi0EEEJNS0_4TanhIS8_EEEEEvT_T0_DpT1_.num_named_barrier, 0
	.set _ZN2at6native12_GLOBAL__N_125multi_tensor_apply_kernelINS1_18TensorListMetadataILi1EEENS1_14UnaryOpFunctorIN3c107complexIfEELi1ELi1ELi0EEEJNS0_4TanhIS8_EEEEEvT_T0_DpT1_.private_seg_size, 0
	.set _ZN2at6native12_GLOBAL__N_125multi_tensor_apply_kernelINS1_18TensorListMetadataILi1EEENS1_14UnaryOpFunctorIN3c107complexIfEELi1ELi1ELi0EEEJNS0_4TanhIS8_EEEEEvT_T0_DpT1_.uses_vcc, 1
	.set _ZN2at6native12_GLOBAL__N_125multi_tensor_apply_kernelINS1_18TensorListMetadataILi1EEENS1_14UnaryOpFunctorIN3c107complexIfEELi1ELi1ELi0EEEJNS0_4TanhIS8_EEEEEvT_T0_DpT1_.uses_flat_scratch, 0
	.set _ZN2at6native12_GLOBAL__N_125multi_tensor_apply_kernelINS1_18TensorListMetadataILi1EEENS1_14UnaryOpFunctorIN3c107complexIfEELi1ELi1ELi0EEEJNS0_4TanhIS8_EEEEEvT_T0_DpT1_.has_dyn_sized_stack, 0
	.set _ZN2at6native12_GLOBAL__N_125multi_tensor_apply_kernelINS1_18TensorListMetadataILi1EEENS1_14UnaryOpFunctorIN3c107complexIfEELi1ELi1ELi0EEEJNS0_4TanhIS8_EEEEEvT_T0_DpT1_.has_recursion, 0
	.set _ZN2at6native12_GLOBAL__N_125multi_tensor_apply_kernelINS1_18TensorListMetadataILi1EEENS1_14UnaryOpFunctorIN3c107complexIfEELi1ELi1ELi0EEEJNS0_4TanhIS8_EEEEEvT_T0_DpT1_.has_indirect_call, 0
	.section	.AMDGPU.csdata,"",@progbits
; Kernel info:
; codeLenInByte = 49768
; TotalNumSgprs: 41
; NumVgprs: 50
; ScratchSize: 0
; MemoryBound: 1
; FloatMode: 240
; IeeeMode: 1
; LDSByteSize: 0 bytes/workgroup (compile time only)
; SGPRBlocks: 0
; VGPRBlocks: 3
; NumSGPRsForWavesPerEU: 41
; NumVGPRsForWavesPerEU: 50
; NamedBarCnt: 0
; Occupancy: 16
; WaveLimiterHint : 0
; COMPUTE_PGM_RSRC2:SCRATCH_EN: 0
; COMPUTE_PGM_RSRC2:USER_SGPR: 2
; COMPUTE_PGM_RSRC2:TRAP_HANDLER: 0
; COMPUTE_PGM_RSRC2:TGID_X_EN: 1
; COMPUTE_PGM_RSRC2:TGID_Y_EN: 0
; COMPUTE_PGM_RSRC2:TGID_Z_EN: 0
; COMPUTE_PGM_RSRC2:TIDIG_COMP_CNT: 0
	.section	.text._ZN2at6native12_GLOBAL__N_125multi_tensor_apply_kernelINS1_18TensorListMetadataILi1EEENS1_14UnaryOpFunctorIN3c104HalfELi1ELi1ELi0EEEJNS0_4TanhIfEEEEEvT_T0_DpT1_,"axG",@progbits,_ZN2at6native12_GLOBAL__N_125multi_tensor_apply_kernelINS1_18TensorListMetadataILi1EEENS1_14UnaryOpFunctorIN3c104HalfELi1ELi1ELi0EEEJNS0_4TanhIfEEEEEvT_T0_DpT1_,comdat
	.globl	_ZN2at6native12_GLOBAL__N_125multi_tensor_apply_kernelINS1_18TensorListMetadataILi1EEENS1_14UnaryOpFunctorIN3c104HalfELi1ELi1ELi0EEEJNS0_4TanhIfEEEEEvT_T0_DpT1_ ; -- Begin function _ZN2at6native12_GLOBAL__N_125multi_tensor_apply_kernelINS1_18TensorListMetadataILi1EEENS1_14UnaryOpFunctorIN3c104HalfELi1ELi1ELi0EEEJNS0_4TanhIfEEEEEvT_T0_DpT1_
	.p2align	8
	.type	_ZN2at6native12_GLOBAL__N_125multi_tensor_apply_kernelINS1_18TensorListMetadataILi1EEENS1_14UnaryOpFunctorIN3c104HalfELi1ELi1ELi0EEEJNS0_4TanhIfEEEEEvT_T0_DpT1_,@function
_ZN2at6native12_GLOBAL__N_125multi_tensor_apply_kernelINS1_18TensorListMetadataILi1EEENS1_14UnaryOpFunctorIN3c104HalfELi1ELi1ELi0EEEJNS0_4TanhIfEEEEEvT_T0_DpT1_: ; @_ZN2at6native12_GLOBAL__N_125multi_tensor_apply_kernelINS1_18TensorListMetadataILi1EEENS1_14UnaryOpFunctorIN3c104HalfELi1ELi1ELi0EEEJNS0_4TanhIfEEEEEvT_T0_DpT1_
; %bb.0:
	s_bfe_u32 s2, ttmp6, 0x4000c
	s_and_b32 s3, ttmp6, 15
	s_add_co_i32 s2, s2, 1
	s_getreg_b32 s4, hwreg(HW_REG_IB_STS2, 6, 4)
	s_mul_i32 s2, ttmp9, s2
	s_delay_alu instid0(SALU_CYCLE_1)
	s_add_co_i32 s3, s3, s2
	s_cmp_eq_u32 s4, 0
	s_cselect_b32 s2, ttmp9, s3
	s_mov_b32 s3, 0
	s_load_u8 s8, s[0:1], s2 offset:0x6e0
	s_add_nc_u64 s[4:5], s[0:1], s[2:3]
	s_mul_u64 s[6:7], s[2:3], 3
	s_delay_alu instid0(SALU_CYCLE_1)
	s_add_nc_u64 s[4:5], s[4:5], s[6:7]
	s_load_b32 s10, s[4:5], 0x820
	s_wait_kmcnt 0x0
	s_clause 0x1
	s_load_b64 s[6:7], s[0:1], s8 offset:0x0 scale_offset
	s_load_b64 s[12:13], s[0:1], s8 offset:0x370 scale_offset
	s_ashr_i32 s11, s10, 31
	s_wait_kmcnt 0x0
	s_and_b64 s[4:5], s[6:7], 7
	s_and_b32 s2, s12, 3
	s_lshl_b64 s[8:9], s[10:11], 17
	s_or_b64 s[2:3], s[4:5], s[2:3]
	s_lshl_b64 s[4:5], s[10:11], 16
	s_cmp_eq_u64 s[2:3], 0
	s_sub_nc_u64 s[10:11], s[12:13], s[4:5]
	s_cbranch_scc1 .LBB163_37
; %bb.1:
	v_cmp_lt_i64_e64 s2, s[10:11], 1
	s_and_b32 vcc_lo, exec_lo, s2
	s_cbranch_vccnz .LBB163_36
; %bb.2:
	s_load_b32 s2, s[0:1], 0xd3c
	v_min_i64 v[2:3], 0x10000, s[10:11]
	v_min_u64 v[4:5], 0x10000, s[10:11]
	v_dual_mov_b32 v1, 0 :: v_dual_lshlrev_b32 v8, 1, v0
	s_mov_b32 s3, 0
	s_add_nc_u64 s[4:5], s[6:7], s[8:9]
	s_mov_b32 s15, s3
	s_delay_alu instid0(VALU_DEP_1)
	v_mov_b32_e32 v15, v1
	s_mov_b32 s17, s3
	s_mov_b32 s13, s3
	s_mov_b64 s[18:19], 0
	s_mov_b32 s20, 0xbbbac73d
	s_wait_kmcnt 0x0
	s_and_b32 s2, s2, 0xffff
	s_delay_alu instid0(SALU_CYCLE_1)
	v_add_nc_u64_e32 v[6:7], s[2:3], v[0:1]
	v_mov_b32_e32 v9, v1
	s_lshl_b32 s14, s2, 1
	s_mul_i32 s16, s2, 3
	v_add_nc_u64_e32 v[12:13], s[14:15], v[0:1]
	v_add_nc_u64_e32 v[10:11], s[16:17], v[0:1]
	s_lshl_b32 s12, s2, 2
	v_lshlrev_b32_e32 v14, 1, v6
	v_add_nc_u64_e32 v[8:9], s[4:5], v[8:9]
	s_lshl_b32 s14, s2, 3
	s_mul_u64 s[16:17], s[2:3], 6
	s_delay_alu instid0(VALU_DEP_2)
	v_add_nc_u64_e32 v[14:15], s[4:5], v[14:15]
	s_branch .LBB163_4
.LBB163_3:                              ;   in Loop: Header=BB163_4 Depth=1
	s_wait_xcnt 0x0
	s_or_b32 exec_lo, exec_lo, s2
	s_add_nc_u64 s[18:19], s[18:19], s[12:13]
	v_add_nc_u64_e32 v[8:9], s[14:15], v[8:9]
	v_cmp_ge_i64_e32 vcc_lo, s[18:19], v[2:3]
	v_add_nc_u64_e32 v[14:15], s[14:15], v[14:15]
	s_cbranch_vccnz .LBB163_36
.LBB163_4:                              ; =>This Inner Loop Header: Depth=1
	v_add_nc_u64_e32 v[16:17], s[18:19], v[0:1]
	v_mov_b32_e32 v21, 0
	s_delay_alu instid0(VALU_DEP_2)
	v_cmp_lt_u64_e32 vcc_lo, v[16:17], v[4:5]
	s_and_saveexec_b32 s2, vcc_lo
	s_cbranch_execz .LBB163_6
; %bb.5:                                ;   in Loop: Header=BB163_4 Depth=1
	global_load_u16 v16, v[8:9], off
	s_wait_loadcnt 0x0
	v_cvt_f32_f16_e32 v21, v16
.LBB163_6:                              ;   in Loop: Header=BB163_4 Depth=1
	s_wait_xcnt 0x0
	s_or_b32 exec_lo, exec_lo, s2
	v_add_nc_u64_e32 v[16:17], s[18:19], v[6:7]
	v_dual_mov_b32 v20, 0 :: v_dual_mov_b32 v22, 0
	s_delay_alu instid0(VALU_DEP_2)
	v_cmp_lt_u64_e64 s2, v[16:17], v[4:5]
	s_and_saveexec_b32 s3, s2
	s_cbranch_execz .LBB163_8
; %bb.7:                                ;   in Loop: Header=BB163_4 Depth=1
	global_load_u16 v16, v[14:15], off
	s_wait_loadcnt 0x0
	v_cvt_f32_f16_e32 v22, v16
.LBB163_8:                              ;   in Loop: Header=BB163_4 Depth=1
	s_wait_xcnt 0x0
	s_or_b32 exec_lo, exec_lo, s3
	v_add_nc_u64_e32 v[16:17], s[18:19], v[12:13]
	s_delay_alu instid0(VALU_DEP_1)
	v_cmp_lt_u64_e64 s3, v[16:17], v[4:5]
	v_add_nc_u64_e32 v[16:17], s[12:13], v[8:9]
	s_and_saveexec_b32 s4, s3
	s_cbranch_execz .LBB163_10
; %bb.9:                                ;   in Loop: Header=BB163_4 Depth=1
	global_load_u16 v18, v[16:17], off
	s_wait_loadcnt 0x0
	v_cvt_f32_f16_e32 v20, v18
.LBB163_10:                             ;   in Loop: Header=BB163_4 Depth=1
	s_wait_xcnt 0x0
	s_or_b32 exec_lo, exec_lo, s4
	v_add_nc_u64_e32 v[18:19], s[18:19], v[10:11]
	v_mov_b32_e32 v23, 0
	s_delay_alu instid0(VALU_DEP_2)
	v_cmp_lt_u64_e64 s4, v[18:19], v[4:5]
	v_add_nc_u64_e32 v[18:19], s[16:17], v[8:9]
	s_and_saveexec_b32 s5, s4
	s_cbranch_execz .LBB163_12
; %bb.11:                               ;   in Loop: Header=BB163_4 Depth=1
	global_load_u16 v23, v[18:19], off
	s_wait_loadcnt 0x0
	v_cvt_f32_f16_e32 v23, v23
.LBB163_12:                             ;   in Loop: Header=BB163_4 Depth=1
	s_wait_xcnt 0x0
	s_or_b32 exec_lo, exec_lo, s5
	s_delay_alu instid0(SALU_CYCLE_1)
	s_mov_b32 s21, exec_lo
                                        ; implicit-def: $vgpr24
	v_cmpx_ngt_f32_e64 0x3f200000, |v21|
	s_xor_b32 s21, exec_lo, s21
	s_cbranch_execz .LBB163_14
; %bb.13:                               ;   in Loop: Header=BB163_4 Depth=1
	v_add_f32_e64 v24, |v21|, |v21|
	s_delay_alu instid0(VALU_DEP_1) | instskip(SKIP_1) | instid1(VALU_DEP_2)
	v_mul_f32_e32 v25, 0x3fb8aa3b, v24
	v_cmp_ngt_f32_e64 s5, 0xc2ce8ed0, v24
	v_rndne_f32_e32 v26, v25
	v_fma_f32 v27, 0x3fb8aa3b, v24, -v25
	s_delay_alu instid0(VALU_DEP_2) | instskip(NEXT) | instid1(VALU_DEP_2)
	v_sub_f32_e32 v25, v25, v26
	v_fmac_f32_e32 v27, 0x32a5705f, v24
	v_cvt_i32_f32_e32 v26, v26
	s_delay_alu instid0(VALU_DEP_2) | instskip(NEXT) | instid1(VALU_DEP_1)
	v_add_f32_e32 v25, v25, v27
	v_exp_f32_e32 v25, v25
	v_nop
	s_delay_alu instid0(TRANS32_DEP_1) | instskip(NEXT) | instid1(VALU_DEP_1)
	v_ldexp_f32 v25, v25, v26
	v_cndmask_b32_e64 v25, 0, v25, s5
	v_cmp_nlt_f32_e64 s5, 0x42b17218, v24
	s_delay_alu instid0(VALU_DEP_1) | instskip(NEXT) | instid1(VALU_DEP_1)
	v_cndmask_b32_e64 v24, 0x7f800000, v25, s5
	v_add_f32_e32 v24, 1.0, v24
	s_delay_alu instid0(VALU_DEP_1) | instskip(SKIP_1) | instid1(TRANS32_DEP_1)
	v_rcp_f32_e32 v24, v24
	v_nop
	v_fma_f32 v24, v24, -2.0, 1.0
.LBB163_14:                             ;   in Loop: Header=BB163_4 Depth=1
	s_and_not1_saveexec_b32 s5, s21
	s_cbranch_execz .LBB163_16
; %bb.15:                               ;   in Loop: Header=BB163_4 Depth=1
	v_mul_f32_e32 v24, v21, v21
	s_delay_alu instid0(VALU_DEP_1) | instskip(NEXT) | instid1(VALU_DEP_1)
	v_fmaak_f32 v25, s20, v24, 0x3ca908c9
	v_fmaak_f32 v25, v24, v25, 0xbd5c1c4e
	s_delay_alu instid0(VALU_DEP_1) | instskip(NEXT) | instid1(VALU_DEP_1)
	v_fmaak_f32 v25, v24, v25, 0x3e088382
	v_fmaak_f32 v25, v24, v25, 0xbeaaaa99
	s_delay_alu instid0(VALU_DEP_1) | instskip(NEXT) | instid1(VALU_DEP_1)
	v_mul_f32_e64 v25, |v21|, v25
	v_fma_f32 v24, v24, v25, |v21|
.LBB163_16:                             ;   in Loop: Header=BB163_4 Depth=1
	s_or_b32 exec_lo, exec_lo, s5
	s_delay_alu instid0(SALU_CYCLE_1)
	s_mov_b32 s21, exec_lo
                                        ; implicit-def: $vgpr25
	v_cmpx_ngt_f32_e64 0x3f200000, |v22|
	s_xor_b32 s21, exec_lo, s21
	s_cbranch_execz .LBB163_18
; %bb.17:                               ;   in Loop: Header=BB163_4 Depth=1
	v_add_f32_e64 v25, |v22|, |v22|
	s_delay_alu instid0(VALU_DEP_1) | instskip(SKIP_1) | instid1(VALU_DEP_2)
	v_mul_f32_e32 v26, 0x3fb8aa3b, v25
	v_cmp_ngt_f32_e64 s5, 0xc2ce8ed0, v25
	v_rndne_f32_e32 v27, v26
	v_fma_f32 v28, 0x3fb8aa3b, v25, -v26
	s_delay_alu instid0(VALU_DEP_2) | instskip(NEXT) | instid1(VALU_DEP_2)
	v_sub_f32_e32 v26, v26, v27
	v_fmac_f32_e32 v28, 0x32a5705f, v25
	v_cvt_i32_f32_e32 v27, v27
	s_delay_alu instid0(VALU_DEP_2) | instskip(NEXT) | instid1(VALU_DEP_1)
	v_add_f32_e32 v26, v26, v28
	v_exp_f32_e32 v26, v26
	v_nop
	s_delay_alu instid0(TRANS32_DEP_1) | instskip(NEXT) | instid1(VALU_DEP_1)
	v_ldexp_f32 v26, v26, v27
	v_cndmask_b32_e64 v26, 0, v26, s5
	v_cmp_nlt_f32_e64 s5, 0x42b17218, v25
	s_delay_alu instid0(VALU_DEP_1) | instskip(NEXT) | instid1(VALU_DEP_1)
	v_cndmask_b32_e64 v25, 0x7f800000, v26, s5
	v_add_f32_e32 v25, 1.0, v25
	s_delay_alu instid0(VALU_DEP_1) | instskip(SKIP_1) | instid1(TRANS32_DEP_1)
	v_rcp_f32_e32 v25, v25
	v_nop
	v_fma_f32 v25, v25, -2.0, 1.0
.LBB163_18:                             ;   in Loop: Header=BB163_4 Depth=1
	s_and_not1_saveexec_b32 s5, s21
	s_cbranch_execz .LBB163_20
; %bb.19:                               ;   in Loop: Header=BB163_4 Depth=1
	v_mul_f32_e32 v25, v22, v22
	s_delay_alu instid0(VALU_DEP_1) | instskip(NEXT) | instid1(VALU_DEP_1)
	v_fmaak_f32 v26, s20, v25, 0x3ca908c9
	v_fmaak_f32 v26, v25, v26, 0xbd5c1c4e
	s_delay_alu instid0(VALU_DEP_1) | instskip(NEXT) | instid1(VALU_DEP_1)
	v_fmaak_f32 v26, v25, v26, 0x3e088382
	v_fmaak_f32 v26, v25, v26, 0xbeaaaa99
	s_delay_alu instid0(VALU_DEP_1) | instskip(NEXT) | instid1(VALU_DEP_1)
	v_mul_f32_e64 v26, |v22|, v26
	v_fma_f32 v25, v25, v26, |v22|
.LBB163_20:                             ;   in Loop: Header=BB163_4 Depth=1
	s_or_b32 exec_lo, exec_lo, s5
	s_delay_alu instid0(SALU_CYCLE_1)
	s_mov_b32 s21, exec_lo
                                        ; implicit-def: $vgpr26
	v_cmpx_ngt_f32_e64 0x3f200000, |v20|
	s_xor_b32 s21, exec_lo, s21
	s_cbranch_execz .LBB163_22
; %bb.21:                               ;   in Loop: Header=BB163_4 Depth=1
	v_add_f32_e64 v26, |v20|, |v20|
	s_delay_alu instid0(VALU_DEP_1) | instskip(SKIP_1) | instid1(VALU_DEP_2)
	v_mul_f32_e32 v27, 0x3fb8aa3b, v26
	v_cmp_ngt_f32_e64 s5, 0xc2ce8ed0, v26
	v_rndne_f32_e32 v28, v27
	v_fma_f32 v29, 0x3fb8aa3b, v26, -v27
	s_delay_alu instid0(VALU_DEP_2) | instskip(NEXT) | instid1(VALU_DEP_2)
	v_sub_f32_e32 v27, v27, v28
	v_fmac_f32_e32 v29, 0x32a5705f, v26
	v_cvt_i32_f32_e32 v28, v28
	s_delay_alu instid0(VALU_DEP_2) | instskip(NEXT) | instid1(VALU_DEP_1)
	v_add_f32_e32 v27, v27, v29
	v_exp_f32_e32 v27, v27
	v_nop
	s_delay_alu instid0(TRANS32_DEP_1) | instskip(NEXT) | instid1(VALU_DEP_1)
	v_ldexp_f32 v27, v27, v28
	v_cndmask_b32_e64 v27, 0, v27, s5
	v_cmp_nlt_f32_e64 s5, 0x42b17218, v26
	s_delay_alu instid0(VALU_DEP_1) | instskip(NEXT) | instid1(VALU_DEP_1)
	v_cndmask_b32_e64 v26, 0x7f800000, v27, s5
	v_add_f32_e32 v26, 1.0, v26
	s_delay_alu instid0(VALU_DEP_1) | instskip(SKIP_1) | instid1(TRANS32_DEP_1)
	v_rcp_f32_e32 v26, v26
	v_nop
	v_fma_f32 v26, v26, -2.0, 1.0
.LBB163_22:                             ;   in Loop: Header=BB163_4 Depth=1
	s_and_not1_saveexec_b32 s5, s21
	s_cbranch_execz .LBB163_24
; %bb.23:                               ;   in Loop: Header=BB163_4 Depth=1
	v_mul_f32_e32 v26, v20, v20
	s_delay_alu instid0(VALU_DEP_1) | instskip(NEXT) | instid1(VALU_DEP_1)
	v_fmaak_f32 v27, s20, v26, 0x3ca908c9
	v_fmaak_f32 v27, v26, v27, 0xbd5c1c4e
	s_delay_alu instid0(VALU_DEP_1) | instskip(NEXT) | instid1(VALU_DEP_1)
	v_fmaak_f32 v27, v26, v27, 0x3e088382
	v_fmaak_f32 v27, v26, v27, 0xbeaaaa99
	s_delay_alu instid0(VALU_DEP_1) | instskip(NEXT) | instid1(VALU_DEP_1)
	v_mul_f32_e64 v27, |v20|, v27
	v_fma_f32 v26, v26, v27, |v20|
.LBB163_24:                             ;   in Loop: Header=BB163_4 Depth=1
	s_or_b32 exec_lo, exec_lo, s5
	s_delay_alu instid0(SALU_CYCLE_1)
	s_mov_b32 s21, exec_lo
                                        ; implicit-def: $vgpr27
	v_cmpx_ngt_f32_e64 0x3f200000, |v23|
	s_xor_b32 s21, exec_lo, s21
	s_cbranch_execnz .LBB163_30
; %bb.25:                               ;   in Loop: Header=BB163_4 Depth=1
	s_and_not1_saveexec_b32 s5, s21
	s_cbranch_execnz .LBB163_31
.LBB163_26:                             ;   in Loop: Header=BB163_4 Depth=1
	s_or_b32 exec_lo, exec_lo, s5
	s_and_saveexec_b32 s5, vcc_lo
	s_delay_alu instid0(SALU_CYCLE_1)
	s_xor_b32 s5, exec_lo, s5
	s_cbranch_execnz .LBB163_32
.LBB163_27:                             ;   in Loop: Header=BB163_4 Depth=1
	s_or_b32 exec_lo, exec_lo, s5
	s_and_saveexec_b32 s5, s2
	s_cbranch_execnz .LBB163_33
.LBB163_28:                             ;   in Loop: Header=BB163_4 Depth=1
	s_or_b32 exec_lo, exec_lo, s5
	s_and_saveexec_b32 s2, s3
	s_cbranch_execnz .LBB163_34
.LBB163_29:                             ;   in Loop: Header=BB163_4 Depth=1
	s_or_b32 exec_lo, exec_lo, s2
	s_and_saveexec_b32 s2, s4
	s_cbranch_execz .LBB163_3
	s_branch .LBB163_35
.LBB163_30:                             ;   in Loop: Header=BB163_4 Depth=1
	v_add_f32_e64 v27, |v23|, |v23|
	s_delay_alu instid0(VALU_DEP_1) | instskip(SKIP_1) | instid1(VALU_DEP_2)
	v_mul_f32_e32 v28, 0x3fb8aa3b, v27
	v_cmp_ngt_f32_e64 s5, 0xc2ce8ed0, v27
	v_rndne_f32_e32 v29, v28
	v_fma_f32 v30, 0x3fb8aa3b, v27, -v28
	s_delay_alu instid0(VALU_DEP_2) | instskip(NEXT) | instid1(VALU_DEP_2)
	v_sub_f32_e32 v28, v28, v29
	v_fmac_f32_e32 v30, 0x32a5705f, v27
	v_cvt_i32_f32_e32 v29, v29
	s_delay_alu instid0(VALU_DEP_2) | instskip(NEXT) | instid1(VALU_DEP_1)
	v_add_f32_e32 v28, v28, v30
	v_exp_f32_e32 v28, v28
	v_nop
	s_delay_alu instid0(TRANS32_DEP_1) | instskip(NEXT) | instid1(VALU_DEP_1)
	v_ldexp_f32 v28, v28, v29
	v_cndmask_b32_e64 v28, 0, v28, s5
	v_cmp_nlt_f32_e64 s5, 0x42b17218, v27
	s_delay_alu instid0(VALU_DEP_1) | instskip(NEXT) | instid1(VALU_DEP_1)
	v_cndmask_b32_e64 v27, 0x7f800000, v28, s5
	v_add_f32_e32 v27, 1.0, v27
	s_delay_alu instid0(VALU_DEP_1) | instskip(SKIP_1) | instid1(TRANS32_DEP_1)
	v_rcp_f32_e32 v27, v27
	v_nop
	v_fma_f32 v27, v27, -2.0, 1.0
	s_and_not1_saveexec_b32 s5, s21
	s_cbranch_execz .LBB163_26
.LBB163_31:                             ;   in Loop: Header=BB163_4 Depth=1
	v_mul_f32_e32 v27, v23, v23
	s_delay_alu instid0(VALU_DEP_1) | instskip(NEXT) | instid1(VALU_DEP_1)
	v_fmaak_f32 v28, s20, v27, 0x3ca908c9
	v_fmaak_f32 v28, v27, v28, 0xbd5c1c4e
	s_delay_alu instid0(VALU_DEP_1) | instskip(NEXT) | instid1(VALU_DEP_1)
	v_fmaak_f32 v28, v27, v28, 0x3e088382
	v_fmaak_f32 v28, v27, v28, 0xbeaaaa99
	s_delay_alu instid0(VALU_DEP_1) | instskip(NEXT) | instid1(VALU_DEP_1)
	v_mul_f32_e64 v28, |v23|, v28
	v_fma_f32 v27, v27, v28, |v23|
	s_or_b32 exec_lo, exec_lo, s5
	s_and_saveexec_b32 s5, vcc_lo
	s_delay_alu instid0(SALU_CYCLE_1)
	s_xor_b32 s5, exec_lo, s5
	s_cbranch_execz .LBB163_27
.LBB163_32:                             ;   in Loop: Header=BB163_4 Depth=1
	v_cvt_f16_f32_e32 v24, v24
	v_lshrrev_b32_e32 v21, 16, v21
	s_delay_alu instid0(VALU_DEP_1)
	v_bfi_b32 v21, 0x7fff, v24, v21
	global_store_b16 v[8:9], v21, off
	s_wait_xcnt 0x0
	s_or_b32 exec_lo, exec_lo, s5
	s_and_saveexec_b32 s5, s2
	s_cbranch_execz .LBB163_28
.LBB163_33:                             ;   in Loop: Header=BB163_4 Depth=1
	v_cvt_f16_f32_e32 v21, v25
	v_lshrrev_b32_e32 v22, 16, v22
	s_delay_alu instid0(VALU_DEP_1)
	v_bfi_b32 v21, 0x7fff, v21, v22
	global_store_b16 v[14:15], v21, off
	s_wait_xcnt 0x0
	s_or_b32 exec_lo, exec_lo, s5
	s_and_saveexec_b32 s2, s3
	s_cbranch_execz .LBB163_29
.LBB163_34:                             ;   in Loop: Header=BB163_4 Depth=1
	v_cvt_f16_f32_e32 v21, v26
	v_lshrrev_b32_e32 v20, 16, v20
	s_delay_alu instid0(VALU_DEP_1)
	v_bfi_b32 v20, 0x7fff, v21, v20
	global_store_b16 v[16:17], v20, off
	s_wait_xcnt 0x0
	s_or_b32 exec_lo, exec_lo, s2
	s_and_saveexec_b32 s2, s4
	s_cbranch_execz .LBB163_3
.LBB163_35:                             ;   in Loop: Header=BB163_4 Depth=1
	v_cvt_f16_f32_e32 v16, v27
	v_lshrrev_b32_e32 v17, 16, v23
	s_delay_alu instid0(VALU_DEP_1)
	v_bfi_b32 v16, 0x7fff, v16, v17
	global_store_b16 v[18:19], v16, off
	s_branch .LBB163_3
.LBB163_36:
	s_cbranch_execz .LBB163_38
	s_branch .LBB163_57
.LBB163_37:
.LBB163_38:
	v_min_i64 v[2:3], 0x10000, s[10:11]
	v_dual_mov_b32 v5, 0 :: v_dual_lshlrev_b32 v4, 2, v0
	s_mov_b32 s2, exec_lo
	s_delay_alu instid0(VALU_DEP_1)
	v_cmpx_lt_i64_e64 v[4:5], v[2:3]
	s_cbranch_execz .LBB163_57
; %bb.39:
	s_load_b32 s2, s[0:1], 0xd3c
	v_dual_mov_b32 v1, v5 :: v_dual_lshlrev_b32 v4, 3, v0
	s_wait_xcnt 0x0
	s_add_nc_u64 s[0:1], s[6:7], s[8:9]
	s_mov_b32 s4, 0xbbbac73d
	s_delay_alu instid0(VALU_DEP_1) | instskip(SKIP_1) | instid1(SALU_CYCLE_1)
	v_add_nc_u64_e32 v[6:7], s[0:1], v[4:5]
	s_mov_b32 s1, 0
	s_mov_b32 s3, s1
	;; [unrolled: 1-line block ×3, first 2 shown]
	s_delay_alu instid0(VALU_DEP_1) | instskip(SKIP_2) | instid1(SALU_CYCLE_1)
	v_add_nc_u64_e32 v[4:5], 4, v[6:7]
	s_wait_kmcnt 0x0
	s_and_b32 s0, s2, 0xffff
	s_lshl_b32 s2, s0, 3
	s_branch .LBB163_41
.LBB163_40:                             ;   in Loop: Header=BB163_41 Depth=1
	s_or_b32 exec_lo, exec_lo, s6
	v_add_nc_u64_e32 v[0:1], s[0:1], v[0:1]
	v_cvt_f16_f32_e32 v12, v12
	v_dual_lshrrev_b32 v11, 16, v11 :: v_dual_lshrrev_b32 v6, 16, v6
	v_cvt_f16_f32_e32 v10, v10
	v_cvt_f16_f32_e32 v9, v9
	;; [unrolled: 1-line block ×3, first 2 shown]
	v_dual_lshrrev_b32 v7, 16, v7 :: v_dual_lshrrev_b32 v8, 16, v8
	v_bfi_b32 v11, 0x7fff, v12, v11
	v_bfi_b32 v10, 0x7fff, v10, v6
	s_delay_alu instid0(VALU_DEP_3) | instskip(NEXT) | instid1(VALU_DEP_4)
	v_bfi_b32 v12, 0x7fff, v13, v7
	v_bfi_b32 v8, 0x7fff, v9, v8
	v_lshlrev_b64_e32 v[6:7], 2, v[0:1]
	s_delay_alu instid0(VALU_DEP_3) | instskip(NEXT) | instid1(VALU_DEP_3)
	v_pack_b32_f16 v9, v11, v12
	v_pack_b32_f16 v8, v8, v10
	s_delay_alu instid0(VALU_DEP_3) | instskip(SKIP_4) | instid1(SALU_CYCLE_1)
	v_cmp_ge_i64_e32 vcc_lo, v[6:7], v[2:3]
	global_store_b64 v[4:5], v[8:9], off offset:-4
	s_wait_xcnt 0x0
	v_add_nc_u64_e32 v[4:5], s[2:3], v[4:5]
	s_or_b32 s5, vcc_lo, s5
	s_and_not1_b32 exec_lo, exec_lo, s5
	s_cbranch_execz .LBB163_57
.LBB163_41:                             ; =>This Inner Loop Header: Depth=1
	global_load_b64 v[6:7], v[4:5], off offset:-4
                                        ; implicit-def: $vgpr9
	s_wait_loadcnt 0x0
	v_cvt_f32_f16_e32 v8, v6
	s_delay_alu instid0(VALU_DEP_1) | instskip(SKIP_2) | instid1(SALU_CYCLE_1)
	v_cmp_ngt_f32_e64 s6, 0x3f200000, |v8|
	s_wait_xcnt 0x0
	s_and_saveexec_b32 s7, s6
	s_xor_b32 s6, exec_lo, s7
	s_cbranch_execz .LBB163_43
; %bb.42:                               ;   in Loop: Header=BB163_41 Depth=1
	v_add_f32_e64 v9, |v8|, |v8|
	s_delay_alu instid0(VALU_DEP_1) | instskip(SKIP_1) | instid1(VALU_DEP_2)
	v_mul_f32_e32 v10, 0x3fb8aa3b, v9
	v_cmp_ngt_f32_e32 vcc_lo, 0xc2ce8ed0, v9
	v_rndne_f32_e32 v11, v10
	v_fma_f32 v12, 0x3fb8aa3b, v9, -v10
	s_delay_alu instid0(VALU_DEP_2) | instskip(NEXT) | instid1(VALU_DEP_2)
	v_sub_f32_e32 v10, v10, v11
	v_fmac_f32_e32 v12, 0x32a5705f, v9
	v_cvt_i32_f32_e32 v11, v11
	s_delay_alu instid0(VALU_DEP_2) | instskip(NEXT) | instid1(VALU_DEP_1)
	v_add_f32_e32 v10, v10, v12
	v_exp_f32_e32 v10, v10
	v_nop
	s_delay_alu instid0(TRANS32_DEP_1) | instskip(NEXT) | instid1(VALU_DEP_1)
	v_ldexp_f32 v10, v10, v11
	v_cndmask_b32_e32 v10, 0, v10, vcc_lo
	v_cmp_nlt_f32_e32 vcc_lo, 0x42b17218, v9
	s_delay_alu instid0(VALU_DEP_2) | instskip(NEXT) | instid1(VALU_DEP_1)
	v_cndmask_b32_e32 v9, 0x7f800000, v10, vcc_lo
	v_add_f32_e32 v9, 1.0, v9
	s_delay_alu instid0(VALU_DEP_1) | instskip(SKIP_1) | instid1(TRANS32_DEP_1)
	v_rcp_f32_e32 v9, v9
	v_nop
	v_fma_f32 v9, v9, -2.0, 1.0
.LBB163_43:                             ;   in Loop: Header=BB163_41 Depth=1
	s_and_not1_saveexec_b32 s6, s6
	s_cbranch_execz .LBB163_45
; %bb.44:                               ;   in Loop: Header=BB163_41 Depth=1
	v_mul_f32_e32 v9, v8, v8
	s_delay_alu instid0(VALU_DEP_1) | instskip(NEXT) | instid1(VALU_DEP_1)
	v_fmaak_f32 v10, s4, v9, 0x3ca908c9
	v_fmaak_f32 v10, v9, v10, 0xbd5c1c4e
	s_delay_alu instid0(VALU_DEP_1) | instskip(NEXT) | instid1(VALU_DEP_1)
	v_fmaak_f32 v10, v9, v10, 0x3e088382
	v_fmaak_f32 v10, v9, v10, 0xbeaaaa99
	s_delay_alu instid0(VALU_DEP_1) | instskip(NEXT) | instid1(VALU_DEP_1)
	v_mul_f32_e64 v10, |v8|, v10
	v_fma_f32 v9, v9, v10, |v8|
.LBB163_45:                             ;   in Loop: Header=BB163_41 Depth=1
	s_or_b32 exec_lo, exec_lo, s6
	v_lshrrev_b32_e32 v6, 16, v6
                                        ; implicit-def: $vgpr10
	s_delay_alu instid0(VALU_DEP_1) | instskip(NEXT) | instid1(VALU_DEP_1)
	v_cvt_f32_f16_e32 v6, v6
	v_cmp_ngt_f32_e64 s6, 0x3f200000, |v6|
	s_and_saveexec_b32 s7, s6
	s_delay_alu instid0(SALU_CYCLE_1)
	s_xor_b32 s6, exec_lo, s7
	s_cbranch_execz .LBB163_47
; %bb.46:                               ;   in Loop: Header=BB163_41 Depth=1
	v_add_f32_e64 v10, |v6|, |v6|
	s_delay_alu instid0(VALU_DEP_1) | instskip(SKIP_1) | instid1(VALU_DEP_2)
	v_mul_f32_e32 v11, 0x3fb8aa3b, v10
	v_cmp_ngt_f32_e32 vcc_lo, 0xc2ce8ed0, v10
	v_rndne_f32_e32 v12, v11
	v_fma_f32 v13, 0x3fb8aa3b, v10, -v11
	s_delay_alu instid0(VALU_DEP_2) | instskip(NEXT) | instid1(VALU_DEP_2)
	v_sub_f32_e32 v11, v11, v12
	v_fmac_f32_e32 v13, 0x32a5705f, v10
	v_cvt_i32_f32_e32 v12, v12
	s_delay_alu instid0(VALU_DEP_2) | instskip(NEXT) | instid1(VALU_DEP_1)
	v_add_f32_e32 v11, v11, v13
	v_exp_f32_e32 v11, v11
	v_nop
	s_delay_alu instid0(TRANS32_DEP_1) | instskip(NEXT) | instid1(VALU_DEP_1)
	v_ldexp_f32 v11, v11, v12
	v_cndmask_b32_e32 v11, 0, v11, vcc_lo
	v_cmp_nlt_f32_e32 vcc_lo, 0x42b17218, v10
	s_delay_alu instid0(VALU_DEP_2) | instskip(NEXT) | instid1(VALU_DEP_1)
	v_cndmask_b32_e32 v10, 0x7f800000, v11, vcc_lo
	v_add_f32_e32 v10, 1.0, v10
	s_delay_alu instid0(VALU_DEP_1) | instskip(SKIP_1) | instid1(TRANS32_DEP_1)
	v_rcp_f32_e32 v10, v10
	v_nop
	v_fma_f32 v10, v10, -2.0, 1.0
.LBB163_47:                             ;   in Loop: Header=BB163_41 Depth=1
	s_and_not1_saveexec_b32 s6, s6
	s_cbranch_execz .LBB163_49
; %bb.48:                               ;   in Loop: Header=BB163_41 Depth=1
	v_mul_f32_e32 v10, v6, v6
	s_delay_alu instid0(VALU_DEP_1) | instskip(NEXT) | instid1(VALU_DEP_1)
	v_fmaak_f32 v11, s4, v10, 0x3ca908c9
	v_fmaak_f32 v11, v10, v11, 0xbd5c1c4e
	s_delay_alu instid0(VALU_DEP_1) | instskip(NEXT) | instid1(VALU_DEP_1)
	v_fmaak_f32 v11, v10, v11, 0x3e088382
	v_fmaak_f32 v11, v10, v11, 0xbeaaaa99
	s_delay_alu instid0(VALU_DEP_1) | instskip(NEXT) | instid1(VALU_DEP_1)
	v_mul_f32_e64 v11, |v6|, v11
	v_fma_f32 v10, v10, v11, |v6|
.LBB163_49:                             ;   in Loop: Header=BB163_41 Depth=1
	s_or_b32 exec_lo, exec_lo, s6
	v_cvt_f32_f16_e32 v11, v7
                                        ; implicit-def: $vgpr12
	s_delay_alu instid0(VALU_DEP_1) | instskip(SKIP_1) | instid1(SALU_CYCLE_1)
	v_cmp_ngt_f32_e64 s6, 0x3f200000, |v11|
	s_and_saveexec_b32 s7, s6
	s_xor_b32 s6, exec_lo, s7
	s_cbranch_execz .LBB163_51
; %bb.50:                               ;   in Loop: Header=BB163_41 Depth=1
	v_add_f32_e64 v12, |v11|, |v11|
	s_delay_alu instid0(VALU_DEP_1) | instskip(SKIP_1) | instid1(VALU_DEP_2)
	v_mul_f32_e32 v13, 0x3fb8aa3b, v12
	v_cmp_ngt_f32_e32 vcc_lo, 0xc2ce8ed0, v12
	v_rndne_f32_e32 v14, v13
	v_fma_f32 v15, 0x3fb8aa3b, v12, -v13
	s_delay_alu instid0(VALU_DEP_2) | instskip(NEXT) | instid1(VALU_DEP_2)
	v_sub_f32_e32 v13, v13, v14
	v_fmac_f32_e32 v15, 0x32a5705f, v12
	v_cvt_i32_f32_e32 v14, v14
	s_delay_alu instid0(VALU_DEP_2) | instskip(NEXT) | instid1(VALU_DEP_1)
	v_add_f32_e32 v13, v13, v15
	v_exp_f32_e32 v13, v13
	v_nop
	s_delay_alu instid0(TRANS32_DEP_1) | instskip(NEXT) | instid1(VALU_DEP_1)
	v_ldexp_f32 v13, v13, v14
	v_cndmask_b32_e32 v13, 0, v13, vcc_lo
	v_cmp_nlt_f32_e32 vcc_lo, 0x42b17218, v12
	s_delay_alu instid0(VALU_DEP_2) | instskip(NEXT) | instid1(VALU_DEP_1)
	v_cndmask_b32_e32 v12, 0x7f800000, v13, vcc_lo
	v_add_f32_e32 v12, 1.0, v12
	s_delay_alu instid0(VALU_DEP_1) | instskip(SKIP_1) | instid1(TRANS32_DEP_1)
	v_rcp_f32_e32 v12, v12
	v_nop
	v_fma_f32 v12, v12, -2.0, 1.0
.LBB163_51:                             ;   in Loop: Header=BB163_41 Depth=1
	s_and_not1_saveexec_b32 s6, s6
	s_cbranch_execz .LBB163_53
; %bb.52:                               ;   in Loop: Header=BB163_41 Depth=1
	v_mul_f32_e32 v12, v11, v11
	s_delay_alu instid0(VALU_DEP_1) | instskip(NEXT) | instid1(VALU_DEP_1)
	v_fmaak_f32 v13, s4, v12, 0x3ca908c9
	v_fmaak_f32 v13, v12, v13, 0xbd5c1c4e
	s_delay_alu instid0(VALU_DEP_1) | instskip(NEXT) | instid1(VALU_DEP_1)
	v_fmaak_f32 v13, v12, v13, 0x3e088382
	v_fmaak_f32 v13, v12, v13, 0xbeaaaa99
	s_delay_alu instid0(VALU_DEP_1) | instskip(NEXT) | instid1(VALU_DEP_1)
	v_mul_f32_e64 v13, |v11|, v13
	v_fma_f32 v12, v12, v13, |v11|
.LBB163_53:                             ;   in Loop: Header=BB163_41 Depth=1
	s_or_b32 exec_lo, exec_lo, s6
	v_lshrrev_b32_e32 v7, 16, v7
                                        ; implicit-def: $vgpr13
	s_delay_alu instid0(VALU_DEP_1) | instskip(NEXT) | instid1(VALU_DEP_1)
	v_cvt_f32_f16_e32 v7, v7
	v_cmp_ngt_f32_e64 s6, 0x3f200000, |v7|
	s_and_saveexec_b32 s7, s6
	s_delay_alu instid0(SALU_CYCLE_1)
	s_xor_b32 s6, exec_lo, s7
	s_cbranch_execz .LBB163_55
; %bb.54:                               ;   in Loop: Header=BB163_41 Depth=1
	v_add_f32_e64 v13, |v7|, |v7|
	s_delay_alu instid0(VALU_DEP_1) | instskip(SKIP_1) | instid1(VALU_DEP_2)
	v_mul_f32_e32 v14, 0x3fb8aa3b, v13
	v_cmp_ngt_f32_e32 vcc_lo, 0xc2ce8ed0, v13
	v_rndne_f32_e32 v15, v14
	v_fma_f32 v16, 0x3fb8aa3b, v13, -v14
	s_delay_alu instid0(VALU_DEP_2) | instskip(NEXT) | instid1(VALU_DEP_2)
	v_sub_f32_e32 v14, v14, v15
	v_fmac_f32_e32 v16, 0x32a5705f, v13
	v_cvt_i32_f32_e32 v15, v15
	s_delay_alu instid0(VALU_DEP_2) | instskip(NEXT) | instid1(VALU_DEP_1)
	v_add_f32_e32 v14, v14, v16
	v_exp_f32_e32 v14, v14
	v_nop
	s_delay_alu instid0(TRANS32_DEP_1) | instskip(NEXT) | instid1(VALU_DEP_1)
	v_ldexp_f32 v14, v14, v15
	v_cndmask_b32_e32 v14, 0, v14, vcc_lo
	v_cmp_nlt_f32_e32 vcc_lo, 0x42b17218, v13
	s_delay_alu instid0(VALU_DEP_2) | instskip(NEXT) | instid1(VALU_DEP_1)
	v_cndmask_b32_e32 v13, 0x7f800000, v14, vcc_lo
	v_add_f32_e32 v13, 1.0, v13
	s_delay_alu instid0(VALU_DEP_1) | instskip(SKIP_1) | instid1(TRANS32_DEP_1)
	v_rcp_f32_e32 v13, v13
	v_nop
	v_fma_f32 v13, v13, -2.0, 1.0
.LBB163_55:                             ;   in Loop: Header=BB163_41 Depth=1
	s_and_not1_saveexec_b32 s6, s6
	s_cbranch_execz .LBB163_40
; %bb.56:                               ;   in Loop: Header=BB163_41 Depth=1
	v_mul_f32_e32 v13, v7, v7
	s_delay_alu instid0(VALU_DEP_1) | instskip(NEXT) | instid1(VALU_DEP_1)
	v_fmaak_f32 v14, s4, v13, 0x3ca908c9
	v_fmaak_f32 v14, v13, v14, 0xbd5c1c4e
	s_delay_alu instid0(VALU_DEP_1) | instskip(NEXT) | instid1(VALU_DEP_1)
	v_fmaak_f32 v14, v13, v14, 0x3e088382
	v_fmaak_f32 v14, v13, v14, 0xbeaaaa99
	s_delay_alu instid0(VALU_DEP_1) | instskip(NEXT) | instid1(VALU_DEP_1)
	v_mul_f32_e64 v14, |v7|, v14
	v_fma_f32 v13, v13, v14, |v7|
	s_branch .LBB163_40
.LBB163_57:
	s_endpgm
	.section	.rodata,"a",@progbits
	.p2align	6, 0x0
	.amdhsa_kernel _ZN2at6native12_GLOBAL__N_125multi_tensor_apply_kernelINS1_18TensorListMetadataILi1EEENS1_14UnaryOpFunctorIN3c104HalfELi1ELi1ELi0EEEJNS0_4TanhIfEEEEEvT_T0_DpT1_
		.amdhsa_group_segment_fixed_size 0
		.amdhsa_private_segment_fixed_size 0
		.amdhsa_kernarg_size 3632
		.amdhsa_user_sgpr_count 2
		.amdhsa_user_sgpr_dispatch_ptr 0
		.amdhsa_user_sgpr_queue_ptr 0
		.amdhsa_user_sgpr_kernarg_segment_ptr 1
		.amdhsa_user_sgpr_dispatch_id 0
		.amdhsa_user_sgpr_kernarg_preload_length 0
		.amdhsa_user_sgpr_kernarg_preload_offset 0
		.amdhsa_user_sgpr_private_segment_size 0
		.amdhsa_wavefront_size32 1
		.amdhsa_uses_dynamic_stack 0
		.amdhsa_enable_private_segment 0
		.amdhsa_system_sgpr_workgroup_id_x 1
		.amdhsa_system_sgpr_workgroup_id_y 0
		.amdhsa_system_sgpr_workgroup_id_z 0
		.amdhsa_system_sgpr_workgroup_info 0
		.amdhsa_system_vgpr_workitem_id 0
		.amdhsa_next_free_vgpr 31
		.amdhsa_next_free_sgpr 22
		.amdhsa_named_barrier_count 0
		.amdhsa_reserve_vcc 1
		.amdhsa_float_round_mode_32 0
		.amdhsa_float_round_mode_16_64 0
		.amdhsa_float_denorm_mode_32 3
		.amdhsa_float_denorm_mode_16_64 3
		.amdhsa_fp16_overflow 0
		.amdhsa_memory_ordered 1
		.amdhsa_forward_progress 1
		.amdhsa_inst_pref_size 26
		.amdhsa_round_robin_scheduling 0
		.amdhsa_exception_fp_ieee_invalid_op 0
		.amdhsa_exception_fp_denorm_src 0
		.amdhsa_exception_fp_ieee_div_zero 0
		.amdhsa_exception_fp_ieee_overflow 0
		.amdhsa_exception_fp_ieee_underflow 0
		.amdhsa_exception_fp_ieee_inexact 0
		.amdhsa_exception_int_div_zero 0
	.end_amdhsa_kernel
	.section	.text._ZN2at6native12_GLOBAL__N_125multi_tensor_apply_kernelINS1_18TensorListMetadataILi1EEENS1_14UnaryOpFunctorIN3c104HalfELi1ELi1ELi0EEEJNS0_4TanhIfEEEEEvT_T0_DpT1_,"axG",@progbits,_ZN2at6native12_GLOBAL__N_125multi_tensor_apply_kernelINS1_18TensorListMetadataILi1EEENS1_14UnaryOpFunctorIN3c104HalfELi1ELi1ELi0EEEJNS0_4TanhIfEEEEEvT_T0_DpT1_,comdat
.Lfunc_end163:
	.size	_ZN2at6native12_GLOBAL__N_125multi_tensor_apply_kernelINS1_18TensorListMetadataILi1EEENS1_14UnaryOpFunctorIN3c104HalfELi1ELi1ELi0EEEJNS0_4TanhIfEEEEEvT_T0_DpT1_, .Lfunc_end163-_ZN2at6native12_GLOBAL__N_125multi_tensor_apply_kernelINS1_18TensorListMetadataILi1EEENS1_14UnaryOpFunctorIN3c104HalfELi1ELi1ELi0EEEJNS0_4TanhIfEEEEEvT_T0_DpT1_
                                        ; -- End function
	.set _ZN2at6native12_GLOBAL__N_125multi_tensor_apply_kernelINS1_18TensorListMetadataILi1EEENS1_14UnaryOpFunctorIN3c104HalfELi1ELi1ELi0EEEJNS0_4TanhIfEEEEEvT_T0_DpT1_.num_vgpr, 31
	.set _ZN2at6native12_GLOBAL__N_125multi_tensor_apply_kernelINS1_18TensorListMetadataILi1EEENS1_14UnaryOpFunctorIN3c104HalfELi1ELi1ELi0EEEJNS0_4TanhIfEEEEEvT_T0_DpT1_.num_agpr, 0
	.set _ZN2at6native12_GLOBAL__N_125multi_tensor_apply_kernelINS1_18TensorListMetadataILi1EEENS1_14UnaryOpFunctorIN3c104HalfELi1ELi1ELi0EEEJNS0_4TanhIfEEEEEvT_T0_DpT1_.numbered_sgpr, 22
	.set _ZN2at6native12_GLOBAL__N_125multi_tensor_apply_kernelINS1_18TensorListMetadataILi1EEENS1_14UnaryOpFunctorIN3c104HalfELi1ELi1ELi0EEEJNS0_4TanhIfEEEEEvT_T0_DpT1_.num_named_barrier, 0
	.set _ZN2at6native12_GLOBAL__N_125multi_tensor_apply_kernelINS1_18TensorListMetadataILi1EEENS1_14UnaryOpFunctorIN3c104HalfELi1ELi1ELi0EEEJNS0_4TanhIfEEEEEvT_T0_DpT1_.private_seg_size, 0
	.set _ZN2at6native12_GLOBAL__N_125multi_tensor_apply_kernelINS1_18TensorListMetadataILi1EEENS1_14UnaryOpFunctorIN3c104HalfELi1ELi1ELi0EEEJNS0_4TanhIfEEEEEvT_T0_DpT1_.uses_vcc, 1
	.set _ZN2at6native12_GLOBAL__N_125multi_tensor_apply_kernelINS1_18TensorListMetadataILi1EEENS1_14UnaryOpFunctorIN3c104HalfELi1ELi1ELi0EEEJNS0_4TanhIfEEEEEvT_T0_DpT1_.uses_flat_scratch, 0
	.set _ZN2at6native12_GLOBAL__N_125multi_tensor_apply_kernelINS1_18TensorListMetadataILi1EEENS1_14UnaryOpFunctorIN3c104HalfELi1ELi1ELi0EEEJNS0_4TanhIfEEEEEvT_T0_DpT1_.has_dyn_sized_stack, 0
	.set _ZN2at6native12_GLOBAL__N_125multi_tensor_apply_kernelINS1_18TensorListMetadataILi1EEENS1_14UnaryOpFunctorIN3c104HalfELi1ELi1ELi0EEEJNS0_4TanhIfEEEEEvT_T0_DpT1_.has_recursion, 0
	.set _ZN2at6native12_GLOBAL__N_125multi_tensor_apply_kernelINS1_18TensorListMetadataILi1EEENS1_14UnaryOpFunctorIN3c104HalfELi1ELi1ELi0EEEJNS0_4TanhIfEEEEEvT_T0_DpT1_.has_indirect_call, 0
	.section	.AMDGPU.csdata,"",@progbits
; Kernel info:
; codeLenInByte = 3212
; TotalNumSgprs: 24
; NumVgprs: 31
; ScratchSize: 0
; MemoryBound: 0
; FloatMode: 240
; IeeeMode: 1
; LDSByteSize: 0 bytes/workgroup (compile time only)
; SGPRBlocks: 0
; VGPRBlocks: 1
; NumSGPRsForWavesPerEU: 24
; NumVGPRsForWavesPerEU: 31
; NamedBarCnt: 0
; Occupancy: 16
; WaveLimiterHint : 0
; COMPUTE_PGM_RSRC2:SCRATCH_EN: 0
; COMPUTE_PGM_RSRC2:USER_SGPR: 2
; COMPUTE_PGM_RSRC2:TRAP_HANDLER: 0
; COMPUTE_PGM_RSRC2:TGID_X_EN: 1
; COMPUTE_PGM_RSRC2:TGID_Y_EN: 0
; COMPUTE_PGM_RSRC2:TGID_Z_EN: 0
; COMPUTE_PGM_RSRC2:TIDIG_COMP_CNT: 0
	.section	.text._ZN2at6native12_GLOBAL__N_125multi_tensor_apply_kernelINS1_18TensorListMetadataILi1EEENS1_14UnaryOpFunctorIN3c108BFloat16ELi1ELi1ELi0EEEJNS0_4TanhIfEEEEEvT_T0_DpT1_,"axG",@progbits,_ZN2at6native12_GLOBAL__N_125multi_tensor_apply_kernelINS1_18TensorListMetadataILi1EEENS1_14UnaryOpFunctorIN3c108BFloat16ELi1ELi1ELi0EEEJNS0_4TanhIfEEEEEvT_T0_DpT1_,comdat
	.globl	_ZN2at6native12_GLOBAL__N_125multi_tensor_apply_kernelINS1_18TensorListMetadataILi1EEENS1_14UnaryOpFunctorIN3c108BFloat16ELi1ELi1ELi0EEEJNS0_4TanhIfEEEEEvT_T0_DpT1_ ; -- Begin function _ZN2at6native12_GLOBAL__N_125multi_tensor_apply_kernelINS1_18TensorListMetadataILi1EEENS1_14UnaryOpFunctorIN3c108BFloat16ELi1ELi1ELi0EEEJNS0_4TanhIfEEEEEvT_T0_DpT1_
	.p2align	8
	.type	_ZN2at6native12_GLOBAL__N_125multi_tensor_apply_kernelINS1_18TensorListMetadataILi1EEENS1_14UnaryOpFunctorIN3c108BFloat16ELi1ELi1ELi0EEEJNS0_4TanhIfEEEEEvT_T0_DpT1_,@function
_ZN2at6native12_GLOBAL__N_125multi_tensor_apply_kernelINS1_18TensorListMetadataILi1EEENS1_14UnaryOpFunctorIN3c108BFloat16ELi1ELi1ELi0EEEJNS0_4TanhIfEEEEEvT_T0_DpT1_: ; @_ZN2at6native12_GLOBAL__N_125multi_tensor_apply_kernelINS1_18TensorListMetadataILi1EEENS1_14UnaryOpFunctorIN3c108BFloat16ELi1ELi1ELi0EEEJNS0_4TanhIfEEEEEvT_T0_DpT1_
; %bb.0:
	s_bfe_u32 s2, ttmp6, 0x4000c
	s_and_b32 s3, ttmp6, 15
	s_add_co_i32 s2, s2, 1
	s_getreg_b32 s4, hwreg(HW_REG_IB_STS2, 6, 4)
	s_mul_i32 s2, ttmp9, s2
	s_delay_alu instid0(SALU_CYCLE_1)
	s_add_co_i32 s3, s3, s2
	s_cmp_eq_u32 s4, 0
	s_cselect_b32 s2, ttmp9, s3
	s_mov_b32 s3, 0
	s_load_u8 s8, s[0:1], s2 offset:0x6e0
	s_add_nc_u64 s[4:5], s[0:1], s[2:3]
	s_mul_u64 s[6:7], s[2:3], 3
	s_delay_alu instid0(SALU_CYCLE_1)
	s_add_nc_u64 s[4:5], s[4:5], s[6:7]
	s_load_b32 s10, s[4:5], 0x820
	s_wait_kmcnt 0x0
	s_clause 0x1
	s_load_b64 s[6:7], s[0:1], s8 offset:0x0 scale_offset
	s_load_b64 s[12:13], s[0:1], s8 offset:0x370 scale_offset
	s_ashr_i32 s11, s10, 31
	s_wait_kmcnt 0x0
	s_and_b64 s[4:5], s[6:7], 7
	s_and_b32 s2, s12, 3
	s_lshl_b64 s[8:9], s[10:11], 17
	s_or_b64 s[2:3], s[4:5], s[2:3]
	s_lshl_b64 s[4:5], s[10:11], 16
	s_cmp_eq_u64 s[2:3], 0
	s_sub_nc_u64 s[10:11], s[12:13], s[4:5]
	s_cbranch_scc1 .LBB164_37
; %bb.1:
	v_cmp_lt_i64_e64 s2, s[10:11], 1
	s_and_b32 vcc_lo, exec_lo, s2
	s_cbranch_vccnz .LBB164_36
; %bb.2:
	s_load_b32 s2, s[0:1], 0xd3c
	v_min_i64 v[2:3], 0x10000, s[10:11]
	v_min_u64 v[4:5], 0x10000, s[10:11]
	v_dual_mov_b32 v1, 0 :: v_dual_lshlrev_b32 v8, 1, v0
	s_mov_b32 s3, 0
	s_add_nc_u64 s[4:5], s[6:7], s[8:9]
	s_mov_b32 s15, s3
	s_delay_alu instid0(VALU_DEP_1)
	v_mov_b32_e32 v15, v1
	s_mov_b32 s17, s3
	s_mov_b32 s13, s3
	s_mov_b64 s[18:19], 0
	s_mov_b32 s20, 0xbbbac73d
	s_wait_kmcnt 0x0
	s_and_b32 s2, s2, 0xffff
	s_delay_alu instid0(SALU_CYCLE_1)
	v_add_nc_u64_e32 v[6:7], s[2:3], v[0:1]
	v_mov_b32_e32 v9, v1
	s_lshl_b32 s14, s2, 1
	s_mul_i32 s16, s2, 3
	v_add_nc_u64_e32 v[12:13], s[14:15], v[0:1]
	v_add_nc_u64_e32 v[10:11], s[16:17], v[0:1]
	s_lshl_b32 s12, s2, 2
	v_lshlrev_b32_e32 v14, 1, v6
	v_add_nc_u64_e32 v[8:9], s[4:5], v[8:9]
	s_lshl_b32 s14, s2, 3
	s_mul_u64 s[16:17], s[2:3], 6
	s_delay_alu instid0(VALU_DEP_2)
	v_add_nc_u64_e32 v[14:15], s[4:5], v[14:15]
	s_branch .LBB164_4
.LBB164_3:                              ;   in Loop: Header=BB164_4 Depth=1
	s_wait_xcnt 0x0
	s_or_b32 exec_lo, exec_lo, s2
	s_add_nc_u64 s[18:19], s[18:19], s[12:13]
	v_add_nc_u64_e32 v[8:9], s[14:15], v[8:9]
	v_cmp_ge_i64_e32 vcc_lo, s[18:19], v[2:3]
	v_add_nc_u64_e32 v[14:15], s[14:15], v[14:15]
	s_cbranch_vccnz .LBB164_36
.LBB164_4:                              ; =>This Inner Loop Header: Depth=1
	v_add_nc_u64_e32 v[16:17], s[18:19], v[0:1]
	v_mov_b32_e32 v21, 0
	s_delay_alu instid0(VALU_DEP_2)
	v_cmp_lt_u64_e64 s2, v[16:17], v[4:5]
	s_and_saveexec_b32 s3, s2
	s_cbranch_execz .LBB164_6
; %bb.5:                                ;   in Loop: Header=BB164_4 Depth=1
	global_load_u16 v16, v[8:9], off
	s_wait_loadcnt 0x0
	v_lshlrev_b32_e32 v21, 16, v16
.LBB164_6:                              ;   in Loop: Header=BB164_4 Depth=1
	s_wait_xcnt 0x0
	s_or_b32 exec_lo, exec_lo, s3
	v_add_nc_u64_e32 v[16:17], s[18:19], v[6:7]
	v_dual_mov_b32 v20, 0 :: v_dual_mov_b32 v22, 0
	s_delay_alu instid0(VALU_DEP_2)
	v_cmp_lt_u64_e32 vcc_lo, v[16:17], v[4:5]
	s_and_saveexec_b32 s3, vcc_lo
	s_cbranch_execz .LBB164_8
; %bb.7:                                ;   in Loop: Header=BB164_4 Depth=1
	global_load_u16 v16, v[14:15], off
	s_wait_loadcnt 0x0
	v_lshlrev_b32_e32 v22, 16, v16
.LBB164_8:                              ;   in Loop: Header=BB164_4 Depth=1
	s_wait_xcnt 0x0
	s_or_b32 exec_lo, exec_lo, s3
	v_add_nc_u64_e32 v[16:17], s[18:19], v[12:13]
	s_delay_alu instid0(VALU_DEP_1)
	v_cmp_lt_u64_e64 s3, v[16:17], v[4:5]
	v_add_nc_u64_e32 v[16:17], s[12:13], v[8:9]
	s_and_saveexec_b32 s4, s3
	s_cbranch_execz .LBB164_10
; %bb.9:                                ;   in Loop: Header=BB164_4 Depth=1
	global_load_u16 v18, v[16:17], off
	s_wait_loadcnt 0x0
	v_lshlrev_b32_e32 v20, 16, v18
.LBB164_10:                             ;   in Loop: Header=BB164_4 Depth=1
	s_wait_xcnt 0x0
	s_or_b32 exec_lo, exec_lo, s4
	v_add_nc_u64_e32 v[18:19], s[18:19], v[10:11]
	v_mov_b32_e32 v23, 0
	s_delay_alu instid0(VALU_DEP_2)
	v_cmp_lt_u64_e64 s4, v[18:19], v[4:5]
	v_add_nc_u64_e32 v[18:19], s[16:17], v[8:9]
	s_and_saveexec_b32 s5, s4
	s_cbranch_execz .LBB164_12
; %bb.11:                               ;   in Loop: Header=BB164_4 Depth=1
	global_load_u16 v23, v[18:19], off
	s_wait_loadcnt 0x0
	v_lshlrev_b32_e32 v23, 16, v23
.LBB164_12:                             ;   in Loop: Header=BB164_4 Depth=1
	s_wait_xcnt 0x0
	s_or_b32 exec_lo, exec_lo, s5
	s_delay_alu instid0(SALU_CYCLE_1)
	s_mov_b32 s21, exec_lo
                                        ; implicit-def: $vgpr24
	v_cmpx_ngt_f32_e64 0x3f200000, |v21|
	s_xor_b32 s21, exec_lo, s21
	s_cbranch_execz .LBB164_14
; %bb.13:                               ;   in Loop: Header=BB164_4 Depth=1
	v_add_f32_e64 v24, |v21|, |v21|
	s_delay_alu instid0(VALU_DEP_1) | instskip(SKIP_1) | instid1(VALU_DEP_2)
	v_mul_f32_e32 v25, 0x3fb8aa3b, v24
	v_cmp_ngt_f32_e64 s5, 0xc2ce8ed0, v24
	v_rndne_f32_e32 v26, v25
	v_fma_f32 v27, 0x3fb8aa3b, v24, -v25
	s_delay_alu instid0(VALU_DEP_2) | instskip(NEXT) | instid1(VALU_DEP_2)
	v_sub_f32_e32 v25, v25, v26
	v_fmac_f32_e32 v27, 0x32a5705f, v24
	v_cvt_i32_f32_e32 v26, v26
	s_delay_alu instid0(VALU_DEP_2) | instskip(NEXT) | instid1(VALU_DEP_1)
	v_add_f32_e32 v25, v25, v27
	v_exp_f32_e32 v25, v25
	v_nop
	s_delay_alu instid0(TRANS32_DEP_1) | instskip(NEXT) | instid1(VALU_DEP_1)
	v_ldexp_f32 v25, v25, v26
	v_cndmask_b32_e64 v25, 0, v25, s5
	v_cmp_nlt_f32_e64 s5, 0x42b17218, v24
	s_delay_alu instid0(VALU_DEP_1) | instskip(NEXT) | instid1(VALU_DEP_1)
	v_cndmask_b32_e64 v24, 0x7f800000, v25, s5
	v_add_f32_e32 v24, 1.0, v24
	s_delay_alu instid0(VALU_DEP_1) | instskip(SKIP_1) | instid1(TRANS32_DEP_1)
	v_rcp_f32_e32 v24, v24
	v_nop
	v_fma_f32 v24, v24, -2.0, 1.0
.LBB164_14:                             ;   in Loop: Header=BB164_4 Depth=1
	s_and_not1_saveexec_b32 s5, s21
	s_cbranch_execz .LBB164_16
; %bb.15:                               ;   in Loop: Header=BB164_4 Depth=1
	v_mul_f32_e32 v24, v21, v21
	s_delay_alu instid0(VALU_DEP_1) | instskip(NEXT) | instid1(VALU_DEP_1)
	v_fmaak_f32 v25, s20, v24, 0x3ca908c9
	v_fmaak_f32 v25, v24, v25, 0xbd5c1c4e
	s_delay_alu instid0(VALU_DEP_1) | instskip(NEXT) | instid1(VALU_DEP_1)
	v_fmaak_f32 v25, v24, v25, 0x3e088382
	v_fmaak_f32 v25, v24, v25, 0xbeaaaa99
	s_delay_alu instid0(VALU_DEP_1) | instskip(NEXT) | instid1(VALU_DEP_1)
	v_mul_f32_e64 v25, |v21|, v25
	v_fma_f32 v24, v24, v25, |v21|
.LBB164_16:                             ;   in Loop: Header=BB164_4 Depth=1
	s_or_b32 exec_lo, exec_lo, s5
	s_delay_alu instid0(SALU_CYCLE_1)
	s_mov_b32 s21, exec_lo
                                        ; implicit-def: $vgpr25
	v_cmpx_ngt_f32_e64 0x3f200000, |v22|
	s_xor_b32 s21, exec_lo, s21
	s_cbranch_execz .LBB164_18
; %bb.17:                               ;   in Loop: Header=BB164_4 Depth=1
	v_add_f32_e64 v25, |v22|, |v22|
	s_delay_alu instid0(VALU_DEP_1) | instskip(SKIP_1) | instid1(VALU_DEP_2)
	v_mul_f32_e32 v26, 0x3fb8aa3b, v25
	v_cmp_ngt_f32_e64 s5, 0xc2ce8ed0, v25
	v_rndne_f32_e32 v27, v26
	v_fma_f32 v28, 0x3fb8aa3b, v25, -v26
	s_delay_alu instid0(VALU_DEP_2) | instskip(NEXT) | instid1(VALU_DEP_2)
	v_sub_f32_e32 v26, v26, v27
	v_fmac_f32_e32 v28, 0x32a5705f, v25
	v_cvt_i32_f32_e32 v27, v27
	s_delay_alu instid0(VALU_DEP_2) | instskip(NEXT) | instid1(VALU_DEP_1)
	v_add_f32_e32 v26, v26, v28
	v_exp_f32_e32 v26, v26
	v_nop
	s_delay_alu instid0(TRANS32_DEP_1) | instskip(NEXT) | instid1(VALU_DEP_1)
	v_ldexp_f32 v26, v26, v27
	v_cndmask_b32_e64 v26, 0, v26, s5
	v_cmp_nlt_f32_e64 s5, 0x42b17218, v25
	s_delay_alu instid0(VALU_DEP_1) | instskip(NEXT) | instid1(VALU_DEP_1)
	v_cndmask_b32_e64 v25, 0x7f800000, v26, s5
	v_add_f32_e32 v25, 1.0, v25
	s_delay_alu instid0(VALU_DEP_1) | instskip(SKIP_1) | instid1(TRANS32_DEP_1)
	v_rcp_f32_e32 v25, v25
	v_nop
	v_fma_f32 v25, v25, -2.0, 1.0
.LBB164_18:                             ;   in Loop: Header=BB164_4 Depth=1
	s_and_not1_saveexec_b32 s5, s21
	s_cbranch_execz .LBB164_20
; %bb.19:                               ;   in Loop: Header=BB164_4 Depth=1
	v_mul_f32_e32 v25, v22, v22
	s_delay_alu instid0(VALU_DEP_1) | instskip(NEXT) | instid1(VALU_DEP_1)
	v_fmaak_f32 v26, s20, v25, 0x3ca908c9
	v_fmaak_f32 v26, v25, v26, 0xbd5c1c4e
	s_delay_alu instid0(VALU_DEP_1) | instskip(NEXT) | instid1(VALU_DEP_1)
	v_fmaak_f32 v26, v25, v26, 0x3e088382
	v_fmaak_f32 v26, v25, v26, 0xbeaaaa99
	s_delay_alu instid0(VALU_DEP_1) | instskip(NEXT) | instid1(VALU_DEP_1)
	v_mul_f32_e64 v26, |v22|, v26
	v_fma_f32 v25, v25, v26, |v22|
.LBB164_20:                             ;   in Loop: Header=BB164_4 Depth=1
	s_or_b32 exec_lo, exec_lo, s5
	s_delay_alu instid0(SALU_CYCLE_1)
	s_mov_b32 s21, exec_lo
                                        ; implicit-def: $vgpr26
	v_cmpx_ngt_f32_e64 0x3f200000, |v20|
	s_xor_b32 s21, exec_lo, s21
	s_cbranch_execz .LBB164_22
; %bb.21:                               ;   in Loop: Header=BB164_4 Depth=1
	v_add_f32_e64 v26, |v20|, |v20|
	s_delay_alu instid0(VALU_DEP_1) | instskip(SKIP_1) | instid1(VALU_DEP_2)
	v_mul_f32_e32 v27, 0x3fb8aa3b, v26
	v_cmp_ngt_f32_e64 s5, 0xc2ce8ed0, v26
	v_rndne_f32_e32 v28, v27
	v_fma_f32 v29, 0x3fb8aa3b, v26, -v27
	s_delay_alu instid0(VALU_DEP_2) | instskip(NEXT) | instid1(VALU_DEP_2)
	v_sub_f32_e32 v27, v27, v28
	v_fmac_f32_e32 v29, 0x32a5705f, v26
	v_cvt_i32_f32_e32 v28, v28
	s_delay_alu instid0(VALU_DEP_2) | instskip(NEXT) | instid1(VALU_DEP_1)
	v_add_f32_e32 v27, v27, v29
	v_exp_f32_e32 v27, v27
	v_nop
	s_delay_alu instid0(TRANS32_DEP_1) | instskip(NEXT) | instid1(VALU_DEP_1)
	v_ldexp_f32 v27, v27, v28
	v_cndmask_b32_e64 v27, 0, v27, s5
	v_cmp_nlt_f32_e64 s5, 0x42b17218, v26
	s_delay_alu instid0(VALU_DEP_1) | instskip(NEXT) | instid1(VALU_DEP_1)
	v_cndmask_b32_e64 v26, 0x7f800000, v27, s5
	v_add_f32_e32 v26, 1.0, v26
	s_delay_alu instid0(VALU_DEP_1) | instskip(SKIP_1) | instid1(TRANS32_DEP_1)
	v_rcp_f32_e32 v26, v26
	v_nop
	v_fma_f32 v26, v26, -2.0, 1.0
.LBB164_22:                             ;   in Loop: Header=BB164_4 Depth=1
	s_and_not1_saveexec_b32 s5, s21
	s_cbranch_execz .LBB164_24
; %bb.23:                               ;   in Loop: Header=BB164_4 Depth=1
	v_mul_f32_e32 v26, v20, v20
	s_delay_alu instid0(VALU_DEP_1) | instskip(NEXT) | instid1(VALU_DEP_1)
	v_fmaak_f32 v27, s20, v26, 0x3ca908c9
	v_fmaak_f32 v27, v26, v27, 0xbd5c1c4e
	s_delay_alu instid0(VALU_DEP_1) | instskip(NEXT) | instid1(VALU_DEP_1)
	v_fmaak_f32 v27, v26, v27, 0x3e088382
	v_fmaak_f32 v27, v26, v27, 0xbeaaaa99
	s_delay_alu instid0(VALU_DEP_1) | instskip(NEXT) | instid1(VALU_DEP_1)
	v_mul_f32_e64 v27, |v20|, v27
	v_fma_f32 v26, v26, v27, |v20|
.LBB164_24:                             ;   in Loop: Header=BB164_4 Depth=1
	s_or_b32 exec_lo, exec_lo, s5
	s_delay_alu instid0(SALU_CYCLE_1)
	s_mov_b32 s21, exec_lo
                                        ; implicit-def: $vgpr27
	v_cmpx_ngt_f32_e64 0x3f200000, |v23|
	s_xor_b32 s21, exec_lo, s21
	s_cbranch_execnz .LBB164_30
; %bb.25:                               ;   in Loop: Header=BB164_4 Depth=1
	s_and_not1_saveexec_b32 s5, s21
	s_cbranch_execnz .LBB164_31
.LBB164_26:                             ;   in Loop: Header=BB164_4 Depth=1
	s_or_b32 exec_lo, exec_lo, s5
	s_and_saveexec_b32 s5, s2
	s_delay_alu instid0(SALU_CYCLE_1)
	s_xor_b32 s5, exec_lo, s5
	s_cbranch_execnz .LBB164_32
.LBB164_27:                             ;   in Loop: Header=BB164_4 Depth=1
	s_or_b32 exec_lo, exec_lo, s5
	s_and_saveexec_b32 s2, vcc_lo
	s_cbranch_execnz .LBB164_33
.LBB164_28:                             ;   in Loop: Header=BB164_4 Depth=1
	s_or_b32 exec_lo, exec_lo, s2
	s_and_saveexec_b32 s2, s3
	s_cbranch_execnz .LBB164_34
.LBB164_29:                             ;   in Loop: Header=BB164_4 Depth=1
	s_or_b32 exec_lo, exec_lo, s2
	s_and_saveexec_b32 s2, s4
	s_cbranch_execz .LBB164_3
	s_branch .LBB164_35
.LBB164_30:                             ;   in Loop: Header=BB164_4 Depth=1
	v_add_f32_e64 v27, |v23|, |v23|
	s_delay_alu instid0(VALU_DEP_1) | instskip(SKIP_1) | instid1(VALU_DEP_2)
	v_mul_f32_e32 v28, 0x3fb8aa3b, v27
	v_cmp_ngt_f32_e64 s5, 0xc2ce8ed0, v27
	v_rndne_f32_e32 v29, v28
	v_fma_f32 v30, 0x3fb8aa3b, v27, -v28
	s_delay_alu instid0(VALU_DEP_2) | instskip(NEXT) | instid1(VALU_DEP_2)
	v_sub_f32_e32 v28, v28, v29
	v_fmac_f32_e32 v30, 0x32a5705f, v27
	v_cvt_i32_f32_e32 v29, v29
	s_delay_alu instid0(VALU_DEP_2) | instskip(NEXT) | instid1(VALU_DEP_1)
	v_add_f32_e32 v28, v28, v30
	v_exp_f32_e32 v28, v28
	v_nop
	s_delay_alu instid0(TRANS32_DEP_1) | instskip(NEXT) | instid1(VALU_DEP_1)
	v_ldexp_f32 v28, v28, v29
	v_cndmask_b32_e64 v28, 0, v28, s5
	v_cmp_nlt_f32_e64 s5, 0x42b17218, v27
	s_delay_alu instid0(VALU_DEP_1) | instskip(NEXT) | instid1(VALU_DEP_1)
	v_cndmask_b32_e64 v27, 0x7f800000, v28, s5
	v_add_f32_e32 v27, 1.0, v27
	s_delay_alu instid0(VALU_DEP_1) | instskip(SKIP_1) | instid1(TRANS32_DEP_1)
	v_rcp_f32_e32 v27, v27
	v_nop
	v_fma_f32 v27, v27, -2.0, 1.0
	s_and_not1_saveexec_b32 s5, s21
	s_cbranch_execz .LBB164_26
.LBB164_31:                             ;   in Loop: Header=BB164_4 Depth=1
	v_mul_f32_e32 v27, v23, v23
	s_delay_alu instid0(VALU_DEP_1) | instskip(NEXT) | instid1(VALU_DEP_1)
	v_fmaak_f32 v28, s20, v27, 0x3ca908c9
	v_fmaak_f32 v28, v27, v28, 0xbd5c1c4e
	s_delay_alu instid0(VALU_DEP_1) | instskip(NEXT) | instid1(VALU_DEP_1)
	v_fmaak_f32 v28, v27, v28, 0x3e088382
	v_fmaak_f32 v28, v27, v28, 0xbeaaaa99
	s_delay_alu instid0(VALU_DEP_1) | instskip(NEXT) | instid1(VALU_DEP_1)
	v_mul_f32_e64 v28, |v23|, v28
	v_fma_f32 v27, v27, v28, |v23|
	s_or_b32 exec_lo, exec_lo, s5
	s_and_saveexec_b32 s5, s2
	s_delay_alu instid0(SALU_CYCLE_1)
	s_xor_b32 s5, exec_lo, s5
	s_cbranch_execz .LBB164_27
.LBB164_32:                             ;   in Loop: Header=BB164_4 Depth=1
	v_bfi_b32 v21, 0x7fffffff, v24, v21
	s_delay_alu instid0(VALU_DEP_1) | instskip(SKIP_1) | instid1(VALU_DEP_2)
	v_bfe_u32 v24, v21, 16, 1
	v_cmp_o_f32_e64 s2, v21, v21
	v_add3_u32 v24, v21, v24, 0x7fff
	s_delay_alu instid0(VALU_DEP_1) | instskip(NEXT) | instid1(VALU_DEP_1)
	v_lshrrev_b32_e32 v24, 16, v24
	v_cndmask_b32_e64 v21, 0x7fc0, v24, s2
	global_store_b16 v[8:9], v21, off
	s_wait_xcnt 0x0
	s_or_b32 exec_lo, exec_lo, s5
	s_and_saveexec_b32 s2, vcc_lo
	s_cbranch_execz .LBB164_28
.LBB164_33:                             ;   in Loop: Header=BB164_4 Depth=1
	v_bfi_b32 v21, 0x7fffffff, v25, v22
	s_delay_alu instid0(VALU_DEP_1) | instskip(SKIP_1) | instid1(VALU_DEP_2)
	v_bfe_u32 v22, v21, 16, 1
	v_cmp_o_f32_e32 vcc_lo, v21, v21
	v_add3_u32 v22, v21, v22, 0x7fff
	s_delay_alu instid0(VALU_DEP_1) | instskip(NEXT) | instid1(VALU_DEP_1)
	v_lshrrev_b32_e32 v22, 16, v22
	v_cndmask_b32_e32 v21, 0x7fc0, v22, vcc_lo
	global_store_b16 v[14:15], v21, off
	s_wait_xcnt 0x0
	s_or_b32 exec_lo, exec_lo, s2
	s_and_saveexec_b32 s2, s3
	s_cbranch_execz .LBB164_29
.LBB164_34:                             ;   in Loop: Header=BB164_4 Depth=1
	v_bfi_b32 v20, 0x7fffffff, v26, v20
	s_delay_alu instid0(VALU_DEP_1) | instskip(SKIP_1) | instid1(VALU_DEP_2)
	v_bfe_u32 v21, v20, 16, 1
	v_cmp_o_f32_e32 vcc_lo, v20, v20
	v_add3_u32 v21, v20, v21, 0x7fff
	s_delay_alu instid0(VALU_DEP_1) | instskip(NEXT) | instid1(VALU_DEP_1)
	v_lshrrev_b32_e32 v21, 16, v21
	v_cndmask_b32_e32 v20, 0x7fc0, v21, vcc_lo
	global_store_b16 v[16:17], v20, off
	s_wait_xcnt 0x0
	s_or_b32 exec_lo, exec_lo, s2
	s_and_saveexec_b32 s2, s4
	s_cbranch_execz .LBB164_3
.LBB164_35:                             ;   in Loop: Header=BB164_4 Depth=1
	v_bfi_b32 v16, 0x7fffffff, v27, v23
	s_delay_alu instid0(VALU_DEP_1) | instskip(SKIP_1) | instid1(VALU_DEP_2)
	v_bfe_u32 v17, v16, 16, 1
	v_cmp_o_f32_e32 vcc_lo, v16, v16
	v_add3_u32 v17, v16, v17, 0x7fff
	s_delay_alu instid0(VALU_DEP_1) | instskip(NEXT) | instid1(VALU_DEP_1)
	v_lshrrev_b32_e32 v17, 16, v17
	v_cndmask_b32_e32 v16, 0x7fc0, v17, vcc_lo
	global_store_b16 v[18:19], v16, off
	s_branch .LBB164_3
.LBB164_36:
	s_cbranch_execz .LBB164_38
	s_branch .LBB164_57
.LBB164_37:
.LBB164_38:
	v_min_i64 v[2:3], 0x10000, s[10:11]
	v_dual_mov_b32 v5, 0 :: v_dual_lshlrev_b32 v4, 2, v0
	s_mov_b32 s2, exec_lo
	s_delay_alu instid0(VALU_DEP_1)
	v_cmpx_lt_i64_e64 v[4:5], v[2:3]
	s_cbranch_execz .LBB164_57
; %bb.39:
	s_load_b32 s0, s[0:1], 0xd3c
	v_dual_mov_b32 v1, v5 :: v_dual_lshlrev_b32 v4, 3, v0
	s_add_nc_u64 s[2:3], s[6:7], s[8:9]
	s_wait_xcnt 0x0
	s_mov_b32 s1, 0
	s_mov_b32 s4, 0xbbbac73d
	v_add_nc_u64_e32 v[4:5], s[2:3], v[4:5]
	s_mov_b32 s3, s1
	s_mov_b32 s5, s1
	s_wait_kmcnt 0x0
	s_and_b32 s0, s0, 0xffff
	s_delay_alu instid0(SALU_CYCLE_1)
	s_lshl_b32 s2, s0, 3
	s_branch .LBB164_41
.LBB164_40:                             ;   in Loop: Header=BB164_41 Depth=1
	s_or_b32 exec_lo, exec_lo, s6
	v_bfi_b32 v10, 0x7fffffff, v11, v10
	v_bfi_b32 v6, 0x7fffffff, v12, v6
	;; [unrolled: 1-line block ×4, first 2 shown]
	v_add_nc_u64_e32 v[0:1], s[0:1], v[0:1]
	v_bfe_u32 v9, v10, 16, 1
	v_bfe_u32 v11, v6, 16, 1
	;; [unrolled: 1-line block ×4, first 2 shown]
	v_cmp_o_f32_e32 vcc_lo, v10, v10
	v_add3_u32 v9, v10, v9, 0x7fff
	v_add3_u32 v11, v6, v11, 0x7fff
	v_add3_u32 v12, v8, v12, 0x7fff
	v_add3_u32 v13, v7, v13, 0x7fff
	s_delay_alu instid0(VALU_DEP_4) | instskip(NEXT) | instid1(VALU_DEP_3)
	v_and_b32_e32 v9, 0xffff0000, v9
	v_dual_lshrrev_b32 v11, 16, v11 :: v_dual_lshrrev_b32 v12, 16, v12
	s_delay_alu instid0(VALU_DEP_3) | instskip(NEXT) | instid1(VALU_DEP_3)
	v_and_b32_e32 v13, 0xffff0000, v13
	v_cndmask_b32_e32 v9, 0x7fc00000, v9, vcc_lo
	v_cmp_o_f32_e32 vcc_lo, v8, v8
	s_delay_alu instid0(VALU_DEP_4) | instskip(SKIP_1) | instid1(VALU_DEP_2)
	v_cndmask_b32_e32 v8, 0x7fc0, v12, vcc_lo
	v_cmp_o_f32_e32 vcc_lo, v7, v7
	v_or_b32_e32 v8, v9, v8
	v_cndmask_b32_e32 v10, 0x7fc00000, v13, vcc_lo
	v_cmp_o_f32_e32 vcc_lo, v6, v6
	v_lshlrev_b64_e32 v[6:7], 2, v[0:1]
	s_delay_alu instid0(VALU_DEP_4) | instskip(SKIP_1) | instid1(VALU_DEP_3)
	v_or3_b32 v8, v8, 0, 0
	v_cndmask_b32_e32 v11, 0x7fc0, v11, vcc_lo
	v_cmp_ge_i64_e32 vcc_lo, v[6:7], v[2:3]
	s_delay_alu instid0(VALU_DEP_2)
	v_or3_b32 v9, 0, v11, v10
	s_or_b32 s5, vcc_lo, s5
	global_store_b64 v[4:5], v[8:9], off
	s_wait_xcnt 0x0
	v_add_nc_u64_e32 v[4:5], s[2:3], v[4:5]
	s_and_not1_b32 exec_lo, exec_lo, s5
	s_cbranch_execz .LBB164_57
.LBB164_41:                             ; =>This Inner Loop Header: Depth=1
	global_load_b64 v[6:7], v[4:5], off
                                        ; implicit-def: $vgpr9
	s_wait_loadcnt 0x0
	v_lshlrev_b32_e32 v8, 16, v6
	s_delay_alu instid0(VALU_DEP_1) | instskip(SKIP_2) | instid1(SALU_CYCLE_1)
	v_cmp_ngt_f32_e64 s6, 0x3f200000, |v8|
	s_wait_xcnt 0x0
	s_and_saveexec_b32 s7, s6
	s_xor_b32 s6, exec_lo, s7
	s_cbranch_execz .LBB164_43
; %bb.42:                               ;   in Loop: Header=BB164_41 Depth=1
	v_add_f32_e64 v9, |v8|, |v8|
	s_delay_alu instid0(VALU_DEP_1) | instskip(SKIP_1) | instid1(VALU_DEP_2)
	v_mul_f32_e32 v10, 0x3fb8aa3b, v9
	v_cmp_ngt_f32_e32 vcc_lo, 0xc2ce8ed0, v9
	v_rndne_f32_e32 v11, v10
	v_fma_f32 v12, 0x3fb8aa3b, v9, -v10
	s_delay_alu instid0(VALU_DEP_2) | instskip(NEXT) | instid1(VALU_DEP_2)
	v_sub_f32_e32 v10, v10, v11
	v_fmac_f32_e32 v12, 0x32a5705f, v9
	v_cvt_i32_f32_e32 v11, v11
	s_delay_alu instid0(VALU_DEP_2) | instskip(NEXT) | instid1(VALU_DEP_1)
	v_add_f32_e32 v10, v10, v12
	v_exp_f32_e32 v10, v10
	v_nop
	s_delay_alu instid0(TRANS32_DEP_1) | instskip(NEXT) | instid1(VALU_DEP_1)
	v_ldexp_f32 v10, v10, v11
	v_cndmask_b32_e32 v10, 0, v10, vcc_lo
	v_cmp_nlt_f32_e32 vcc_lo, 0x42b17218, v9
	s_delay_alu instid0(VALU_DEP_2) | instskip(NEXT) | instid1(VALU_DEP_1)
	v_cndmask_b32_e32 v9, 0x7f800000, v10, vcc_lo
	v_add_f32_e32 v9, 1.0, v9
	s_delay_alu instid0(VALU_DEP_1) | instskip(SKIP_1) | instid1(TRANS32_DEP_1)
	v_rcp_f32_e32 v9, v9
	v_nop
	v_fma_f32 v9, v9, -2.0, 1.0
.LBB164_43:                             ;   in Loop: Header=BB164_41 Depth=1
	s_and_not1_saveexec_b32 s6, s6
	s_cbranch_execz .LBB164_45
; %bb.44:                               ;   in Loop: Header=BB164_41 Depth=1
	v_mul_f32_e32 v9, v8, v8
	s_delay_alu instid0(VALU_DEP_1) | instskip(NEXT) | instid1(VALU_DEP_1)
	v_fmaak_f32 v10, s4, v9, 0x3ca908c9
	v_fmaak_f32 v10, v9, v10, 0xbd5c1c4e
	s_delay_alu instid0(VALU_DEP_1) | instskip(NEXT) | instid1(VALU_DEP_1)
	v_fmaak_f32 v10, v9, v10, 0x3e088382
	v_fmaak_f32 v10, v9, v10, 0xbeaaaa99
	s_delay_alu instid0(VALU_DEP_1) | instskip(NEXT) | instid1(VALU_DEP_1)
	v_mul_f32_e64 v10, |v8|, v10
	v_fma_f32 v9, v9, v10, |v8|
.LBB164_45:                             ;   in Loop: Header=BB164_41 Depth=1
	s_or_b32 exec_lo, exec_lo, s6
	v_and_b32_e32 v10, 0xffff0000, v6
                                        ; implicit-def: $vgpr11
	s_delay_alu instid0(VALU_DEP_1) | instskip(SKIP_1) | instid1(SALU_CYCLE_1)
	v_cmp_ngt_f32_e64 s6, 0x3f200000, |v10|
	s_and_saveexec_b32 s7, s6
	s_xor_b32 s6, exec_lo, s7
	s_cbranch_execz .LBB164_47
; %bb.46:                               ;   in Loop: Header=BB164_41 Depth=1
	v_add_f32_e64 v11, |v10|, |v10|
	s_delay_alu instid0(VALU_DEP_1) | instskip(SKIP_1) | instid1(VALU_DEP_2)
	v_mul_f32_e32 v12, 0x3fb8aa3b, v11
	v_cmp_ngt_f32_e32 vcc_lo, 0xc2ce8ed0, v11
	v_rndne_f32_e32 v13, v12
	v_fma_f32 v14, 0x3fb8aa3b, v11, -v12
	s_delay_alu instid0(VALU_DEP_2) | instskip(NEXT) | instid1(VALU_DEP_2)
	v_sub_f32_e32 v12, v12, v13
	v_fmac_f32_e32 v14, 0x32a5705f, v11
	v_cvt_i32_f32_e32 v13, v13
	s_delay_alu instid0(VALU_DEP_2) | instskip(NEXT) | instid1(VALU_DEP_1)
	v_add_f32_e32 v12, v12, v14
	v_exp_f32_e32 v12, v12
	v_nop
	s_delay_alu instid0(TRANS32_DEP_1) | instskip(NEXT) | instid1(VALU_DEP_1)
	v_ldexp_f32 v12, v12, v13
	v_cndmask_b32_e32 v12, 0, v12, vcc_lo
	v_cmp_nlt_f32_e32 vcc_lo, 0x42b17218, v11
	s_delay_alu instid0(VALU_DEP_2) | instskip(NEXT) | instid1(VALU_DEP_1)
	v_cndmask_b32_e32 v11, 0x7f800000, v12, vcc_lo
	v_add_f32_e32 v11, 1.0, v11
	s_delay_alu instid0(VALU_DEP_1) | instskip(SKIP_1) | instid1(TRANS32_DEP_1)
	v_rcp_f32_e32 v11, v11
	v_nop
	v_fma_f32 v11, v11, -2.0, 1.0
.LBB164_47:                             ;   in Loop: Header=BB164_41 Depth=1
	s_and_not1_saveexec_b32 s6, s6
	s_cbranch_execz .LBB164_49
; %bb.48:                               ;   in Loop: Header=BB164_41 Depth=1
	v_mul_f32_e32 v11, v10, v10
	s_delay_alu instid0(VALU_DEP_1) | instskip(NEXT) | instid1(VALU_DEP_1)
	v_fmaak_f32 v12, s4, v11, 0x3ca908c9
	v_fmaak_f32 v12, v11, v12, 0xbd5c1c4e
	s_delay_alu instid0(VALU_DEP_1) | instskip(NEXT) | instid1(VALU_DEP_1)
	v_fmaak_f32 v12, v11, v12, 0x3e088382
	v_fmaak_f32 v12, v11, v12, 0xbeaaaa99
	s_delay_alu instid0(VALU_DEP_1) | instskip(NEXT) | instid1(VALU_DEP_1)
	v_mul_f32_e64 v12, |v10|, v12
	v_fma_f32 v11, v11, v12, |v10|
.LBB164_49:                             ;   in Loop: Header=BB164_41 Depth=1
	s_or_b32 exec_lo, exec_lo, s6
	v_alignbit_b32 v6, v7, v6, 16
                                        ; implicit-def: $vgpr12
	s_delay_alu instid0(VALU_DEP_1) | instskip(NEXT) | instid1(VALU_DEP_1)
	v_and_b32_e32 v6, 0xffff0000, v6
	v_cmp_ngt_f32_e64 s6, 0x3f200000, |v6|
	s_and_saveexec_b32 s7, s6
	s_delay_alu instid0(SALU_CYCLE_1)
	s_xor_b32 s6, exec_lo, s7
	s_cbranch_execz .LBB164_51
; %bb.50:                               ;   in Loop: Header=BB164_41 Depth=1
	v_add_f32_e64 v12, |v6|, |v6|
	s_delay_alu instid0(VALU_DEP_1) | instskip(SKIP_1) | instid1(VALU_DEP_2)
	v_mul_f32_e32 v13, 0x3fb8aa3b, v12
	v_cmp_ngt_f32_e32 vcc_lo, 0xc2ce8ed0, v12
	v_rndne_f32_e32 v14, v13
	v_fma_f32 v15, 0x3fb8aa3b, v12, -v13
	s_delay_alu instid0(VALU_DEP_2) | instskip(NEXT) | instid1(VALU_DEP_2)
	v_sub_f32_e32 v13, v13, v14
	v_fmac_f32_e32 v15, 0x32a5705f, v12
	v_cvt_i32_f32_e32 v14, v14
	s_delay_alu instid0(VALU_DEP_2) | instskip(NEXT) | instid1(VALU_DEP_1)
	v_add_f32_e32 v13, v13, v15
	v_exp_f32_e32 v13, v13
	v_nop
	s_delay_alu instid0(TRANS32_DEP_1) | instskip(NEXT) | instid1(VALU_DEP_1)
	v_ldexp_f32 v13, v13, v14
	v_cndmask_b32_e32 v13, 0, v13, vcc_lo
	v_cmp_nlt_f32_e32 vcc_lo, 0x42b17218, v12
	s_delay_alu instid0(VALU_DEP_2) | instskip(NEXT) | instid1(VALU_DEP_1)
	v_cndmask_b32_e32 v12, 0x7f800000, v13, vcc_lo
	v_add_f32_e32 v12, 1.0, v12
	s_delay_alu instid0(VALU_DEP_1) | instskip(SKIP_1) | instid1(TRANS32_DEP_1)
	v_rcp_f32_e32 v12, v12
	v_nop
	v_fma_f32 v12, v12, -2.0, 1.0
.LBB164_51:                             ;   in Loop: Header=BB164_41 Depth=1
	s_and_not1_saveexec_b32 s6, s6
	s_cbranch_execz .LBB164_53
; %bb.52:                               ;   in Loop: Header=BB164_41 Depth=1
	v_mul_f32_e32 v12, v6, v6
	s_delay_alu instid0(VALU_DEP_1) | instskip(NEXT) | instid1(VALU_DEP_1)
	v_fmaak_f32 v13, s4, v12, 0x3ca908c9
	v_fmaak_f32 v13, v12, v13, 0xbd5c1c4e
	s_delay_alu instid0(VALU_DEP_1) | instskip(NEXT) | instid1(VALU_DEP_1)
	v_fmaak_f32 v13, v12, v13, 0x3e088382
	v_fmaak_f32 v13, v12, v13, 0xbeaaaa99
	s_delay_alu instid0(VALU_DEP_1) | instskip(NEXT) | instid1(VALU_DEP_1)
	v_mul_f32_e64 v13, |v6|, v13
	v_fma_f32 v12, v12, v13, |v6|
.LBB164_53:                             ;   in Loop: Header=BB164_41 Depth=1
	s_or_b32 exec_lo, exec_lo, s6
	v_and_b32_e32 v7, 0xffff0000, v7
                                        ; implicit-def: $vgpr13
	s_delay_alu instid0(VALU_DEP_1) | instskip(SKIP_1) | instid1(SALU_CYCLE_1)
	v_cmp_ngt_f32_e64 s6, 0x3f200000, |v7|
	s_and_saveexec_b32 s7, s6
	s_xor_b32 s6, exec_lo, s7
	s_cbranch_execz .LBB164_55
; %bb.54:                               ;   in Loop: Header=BB164_41 Depth=1
	v_add_f32_e64 v13, |v7|, |v7|
	s_delay_alu instid0(VALU_DEP_1) | instskip(SKIP_1) | instid1(VALU_DEP_2)
	v_mul_f32_e32 v14, 0x3fb8aa3b, v13
	v_cmp_ngt_f32_e32 vcc_lo, 0xc2ce8ed0, v13
	v_rndne_f32_e32 v15, v14
	v_fma_f32 v16, 0x3fb8aa3b, v13, -v14
	s_delay_alu instid0(VALU_DEP_2) | instskip(NEXT) | instid1(VALU_DEP_2)
	v_sub_f32_e32 v14, v14, v15
	v_fmac_f32_e32 v16, 0x32a5705f, v13
	v_cvt_i32_f32_e32 v15, v15
	s_delay_alu instid0(VALU_DEP_2) | instskip(NEXT) | instid1(VALU_DEP_1)
	v_add_f32_e32 v14, v14, v16
	v_exp_f32_e32 v14, v14
	v_nop
	s_delay_alu instid0(TRANS32_DEP_1) | instskip(NEXT) | instid1(VALU_DEP_1)
	v_ldexp_f32 v14, v14, v15
	v_cndmask_b32_e32 v14, 0, v14, vcc_lo
	v_cmp_nlt_f32_e32 vcc_lo, 0x42b17218, v13
	s_delay_alu instid0(VALU_DEP_2) | instskip(NEXT) | instid1(VALU_DEP_1)
	v_cndmask_b32_e32 v13, 0x7f800000, v14, vcc_lo
	v_add_f32_e32 v13, 1.0, v13
	s_delay_alu instid0(VALU_DEP_1) | instskip(SKIP_1) | instid1(TRANS32_DEP_1)
	v_rcp_f32_e32 v13, v13
	v_nop
	v_fma_f32 v13, v13, -2.0, 1.0
.LBB164_55:                             ;   in Loop: Header=BB164_41 Depth=1
	s_and_not1_saveexec_b32 s6, s6
	s_cbranch_execz .LBB164_40
; %bb.56:                               ;   in Loop: Header=BB164_41 Depth=1
	v_mul_f32_e32 v13, v7, v7
	s_delay_alu instid0(VALU_DEP_1) | instskip(NEXT) | instid1(VALU_DEP_1)
	v_fmaak_f32 v14, s4, v13, 0x3ca908c9
	v_fmaak_f32 v14, v13, v14, 0xbd5c1c4e
	s_delay_alu instid0(VALU_DEP_1) | instskip(NEXT) | instid1(VALU_DEP_1)
	v_fmaak_f32 v14, v13, v14, 0x3e088382
	v_fmaak_f32 v14, v13, v14, 0xbeaaaa99
	s_delay_alu instid0(VALU_DEP_1) | instskip(NEXT) | instid1(VALU_DEP_1)
	v_mul_f32_e64 v14, |v7|, v14
	v_fma_f32 v13, v13, v14, |v7|
	s_branch .LBB164_40
.LBB164_57:
	s_endpgm
	.section	.rodata,"a",@progbits
	.p2align	6, 0x0
	.amdhsa_kernel _ZN2at6native12_GLOBAL__N_125multi_tensor_apply_kernelINS1_18TensorListMetadataILi1EEENS1_14UnaryOpFunctorIN3c108BFloat16ELi1ELi1ELi0EEEJNS0_4TanhIfEEEEEvT_T0_DpT1_
		.amdhsa_group_segment_fixed_size 0
		.amdhsa_private_segment_fixed_size 0
		.amdhsa_kernarg_size 3632
		.amdhsa_user_sgpr_count 2
		.amdhsa_user_sgpr_dispatch_ptr 0
		.amdhsa_user_sgpr_queue_ptr 0
		.amdhsa_user_sgpr_kernarg_segment_ptr 1
		.amdhsa_user_sgpr_dispatch_id 0
		.amdhsa_user_sgpr_kernarg_preload_length 0
		.amdhsa_user_sgpr_kernarg_preload_offset 0
		.amdhsa_user_sgpr_private_segment_size 0
		.amdhsa_wavefront_size32 1
		.amdhsa_uses_dynamic_stack 0
		.amdhsa_enable_private_segment 0
		.amdhsa_system_sgpr_workgroup_id_x 1
		.amdhsa_system_sgpr_workgroup_id_y 0
		.amdhsa_system_sgpr_workgroup_id_z 0
		.amdhsa_system_sgpr_workgroup_info 0
		.amdhsa_system_vgpr_workitem_id 0
		.amdhsa_next_free_vgpr 31
		.amdhsa_next_free_sgpr 22
		.amdhsa_named_barrier_count 0
		.amdhsa_reserve_vcc 1
		.amdhsa_float_round_mode_32 0
		.amdhsa_float_round_mode_16_64 0
		.amdhsa_float_denorm_mode_32 3
		.amdhsa_float_denorm_mode_16_64 3
		.amdhsa_fp16_overflow 0
		.amdhsa_memory_ordered 1
		.amdhsa_forward_progress 1
		.amdhsa_inst_pref_size 28
		.amdhsa_round_robin_scheduling 0
		.amdhsa_exception_fp_ieee_invalid_op 0
		.amdhsa_exception_fp_denorm_src 0
		.amdhsa_exception_fp_ieee_div_zero 0
		.amdhsa_exception_fp_ieee_overflow 0
		.amdhsa_exception_fp_ieee_underflow 0
		.amdhsa_exception_fp_ieee_inexact 0
		.amdhsa_exception_int_div_zero 0
	.end_amdhsa_kernel
	.section	.text._ZN2at6native12_GLOBAL__N_125multi_tensor_apply_kernelINS1_18TensorListMetadataILi1EEENS1_14UnaryOpFunctorIN3c108BFloat16ELi1ELi1ELi0EEEJNS0_4TanhIfEEEEEvT_T0_DpT1_,"axG",@progbits,_ZN2at6native12_GLOBAL__N_125multi_tensor_apply_kernelINS1_18TensorListMetadataILi1EEENS1_14UnaryOpFunctorIN3c108BFloat16ELi1ELi1ELi0EEEJNS0_4TanhIfEEEEEvT_T0_DpT1_,comdat
.Lfunc_end164:
	.size	_ZN2at6native12_GLOBAL__N_125multi_tensor_apply_kernelINS1_18TensorListMetadataILi1EEENS1_14UnaryOpFunctorIN3c108BFloat16ELi1ELi1ELi0EEEJNS0_4TanhIfEEEEEvT_T0_DpT1_, .Lfunc_end164-_ZN2at6native12_GLOBAL__N_125multi_tensor_apply_kernelINS1_18TensorListMetadataILi1EEENS1_14UnaryOpFunctorIN3c108BFloat16ELi1ELi1ELi0EEEJNS0_4TanhIfEEEEEvT_T0_DpT1_
                                        ; -- End function
	.set _ZN2at6native12_GLOBAL__N_125multi_tensor_apply_kernelINS1_18TensorListMetadataILi1EEENS1_14UnaryOpFunctorIN3c108BFloat16ELi1ELi1ELi0EEEJNS0_4TanhIfEEEEEvT_T0_DpT1_.num_vgpr, 31
	.set _ZN2at6native12_GLOBAL__N_125multi_tensor_apply_kernelINS1_18TensorListMetadataILi1EEENS1_14UnaryOpFunctorIN3c108BFloat16ELi1ELi1ELi0EEEJNS0_4TanhIfEEEEEvT_T0_DpT1_.num_agpr, 0
	.set _ZN2at6native12_GLOBAL__N_125multi_tensor_apply_kernelINS1_18TensorListMetadataILi1EEENS1_14UnaryOpFunctorIN3c108BFloat16ELi1ELi1ELi0EEEJNS0_4TanhIfEEEEEvT_T0_DpT1_.numbered_sgpr, 22
	.set _ZN2at6native12_GLOBAL__N_125multi_tensor_apply_kernelINS1_18TensorListMetadataILi1EEENS1_14UnaryOpFunctorIN3c108BFloat16ELi1ELi1ELi0EEEJNS0_4TanhIfEEEEEvT_T0_DpT1_.num_named_barrier, 0
	.set _ZN2at6native12_GLOBAL__N_125multi_tensor_apply_kernelINS1_18TensorListMetadataILi1EEENS1_14UnaryOpFunctorIN3c108BFloat16ELi1ELi1ELi0EEEJNS0_4TanhIfEEEEEvT_T0_DpT1_.private_seg_size, 0
	.set _ZN2at6native12_GLOBAL__N_125multi_tensor_apply_kernelINS1_18TensorListMetadataILi1EEENS1_14UnaryOpFunctorIN3c108BFloat16ELi1ELi1ELi0EEEJNS0_4TanhIfEEEEEvT_T0_DpT1_.uses_vcc, 1
	.set _ZN2at6native12_GLOBAL__N_125multi_tensor_apply_kernelINS1_18TensorListMetadataILi1EEENS1_14UnaryOpFunctorIN3c108BFloat16ELi1ELi1ELi0EEEJNS0_4TanhIfEEEEEvT_T0_DpT1_.uses_flat_scratch, 0
	.set _ZN2at6native12_GLOBAL__N_125multi_tensor_apply_kernelINS1_18TensorListMetadataILi1EEENS1_14UnaryOpFunctorIN3c108BFloat16ELi1ELi1ELi0EEEJNS0_4TanhIfEEEEEvT_T0_DpT1_.has_dyn_sized_stack, 0
	.set _ZN2at6native12_GLOBAL__N_125multi_tensor_apply_kernelINS1_18TensorListMetadataILi1EEENS1_14UnaryOpFunctorIN3c108BFloat16ELi1ELi1ELi0EEEJNS0_4TanhIfEEEEEvT_T0_DpT1_.has_recursion, 0
	.set _ZN2at6native12_GLOBAL__N_125multi_tensor_apply_kernelINS1_18TensorListMetadataILi1EEENS1_14UnaryOpFunctorIN3c108BFloat16ELi1ELi1ELi0EEEJNS0_4TanhIfEEEEEvT_T0_DpT1_.has_indirect_call, 0
	.section	.AMDGPU.csdata,"",@progbits
; Kernel info:
; codeLenInByte = 3476
; TotalNumSgprs: 24
; NumVgprs: 31
; ScratchSize: 0
; MemoryBound: 0
; FloatMode: 240
; IeeeMode: 1
; LDSByteSize: 0 bytes/workgroup (compile time only)
; SGPRBlocks: 0
; VGPRBlocks: 1
; NumSGPRsForWavesPerEU: 24
; NumVGPRsForWavesPerEU: 31
; NamedBarCnt: 0
; Occupancy: 16
; WaveLimiterHint : 0
; COMPUTE_PGM_RSRC2:SCRATCH_EN: 0
; COMPUTE_PGM_RSRC2:USER_SGPR: 2
; COMPUTE_PGM_RSRC2:TRAP_HANDLER: 0
; COMPUTE_PGM_RSRC2:TGID_X_EN: 1
; COMPUTE_PGM_RSRC2:TGID_Y_EN: 0
; COMPUTE_PGM_RSRC2:TGID_Z_EN: 0
; COMPUTE_PGM_RSRC2:TIDIG_COMP_CNT: 0
	.section	.text._ZN2at6native12_GLOBAL__N_125multi_tensor_apply_kernelINS1_18TensorListMetadataILi2EEENS1_14UnaryOpFunctorIdLi2ELi1ELi1EEEJNS0_3LogIdEEEEEvT_T0_DpT1_,"axG",@progbits,_ZN2at6native12_GLOBAL__N_125multi_tensor_apply_kernelINS1_18TensorListMetadataILi2EEENS1_14UnaryOpFunctorIdLi2ELi1ELi1EEEJNS0_3LogIdEEEEEvT_T0_DpT1_,comdat
	.globl	_ZN2at6native12_GLOBAL__N_125multi_tensor_apply_kernelINS1_18TensorListMetadataILi2EEENS1_14UnaryOpFunctorIdLi2ELi1ELi1EEEJNS0_3LogIdEEEEEvT_T0_DpT1_ ; -- Begin function _ZN2at6native12_GLOBAL__N_125multi_tensor_apply_kernelINS1_18TensorListMetadataILi2EEENS1_14UnaryOpFunctorIdLi2ELi1ELi1EEEJNS0_3LogIdEEEEEvT_T0_DpT1_
	.p2align	8
	.type	_ZN2at6native12_GLOBAL__N_125multi_tensor_apply_kernelINS1_18TensorListMetadataILi2EEENS1_14UnaryOpFunctorIdLi2ELi1ELi1EEEJNS0_3LogIdEEEEEvT_T0_DpT1_,@function
_ZN2at6native12_GLOBAL__N_125multi_tensor_apply_kernelINS1_18TensorListMetadataILi2EEENS1_14UnaryOpFunctorIdLi2ELi1ELi1EEEJNS0_3LogIdEEEEEvT_T0_DpT1_: ; @_ZN2at6native12_GLOBAL__N_125multi_tensor_apply_kernelINS1_18TensorListMetadataILi2EEENS1_14UnaryOpFunctorIdLi2ELi1ELi1EEEJNS0_3LogIdEEEEEvT_T0_DpT1_
; %bb.0:
	s_bfe_u32 s2, ttmp6, 0x4000c
	s_and_b32 s3, ttmp6, 15
	s_add_co_i32 s2, s2, 1
	s_getreg_b32 s4, hwreg(HW_REG_IB_STS2, 6, 4)
	s_mul_i32 s2, ttmp9, s2
	s_mov_b32 s9, 0
	s_add_co_i32 s3, s3, s2
	s_cmp_eq_u32 s4, 0
	s_mov_b32 s15, s9
	s_cselect_b32 s8, ttmp9, s3
	s_load_u8 s11, s[0:1], s8 offset:0x600
	s_add_nc_u64 s[2:3], s[0:1], s[8:9]
	s_mul_u64 s[4:5], s[8:9], 3
	s_delay_alu instid0(SALU_CYCLE_1)
	s_add_nc_u64 s[4:5], s[2:3], s[4:5]
	s_load_b32 s10, s[4:5], 0x740
	s_wait_kmcnt 0x0
	s_clause 0x2
	s_load_b64 s[2:3], s[0:1], s11 offset:0x0 scale_offset
	s_load_b64 s[6:7], s[0:1], s11 offset:0x200 scale_offset
	;; [unrolled: 1-line block ×3, first 2 shown]
	s_wait_xcnt 0x0
	s_ashr_i32 s11, s10, 31
	s_delay_alu instid0(SALU_CYCLE_1)
	s_lshl_b64 s[4:5], s[10:11], 19
	s_wait_kmcnt 0x0
	s_and_b64 s[18:19], s[6:7], 31
	s_add_nc_u64 s[16:17], s[2:3], s[4:5]
	s_and_b32 s14, s12, 3
	s_and_b32 s8, s16, 31
	s_or_b64 s[14:15], s[18:19], s[14:15]
	s_lshl_b64 s[10:11], s[10:11], 16
	s_or_b64 s[14:15], s[14:15], s[8:9]
	s_sub_nc_u64 s[8:9], s[12:13], s[10:11]
	s_cmp_eq_u64 s[14:15], 0
	s_mov_b32 s10, -1
	s_cbranch_scc0 .LBB165_5
; %bb.1:
	v_min_i64 v[14:15], 0x10000, s[8:9]
	v_dual_mov_b32 v3, 0 :: v_dual_lshlrev_b32 v2, 2, v0
	s_mov_b32 s18, exec_lo
	s_delay_alu instid0(VALU_DEP_1)
	v_cmpx_lt_i64_e64 v[2:3], v[14:15]
	s_cbranch_execz .LBB165_4
; %bb.2:
	s_load_b32 s10, s[0:1], 0xc5c
	v_dual_mov_b32 v1, v3 :: v_dual_lshlrev_b32 v2, 5, v0
	v_mov_b64_e32 v[16:17], 0x3fc385386b47b09a
	s_mov_b32 s11, 0
	s_mov_b64 s[12:13], 0x3fe5555555555555
	s_delay_alu instid0(VALU_DEP_2)
	v_mov_b64_e32 v[20:21], v[0:1]
	v_add_nc_u64_e32 v[18:19], s[4:5], v[2:3]
	s_mov_b64 s[14:15], 0x3fe62e42fefa39ef
	s_mov_b32 s17, s11
	s_mov_b32 s19, s11
                                        ; implicit-def: $vgpr2_vgpr3
                                        ; implicit-def: $vgpr2_vgpr3
	;; [unrolled: 1-line block ×5, first 2 shown]
	s_wait_kmcnt 0x0
	s_and_b32 s10, s10, 0xffff
	s_delay_alu instid0(SALU_CYCLE_1)
	s_lshl_b32 s16, s10, 5
.LBB165_3:                              ; =>This Inner Loop Header: Depth=1
	s_delay_alu instid0(VALU_DEP_2)
	v_add_nc_u64_e32 v[6:7], s[2:3], v[18:19]
	v_add_nc_u64_e32 v[20:21], s[10:11], v[20:21]
	s_clause 0x1
	global_load_b128 v[2:5], v[6:7], off offset:16
	global_load_b128 v[8:11], v[6:7], off
	s_wait_loadcnt 0x0
	s_wait_xcnt 0x0
	v_frexp_mant_f64_e32 v[6:7], v[8:9]
	v_frexp_exp_i32_f64_e32 v1, v[8:9]
	s_delay_alu instid0(VALU_DEP_2) | instskip(SKIP_1) | instid1(VALU_DEP_3)
	v_cmp_gt_f64_e32 vcc_lo, s[12:13], v[6:7]
	v_cndmask_b32_e64 v12, 0, 1, vcc_lo
	v_subrev_co_ci_u32_e64 v1, null, 0, v1, vcc_lo
	v_cmp_class_f64_e64 vcc_lo, v[8:9], 0x204
	s_delay_alu instid0(VALU_DEP_3) | instskip(NEXT) | instid1(VALU_DEP_1)
	v_ldexp_f64 v[6:7], v[6:7], v12
	v_add_f64_e32 v[22:23], 1.0, v[6:7]
	v_add_f64_e32 v[12:13], -1.0, v[6:7]
	s_delay_alu instid0(VALU_DEP_2) | instskip(NEXT) | instid1(VALU_DEP_1)
	v_add_f64_e32 v[24:25], -1.0, v[22:23]
	v_add_f64_e64 v[6:7], v[6:7], -v[24:25]
	v_rcp_f64_e32 v[24:25], v[22:23]
	v_nop
	s_delay_alu instid0(TRANS32_DEP_1) | instskip(NEXT) | instid1(VALU_DEP_1)
	v_fma_f64 v[26:27], -v[22:23], v[24:25], 1.0
	v_fmac_f64_e32 v[24:25], v[26:27], v[24:25]
	s_delay_alu instid0(VALU_DEP_1) | instskip(NEXT) | instid1(VALU_DEP_1)
	v_fma_f64 v[26:27], -v[22:23], v[24:25], 1.0
	v_fmac_f64_e32 v[24:25], v[26:27], v[24:25]
	s_delay_alu instid0(VALU_DEP_1) | instskip(NEXT) | instid1(VALU_DEP_1)
	v_mul_f64_e32 v[26:27], v[12:13], v[24:25]
	v_mul_f64_e32 v[28:29], v[22:23], v[26:27]
	s_delay_alu instid0(VALU_DEP_1) | instskip(NEXT) | instid1(VALU_DEP_1)
	v_fma_f64 v[22:23], v[26:27], v[22:23], -v[28:29]
	v_fmac_f64_e32 v[22:23], v[26:27], v[6:7]
	s_delay_alu instid0(VALU_DEP_1) | instskip(NEXT) | instid1(VALU_DEP_1)
	v_add_f64_e32 v[6:7], v[28:29], v[22:23]
	v_add_f64_e64 v[30:31], v[12:13], -v[6:7]
	v_add_f64_e64 v[28:29], v[6:7], -v[28:29]
	s_delay_alu instid0(VALU_DEP_2) | instskip(NEXT) | instid1(VALU_DEP_1)
	v_add_f64_e64 v[12:13], v[12:13], -v[30:31]
	v_add_f64_e64 v[6:7], v[12:13], -v[6:7]
	s_delay_alu instid0(VALU_DEP_3) | instskip(NEXT) | instid1(VALU_DEP_1)
	v_add_f64_e64 v[12:13], v[28:29], -v[22:23]
	v_add_f64_e32 v[6:7], v[12:13], v[6:7]
	s_delay_alu instid0(VALU_DEP_1) | instskip(NEXT) | instid1(VALU_DEP_1)
	v_add_f64_e32 v[6:7], v[30:31], v[6:7]
	v_mul_f64_e32 v[6:7], v[24:25], v[6:7]
	s_delay_alu instid0(VALU_DEP_1) | instskip(NEXT) | instid1(VALU_DEP_1)
	v_add_f64_e32 v[12:13], v[26:27], v[6:7]
	v_add_f64_e64 v[22:23], v[12:13], -v[26:27]
	v_ldexp_f64 v[26:27], v[12:13], 1
	s_delay_alu instid0(VALU_DEP_2) | instskip(SKIP_1) | instid1(VALU_DEP_2)
	v_add_f64_e64 v[6:7], v[6:7], -v[22:23]
	v_mul_f64_e32 v[22:23], v[12:13], v[12:13]
	v_ldexp_f64 v[6:7], v[6:7], 1
	s_delay_alu instid0(VALU_DEP_2) | instskip(SKIP_1) | instid1(VALU_DEP_2)
	v_fmamk_f64 v[24:25], v[22:23], 0x3fc3ab76bf559e2b, v[16:17]
	v_mul_f64_e32 v[12:13], v[12:13], v[22:23]
	v_fmaak_f64 v[24:25], v[22:23], v[24:25], 0x3fc7474dd7f4df2e
	s_delay_alu instid0(VALU_DEP_1) | instskip(NEXT) | instid1(VALU_DEP_1)
	v_fmaak_f64 v[24:25], v[22:23], v[24:25], 0x3fcc71c016291751
	v_fmaak_f64 v[24:25], v[22:23], v[24:25], 0x3fd249249b27acf1
	s_delay_alu instid0(VALU_DEP_1) | instskip(NEXT) | instid1(VALU_DEP_1)
	v_fmaak_f64 v[24:25], v[22:23], v[24:25], 0x3fd99999998ef7b6
	v_fmaak_f64 v[24:25], v[22:23], v[24:25], 0x3fe5555555555780
	s_delay_alu instid0(VALU_DEP_1) | instskip(NEXT) | instid1(VALU_DEP_1)
	v_mul_f64_e32 v[12:13], v[12:13], v[24:25]
	v_add_f64_e32 v[22:23], v[26:27], v[12:13]
	s_delay_alu instid0(VALU_DEP_1) | instskip(NEXT) | instid1(VALU_DEP_1)
	v_add_f64_e64 v[24:25], v[22:23], -v[26:27]
	v_add_f64_e64 v[12:13], v[12:13], -v[24:25]
	s_delay_alu instid0(VALU_DEP_1) | instskip(NEXT) | instid1(VALU_DEP_1)
	v_add_f64_e32 v[6:7], v[6:7], v[12:13]
	v_add_f64_e32 v[12:13], v[22:23], v[6:7]
	s_delay_alu instid0(VALU_DEP_1) | instskip(NEXT) | instid1(VALU_DEP_1)
	v_add_f64_e64 v[22:23], v[12:13], -v[22:23]
	v_add_f64_e64 v[6:7], v[6:7], -v[22:23]
	v_cvt_f64_i32_e32 v[22:23], v1
	s_delay_alu instid0(VALU_DEP_1) | instskip(NEXT) | instid1(VALU_DEP_1)
	v_mul_f64_e32 v[24:25], 0x3fe62e42fefa39ef, v[22:23]
	v_fma_f64 v[26:27], v[22:23], s[14:15], -v[24:25]
	s_delay_alu instid0(VALU_DEP_1) | instskip(NEXT) | instid1(VALU_DEP_1)
	v_fmac_f64_e32 v[26:27], 0x3c7abc9e3b39803f, v[22:23]
	v_add_f64_e32 v[22:23], v[24:25], v[26:27]
	s_delay_alu instid0(VALU_DEP_1) | instskip(NEXT) | instid1(VALU_DEP_1)
	v_add_f64_e64 v[24:25], v[22:23], -v[24:25]
	v_add_f64_e64 v[24:25], v[26:27], -v[24:25]
	v_add_f64_e32 v[26:27], v[22:23], v[12:13]
	s_delay_alu instid0(VALU_DEP_1) | instskip(NEXT) | instid1(VALU_DEP_1)
	v_add_f64_e64 v[28:29], v[26:27], -v[22:23]
	v_add_f64_e64 v[30:31], v[26:27], -v[28:29]
	;; [unrolled: 1-line block ×3, first 2 shown]
	s_delay_alu instid0(VALU_DEP_2) | instskip(NEXT) | instid1(VALU_DEP_1)
	v_add_f64_e64 v[22:23], v[22:23], -v[30:31]
	v_add_f64_e32 v[12:13], v[12:13], v[22:23]
	v_add_f64_e32 v[22:23], v[24:25], v[6:7]
	s_delay_alu instid0(VALU_DEP_1) | instskip(NEXT) | instid1(VALU_DEP_3)
	v_add_f64_e64 v[28:29], v[22:23], -v[24:25]
	v_add_f64_e32 v[12:13], v[22:23], v[12:13]
	s_delay_alu instid0(VALU_DEP_2) | instskip(SKIP_1) | instid1(VALU_DEP_3)
	v_add_f64_e64 v[30:31], v[22:23], -v[28:29]
	v_add_f64_e64 v[6:7], v[6:7], -v[28:29]
	v_add_f64_e32 v[22:23], v[26:27], v[12:13]
	s_delay_alu instid0(VALU_DEP_3) | instskip(NEXT) | instid1(VALU_DEP_1)
	v_add_f64_e64 v[24:25], v[24:25], -v[30:31]
	v_add_f64_e32 v[6:7], v[6:7], v[24:25]
	s_delay_alu instid0(VALU_DEP_3) | instskip(NEXT) | instid1(VALU_DEP_1)
	v_add_f64_e64 v[24:25], v[22:23], -v[26:27]
	v_add_f64_e64 v[12:13], v[12:13], -v[24:25]
	s_delay_alu instid0(VALU_DEP_1) | instskip(NEXT) | instid1(VALU_DEP_1)
	v_add_f64_e32 v[6:7], v[6:7], v[12:13]
	v_add_f64_e32 v[6:7], v[22:23], v[6:7]
	s_delay_alu instid0(VALU_DEP_1) | instskip(SKIP_1) | instid1(VALU_DEP_2)
	v_dual_cndmask_b32 v1, v6, v8 :: v_dual_cndmask_b32 v6, v7, v9
	v_cmp_ngt_f64_e32 vcc_lo, 0, v[8:9]
	v_cndmask_b32_e32 v7, 0x7ff80000, v6, vcc_lo
	v_cmp_nge_f64_e32 vcc_lo, 0, v[8:9]
	s_delay_alu instid0(VALU_DEP_4) | instskip(SKIP_4) | instid1(VALU_DEP_3)
	v_cndmask_b32_e32 v6, 0, v1, vcc_lo
	v_cmp_neq_f64_e32 vcc_lo, 0, v[8:9]
	v_frexp_mant_f64_e32 v[8:9], v[10:11]
	v_frexp_exp_i32_f64_e32 v1, v[10:11]
	v_cndmask_b32_e32 v7, 0xfff00000, v7, vcc_lo
	v_cmp_gt_f64_e32 vcc_lo, s[12:13], v[8:9]
	v_cndmask_b32_e64 v12, 0, 1, vcc_lo
	s_delay_alu instid0(VALU_DEP_4) | instskip(SKIP_1) | instid1(VALU_DEP_3)
	v_subrev_co_ci_u32_e64 v1, null, 0, v1, vcc_lo
	v_cmp_class_f64_e64 vcc_lo, v[10:11], 0x204
	v_ldexp_f64 v[8:9], v[8:9], v12
	s_delay_alu instid0(VALU_DEP_1) | instskip(SKIP_1) | instid1(VALU_DEP_2)
	v_add_f64_e32 v[22:23], 1.0, v[8:9]
	v_add_f64_e32 v[12:13], -1.0, v[8:9]
	v_add_f64_e32 v[24:25], -1.0, v[22:23]
	s_delay_alu instid0(VALU_DEP_1) | instskip(SKIP_2) | instid1(TRANS32_DEP_1)
	v_add_f64_e64 v[8:9], v[8:9], -v[24:25]
	v_rcp_f64_e32 v[24:25], v[22:23]
	v_nop
	v_fma_f64 v[26:27], -v[22:23], v[24:25], 1.0
	s_delay_alu instid0(VALU_DEP_1) | instskip(NEXT) | instid1(VALU_DEP_1)
	v_fmac_f64_e32 v[24:25], v[26:27], v[24:25]
	v_fma_f64 v[26:27], -v[22:23], v[24:25], 1.0
	s_delay_alu instid0(VALU_DEP_1) | instskip(NEXT) | instid1(VALU_DEP_1)
	v_fmac_f64_e32 v[24:25], v[26:27], v[24:25]
	v_mul_f64_e32 v[26:27], v[12:13], v[24:25]
	s_delay_alu instid0(VALU_DEP_1) | instskip(NEXT) | instid1(VALU_DEP_1)
	v_mul_f64_e32 v[28:29], v[22:23], v[26:27]
	v_fma_f64 v[22:23], v[26:27], v[22:23], -v[28:29]
	s_delay_alu instid0(VALU_DEP_1) | instskip(NEXT) | instid1(VALU_DEP_1)
	v_fmac_f64_e32 v[22:23], v[26:27], v[8:9]
	v_add_f64_e32 v[8:9], v[28:29], v[22:23]
	s_delay_alu instid0(VALU_DEP_1) | instskip(SKIP_1) | instid1(VALU_DEP_2)
	v_add_f64_e64 v[30:31], v[12:13], -v[8:9]
	v_add_f64_e64 v[28:29], v[8:9], -v[28:29]
	;; [unrolled: 1-line block ×3, first 2 shown]
	s_delay_alu instid0(VALU_DEP_1) | instskip(NEXT) | instid1(VALU_DEP_3)
	v_add_f64_e64 v[8:9], v[12:13], -v[8:9]
	v_add_f64_e64 v[12:13], v[28:29], -v[22:23]
	s_delay_alu instid0(VALU_DEP_1) | instskip(NEXT) | instid1(VALU_DEP_1)
	v_add_f64_e32 v[8:9], v[12:13], v[8:9]
	v_add_f64_e32 v[8:9], v[30:31], v[8:9]
	s_delay_alu instid0(VALU_DEP_1) | instskip(NEXT) | instid1(VALU_DEP_1)
	v_mul_f64_e32 v[8:9], v[24:25], v[8:9]
	v_add_f64_e32 v[12:13], v[26:27], v[8:9]
	s_delay_alu instid0(VALU_DEP_1) | instskip(SKIP_1) | instid1(VALU_DEP_2)
	v_add_f64_e64 v[22:23], v[12:13], -v[26:27]
	v_ldexp_f64 v[26:27], v[12:13], 1
	v_add_f64_e64 v[8:9], v[8:9], -v[22:23]
	v_mul_f64_e32 v[22:23], v[12:13], v[12:13]
	s_delay_alu instid0(VALU_DEP_2) | instskip(NEXT) | instid1(VALU_DEP_2)
	v_ldexp_f64 v[8:9], v[8:9], 1
	v_fmamk_f64 v[24:25], v[22:23], 0x3fc3ab76bf559e2b, v[16:17]
	v_mul_f64_e32 v[12:13], v[12:13], v[22:23]
	s_delay_alu instid0(VALU_DEP_2) | instskip(NEXT) | instid1(VALU_DEP_1)
	v_fmaak_f64 v[24:25], v[22:23], v[24:25], 0x3fc7474dd7f4df2e
	v_fmaak_f64 v[24:25], v[22:23], v[24:25], 0x3fcc71c016291751
	s_delay_alu instid0(VALU_DEP_1) | instskip(NEXT) | instid1(VALU_DEP_1)
	v_fmaak_f64 v[24:25], v[22:23], v[24:25], 0x3fd249249b27acf1
	v_fmaak_f64 v[24:25], v[22:23], v[24:25], 0x3fd99999998ef7b6
	s_delay_alu instid0(VALU_DEP_1) | instskip(NEXT) | instid1(VALU_DEP_1)
	v_fmaak_f64 v[24:25], v[22:23], v[24:25], 0x3fe5555555555780
	v_mul_f64_e32 v[12:13], v[12:13], v[24:25]
	s_delay_alu instid0(VALU_DEP_1) | instskip(NEXT) | instid1(VALU_DEP_1)
	v_add_f64_e32 v[22:23], v[26:27], v[12:13]
	v_add_f64_e64 v[24:25], v[22:23], -v[26:27]
	s_delay_alu instid0(VALU_DEP_1) | instskip(NEXT) | instid1(VALU_DEP_1)
	v_add_f64_e64 v[12:13], v[12:13], -v[24:25]
	v_add_f64_e32 v[8:9], v[8:9], v[12:13]
	s_delay_alu instid0(VALU_DEP_1) | instskip(NEXT) | instid1(VALU_DEP_1)
	v_add_f64_e32 v[12:13], v[22:23], v[8:9]
	v_add_f64_e64 v[22:23], v[12:13], -v[22:23]
	s_delay_alu instid0(VALU_DEP_1) | instskip(SKIP_1) | instid1(VALU_DEP_1)
	v_add_f64_e64 v[8:9], v[8:9], -v[22:23]
	v_cvt_f64_i32_e32 v[22:23], v1
	v_mul_f64_e32 v[24:25], 0x3fe62e42fefa39ef, v[22:23]
	s_delay_alu instid0(VALU_DEP_1) | instskip(NEXT) | instid1(VALU_DEP_1)
	v_fma_f64 v[26:27], v[22:23], s[14:15], -v[24:25]
	v_fmac_f64_e32 v[26:27], 0x3c7abc9e3b39803f, v[22:23]
	s_delay_alu instid0(VALU_DEP_1) | instskip(NEXT) | instid1(VALU_DEP_1)
	v_add_f64_e32 v[22:23], v[24:25], v[26:27]
	v_add_f64_e64 v[24:25], v[22:23], -v[24:25]
	s_delay_alu instid0(VALU_DEP_1) | instskip(SKIP_1) | instid1(VALU_DEP_1)
	v_add_f64_e64 v[24:25], v[26:27], -v[24:25]
	v_add_f64_e32 v[26:27], v[22:23], v[12:13]
	v_add_f64_e64 v[28:29], v[26:27], -v[22:23]
	s_delay_alu instid0(VALU_DEP_1) | instskip(SKIP_1) | instid1(VALU_DEP_2)
	v_add_f64_e64 v[30:31], v[26:27], -v[28:29]
	v_add_f64_e64 v[12:13], v[12:13], -v[28:29]
	;; [unrolled: 1-line block ×3, first 2 shown]
	s_delay_alu instid0(VALU_DEP_1) | instskip(SKIP_1) | instid1(VALU_DEP_1)
	v_add_f64_e32 v[12:13], v[12:13], v[22:23]
	v_add_f64_e32 v[22:23], v[24:25], v[8:9]
	v_add_f64_e64 v[28:29], v[22:23], -v[24:25]
	s_delay_alu instid0(VALU_DEP_3) | instskip(NEXT) | instid1(VALU_DEP_2)
	v_add_f64_e32 v[12:13], v[22:23], v[12:13]
	v_add_f64_e64 v[30:31], v[22:23], -v[28:29]
	v_add_f64_e64 v[8:9], v[8:9], -v[28:29]
	s_delay_alu instid0(VALU_DEP_3) | instskip(NEXT) | instid1(VALU_DEP_3)
	v_add_f64_e32 v[22:23], v[26:27], v[12:13]
	v_add_f64_e64 v[24:25], v[24:25], -v[30:31]
	s_delay_alu instid0(VALU_DEP_1) | instskip(NEXT) | instid1(VALU_DEP_3)
	v_add_f64_e32 v[8:9], v[8:9], v[24:25]
	v_add_f64_e64 v[24:25], v[22:23], -v[26:27]
	s_delay_alu instid0(VALU_DEP_1) | instskip(NEXT) | instid1(VALU_DEP_1)
	v_add_f64_e64 v[12:13], v[12:13], -v[24:25]
	v_add_f64_e32 v[8:9], v[8:9], v[12:13]
	s_delay_alu instid0(VALU_DEP_1) | instskip(NEXT) | instid1(VALU_DEP_1)
	v_add_f64_e32 v[8:9], v[22:23], v[8:9]
	v_dual_cndmask_b32 v1, v8, v10 :: v_dual_cndmask_b32 v8, v9, v11
	v_cmp_ngt_f64_e32 vcc_lo, 0, v[10:11]
	s_delay_alu instid0(VALU_DEP_2) | instskip(SKIP_1) | instid1(VALU_DEP_4)
	v_cndmask_b32_e32 v9, 0x7ff80000, v8, vcc_lo
	v_cmp_nge_f64_e32 vcc_lo, 0, v[10:11]
	v_cndmask_b32_e32 v8, 0, v1, vcc_lo
	v_cmp_neq_f64_e32 vcc_lo, 0, v[10:11]
	v_frexp_mant_f64_e32 v[10:11], v[2:3]
	v_frexp_exp_i32_f64_e32 v1, v[2:3]
	v_cndmask_b32_e32 v9, 0xfff00000, v9, vcc_lo
	s_delay_alu instid0(VALU_DEP_3) | instskip(SKIP_1) | instid1(VALU_DEP_4)
	v_cmp_gt_f64_e32 vcc_lo, s[12:13], v[10:11]
	v_cndmask_b32_e64 v12, 0, 1, vcc_lo
	v_subrev_co_ci_u32_e64 v1, null, 0, v1, vcc_lo
	v_cmp_class_f64_e64 vcc_lo, v[2:3], 0x204
	s_delay_alu instid0(VALU_DEP_3) | instskip(NEXT) | instid1(VALU_DEP_1)
	v_ldexp_f64 v[10:11], v[10:11], v12
	v_add_f64_e32 v[22:23], 1.0, v[10:11]
	v_add_f64_e32 v[12:13], -1.0, v[10:11]
	s_delay_alu instid0(VALU_DEP_2) | instskip(NEXT) | instid1(VALU_DEP_1)
	v_add_f64_e32 v[24:25], -1.0, v[22:23]
	v_add_f64_e64 v[10:11], v[10:11], -v[24:25]
	v_rcp_f64_e32 v[24:25], v[22:23]
	v_nop
	s_delay_alu instid0(TRANS32_DEP_1) | instskip(NEXT) | instid1(VALU_DEP_1)
	v_fma_f64 v[26:27], -v[22:23], v[24:25], 1.0
	v_fmac_f64_e32 v[24:25], v[26:27], v[24:25]
	s_delay_alu instid0(VALU_DEP_1) | instskip(NEXT) | instid1(VALU_DEP_1)
	v_fma_f64 v[26:27], -v[22:23], v[24:25], 1.0
	v_fmac_f64_e32 v[24:25], v[26:27], v[24:25]
	s_delay_alu instid0(VALU_DEP_1) | instskip(NEXT) | instid1(VALU_DEP_1)
	v_mul_f64_e32 v[26:27], v[12:13], v[24:25]
	v_mul_f64_e32 v[28:29], v[22:23], v[26:27]
	s_delay_alu instid0(VALU_DEP_1) | instskip(NEXT) | instid1(VALU_DEP_1)
	v_fma_f64 v[22:23], v[26:27], v[22:23], -v[28:29]
	v_fmac_f64_e32 v[22:23], v[26:27], v[10:11]
	s_delay_alu instid0(VALU_DEP_1) | instskip(NEXT) | instid1(VALU_DEP_1)
	v_add_f64_e32 v[10:11], v[28:29], v[22:23]
	v_add_f64_e64 v[30:31], v[12:13], -v[10:11]
	v_add_f64_e64 v[28:29], v[10:11], -v[28:29]
	s_delay_alu instid0(VALU_DEP_2) | instskip(NEXT) | instid1(VALU_DEP_1)
	v_add_f64_e64 v[12:13], v[12:13], -v[30:31]
	v_add_f64_e64 v[10:11], v[12:13], -v[10:11]
	s_delay_alu instid0(VALU_DEP_3) | instskip(NEXT) | instid1(VALU_DEP_1)
	v_add_f64_e64 v[12:13], v[28:29], -v[22:23]
	v_add_f64_e32 v[10:11], v[12:13], v[10:11]
	s_delay_alu instid0(VALU_DEP_1) | instskip(NEXT) | instid1(VALU_DEP_1)
	v_add_f64_e32 v[10:11], v[30:31], v[10:11]
	v_mul_f64_e32 v[10:11], v[24:25], v[10:11]
	s_delay_alu instid0(VALU_DEP_1) | instskip(NEXT) | instid1(VALU_DEP_1)
	v_add_f64_e32 v[12:13], v[26:27], v[10:11]
	v_add_f64_e64 v[22:23], v[12:13], -v[26:27]
	v_ldexp_f64 v[26:27], v[12:13], 1
	s_delay_alu instid0(VALU_DEP_2) | instskip(SKIP_1) | instid1(VALU_DEP_2)
	v_add_f64_e64 v[10:11], v[10:11], -v[22:23]
	v_mul_f64_e32 v[22:23], v[12:13], v[12:13]
	v_ldexp_f64 v[10:11], v[10:11], 1
	s_delay_alu instid0(VALU_DEP_2) | instskip(SKIP_1) | instid1(VALU_DEP_2)
	v_fmamk_f64 v[24:25], v[22:23], 0x3fc3ab76bf559e2b, v[16:17]
	v_mul_f64_e32 v[12:13], v[12:13], v[22:23]
	v_fmaak_f64 v[24:25], v[22:23], v[24:25], 0x3fc7474dd7f4df2e
	s_delay_alu instid0(VALU_DEP_1) | instskip(NEXT) | instid1(VALU_DEP_1)
	v_fmaak_f64 v[24:25], v[22:23], v[24:25], 0x3fcc71c016291751
	v_fmaak_f64 v[24:25], v[22:23], v[24:25], 0x3fd249249b27acf1
	s_delay_alu instid0(VALU_DEP_1) | instskip(NEXT) | instid1(VALU_DEP_1)
	v_fmaak_f64 v[24:25], v[22:23], v[24:25], 0x3fd99999998ef7b6
	v_fmaak_f64 v[24:25], v[22:23], v[24:25], 0x3fe5555555555780
	s_delay_alu instid0(VALU_DEP_1) | instskip(NEXT) | instid1(VALU_DEP_1)
	v_mul_f64_e32 v[12:13], v[12:13], v[24:25]
	v_add_f64_e32 v[22:23], v[26:27], v[12:13]
	s_delay_alu instid0(VALU_DEP_1) | instskip(NEXT) | instid1(VALU_DEP_1)
	v_add_f64_e64 v[24:25], v[22:23], -v[26:27]
	v_add_f64_e64 v[12:13], v[12:13], -v[24:25]
	s_delay_alu instid0(VALU_DEP_1) | instskip(NEXT) | instid1(VALU_DEP_1)
	v_add_f64_e32 v[10:11], v[10:11], v[12:13]
	v_add_f64_e32 v[12:13], v[22:23], v[10:11]
	s_delay_alu instid0(VALU_DEP_1) | instskip(NEXT) | instid1(VALU_DEP_1)
	v_add_f64_e64 v[22:23], v[12:13], -v[22:23]
	v_add_f64_e64 v[10:11], v[10:11], -v[22:23]
	v_cvt_f64_i32_e32 v[22:23], v1
	s_delay_alu instid0(VALU_DEP_1) | instskip(NEXT) | instid1(VALU_DEP_1)
	v_mul_f64_e32 v[24:25], 0x3fe62e42fefa39ef, v[22:23]
	v_fma_f64 v[26:27], v[22:23], s[14:15], -v[24:25]
	s_delay_alu instid0(VALU_DEP_1) | instskip(NEXT) | instid1(VALU_DEP_1)
	v_fmac_f64_e32 v[26:27], 0x3c7abc9e3b39803f, v[22:23]
	v_add_f64_e32 v[22:23], v[24:25], v[26:27]
	s_delay_alu instid0(VALU_DEP_1) | instskip(NEXT) | instid1(VALU_DEP_1)
	v_add_f64_e64 v[24:25], v[22:23], -v[24:25]
	v_add_f64_e64 v[24:25], v[26:27], -v[24:25]
	v_add_f64_e32 v[26:27], v[22:23], v[12:13]
	s_delay_alu instid0(VALU_DEP_1) | instskip(NEXT) | instid1(VALU_DEP_1)
	v_add_f64_e64 v[28:29], v[26:27], -v[22:23]
	v_add_f64_e64 v[30:31], v[26:27], -v[28:29]
	;; [unrolled: 1-line block ×3, first 2 shown]
	s_delay_alu instid0(VALU_DEP_2) | instskip(NEXT) | instid1(VALU_DEP_1)
	v_add_f64_e64 v[22:23], v[22:23], -v[30:31]
	v_add_f64_e32 v[12:13], v[12:13], v[22:23]
	v_add_f64_e32 v[22:23], v[24:25], v[10:11]
	s_delay_alu instid0(VALU_DEP_1) | instskip(NEXT) | instid1(VALU_DEP_3)
	v_add_f64_e64 v[28:29], v[22:23], -v[24:25]
	v_add_f64_e32 v[12:13], v[22:23], v[12:13]
	s_delay_alu instid0(VALU_DEP_2) | instskip(SKIP_1) | instid1(VALU_DEP_3)
	v_add_f64_e64 v[30:31], v[22:23], -v[28:29]
	v_add_f64_e64 v[10:11], v[10:11], -v[28:29]
	v_add_f64_e32 v[22:23], v[26:27], v[12:13]
	s_delay_alu instid0(VALU_DEP_3) | instskip(NEXT) | instid1(VALU_DEP_1)
	v_add_f64_e64 v[24:25], v[24:25], -v[30:31]
	v_add_f64_e32 v[10:11], v[10:11], v[24:25]
	s_delay_alu instid0(VALU_DEP_3) | instskip(NEXT) | instid1(VALU_DEP_1)
	v_add_f64_e64 v[24:25], v[22:23], -v[26:27]
	v_add_f64_e64 v[12:13], v[12:13], -v[24:25]
	s_delay_alu instid0(VALU_DEP_1) | instskip(NEXT) | instid1(VALU_DEP_1)
	v_add_f64_e32 v[10:11], v[10:11], v[12:13]
	v_add_f64_e32 v[10:11], v[22:23], v[10:11]
	s_delay_alu instid0(VALU_DEP_1) | instskip(SKIP_1) | instid1(VALU_DEP_2)
	v_dual_cndmask_b32 v1, v10, v2 :: v_dual_cndmask_b32 v10, v11, v3
	v_cmp_ngt_f64_e32 vcc_lo, 0, v[2:3]
	v_cndmask_b32_e32 v11, 0x7ff80000, v10, vcc_lo
	v_cmp_nge_f64_e32 vcc_lo, 0, v[2:3]
	s_delay_alu instid0(VALU_DEP_4) | instskip(SKIP_4) | instid1(VALU_DEP_3)
	v_cndmask_b32_e32 v10, 0, v1, vcc_lo
	v_cmp_neq_f64_e32 vcc_lo, 0, v[2:3]
	v_frexp_mant_f64_e32 v[2:3], v[4:5]
	v_frexp_exp_i32_f64_e32 v1, v[4:5]
	v_cndmask_b32_e32 v11, 0xfff00000, v11, vcc_lo
	v_cmp_gt_f64_e32 vcc_lo, s[12:13], v[2:3]
	v_cndmask_b32_e64 v12, 0, 1, vcc_lo
	s_delay_alu instid0(VALU_DEP_4) | instskip(SKIP_1) | instid1(VALU_DEP_3)
	v_subrev_co_ci_u32_e64 v1, null, 0, v1, vcc_lo
	v_cmp_class_f64_e64 vcc_lo, v[4:5], 0x204
	v_ldexp_f64 v[2:3], v[2:3], v12
	s_delay_alu instid0(VALU_DEP_1) | instskip(SKIP_1) | instid1(VALU_DEP_2)
	v_add_f64_e32 v[22:23], 1.0, v[2:3]
	v_add_f64_e32 v[12:13], -1.0, v[2:3]
	v_add_f64_e32 v[24:25], -1.0, v[22:23]
	s_delay_alu instid0(VALU_DEP_1) | instskip(SKIP_2) | instid1(TRANS32_DEP_1)
	v_add_f64_e64 v[2:3], v[2:3], -v[24:25]
	v_rcp_f64_e32 v[24:25], v[22:23]
	v_nop
	v_fma_f64 v[26:27], -v[22:23], v[24:25], 1.0
	s_delay_alu instid0(VALU_DEP_1) | instskip(NEXT) | instid1(VALU_DEP_1)
	v_fmac_f64_e32 v[24:25], v[26:27], v[24:25]
	v_fma_f64 v[26:27], -v[22:23], v[24:25], 1.0
	s_delay_alu instid0(VALU_DEP_1) | instskip(NEXT) | instid1(VALU_DEP_1)
	v_fmac_f64_e32 v[24:25], v[26:27], v[24:25]
	v_mul_f64_e32 v[26:27], v[12:13], v[24:25]
	s_delay_alu instid0(VALU_DEP_1) | instskip(NEXT) | instid1(VALU_DEP_1)
	v_mul_f64_e32 v[28:29], v[22:23], v[26:27]
	v_fma_f64 v[22:23], v[26:27], v[22:23], -v[28:29]
	s_delay_alu instid0(VALU_DEP_1) | instskip(NEXT) | instid1(VALU_DEP_1)
	v_fmac_f64_e32 v[22:23], v[26:27], v[2:3]
	v_add_f64_e32 v[2:3], v[28:29], v[22:23]
	s_delay_alu instid0(VALU_DEP_1) | instskip(SKIP_1) | instid1(VALU_DEP_2)
	v_add_f64_e64 v[30:31], v[12:13], -v[2:3]
	v_add_f64_e64 v[28:29], v[2:3], -v[28:29]
	;; [unrolled: 1-line block ×3, first 2 shown]
	s_delay_alu instid0(VALU_DEP_1) | instskip(NEXT) | instid1(VALU_DEP_3)
	v_add_f64_e64 v[2:3], v[12:13], -v[2:3]
	v_add_f64_e64 v[12:13], v[28:29], -v[22:23]
	s_delay_alu instid0(VALU_DEP_1) | instskip(NEXT) | instid1(VALU_DEP_1)
	v_add_f64_e32 v[2:3], v[12:13], v[2:3]
	v_add_f64_e32 v[2:3], v[30:31], v[2:3]
	s_delay_alu instid0(VALU_DEP_1) | instskip(NEXT) | instid1(VALU_DEP_1)
	v_mul_f64_e32 v[2:3], v[24:25], v[2:3]
	v_add_f64_e32 v[12:13], v[26:27], v[2:3]
	s_delay_alu instid0(VALU_DEP_1) | instskip(SKIP_1) | instid1(VALU_DEP_2)
	v_add_f64_e64 v[22:23], v[12:13], -v[26:27]
	v_ldexp_f64 v[26:27], v[12:13], 1
	v_add_f64_e64 v[2:3], v[2:3], -v[22:23]
	v_mul_f64_e32 v[22:23], v[12:13], v[12:13]
	s_delay_alu instid0(VALU_DEP_2) | instskip(NEXT) | instid1(VALU_DEP_2)
	v_ldexp_f64 v[2:3], v[2:3], 1
	v_fmamk_f64 v[24:25], v[22:23], 0x3fc3ab76bf559e2b, v[16:17]
	v_mul_f64_e32 v[12:13], v[12:13], v[22:23]
	s_delay_alu instid0(VALU_DEP_2) | instskip(NEXT) | instid1(VALU_DEP_1)
	v_fmaak_f64 v[24:25], v[22:23], v[24:25], 0x3fc7474dd7f4df2e
	v_fmaak_f64 v[24:25], v[22:23], v[24:25], 0x3fcc71c016291751
	s_delay_alu instid0(VALU_DEP_1) | instskip(NEXT) | instid1(VALU_DEP_1)
	v_fmaak_f64 v[24:25], v[22:23], v[24:25], 0x3fd249249b27acf1
	v_fmaak_f64 v[24:25], v[22:23], v[24:25], 0x3fd99999998ef7b6
	s_delay_alu instid0(VALU_DEP_1) | instskip(NEXT) | instid1(VALU_DEP_1)
	v_fmaak_f64 v[24:25], v[22:23], v[24:25], 0x3fe5555555555780
	v_mul_f64_e32 v[12:13], v[12:13], v[24:25]
	s_delay_alu instid0(VALU_DEP_1) | instskip(NEXT) | instid1(VALU_DEP_1)
	v_add_f64_e32 v[22:23], v[26:27], v[12:13]
	v_add_f64_e64 v[24:25], v[22:23], -v[26:27]
	s_delay_alu instid0(VALU_DEP_1) | instskip(NEXT) | instid1(VALU_DEP_1)
	v_add_f64_e64 v[12:13], v[12:13], -v[24:25]
	v_add_f64_e32 v[2:3], v[2:3], v[12:13]
	s_delay_alu instid0(VALU_DEP_1) | instskip(NEXT) | instid1(VALU_DEP_1)
	v_add_f64_e32 v[12:13], v[22:23], v[2:3]
	v_add_f64_e64 v[22:23], v[12:13], -v[22:23]
	s_delay_alu instid0(VALU_DEP_1) | instskip(SKIP_1) | instid1(VALU_DEP_1)
	v_add_f64_e64 v[2:3], v[2:3], -v[22:23]
	v_cvt_f64_i32_e32 v[22:23], v1
	v_mul_f64_e32 v[24:25], 0x3fe62e42fefa39ef, v[22:23]
	s_delay_alu instid0(VALU_DEP_1) | instskip(NEXT) | instid1(VALU_DEP_1)
	v_fma_f64 v[26:27], v[22:23], s[14:15], -v[24:25]
	v_fmac_f64_e32 v[26:27], 0x3c7abc9e3b39803f, v[22:23]
	s_delay_alu instid0(VALU_DEP_1) | instskip(NEXT) | instid1(VALU_DEP_1)
	v_add_f64_e32 v[22:23], v[24:25], v[26:27]
	v_add_f64_e64 v[24:25], v[22:23], -v[24:25]
	s_delay_alu instid0(VALU_DEP_1) | instskip(SKIP_1) | instid1(VALU_DEP_1)
	v_add_f64_e64 v[24:25], v[26:27], -v[24:25]
	v_add_f64_e32 v[26:27], v[22:23], v[12:13]
	v_add_f64_e64 v[28:29], v[26:27], -v[22:23]
	s_delay_alu instid0(VALU_DEP_1) | instskip(SKIP_1) | instid1(VALU_DEP_2)
	v_add_f64_e64 v[30:31], v[26:27], -v[28:29]
	v_add_f64_e64 v[12:13], v[12:13], -v[28:29]
	;; [unrolled: 1-line block ×3, first 2 shown]
	s_delay_alu instid0(VALU_DEP_1) | instskip(SKIP_1) | instid1(VALU_DEP_1)
	v_add_f64_e32 v[12:13], v[12:13], v[22:23]
	v_add_f64_e32 v[22:23], v[24:25], v[2:3]
	v_add_f64_e64 v[28:29], v[22:23], -v[24:25]
	s_delay_alu instid0(VALU_DEP_3) | instskip(NEXT) | instid1(VALU_DEP_2)
	v_add_f64_e32 v[12:13], v[22:23], v[12:13]
	v_add_f64_e64 v[30:31], v[22:23], -v[28:29]
	v_add_f64_e64 v[2:3], v[2:3], -v[28:29]
	s_delay_alu instid0(VALU_DEP_3) | instskip(NEXT) | instid1(VALU_DEP_3)
	v_add_f64_e32 v[22:23], v[26:27], v[12:13]
	v_add_f64_e64 v[24:25], v[24:25], -v[30:31]
	s_delay_alu instid0(VALU_DEP_1) | instskip(NEXT) | instid1(VALU_DEP_3)
	v_add_f64_e32 v[2:3], v[2:3], v[24:25]
	v_add_f64_e64 v[24:25], v[22:23], -v[26:27]
	s_delay_alu instid0(VALU_DEP_1) | instskip(NEXT) | instid1(VALU_DEP_1)
	v_add_f64_e64 v[12:13], v[12:13], -v[24:25]
	v_add_f64_e32 v[2:3], v[2:3], v[12:13]
	s_delay_alu instid0(VALU_DEP_1) | instskip(NEXT) | instid1(VALU_DEP_1)
	v_add_f64_e32 v[2:3], v[22:23], v[2:3]
	v_dual_cndmask_b32 v1, v2, v4 :: v_dual_cndmask_b32 v2, v3, v5
	v_cmp_ngt_f64_e32 vcc_lo, 0, v[4:5]
	s_delay_alu instid0(VALU_DEP_2) | instskip(SKIP_1) | instid1(VALU_DEP_4)
	v_cndmask_b32_e32 v2, 0x7ff80000, v2, vcc_lo
	v_cmp_nge_f64_e32 vcc_lo, 0, v[4:5]
	v_cndmask_b32_e32 v12, 0, v1, vcc_lo
	v_cmp_neq_f64_e32 vcc_lo, 0, v[4:5]
	s_delay_alu instid0(VALU_DEP_4)
	v_cndmask_b32_e32 v13, 0xfff00000, v2, vcc_lo
	v_add_nc_u64_e32 v[2:3], s[6:7], v[18:19]
	s_clause 0x1
	global_store_b128 v[2:3], v[6:9], off
	global_store_b128 v[2:3], v[10:13], off offset:16
	s_wait_xcnt 0x0
	v_lshlrev_b64_e32 v[2:3], 2, v[20:21]
	v_add_nc_u64_e32 v[18:19], s[16:17], v[18:19]
	s_delay_alu instid0(VALU_DEP_2) | instskip(SKIP_1) | instid1(SALU_CYCLE_1)
	v_cmp_ge_i64_e32 vcc_lo, v[2:3], v[14:15]
	s_or_b32 s19, vcc_lo, s19
	s_and_not1_b32 exec_lo, exec_lo, s19
	s_cbranch_execnz .LBB165_3
.LBB165_4:
	s_or_b32 exec_lo, exec_lo, s18
	s_mov_b32 s10, 0
.LBB165_5:
	s_delay_alu instid0(SALU_CYCLE_1)
	s_and_not1_b32 vcc_lo, exec_lo, s10
	s_cbranch_vccnz .LBB165_25
; %bb.6:
	v_cmp_lt_i64_e64 s10, s[8:9], 1
	s_and_b32 vcc_lo, exec_lo, s10
	s_cbranch_vccnz .LBB165_25
; %bb.7:
	s_load_b32 s0, s[0:1], 0xc5c
	v_min_i64 v[2:3], 0x10000, s[8:9]
	v_min_u64 v[4:5], 0x10000, s[8:9]
	v_dual_mov_b32 v1, 0 :: v_dual_lshlrev_b32 v10, 3, v0
	s_mov_b32 s13, 0
	v_mov_b64_e32 v[28:29], 0x3fc385386b47b09a
	s_mov_b32 s17, s13
	s_delay_alu instid0(VALU_DEP_2)
	v_dual_mov_b32 v11, v1 :: v_dual_mov_b32 v27, v1
	s_wait_xcnt 0x0
	s_mov_b32 s1, s13
	s_mov_b32 s15, s13
	s_mov_b64 s[8:9], 0x3fe5555555555555
	v_add_nc_u64_e32 v[6:7], s[2:3], v[10:11]
	s_mov_b64 s[10:11], 0x3fe62e42fefa39ef
                                        ; implicit-def: $vgpr30_vgpr31
                                        ; implicit-def: $vgpr30_vgpr31
	;; [unrolled: 1-line block ×5, first 2 shown]
	s_wait_kmcnt 0x0
	s_and_b32 s12, s0, 0xffff
	s_delay_alu instid0(SALU_CYCLE_1)
	v_add_nc_u64_e32 v[8:9], s[12:13], v[0:1]
	v_mad_nc_u64_u32 v[22:23], s12, 24, v[10:11]
	s_lshl_b32 s16, s12, 4
	s_mul_i32 s14, s12, 3
	v_add_nc_u64_e32 v[18:19], s[16:17], v[10:11]
	s_lshl_b32 s0, s12, 1
	v_add_nc_u64_e32 v[10:11], s[6:7], v[10:11]
	v_lshlrev_b32_e32 v26, 3, v8
	v_add_nc_u64_e32 v[12:13], s[14:15], v[0:1]
	v_add_nc_u64_e32 v[14:15], s[0:1], v[0:1]
	s_mov_b64 s[14:15], 0
	v_add_nc_u64_e32 v[16:17], s[2:3], v[18:19]
	v_add_nc_u64_e32 v[18:19], s[6:7], v[18:19]
	;; [unrolled: 1-line block ×6, first 2 shown]
	s_lshl_b32 s6, s12, 2
	s_mov_b32 s7, s13
	s_lshl_b32 s12, s12, 5
	s_branch .LBB165_9
.LBB165_8:                              ;   in Loop: Header=BB165_9 Depth=1
	s_wait_xcnt 0x0
	s_or_b32 exec_lo, exec_lo, s0
	s_add_nc_u64 s[14:15], s[14:15], s[6:7]
	v_add_nc_u64_e32 v[6:7], s[12:13], v[6:7]
	v_cmp_ge_i64_e32 vcc_lo, s[14:15], v[2:3]
	v_add_nc_u64_e32 v[10:11], s[12:13], v[10:11]
	v_add_nc_u64_e32 v[20:21], s[12:13], v[20:21]
	;; [unrolled: 1-line block ×7, first 2 shown]
	s_cbranch_vccnz .LBB165_25
.LBB165_9:                              ; =>This Inner Loop Header: Depth=1
	s_wait_loadcnt 0x0
	v_add_nc_u64_e32 v[30:31], s[14:15], v[0:1]
	v_mov_b64_e32 v[34:35], 0
	v_mov_b64_e32 v[36:37], 0
	s_delay_alu instid0(VALU_DEP_3)
	v_cmp_lt_u64_e64 s2, v[30:31], v[4:5]
	s_and_saveexec_b32 s0, s2
	s_cbranch_execz .LBB165_11
; %bb.10:                               ;   in Loop: Header=BB165_9 Depth=1
	v_add_nc_u64_e32 v[30:31], s[4:5], v[6:7]
	global_load_b64 v[36:37], v[30:31], off
.LBB165_11:                             ;   in Loop: Header=BB165_9 Depth=1
	s_wait_xcnt 0x0
	s_or_b32 exec_lo, exec_lo, s0
	v_add_nc_u64_e32 v[30:31], s[14:15], v[8:9]
	s_delay_alu instid0(VALU_DEP_1)
	v_cmp_lt_u64_e64 s1, v[30:31], v[4:5]
	s_and_saveexec_b32 s0, s1
	s_cbranch_execz .LBB165_13
; %bb.12:                               ;   in Loop: Header=BB165_9 Depth=1
	v_add_nc_u64_e32 v[30:31], s[4:5], v[24:25]
	global_load_b64 v[34:35], v[30:31], off
.LBB165_13:                             ;   in Loop: Header=BB165_9 Depth=1
	s_wait_xcnt 0x0
	s_or_b32 exec_lo, exec_lo, s0
	v_add_nc_u64_e32 v[32:33], s[14:15], v[14:15]
	v_mov_b64_e32 v[30:31], 0
	s_delay_alu instid0(VALU_DEP_2)
	v_cmp_lt_u64_e64 s0, v[32:33], v[4:5]
	v_mov_b64_e32 v[32:33], 0
	s_and_saveexec_b32 s3, s0
	s_cbranch_execz .LBB165_15
; %bb.14:                               ;   in Loop: Header=BB165_9 Depth=1
	v_add_nc_u64_e32 v[32:33], s[4:5], v[16:17]
	global_load_b64 v[32:33], v[32:33], off
.LBB165_15:                             ;   in Loop: Header=BB165_9 Depth=1
	s_wait_xcnt 0x0
	s_or_b32 exec_lo, exec_lo, s3
	v_add_nc_u64_e32 v[38:39], s[14:15], v[12:13]
	s_delay_alu instid0(VALU_DEP_1)
	v_cmp_lt_u64_e32 vcc_lo, v[38:39], v[4:5]
	s_and_saveexec_b32 s3, vcc_lo
	s_cbranch_execnz .LBB165_20
; %bb.16:                               ;   in Loop: Header=BB165_9 Depth=1
	s_or_b32 exec_lo, exec_lo, s3
	s_and_saveexec_b32 s3, s2
	s_cbranch_execnz .LBB165_21
.LBB165_17:                             ;   in Loop: Header=BB165_9 Depth=1
	s_or_b32 exec_lo, exec_lo, s3
	s_and_saveexec_b32 s2, s1
	s_cbranch_execnz .LBB165_22
.LBB165_18:                             ;   in Loop: Header=BB165_9 Depth=1
	s_or_b32 exec_lo, exec_lo, s2
	s_and_saveexec_b32 s1, s0
	s_cbranch_execnz .LBB165_23
.LBB165_19:                             ;   in Loop: Header=BB165_9 Depth=1
	s_or_b32 exec_lo, exec_lo, s1
	s_and_saveexec_b32 s0, vcc_lo
	s_cbranch_execz .LBB165_8
	s_branch .LBB165_24
.LBB165_20:                             ;   in Loop: Header=BB165_9 Depth=1
	v_add_nc_u64_e32 v[30:31], s[4:5], v[20:21]
	global_load_b64 v[30:31], v[30:31], off
	s_wait_xcnt 0x0
	s_or_b32 exec_lo, exec_lo, s3
	s_and_saveexec_b32 s3, s2
	s_cbranch_execz .LBB165_17
.LBB165_21:                             ;   in Loop: Header=BB165_9 Depth=1
	s_wait_loadcnt 0x0
	v_frexp_mant_f64_e32 v[38:39], v[36:37]
	v_frexp_exp_i32_f64_e32 v40, v[36:37]
	s_delay_alu instid0(VALU_DEP_2) | instskip(NEXT) | instid1(VALU_DEP_1)
	v_cmp_gt_f64_e64 s2, s[8:9], v[38:39]
	v_subrev_co_ci_u32_e64 v52, null, 0, v40, s2
	v_cndmask_b32_e64 v40, 0, 1, s2
	v_cmp_class_f64_e64 s2, v[36:37], 0x204
	s_delay_alu instid0(VALU_DEP_2) | instskip(NEXT) | instid1(VALU_DEP_1)
	v_ldexp_f64 v[38:39], v[38:39], v40
	v_add_f64_e32 v[40:41], 1.0, v[38:39]
	v_add_f64_e32 v[46:47], -1.0, v[38:39]
	s_delay_alu instid0(VALU_DEP_2) | instskip(SKIP_1) | instid1(VALU_DEP_1)
	v_rcp_f64_e32 v[42:43], v[40:41]
	v_add_f64_e32 v[48:49], -1.0, v[40:41]
	v_add_f64_e64 v[38:39], v[38:39], -v[48:49]
	s_delay_alu instid0(TRANS32_DEP_1) | instskip(NEXT) | instid1(VALU_DEP_1)
	v_fma_f64 v[44:45], -v[40:41], v[42:43], 1.0
	v_fmac_f64_e32 v[42:43], v[44:45], v[42:43]
	s_delay_alu instid0(VALU_DEP_1) | instskip(NEXT) | instid1(VALU_DEP_1)
	v_fma_f64 v[44:45], -v[40:41], v[42:43], 1.0
	v_fmac_f64_e32 v[42:43], v[44:45], v[42:43]
	s_delay_alu instid0(VALU_DEP_1) | instskip(NEXT) | instid1(VALU_DEP_1)
	v_mul_f64_e32 v[44:45], v[46:47], v[42:43]
	v_mul_f64_e32 v[50:51], v[40:41], v[44:45]
	s_delay_alu instid0(VALU_DEP_1) | instskip(NEXT) | instid1(VALU_DEP_1)
	v_fma_f64 v[40:41], v[44:45], v[40:41], -v[50:51]
	v_fmac_f64_e32 v[40:41], v[44:45], v[38:39]
	s_delay_alu instid0(VALU_DEP_1) | instskip(NEXT) | instid1(VALU_DEP_1)
	v_add_f64_e32 v[38:39], v[50:51], v[40:41]
	v_add_f64_e64 v[48:49], v[46:47], -v[38:39]
	v_add_f64_e64 v[50:51], v[38:39], -v[50:51]
	s_delay_alu instid0(VALU_DEP_2) | instskip(NEXT) | instid1(VALU_DEP_2)
	v_add_f64_e64 v[46:47], v[46:47], -v[48:49]
	v_add_f64_e64 v[40:41], v[50:51], -v[40:41]
	s_delay_alu instid0(VALU_DEP_2) | instskip(NEXT) | instid1(VALU_DEP_1)
	v_add_f64_e64 v[38:39], v[46:47], -v[38:39]
	v_add_f64_e32 v[38:39], v[40:41], v[38:39]
	s_delay_alu instid0(VALU_DEP_1) | instskip(NEXT) | instid1(VALU_DEP_1)
	v_add_f64_e32 v[38:39], v[48:49], v[38:39]
	v_mul_f64_e32 v[38:39], v[42:43], v[38:39]
	s_delay_alu instid0(VALU_DEP_1) | instskip(NEXT) | instid1(VALU_DEP_1)
	v_add_f64_e32 v[40:41], v[44:45], v[38:39]
	v_mul_f64_e32 v[42:43], v[40:41], v[40:41]
	s_delay_alu instid0(VALU_DEP_1) | instskip(SKIP_1) | instid1(VALU_DEP_2)
	v_fmamk_f64 v[46:47], v[42:43], 0x3fc3ab76bf559e2b, v[28:29]
	v_mul_f64_e32 v[48:49], v[40:41], v[42:43]
	v_fmaak_f64 v[46:47], v[42:43], v[46:47], 0x3fc7474dd7f4df2e
	s_delay_alu instid0(VALU_DEP_1) | instskip(NEXT) | instid1(VALU_DEP_1)
	v_fmaak_f64 v[46:47], v[42:43], v[46:47], 0x3fcc71c016291751
	v_fmaak_f64 v[46:47], v[42:43], v[46:47], 0x3fd249249b27acf1
	s_delay_alu instid0(VALU_DEP_1) | instskip(NEXT) | instid1(VALU_DEP_1)
	v_fmaak_f64 v[46:47], v[42:43], v[46:47], 0x3fd99999998ef7b6
	v_fmaak_f64 v[42:43], v[42:43], v[46:47], 0x3fe5555555555780
	v_ldexp_f64 v[46:47], v[40:41], 1
	v_add_f64_e64 v[40:41], v[40:41], -v[44:45]
	s_delay_alu instid0(VALU_DEP_3) | instskip(SKIP_1) | instid1(VALU_DEP_3)
	v_mul_f64_e32 v[42:43], v[48:49], v[42:43]
	v_cvt_f64_i32_e32 v[48:49], v52
	v_add_f64_e64 v[38:39], v[38:39], -v[40:41]
	s_delay_alu instid0(VALU_DEP_3) | instskip(NEXT) | instid1(VALU_DEP_3)
	v_add_f64_e32 v[44:45], v[46:47], v[42:43]
	v_mul_f64_e32 v[50:51], 0x3fe62e42fefa39ef, v[48:49]
	s_delay_alu instid0(VALU_DEP_3) | instskip(NEXT) | instid1(VALU_DEP_3)
	v_ldexp_f64 v[38:39], v[38:39], 1
	v_add_f64_e64 v[40:41], v[44:45], -v[46:47]
	s_delay_alu instid0(VALU_DEP_3) | instskip(NEXT) | instid1(VALU_DEP_2)
	v_fma_f64 v[46:47], v[48:49], s[10:11], -v[50:51]
	v_add_f64_e64 v[40:41], v[42:43], -v[40:41]
	s_delay_alu instid0(VALU_DEP_2) | instskip(NEXT) | instid1(VALU_DEP_2)
	v_fmac_f64_e32 v[46:47], 0x3c7abc9e3b39803f, v[48:49]
	v_add_f64_e32 v[38:39], v[38:39], v[40:41]
	s_delay_alu instid0(VALU_DEP_2) | instskip(NEXT) | instid1(VALU_DEP_2)
	v_add_f64_e32 v[40:41], v[50:51], v[46:47]
	v_add_f64_e32 v[42:43], v[44:45], v[38:39]
	s_delay_alu instid0(VALU_DEP_2) | instskip(NEXT) | instid1(VALU_DEP_2)
	v_add_f64_e64 v[50:51], v[40:41], -v[50:51]
	v_add_f64_e32 v[48:49], v[40:41], v[42:43]
	v_add_f64_e64 v[44:45], v[42:43], -v[44:45]
	s_delay_alu instid0(VALU_DEP_3) | instskip(NEXT) | instid1(VALU_DEP_3)
	v_add_f64_e64 v[46:47], v[46:47], -v[50:51]
	v_add_f64_e64 v[52:53], v[48:49], -v[40:41]
	s_delay_alu instid0(VALU_DEP_3) | instskip(NEXT) | instid1(VALU_DEP_2)
	v_add_f64_e64 v[38:39], v[38:39], -v[44:45]
	v_add_f64_e64 v[54:55], v[48:49], -v[52:53]
	;; [unrolled: 1-line block ×3, first 2 shown]
	s_delay_alu instid0(VALU_DEP_3) | instskip(NEXT) | instid1(VALU_DEP_3)
	v_add_f64_e32 v[44:45], v[46:47], v[38:39]
	v_add_f64_e64 v[40:41], v[40:41], -v[54:55]
	s_delay_alu instid0(VALU_DEP_1) | instskip(NEXT) | instid1(VALU_DEP_3)
	v_add_f64_e32 v[40:41], v[42:43], v[40:41]
	v_add_f64_e64 v[42:43], v[44:45], -v[46:47]
	s_delay_alu instid0(VALU_DEP_2) | instskip(NEXT) | instid1(VALU_DEP_2)
	v_add_f64_e32 v[40:41], v[44:45], v[40:41]
	v_add_f64_e64 v[44:45], v[44:45], -v[42:43]
	v_add_f64_e64 v[38:39], v[38:39], -v[42:43]
	s_delay_alu instid0(VALU_DEP_3) | instskip(NEXT) | instid1(VALU_DEP_3)
	v_add_f64_e32 v[50:51], v[48:49], v[40:41]
	v_add_f64_e64 v[42:43], v[46:47], -v[44:45]
	s_delay_alu instid0(VALU_DEP_2) | instskip(NEXT) | instid1(VALU_DEP_2)
	v_add_f64_e64 v[44:45], v[50:51], -v[48:49]
	v_add_f64_e32 v[38:39], v[38:39], v[42:43]
	s_delay_alu instid0(VALU_DEP_2) | instskip(NEXT) | instid1(VALU_DEP_1)
	v_add_f64_e64 v[40:41], v[40:41], -v[44:45]
	v_add_f64_e32 v[38:39], v[38:39], v[40:41]
	v_add_nc_u64_e32 v[40:41], s[4:5], v[10:11]
	s_delay_alu instid0(VALU_DEP_2) | instskip(NEXT) | instid1(VALU_DEP_1)
	v_add_f64_e32 v[38:39], v[50:51], v[38:39]
	v_dual_cndmask_b32 v38, v38, v36, s2 :: v_dual_cndmask_b32 v39, v39, v37, s2
	v_cmp_ngt_f64_e64 s2, 0, v[36:37]
	s_delay_alu instid0(VALU_DEP_1) | instskip(SKIP_1) | instid1(VALU_DEP_1)
	v_cndmask_b32_e64 v39, 0x7ff80000, v39, s2
	v_cmp_nge_f64_e64 s2, 0, v[36:37]
	v_cndmask_b32_e64 v38, 0, v38, s2
	v_cmp_neq_f64_e64 s2, 0, v[36:37]
	s_delay_alu instid0(VALU_DEP_1)
	v_cndmask_b32_e64 v39, 0xfff00000, v39, s2
	global_store_b64 v[40:41], v[38:39], off
	s_wait_xcnt 0x0
	s_or_b32 exec_lo, exec_lo, s3
	s_and_saveexec_b32 s2, s1
	s_cbranch_execz .LBB165_18
.LBB165_22:                             ;   in Loop: Header=BB165_9 Depth=1
	s_wait_loadcnt 0x0
	v_frexp_mant_f64_e32 v[36:37], v[34:35]
	s_delay_alu instid0(VALU_DEP_1) | instskip(NEXT) | instid1(VALU_DEP_1)
	v_cmp_gt_f64_e64 s1, s[8:9], v[36:37]
	v_cndmask_b32_e64 v38, 0, 1, s1
	s_delay_alu instid0(VALU_DEP_1) | instskip(NEXT) | instid1(VALU_DEP_1)
	v_ldexp_f64 v[36:37], v[36:37], v38
	v_add_f64_e32 v[38:39], 1.0, v[36:37]
	v_add_f64_e32 v[44:45], -1.0, v[36:37]
	s_delay_alu instid0(VALU_DEP_2) | instskip(SKIP_1) | instid1(VALU_DEP_1)
	v_rcp_f64_e32 v[40:41], v[38:39]
	v_add_f64_e32 v[46:47], -1.0, v[38:39]
	v_add_f64_e64 v[36:37], v[36:37], -v[46:47]
	s_delay_alu instid0(TRANS32_DEP_1) | instskip(NEXT) | instid1(VALU_DEP_1)
	v_fma_f64 v[42:43], -v[38:39], v[40:41], 1.0
	v_fmac_f64_e32 v[40:41], v[42:43], v[40:41]
	s_delay_alu instid0(VALU_DEP_1) | instskip(NEXT) | instid1(VALU_DEP_1)
	v_fma_f64 v[42:43], -v[38:39], v[40:41], 1.0
	v_fmac_f64_e32 v[40:41], v[42:43], v[40:41]
	s_delay_alu instid0(VALU_DEP_1) | instskip(NEXT) | instid1(VALU_DEP_1)
	v_mul_f64_e32 v[42:43], v[44:45], v[40:41]
	v_mul_f64_e32 v[48:49], v[38:39], v[42:43]
	s_delay_alu instid0(VALU_DEP_1) | instskip(NEXT) | instid1(VALU_DEP_1)
	v_fma_f64 v[38:39], v[42:43], v[38:39], -v[48:49]
	v_fmac_f64_e32 v[38:39], v[42:43], v[36:37]
	s_delay_alu instid0(VALU_DEP_1) | instskip(NEXT) | instid1(VALU_DEP_1)
	v_add_f64_e32 v[36:37], v[48:49], v[38:39]
	v_add_f64_e64 v[46:47], v[44:45], -v[36:37]
	v_add_f64_e64 v[48:49], v[36:37], -v[48:49]
	s_delay_alu instid0(VALU_DEP_2) | instskip(NEXT) | instid1(VALU_DEP_2)
	v_add_f64_e64 v[44:45], v[44:45], -v[46:47]
	v_add_f64_e64 v[38:39], v[48:49], -v[38:39]
	v_frexp_exp_i32_f64_e32 v48, v[34:35]
	s_delay_alu instid0(VALU_DEP_3) | instskip(NEXT) | instid1(VALU_DEP_1)
	v_add_f64_e64 v[36:37], v[44:45], -v[36:37]
	v_add_f64_e32 v[36:37], v[38:39], v[36:37]
	s_delay_alu instid0(VALU_DEP_1) | instskip(NEXT) | instid1(VALU_DEP_1)
	v_add_f64_e32 v[36:37], v[46:47], v[36:37]
	v_mul_f64_e32 v[36:37], v[40:41], v[36:37]
	s_delay_alu instid0(VALU_DEP_1) | instskip(NEXT) | instid1(VALU_DEP_1)
	v_add_f64_e32 v[38:39], v[42:43], v[36:37]
	v_mul_f64_e32 v[40:41], v[38:39], v[38:39]
	s_delay_alu instid0(VALU_DEP_1) | instskip(SKIP_1) | instid1(VALU_DEP_2)
	v_fmamk_f64 v[44:45], v[40:41], 0x3fc3ab76bf559e2b, v[28:29]
	v_mul_f64_e32 v[46:47], v[38:39], v[40:41]
	v_fmaak_f64 v[44:45], v[40:41], v[44:45], 0x3fc7474dd7f4df2e
	s_delay_alu instid0(VALU_DEP_1) | instskip(NEXT) | instid1(VALU_DEP_1)
	v_fmaak_f64 v[44:45], v[40:41], v[44:45], 0x3fcc71c016291751
	v_fmaak_f64 v[44:45], v[40:41], v[44:45], 0x3fd249249b27acf1
	s_delay_alu instid0(VALU_DEP_1) | instskip(NEXT) | instid1(VALU_DEP_1)
	v_fmaak_f64 v[44:45], v[40:41], v[44:45], 0x3fd99999998ef7b6
	v_fmaak_f64 v[40:41], v[40:41], v[44:45], 0x3fe5555555555780
	v_ldexp_f64 v[44:45], v[38:39], 1
	v_add_f64_e64 v[38:39], v[38:39], -v[42:43]
	s_delay_alu instid0(VALU_DEP_3) | instskip(SKIP_2) | instid1(VALU_DEP_2)
	v_mul_f64_e32 v[40:41], v[46:47], v[40:41]
	v_subrev_co_ci_u32_e64 v46, null, 0, v48, s1
	v_cmp_class_f64_e64 s1, v[34:35], 0x204
	v_cvt_f64_i32_e32 v[46:47], v46
	v_add_f64_e64 v[36:37], v[36:37], -v[38:39]
	v_add_f64_e32 v[42:43], v[44:45], v[40:41]
	s_delay_alu instid0(VALU_DEP_3) | instskip(NEXT) | instid1(VALU_DEP_3)
	v_mul_f64_e32 v[48:49], 0x3fe62e42fefa39ef, v[46:47]
	v_ldexp_f64 v[36:37], v[36:37], 1
	s_delay_alu instid0(VALU_DEP_3) | instskip(NEXT) | instid1(VALU_DEP_3)
	v_add_f64_e64 v[38:39], v[42:43], -v[44:45]
	v_fma_f64 v[44:45], v[46:47], s[10:11], -v[48:49]
	s_delay_alu instid0(VALU_DEP_2) | instskip(NEXT) | instid1(VALU_DEP_2)
	v_add_f64_e64 v[38:39], v[40:41], -v[38:39]
	v_fmac_f64_e32 v[44:45], 0x3c7abc9e3b39803f, v[46:47]
	s_delay_alu instid0(VALU_DEP_2) | instskip(NEXT) | instid1(VALU_DEP_2)
	v_add_f64_e32 v[36:37], v[36:37], v[38:39]
	v_add_f64_e32 v[38:39], v[48:49], v[44:45]
	s_delay_alu instid0(VALU_DEP_2) | instskip(NEXT) | instid1(VALU_DEP_2)
	v_add_f64_e32 v[40:41], v[42:43], v[36:37]
	v_add_f64_e64 v[48:49], v[38:39], -v[48:49]
	s_delay_alu instid0(VALU_DEP_2) | instskip(SKIP_1) | instid1(VALU_DEP_3)
	v_add_f64_e32 v[46:47], v[38:39], v[40:41]
	v_add_f64_e64 v[42:43], v[40:41], -v[42:43]
	v_add_f64_e64 v[44:45], v[44:45], -v[48:49]
	s_delay_alu instid0(VALU_DEP_3) | instskip(NEXT) | instid1(VALU_DEP_3)
	v_add_f64_e64 v[50:51], v[46:47], -v[38:39]
	v_add_f64_e64 v[36:37], v[36:37], -v[42:43]
	s_delay_alu instid0(VALU_DEP_2) | instskip(SKIP_1) | instid1(VALU_DEP_3)
	v_add_f64_e64 v[52:53], v[46:47], -v[50:51]
	v_add_f64_e64 v[40:41], v[40:41], -v[50:51]
	v_add_f64_e32 v[42:43], v[44:45], v[36:37]
	s_delay_alu instid0(VALU_DEP_3) | instskip(NEXT) | instid1(VALU_DEP_1)
	v_add_f64_e64 v[38:39], v[38:39], -v[52:53]
	v_add_f64_e32 v[38:39], v[40:41], v[38:39]
	s_delay_alu instid0(VALU_DEP_3) | instskip(NEXT) | instid1(VALU_DEP_2)
	v_add_f64_e64 v[40:41], v[42:43], -v[44:45]
	v_add_f64_e32 v[38:39], v[42:43], v[38:39]
	s_delay_alu instid0(VALU_DEP_2) | instskip(SKIP_1) | instid1(VALU_DEP_3)
	v_add_f64_e64 v[42:43], v[42:43], -v[40:41]
	v_add_f64_e64 v[36:37], v[36:37], -v[40:41]
	v_add_f64_e32 v[48:49], v[46:47], v[38:39]
	s_delay_alu instid0(VALU_DEP_3) | instskip(NEXT) | instid1(VALU_DEP_2)
	v_add_f64_e64 v[40:41], v[44:45], -v[42:43]
	v_add_f64_e64 v[42:43], v[48:49], -v[46:47]
	s_delay_alu instid0(VALU_DEP_2) | instskip(NEXT) | instid1(VALU_DEP_2)
	v_add_f64_e32 v[36:37], v[36:37], v[40:41]
	v_add_f64_e64 v[38:39], v[38:39], -v[42:43]
	s_delay_alu instid0(VALU_DEP_1) | instskip(SKIP_1) | instid1(VALU_DEP_2)
	v_add_f64_e32 v[36:37], v[36:37], v[38:39]
	v_add_nc_u64_e32 v[38:39], s[4:5], v[26:27]
	v_add_f64_e32 v[36:37], v[48:49], v[36:37]
	s_delay_alu instid0(VALU_DEP_1) | instskip(SKIP_1) | instid1(VALU_DEP_1)
	v_dual_cndmask_b32 v36, v36, v34, s1 :: v_dual_cndmask_b32 v37, v37, v35, s1
	v_cmp_ngt_f64_e64 s1, 0, v[34:35]
	v_cndmask_b32_e64 v37, 0x7ff80000, v37, s1
	v_cmp_nge_f64_e64 s1, 0, v[34:35]
	s_delay_alu instid0(VALU_DEP_1) | instskip(SKIP_1) | instid1(VALU_DEP_1)
	v_cndmask_b32_e64 v36, 0, v36, s1
	v_cmp_neq_f64_e64 s1, 0, v[34:35]
	v_cndmask_b32_e64 v37, 0xfff00000, v37, s1
	global_store_b64 v[38:39], v[36:37], off
	s_wait_xcnt 0x0
	s_or_b32 exec_lo, exec_lo, s2
	s_and_saveexec_b32 s1, s0
	s_cbranch_execz .LBB165_19
.LBB165_23:                             ;   in Loop: Header=BB165_9 Depth=1
	s_wait_loadcnt 0x0
	v_frexp_mant_f64_e32 v[34:35], v[32:33]
	s_delay_alu instid0(VALU_DEP_1) | instskip(NEXT) | instid1(VALU_DEP_1)
	v_cmp_gt_f64_e64 s0, s[8:9], v[34:35]
	v_cndmask_b32_e64 v36, 0, 1, s0
	s_delay_alu instid0(VALU_DEP_1) | instskip(NEXT) | instid1(VALU_DEP_1)
	v_ldexp_f64 v[34:35], v[34:35], v36
	v_add_f64_e32 v[36:37], 1.0, v[34:35]
	v_add_f64_e32 v[42:43], -1.0, v[34:35]
	s_delay_alu instid0(VALU_DEP_2) | instskip(SKIP_1) | instid1(VALU_DEP_1)
	v_rcp_f64_e32 v[38:39], v[36:37]
	v_add_f64_e32 v[44:45], -1.0, v[36:37]
	v_add_f64_e64 v[34:35], v[34:35], -v[44:45]
	s_delay_alu instid0(TRANS32_DEP_1) | instskip(NEXT) | instid1(VALU_DEP_1)
	v_fma_f64 v[40:41], -v[36:37], v[38:39], 1.0
	v_fmac_f64_e32 v[38:39], v[40:41], v[38:39]
	s_delay_alu instid0(VALU_DEP_1) | instskip(NEXT) | instid1(VALU_DEP_1)
	v_fma_f64 v[40:41], -v[36:37], v[38:39], 1.0
	v_fmac_f64_e32 v[38:39], v[40:41], v[38:39]
	s_delay_alu instid0(VALU_DEP_1) | instskip(NEXT) | instid1(VALU_DEP_1)
	v_mul_f64_e32 v[40:41], v[42:43], v[38:39]
	v_mul_f64_e32 v[46:47], v[36:37], v[40:41]
	s_delay_alu instid0(VALU_DEP_1) | instskip(NEXT) | instid1(VALU_DEP_1)
	v_fma_f64 v[36:37], v[40:41], v[36:37], -v[46:47]
	v_fmac_f64_e32 v[36:37], v[40:41], v[34:35]
	s_delay_alu instid0(VALU_DEP_1) | instskip(NEXT) | instid1(VALU_DEP_1)
	v_add_f64_e32 v[34:35], v[46:47], v[36:37]
	v_add_f64_e64 v[44:45], v[42:43], -v[34:35]
	v_add_f64_e64 v[46:47], v[34:35], -v[46:47]
	s_delay_alu instid0(VALU_DEP_2) | instskip(NEXT) | instid1(VALU_DEP_2)
	v_add_f64_e64 v[42:43], v[42:43], -v[44:45]
	v_add_f64_e64 v[36:37], v[46:47], -v[36:37]
	v_frexp_exp_i32_f64_e32 v46, v[32:33]
	s_delay_alu instid0(VALU_DEP_3) | instskip(NEXT) | instid1(VALU_DEP_1)
	v_add_f64_e64 v[34:35], v[42:43], -v[34:35]
	v_add_f64_e32 v[34:35], v[36:37], v[34:35]
	s_delay_alu instid0(VALU_DEP_1) | instskip(NEXT) | instid1(VALU_DEP_1)
	v_add_f64_e32 v[34:35], v[44:45], v[34:35]
	v_mul_f64_e32 v[34:35], v[38:39], v[34:35]
	s_delay_alu instid0(VALU_DEP_1) | instskip(NEXT) | instid1(VALU_DEP_1)
	v_add_f64_e32 v[36:37], v[40:41], v[34:35]
	v_mul_f64_e32 v[38:39], v[36:37], v[36:37]
	s_delay_alu instid0(VALU_DEP_1) | instskip(SKIP_1) | instid1(VALU_DEP_2)
	v_fmamk_f64 v[42:43], v[38:39], 0x3fc3ab76bf559e2b, v[28:29]
	v_mul_f64_e32 v[44:45], v[36:37], v[38:39]
	v_fmaak_f64 v[42:43], v[38:39], v[42:43], 0x3fc7474dd7f4df2e
	s_delay_alu instid0(VALU_DEP_1) | instskip(NEXT) | instid1(VALU_DEP_1)
	v_fmaak_f64 v[42:43], v[38:39], v[42:43], 0x3fcc71c016291751
	v_fmaak_f64 v[42:43], v[38:39], v[42:43], 0x3fd249249b27acf1
	s_delay_alu instid0(VALU_DEP_1) | instskip(NEXT) | instid1(VALU_DEP_1)
	v_fmaak_f64 v[42:43], v[38:39], v[42:43], 0x3fd99999998ef7b6
	v_fmaak_f64 v[38:39], v[38:39], v[42:43], 0x3fe5555555555780
	v_ldexp_f64 v[42:43], v[36:37], 1
	v_add_f64_e64 v[36:37], v[36:37], -v[40:41]
	s_delay_alu instid0(VALU_DEP_3) | instskip(SKIP_2) | instid1(VALU_DEP_2)
	v_mul_f64_e32 v[38:39], v[44:45], v[38:39]
	v_subrev_co_ci_u32_e64 v44, null, 0, v46, s0
	v_cmp_class_f64_e64 s0, v[32:33], 0x204
	v_cvt_f64_i32_e32 v[44:45], v44
	v_add_f64_e64 v[34:35], v[34:35], -v[36:37]
	v_add_f64_e32 v[40:41], v[42:43], v[38:39]
	s_delay_alu instid0(VALU_DEP_3) | instskip(NEXT) | instid1(VALU_DEP_3)
	v_mul_f64_e32 v[46:47], 0x3fe62e42fefa39ef, v[44:45]
	v_ldexp_f64 v[34:35], v[34:35], 1
	s_delay_alu instid0(VALU_DEP_3) | instskip(NEXT) | instid1(VALU_DEP_3)
	v_add_f64_e64 v[36:37], v[40:41], -v[42:43]
	v_fma_f64 v[42:43], v[44:45], s[10:11], -v[46:47]
	s_delay_alu instid0(VALU_DEP_2) | instskip(NEXT) | instid1(VALU_DEP_2)
	v_add_f64_e64 v[36:37], v[38:39], -v[36:37]
	v_fmac_f64_e32 v[42:43], 0x3c7abc9e3b39803f, v[44:45]
	s_delay_alu instid0(VALU_DEP_2) | instskip(NEXT) | instid1(VALU_DEP_2)
	v_add_f64_e32 v[34:35], v[34:35], v[36:37]
	v_add_f64_e32 v[36:37], v[46:47], v[42:43]
	s_delay_alu instid0(VALU_DEP_2) | instskip(NEXT) | instid1(VALU_DEP_2)
	v_add_f64_e32 v[38:39], v[40:41], v[34:35]
	v_add_f64_e64 v[46:47], v[36:37], -v[46:47]
	s_delay_alu instid0(VALU_DEP_2) | instskip(SKIP_1) | instid1(VALU_DEP_3)
	v_add_f64_e32 v[44:45], v[36:37], v[38:39]
	v_add_f64_e64 v[40:41], v[38:39], -v[40:41]
	v_add_f64_e64 v[42:43], v[42:43], -v[46:47]
	s_delay_alu instid0(VALU_DEP_3) | instskip(NEXT) | instid1(VALU_DEP_3)
	v_add_f64_e64 v[48:49], v[44:45], -v[36:37]
	v_add_f64_e64 v[34:35], v[34:35], -v[40:41]
	s_delay_alu instid0(VALU_DEP_2) | instskip(SKIP_1) | instid1(VALU_DEP_3)
	v_add_f64_e64 v[50:51], v[44:45], -v[48:49]
	v_add_f64_e64 v[38:39], v[38:39], -v[48:49]
	v_add_f64_e32 v[40:41], v[42:43], v[34:35]
	s_delay_alu instid0(VALU_DEP_3) | instskip(NEXT) | instid1(VALU_DEP_1)
	v_add_f64_e64 v[36:37], v[36:37], -v[50:51]
	v_add_f64_e32 v[36:37], v[38:39], v[36:37]
	s_delay_alu instid0(VALU_DEP_3) | instskip(NEXT) | instid1(VALU_DEP_2)
	v_add_f64_e64 v[38:39], v[40:41], -v[42:43]
	v_add_f64_e32 v[36:37], v[40:41], v[36:37]
	s_delay_alu instid0(VALU_DEP_2) | instskip(SKIP_1) | instid1(VALU_DEP_3)
	v_add_f64_e64 v[40:41], v[40:41], -v[38:39]
	v_add_f64_e64 v[34:35], v[34:35], -v[38:39]
	v_add_f64_e32 v[46:47], v[44:45], v[36:37]
	s_delay_alu instid0(VALU_DEP_3) | instskip(NEXT) | instid1(VALU_DEP_2)
	v_add_f64_e64 v[38:39], v[42:43], -v[40:41]
	v_add_f64_e64 v[40:41], v[46:47], -v[44:45]
	s_delay_alu instid0(VALU_DEP_2) | instskip(NEXT) | instid1(VALU_DEP_2)
	v_add_f64_e32 v[34:35], v[34:35], v[38:39]
	v_add_f64_e64 v[36:37], v[36:37], -v[40:41]
	s_delay_alu instid0(VALU_DEP_1) | instskip(SKIP_1) | instid1(VALU_DEP_2)
	v_add_f64_e32 v[34:35], v[34:35], v[36:37]
	v_add_nc_u64_e32 v[36:37], s[4:5], v[18:19]
	v_add_f64_e32 v[34:35], v[46:47], v[34:35]
	s_delay_alu instid0(VALU_DEP_1) | instskip(SKIP_1) | instid1(VALU_DEP_1)
	v_dual_cndmask_b32 v34, v34, v32, s0 :: v_dual_cndmask_b32 v35, v35, v33, s0
	v_cmp_ngt_f64_e64 s0, 0, v[32:33]
	v_cndmask_b32_e64 v35, 0x7ff80000, v35, s0
	v_cmp_nge_f64_e64 s0, 0, v[32:33]
	s_delay_alu instid0(VALU_DEP_1) | instskip(SKIP_1) | instid1(VALU_DEP_1)
	v_cndmask_b32_e64 v34, 0, v34, s0
	v_cmp_neq_f64_e64 s0, 0, v[32:33]
	v_cndmask_b32_e64 v35, 0xfff00000, v35, s0
	global_store_b64 v[36:37], v[34:35], off
	s_wait_xcnt 0x0
	s_or_b32 exec_lo, exec_lo, s1
	s_and_saveexec_b32 s0, vcc_lo
	s_cbranch_execz .LBB165_8
.LBB165_24:                             ;   in Loop: Header=BB165_9 Depth=1
	s_wait_loadcnt 0x0
	v_frexp_mant_f64_e32 v[32:33], v[30:31]
	s_delay_alu instid0(VALU_DEP_1) | instskip(SKIP_1) | instid1(VALU_DEP_1)
	v_cmp_gt_f64_e32 vcc_lo, s[8:9], v[32:33]
	v_cndmask_b32_e64 v34, 0, 1, vcc_lo
	v_ldexp_f64 v[32:33], v[32:33], v34
	s_delay_alu instid0(VALU_DEP_1) | instskip(SKIP_1) | instid1(VALU_DEP_2)
	v_add_f64_e32 v[34:35], 1.0, v[32:33]
	v_add_f64_e32 v[40:41], -1.0, v[32:33]
	v_rcp_f64_e32 v[36:37], v[34:35]
	v_add_f64_e32 v[42:43], -1.0, v[34:35]
	s_delay_alu instid0(VALU_DEP_1) | instskip(NEXT) | instid1(TRANS32_DEP_1)
	v_add_f64_e64 v[32:33], v[32:33], -v[42:43]
	v_fma_f64 v[38:39], -v[34:35], v[36:37], 1.0
	s_delay_alu instid0(VALU_DEP_1) | instskip(NEXT) | instid1(VALU_DEP_1)
	v_fmac_f64_e32 v[36:37], v[38:39], v[36:37]
	v_fma_f64 v[38:39], -v[34:35], v[36:37], 1.0
	s_delay_alu instid0(VALU_DEP_1) | instskip(NEXT) | instid1(VALU_DEP_1)
	v_fmac_f64_e32 v[36:37], v[38:39], v[36:37]
	v_mul_f64_e32 v[38:39], v[40:41], v[36:37]
	s_delay_alu instid0(VALU_DEP_1) | instskip(NEXT) | instid1(VALU_DEP_1)
	v_mul_f64_e32 v[44:45], v[34:35], v[38:39]
	v_fma_f64 v[34:35], v[38:39], v[34:35], -v[44:45]
	s_delay_alu instid0(VALU_DEP_1) | instskip(NEXT) | instid1(VALU_DEP_1)
	v_fmac_f64_e32 v[34:35], v[38:39], v[32:33]
	v_add_f64_e32 v[32:33], v[44:45], v[34:35]
	s_delay_alu instid0(VALU_DEP_1) | instskip(SKIP_1) | instid1(VALU_DEP_2)
	v_add_f64_e64 v[42:43], v[40:41], -v[32:33]
	v_add_f64_e64 v[44:45], v[32:33], -v[44:45]
	;; [unrolled: 1-line block ×3, first 2 shown]
	s_delay_alu instid0(VALU_DEP_2) | instskip(SKIP_1) | instid1(VALU_DEP_3)
	v_add_f64_e64 v[34:35], v[44:45], -v[34:35]
	v_frexp_exp_i32_f64_e32 v44, v[30:31]
	v_add_f64_e64 v[32:33], v[40:41], -v[32:33]
	s_delay_alu instid0(VALU_DEP_1) | instskip(NEXT) | instid1(VALU_DEP_1)
	v_add_f64_e32 v[32:33], v[34:35], v[32:33]
	v_add_f64_e32 v[32:33], v[42:43], v[32:33]
	s_delay_alu instid0(VALU_DEP_1) | instskip(NEXT) | instid1(VALU_DEP_1)
	v_mul_f64_e32 v[32:33], v[36:37], v[32:33]
	v_add_f64_e32 v[34:35], v[38:39], v[32:33]
	s_delay_alu instid0(VALU_DEP_1) | instskip(NEXT) | instid1(VALU_DEP_1)
	v_mul_f64_e32 v[36:37], v[34:35], v[34:35]
	v_fmamk_f64 v[40:41], v[36:37], 0x3fc3ab76bf559e2b, v[28:29]
	v_mul_f64_e32 v[42:43], v[34:35], v[36:37]
	s_delay_alu instid0(VALU_DEP_2) | instskip(NEXT) | instid1(VALU_DEP_1)
	v_fmaak_f64 v[40:41], v[36:37], v[40:41], 0x3fc7474dd7f4df2e
	v_fmaak_f64 v[40:41], v[36:37], v[40:41], 0x3fcc71c016291751
	s_delay_alu instid0(VALU_DEP_1) | instskip(NEXT) | instid1(VALU_DEP_1)
	v_fmaak_f64 v[40:41], v[36:37], v[40:41], 0x3fd249249b27acf1
	v_fmaak_f64 v[40:41], v[36:37], v[40:41], 0x3fd99999998ef7b6
	s_delay_alu instid0(VALU_DEP_1) | instskip(SKIP_2) | instid1(VALU_DEP_3)
	v_fmaak_f64 v[36:37], v[36:37], v[40:41], 0x3fe5555555555780
	v_ldexp_f64 v[40:41], v[34:35], 1
	v_add_f64_e64 v[34:35], v[34:35], -v[38:39]
	v_mul_f64_e32 v[36:37], v[42:43], v[36:37]
	v_subrev_co_ci_u32_e64 v42, null, 0, v44, vcc_lo
	v_cmp_class_f64_e64 vcc_lo, v[30:31], 0x204
	s_delay_alu instid0(VALU_DEP_2) | instskip(SKIP_2) | instid1(VALU_DEP_3)
	v_cvt_f64_i32_e32 v[42:43], v42
	v_add_f64_e64 v[32:33], v[32:33], -v[34:35]
	v_add_f64_e32 v[38:39], v[40:41], v[36:37]
	v_mul_f64_e32 v[44:45], 0x3fe62e42fefa39ef, v[42:43]
	s_delay_alu instid0(VALU_DEP_3) | instskip(NEXT) | instid1(VALU_DEP_3)
	v_ldexp_f64 v[32:33], v[32:33], 1
	v_add_f64_e64 v[34:35], v[38:39], -v[40:41]
	s_delay_alu instid0(VALU_DEP_3) | instskip(NEXT) | instid1(VALU_DEP_2)
	v_fma_f64 v[40:41], v[42:43], s[10:11], -v[44:45]
	v_add_f64_e64 v[34:35], v[36:37], -v[34:35]
	s_delay_alu instid0(VALU_DEP_2) | instskip(NEXT) | instid1(VALU_DEP_2)
	v_fmac_f64_e32 v[40:41], 0x3c7abc9e3b39803f, v[42:43]
	v_add_f64_e32 v[32:33], v[32:33], v[34:35]
	s_delay_alu instid0(VALU_DEP_2) | instskip(NEXT) | instid1(VALU_DEP_2)
	v_add_f64_e32 v[34:35], v[44:45], v[40:41]
	v_add_f64_e32 v[36:37], v[38:39], v[32:33]
	s_delay_alu instid0(VALU_DEP_2) | instskip(NEXT) | instid1(VALU_DEP_2)
	v_add_f64_e64 v[44:45], v[34:35], -v[44:45]
	v_add_f64_e32 v[42:43], v[34:35], v[36:37]
	v_add_f64_e64 v[38:39], v[36:37], -v[38:39]
	s_delay_alu instid0(VALU_DEP_3) | instskip(NEXT) | instid1(VALU_DEP_3)
	v_add_f64_e64 v[40:41], v[40:41], -v[44:45]
	v_add_f64_e64 v[46:47], v[42:43], -v[34:35]
	s_delay_alu instid0(VALU_DEP_3) | instskip(NEXT) | instid1(VALU_DEP_2)
	v_add_f64_e64 v[32:33], v[32:33], -v[38:39]
	v_add_f64_e64 v[48:49], v[42:43], -v[46:47]
	;; [unrolled: 1-line block ×3, first 2 shown]
	s_delay_alu instid0(VALU_DEP_3) | instskip(NEXT) | instid1(VALU_DEP_3)
	v_add_f64_e32 v[38:39], v[40:41], v[32:33]
	v_add_f64_e64 v[34:35], v[34:35], -v[48:49]
	s_delay_alu instid0(VALU_DEP_1) | instskip(NEXT) | instid1(VALU_DEP_3)
	v_add_f64_e32 v[34:35], v[36:37], v[34:35]
	v_add_f64_e64 v[36:37], v[38:39], -v[40:41]
	s_delay_alu instid0(VALU_DEP_2) | instskip(NEXT) | instid1(VALU_DEP_2)
	v_add_f64_e32 v[34:35], v[38:39], v[34:35]
	v_add_f64_e64 v[38:39], v[38:39], -v[36:37]
	v_add_f64_e64 v[32:33], v[32:33], -v[36:37]
	s_delay_alu instid0(VALU_DEP_3) | instskip(NEXT) | instid1(VALU_DEP_3)
	v_add_f64_e32 v[44:45], v[42:43], v[34:35]
	v_add_f64_e64 v[36:37], v[40:41], -v[38:39]
	s_delay_alu instid0(VALU_DEP_2) | instskip(NEXT) | instid1(VALU_DEP_2)
	v_add_f64_e64 v[38:39], v[44:45], -v[42:43]
	v_add_f64_e32 v[32:33], v[32:33], v[36:37]
	s_delay_alu instid0(VALU_DEP_2) | instskip(NEXT) | instid1(VALU_DEP_1)
	v_add_f64_e64 v[34:35], v[34:35], -v[38:39]
	v_add_f64_e32 v[32:33], v[32:33], v[34:35]
	v_add_nc_u64_e32 v[34:35], s[4:5], v[22:23]
	s_delay_alu instid0(VALU_DEP_2) | instskip(NEXT) | instid1(VALU_DEP_1)
	v_add_f64_e32 v[32:33], v[44:45], v[32:33]
	v_dual_cndmask_b32 v32, v32, v30 :: v_dual_cndmask_b32 v33, v33, v31
	v_cmp_ngt_f64_e32 vcc_lo, 0, v[30:31]
	s_delay_alu instid0(VALU_DEP_2) | instskip(SKIP_1) | instid1(VALU_DEP_4)
	v_cndmask_b32_e32 v33, 0x7ff80000, v33, vcc_lo
	v_cmp_nge_f64_e32 vcc_lo, 0, v[30:31]
	v_cndmask_b32_e32 v32, 0, v32, vcc_lo
	v_cmp_neq_f64_e32 vcc_lo, 0, v[30:31]
	s_delay_alu instid0(VALU_DEP_4)
	v_cndmask_b32_e32 v33, 0xfff00000, v33, vcc_lo
	global_store_b64 v[34:35], v[32:33], off
	s_branch .LBB165_8
.LBB165_25:
	s_endpgm
	.section	.rodata,"a",@progbits
	.p2align	6, 0x0
	.amdhsa_kernel _ZN2at6native12_GLOBAL__N_125multi_tensor_apply_kernelINS1_18TensorListMetadataILi2EEENS1_14UnaryOpFunctorIdLi2ELi1ELi1EEEJNS0_3LogIdEEEEEvT_T0_DpT1_
		.amdhsa_group_segment_fixed_size 0
		.amdhsa_private_segment_fixed_size 0
		.amdhsa_kernarg_size 3408
		.amdhsa_user_sgpr_count 2
		.amdhsa_user_sgpr_dispatch_ptr 0
		.amdhsa_user_sgpr_queue_ptr 0
		.amdhsa_user_sgpr_kernarg_segment_ptr 1
		.amdhsa_user_sgpr_dispatch_id 0
		.amdhsa_user_sgpr_kernarg_preload_length 0
		.amdhsa_user_sgpr_kernarg_preload_offset 0
		.amdhsa_user_sgpr_private_segment_size 0
		.amdhsa_wavefront_size32 1
		.amdhsa_uses_dynamic_stack 0
		.amdhsa_enable_private_segment 0
		.amdhsa_system_sgpr_workgroup_id_x 1
		.amdhsa_system_sgpr_workgroup_id_y 0
		.amdhsa_system_sgpr_workgroup_id_z 0
		.amdhsa_system_sgpr_workgroup_info 0
		.amdhsa_system_vgpr_workitem_id 0
		.amdhsa_next_free_vgpr 56
		.amdhsa_next_free_sgpr 20
		.amdhsa_named_barrier_count 0
		.amdhsa_reserve_vcc 1
		.amdhsa_float_round_mode_32 0
		.amdhsa_float_round_mode_16_64 0
		.amdhsa_float_denorm_mode_32 3
		.amdhsa_float_denorm_mode_16_64 3
		.amdhsa_fp16_overflow 0
		.amdhsa_memory_ordered 1
		.amdhsa_forward_progress 1
		.amdhsa_inst_pref_size 52
		.amdhsa_round_robin_scheduling 0
		.amdhsa_exception_fp_ieee_invalid_op 0
		.amdhsa_exception_fp_denorm_src 0
		.amdhsa_exception_fp_ieee_div_zero 0
		.amdhsa_exception_fp_ieee_overflow 0
		.amdhsa_exception_fp_ieee_underflow 0
		.amdhsa_exception_fp_ieee_inexact 0
		.amdhsa_exception_int_div_zero 0
	.end_amdhsa_kernel
	.section	.text._ZN2at6native12_GLOBAL__N_125multi_tensor_apply_kernelINS1_18TensorListMetadataILi2EEENS1_14UnaryOpFunctorIdLi2ELi1ELi1EEEJNS0_3LogIdEEEEEvT_T0_DpT1_,"axG",@progbits,_ZN2at6native12_GLOBAL__N_125multi_tensor_apply_kernelINS1_18TensorListMetadataILi2EEENS1_14UnaryOpFunctorIdLi2ELi1ELi1EEEJNS0_3LogIdEEEEEvT_T0_DpT1_,comdat
.Lfunc_end165:
	.size	_ZN2at6native12_GLOBAL__N_125multi_tensor_apply_kernelINS1_18TensorListMetadataILi2EEENS1_14UnaryOpFunctorIdLi2ELi1ELi1EEEJNS0_3LogIdEEEEEvT_T0_DpT1_, .Lfunc_end165-_ZN2at6native12_GLOBAL__N_125multi_tensor_apply_kernelINS1_18TensorListMetadataILi2EEENS1_14UnaryOpFunctorIdLi2ELi1ELi1EEEJNS0_3LogIdEEEEEvT_T0_DpT1_
                                        ; -- End function
	.set _ZN2at6native12_GLOBAL__N_125multi_tensor_apply_kernelINS1_18TensorListMetadataILi2EEENS1_14UnaryOpFunctorIdLi2ELi1ELi1EEEJNS0_3LogIdEEEEEvT_T0_DpT1_.num_vgpr, 56
	.set _ZN2at6native12_GLOBAL__N_125multi_tensor_apply_kernelINS1_18TensorListMetadataILi2EEENS1_14UnaryOpFunctorIdLi2ELi1ELi1EEEJNS0_3LogIdEEEEEvT_T0_DpT1_.num_agpr, 0
	.set _ZN2at6native12_GLOBAL__N_125multi_tensor_apply_kernelINS1_18TensorListMetadataILi2EEENS1_14UnaryOpFunctorIdLi2ELi1ELi1EEEJNS0_3LogIdEEEEEvT_T0_DpT1_.numbered_sgpr, 20
	.set _ZN2at6native12_GLOBAL__N_125multi_tensor_apply_kernelINS1_18TensorListMetadataILi2EEENS1_14UnaryOpFunctorIdLi2ELi1ELi1EEEJNS0_3LogIdEEEEEvT_T0_DpT1_.num_named_barrier, 0
	.set _ZN2at6native12_GLOBAL__N_125multi_tensor_apply_kernelINS1_18TensorListMetadataILi2EEENS1_14UnaryOpFunctorIdLi2ELi1ELi1EEEJNS0_3LogIdEEEEEvT_T0_DpT1_.private_seg_size, 0
	.set _ZN2at6native12_GLOBAL__N_125multi_tensor_apply_kernelINS1_18TensorListMetadataILi2EEENS1_14UnaryOpFunctorIdLi2ELi1ELi1EEEJNS0_3LogIdEEEEEvT_T0_DpT1_.uses_vcc, 1
	.set _ZN2at6native12_GLOBAL__N_125multi_tensor_apply_kernelINS1_18TensorListMetadataILi2EEENS1_14UnaryOpFunctorIdLi2ELi1ELi1EEEJNS0_3LogIdEEEEEvT_T0_DpT1_.uses_flat_scratch, 0
	.set _ZN2at6native12_GLOBAL__N_125multi_tensor_apply_kernelINS1_18TensorListMetadataILi2EEENS1_14UnaryOpFunctorIdLi2ELi1ELi1EEEJNS0_3LogIdEEEEEvT_T0_DpT1_.has_dyn_sized_stack, 0
	.set _ZN2at6native12_GLOBAL__N_125multi_tensor_apply_kernelINS1_18TensorListMetadataILi2EEENS1_14UnaryOpFunctorIdLi2ELi1ELi1EEEJNS0_3LogIdEEEEEvT_T0_DpT1_.has_recursion, 0
	.set _ZN2at6native12_GLOBAL__N_125multi_tensor_apply_kernelINS1_18TensorListMetadataILi2EEENS1_14UnaryOpFunctorIdLi2ELi1ELi1EEEJNS0_3LogIdEEEEEvT_T0_DpT1_.has_indirect_call, 0
	.section	.AMDGPU.csdata,"",@progbits
; Kernel info:
; codeLenInByte = 6620
; TotalNumSgprs: 22
; NumVgprs: 56
; ScratchSize: 0
; MemoryBound: 0
; FloatMode: 240
; IeeeMode: 1
; LDSByteSize: 0 bytes/workgroup (compile time only)
; SGPRBlocks: 0
; VGPRBlocks: 3
; NumSGPRsForWavesPerEU: 22
; NumVGPRsForWavesPerEU: 56
; NamedBarCnt: 0
; Occupancy: 16
; WaveLimiterHint : 0
; COMPUTE_PGM_RSRC2:SCRATCH_EN: 0
; COMPUTE_PGM_RSRC2:USER_SGPR: 2
; COMPUTE_PGM_RSRC2:TRAP_HANDLER: 0
; COMPUTE_PGM_RSRC2:TGID_X_EN: 1
; COMPUTE_PGM_RSRC2:TGID_Y_EN: 0
; COMPUTE_PGM_RSRC2:TGID_Z_EN: 0
; COMPUTE_PGM_RSRC2:TIDIG_COMP_CNT: 0
	.section	.text._ZN2at6native12_GLOBAL__N_125multi_tensor_apply_kernelINS1_18TensorListMetadataILi2EEENS1_14UnaryOpFunctorIfLi2ELi1ELi1EEEJNS0_3LogIfEEEEEvT_T0_DpT1_,"axG",@progbits,_ZN2at6native12_GLOBAL__N_125multi_tensor_apply_kernelINS1_18TensorListMetadataILi2EEENS1_14UnaryOpFunctorIfLi2ELi1ELi1EEEJNS0_3LogIfEEEEEvT_T0_DpT1_,comdat
	.globl	_ZN2at6native12_GLOBAL__N_125multi_tensor_apply_kernelINS1_18TensorListMetadataILi2EEENS1_14UnaryOpFunctorIfLi2ELi1ELi1EEEJNS0_3LogIfEEEEEvT_T0_DpT1_ ; -- Begin function _ZN2at6native12_GLOBAL__N_125multi_tensor_apply_kernelINS1_18TensorListMetadataILi2EEENS1_14UnaryOpFunctorIfLi2ELi1ELi1EEEJNS0_3LogIfEEEEEvT_T0_DpT1_
	.p2align	8
	.type	_ZN2at6native12_GLOBAL__N_125multi_tensor_apply_kernelINS1_18TensorListMetadataILi2EEENS1_14UnaryOpFunctorIfLi2ELi1ELi1EEEJNS0_3LogIfEEEEEvT_T0_DpT1_,@function
_ZN2at6native12_GLOBAL__N_125multi_tensor_apply_kernelINS1_18TensorListMetadataILi2EEENS1_14UnaryOpFunctorIfLi2ELi1ELi1EEEJNS0_3LogIfEEEEEvT_T0_DpT1_: ; @_ZN2at6native12_GLOBAL__N_125multi_tensor_apply_kernelINS1_18TensorListMetadataILi2EEENS1_14UnaryOpFunctorIfLi2ELi1ELi1EEEJNS0_3LogIfEEEEEvT_T0_DpT1_
; %bb.0:
	s_bfe_u32 s2, ttmp6, 0x4000c
	s_and_b32 s3, ttmp6, 15
	s_add_co_i32 s2, s2, 1
	s_getreg_b32 s4, hwreg(HW_REG_IB_STS2, 6, 4)
	s_mul_i32 s2, ttmp9, s2
	s_delay_alu instid0(SALU_CYCLE_1)
	s_add_co_i32 s3, s3, s2
	s_cmp_eq_u32 s4, 0
	s_cselect_b32 s2, ttmp9, s3
	s_mov_b32 s3, 0
	s_load_u8 s13, s[0:1], s2 offset:0x600
	s_add_nc_u64 s[4:5], s[0:1], s[2:3]
	s_mul_u64 s[6:7], s[2:3], 3
	s_delay_alu instid0(SALU_CYCLE_1)
	s_add_nc_u64 s[4:5], s[4:5], s[6:7]
	s_load_b32 s12, s[4:5], 0x740
	s_wait_kmcnt 0x0
	s_clause 0x2
	s_load_b64 s[8:9], s[0:1], s13 offset:0x0 scale_offset
	s_load_b64 s[10:11], s[0:1], s13 offset:0x200 scale_offset
	s_load_b64 s[14:15], s[0:1], s13 offset:0x400 scale_offset
	s_mov_b32 s5, s3
	s_wait_xcnt 0x0
	s_ashr_i32 s13, s12, 31
	s_delay_alu instid0(SALU_CYCLE_1)
	s_lshl_b64 s[6:7], s[12:13], 18
	s_wait_kmcnt 0x0
	s_and_b64 s[18:19], s[10:11], 15
	s_add_nc_u64 s[16:17], s[8:9], s[6:7]
	s_and_b32 s4, s14, 3
	s_and_b32 s2, s16, 15
	s_or_b64 s[4:5], s[18:19], s[4:5]
	s_lshl_b64 s[12:13], s[12:13], 16
	s_or_b64 s[2:3], s[4:5], s[2:3]
	s_sub_nc_u64 s[12:13], s[14:15], s[12:13]
	s_cmp_eq_u64 s[2:3], 0
	s_mov_b32 s2, -1
	s_cbranch_scc0 .LBB166_5
; %bb.1:
	v_min_i64 v[2:3], 0x10000, s[12:13]
	v_dual_mov_b32 v5, 0 :: v_dual_lshlrev_b32 v4, 2, v0
	s_mov_b32 s5, exec_lo
	s_delay_alu instid0(VALU_DEP_1)
	v_cmpx_lt_i64_e64 v[4:5], v[2:3]
	s_cbranch_execz .LBB166_4
; %bb.2:
	s_load_b32 s2, s[0:1], 0xc5c
	v_dual_mov_b32 v1, v5 :: v_dual_lshlrev_b32 v4, 4, v0
	s_mov_b32 s15, 0
	s_delay_alu instid0(SALU_CYCLE_1) | instskip(NEXT) | instid1(VALU_DEP_1)
	s_mov_b32 s17, s15
	v_add_nc_u64_e32 v[4:5], s[6:7], v[4:5]
	s_delay_alu instid0(VALU_DEP_2) | instskip(SKIP_3) | instid1(SALU_CYCLE_1)
	v_mov_b64_e32 v[6:7], v[0:1]
	s_mov_b32 s18, s15
	s_wait_kmcnt 0x0
	s_and_b32 s14, s2, 0xffff
	s_lshl_b32 s16, s14, 4
.LBB166_3:                              ; =>This Inner Loop Header: Depth=1
	s_delay_alu instid0(VALU_DEP_2) | instskip(NEXT) | instid1(VALU_DEP_2)
	v_add_nc_u64_e32 v[8:9], s[8:9], v[4:5]
	v_add_nc_u64_e32 v[6:7], s[14:15], v[6:7]
	;; [unrolled: 1-line block ×4, first 2 shown]
	global_load_b128 v[8:11], v[8:9], off
	v_lshlrev_b64_e32 v[14:15], 2, v[6:7]
	s_wait_loadcnt 0x0
	v_cmp_gt_f32_e32 vcc_lo, 0x800000, v8
	v_cmp_gt_f32_e64 s2, 0x800000, v9
	v_cmp_gt_f32_e64 s3, 0x800000, v10
	;; [unrolled: 1-line block ×3, first 2 shown]
	v_cndmask_b32_e64 v1, 0, 32, vcc_lo
	s_delay_alu instid0(VALU_DEP_4) | instskip(NEXT) | instid1(VALU_DEP_4)
	v_cndmask_b32_e64 v16, 0, 32, s2
	v_cndmask_b32_e64 v17, 0, 32, s3
	s_delay_alu instid0(VALU_DEP_4) | instskip(NEXT) | instid1(VALU_DEP_4)
	v_cndmask_b32_e64 v18, 0, 32, s4
	v_ldexp_f32 v1, v8, v1
	s_wait_xcnt 0x0
	v_ldexp_f32 v9, v9, v16
	v_ldexp_f32 v10, v10, v17
	;; [unrolled: 1-line block ×3, first 2 shown]
	v_cndmask_b32_e64 v8, 0, 0x41b17218, vcc_lo
	v_log_f32_e32 v1, v1
	v_log_f32_e32 v9, v9
	;; [unrolled: 1-line block ×4, first 2 shown]
	v_cndmask_b32_e64 v16, 0, 0x41b17218, s2
	v_cndmask_b32_e64 v17, 0, 0x41b17218, s3
	;; [unrolled: 1-line block ×3, first 2 shown]
	v_mul_f32_e32 v19, 0x3f317217, v1
	s_delay_alu instid0(TRANS32_DEP_2) | instskip(NEXT) | instid1(TRANS32_DEP_1)
	v_dual_mul_f32 v20, 0x3f317217, v9 :: v_dual_mul_f32 v21, 0x3f317217, v10
	v_mul_f32_e32 v22, 0x3f317217, v11
	v_cmp_gt_f32_e64 vcc_lo, 0x7f800000, |v9|
	s_delay_alu instid0(VALU_DEP_4) | instskip(NEXT) | instid1(VALU_DEP_4)
	v_fma_f32 v19, 0x3f317217, v1, -v19
	v_fma_f32 v20, 0x3f317217, v9, -v20
	;; [unrolled: 1-line block ×4, first 2 shown]
	v_cmp_gt_f32_e64 s2, 0x7f800000, |v10|
	v_fmac_f32_e32 v19, 0x3377d1cf, v1
	s_delay_alu instid0(VALU_DEP_4) | instskip(NEXT) | instid1(VALU_DEP_4)
	v_dual_fmac_f32 v20, 0x3377d1cf, v9 :: v_dual_fmac_f32 v21, 0x3377d1cf, v10
	v_fmac_f32_e32 v22, 0x3377d1cf, v11
	v_cmp_gt_f32_e64 s3, 0x7f800000, |v11|
	s_delay_alu instid0(VALU_DEP_4) | instskip(NEXT) | instid1(VALU_DEP_4)
	v_fmac_f32_e32 v19, 0x3f317217, v1
	v_dual_fmac_f32 v20, 0x3f317217, v9 :: v_dual_fmac_f32 v21, 0x3f317217, v10
	s_delay_alu instid0(VALU_DEP_4) | instskip(SKIP_1) | instid1(VALU_DEP_3)
	v_fmac_f32_e32 v22, 0x3f317217, v11
	v_cmp_gt_f32_e64 s4, 0x7f800000, |v1|
	v_dual_cndmask_b32 v9, v9, v20, vcc_lo :: v_dual_cndmask_b32 v10, v10, v21, s2
	s_delay_alu instid0(VALU_DEP_2) | instskip(SKIP_1) | instid1(VALU_DEP_3)
	v_dual_cndmask_b32 v11, v11, v22, s3 :: v_dual_cndmask_b32 v1, v1, v19, s4
	v_cmp_ge_i64_e32 vcc_lo, v[14:15], v[2:3]
	v_dual_sub_f32 v9, v9, v16 :: v_dual_sub_f32 v10, v10, v17
	s_delay_alu instid0(VALU_DEP_3)
	v_dual_sub_f32 v11, v11, v18 :: v_dual_sub_f32 v8, v1, v8
	s_or_b32 s18, vcc_lo, s18
	global_store_b128 v[12:13], v[8:11], off
	s_wait_xcnt 0x0
	s_and_not1_b32 exec_lo, exec_lo, s18
	s_cbranch_execnz .LBB166_3
.LBB166_4:
	s_or_b32 exec_lo, exec_lo, s5
	s_mov_b32 s2, 0
.LBB166_5:
	s_delay_alu instid0(SALU_CYCLE_1)
	s_and_not1_b32 vcc_lo, exec_lo, s2
	s_cbranch_vccnz .LBB166_25
; %bb.6:
	v_cmp_lt_i64_e64 s2, s[12:13], 1
	s_and_b32 vcc_lo, exec_lo, s2
	s_cbranch_vccnz .LBB166_25
; %bb.7:
	s_load_b32 s0, s[0:1], 0xc5c
	v_min_i64 v[2:3], 0x10000, s[12:13]
	v_min_u64 v[4:5], 0x10000, s[12:13]
	v_dual_mov_b32 v1, 0 :: v_dual_lshlrev_b32 v10, 2, v0
	s_wait_xcnt 0x0
	s_mov_b32 s1, 0
	s_delay_alu instid0(SALU_CYCLE_1) | instskip(NEXT) | instid1(VALU_DEP_1)
	s_mov_b32 s13, s1
	v_dual_mov_b32 v11, v1 :: v_dual_mov_b32 v27, v1
	s_mov_b32 s3, s1
	s_mov_b32 s5, s1
	s_delay_alu instid0(VALU_DEP_1) | instskip(SKIP_2) | instid1(SALU_CYCLE_1)
	v_add_nc_u64_e32 v[6:7], s[8:9], v[10:11]
	s_wait_kmcnt 0x0
	s_and_b32 s0, s0, 0xffff
	v_add_nc_u64_e32 v[8:9], s[0:1], v[0:1]
	v_mad_nc_u64_u32 v[22:23], s0, 12, v[10:11]
	s_lshl_b32 s12, s0, 3
	s_mul_i32 s4, s0, 3
	v_add_nc_u64_e32 v[18:19], s[12:13], v[10:11]
	s_lshl_b32 s2, s0, 1
	v_add_nc_u64_e32 v[10:11], s[10:11], v[10:11]
	v_lshlrev_b32_e32 v26, 2, v8
	v_add_nc_u64_e32 v[12:13], s[4:5], v[0:1]
	v_add_nc_u64_e32 v[14:15], s[2:3], v[0:1]
	s_lshl_b32 s4, s0, 2
	v_add_nc_u64_e32 v[16:17], s[8:9], v[18:19]
	v_add_nc_u64_e32 v[18:19], s[10:11], v[18:19]
	;; [unrolled: 1-line block ×6, first 2 shown]
	s_lshl_b32 s8, s0, 4
	s_mov_b32 s9, s1
	s_mov_b64 s[10:11], 0
	s_branch .LBB166_9
.LBB166_8:                              ;   in Loop: Header=BB166_9 Depth=1
	s_wait_xcnt 0x0
	s_or_b32 exec_lo, exec_lo, s1
	s_add_nc_u64 s[10:11], s[10:11], s[4:5]
	v_add_nc_u64_e32 v[6:7], s[8:9], v[6:7]
	v_cmp_ge_i64_e32 vcc_lo, s[10:11], v[2:3]
	v_add_nc_u64_e32 v[10:11], s[8:9], v[10:11]
	v_add_nc_u64_e32 v[20:21], s[8:9], v[20:21]
	;; [unrolled: 1-line block ×7, first 2 shown]
	s_cbranch_vccnz .LBB166_25
.LBB166_9:                              ; =>This Inner Loop Header: Depth=1
	s_wait_loadcnt 0x0
	v_add_nc_u64_e32 v[28:29], s[10:11], v[0:1]
	v_mov_b32_e32 v31, 0
	s_delay_alu instid0(VALU_DEP_2)
	v_cmp_lt_u64_e64 s2, v[28:29], v[4:5]
	s_and_saveexec_b32 s0, s2
	s_cbranch_execz .LBB166_11
; %bb.10:                               ;   in Loop: Header=BB166_9 Depth=1
	v_add_nc_u64_e32 v[28:29], s[6:7], v[6:7]
	global_load_b32 v31, v[28:29], off
.LBB166_11:                             ;   in Loop: Header=BB166_9 Depth=1
	s_wait_xcnt 0x0
	s_or_b32 exec_lo, exec_lo, s0
	v_add_nc_u64_e32 v[28:29], s[10:11], v[8:9]
	v_mov_b32_e32 v30, 0
	s_delay_alu instid0(VALU_DEP_2)
	v_cmp_lt_u64_e64 s1, v[28:29], v[4:5]
	v_mov_b32_e32 v28, 0
	s_and_saveexec_b32 s0, s1
	s_cbranch_execz .LBB166_13
; %bb.12:                               ;   in Loop: Header=BB166_9 Depth=1
	v_add_nc_u64_e32 v[32:33], s[6:7], v[24:25]
	global_load_b32 v30, v[32:33], off
.LBB166_13:                             ;   in Loop: Header=BB166_9 Depth=1
	s_wait_xcnt 0x0
	s_or_b32 exec_lo, exec_lo, s0
	v_add_nc_u64_e32 v[32:33], s[10:11], v[14:15]
	s_delay_alu instid0(VALU_DEP_1)
	v_cmp_lt_u64_e64 s0, v[32:33], v[4:5]
	s_and_saveexec_b32 s3, s0
	s_cbranch_execz .LBB166_15
; %bb.14:                               ;   in Loop: Header=BB166_9 Depth=1
	v_add_nc_u64_e32 v[28:29], s[6:7], v[16:17]
	global_load_b32 v28, v[28:29], off
.LBB166_15:                             ;   in Loop: Header=BB166_9 Depth=1
	s_wait_xcnt 0x0
	s_or_b32 exec_lo, exec_lo, s3
	v_add_nc_u64_e32 v[32:33], s[10:11], v[12:13]
	v_mov_b32_e32 v29, 0
	s_delay_alu instid0(VALU_DEP_2)
	v_cmp_lt_u64_e32 vcc_lo, v[32:33], v[4:5]
	s_and_saveexec_b32 s3, vcc_lo
	s_cbranch_execnz .LBB166_20
; %bb.16:                               ;   in Loop: Header=BB166_9 Depth=1
	s_or_b32 exec_lo, exec_lo, s3
	s_and_saveexec_b32 s12, s2
	s_cbranch_execnz .LBB166_21
.LBB166_17:                             ;   in Loop: Header=BB166_9 Depth=1
	s_or_b32 exec_lo, exec_lo, s12
	s_and_saveexec_b32 s3, s1
	s_cbranch_execnz .LBB166_22
.LBB166_18:                             ;   in Loop: Header=BB166_9 Depth=1
	s_or_b32 exec_lo, exec_lo, s3
	s_and_saveexec_b32 s2, s0
	s_cbranch_execnz .LBB166_23
.LBB166_19:                             ;   in Loop: Header=BB166_9 Depth=1
	s_or_b32 exec_lo, exec_lo, s2
	s_and_saveexec_b32 s1, vcc_lo
	s_cbranch_execz .LBB166_8
	s_branch .LBB166_24
.LBB166_20:                             ;   in Loop: Header=BB166_9 Depth=1
	v_add_nc_u64_e32 v[32:33], s[6:7], v[20:21]
	global_load_b32 v29, v[32:33], off
	s_wait_xcnt 0x0
	s_or_b32 exec_lo, exec_lo, s3
	s_and_saveexec_b32 s12, s2
	s_cbranch_execz .LBB166_17
.LBB166_21:                             ;   in Loop: Header=BB166_9 Depth=1
	s_wait_loadcnt 0x0
	v_cmp_gt_f32_e64 s2, 0x800000, v31
	s_delay_alu instid0(VALU_DEP_1) | instskip(SKIP_1) | instid1(VALU_DEP_2)
	v_cndmask_b32_e64 v32, 0, 32, s2
	v_cndmask_b32_e64 v34, 0, 0x41b17218, s2
	v_ldexp_f32 v31, v31, v32
	s_delay_alu instid0(VALU_DEP_1) | instskip(SKIP_1) | instid1(TRANS32_DEP_1)
	v_log_f32_e32 v31, v31
	v_nop
	v_mul_f32_e32 v32, 0x3f317217, v31
	v_cmp_gt_f32_e64 s3, 0x7f800000, |v31|
	s_delay_alu instid0(VALU_DEP_2) | instskip(NEXT) | instid1(VALU_DEP_1)
	v_fma_f32 v32, 0x3f317217, v31, -v32
	v_fmac_f32_e32 v32, 0x3377d1cf, v31
	s_delay_alu instid0(VALU_DEP_1) | instskip(NEXT) | instid1(VALU_DEP_1)
	v_fmac_f32_e32 v32, 0x3f317217, v31
	v_cndmask_b32_e64 v31, v31, v32, s3
	v_add_nc_u64_e32 v[32:33], s[6:7], v[10:11]
	s_delay_alu instid0(VALU_DEP_2)
	v_sub_f32_e32 v31, v31, v34
	global_store_b32 v[32:33], v31, off
	s_wait_xcnt 0x0
	s_or_b32 exec_lo, exec_lo, s12
	s_and_saveexec_b32 s3, s1
	s_cbranch_execz .LBB166_18
.LBB166_22:                             ;   in Loop: Header=BB166_9 Depth=1
	s_wait_loadcnt 0x0
	v_cmp_gt_f32_e64 s1, 0x800000, v30
	s_delay_alu instid0(VALU_DEP_1) | instskip(SKIP_1) | instid1(VALU_DEP_2)
	v_cndmask_b32_e64 v31, 0, 32, s1
	v_cndmask_b32_e64 v33, 0, 0x41b17218, s1
	v_ldexp_f32 v30, v30, v31
	s_delay_alu instid0(VALU_DEP_1) | instskip(SKIP_1) | instid1(TRANS32_DEP_1)
	v_log_f32_e32 v30, v30
	v_nop
	v_mul_f32_e32 v31, 0x3f317217, v30
	v_cmp_gt_f32_e64 s2, 0x7f800000, |v30|
	s_delay_alu instid0(VALU_DEP_2) | instskip(NEXT) | instid1(VALU_DEP_1)
	v_fma_f32 v31, 0x3f317217, v30, -v31
	v_fmac_f32_e32 v31, 0x3377d1cf, v30
	s_delay_alu instid0(VALU_DEP_1) | instskip(NEXT) | instid1(VALU_DEP_1)
	v_fmac_f32_e32 v31, 0x3f317217, v30
	v_cndmask_b32_e64 v32, v30, v31, s2
	v_add_nc_u64_e32 v[30:31], s[6:7], v[26:27]
	s_delay_alu instid0(VALU_DEP_2)
	v_sub_f32_e32 v32, v32, v33
	global_store_b32 v[30:31], v32, off
	s_wait_xcnt 0x0
	s_or_b32 exec_lo, exec_lo, s3
	s_and_saveexec_b32 s2, s0
	s_cbranch_execz .LBB166_19
.LBB166_23:                             ;   in Loop: Header=BB166_9 Depth=1
	s_wait_loadcnt 0x0
	v_cmp_gt_f32_e64 s0, 0x800000, v28
	s_delay_alu instid0(VALU_DEP_1) | instskip(SKIP_1) | instid1(VALU_DEP_2)
	v_cndmask_b32_e64 v30, 0, 32, s0
	v_cndmask_b32_e64 v32, 0, 0x41b17218, s0
	v_ldexp_f32 v28, v28, v30
	s_delay_alu instid0(VALU_DEP_1) | instskip(SKIP_1) | instid1(TRANS32_DEP_1)
	v_log_f32_e32 v28, v28
	v_nop
	v_mul_f32_e32 v30, 0x3f317217, v28
	v_cmp_gt_f32_e64 s1, 0x7f800000, |v28|
	s_delay_alu instid0(VALU_DEP_2) | instskip(NEXT) | instid1(VALU_DEP_1)
	v_fma_f32 v30, 0x3f317217, v28, -v30
	v_fmac_f32_e32 v30, 0x3377d1cf, v28
	s_delay_alu instid0(VALU_DEP_1) | instskip(NEXT) | instid1(VALU_DEP_1)
	v_fmac_f32_e32 v30, 0x3f317217, v28
	v_cndmask_b32_e64 v28, v28, v30, s1
	v_add_nc_u64_e32 v[30:31], s[6:7], v[18:19]
	s_delay_alu instid0(VALU_DEP_2)
	v_sub_f32_e32 v28, v28, v32
	global_store_b32 v[30:31], v28, off
	s_wait_xcnt 0x0
	s_or_b32 exec_lo, exec_lo, s2
	s_and_saveexec_b32 s1, vcc_lo
	s_cbranch_execz .LBB166_8
.LBB166_24:                             ;   in Loop: Header=BB166_9 Depth=1
	s_wait_loadcnt 0x0
	v_cmp_gt_f32_e32 vcc_lo, 0x800000, v29
	v_cndmask_b32_e64 v28, 0, 32, vcc_lo
	v_cndmask_b32_e64 v31, 0, 0x41b17218, vcc_lo
	s_delay_alu instid0(VALU_DEP_2) | instskip(NEXT) | instid1(VALU_DEP_1)
	v_ldexp_f32 v28, v29, v28
	v_log_f32_e32 v28, v28
	v_nop
	s_delay_alu instid0(TRANS32_DEP_1) | instskip(SKIP_1) | instid1(VALU_DEP_2)
	v_mul_f32_e32 v29, 0x3f317217, v28
	v_cmp_gt_f32_e64 s0, 0x7f800000, |v28|
	v_fma_f32 v29, 0x3f317217, v28, -v29
	s_delay_alu instid0(VALU_DEP_1) | instskip(NEXT) | instid1(VALU_DEP_1)
	v_fmac_f32_e32 v29, 0x3377d1cf, v28
	v_fmac_f32_e32 v29, 0x3f317217, v28
	s_delay_alu instid0(VALU_DEP_1) | instskip(SKIP_1) | instid1(VALU_DEP_2)
	v_cndmask_b32_e64 v30, v28, v29, s0
	v_add_nc_u64_e32 v[28:29], s[6:7], v[22:23]
	v_sub_f32_e32 v30, v30, v31
	global_store_b32 v[28:29], v30, off
	s_branch .LBB166_8
.LBB166_25:
	s_endpgm
	.section	.rodata,"a",@progbits
	.p2align	6, 0x0
	.amdhsa_kernel _ZN2at6native12_GLOBAL__N_125multi_tensor_apply_kernelINS1_18TensorListMetadataILi2EEENS1_14UnaryOpFunctorIfLi2ELi1ELi1EEEJNS0_3LogIfEEEEEvT_T0_DpT1_
		.amdhsa_group_segment_fixed_size 0
		.amdhsa_private_segment_fixed_size 0
		.amdhsa_kernarg_size 3408
		.amdhsa_user_sgpr_count 2
		.amdhsa_user_sgpr_dispatch_ptr 0
		.amdhsa_user_sgpr_queue_ptr 0
		.amdhsa_user_sgpr_kernarg_segment_ptr 1
		.amdhsa_user_sgpr_dispatch_id 0
		.amdhsa_user_sgpr_kernarg_preload_length 0
		.amdhsa_user_sgpr_kernarg_preload_offset 0
		.amdhsa_user_sgpr_private_segment_size 0
		.amdhsa_wavefront_size32 1
		.amdhsa_uses_dynamic_stack 0
		.amdhsa_enable_private_segment 0
		.amdhsa_system_sgpr_workgroup_id_x 1
		.amdhsa_system_sgpr_workgroup_id_y 0
		.amdhsa_system_sgpr_workgroup_id_z 0
		.amdhsa_system_sgpr_workgroup_info 0
		.amdhsa_system_vgpr_workitem_id 0
		.amdhsa_next_free_vgpr 35
		.amdhsa_next_free_sgpr 20
		.amdhsa_named_barrier_count 0
		.amdhsa_reserve_vcc 1
		.amdhsa_float_round_mode_32 0
		.amdhsa_float_round_mode_16_64 0
		.amdhsa_float_denorm_mode_32 3
		.amdhsa_float_denorm_mode_16_64 3
		.amdhsa_fp16_overflow 0
		.amdhsa_memory_ordered 1
		.amdhsa_forward_progress 1
		.amdhsa_inst_pref_size 16
		.amdhsa_round_robin_scheduling 0
		.amdhsa_exception_fp_ieee_invalid_op 0
		.amdhsa_exception_fp_denorm_src 0
		.amdhsa_exception_fp_ieee_div_zero 0
		.amdhsa_exception_fp_ieee_overflow 0
		.amdhsa_exception_fp_ieee_underflow 0
		.amdhsa_exception_fp_ieee_inexact 0
		.amdhsa_exception_int_div_zero 0
	.end_amdhsa_kernel
	.section	.text._ZN2at6native12_GLOBAL__N_125multi_tensor_apply_kernelINS1_18TensorListMetadataILi2EEENS1_14UnaryOpFunctorIfLi2ELi1ELi1EEEJNS0_3LogIfEEEEEvT_T0_DpT1_,"axG",@progbits,_ZN2at6native12_GLOBAL__N_125multi_tensor_apply_kernelINS1_18TensorListMetadataILi2EEENS1_14UnaryOpFunctorIfLi2ELi1ELi1EEEJNS0_3LogIfEEEEEvT_T0_DpT1_,comdat
.Lfunc_end166:
	.size	_ZN2at6native12_GLOBAL__N_125multi_tensor_apply_kernelINS1_18TensorListMetadataILi2EEENS1_14UnaryOpFunctorIfLi2ELi1ELi1EEEJNS0_3LogIfEEEEEvT_T0_DpT1_, .Lfunc_end166-_ZN2at6native12_GLOBAL__N_125multi_tensor_apply_kernelINS1_18TensorListMetadataILi2EEENS1_14UnaryOpFunctorIfLi2ELi1ELi1EEEJNS0_3LogIfEEEEEvT_T0_DpT1_
                                        ; -- End function
	.set _ZN2at6native12_GLOBAL__N_125multi_tensor_apply_kernelINS1_18TensorListMetadataILi2EEENS1_14UnaryOpFunctorIfLi2ELi1ELi1EEEJNS0_3LogIfEEEEEvT_T0_DpT1_.num_vgpr, 35
	.set _ZN2at6native12_GLOBAL__N_125multi_tensor_apply_kernelINS1_18TensorListMetadataILi2EEENS1_14UnaryOpFunctorIfLi2ELi1ELi1EEEJNS0_3LogIfEEEEEvT_T0_DpT1_.num_agpr, 0
	.set _ZN2at6native12_GLOBAL__N_125multi_tensor_apply_kernelINS1_18TensorListMetadataILi2EEENS1_14UnaryOpFunctorIfLi2ELi1ELi1EEEJNS0_3LogIfEEEEEvT_T0_DpT1_.numbered_sgpr, 20
	.set _ZN2at6native12_GLOBAL__N_125multi_tensor_apply_kernelINS1_18TensorListMetadataILi2EEENS1_14UnaryOpFunctorIfLi2ELi1ELi1EEEJNS0_3LogIfEEEEEvT_T0_DpT1_.num_named_barrier, 0
	.set _ZN2at6native12_GLOBAL__N_125multi_tensor_apply_kernelINS1_18TensorListMetadataILi2EEENS1_14UnaryOpFunctorIfLi2ELi1ELi1EEEJNS0_3LogIfEEEEEvT_T0_DpT1_.private_seg_size, 0
	.set _ZN2at6native12_GLOBAL__N_125multi_tensor_apply_kernelINS1_18TensorListMetadataILi2EEENS1_14UnaryOpFunctorIfLi2ELi1ELi1EEEJNS0_3LogIfEEEEEvT_T0_DpT1_.uses_vcc, 1
	.set _ZN2at6native12_GLOBAL__N_125multi_tensor_apply_kernelINS1_18TensorListMetadataILi2EEENS1_14UnaryOpFunctorIfLi2ELi1ELi1EEEJNS0_3LogIfEEEEEvT_T0_DpT1_.uses_flat_scratch, 0
	.set _ZN2at6native12_GLOBAL__N_125multi_tensor_apply_kernelINS1_18TensorListMetadataILi2EEENS1_14UnaryOpFunctorIfLi2ELi1ELi1EEEJNS0_3LogIfEEEEEvT_T0_DpT1_.has_dyn_sized_stack, 0
	.set _ZN2at6native12_GLOBAL__N_125multi_tensor_apply_kernelINS1_18TensorListMetadataILi2EEENS1_14UnaryOpFunctorIfLi2ELi1ELi1EEEJNS0_3LogIfEEEEEvT_T0_DpT1_.has_recursion, 0
	.set _ZN2at6native12_GLOBAL__N_125multi_tensor_apply_kernelINS1_18TensorListMetadataILi2EEENS1_14UnaryOpFunctorIfLi2ELi1ELi1EEEJNS0_3LogIfEEEEEvT_T0_DpT1_.has_indirect_call, 0
	.section	.AMDGPU.csdata,"",@progbits
; Kernel info:
; codeLenInByte = 1960
; TotalNumSgprs: 22
; NumVgprs: 35
; ScratchSize: 0
; MemoryBound: 0
; FloatMode: 240
; IeeeMode: 1
; LDSByteSize: 0 bytes/workgroup (compile time only)
; SGPRBlocks: 0
; VGPRBlocks: 2
; NumSGPRsForWavesPerEU: 22
; NumVGPRsForWavesPerEU: 35
; NamedBarCnt: 0
; Occupancy: 16
; WaveLimiterHint : 0
; COMPUTE_PGM_RSRC2:SCRATCH_EN: 0
; COMPUTE_PGM_RSRC2:USER_SGPR: 2
; COMPUTE_PGM_RSRC2:TRAP_HANDLER: 0
; COMPUTE_PGM_RSRC2:TGID_X_EN: 1
; COMPUTE_PGM_RSRC2:TGID_Y_EN: 0
; COMPUTE_PGM_RSRC2:TGID_Z_EN: 0
; COMPUTE_PGM_RSRC2:TIDIG_COMP_CNT: 0
	.section	.text._ZN2at6native12_GLOBAL__N_125multi_tensor_apply_kernelINS1_18TensorListMetadataILi2EEENS1_14UnaryOpFunctorIN3c107complexIdEELi2ELi1ELi1EEEJNS0_3LogIS8_EEEEEvT_T0_DpT1_,"axG",@progbits,_ZN2at6native12_GLOBAL__N_125multi_tensor_apply_kernelINS1_18TensorListMetadataILi2EEENS1_14UnaryOpFunctorIN3c107complexIdEELi2ELi1ELi1EEEJNS0_3LogIS8_EEEEEvT_T0_DpT1_,comdat
	.globl	_ZN2at6native12_GLOBAL__N_125multi_tensor_apply_kernelINS1_18TensorListMetadataILi2EEENS1_14UnaryOpFunctorIN3c107complexIdEELi2ELi1ELi1EEEJNS0_3LogIS8_EEEEEvT_T0_DpT1_ ; -- Begin function _ZN2at6native12_GLOBAL__N_125multi_tensor_apply_kernelINS1_18TensorListMetadataILi2EEENS1_14UnaryOpFunctorIN3c107complexIdEELi2ELi1ELi1EEEJNS0_3LogIS8_EEEEEvT_T0_DpT1_
	.p2align	8
	.type	_ZN2at6native12_GLOBAL__N_125multi_tensor_apply_kernelINS1_18TensorListMetadataILi2EEENS1_14UnaryOpFunctorIN3c107complexIdEELi2ELi1ELi1EEEJNS0_3LogIS8_EEEEEvT_T0_DpT1_,@function
_ZN2at6native12_GLOBAL__N_125multi_tensor_apply_kernelINS1_18TensorListMetadataILi2EEENS1_14UnaryOpFunctorIN3c107complexIdEELi2ELi1ELi1EEEJNS0_3LogIS8_EEEEEvT_T0_DpT1_: ; @_ZN2at6native12_GLOBAL__N_125multi_tensor_apply_kernelINS1_18TensorListMetadataILi2EEENS1_14UnaryOpFunctorIN3c107complexIdEELi2ELi1ELi1EEEJNS0_3LogIS8_EEEEEvT_T0_DpT1_
; %bb.0:
	s_bfe_u32 s2, ttmp6, 0x4000c
	s_and_b32 s3, ttmp6, 15
	s_add_co_i32 s2, s2, 1
	s_getreg_b32 s4, hwreg(HW_REG_IB_STS2, 6, 4)
	s_mul_i32 s2, ttmp9, s2
	s_delay_alu instid0(SALU_CYCLE_1)
	s_add_co_i32 s3, s3, s2
	s_cmp_eq_u32 s4, 0
	s_cselect_b32 s2, ttmp9, s3
	s_mov_b32 s3, 0
	s_load_u8 s14, s[0:1], s2 offset:0x600
	s_add_nc_u64 s[4:5], s[0:1], s[2:3]
	s_mul_u64 s[6:7], s[2:3], 3
	s_delay_alu instid0(SALU_CYCLE_1)
	s_add_nc_u64 s[4:5], s[4:5], s[6:7]
	s_load_b32 s6, s[4:5], 0x740
	s_wait_kmcnt 0x0
	s_clause 0x2
	s_load_b64 s[8:9], s[0:1], s14 offset:0x0 scale_offset
	s_load_b64 s[10:11], s[0:1], s14 offset:0x200 scale_offset
	;; [unrolled: 1-line block ×3, first 2 shown]
	s_ashr_i32 s7, s6, 31
	s_delay_alu instid0(SALU_CYCLE_1)
	s_lshl_b64 s[4:5], s[6:7], 20
	s_lshl_b64 s[6:7], s[6:7], 16
	s_wait_kmcnt 0x0
	s_add_nc_u64 s[18:19], s[10:11], s[4:5]
	s_add_nc_u64 s[16:17], s[8:9], s[4:5]
	s_and_b32 s4, s12, 3
	s_and_b64 s[8:9], s[18:19], 63
	s_mov_b32 s5, s3
	s_and_b32 s2, s16, 63
	s_or_b64 s[4:5], s[8:9], s[4:5]
	s_sub_nc_u64 s[14:15], s[12:13], s[6:7]
	s_or_b64 s[2:3], s[4:5], s[2:3]
	s_delay_alu instid0(SALU_CYCLE_1)
	s_cmp_eq_u64 s[2:3], 0
	s_mov_b32 s2, -1
	s_cbranch_scc0 .LBB167_141
; %bb.1:
	v_min_i64 v[34:35], 0x10000, s[14:15]
	v_dual_mov_b32 v36, 0 :: v_dual_lshlrev_b32 v2, 2, v0
	s_mov_b32 s13, exec_lo
	s_delay_alu instid0(VALU_DEP_1) | instskip(NEXT) | instid1(VALU_DEP_1)
	v_mov_b32_e32 v3, v36
	v_cmpx_lt_i64_e64 v[2:3], v[34:35]
	s_cbranch_execz .LBB167_140
; %bb.2:
	s_load_b32 s2, s[0:1], 0xc5c
	v_dual_mov_b32 v1, v36 :: v_dual_mov_b32 v62, 0x7f3321d2
	v_mov_b64_e32 v[38:39], 0x3fc385386b47b09a
	v_mov_b64_e32 v[40:41], 0xbf23e260bd3237f4
	v_mov_b32_e32 v63, 0x4002d97c
	s_delay_alu instid0(VALU_DEP_4)
	v_mov_b64_e32 v[42:43], v[0:1]
	s_mov_b32 s43, 0
	s_mov_b64 s[20:21], 0x7fd1ccf385ebc8a0
	s_mov_b64 s[22:23], 0x358dee7a4ad4b81f
	;; [unrolled: 1-line block ×10, first 2 shown]
	s_mov_b32 s33, s43
                                        ; implicit-def: $vgpr2_vgpr3
                                        ; implicit-def: $vgpr2_vgpr3
	;; [unrolled: 1-line block ×23, first 2 shown]
	s_wait_kmcnt 0x0
	s_and_b32 s42, s2, 0xffff
	s_branch .LBB167_5
.LBB167_3:                              ;   in Loop: Header=BB167_5 Depth=1
	s_or_b32 exec_lo, exec_lo, s3
	s_delay_alu instid0(VALU_DEP_1) | instskip(NEXT) | instid1(VALU_DEP_1)
	v_frexp_mant_f64_e32 v[2:3], v[6:7]
	v_cmp_gt_f64_e32 vcc_lo, s[26:27], v[2:3]
	v_cndmask_b32_e64 v1, 0, 1, vcc_lo
	s_delay_alu instid0(VALU_DEP_1) | instskip(SKIP_1) | instid1(VALU_DEP_2)
	v_ldexp_f64 v[2:3], v[2:3], v1
	v_frexp_exp_i32_f64_e32 v1, v[6:7]
	v_add_f64_e32 v[10:11], 1.0, v[2:3]
	v_add_f64_e32 v[32:33], -1.0, v[2:3]
	s_delay_alu instid0(VALU_DEP_3) | instskip(SKIP_1) | instid1(VALU_DEP_4)
	v_subrev_co_ci_u32_e64 v1, null, 0, v1, vcc_lo
	v_cmp_class_f64_e64 vcc_lo, v[6:7], 0x204
	v_rcp_f64_e32 v[14:15], v[10:11]
	v_add_f64_e32 v[46:47], -1.0, v[10:11]
	s_delay_alu instid0(VALU_DEP_1) | instskip(NEXT) | instid1(TRANS32_DEP_1)
	v_add_f64_e64 v[2:3], v[2:3], -v[46:47]
	v_fma_f64 v[30:31], -v[10:11], v[14:15], 1.0
	s_delay_alu instid0(VALU_DEP_1) | instskip(NEXT) | instid1(VALU_DEP_1)
	v_fmac_f64_e32 v[14:15], v[30:31], v[14:15]
	v_fma_f64 v[30:31], -v[10:11], v[14:15], 1.0
	s_delay_alu instid0(VALU_DEP_1) | instskip(NEXT) | instid1(VALU_DEP_1)
	v_fmac_f64_e32 v[14:15], v[30:31], v[14:15]
	v_mul_f64_e32 v[30:31], v[32:33], v[14:15]
	s_delay_alu instid0(VALU_DEP_1) | instskip(NEXT) | instid1(VALU_DEP_1)
	v_mul_f64_e32 v[48:49], v[10:11], v[30:31]
	v_fma_f64 v[10:11], v[30:31], v[10:11], -v[48:49]
	s_delay_alu instid0(VALU_DEP_1) | instskip(NEXT) | instid1(VALU_DEP_1)
	v_fmac_f64_e32 v[10:11], v[30:31], v[2:3]
	v_add_f64_e32 v[2:3], v[48:49], v[10:11]
	s_delay_alu instid0(VALU_DEP_1) | instskip(SKIP_1) | instid1(VALU_DEP_2)
	v_add_f64_e64 v[46:47], v[32:33], -v[2:3]
	v_add_f64_e64 v[48:49], v[2:3], -v[48:49]
	v_add_f64_e64 v[32:33], v[32:33], -v[46:47]
	s_delay_alu instid0(VALU_DEP_2) | instskip(NEXT) | instid1(VALU_DEP_2)
	v_add_f64_e64 v[10:11], v[48:49], -v[10:11]
	v_add_f64_e64 v[2:3], v[32:33], -v[2:3]
	s_delay_alu instid0(VALU_DEP_1) | instskip(NEXT) | instid1(VALU_DEP_1)
	v_add_f64_e32 v[2:3], v[10:11], v[2:3]
	v_add_f64_e32 v[2:3], v[46:47], v[2:3]
	s_delay_alu instid0(VALU_DEP_1) | instskip(NEXT) | instid1(VALU_DEP_1)
	v_mul_f64_e32 v[2:3], v[14:15], v[2:3]
	v_add_f64_e32 v[10:11], v[30:31], v[2:3]
	s_delay_alu instid0(VALU_DEP_1) | instskip(NEXT) | instid1(VALU_DEP_1)
	v_mul_f64_e32 v[14:15], v[10:11], v[10:11]
	v_fmamk_f64 v[32:33], v[14:15], 0x3fc3ab76bf559e2b, v[38:39]
	v_mul_f64_e32 v[46:47], v[10:11], v[14:15]
	s_delay_alu instid0(VALU_DEP_2) | instskip(NEXT) | instid1(VALU_DEP_1)
	v_fmaak_f64 v[32:33], v[14:15], v[32:33], 0x3fc7474dd7f4df2e
	v_fmaak_f64 v[32:33], v[14:15], v[32:33], 0x3fcc71c016291751
	s_delay_alu instid0(VALU_DEP_1) | instskip(NEXT) | instid1(VALU_DEP_1)
	v_fmaak_f64 v[32:33], v[14:15], v[32:33], 0x3fd249249b27acf1
	v_fmaak_f64 v[32:33], v[14:15], v[32:33], 0x3fd99999998ef7b6
	s_delay_alu instid0(VALU_DEP_1) | instskip(SKIP_2) | instid1(VALU_DEP_3)
	v_fmaak_f64 v[14:15], v[14:15], v[32:33], 0x3fe5555555555780
	v_ldexp_f64 v[32:33], v[10:11], 1
	v_add_f64_e64 v[10:11], v[10:11], -v[30:31]
	v_mul_f64_e32 v[14:15], v[46:47], v[14:15]
	v_cvt_f64_i32_e32 v[46:47], v1
	s_delay_alu instid0(VALU_DEP_3) | instskip(NEXT) | instid1(VALU_DEP_3)
	v_add_f64_e64 v[2:3], v[2:3], -v[10:11]
	v_add_f64_e32 v[30:31], v[32:33], v[14:15]
	s_delay_alu instid0(VALU_DEP_3) | instskip(NEXT) | instid1(VALU_DEP_3)
	v_mul_f64_e32 v[48:49], 0x3fe62e42fefa39ef, v[46:47]
	v_ldexp_f64 v[2:3], v[2:3], 1
	s_delay_alu instid0(VALU_DEP_3) | instskip(NEXT) | instid1(VALU_DEP_3)
	v_add_f64_e64 v[10:11], v[30:31], -v[32:33]
	v_fma_f64 v[32:33], v[46:47], s[28:29], -v[48:49]
	s_delay_alu instid0(VALU_DEP_2) | instskip(NEXT) | instid1(VALU_DEP_2)
	v_add_f64_e64 v[10:11], v[14:15], -v[10:11]
	v_fmac_f64_e32 v[32:33], 0x3c7abc9e3b39803f, v[46:47]
	s_delay_alu instid0(VALU_DEP_2) | instskip(NEXT) | instid1(VALU_DEP_2)
	v_add_f64_e32 v[2:3], v[2:3], v[10:11]
	v_add_f64_e32 v[10:11], v[48:49], v[32:33]
	s_delay_alu instid0(VALU_DEP_2) | instskip(NEXT) | instid1(VALU_DEP_2)
	v_add_f64_e32 v[14:15], v[30:31], v[2:3]
	v_add_f64_e64 v[48:49], v[10:11], -v[48:49]
	s_delay_alu instid0(VALU_DEP_2) | instskip(SKIP_1) | instid1(VALU_DEP_3)
	v_add_f64_e32 v[46:47], v[10:11], v[14:15]
	v_add_f64_e64 v[30:31], v[14:15], -v[30:31]
	v_add_f64_e64 v[32:33], v[32:33], -v[48:49]
	s_delay_alu instid0(VALU_DEP_3) | instskip(NEXT) | instid1(VALU_DEP_3)
	v_add_f64_e64 v[50:51], v[46:47], -v[10:11]
	v_add_f64_e64 v[2:3], v[2:3], -v[30:31]
	s_delay_alu instid0(VALU_DEP_2) | instskip(SKIP_1) | instid1(VALU_DEP_3)
	v_add_f64_e64 v[52:53], v[46:47], -v[50:51]
	v_add_f64_e64 v[14:15], v[14:15], -v[50:51]
	v_add_f64_e32 v[30:31], v[32:33], v[2:3]
	s_delay_alu instid0(VALU_DEP_3) | instskip(NEXT) | instid1(VALU_DEP_1)
	v_add_f64_e64 v[10:11], v[10:11], -v[52:53]
	v_add_f64_e32 v[10:11], v[14:15], v[10:11]
	s_delay_alu instid0(VALU_DEP_3) | instskip(NEXT) | instid1(VALU_DEP_2)
	v_add_f64_e64 v[14:15], v[30:31], -v[32:33]
	v_add_f64_e32 v[10:11], v[30:31], v[10:11]
	s_delay_alu instid0(VALU_DEP_2) | instskip(SKIP_1) | instid1(VALU_DEP_3)
	v_add_f64_e64 v[30:31], v[30:31], -v[14:15]
	v_add_f64_e64 v[2:3], v[2:3], -v[14:15]
	v_add_f64_e32 v[48:49], v[46:47], v[10:11]
	s_delay_alu instid0(VALU_DEP_3) | instskip(SKIP_1) | instid1(VALU_DEP_3)
	v_add_f64_e64 v[14:15], v[32:33], -v[30:31]
	v_mov_b64_e32 v[32:33], 0x7ff8000000000000
	v_add_f64_e64 v[30:31], v[48:49], -v[46:47]
	s_delay_alu instid0(VALU_DEP_3) | instskip(NEXT) | instid1(VALU_DEP_2)
	v_add_f64_e32 v[2:3], v[2:3], v[14:15]
	v_add_f64_e64 v[10:11], v[10:11], -v[30:31]
	s_delay_alu instid0(VALU_DEP_1) | instskip(NEXT) | instid1(VALU_DEP_1)
	v_add_f64_e32 v[2:3], v[2:3], v[10:11]
	v_add_f64_e32 v[2:3], v[48:49], v[2:3]
	s_delay_alu instid0(VALU_DEP_1) | instskip(SKIP_1) | instid1(VALU_DEP_2)
	v_dual_cndmask_b32 v1, v2, v6 :: v_dual_cndmask_b32 v2, v3, v7
	v_cmp_ngt_f64_e32 vcc_lo, 0, v[6:7]
	v_cndmask_b32_e32 v2, 0x7ff80000, v2, vcc_lo
	v_cmp_nge_f64_e32 vcc_lo, 0, v[6:7]
	s_delay_alu instid0(VALU_DEP_4) | instskip(SKIP_1) | instid1(VALU_DEP_4)
	v_cndmask_b32_e32 v30, 0, v1, vcc_lo
	v_cmp_neq_f64_e32 vcc_lo, 0, v[6:7]
	v_cndmask_b32_e32 v31, 0xfff00000, v2, vcc_lo
.LBB167_4:                              ;   in Loop: Header=BB167_5 Depth=1
	s_or_b32 exec_lo, exec_lo, s2
	v_add_nc_u64_e32 v[42:43], s[42:43], v[42:43]
	v_add_nc_u64_e32 v[6:7], s[18:19], v[44:45]
	v_bfi_b32 v21, 0x7fffffff, v21, v17
	v_bfi_b32 v29, 0x7fffffff, v29, v13
	;; [unrolled: 1-line block ×4, first 2 shown]
	s_clause 0x1
	global_store_b128 v[6:7], v[18:21], off
	global_store_b128 v[6:7], v[22:25], off offset:16
	v_lshlrev_b64_e32 v[2:3], 2, v[42:43]
	s_clause 0x1
	global_store_b128 v[6:7], v[26:29], off offset:32
	global_store_b128 v[6:7], v[30:33], off offset:48
	v_cmp_ge_i64_e32 vcc_lo, v[2:3], v[34:35]
	s_or_b32 s33, vcc_lo, s33
	s_wait_xcnt 0x0
	s_and_not1_b32 exec_lo, exec_lo, s33
	s_cbranch_execz .LBB167_140
.LBB167_5:                              ; =>This Loop Header: Depth=1
                                        ;     Child Loop BB167_16 Depth 2
                                        ;     Child Loop BB167_50 Depth 2
	;; [unrolled: 1-line block ×4, first 2 shown]
	v_lshlrev_b64_e32 v[44:45], 6, v[42:43]
	s_mov_b32 s2, exec_lo
	s_delay_alu instid0(VALU_DEP_1)
	v_add_nc_u64_e32 v[18:19], s[16:17], v[44:45]
	s_clause 0x3
	global_load_b128 v[14:17], v[18:19], off
	global_load_b128 v[6:9], v[18:19], off offset:16
	global_load_b128 v[2:5], v[18:19], off offset:48
	;; [unrolled: 1-line block ×3, first 2 shown]
                                        ; implicit-def: $vgpr18_vgpr19
	s_wait_loadcnt 0x3
	s_wait_xcnt 0x0
	v_cmpx_o_f64_e32 v[14:15], v[16:17]
	s_xor_b32 s44, exec_lo, s2
	s_cbranch_execz .LBB167_33
; %bb.6:                                ;   in Loop: Header=BB167_5 Depth=1
	v_cmp_lt_f64_e64 s2, |v[14:15]|, |v[16:17]|
	v_and_b32_e32 v21, 0x7fffffff, v15
	v_and_b32_e32 v1, 0x7fffffff, v17
	v_mov_b32_e32 v20, v16
                                        ; implicit-def: $vgpr18_vgpr19
	s_mov_b32 s3, exec_lo
	s_delay_alu instid0(VALU_DEP_2) | instskip(NEXT) | instid1(VALU_DEP_1)
	v_dual_cndmask_b32 v25, v1, v21, s2 :: v_dual_cndmask_b32 v24, v16, v14, s2
	v_cmpx_nlt_f64_e32 s[20:21], v[24:25]
	s_xor_b32 s45, exec_lo, s3
	s_cbranch_execz .LBB167_30
; %bb.7:                                ;   in Loop: Header=BB167_5 Depth=1
	v_dual_cndmask_b32 v23, v21, v1, s2 :: v_dual_cndmask_b32 v22, v14, v20, s2
                                        ; implicit-def: $vgpr18_vgpr19
	s_mov_b32 s3, exec_lo
	s_delay_alu instid0(VALU_DEP_1)
	v_cmpx_neq_f64_e32 1.0, v[22:23]
	s_xor_b32 s46, exec_lo, s3
	s_cbranch_execz .LBB167_23
; %bb.8:                                ;   in Loop: Header=BB167_5 Depth=1
	v_max_num_f64_e32 v[18:19], v[24:25], v[24:25]
	v_max_num_f64_e32 v[20:21], v[22:23], v[22:23]
	s_delay_alu instid0(VALU_DEP_1) | instskip(SKIP_1) | instid1(VALU_DEP_2)
	v_min_num_f64_e32 v[26:27], v[20:21], v[18:19]
	v_max_num_f64_e32 v[18:19], v[20:21], v[18:19]
	v_cmp_ngt_f64_e32 vcc_lo, s[22:23], v[26:27]
	s_delay_alu instid0(VALU_DEP_2) | instskip(SKIP_1) | instid1(SALU_CYCLE_1)
	v_cmp_nlt_f64_e64 s3, s[24:25], v[18:19]
                                        ; implicit-def: $vgpr18_vgpr19
	s_and_b32 s3, s3, vcc_lo
	s_and_saveexec_b32 s4, s3
	s_delay_alu instid0(SALU_CYCLE_1)
	s_xor_b32 s47, exec_lo, s4
	s_cbranch_execz .LBB167_20
; %bb.9:                                ;   in Loop: Header=BB167_5 Depth=1
                                        ; implicit-def: $vgpr18_vgpr19
	s_mov_b32 s3, exec_lo
	v_cmpx_le_f64_e32 1.0, v[22:23]
	s_xor_b32 s6, exec_lo, s3
	s_cbranch_execz .LBB167_11
; %bb.10:                               ;   in Loop: Header=BB167_5 Depth=1
	v_add_f64_e32 v[18:19], -1.0, v[22:23]
	v_add_f64_e32 v[20:21], 1.0, v[22:23]
	v_cmp_eq_f64_e64 s3, 0, v[16:17]
	v_cmp_class_f64_e64 s7, v[16:17], 0x204
	v_cmp_class_f64_e64 s8, v[14:15], 0x204
	s_delay_alu instid0(VALU_DEP_4) | instskip(NEXT) | instid1(VALU_DEP_1)
	v_mul_f64_e32 v[22:23], v[18:19], v[20:21]
	v_fmac_f64_e32 v[22:23], v[24:25], v[24:25]
	s_delay_alu instid0(VALU_DEP_1) | instskip(SKIP_2) | instid1(VALU_DEP_3)
	v_add_f64_e32 v[18:19], 1.0, v[22:23]
	v_cmp_nge_f64_e64 s4, -1.0, v[22:23]
	v_cmp_neq_f64_e64 s5, 0x7ff00000, v[22:23]
	v_frexp_mant_f64_e32 v[20:21], v[18:19]
	v_frexp_exp_i32_f64_e32 v1, v[18:19]
	v_add_f64_e32 v[24:25], -1.0, v[18:19]
	s_delay_alu instid0(VALU_DEP_3) | instskip(NEXT) | instid1(VALU_DEP_2)
	v_cmp_gt_f64_e32 vcc_lo, s[26:27], v[20:21]
	v_add_f64_e64 v[20:21], v[24:25], -v[18:19]
	v_add_f64_e64 v[24:25], v[22:23], -v[24:25]
	v_subrev_co_ci_u32_e64 v1, null, 0, v1, vcc_lo
	s_delay_alu instid0(VALU_DEP_3) | instskip(NEXT) | instid1(VALU_DEP_2)
	v_add_f64_e32 v[20:21], 1.0, v[20:21]
	v_sub_nc_u32_e32 v28, 0, v1
	s_delay_alu instid0(VALU_DEP_1) | instskip(NEXT) | instid1(VALU_DEP_3)
	v_ldexp_f64 v[18:19], v[18:19], v28
	v_add_f64_e32 v[20:21], v[24:25], v[20:21]
	s_delay_alu instid0(VALU_DEP_2) | instskip(SKIP_1) | instid1(VALU_DEP_3)
	v_add_f64_e32 v[26:27], 1.0, v[18:19]
	v_add_f64_e32 v[32:33], -1.0, v[18:19]
	v_ldexp_f64 v[20:21], v[20:21], v28
	s_delay_alu instid0(VALU_DEP_3) | instskip(NEXT) | instid1(VALU_DEP_3)
	v_add_f64_e32 v[24:25], -1.0, v[26:27]
	v_add_f64_e32 v[46:47], 1.0, v[32:33]
	s_delay_alu instid0(VALU_DEP_2) | instskip(NEXT) | instid1(VALU_DEP_2)
	v_add_f64_e64 v[24:25], v[18:19], -v[24:25]
	v_add_f64_e64 v[18:19], v[18:19], -v[46:47]
	s_delay_alu instid0(VALU_DEP_2) | instskip(NEXT) | instid1(VALU_DEP_2)
	v_add_f64_e32 v[24:25], v[20:21], v[24:25]
	v_add_f64_e32 v[18:19], v[20:21], v[18:19]
	s_delay_alu instid0(VALU_DEP_2) | instskip(NEXT) | instid1(VALU_DEP_2)
	v_add_f64_e32 v[28:29], v[26:27], v[24:25]
	v_add_f64_e32 v[46:47], v[32:33], v[18:19]
	s_delay_alu instid0(VALU_DEP_2) | instskip(SKIP_1) | instid1(VALU_DEP_2)
	v_rcp_f64_e32 v[30:31], v[28:29]
	v_add_f64_e64 v[26:27], v[28:29], -v[26:27]
	v_add_f64_e64 v[32:33], v[46:47], -v[32:33]
	s_delay_alu instid0(VALU_DEP_2) | instskip(NEXT) | instid1(VALU_DEP_2)
	v_add_f64_e64 v[24:25], v[24:25], -v[26:27]
	v_add_f64_e64 v[18:19], v[18:19], -v[32:33]
	s_delay_alu instid0(TRANS32_DEP_1) | instskip(NEXT) | instid1(VALU_DEP_1)
	v_fma_f64 v[48:49], -v[28:29], v[30:31], 1.0
	v_fmac_f64_e32 v[30:31], v[48:49], v[30:31]
	s_delay_alu instid0(VALU_DEP_1) | instskip(NEXT) | instid1(VALU_DEP_1)
	v_fma_f64 v[20:21], -v[28:29], v[30:31], 1.0
	v_fmac_f64_e32 v[30:31], v[20:21], v[30:31]
	s_delay_alu instid0(VALU_DEP_1) | instskip(NEXT) | instid1(VALU_DEP_1)
	v_mul_f64_e32 v[20:21], v[46:47], v[30:31]
	v_mul_f64_e32 v[48:49], v[28:29], v[20:21]
	s_delay_alu instid0(VALU_DEP_1) | instskip(NEXT) | instid1(VALU_DEP_1)
	v_fma_f64 v[26:27], v[20:21], v[28:29], -v[48:49]
	v_fmac_f64_e32 v[26:27], v[20:21], v[24:25]
	s_delay_alu instid0(VALU_DEP_1) | instskip(NEXT) | instid1(VALU_DEP_1)
	v_add_f64_e32 v[50:51], v[48:49], v[26:27]
	v_add_f64_e64 v[52:53], v[46:47], -v[50:51]
	v_add_f64_e64 v[32:33], v[50:51], -v[48:49]
	s_delay_alu instid0(VALU_DEP_2) | instskip(NEXT) | instid1(VALU_DEP_2)
	v_add_f64_e64 v[46:47], v[46:47], -v[52:53]
	v_add_f64_e64 v[26:27], v[32:33], -v[26:27]
	s_delay_alu instid0(VALU_DEP_2) | instskip(NEXT) | instid1(VALU_DEP_1)
	v_add_f64_e64 v[46:47], v[46:47], -v[50:51]
	v_add_f64_e32 v[18:19], v[18:19], v[46:47]
	s_delay_alu instid0(VALU_DEP_1) | instskip(NEXT) | instid1(VALU_DEP_1)
	v_add_f64_e32 v[18:19], v[26:27], v[18:19]
	v_add_f64_e32 v[26:27], v[52:53], v[18:19]
	s_delay_alu instid0(VALU_DEP_1) | instskip(SKIP_1) | instid1(VALU_DEP_2)
	v_mul_f64_e32 v[32:33], v[30:31], v[26:27]
	v_add_f64_e64 v[50:51], v[52:53], -v[26:27]
	v_mul_f64_e32 v[46:47], v[28:29], v[32:33]
	s_delay_alu instid0(VALU_DEP_2) | instskip(NEXT) | instid1(VALU_DEP_2)
	v_add_f64_e32 v[18:19], v[18:19], v[50:51]
	v_fma_f64 v[28:29], v[32:33], v[28:29], -v[46:47]
	s_delay_alu instid0(VALU_DEP_1) | instskip(NEXT) | instid1(VALU_DEP_1)
	v_fmac_f64_e32 v[28:29], v[32:33], v[24:25]
	v_add_f64_e32 v[24:25], v[46:47], v[28:29]
	s_delay_alu instid0(VALU_DEP_1) | instskip(SKIP_1) | instid1(VALU_DEP_2)
	v_add_f64_e64 v[48:49], v[26:27], -v[24:25]
	v_add_f64_e64 v[46:47], v[24:25], -v[46:47]
	;; [unrolled: 1-line block ×3, first 2 shown]
	s_delay_alu instid0(VALU_DEP_1) | instskip(NEXT) | instid1(VALU_DEP_3)
	v_add_f64_e64 v[24:25], v[26:27], -v[24:25]
	v_add_f64_e64 v[26:27], v[46:47], -v[28:29]
	v_max_num_f64_e64 v[28:29], |v[14:15]|, |v[14:15]|
	s_delay_alu instid0(VALU_DEP_3) | instskip(SKIP_1) | instid1(VALU_DEP_2)
	v_add_f64_e32 v[18:19], v[18:19], v[24:25]
	v_add_f64_e32 v[24:25], v[20:21], v[32:33]
	;; [unrolled: 1-line block ×3, first 2 shown]
	s_delay_alu instid0(VALU_DEP_2) | instskip(SKIP_1) | instid1(VALU_DEP_3)
	v_add_f64_e64 v[20:21], v[24:25], -v[20:21]
	v_max_num_f64_e64 v[26:27], |v[16:17]|, |v[16:17]|
	v_add_f64_e32 v[18:19], v[48:49], v[18:19]
	s_delay_alu instid0(VALU_DEP_3) | instskip(NEXT) | instid1(VALU_DEP_2)
	v_add_f64_e64 v[20:21], v[32:33], -v[20:21]
	v_mul_f64_e32 v[18:19], v[30:31], v[18:19]
	s_delay_alu instid0(VALU_DEP_1) | instskip(SKIP_2) | instid1(VALU_DEP_3)
	v_add_f64_e32 v[18:19], v[20:21], v[18:19]
	v_max_num_f64_e32 v[20:21], v[28:29], v[26:27]
	v_min_num_f64_e32 v[26:27], v[28:29], v[26:27]
	v_add_f64_e32 v[28:29], v[24:25], v[18:19]
	s_delay_alu instid0(VALU_DEP_2) | instskip(NEXT) | instid1(VALU_DEP_2)
	v_div_scale_f64 v[30:31], null, v[20:21], v[20:21], v[26:27]
	v_mul_f64_e32 v[32:33], v[28:29], v[28:29]
	v_add_f64_e64 v[24:25], v[28:29], -v[24:25]
	s_delay_alu instid0(VALU_DEP_3) | instskip(NEXT) | instid1(VALU_DEP_2)
	v_rcp_f64_e32 v[46:47], v[30:31]
	v_fmamk_f64 v[48:49], v[32:33], 0x3fc3ab76bf559e2b, v[38:39]
	v_mul_f64_e32 v[50:51], v[28:29], v[32:33]
	s_delay_alu instid0(VALU_DEP_3) | instskip(NEXT) | instid1(VALU_DEP_3)
	v_add_f64_e64 v[18:19], v[18:19], -v[24:25]
	v_fmaak_f64 v[48:49], v[32:33], v[48:49], 0x3fc7474dd7f4df2e
	s_delay_alu instid0(TRANS32_DEP_1) | instskip(NEXT) | instid1(VALU_DEP_2)
	v_fma_f64 v[52:53], -v[30:31], v[46:47], 1.0
	v_fmaak_f64 v[48:49], v[32:33], v[48:49], 0x3fcc71c016291751
	s_delay_alu instid0(VALU_DEP_1) | instskip(NEXT) | instid1(VALU_DEP_1)
	v_fmaak_f64 v[48:49], v[32:33], v[48:49], 0x3fd249249b27acf1
	v_fmaak_f64 v[48:49], v[32:33], v[48:49], 0x3fd99999998ef7b6
	v_ldexp_f64 v[18:19], v[18:19], 1
	s_delay_alu instid0(VALU_DEP_2) | instskip(SKIP_2) | instid1(VALU_DEP_3)
	v_fmaak_f64 v[32:33], v[32:33], v[48:49], 0x3fe5555555555780
	v_ldexp_f64 v[48:49], v[28:29], 1
	v_fmac_f64_e32 v[46:47], v[46:47], v[52:53]
	v_mul_f64_e32 v[32:33], v[50:51], v[32:33]
	v_cvt_f64_i32_e32 v[50:51], v1
	v_ashrrev_i32_e32 v1, 31, v15
	s_delay_alu instid0(VALU_DEP_4) | instskip(NEXT) | instid1(VALU_DEP_4)
	v_fma_f64 v[52:53], -v[30:31], v[46:47], 1.0
	v_add_f64_e32 v[28:29], v[48:49], v[32:33]
	s_delay_alu instid0(VALU_DEP_4) | instskip(NEXT) | instid1(VALU_DEP_3)
	v_mul_f64_e32 v[54:55], 0x3fe62e42fefa39ef, v[50:51]
	v_fmac_f64_e32 v[46:47], v[46:47], v[52:53]
	s_delay_alu instid0(VALU_DEP_3) | instskip(SKIP_1) | instid1(VALU_DEP_4)
	v_add_f64_e64 v[24:25], v[28:29], -v[48:49]
	v_div_scale_f64 v[48:49], vcc_lo, v[26:27], v[20:21], v[26:27]
	v_fma_f64 v[52:53], v[50:51], s[28:29], -v[54:55]
	s_delay_alu instid0(VALU_DEP_3) | instskip(NEXT) | instid1(VALU_DEP_3)
	v_add_f64_e64 v[24:25], v[32:33], -v[24:25]
	v_mul_f64_e32 v[32:33], v[48:49], v[46:47]
	s_delay_alu instid0(VALU_DEP_3) | instskip(NEXT) | instid1(VALU_DEP_3)
	v_fmac_f64_e32 v[52:53], 0x3c7abc9e3b39803f, v[50:51]
	v_add_f64_e32 v[18:19], v[18:19], v[24:25]
	s_delay_alu instid0(VALU_DEP_3) | instskip(NEXT) | instid1(VALU_DEP_3)
	v_fma_f64 v[24:25], -v[30:31], v[32:33], v[48:49]
	v_add_f64_e32 v[30:31], v[54:55], v[52:53]
	s_delay_alu instid0(VALU_DEP_3) | instskip(NEXT) | instid1(VALU_DEP_3)
	v_add_f64_e32 v[48:49], v[28:29], v[18:19]
	v_div_fmas_f64 v[24:25], v[24:25], v[46:47], v[32:33]
	v_cmp_gt_i32_e32 vcc_lo, 0, v15
	s_delay_alu instid0(VALU_DEP_4) | instskip(NEXT) | instid1(VALU_DEP_4)
	v_add_f64_e64 v[46:47], v[30:31], -v[54:55]
	v_add_f64_e32 v[32:33], v[30:31], v[48:49]
	s_delay_alu instid0(VALU_DEP_4) | instskip(SKIP_1) | instid1(VALU_DEP_4)
	v_div_fixup_f64 v[20:21], v[24:25], v[20:21], v[26:27]
	v_add_f64_e64 v[28:29], v[48:49], -v[28:29]
	v_add_f64_e64 v[46:47], v[52:53], -v[46:47]
	s_delay_alu instid0(VALU_DEP_4) | instskip(NEXT) | instid1(VALU_DEP_4)
	v_add_f64_e64 v[24:25], v[32:33], -v[30:31]
	v_mul_f64_e32 v[26:27], v[20:21], v[20:21]
	s_delay_alu instid0(VALU_DEP_4) | instskip(NEXT) | instid1(VALU_DEP_3)
	v_add_f64_e64 v[18:19], v[18:19], -v[28:29]
	v_add_f64_e64 v[50:51], v[32:33], -v[24:25]
	s_delay_alu instid0(VALU_DEP_3) | instskip(SKIP_1) | instid1(VALU_DEP_4)
	v_fmamk_f64 v[54:55], v[26:27], 0x3eeba404b5e68a13, v[40:41]
	v_add_f64_e64 v[24:25], v[48:49], -v[24:25]
	v_add_f64_e32 v[48:49], v[46:47], v[18:19]
	s_delay_alu instid0(VALU_DEP_3) | instskip(SKIP_1) | instid1(VALU_DEP_2)
	v_fmaak_f64 v[54:55], v[26:27], v[54:55], 0x3f4b2bb069efb384
	v_add_f64_e64 v[28:29], v[30:31], -v[50:51]
	v_fmaak_f64 v[30:31], v[26:27], v[54:55], 0xbf67952daf56de9b
	s_delay_alu instid0(VALU_DEP_1) | instskip(NEXT) | instid1(VALU_DEP_1)
	v_fmaak_f64 v[30:31], v[26:27], v[30:31], 0x3f7d6d43a595c56f
	v_fmaak_f64 v[30:31], v[26:27], v[30:31], 0xbf8c6ea4a57d9582
	s_delay_alu instid0(VALU_DEP_1) | instskip(NEXT) | instid1(VALU_DEP_1)
	v_fmaak_f64 v[30:31], v[26:27], v[30:31], 0x3f967e295f08b19f
	v_fmaak_f64 v[30:31], v[26:27], v[30:31], 0xbf9e9ae6fc27006a
	v_add_f64_e32 v[24:25], v[24:25], v[28:29]
	s_delay_alu instid0(VALU_DEP_2) | instskip(SKIP_1) | instid1(VALU_DEP_2)
	v_fmaak_f64 v[28:29], v[26:27], v[30:31], 0x3fa2c15b5711927a
	v_add_f64_e64 v[30:31], v[48:49], -v[46:47]
	v_fmaak_f64 v[28:29], v[26:27], v[28:29], 0xbfa59976e82d3ff0
	s_delay_alu instid0(VALU_DEP_1) | instskip(NEXT) | instid1(VALU_DEP_1)
	v_fmaak_f64 v[28:29], v[26:27], v[28:29], 0x3fa82d5d6ef28734
	v_fmaak_f64 v[28:29], v[26:27], v[28:29], 0xbfaae5ce6a214619
	s_delay_alu instid0(VALU_DEP_1) | instskip(SKIP_3) | instid1(VALU_DEP_4)
	v_fmaak_f64 v[28:29], v[26:27], v[28:29], 0x3fae1bb48427b883
	v_add_f64_e32 v[24:25], v[48:49], v[24:25]
	v_add_f64_e64 v[48:49], v[48:49], -v[30:31]
	v_add_f64_e64 v[18:19], v[18:19], -v[30:31]
	v_fmaak_f64 v[28:29], v[26:27], v[28:29], 0xbfb110e48b207f05
	s_delay_alu instid0(VALU_DEP_1) | instskip(NEXT) | instid1(VALU_DEP_1)
	v_fmaak_f64 v[28:29], v[26:27], v[28:29], 0x3fb3b13657b87036
	v_fmaak_f64 v[28:29], v[26:27], v[28:29], 0xbfb745d119378e4f
	s_delay_alu instid0(VALU_DEP_1) | instskip(SKIP_1) | instid1(VALU_DEP_2)
	v_fmaak_f64 v[28:29], v[26:27], v[28:29], 0x3fbc71c717e1913c
	v_add_f64_e32 v[50:51], v[32:33], v[24:25]
	v_fmaak_f64 v[28:29], v[26:27], v[28:29], 0xbfc2492492376b7d
	s_delay_alu instid0(VALU_DEP_1) | instskip(NEXT) | instid1(VALU_DEP_1)
	v_fmaak_f64 v[28:29], v[26:27], v[28:29], 0x3fc99999999952cc
	v_fmaak_f64 v[28:29], v[26:27], v[28:29], 0xbfd5555555555523
	s_delay_alu instid0(VALU_DEP_1) | instskip(SKIP_2) | instid1(VALU_DEP_3)
	v_mul_f64_e32 v[26:27], v[26:27], v[28:29]
	v_add_f64_e64 v[28:29], v[46:47], -v[48:49]
	v_add_f64_e64 v[30:31], v[50:51], -v[32:33]
	v_fmac_f64_e32 v[20:21], v[20:21], v[26:27]
	s_delay_alu instid0(VALU_DEP_3) | instskip(NEXT) | instid1(VALU_DEP_3)
	v_add_f64_e32 v[18:19], v[18:19], v[28:29]
	v_add_f64_e64 v[24:25], v[24:25], -v[30:31]
	s_delay_alu instid0(VALU_DEP_3) | instskip(NEXT) | instid1(VALU_DEP_1)
	v_add_f64_e64 v[26:27], -v[20:21], s[30:31]
	v_dual_add_f64 v[18:19], v[18:19], v[24:25] :: v_dual_cndmask_b32 v21, v21, v27, s2
	s_delay_alu instid0(VALU_DEP_2) | instskip(SKIP_3) | instid1(VALU_DEP_4)
	v_cndmask_b32_e64 v20, v20, v26, s2
	v_and_b32_e32 v27, 0x54442d18, v1
	v_and_b32_e32 v1, 0x400921fb, v1
	v_cndmask_b32_e32 v26, 0x54442d18, v62, vcc_lo
	v_add_f64_e64 v[24:25], -v[20:21], s[34:35]
	s_delay_alu instid0(VALU_DEP_1) | instskip(NEXT) | instid1(VALU_DEP_2)
	v_dual_add_f64 v[18:19], v[50:51], v[18:19] :: v_dual_cndmask_b32 v20, v20, v24, vcc_lo
	v_cndmask_b32_e32 v21, v21, v25, vcc_lo
	v_cndmask_b32_e32 v24, 0x3fe921fb, v63, vcc_lo
	s_delay_alu instid0(VALU_DEP_3) | instskip(SKIP_1) | instid1(VALU_DEP_4)
	v_mul_f64_e32 v[18:19], 0.5, v[18:19]
	v_cmp_ngt_f64_e32 vcc_lo, -1.0, v[22:23]
	v_dual_cndmask_b32 v20, v20, v27, s3 :: v_dual_cndmask_b32 v1, v21, v1, s3
	s_and_b32 s3, s4, s5
	v_bfi_b32 v24, 0x7fffffff, v24, v17
	s_delay_alu instid0(VALU_DEP_4) | instskip(SKIP_2) | instid1(VALU_DEP_1)
	v_cndmask_b32_e64 v18, 0, v18, s3
	v_cmp_neq_f64_e64 s3, -1.0, v[22:23]
	v_cndmask_b32_e64 v19, 0x7ff00000, v19, s5
                                        ; implicit-def: $vgpr22_vgpr23
	v_cndmask_b32_e32 v19, 0x7ff80000, v19, vcc_lo
	s_and_b32 vcc_lo, s8, s7
	v_dual_cndmask_b32 v21, v1, v24 :: v_dual_cndmask_b32 v20, v20, v26
                                        ; implicit-def: $vgpr24_vgpr25
	s_delay_alu instid0(VALU_DEP_2)
	v_cndmask_b32_e64 v19, 0xfff00000, v19, s3
.LBB167_11:                             ;   in Loop: Header=BB167_5 Depth=1
	s_and_not1_saveexec_b32 s48, s6
	s_cbranch_execz .LBB167_19
; %bb.12:                               ;   in Loop: Header=BB167_5 Depth=1
	v_mul_f64_e32 v[20:21], v[24:25], v[24:25]
                                        ; implicit-def: $vgpr18_vgpr19
	s_mov_b32 s3, exec_lo
	s_delay_alu instid0(VALU_DEP_1) | instskip(NEXT) | instid1(VALU_DEP_1)
	v_fmac_f64_e32 v[20:21], v[22:23], v[22:23]
	v_cmpx_ge_f64_e32 s[36:37], v[20:21]
	s_xor_b32 s5, exec_lo, s3
	s_cbranch_execz .LBB167_14
; %bb.13:                               ;   in Loop: Header=BB167_5 Depth=1
	v_frexp_mant_f64_e32 v[18:19], v[20:21]
	v_cmp_eq_f64_e64 s3, 0, v[16:17]
	v_cmp_neq_f64_e64 s4, 0, v[20:21]
	v_cmp_class_f64_e64 s6, v[16:17], 0x204
	v_cmp_class_f64_e64 s7, v[14:15], 0x204
	v_cmp_gt_f64_e32 vcc_lo, s[26:27], v[18:19]
	v_cndmask_b32_e64 v1, 0, 1, vcc_lo
	s_delay_alu instid0(VALU_DEP_1) | instskip(SKIP_1) | instid1(VALU_DEP_2)
	v_ldexp_f64 v[18:19], v[18:19], v1
	v_frexp_exp_i32_f64_e32 v1, v[20:21]
	v_add_f64_e32 v[22:23], 1.0, v[18:19]
	v_add_f64_e32 v[28:29], -1.0, v[18:19]
	s_delay_alu instid0(VALU_DEP_3) | instskip(NEXT) | instid1(VALU_DEP_3)
	v_subrev_co_ci_u32_e64 v1, null, 0, v1, vcc_lo
	v_rcp_f64_e32 v[24:25], v[22:23]
	v_add_f64_e32 v[30:31], -1.0, v[22:23]
	s_delay_alu instid0(VALU_DEP_1) | instskip(NEXT) | instid1(TRANS32_DEP_1)
	v_add_f64_e64 v[18:19], v[18:19], -v[30:31]
	v_fma_f64 v[26:27], -v[22:23], v[24:25], 1.0
	s_delay_alu instid0(VALU_DEP_1) | instskip(NEXT) | instid1(VALU_DEP_1)
	v_fmac_f64_e32 v[24:25], v[26:27], v[24:25]
	v_fma_f64 v[26:27], -v[22:23], v[24:25], 1.0
	s_delay_alu instid0(VALU_DEP_1) | instskip(NEXT) | instid1(VALU_DEP_1)
	v_fmac_f64_e32 v[24:25], v[26:27], v[24:25]
	v_mul_f64_e32 v[26:27], v[28:29], v[24:25]
	s_delay_alu instid0(VALU_DEP_1) | instskip(NEXT) | instid1(VALU_DEP_1)
	v_mul_f64_e32 v[32:33], v[22:23], v[26:27]
	v_fma_f64 v[22:23], v[26:27], v[22:23], -v[32:33]
	s_delay_alu instid0(VALU_DEP_1) | instskip(NEXT) | instid1(VALU_DEP_1)
	v_fmac_f64_e32 v[22:23], v[26:27], v[18:19]
	v_add_f64_e32 v[18:19], v[32:33], v[22:23]
	s_delay_alu instid0(VALU_DEP_1) | instskip(SKIP_1) | instid1(VALU_DEP_2)
	v_add_f64_e64 v[30:31], v[28:29], -v[18:19]
	v_add_f64_e64 v[32:33], v[18:19], -v[32:33]
	v_add_f64_e64 v[28:29], v[28:29], -v[30:31]
	s_delay_alu instid0(VALU_DEP_2) | instskip(NEXT) | instid1(VALU_DEP_2)
	v_add_f64_e64 v[22:23], v[32:33], -v[22:23]
	v_add_f64_e64 v[18:19], v[28:29], -v[18:19]
	v_max_num_f64_e64 v[28:29], |v[14:15]|, |v[14:15]|
	s_delay_alu instid0(VALU_DEP_2) | instskip(SKIP_1) | instid1(VALU_DEP_2)
	v_add_f64_e32 v[18:19], v[22:23], v[18:19]
	v_max_num_f64_e64 v[22:23], |v[16:17]|, |v[16:17]|
	v_add_f64_e32 v[18:19], v[30:31], v[18:19]
	s_delay_alu instid0(VALU_DEP_1) | instskip(NEXT) | instid1(VALU_DEP_3)
	v_mul_f64_e32 v[18:19], v[24:25], v[18:19]
	v_max_num_f64_e32 v[24:25], v[28:29], v[22:23]
	v_min_num_f64_e32 v[22:23], v[28:29], v[22:23]
	s_delay_alu instid0(VALU_DEP_3) | instskip(NEXT) | instid1(VALU_DEP_2)
	v_add_f64_e32 v[28:29], v[26:27], v[18:19]
	v_div_scale_f64 v[30:31], null, v[24:25], v[24:25], v[22:23]
	s_delay_alu instid0(VALU_DEP_2) | instskip(NEXT) | instid1(VALU_DEP_2)
	v_mul_f64_e32 v[32:33], v[28:29], v[28:29]
	v_rcp_f64_e32 v[46:47], v[30:31]
	s_delay_alu instid0(VALU_DEP_1) | instskip(SKIP_1) | instid1(VALU_DEP_2)
	v_fmamk_f64 v[48:49], v[32:33], 0x3fc3ab76bf559e2b, v[38:39]
	v_mul_f64_e32 v[50:51], v[28:29], v[32:33]
	v_fmaak_f64 v[48:49], v[32:33], v[48:49], 0x3fc7474dd7f4df2e
	s_delay_alu instid0(TRANS32_DEP_1) | instskip(NEXT) | instid1(VALU_DEP_2)
	v_fma_f64 v[52:53], -v[30:31], v[46:47], 1.0
	v_fmaak_f64 v[48:49], v[32:33], v[48:49], 0x3fcc71c016291751
	s_delay_alu instid0(VALU_DEP_1) | instskip(NEXT) | instid1(VALU_DEP_1)
	v_fmaak_f64 v[48:49], v[32:33], v[48:49], 0x3fd249249b27acf1
	v_fmaak_f64 v[48:49], v[32:33], v[48:49], 0x3fd99999998ef7b6
	s_delay_alu instid0(VALU_DEP_1) | instskip(SKIP_2) | instid1(VALU_DEP_3)
	v_fmaak_f64 v[32:33], v[32:33], v[48:49], 0x3fe5555555555780
	v_ldexp_f64 v[48:49], v[28:29], 1
	v_fmac_f64_e32 v[46:47], v[46:47], v[52:53]
	v_mul_f64_e32 v[32:33], v[50:51], v[32:33]
	v_cvt_f64_i32_e32 v[50:51], v1
	v_ashrrev_i32_e32 v1, 31, v15
	v_add_f64_e64 v[26:27], v[28:29], -v[26:27]
	v_fma_f64 v[52:53], -v[30:31], v[46:47], 1.0
	v_add_f64_e32 v[28:29], v[48:49], v[32:33]
	v_mul_f64_e32 v[54:55], 0x3fe62e42fefa39ef, v[50:51]
	s_delay_alu instid0(VALU_DEP_4) | instskip(NEXT) | instid1(VALU_DEP_4)
	v_add_f64_e64 v[18:19], v[18:19], -v[26:27]
	v_fmac_f64_e32 v[46:47], v[46:47], v[52:53]
	s_delay_alu instid0(VALU_DEP_4) | instskip(SKIP_3) | instid1(VALU_DEP_4)
	v_add_f64_e64 v[26:27], v[28:29], -v[48:49]
	v_div_scale_f64 v[48:49], vcc_lo, v[22:23], v[24:25], v[22:23]
	v_fma_f64 v[52:53], v[50:51], s[28:29], -v[54:55]
	v_ldexp_f64 v[18:19], v[18:19], 1
	v_add_f64_e64 v[26:27], v[32:33], -v[26:27]
	s_delay_alu instid0(VALU_DEP_4) | instskip(NEXT) | instid1(VALU_DEP_4)
	v_mul_f64_e32 v[32:33], v[48:49], v[46:47]
	v_fmac_f64_e32 v[52:53], 0x3c7abc9e3b39803f, v[50:51]
	s_delay_alu instid0(VALU_DEP_3) | instskip(NEXT) | instid1(VALU_DEP_3)
	v_add_f64_e32 v[18:19], v[18:19], v[26:27]
	v_fma_f64 v[26:27], -v[30:31], v[32:33], v[48:49]
	s_delay_alu instid0(VALU_DEP_3) | instskip(NEXT) | instid1(VALU_DEP_3)
	v_add_f64_e32 v[30:31], v[54:55], v[52:53]
	v_add_f64_e32 v[48:49], v[28:29], v[18:19]
	s_delay_alu instid0(VALU_DEP_3) | instskip(SKIP_1) | instid1(VALU_DEP_4)
	v_div_fmas_f64 v[26:27], v[26:27], v[46:47], v[32:33]
	v_cmp_gt_i32_e32 vcc_lo, 0, v15
	v_add_f64_e64 v[46:47], v[30:31], -v[54:55]
	v_cndmask_b32_e32 v20, 0x3fe921fb, v63, vcc_lo
	s_delay_alu instid0(VALU_DEP_1) | instskip(SKIP_4) | instid1(VALU_DEP_4)
	v_bfi_b32 v20, 0x7fffffff, v20, v17
	v_add_f64_e32 v[32:33], v[30:31], v[48:49]
	v_div_fixup_f64 v[22:23], v[26:27], v[24:25], v[22:23]
	v_add_f64_e64 v[28:29], v[48:49], -v[28:29]
	v_add_f64_e64 v[46:47], v[52:53], -v[46:47]
	;; [unrolled: 1-line block ×3, first 2 shown]
	s_delay_alu instid0(VALU_DEP_4) | instskip(NEXT) | instid1(VALU_DEP_4)
	v_mul_f64_e32 v[26:27], v[22:23], v[22:23]
	v_add_f64_e64 v[18:19], v[18:19], -v[28:29]
	s_delay_alu instid0(VALU_DEP_3) | instskip(NEXT) | instid1(VALU_DEP_3)
	v_add_f64_e64 v[50:51], v[32:33], -v[24:25]
	v_fmamk_f64 v[54:55], v[26:27], 0x3eeba404b5e68a13, v[40:41]
	v_add_f64_e64 v[24:25], v[48:49], -v[24:25]
	s_delay_alu instid0(VALU_DEP_4) | instskip(NEXT) | instid1(VALU_DEP_3)
	v_add_f64_e32 v[48:49], v[46:47], v[18:19]
	v_fmaak_f64 v[54:55], v[26:27], v[54:55], 0x3f4b2bb069efb384
	s_delay_alu instid0(VALU_DEP_1) | instskip(SKIP_1) | instid1(VALU_DEP_2)
	v_fmaak_f64 v[54:55], v[26:27], v[54:55], 0xbf67952daf56de9b
	v_add_f64_e64 v[28:29], v[30:31], -v[50:51]
	v_fmaak_f64 v[30:31], v[26:27], v[54:55], 0x3f7d6d43a595c56f
	s_delay_alu instid0(VALU_DEP_1) | instskip(NEXT) | instid1(VALU_DEP_1)
	v_fmaak_f64 v[30:31], v[26:27], v[30:31], 0xbf8c6ea4a57d9582
	v_fmaak_f64 v[30:31], v[26:27], v[30:31], 0x3f967e295f08b19f
	s_delay_alu instid0(VALU_DEP_1) | instskip(NEXT) | instid1(VALU_DEP_1)
	v_fmaak_f64 v[30:31], v[26:27], v[30:31], 0xbf9e9ae6fc27006a
	v_fmaak_f64 v[30:31], v[26:27], v[30:31], 0x3fa2c15b5711927a
	v_add_f64_e32 v[24:25], v[24:25], v[28:29]
	s_delay_alu instid0(VALU_DEP_2) | instskip(SKIP_1) | instid1(VALU_DEP_2)
	v_fmaak_f64 v[28:29], v[26:27], v[30:31], 0xbfa59976e82d3ff0
	v_add_f64_e64 v[30:31], v[48:49], -v[46:47]
	v_fmaak_f64 v[28:29], v[26:27], v[28:29], 0x3fa82d5d6ef28734
	s_delay_alu instid0(VALU_DEP_1) | instskip(NEXT) | instid1(VALU_DEP_1)
	v_fmaak_f64 v[28:29], v[26:27], v[28:29], 0xbfaae5ce6a214619
	v_fmaak_f64 v[28:29], v[26:27], v[28:29], 0x3fae1bb48427b883
	s_delay_alu instid0(VALU_DEP_1) | instskip(SKIP_3) | instid1(VALU_DEP_4)
	v_fmaak_f64 v[28:29], v[26:27], v[28:29], 0xbfb110e48b207f05
	v_add_f64_e32 v[24:25], v[48:49], v[24:25]
	v_add_f64_e64 v[48:49], v[48:49], -v[30:31]
	v_add_f64_e64 v[18:19], v[18:19], -v[30:31]
	v_fmaak_f64 v[28:29], v[26:27], v[28:29], 0x3fb3b13657b87036
	s_delay_alu instid0(VALU_DEP_1) | instskip(NEXT) | instid1(VALU_DEP_1)
	v_fmaak_f64 v[28:29], v[26:27], v[28:29], 0xbfb745d119378e4f
	v_fmaak_f64 v[28:29], v[26:27], v[28:29], 0x3fbc71c717e1913c
	s_delay_alu instid0(VALU_DEP_1) | instskip(SKIP_1) | instid1(VALU_DEP_2)
	v_fmaak_f64 v[28:29], v[26:27], v[28:29], 0xbfc2492492376b7d
	v_add_f64_e32 v[50:51], v[32:33], v[24:25]
	v_fmaak_f64 v[28:29], v[26:27], v[28:29], 0x3fc99999999952cc
	s_delay_alu instid0(VALU_DEP_1) | instskip(NEXT) | instid1(VALU_DEP_1)
	v_fmaak_f64 v[28:29], v[26:27], v[28:29], 0xbfd5555555555523
	v_mul_f64_e32 v[26:27], v[26:27], v[28:29]
	v_add_f64_e64 v[28:29], v[46:47], -v[48:49]
	v_add_f64_e64 v[30:31], v[50:51], -v[32:33]
	s_delay_alu instid0(VALU_DEP_3) | instskip(NEXT) | instid1(VALU_DEP_3)
	v_fmac_f64_e32 v[22:23], v[22:23], v[26:27]
	v_add_f64_e32 v[18:19], v[18:19], v[28:29]
	s_delay_alu instid0(VALU_DEP_3) | instskip(NEXT) | instid1(VALU_DEP_3)
	v_add_f64_e64 v[24:25], v[24:25], -v[30:31]
	v_add_f64_e64 v[26:27], -v[22:23], s[30:31]
	s_delay_alu instid0(VALU_DEP_2) | instskip(NEXT) | instid1(VALU_DEP_2)
	v_add_f64_e32 v[18:19], v[18:19], v[24:25]
	v_dual_cndmask_b32 v23, v23, v27, s2 :: v_dual_cndmask_b32 v22, v22, v26, s2
	v_and_b32_e32 v27, 0x54442d18, v1
	v_and_b32_e32 v1, 0x400921fb, v1
	v_cndmask_b32_e32 v26, 0x54442d18, v62, vcc_lo
	s_delay_alu instid0(VALU_DEP_4) | instskip(SKIP_1) | instid1(VALU_DEP_2)
	v_add_f64_e64 v[24:25], -v[22:23], s[34:35]
	v_add_f64_e32 v[18:19], v[50:51], v[18:19]
	v_dual_cndmask_b32 v22, v22, v24 :: v_dual_cndmask_b32 v21, v23, v25
	s_and_b32 vcc_lo, s7, s6
                                        ; implicit-def: $vgpr24_vgpr25
	s_delay_alu instid0(VALU_DEP_1) | instskip(NEXT) | instid1(VALU_DEP_1)
	v_dual_cndmask_b32 v22, v22, v27, s3 :: v_dual_cndmask_b32 v1, v21, v1, s3
	v_dual_mul_f64 v[18:19], 0.5, v[18:19] :: v_dual_cndmask_b32 v21, v1, v20, vcc_lo
	s_delay_alu instid0(VALU_DEP_2) | instskip(NEXT) | instid1(VALU_DEP_2)
	v_cndmask_b32_e32 v20, v22, v26, vcc_lo
                                        ; implicit-def: $vgpr22_vgpr23
	v_cndmask_b32_e64 v19, 0xfff00000, v19, s4
	s_delay_alu instid0(VALU_DEP_3)
	v_cndmask_b32_e64 v18, 0, v18, s4
.LBB167_14:                             ;   in Loop: Header=BB167_5 Depth=1
	s_and_not1_saveexec_b32 s49, s5
	s_cbranch_execz .LBB167_18
; %bb.15:                               ;   in Loop: Header=BB167_5 Depth=1
	v_and_b32_e32 v37, 0x7ffffff8, v23
	v_and_b32_e32 v21, 0x7ffffff8, v25
	v_dual_mov_b32 v20, v36 :: v_dual_mov_b32 v26, v36
	s_delay_alu instid0(VALU_DEP_3) | instskip(SKIP_1) | instid1(VALU_DEP_2)
	v_dual_add_f64 v[18:19], v[22:23], -v[36:37] :: v_dual_mov_b32 v28, v36
	s_mov_b32 s50, 0
	v_add_f64_e64 v[22:23], v[24:25], -v[20:21]
	v_add_f64_e32 v[50:51], v[20:21], v[20:21]
	s_delay_alu instid0(VALU_DEP_3) | instskip(NEXT) | instid1(VALU_DEP_3)
	v_dual_mul_f64 v[24:25], v[20:21], v[20:21] :: v_dual_bitop2_b32 v27, -8, v19 bitop3:0x40
	v_dual_add_f64 v[30:31], v[36:37], v[36:37] :: v_dual_bitop2_b32 v29, -8, v23 bitop3:0x40
	s_delay_alu instid0(VALU_DEP_2) | instskip(SKIP_1) | instid1(VALU_DEP_3)
	v_add_f64_e64 v[52:53], v[18:19], -v[26:27]
	v_add_f64_e32 v[56:57], v[26:27], v[26:27]
	v_add_f64_e64 v[54:55], v[22:23], -v[28:29]
	v_add_f64_e32 v[58:59], v[28:29], v[28:29]
	v_mul_f64_e32 v[18:19], v[36:37], v[36:37]
	v_mul_f64_e32 v[22:23], v[50:51], v[28:29]
	v_mul_f64_e32 v[46:47], v[26:27], v[26:27]
	v_mul_f64_e32 v[20:21], v[28:29], v[28:29]
	v_mul_f64_e32 v[48:49], v[30:31], v[26:27]
	v_mul_f64_e32 v[32:33], v[30:31], v[52:53]
	v_mul_f64_e32 v[28:29], v[56:57], v[52:53]
	v_mul_f64_e32 v[30:31], v[50:51], v[54:55]
	v_mul_f64_e32 v[26:27], v[58:59], v[54:55]
	v_mul_f64_e32 v[50:51], v[52:53], v[52:53]
	v_mul_f64_e32 v[52:53], v[54:55], v[54:55]
.LBB167_16:                             ;   Parent Loop BB167_5 Depth=1
                                        ; =>  This Inner Loop Header: Depth=2
	v_cmp_nlt_f64_e32 vcc_lo, v[18:19], v[24:25]
	v_dual_cndmask_b32 v55, v19, v25 :: v_dual_cndmask_b32 v54, v18, v24
	v_dual_cndmask_b32 v19, v25, v19 :: v_dual_cndmask_b32 v18, v24, v18
	s_delay_alu instid0(VALU_DEP_2) | instskip(NEXT) | instid1(VALU_DEP_1)
	v_cmp_nlt_f64_e64 s3, v[54:55], v[48:49]
	v_dual_cndmask_b32 v57, v55, v49, s3 :: v_dual_cndmask_b32 v56, v54, v48, s3
	v_dual_cndmask_b32 v25, v49, v55, s3 :: v_dual_cndmask_b32 v24, v48, v54, s3
	s_and_b32 s3, vcc_lo, s3
	s_delay_alu instid0(VALU_DEP_2) | instskip(NEXT) | instid1(VALU_DEP_1)
	v_cmp_nlt_f64_e64 s4, v[56:57], v[22:23]
	v_dual_cndmask_b32 v59, v57, v23, s4 :: v_dual_cndmask_b32 v58, v56, v22, s4
	v_dual_cndmask_b32 v49, v23, v57, s4 :: v_dual_cndmask_b32 v48, v22, v56, s4
	s_delay_alu instid0(VALU_DEP_2) | instskip(NEXT) | instid1(VALU_DEP_1)
	v_cmp_nlt_f64_e64 s5, v[58:59], v[46:47]
	v_dual_cndmask_b32 v61, v59, v47, s5 :: v_dual_cndmask_b32 v60, v58, v46, s5
	v_dual_cndmask_b32 v23, v47, v59, s5 :: v_dual_cndmask_b32 v22, v46, v58, s5
	s_and_b32 s4, s4, s5
	s_delay_alu instid0(VALU_DEP_2) | instskip(NEXT) | instid1(VALU_DEP_1)
	v_cmp_nlt_f64_e64 s6, v[60:61], v[20:21]
	v_dual_cndmask_b32 v65, v61, v21, s6 :: v_dual_cndmask_b32 v64, v60, v20, s6
	v_dual_cndmask_b32 v47, v21, v61, s6 :: v_dual_cndmask_b32 v46, v20, v60, s6
	s_delay_alu instid0(VALU_DEP_2) | instskip(NEXT) | instid1(VALU_DEP_1)
	v_cmp_nlt_f64_e64 s7, v[64:65], v[32:33]
	v_dual_cndmask_b32 v67, v65, v33, s7 :: v_dual_cndmask_b32 v66, v64, v32, s7
	s_and_b32 s5, s6, s7
	v_dual_cndmask_b32 v21, v33, v65, s7 :: v_dual_cndmask_b32 v20, v32, v64, s7
	s_delay_alu instid0(VALU_DEP_2) | instskip(NEXT) | instid1(VALU_DEP_1)
	v_cmp_nlt_f64_e64 s8, v[66:67], v[30:31]
	v_dual_cndmask_b32 v69, v67, v31, s8 :: v_dual_cndmask_b32 v68, v66, v30, s8
	s_and_b32 s5, s5, s8
	;; [unrolled: 5-line block ×6, first 2 shown]
	v_dual_cndmask_b32 v51, v53, v75, s12 :: v_dual_cndmask_b32 v50, v52, v74, s12
	s_and_b32 s4, s5, s4
	s_delay_alu instid0(VALU_DEP_2) | instskip(SKIP_1) | instid1(SALU_CYCLE_1)
	v_mov_b64_e32 v[52:53], v[54:55]
	s_and_b32 s3, s4, s3
	s_and_b32 s3, exec_lo, s3
	s_delay_alu instid0(SALU_CYCLE_1) | instskip(NEXT) | instid1(SALU_CYCLE_1)
	s_or_b32 s50, s3, s50
	s_and_not1_b32 exec_lo, exec_lo, s50
	s_cbranch_execnz .LBB167_16
; %bb.17:                               ;   in Loop: Header=BB167_5 Depth=1
	s_or_b32 exec_lo, exec_lo, s50
	v_add_f64_e32 v[18:19], -1.0, v[18:19]
	v_cmp_eq_f64_e64 s3, 0, v[16:17]
	v_cmp_class_f64_e64 s6, v[16:17], 0x204
	v_cmp_class_f64_e64 s7, v[14:15], 0x204
	s_delay_alu instid0(VALU_DEP_4) | instskip(NEXT) | instid1(VALU_DEP_1)
	v_add_f64_e32 v[18:19], v[18:19], v[24:25]
	v_add_f64_e32 v[18:19], v[18:19], v[48:49]
	s_delay_alu instid0(VALU_DEP_1) | instskip(NEXT) | instid1(VALU_DEP_1)
	v_add_f64_e32 v[18:19], v[18:19], v[22:23]
	v_add_f64_e32 v[18:19], v[18:19], v[46:47]
	s_delay_alu instid0(VALU_DEP_1) | instskip(NEXT) | instid1(VALU_DEP_1)
	;; [unrolled: 3-line block ×5, first 2 shown]
	v_add_f64_e32 v[22:23], v[54:55], v[18:19]
	v_add_f64_e32 v[18:19], 1.0, v[22:23]
	v_cmp_nge_f64_e64 s4, -1.0, v[22:23]
	v_cmp_neq_f64_e64 s5, 0x7ff00000, v[22:23]
	s_delay_alu instid0(VALU_DEP_3) | instskip(SKIP_2) | instid1(VALU_DEP_3)
	v_frexp_mant_f64_e32 v[20:21], v[18:19]
	v_frexp_exp_i32_f64_e32 v1, v[18:19]
	v_add_f64_e32 v[24:25], -1.0, v[18:19]
	v_cmp_gt_f64_e32 vcc_lo, s[26:27], v[20:21]
	s_delay_alu instid0(VALU_DEP_2) | instskip(SKIP_2) | instid1(VALU_DEP_3)
	v_add_f64_e64 v[20:21], v[24:25], -v[18:19]
	v_add_f64_e64 v[24:25], v[22:23], -v[24:25]
	v_subrev_co_ci_u32_e64 v1, null, 0, v1, vcc_lo
	v_add_f64_e32 v[20:21], 1.0, v[20:21]
	s_delay_alu instid0(VALU_DEP_2) | instskip(NEXT) | instid1(VALU_DEP_1)
	v_sub_nc_u32_e32 v28, 0, v1
	v_ldexp_f64 v[18:19], v[18:19], v28
	s_delay_alu instid0(VALU_DEP_3) | instskip(NEXT) | instid1(VALU_DEP_2)
	v_add_f64_e32 v[20:21], v[24:25], v[20:21]
	v_add_f64_e32 v[26:27], 1.0, v[18:19]
	v_add_f64_e32 v[32:33], -1.0, v[18:19]
	s_delay_alu instid0(VALU_DEP_3) | instskip(NEXT) | instid1(VALU_DEP_3)
	v_ldexp_f64 v[20:21], v[20:21], v28
	v_add_f64_e32 v[24:25], -1.0, v[26:27]
	s_delay_alu instid0(VALU_DEP_3) | instskip(NEXT) | instid1(VALU_DEP_2)
	v_add_f64_e32 v[46:47], 1.0, v[32:33]
	v_add_f64_e64 v[24:25], v[18:19], -v[24:25]
	s_delay_alu instid0(VALU_DEP_2) | instskip(NEXT) | instid1(VALU_DEP_2)
	v_add_f64_e64 v[18:19], v[18:19], -v[46:47]
	v_add_f64_e32 v[24:25], v[20:21], v[24:25]
	s_delay_alu instid0(VALU_DEP_2) | instskip(NEXT) | instid1(VALU_DEP_2)
	v_add_f64_e32 v[18:19], v[20:21], v[18:19]
	v_add_f64_e32 v[28:29], v[26:27], v[24:25]
	s_delay_alu instid0(VALU_DEP_2) | instskip(NEXT) | instid1(VALU_DEP_2)
	v_add_f64_e32 v[46:47], v[32:33], v[18:19]
	v_rcp_f64_e32 v[30:31], v[28:29]
	v_add_f64_e64 v[26:27], v[28:29], -v[26:27]
	s_delay_alu instid0(VALU_DEP_2) | instskip(NEXT) | instid1(VALU_DEP_2)
	v_add_f64_e64 v[32:33], v[46:47], -v[32:33]
	v_add_f64_e64 v[24:25], v[24:25], -v[26:27]
	s_delay_alu instid0(VALU_DEP_2) | instskip(NEXT) | instid1(TRANS32_DEP_1)
	v_add_f64_e64 v[18:19], v[18:19], -v[32:33]
	v_fma_f64 v[48:49], -v[28:29], v[30:31], 1.0
	s_delay_alu instid0(VALU_DEP_1) | instskip(NEXT) | instid1(VALU_DEP_1)
	v_fmac_f64_e32 v[30:31], v[48:49], v[30:31]
	v_fma_f64 v[20:21], -v[28:29], v[30:31], 1.0
	s_delay_alu instid0(VALU_DEP_1) | instskip(NEXT) | instid1(VALU_DEP_1)
	v_fmac_f64_e32 v[30:31], v[20:21], v[30:31]
	v_mul_f64_e32 v[20:21], v[46:47], v[30:31]
	s_delay_alu instid0(VALU_DEP_1) | instskip(NEXT) | instid1(VALU_DEP_1)
	v_mul_f64_e32 v[48:49], v[28:29], v[20:21]
	v_fma_f64 v[26:27], v[20:21], v[28:29], -v[48:49]
	s_delay_alu instid0(VALU_DEP_1) | instskip(NEXT) | instid1(VALU_DEP_1)
	v_fmac_f64_e32 v[26:27], v[20:21], v[24:25]
	v_add_f64_e32 v[50:51], v[48:49], v[26:27]
	s_delay_alu instid0(VALU_DEP_1) | instskip(SKIP_1) | instid1(VALU_DEP_2)
	v_add_f64_e64 v[52:53], v[46:47], -v[50:51]
	v_add_f64_e64 v[32:33], v[50:51], -v[48:49]
	;; [unrolled: 1-line block ×3, first 2 shown]
	s_delay_alu instid0(VALU_DEP_2) | instskip(NEXT) | instid1(VALU_DEP_2)
	v_add_f64_e64 v[26:27], v[32:33], -v[26:27]
	v_add_f64_e64 v[46:47], v[46:47], -v[50:51]
	s_delay_alu instid0(VALU_DEP_1) | instskip(NEXT) | instid1(VALU_DEP_1)
	v_add_f64_e32 v[18:19], v[18:19], v[46:47]
	v_add_f64_e32 v[18:19], v[26:27], v[18:19]
	s_delay_alu instid0(VALU_DEP_1) | instskip(NEXT) | instid1(VALU_DEP_1)
	v_add_f64_e32 v[26:27], v[52:53], v[18:19]
	v_mul_f64_e32 v[32:33], v[30:31], v[26:27]
	v_add_f64_e64 v[50:51], v[52:53], -v[26:27]
	s_delay_alu instid0(VALU_DEP_2) | instskip(NEXT) | instid1(VALU_DEP_2)
	v_mul_f64_e32 v[46:47], v[28:29], v[32:33]
	v_add_f64_e32 v[18:19], v[18:19], v[50:51]
	s_delay_alu instid0(VALU_DEP_2) | instskip(NEXT) | instid1(VALU_DEP_1)
	v_fma_f64 v[28:29], v[32:33], v[28:29], -v[46:47]
	v_fmac_f64_e32 v[28:29], v[32:33], v[24:25]
	s_delay_alu instid0(VALU_DEP_1) | instskip(NEXT) | instid1(VALU_DEP_1)
	v_add_f64_e32 v[24:25], v[46:47], v[28:29]
	v_add_f64_e64 v[48:49], v[26:27], -v[24:25]
	v_add_f64_e64 v[46:47], v[24:25], -v[46:47]
	s_delay_alu instid0(VALU_DEP_2) | instskip(NEXT) | instid1(VALU_DEP_1)
	v_add_f64_e64 v[26:27], v[26:27], -v[48:49]
	v_add_f64_e64 v[24:25], v[26:27], -v[24:25]
	s_delay_alu instid0(VALU_DEP_3) | instskip(SKIP_1) | instid1(VALU_DEP_3)
	v_add_f64_e64 v[26:27], v[46:47], -v[28:29]
	v_max_num_f64_e64 v[28:29], |v[14:15]|, |v[14:15]|
	v_add_f64_e32 v[18:19], v[18:19], v[24:25]
	v_add_f64_e32 v[24:25], v[20:21], v[32:33]
	s_delay_alu instid0(VALU_DEP_2) | instskip(NEXT) | instid1(VALU_DEP_2)
	v_add_f64_e32 v[18:19], v[26:27], v[18:19]
	v_add_f64_e64 v[20:21], v[24:25], -v[20:21]
	v_max_num_f64_e64 v[26:27], |v[16:17]|, |v[16:17]|
	s_delay_alu instid0(VALU_DEP_3) | instskip(NEXT) | instid1(VALU_DEP_3)
	v_add_f64_e32 v[18:19], v[48:49], v[18:19]
	v_add_f64_e64 v[20:21], v[32:33], -v[20:21]
	s_delay_alu instid0(VALU_DEP_2) | instskip(NEXT) | instid1(VALU_DEP_1)
	v_mul_f64_e32 v[18:19], v[30:31], v[18:19]
	v_add_f64_e32 v[18:19], v[20:21], v[18:19]
	v_max_num_f64_e32 v[20:21], v[28:29], v[26:27]
	v_min_num_f64_e32 v[26:27], v[28:29], v[26:27]
	s_delay_alu instid0(VALU_DEP_3) | instskip(NEXT) | instid1(VALU_DEP_2)
	v_add_f64_e32 v[28:29], v[24:25], v[18:19]
	v_div_scale_f64 v[30:31], null, v[20:21], v[20:21], v[26:27]
	s_delay_alu instid0(VALU_DEP_2) | instskip(SKIP_1) | instid1(VALU_DEP_3)
	v_mul_f64_e32 v[32:33], v[28:29], v[28:29]
	v_add_f64_e64 v[24:25], v[28:29], -v[24:25]
	v_rcp_f64_e32 v[46:47], v[30:31]
	s_delay_alu instid0(VALU_DEP_2) | instskip(SKIP_1) | instid1(VALU_DEP_3)
	v_fmamk_f64 v[48:49], v[32:33], 0x3fc3ab76bf559e2b, v[38:39]
	v_mul_f64_e32 v[50:51], v[28:29], v[32:33]
	v_add_f64_e64 v[18:19], v[18:19], -v[24:25]
	s_delay_alu instid0(VALU_DEP_3) | instskip(NEXT) | instid1(TRANS32_DEP_1)
	v_fmaak_f64 v[48:49], v[32:33], v[48:49], 0x3fc7474dd7f4df2e
	v_fma_f64 v[52:53], -v[30:31], v[46:47], 1.0
	s_delay_alu instid0(VALU_DEP_2) | instskip(NEXT) | instid1(VALU_DEP_1)
	v_fmaak_f64 v[48:49], v[32:33], v[48:49], 0x3fcc71c016291751
	v_fmaak_f64 v[48:49], v[32:33], v[48:49], 0x3fd249249b27acf1
	s_delay_alu instid0(VALU_DEP_1) | instskip(SKIP_1) | instid1(VALU_DEP_2)
	v_fmaak_f64 v[48:49], v[32:33], v[48:49], 0x3fd99999998ef7b6
	v_ldexp_f64 v[18:19], v[18:19], 1
	v_fmaak_f64 v[32:33], v[32:33], v[48:49], 0x3fe5555555555780
	v_ldexp_f64 v[48:49], v[28:29], 1
	v_fmac_f64_e32 v[46:47], v[46:47], v[52:53]
	s_delay_alu instid0(VALU_DEP_3) | instskip(SKIP_2) | instid1(VALU_DEP_4)
	v_mul_f64_e32 v[32:33], v[50:51], v[32:33]
	v_cvt_f64_i32_e32 v[50:51], v1
	v_ashrrev_i32_e32 v1, 31, v15
	v_fma_f64 v[52:53], -v[30:31], v[46:47], 1.0
	s_delay_alu instid0(VALU_DEP_4) | instskip(NEXT) | instid1(VALU_DEP_4)
	v_add_f64_e32 v[28:29], v[48:49], v[32:33]
	v_mul_f64_e32 v[54:55], 0x3fe62e42fefa39ef, v[50:51]
	s_delay_alu instid0(VALU_DEP_3) | instskip(NEXT) | instid1(VALU_DEP_3)
	v_fmac_f64_e32 v[46:47], v[46:47], v[52:53]
	v_add_f64_e64 v[24:25], v[28:29], -v[48:49]
	v_div_scale_f64 v[48:49], vcc_lo, v[26:27], v[20:21], v[26:27]
	s_delay_alu instid0(VALU_DEP_4) | instskip(NEXT) | instid1(VALU_DEP_3)
	v_fma_f64 v[52:53], v[50:51], s[28:29], -v[54:55]
	v_add_f64_e64 v[24:25], v[32:33], -v[24:25]
	s_delay_alu instid0(VALU_DEP_3) | instskip(NEXT) | instid1(VALU_DEP_3)
	v_mul_f64_e32 v[32:33], v[48:49], v[46:47]
	v_fmac_f64_e32 v[52:53], 0x3c7abc9e3b39803f, v[50:51]
	s_delay_alu instid0(VALU_DEP_3) | instskip(NEXT) | instid1(VALU_DEP_3)
	v_add_f64_e32 v[18:19], v[18:19], v[24:25]
	v_fma_f64 v[24:25], -v[30:31], v[32:33], v[48:49]
	s_delay_alu instid0(VALU_DEP_3) | instskip(NEXT) | instid1(VALU_DEP_3)
	v_add_f64_e32 v[30:31], v[54:55], v[52:53]
	v_add_f64_e32 v[48:49], v[28:29], v[18:19]
	s_delay_alu instid0(VALU_DEP_3) | instskip(SKIP_1) | instid1(VALU_DEP_4)
	v_div_fmas_f64 v[24:25], v[24:25], v[46:47], v[32:33]
	v_cmp_gt_i32_e32 vcc_lo, 0, v15
	v_add_f64_e64 v[46:47], v[30:31], -v[54:55]
	s_delay_alu instid0(VALU_DEP_4) | instskip(NEXT) | instid1(VALU_DEP_4)
	v_add_f64_e32 v[32:33], v[30:31], v[48:49]
	v_div_fixup_f64 v[20:21], v[24:25], v[20:21], v[26:27]
	v_add_f64_e64 v[28:29], v[48:49], -v[28:29]
	s_delay_alu instid0(VALU_DEP_4) | instskip(NEXT) | instid1(VALU_DEP_4)
	v_add_f64_e64 v[46:47], v[52:53], -v[46:47]
	v_add_f64_e64 v[24:25], v[32:33], -v[30:31]
	s_delay_alu instid0(VALU_DEP_4) | instskip(NEXT) | instid1(VALU_DEP_4)
	v_mul_f64_e32 v[26:27], v[20:21], v[20:21]
	v_add_f64_e64 v[18:19], v[18:19], -v[28:29]
	s_delay_alu instid0(VALU_DEP_3) | instskip(NEXT) | instid1(VALU_DEP_3)
	v_add_f64_e64 v[50:51], v[32:33], -v[24:25]
	v_fmamk_f64 v[54:55], v[26:27], 0x3eeba404b5e68a13, v[40:41]
	v_add_f64_e64 v[24:25], v[48:49], -v[24:25]
	s_delay_alu instid0(VALU_DEP_4) | instskip(NEXT) | instid1(VALU_DEP_3)
	v_add_f64_e32 v[48:49], v[46:47], v[18:19]
	v_fmaak_f64 v[54:55], v[26:27], v[54:55], 0x3f4b2bb069efb384
	v_add_f64_e64 v[28:29], v[30:31], -v[50:51]
	s_delay_alu instid0(VALU_DEP_2) | instskip(NEXT) | instid1(VALU_DEP_1)
	v_fmaak_f64 v[30:31], v[26:27], v[54:55], 0xbf67952daf56de9b
	v_fmaak_f64 v[30:31], v[26:27], v[30:31], 0x3f7d6d43a595c56f
	s_delay_alu instid0(VALU_DEP_1) | instskip(NEXT) | instid1(VALU_DEP_1)
	v_fmaak_f64 v[30:31], v[26:27], v[30:31], 0xbf8c6ea4a57d9582
	v_fmaak_f64 v[30:31], v[26:27], v[30:31], 0x3f967e295f08b19f
	s_delay_alu instid0(VALU_DEP_1) | instskip(SKIP_1) | instid1(VALU_DEP_2)
	v_fmaak_f64 v[30:31], v[26:27], v[30:31], 0xbf9e9ae6fc27006a
	v_add_f64_e32 v[24:25], v[24:25], v[28:29]
	v_fmaak_f64 v[28:29], v[26:27], v[30:31], 0x3fa2c15b5711927a
	v_add_f64_e64 v[30:31], v[48:49], -v[46:47]
	s_delay_alu instid0(VALU_DEP_2) | instskip(NEXT) | instid1(VALU_DEP_1)
	v_fmaak_f64 v[28:29], v[26:27], v[28:29], 0xbfa59976e82d3ff0
	v_fmaak_f64 v[28:29], v[26:27], v[28:29], 0x3fa82d5d6ef28734
	s_delay_alu instid0(VALU_DEP_1) | instskip(NEXT) | instid1(VALU_DEP_1)
	v_fmaak_f64 v[28:29], v[26:27], v[28:29], 0xbfaae5ce6a214619
	v_fmaak_f64 v[28:29], v[26:27], v[28:29], 0x3fae1bb48427b883
	v_add_f64_e32 v[24:25], v[48:49], v[24:25]
	v_add_f64_e64 v[48:49], v[48:49], -v[30:31]
	v_add_f64_e64 v[18:19], v[18:19], -v[30:31]
	s_delay_alu instid0(VALU_DEP_4) | instskip(NEXT) | instid1(VALU_DEP_1)
	v_fmaak_f64 v[28:29], v[26:27], v[28:29], 0xbfb110e48b207f05
	v_fmaak_f64 v[28:29], v[26:27], v[28:29], 0x3fb3b13657b87036
	s_delay_alu instid0(VALU_DEP_1) | instskip(NEXT) | instid1(VALU_DEP_1)
	v_fmaak_f64 v[28:29], v[26:27], v[28:29], 0xbfb745d119378e4f
	v_fmaak_f64 v[28:29], v[26:27], v[28:29], 0x3fbc71c717e1913c
	v_add_f64_e32 v[50:51], v[32:33], v[24:25]
	s_delay_alu instid0(VALU_DEP_2) | instskip(NEXT) | instid1(VALU_DEP_1)
	v_fmaak_f64 v[28:29], v[26:27], v[28:29], 0xbfc2492492376b7d
	v_fmaak_f64 v[28:29], v[26:27], v[28:29], 0x3fc99999999952cc
	s_delay_alu instid0(VALU_DEP_1) | instskip(NEXT) | instid1(VALU_DEP_1)
	v_fmaak_f64 v[28:29], v[26:27], v[28:29], 0xbfd5555555555523
	v_mul_f64_e32 v[26:27], v[26:27], v[28:29]
	v_add_f64_e64 v[28:29], v[46:47], -v[48:49]
	v_add_f64_e64 v[30:31], v[50:51], -v[32:33]
	s_delay_alu instid0(VALU_DEP_3) | instskip(NEXT) | instid1(VALU_DEP_3)
	v_fmac_f64_e32 v[20:21], v[20:21], v[26:27]
	v_add_f64_e32 v[18:19], v[18:19], v[28:29]
	s_delay_alu instid0(VALU_DEP_3) | instskip(NEXT) | instid1(VALU_DEP_3)
	v_add_f64_e64 v[24:25], v[24:25], -v[30:31]
	v_add_f64_e64 v[26:27], -v[20:21], s[30:31]
	s_delay_alu instid0(VALU_DEP_1) | instskip(NEXT) | instid1(VALU_DEP_2)
	v_dual_add_f64 v[18:19], v[18:19], v[24:25] :: v_dual_cndmask_b32 v21, v21, v27, s2
	v_cndmask_b32_e64 v20, v20, v26, s2
	v_and_b32_e32 v27, 0x54442d18, v1
	v_and_b32_e32 v1, 0x400921fb, v1
	v_cndmask_b32_e32 v26, 0x54442d18, v62, vcc_lo
	s_delay_alu instid0(VALU_DEP_4) | instskip(NEXT) | instid1(VALU_DEP_1)
	v_add_f64_e64 v[24:25], -v[20:21], s[34:35]
	v_dual_add_f64 v[18:19], v[50:51], v[18:19] :: v_dual_cndmask_b32 v20, v20, v24, vcc_lo
	s_delay_alu instid0(VALU_DEP_2) | instskip(SKIP_1) | instid1(VALU_DEP_3)
	v_cndmask_b32_e32 v21, v21, v25, vcc_lo
	v_cndmask_b32_e32 v24, 0x3fe921fb, v63, vcc_lo
	v_mul_f64_e32 v[18:19], 0.5, v[18:19]
	v_cmp_ngt_f64_e32 vcc_lo, -1.0, v[22:23]
	s_delay_alu instid0(VALU_DEP_4) | instskip(SKIP_2) | instid1(VALU_DEP_4)
	v_dual_cndmask_b32 v20, v20, v27, s3 :: v_dual_cndmask_b32 v1, v21, v1, s3
	s_and_b32 s3, s4, s5
	v_bfi_b32 v24, 0x7fffffff, v24, v17
	v_cndmask_b32_e64 v18, 0, v18, s3
	v_cmp_neq_f64_e64 s3, -1.0, v[22:23]
	v_cndmask_b32_e64 v19, 0x7ff00000, v19, s5
	s_delay_alu instid0(VALU_DEP_1) | instskip(SKIP_2) | instid1(VALU_DEP_2)
	v_cndmask_b32_e32 v19, 0x7ff80000, v19, vcc_lo
	s_and_b32 vcc_lo, s7, s6
	v_dual_cndmask_b32 v21, v1, v24 :: v_dual_cndmask_b32 v20, v20, v26
	v_cndmask_b32_e64 v19, 0xfff00000, v19, s3
.LBB167_18:                             ;   in Loop: Header=BB167_5 Depth=1
	s_or_b32 exec_lo, exec_lo, s49
.LBB167_19:                             ;   in Loop: Header=BB167_5 Depth=1
	s_delay_alu instid0(SALU_CYCLE_1)
	s_or_b32 exec_lo, exec_lo, s48
.LBB167_20:                             ;   in Loop: Header=BB167_5 Depth=1
	s_and_not1_saveexec_b32 s5, s47
	s_cbranch_execz .LBB167_22
; %bb.21:                               ;   in Loop: Header=BB167_5 Depth=1
	v_max_num_f64_e64 v[18:19], |v[16:17]|, |v[16:17]|
	v_max_num_f64_e64 v[20:21], |v[14:15]|, |v[14:15]|
	v_cmp_eq_f64_e64 s4, 0, v[16:17]
	v_cmp_class_f64_e64 s6, v[14:15], 0x204
	v_cmp_class_f64_e64 s7, v[16:17], 0x204
	s_delay_alu instid0(VALU_DEP_4) | instskip(SKIP_2) | instid1(VALU_DEP_2)
	v_max_num_f64_e32 v[22:23], v[20:21], v[18:19]
	v_min_num_f64_e32 v[18:19], v[20:21], v[18:19]
	s_or_b32 s3, s6, s7
	v_frexp_exp_i32_f64_e32 v1, v[22:23]
	s_delay_alu instid0(VALU_DEP_1) | instskip(NEXT) | instid1(VALU_DEP_1)
	v_sub_nc_u32_e32 v26, 0, v1
	v_ldexp_f64 v[24:25], |v[16:17]|, v26
	v_ldexp_f64 v[26:27], |v[14:15]|, v26
	s_delay_alu instid0(VALU_DEP_2) | instskip(NEXT) | instid1(VALU_DEP_1)
	v_mul_f64_e32 v[24:25], v[24:25], v[24:25]
	v_fmac_f64_e32 v[24:25], v[26:27], v[26:27]
	s_delay_alu instid0(VALU_DEP_1) | instskip(SKIP_1) | instid1(TRANS32_DEP_1)
	v_rsq_f64_e32 v[26:27], v[24:25]
	v_cmp_eq_f64_e32 vcc_lo, 0, v[24:25]
	v_mul_f64_e32 v[28:29], v[24:25], v[26:27]
	v_mul_f64_e32 v[26:27], 0.5, v[26:27]
	s_delay_alu instid0(VALU_DEP_1) | instskip(NEXT) | instid1(VALU_DEP_1)
	v_fma_f64 v[30:31], -v[26:27], v[28:29], 0.5
	v_fmac_f64_e32 v[28:29], v[28:29], v[30:31]
	v_fmac_f64_e32 v[26:27], v[26:27], v[30:31]
	s_delay_alu instid0(VALU_DEP_2) | instskip(NEXT) | instid1(VALU_DEP_1)
	v_fma_f64 v[30:31], -v[28:29], v[28:29], v[24:25]
	v_fmac_f64_e32 v[28:29], v[30:31], v[26:27]
	s_delay_alu instid0(VALU_DEP_1) | instskip(NEXT) | instid1(VALU_DEP_1)
	v_dual_cndmask_b32 v25, v29, v25 :: v_dual_cndmask_b32 v24, v28, v24
	v_ldexp_f64 v[24:25], v[24:25], v1
	s_delay_alu instid0(VALU_DEP_1) | instskip(NEXT) | instid1(VALU_DEP_2)
	v_cndmask_b32_e64 v25, v25, 0x7ff00000, s3
	v_cndmask_b32_e64 v24, v24, 0, s3
	s_delay_alu instid0(VALU_DEP_1) | instskip(SKIP_1) | instid1(VALU_DEP_2)
	v_frexp_mant_f64_e32 v[26:27], v[24:25]
	v_cmp_class_f64_e64 s3, v[24:25], 0x204
	v_cmp_gt_f64_e32 vcc_lo, s[26:27], v[26:27]
	v_cndmask_b32_e64 v1, 0, 1, vcc_lo
	s_delay_alu instid0(VALU_DEP_1) | instskip(SKIP_1) | instid1(VALU_DEP_2)
	v_ldexp_f64 v[26:27], v[26:27], v1
	v_frexp_exp_i32_f64_e32 v1, v[24:25]
	v_add_f64_e32 v[28:29], 1.0, v[26:27]
	v_add_f64_e32 v[46:47], -1.0, v[26:27]
	s_delay_alu instid0(VALU_DEP_3) | instskip(SKIP_1) | instid1(VALU_DEP_4)
	v_subrev_co_ci_u32_e64 v1, null, 0, v1, vcc_lo
	v_div_scale_f64 v[54:55], vcc_lo, v[18:19], v[22:23], v[18:19]
	v_rcp_f64_e32 v[30:31], v[28:29]
	v_add_f64_e32 v[48:49], -1.0, v[28:29]
	s_delay_alu instid0(VALU_DEP_1) | instskip(NEXT) | instid1(TRANS32_DEP_1)
	v_add_f64_e64 v[26:27], v[26:27], -v[48:49]
	v_fma_f64 v[32:33], -v[28:29], v[30:31], 1.0
	s_delay_alu instid0(VALU_DEP_1) | instskip(NEXT) | instid1(VALU_DEP_1)
	v_fmac_f64_e32 v[30:31], v[32:33], v[30:31]
	v_fma_f64 v[32:33], -v[28:29], v[30:31], 1.0
	s_delay_alu instid0(VALU_DEP_1) | instskip(NEXT) | instid1(VALU_DEP_1)
	v_fmac_f64_e32 v[30:31], v[32:33], v[30:31]
	v_mul_f64_e32 v[32:33], v[46:47], v[30:31]
	s_delay_alu instid0(VALU_DEP_1) | instskip(NEXT) | instid1(VALU_DEP_1)
	v_mul_f64_e32 v[50:51], v[28:29], v[32:33]
	v_fma_f64 v[28:29], v[32:33], v[28:29], -v[50:51]
	s_delay_alu instid0(VALU_DEP_1) | instskip(NEXT) | instid1(VALU_DEP_1)
	v_fmac_f64_e32 v[28:29], v[32:33], v[26:27]
	v_add_f64_e32 v[26:27], v[50:51], v[28:29]
	s_delay_alu instid0(VALU_DEP_1) | instskip(SKIP_1) | instid1(VALU_DEP_2)
	v_add_f64_e64 v[48:49], v[46:47], -v[26:27]
	v_add_f64_e64 v[50:51], v[26:27], -v[50:51]
	;; [unrolled: 1-line block ×3, first 2 shown]
	s_delay_alu instid0(VALU_DEP_2) | instskip(NEXT) | instid1(VALU_DEP_2)
	v_add_f64_e64 v[28:29], v[50:51], -v[28:29]
	v_add_f64_e64 v[26:27], v[46:47], -v[26:27]
	s_delay_alu instid0(VALU_DEP_1) | instskip(NEXT) | instid1(VALU_DEP_1)
	v_add_f64_e32 v[26:27], v[28:29], v[26:27]
	v_add_f64_e32 v[26:27], v[48:49], v[26:27]
	s_delay_alu instid0(VALU_DEP_1) | instskip(SKIP_1) | instid1(VALU_DEP_2)
	v_mul_f64_e32 v[20:21], v[30:31], v[26:27]
	v_div_scale_f64 v[26:27], null, v[22:23], v[22:23], v[18:19]
	v_add_f64_e32 v[28:29], v[32:33], v[20:21]
	s_delay_alu instid0(VALU_DEP_2) | instskip(NEXT) | instid1(VALU_DEP_1)
	v_rcp_f64_e32 v[30:31], v[26:27]
	v_mul_f64_e32 v[46:47], v[28:29], v[28:29]
	s_delay_alu instid0(TRANS32_DEP_1) | instskip(NEXT) | instid1(VALU_DEP_2)
	v_fma_f64 v[50:51], -v[26:27], v[30:31], 1.0
	v_fmamk_f64 v[48:49], v[46:47], 0x3fc3ab76bf559e2b, v[38:39]
	v_mul_f64_e32 v[52:53], v[28:29], v[46:47]
	s_delay_alu instid0(VALU_DEP_3) | instskip(NEXT) | instid1(VALU_DEP_3)
	v_fmac_f64_e32 v[30:31], v[30:31], v[50:51]
	v_fmaak_f64 v[48:49], v[46:47], v[48:49], 0x3fc7474dd7f4df2e
	s_delay_alu instid0(VALU_DEP_1) | instskip(NEXT) | instid1(VALU_DEP_1)
	v_fmaak_f64 v[48:49], v[46:47], v[48:49], 0x3fcc71c016291751
	v_fmaak_f64 v[48:49], v[46:47], v[48:49], 0x3fd249249b27acf1
	s_delay_alu instid0(VALU_DEP_1) | instskip(NEXT) | instid1(VALU_DEP_1)
	v_fmaak_f64 v[48:49], v[46:47], v[48:49], 0x3fd99999998ef7b6
	v_fmaak_f64 v[46:47], v[46:47], v[48:49], 0x3fe5555555555780
	v_ldexp_f64 v[48:49], v[28:29], 1
	v_add_f64_e64 v[28:29], v[28:29], -v[32:33]
	v_fma_f64 v[50:51], -v[26:27], v[30:31], 1.0
	s_delay_alu instid0(VALU_DEP_4) | instskip(SKIP_1) | instid1(VALU_DEP_4)
	v_mul_f64_e32 v[46:47], v[52:53], v[46:47]
	v_cvt_f64_i32_e32 v[52:53], v1
	v_dual_add_f64 v[20:21], v[20:21], -v[28:29] :: v_dual_ashrrev_i32 v1, 31, v15
	s_delay_alu instid0(VALU_DEP_4) | instskip(NEXT) | instid1(VALU_DEP_4)
	v_fmac_f64_e32 v[30:31], v[30:31], v[50:51]
	v_add_f64_e32 v[32:33], v[48:49], v[46:47]
	s_delay_alu instid0(VALU_DEP_4) | instskip(NEXT) | instid1(VALU_DEP_4)
	v_mul_f64_e32 v[50:51], 0x3fe62e42fefa39ef, v[52:53]
	v_ldexp_f64 v[20:21], v[20:21], 1
	s_delay_alu instid0(VALU_DEP_3) | instskip(SKIP_1) | instid1(VALU_DEP_4)
	v_add_f64_e64 v[28:29], v[32:33], -v[48:49]
	v_mul_f64_e32 v[48:49], v[54:55], v[30:31]
	v_fma_f64 v[56:57], v[52:53], s[28:29], -v[50:51]
	s_delay_alu instid0(VALU_DEP_3) | instskip(NEXT) | instid1(VALU_DEP_3)
	v_add_f64_e64 v[28:29], v[46:47], -v[28:29]
	v_fma_f64 v[26:27], -v[26:27], v[48:49], v[54:55]
	s_delay_alu instid0(VALU_DEP_3) | instskip(NEXT) | instid1(VALU_DEP_3)
	v_fmac_f64_e32 v[56:57], 0x3c7abc9e3b39803f, v[52:53]
	v_add_f64_e32 v[20:21], v[20:21], v[28:29]
	s_delay_alu instid0(VALU_DEP_3) | instskip(NEXT) | instid1(VALU_DEP_3)
	v_div_fmas_f64 v[26:27], v[26:27], v[30:31], v[48:49]
	v_add_f64_e32 v[28:29], v[50:51], v[56:57]
	v_cmp_gt_i32_e32 vcc_lo, 0, v15
	s_delay_alu instid0(VALU_DEP_4) | instskip(NEXT) | instid1(VALU_DEP_4)
	v_add_f64_e32 v[30:31], v[32:33], v[20:21]
	v_div_fixup_f64 v[18:19], v[26:27], v[22:23], v[18:19]
	s_delay_alu instid0(VALU_DEP_4) | instskip(NEXT) | instid1(VALU_DEP_3)
	v_add_f64_e64 v[50:51], v[28:29], -v[50:51]
	v_add_f64_e32 v[22:23], v[28:29], v[30:31]
	s_delay_alu instid0(VALU_DEP_3) | instskip(SKIP_1) | instid1(VALU_DEP_4)
	v_mul_f64_e32 v[26:27], v[18:19], v[18:19]
	v_add_f64_e64 v[32:33], v[30:31], -v[32:33]
	v_add_f64_e64 v[50:51], v[56:57], -v[50:51]
	s_delay_alu instid0(VALU_DEP_4) | instskip(NEXT) | instid1(VALU_DEP_4)
	v_add_f64_e64 v[46:47], v[22:23], -v[28:29]
	v_fmamk_f64 v[48:49], v[26:27], 0x3eeba404b5e68a13, v[40:41]
	s_delay_alu instid0(VALU_DEP_4) | instskip(NEXT) | instid1(VALU_DEP_2)
	v_add_f64_e64 v[20:21], v[20:21], -v[32:33]
	v_fmaak_f64 v[48:49], v[26:27], v[48:49], 0x3f4b2bb069efb384
	s_delay_alu instid0(VALU_DEP_1) | instskip(NEXT) | instid1(VALU_DEP_1)
	v_fmaak_f64 v[48:49], v[26:27], v[48:49], 0xbf67952daf56de9b
	v_fmaak_f64 v[48:49], v[26:27], v[48:49], 0x3f7d6d43a595c56f
	s_delay_alu instid0(VALU_DEP_1) | instskip(SKIP_3) | instid1(VALU_DEP_4)
	v_fmaak_f64 v[48:49], v[26:27], v[48:49], 0xbf8c6ea4a57d9582
	v_add_f64_e64 v[52:53], v[22:23], -v[46:47]
	v_add_f64_e64 v[30:31], v[30:31], -v[46:47]
	v_add_f64_e32 v[46:47], v[50:51], v[20:21]
	v_fmaak_f64 v[48:49], v[26:27], v[48:49], 0x3f967e295f08b19f
	s_delay_alu instid0(VALU_DEP_1) | instskip(NEXT) | instid1(VALU_DEP_1)
	v_fmaak_f64 v[32:33], v[26:27], v[48:49], 0xbf9e9ae6fc27006a
	v_fmaak_f64 v[32:33], v[26:27], v[32:33], 0x3fa2c15b5711927a
	s_delay_alu instid0(VALU_DEP_1) | instskip(NEXT) | instid1(VALU_DEP_1)
	v_fmaak_f64 v[32:33], v[26:27], v[32:33], 0xbfa59976e82d3ff0
	v_fmaak_f64 v[32:33], v[26:27], v[32:33], 0x3fa82d5d6ef28734
	v_add_f64_e64 v[28:29], v[28:29], -v[52:53]
	s_delay_alu instid0(VALU_DEP_2) | instskip(NEXT) | instid1(VALU_DEP_2)
	v_fmaak_f64 v[32:33], v[26:27], v[32:33], 0xbfaae5ce6a214619
	v_add_f64_e32 v[28:29], v[30:31], v[28:29]
	s_delay_alu instid0(VALU_DEP_2) | instskip(SKIP_1) | instid1(VALU_DEP_2)
	v_fmaak_f64 v[30:31], v[26:27], v[32:33], 0x3fae1bb48427b883
	v_add_f64_e64 v[32:33], v[46:47], -v[50:51]
	v_fmaak_f64 v[30:31], v[26:27], v[30:31], 0xbfb110e48b207f05
	s_delay_alu instid0(VALU_DEP_1) | instskip(NEXT) | instid1(VALU_DEP_1)
	v_fmaak_f64 v[30:31], v[26:27], v[30:31], 0x3fb3b13657b87036
	v_fmaak_f64 v[30:31], v[26:27], v[30:31], 0xbfb745d119378e4f
	s_delay_alu instid0(VALU_DEP_1) | instskip(SKIP_2) | instid1(VALU_DEP_3)
	v_fmaak_f64 v[30:31], v[26:27], v[30:31], 0x3fbc71c717e1913c
	v_add_f64_e32 v[28:29], v[46:47], v[28:29]
	v_add_f64_e64 v[20:21], v[20:21], -v[32:33]
	v_fmaak_f64 v[30:31], v[26:27], v[30:31], 0xbfc2492492376b7d
	s_delay_alu instid0(VALU_DEP_1) | instskip(NEXT) | instid1(VALU_DEP_1)
	v_fmaak_f64 v[30:31], v[26:27], v[30:31], 0x3fc99999999952cc
	v_fmaak_f64 v[30:31], v[26:27], v[30:31], 0xbfd5555555555523
	s_delay_alu instid0(VALU_DEP_1) | instskip(SKIP_2) | instid1(VALU_DEP_3)
	v_mul_f64_e32 v[26:27], v[26:27], v[30:31]
	v_add_f64_e64 v[30:31], v[46:47], -v[32:33]
	v_add_f64_e32 v[46:47], v[22:23], v[28:29]
	v_fmac_f64_e32 v[18:19], v[18:19], v[26:27]
	s_delay_alu instid0(VALU_DEP_3) | instskip(NEXT) | instid1(VALU_DEP_3)
	v_add_f64_e64 v[26:27], v[50:51], -v[30:31]
	v_add_f64_e64 v[22:23], v[46:47], -v[22:23]
	s_delay_alu instid0(VALU_DEP_3) | instskip(NEXT) | instid1(VALU_DEP_3)
	v_add_f64_e64 v[30:31], -v[18:19], s[30:31]
	v_add_f64_e32 v[20:21], v[20:21], v[26:27]
	v_cndmask_b32_e32 v26, 0x54442d18, v62, vcc_lo
	v_and_b32_e32 v27, 0x54442d18, v1
	v_and_b32_e32 v1, 0x400921fb, v1
	v_add_f64_e64 v[22:23], v[28:29], -v[22:23]
	v_dual_cndmask_b32 v19, v19, v31, s2 :: v_dual_cndmask_b32 v18, v18, v30, s2
	s_delay_alu instid0(VALU_DEP_2) | instskip(NEXT) | instid1(VALU_DEP_2)
	v_add_f64_e32 v[20:21], v[20:21], v[22:23]
	v_add_f64_e64 v[22:23], -v[18:19], s[34:35]
	s_delay_alu instid0(VALU_DEP_2) | instskip(NEXT) | instid1(VALU_DEP_2)
	v_add_f64_e32 v[20:21], v[46:47], v[20:21]
	v_cndmask_b32_e32 v18, v18, v22, vcc_lo
	v_cndmask_b32_e32 v22, 0x3fe921fb, v63, vcc_lo
	s_delay_alu instid0(VALU_DEP_4) | instskip(SKIP_1) | instid1(VALU_DEP_4)
	v_cndmask_b32_e32 v19, v19, v23, vcc_lo
	v_cmp_ngt_f64_e32 vcc_lo, 0, v[24:25]
	v_cndmask_b32_e64 v23, v18, v27, s4
	s_delay_alu instid0(VALU_DEP_4) | instskip(NEXT) | instid1(VALU_DEP_4)
	v_bfi_b32 v22, 0x7fffffff, v22, v17
	v_dual_cndmask_b32 v1, v19, v1, s4 :: v_dual_cndmask_b32 v20, v20, v24, s3
	v_cndmask_b32_e64 v21, v21, v25, s3
	v_cmp_nge_f64_e64 s3, 0, v[24:25]
	s_delay_alu instid0(VALU_DEP_2) | instskip(SKIP_1) | instid1(SALU_CYCLE_1)
	v_cndmask_b32_e32 v19, 0x7ff80000, v21, vcc_lo
	s_and_b32 vcc_lo, s6, s7
	v_dual_cndmask_b32 v21, v1, v22, vcc_lo :: v_dual_cndmask_b32 v18, 0, v20, s3
	v_cmp_neq_f64_e64 s3, 0, v[24:25]
	v_cndmask_b32_e32 v20, v23, v26, vcc_lo
	s_delay_alu instid0(VALU_DEP_2)
	v_cndmask_b32_e64 v19, 0xfff00000, v19, s3
.LBB167_22:                             ;   in Loop: Header=BB167_5 Depth=1
	s_or_b32 exec_lo, exec_lo, s5
                                        ; implicit-def: $vgpr24_vgpr25
.LBB167_23:                             ;   in Loop: Header=BB167_5 Depth=1
	s_and_not1_saveexec_b32 s5, s46
	s_cbranch_execz .LBB167_29
; %bb.24:                               ;   in Loop: Header=BB167_5 Depth=1
                                        ; implicit-def: $vgpr18_vgpr19
	s_mov_b32 s3, exec_lo
	v_cmpx_ngt_f64_e32 s[38:39], v[24:25]
	s_xor_b32 s6, exec_lo, s3
	s_cbranch_execz .LBB167_26
; %bb.25:                               ;   in Loop: Header=BB167_5 Depth=1
	v_mul_f64_e32 v[18:19], v[24:25], v[24:25]
	v_cmp_eq_f64_e64 s3, 0, v[16:17]
	v_cmp_class_f64_e64 s7, v[16:17], 0x204
	v_cmp_class_f64_e64 s8, v[14:15], 0x204
	s_delay_alu instid0(VALU_DEP_4) | instskip(NEXT) | instid1(VALU_DEP_1)
	v_add_f64_e32 v[20:21], 1.0, v[18:19]
	v_frexp_mant_f64_e32 v[22:23], v[20:21]
	v_frexp_exp_i32_f64_e32 v1, v[20:21]
	s_delay_alu instid0(VALU_DEP_2) | instskip(NEXT) | instid1(VALU_DEP_2)
	v_cmp_gt_f64_e32 vcc_lo, s[26:27], v[22:23]
	v_subrev_co_ci_u32_e64 v1, null, 0, v1, vcc_lo
	s_delay_alu instid0(VALU_DEP_1) | instskip(SKIP_1) | instid1(VALU_DEP_1)
	v_sub_nc_u32_e32 v28, 0, v1
	v_add_f64_e32 v[24:25], -1.0, v[20:21]
	v_add_f64_e64 v[22:23], v[24:25], -v[20:21]
	s_delay_alu instid0(VALU_DEP_3) | instskip(SKIP_1) | instid1(VALU_DEP_3)
	v_ldexp_f64 v[20:21], v[20:21], v28
	v_add_f64_e64 v[24:25], v[18:19], -v[24:25]
	v_add_f64_e32 v[22:23], 1.0, v[22:23]
	s_delay_alu instid0(VALU_DEP_3) | instskip(SKIP_1) | instid1(VALU_DEP_3)
	v_add_f64_e32 v[26:27], 1.0, v[20:21]
	v_add_f64_e32 v[32:33], -1.0, v[20:21]
	v_add_f64_e32 v[22:23], v[24:25], v[22:23]
	s_delay_alu instid0(VALU_DEP_3) | instskip(NEXT) | instid1(VALU_DEP_3)
	v_add_f64_e32 v[24:25], -1.0, v[26:27]
	v_add_f64_e32 v[46:47], 1.0, v[32:33]
	s_delay_alu instid0(VALU_DEP_3) | instskip(NEXT) | instid1(VALU_DEP_3)
	v_ldexp_f64 v[22:23], v[22:23], v28
	v_add_f64_e64 v[24:25], v[20:21], -v[24:25]
	s_delay_alu instid0(VALU_DEP_3) | instskip(NEXT) | instid1(VALU_DEP_2)
	v_add_f64_e64 v[20:21], v[20:21], -v[46:47]
	v_add_f64_e32 v[24:25], v[22:23], v[24:25]
	s_delay_alu instid0(VALU_DEP_2) | instskip(NEXT) | instid1(VALU_DEP_2)
	v_add_f64_e32 v[20:21], v[22:23], v[20:21]
	v_add_f64_e32 v[28:29], v[26:27], v[24:25]
	s_delay_alu instid0(VALU_DEP_2) | instskip(NEXT) | instid1(VALU_DEP_2)
	v_add_f64_e32 v[46:47], v[32:33], v[20:21]
	v_rcp_f64_e32 v[30:31], v[28:29]
	v_add_f64_e64 v[26:27], v[26:27], -v[28:29]
	s_delay_alu instid0(VALU_DEP_2) | instskip(NEXT) | instid1(VALU_DEP_2)
	v_add_f64_e64 v[32:33], v[32:33], -v[46:47]
	v_add_f64_e32 v[24:25], v[24:25], v[26:27]
	s_delay_alu instid0(VALU_DEP_2) | instskip(NEXT) | instid1(TRANS32_DEP_1)
	v_add_f64_e32 v[20:21], v[20:21], v[32:33]
	v_fma_f64 v[48:49], -v[28:29], v[30:31], 1.0
	s_delay_alu instid0(VALU_DEP_1) | instskip(NEXT) | instid1(VALU_DEP_1)
	v_fmac_f64_e32 v[30:31], v[48:49], v[30:31]
	v_fma_f64 v[22:23], -v[28:29], v[30:31], 1.0
	s_delay_alu instid0(VALU_DEP_1) | instskip(NEXT) | instid1(VALU_DEP_1)
	v_fmac_f64_e32 v[30:31], v[22:23], v[30:31]
	v_mul_f64_e32 v[22:23], v[46:47], v[30:31]
	s_delay_alu instid0(VALU_DEP_1) | instskip(NEXT) | instid1(VALU_DEP_1)
	v_mul_f64_e32 v[48:49], v[28:29], v[22:23]
	v_fma_f64 v[26:27], v[22:23], v[28:29], -v[48:49]
	s_delay_alu instid0(VALU_DEP_1) | instskip(NEXT) | instid1(VALU_DEP_1)
	v_fmac_f64_e32 v[26:27], v[22:23], v[24:25]
	v_add_f64_e32 v[50:51], v[48:49], v[26:27]
	s_delay_alu instid0(VALU_DEP_1) | instskip(SKIP_1) | instid1(VALU_DEP_2)
	v_add_f64_e64 v[52:53], v[46:47], -v[50:51]
	v_add_f64_e64 v[32:33], v[50:51], -v[48:49]
	;; [unrolled: 1-line block ×3, first 2 shown]
	s_delay_alu instid0(VALU_DEP_2) | instskip(NEXT) | instid1(VALU_DEP_2)
	v_add_f64_e64 v[26:27], v[32:33], -v[26:27]
	v_add_f64_e64 v[46:47], v[46:47], -v[50:51]
	s_delay_alu instid0(VALU_DEP_1) | instskip(NEXT) | instid1(VALU_DEP_1)
	v_add_f64_e32 v[20:21], v[20:21], v[46:47]
	v_add_f64_e32 v[20:21], v[26:27], v[20:21]
	s_delay_alu instid0(VALU_DEP_1) | instskip(NEXT) | instid1(VALU_DEP_1)
	v_add_f64_e32 v[26:27], v[52:53], v[20:21]
	v_mul_f64_e32 v[32:33], v[30:31], v[26:27]
	v_add_f64_e64 v[50:51], v[52:53], -v[26:27]
	s_delay_alu instid0(VALU_DEP_2) | instskip(NEXT) | instid1(VALU_DEP_2)
	v_mul_f64_e32 v[46:47], v[28:29], v[32:33]
	v_add_f64_e32 v[20:21], v[20:21], v[50:51]
	s_delay_alu instid0(VALU_DEP_2) | instskip(NEXT) | instid1(VALU_DEP_1)
	v_fma_f64 v[28:29], v[32:33], v[28:29], -v[46:47]
	v_fmac_f64_e32 v[28:29], v[32:33], v[24:25]
	s_delay_alu instid0(VALU_DEP_1) | instskip(NEXT) | instid1(VALU_DEP_1)
	v_add_f64_e32 v[24:25], v[46:47], v[28:29]
	v_add_f64_e64 v[48:49], v[26:27], -v[24:25]
	v_add_f64_e64 v[46:47], v[24:25], -v[46:47]
	s_delay_alu instid0(VALU_DEP_2) | instskip(NEXT) | instid1(VALU_DEP_1)
	v_add_f64_e64 v[26:27], v[26:27], -v[48:49]
	v_add_f64_e64 v[24:25], v[26:27], -v[24:25]
	s_delay_alu instid0(VALU_DEP_3) | instskip(SKIP_1) | instid1(VALU_DEP_3)
	v_add_f64_e64 v[26:27], v[46:47], -v[28:29]
	v_max_num_f64_e64 v[28:29], |v[14:15]|, |v[14:15]|
	v_add_f64_e32 v[20:21], v[20:21], v[24:25]
	v_add_f64_e32 v[24:25], v[22:23], v[32:33]
	s_delay_alu instid0(VALU_DEP_2) | instskip(NEXT) | instid1(VALU_DEP_2)
	v_add_f64_e32 v[20:21], v[26:27], v[20:21]
	v_add_f64_e64 v[22:23], v[24:25], -v[22:23]
	v_max_num_f64_e64 v[26:27], |v[16:17]|, |v[16:17]|
	s_delay_alu instid0(VALU_DEP_3) | instskip(NEXT) | instid1(VALU_DEP_3)
	v_add_f64_e32 v[20:21], v[48:49], v[20:21]
	v_add_f64_e64 v[22:23], v[32:33], -v[22:23]
	s_delay_alu instid0(VALU_DEP_2) | instskip(NEXT) | instid1(VALU_DEP_1)
	v_mul_f64_e32 v[20:21], v[30:31], v[20:21]
	v_add_f64_e32 v[20:21], v[22:23], v[20:21]
	v_max_num_f64_e32 v[22:23], v[28:29], v[26:27]
	v_min_num_f64_e32 v[26:27], v[28:29], v[26:27]
	s_delay_alu instid0(VALU_DEP_3) | instskip(NEXT) | instid1(VALU_DEP_2)
	v_add_f64_e32 v[28:29], v[24:25], v[20:21]
	v_div_scale_f64 v[30:31], null, v[22:23], v[22:23], v[26:27]
	s_delay_alu instid0(VALU_DEP_2) | instskip(SKIP_1) | instid1(VALU_DEP_3)
	v_mul_f64_e32 v[32:33], v[28:29], v[28:29]
	v_add_f64_e64 v[24:25], v[28:29], -v[24:25]
	v_rcp_f64_e32 v[46:47], v[30:31]
	s_delay_alu instid0(VALU_DEP_2) | instskip(SKIP_1) | instid1(VALU_DEP_3)
	v_fmamk_f64 v[48:49], v[32:33], 0x3fc3ab76bf559e2b, v[38:39]
	v_mul_f64_e32 v[50:51], v[28:29], v[32:33]
	v_add_f64_e64 v[20:21], v[20:21], -v[24:25]
	s_delay_alu instid0(VALU_DEP_3) | instskip(NEXT) | instid1(TRANS32_DEP_1)
	v_fmaak_f64 v[48:49], v[32:33], v[48:49], 0x3fc7474dd7f4df2e
	v_fma_f64 v[52:53], -v[30:31], v[46:47], 1.0
	s_delay_alu instid0(VALU_DEP_2) | instskip(NEXT) | instid1(VALU_DEP_1)
	v_fmaak_f64 v[48:49], v[32:33], v[48:49], 0x3fcc71c016291751
	v_fmaak_f64 v[48:49], v[32:33], v[48:49], 0x3fd249249b27acf1
	s_delay_alu instid0(VALU_DEP_1) | instskip(SKIP_1) | instid1(VALU_DEP_2)
	v_fmaak_f64 v[48:49], v[32:33], v[48:49], 0x3fd99999998ef7b6
	v_ldexp_f64 v[20:21], v[20:21], 1
	v_fmaak_f64 v[32:33], v[32:33], v[48:49], 0x3fe5555555555780
	v_ldexp_f64 v[48:49], v[28:29], 1
	v_fmac_f64_e32 v[46:47], v[46:47], v[52:53]
	s_delay_alu instid0(VALU_DEP_3) | instskip(SKIP_2) | instid1(VALU_DEP_4)
	v_mul_f64_e32 v[32:33], v[50:51], v[32:33]
	v_cvt_f64_i32_e32 v[50:51], v1
	v_ashrrev_i32_e32 v1, 31, v15
	v_fma_f64 v[52:53], -v[30:31], v[46:47], 1.0
	s_delay_alu instid0(VALU_DEP_4) | instskip(NEXT) | instid1(VALU_DEP_4)
	v_add_f64_e32 v[28:29], v[48:49], v[32:33]
	v_mul_f64_e32 v[54:55], 0x3fe62e42fefa39ef, v[50:51]
	s_delay_alu instid0(VALU_DEP_3) | instskip(NEXT) | instid1(VALU_DEP_3)
	v_fmac_f64_e32 v[46:47], v[46:47], v[52:53]
	v_add_f64_e64 v[24:25], v[28:29], -v[48:49]
	v_div_scale_f64 v[48:49], vcc_lo, v[26:27], v[22:23], v[26:27]
	s_delay_alu instid0(VALU_DEP_4) | instskip(NEXT) | instid1(VALU_DEP_3)
	v_fma_f64 v[52:53], v[50:51], s[28:29], -v[54:55]
	v_add_f64_e64 v[24:25], v[32:33], -v[24:25]
	s_delay_alu instid0(VALU_DEP_3) | instskip(NEXT) | instid1(VALU_DEP_3)
	v_mul_f64_e32 v[32:33], v[48:49], v[46:47]
	v_fmac_f64_e32 v[52:53], 0x3c7abc9e3b39803f, v[50:51]
	s_delay_alu instid0(VALU_DEP_3) | instskip(NEXT) | instid1(VALU_DEP_3)
	v_add_f64_e32 v[20:21], v[20:21], v[24:25]
	v_fma_f64 v[24:25], -v[30:31], v[32:33], v[48:49]
	s_delay_alu instid0(VALU_DEP_3) | instskip(NEXT) | instid1(VALU_DEP_3)
	v_add_f64_e32 v[30:31], v[54:55], v[52:53]
	v_add_f64_e32 v[48:49], v[28:29], v[20:21]
	s_delay_alu instid0(VALU_DEP_3) | instskip(SKIP_1) | instid1(VALU_DEP_4)
	v_div_fmas_f64 v[24:25], v[24:25], v[46:47], v[32:33]
	v_cmp_gt_i32_e32 vcc_lo, 0, v15
	v_add_f64_e64 v[46:47], v[30:31], -v[54:55]
	s_delay_alu instid0(VALU_DEP_4) | instskip(NEXT) | instid1(VALU_DEP_4)
	v_add_f64_e32 v[32:33], v[30:31], v[48:49]
	v_div_fixup_f64 v[22:23], v[24:25], v[22:23], v[26:27]
	v_add_f64_e64 v[28:29], v[48:49], -v[28:29]
	s_delay_alu instid0(VALU_DEP_4) | instskip(NEXT) | instid1(VALU_DEP_4)
	v_add_f64_e64 v[46:47], v[52:53], -v[46:47]
	v_add_f64_e64 v[24:25], v[32:33], -v[30:31]
	s_delay_alu instid0(VALU_DEP_4) | instskip(NEXT) | instid1(VALU_DEP_4)
	v_mul_f64_e32 v[26:27], v[22:23], v[22:23]
	v_add_f64_e64 v[20:21], v[20:21], -v[28:29]
	s_delay_alu instid0(VALU_DEP_3) | instskip(NEXT) | instid1(VALU_DEP_3)
	v_add_f64_e64 v[50:51], v[32:33], -v[24:25]
	v_fmamk_f64 v[54:55], v[26:27], 0x3eeba404b5e68a13, v[40:41]
	v_add_f64_e64 v[24:25], v[48:49], -v[24:25]
	s_delay_alu instid0(VALU_DEP_4) | instskip(NEXT) | instid1(VALU_DEP_3)
	v_add_f64_e32 v[48:49], v[46:47], v[20:21]
	v_fmaak_f64 v[54:55], v[26:27], v[54:55], 0x3f4b2bb069efb384
	s_delay_alu instid0(VALU_DEP_1) | instskip(SKIP_1) | instid1(VALU_DEP_2)
	v_fmaak_f64 v[54:55], v[26:27], v[54:55], 0xbf67952daf56de9b
	v_add_f64_e64 v[28:29], v[30:31], -v[50:51]
	v_fmaak_f64 v[30:31], v[26:27], v[54:55], 0x3f7d6d43a595c56f
	s_delay_alu instid0(VALU_DEP_1) | instskip(NEXT) | instid1(VALU_DEP_1)
	v_fmaak_f64 v[30:31], v[26:27], v[30:31], 0xbf8c6ea4a57d9582
	v_fmaak_f64 v[30:31], v[26:27], v[30:31], 0x3f967e295f08b19f
	s_delay_alu instid0(VALU_DEP_1) | instskip(NEXT) | instid1(VALU_DEP_1)
	v_fmaak_f64 v[30:31], v[26:27], v[30:31], 0xbf9e9ae6fc27006a
	v_fmaak_f64 v[30:31], v[26:27], v[30:31], 0x3fa2c15b5711927a
	v_add_f64_e32 v[24:25], v[24:25], v[28:29]
	s_delay_alu instid0(VALU_DEP_2) | instskip(SKIP_1) | instid1(VALU_DEP_2)
	v_fmaak_f64 v[28:29], v[26:27], v[30:31], 0xbfa59976e82d3ff0
	v_add_f64_e64 v[30:31], v[48:49], -v[46:47]
	v_fmaak_f64 v[28:29], v[26:27], v[28:29], 0x3fa82d5d6ef28734
	s_delay_alu instid0(VALU_DEP_1) | instskip(NEXT) | instid1(VALU_DEP_1)
	v_fmaak_f64 v[28:29], v[26:27], v[28:29], 0xbfaae5ce6a214619
	v_fmaak_f64 v[28:29], v[26:27], v[28:29], 0x3fae1bb48427b883
	s_delay_alu instid0(VALU_DEP_1) | instskip(SKIP_3) | instid1(VALU_DEP_4)
	v_fmaak_f64 v[28:29], v[26:27], v[28:29], 0xbfb110e48b207f05
	v_add_f64_e32 v[24:25], v[48:49], v[24:25]
	v_add_f64_e64 v[48:49], v[48:49], -v[30:31]
	v_add_f64_e64 v[20:21], v[20:21], -v[30:31]
	v_fmaak_f64 v[28:29], v[26:27], v[28:29], 0x3fb3b13657b87036
	s_delay_alu instid0(VALU_DEP_1) | instskip(NEXT) | instid1(VALU_DEP_1)
	v_fmaak_f64 v[28:29], v[26:27], v[28:29], 0xbfb745d119378e4f
	v_fmaak_f64 v[28:29], v[26:27], v[28:29], 0x3fbc71c717e1913c
	s_delay_alu instid0(VALU_DEP_1) | instskip(SKIP_1) | instid1(VALU_DEP_2)
	v_fmaak_f64 v[28:29], v[26:27], v[28:29], 0xbfc2492492376b7d
	v_add_f64_e32 v[50:51], v[32:33], v[24:25]
	v_fmaak_f64 v[28:29], v[26:27], v[28:29], 0x3fc99999999952cc
	s_delay_alu instid0(VALU_DEP_1) | instskip(NEXT) | instid1(VALU_DEP_1)
	v_fmaak_f64 v[28:29], v[26:27], v[28:29], 0xbfd5555555555523
	v_mul_f64_e32 v[26:27], v[26:27], v[28:29]
	v_add_f64_e64 v[28:29], v[46:47], -v[48:49]
	v_add_f64_e64 v[30:31], v[50:51], -v[32:33]
	s_delay_alu instid0(VALU_DEP_3) | instskip(NEXT) | instid1(VALU_DEP_3)
	v_fmac_f64_e32 v[22:23], v[22:23], v[26:27]
	v_add_f64_e32 v[20:21], v[20:21], v[28:29]
	v_and_b32_e32 v29, 0x54442d18, v1
	v_and_b32_e32 v1, 0x400921fb, v1
	v_cndmask_b32_e32 v28, 0x54442d18, v62, vcc_lo
	v_add_f64_e64 v[24:25], v[24:25], -v[30:31]
	v_add_f64_e64 v[26:27], -v[22:23], s[30:31]
	s_delay_alu instid0(VALU_DEP_1) | instskip(NEXT) | instid1(VALU_DEP_2)
	v_dual_add_f64 v[20:21], v[20:21], v[24:25] :: v_dual_cndmask_b32 v23, v23, v27, s2
	v_cndmask_b32_e64 v22, v22, v26, s2
	v_cmp_neq_f64_e64 s4, 0x7ff00000, v[18:19]
	v_cndmask_b32_e32 v18, 0x3fe921fb, v63, vcc_lo
	s_delay_alu instid0(VALU_DEP_3) | instskip(NEXT) | instid1(VALU_DEP_2)
	v_add_f64_e64 v[24:25], -v[22:23], s[34:35]
	v_bfi_b32 v18, 0x7fffffff, v18, v17
	v_add_f64_e32 v[20:21], v[50:51], v[20:21]
	s_delay_alu instid0(VALU_DEP_3) | instskip(SKIP_1) | instid1(VALU_DEP_1)
	v_dual_cndmask_b32 v22, v22, v24 :: v_dual_cndmask_b32 v19, v23, v25
	s_and_b32 vcc_lo, s8, s7
                                        ; implicit-def: $vgpr24_vgpr25
	v_cndmask_b32_e64 v1, v19, v1, s3
	s_delay_alu instid0(VALU_DEP_3) | instskip(NEXT) | instid1(VALU_DEP_2)
	v_mul_f64_e32 v[26:27], 0.5, v[20:21]
	v_dual_cndmask_b32 v20, v22, v29, s3 :: v_dual_cndmask_b32 v21, v1, v18, vcc_lo
	s_delay_alu instid0(VALU_DEP_1) | instskip(NEXT) | instid1(VALU_DEP_3)
	v_cndmask_b32_e32 v20, v20, v28, vcc_lo
	v_cndmask_b32_e64 v19, 0x7ff00000, v27, s4
	s_delay_alu instid0(VALU_DEP_4)
	v_cndmask_b32_e64 v18, 0, v26, s4
.LBB167_26:                             ;   in Loop: Header=BB167_5 Depth=1
	s_and_not1_saveexec_b32 s4, s6
	s_cbranch_execz .LBB167_28
; %bb.27:                               ;   in Loop: Header=BB167_5 Depth=1
	v_max_num_f64_e64 v[18:19], |v[16:17]|, |v[16:17]|
	v_max_num_f64_e64 v[20:21], |v[14:15]|, |v[14:15]|
	v_cmp_eq_f64_e64 s3, 0, v[16:17]
	v_cmp_class_f64_e64 s6, v[16:17], 0x204
	v_cmp_class_f64_e64 s7, v[14:15], 0x204
	v_ashrrev_i32_e32 v1, 31, v15
	v_max_num_f64_e32 v[22:23], v[20:21], v[18:19]
	v_min_num_f64_e32 v[18:19], v[20:21], v[18:19]
	s_delay_alu instid0(VALU_DEP_1) | instskip(SKIP_1) | instid1(VALU_DEP_2)
	v_div_scale_f64 v[20:21], null, v[22:23], v[22:23], v[18:19]
	v_div_scale_f64 v[30:31], vcc_lo, v[18:19], v[22:23], v[18:19]
	v_rcp_f64_e32 v[26:27], v[20:21]
	v_nop
	s_delay_alu instid0(TRANS32_DEP_1) | instskip(NEXT) | instid1(VALU_DEP_1)
	v_fma_f64 v[28:29], -v[20:21], v[26:27], 1.0
	v_fmac_f64_e32 v[26:27], v[26:27], v[28:29]
	s_delay_alu instid0(VALU_DEP_1) | instskip(NEXT) | instid1(VALU_DEP_1)
	v_fma_f64 v[28:29], -v[20:21], v[26:27], 1.0
	v_fmac_f64_e32 v[26:27], v[26:27], v[28:29]
	s_delay_alu instid0(VALU_DEP_1) | instskip(NEXT) | instid1(VALU_DEP_1)
	v_mul_f64_e32 v[28:29], v[30:31], v[26:27]
	v_fma_f64 v[20:21], -v[20:21], v[28:29], v[30:31]
	s_delay_alu instid0(VALU_DEP_1)
	v_div_fmas_f64 v[20:21], v[20:21], v[26:27], v[28:29]
	v_cmp_gt_i32_e32 vcc_lo, 0, v15
	v_and_b32_e32 v27, 0x54442d18, v1
	v_and_b32_e32 v1, 0x400921fb, v1
	v_cndmask_b32_e32 v26, 0x54442d18, v62, vcc_lo
	v_div_fixup_f64 v[18:19], v[20:21], v[22:23], v[18:19]
	s_delay_alu instid0(VALU_DEP_1) | instskip(NEXT) | instid1(VALU_DEP_1)
	v_mul_f64_e32 v[20:21], v[18:19], v[18:19]
	v_fmamk_f64 v[22:23], v[20:21], 0x3eeba404b5e68a13, v[40:41]
	s_delay_alu instid0(VALU_DEP_1) | instskip(NEXT) | instid1(VALU_DEP_1)
	v_fmaak_f64 v[22:23], v[20:21], v[22:23], 0x3f4b2bb069efb384
	v_fmaak_f64 v[22:23], v[20:21], v[22:23], 0xbf67952daf56de9b
	s_delay_alu instid0(VALU_DEP_1) | instskip(NEXT) | instid1(VALU_DEP_1)
	v_fmaak_f64 v[22:23], v[20:21], v[22:23], 0x3f7d6d43a595c56f
	v_fmaak_f64 v[22:23], v[20:21], v[22:23], 0xbf8c6ea4a57d9582
	s_delay_alu instid0(VALU_DEP_1) | instskip(NEXT) | instid1(VALU_DEP_1)
	v_fmaak_f64 v[22:23], v[20:21], v[22:23], 0x3f967e295f08b19f
	v_fmaak_f64 v[22:23], v[20:21], v[22:23], 0xbf9e9ae6fc27006a
	s_delay_alu instid0(VALU_DEP_1) | instskip(NEXT) | instid1(VALU_DEP_1)
	v_fmaak_f64 v[22:23], v[20:21], v[22:23], 0x3fa2c15b5711927a
	v_fmaak_f64 v[22:23], v[20:21], v[22:23], 0xbfa59976e82d3ff0
	s_delay_alu instid0(VALU_DEP_1) | instskip(NEXT) | instid1(VALU_DEP_1)
	v_fmaak_f64 v[22:23], v[20:21], v[22:23], 0x3fa82d5d6ef28734
	v_fmaak_f64 v[22:23], v[20:21], v[22:23], 0xbfaae5ce6a214619
	s_delay_alu instid0(VALU_DEP_1) | instskip(NEXT) | instid1(VALU_DEP_1)
	v_fmaak_f64 v[22:23], v[20:21], v[22:23], 0x3fae1bb48427b883
	v_fmaak_f64 v[22:23], v[20:21], v[22:23], 0xbfb110e48b207f05
	s_delay_alu instid0(VALU_DEP_1) | instskip(NEXT) | instid1(VALU_DEP_1)
	v_fmaak_f64 v[22:23], v[20:21], v[22:23], 0x3fb3b13657b87036
	v_fmaak_f64 v[22:23], v[20:21], v[22:23], 0xbfb745d119378e4f
	s_delay_alu instid0(VALU_DEP_1) | instskip(NEXT) | instid1(VALU_DEP_1)
	v_fmaak_f64 v[22:23], v[20:21], v[22:23], 0x3fbc71c717e1913c
	v_fmaak_f64 v[22:23], v[20:21], v[22:23], 0xbfc2492492376b7d
	s_delay_alu instid0(VALU_DEP_1) | instskip(NEXT) | instid1(VALU_DEP_1)
	v_fmaak_f64 v[22:23], v[20:21], v[22:23], 0x3fc99999999952cc
	v_fmaak_f64 v[22:23], v[20:21], v[22:23], 0xbfd5555555555523
	s_delay_alu instid0(VALU_DEP_1) | instskip(NEXT) | instid1(VALU_DEP_1)
	v_mul_f64_e32 v[20:21], v[20:21], v[22:23]
	v_fmac_f64_e32 v[18:19], v[18:19], v[20:21]
	s_delay_alu instid0(VALU_DEP_1) | instskip(NEXT) | instid1(VALU_DEP_1)
	v_add_f64_e64 v[20:21], -v[18:19], s[30:31]
	v_dual_cndmask_b32 v21, v19, v21, s2 :: v_dual_cndmask_b32 v20, v18, v20, s2
	v_mul_f64_e32 v[18:19], 0.5, v[24:25]
	s_delay_alu instid0(VALU_DEP_1) | instskip(NEXT) | instid1(VALU_DEP_3)
	v_mul_f64_e32 v[18:19], v[24:25], v[18:19]
	v_add_f64_e64 v[22:23], -v[20:21], s[34:35]
	s_delay_alu instid0(VALU_DEP_1) | instskip(SKIP_1) | instid1(VALU_DEP_1)
	v_cndmask_b32_e32 v20, v20, v22, vcc_lo
	v_cndmask_b32_e32 v22, 0x3fe921fb, v63, vcc_lo
	v_bfi_b32 v22, 0x7fffffff, v22, v17
	s_delay_alu instid0(VALU_DEP_3)
	v_cndmask_b32_e64 v20, v20, v27, s3
	v_cndmask_b32_e32 v21, v21, v23, vcc_lo
	s_and_b32 vcc_lo, s7, s6
	s_delay_alu instid0(VALU_DEP_1) | instid1(SALU_CYCLE_1)
	v_dual_cndmask_b32 v20, v20, v26, vcc_lo :: v_dual_cndmask_b32 v1, v21, v1, s3
	s_delay_alu instid0(VALU_DEP_1)
	v_cndmask_b32_e32 v21, v1, v22, vcc_lo
.LBB167_28:                             ;   in Loop: Header=BB167_5 Depth=1
	s_or_b32 exec_lo, exec_lo, s4
.LBB167_29:                             ;   in Loop: Header=BB167_5 Depth=1
	s_delay_alu instid0(SALU_CYCLE_1)
	s_or_b32 exec_lo, exec_lo, s5
.LBB167_30:                             ;   in Loop: Header=BB167_5 Depth=1
	s_and_not1_saveexec_b32 s4, s45
	s_cbranch_execz .LBB167_32
; %bb.31:                               ;   in Loop: Header=BB167_5 Depth=1
	v_div_scale_f64 v[18:19], null, s[40:41], s[40:41], v[14:15]
	v_div_scale_f64 v[20:21], null, s[40:41], s[40:41], v[16:17]
	v_div_scale_f64 v[30:31], vcc_lo, v[14:15], s[40:41], v[14:15]
	s_delay_alu instid0(VALU_DEP_3) | instskip(NEXT) | instid1(VALU_DEP_2)
	v_rcp_f64_e32 v[22:23], v[18:19]
	v_rcp_f64_e32 v[24:25], v[20:21]
	s_delay_alu instid0(TRANS32_DEP_2) | instskip(NEXT) | instid1(TRANS32_DEP_1)
	v_fma_f64 v[26:27], -v[18:19], v[22:23], 1.0
	v_fma_f64 v[28:29], -v[20:21], v[24:25], 1.0
	s_delay_alu instid0(VALU_DEP_2) | instskip(NEXT) | instid1(VALU_DEP_2)
	v_fmac_f64_e32 v[22:23], v[22:23], v[26:27]
	v_fmac_f64_e32 v[24:25], v[24:25], v[28:29]
	s_delay_alu instid0(VALU_DEP_2) | instskip(NEXT) | instid1(VALU_DEP_2)
	v_fma_f64 v[26:27], -v[18:19], v[22:23], 1.0
	v_fma_f64 v[28:29], -v[20:21], v[24:25], 1.0
	s_delay_alu instid0(VALU_DEP_2) | instskip(SKIP_1) | instid1(VALU_DEP_3)
	v_fmac_f64_e32 v[22:23], v[22:23], v[26:27]
	v_div_scale_f64 v[26:27], s3, v[16:17], s[40:41], v[16:17]
	v_fmac_f64_e32 v[24:25], v[24:25], v[28:29]
	s_delay_alu instid0(VALU_DEP_3) | instskip(NEXT) | instid1(VALU_DEP_2)
	v_mul_f64_e32 v[28:29], v[30:31], v[22:23]
	v_mul_f64_e32 v[32:33], v[26:27], v[24:25]
	s_delay_alu instid0(VALU_DEP_2) | instskip(NEXT) | instid1(VALU_DEP_2)
	v_fma_f64 v[18:19], -v[18:19], v[28:29], v[30:31]
	v_fma_f64 v[20:21], -v[20:21], v[32:33], v[26:27]
	s_delay_alu instid0(VALU_DEP_2) | instskip(SKIP_1) | instid1(VALU_DEP_2)
	v_div_fmas_f64 v[18:19], v[18:19], v[22:23], v[28:29]
	s_mov_b32 vcc_lo, s3
	v_div_fmas_f64 v[20:21], v[20:21], v[24:25], v[32:33]
	s_delay_alu instid0(VALU_DEP_2) | instskip(NEXT) | instid1(VALU_DEP_2)
	v_div_fixup_f64 v[18:19], v[18:19], s[40:41], v[14:15]
	v_div_fixup_f64 v[20:21], v[20:21], s[40:41], v[16:17]
	s_delay_alu instid0(VALU_DEP_2) | instskip(NEXT) | instid1(VALU_DEP_2)
	v_cmp_class_f64_e64 s3, v[18:19], 0x204
	v_max_num_f64_e64 v[22:23], |v[18:19]|, |v[20:21]|
	v_cmp_class_f64_e64 s5, v[20:21], 0x204
	s_delay_alu instid0(VALU_DEP_2) | instskip(SKIP_2) | instid1(VALU_DEP_2)
	v_frexp_exp_i32_f64_e32 v1, v[22:23]
	s_or_b32 s3, s3, s5
	v_cmp_class_f64_e64 s5, v[14:15], 0x204
	v_sub_nc_u32_e32 v24, 0, v1
	s_delay_alu instid0(VALU_DEP_1) | instskip(SKIP_1) | instid1(VALU_DEP_2)
	v_ldexp_f64 v[22:23], |v[20:21]|, v24
	v_ldexp_f64 v[24:25], |v[18:19]|, v24
	v_mul_f64_e32 v[22:23], v[22:23], v[22:23]
	s_delay_alu instid0(VALU_DEP_1) | instskip(NEXT) | instid1(VALU_DEP_1)
	v_fmac_f64_e32 v[22:23], v[24:25], v[24:25]
	v_rsq_f64_e32 v[24:25], v[22:23]
	v_cmp_eq_f64_e32 vcc_lo, 0, v[22:23]
	s_delay_alu instid0(TRANS32_DEP_1) | instskip(SKIP_1) | instid1(VALU_DEP_1)
	v_mul_f64_e32 v[26:27], v[22:23], v[24:25]
	v_mul_f64_e32 v[24:25], 0.5, v[24:25]
	v_fma_f64 v[28:29], -v[24:25], v[26:27], 0.5
	s_delay_alu instid0(VALU_DEP_1) | instskip(SKIP_1) | instid1(VALU_DEP_2)
	v_fmac_f64_e32 v[26:27], v[26:27], v[28:29]
	v_fmac_f64_e32 v[24:25], v[24:25], v[28:29]
	v_fma_f64 v[28:29], -v[26:27], v[26:27], v[22:23]
	s_delay_alu instid0(VALU_DEP_1) | instskip(NEXT) | instid1(VALU_DEP_1)
	v_fmac_f64_e32 v[26:27], v[28:29], v[24:25]
	v_dual_cndmask_b32 v23, v27, v23 :: v_dual_cndmask_b32 v22, v26, v22
	v_cmp_o_f64_e32 vcc_lo, v[18:19], v[20:21]
	s_delay_alu instid0(VALU_DEP_2) | instskip(NEXT) | instid1(VALU_DEP_1)
	v_ldexp_f64 v[22:23], v[22:23], v1
	v_cndmask_b32_e32 v1, 0, v22, vcc_lo
	s_delay_alu instid0(VALU_DEP_2) | instskip(NEXT) | instid1(VALU_DEP_2)
	v_cndmask_b32_e32 v18, 0x7ff80000, v23, vcc_lo
	v_cndmask_b32_e64 v22, v1, 0, s3
	s_delay_alu instid0(VALU_DEP_2) | instskip(SKIP_1) | instid1(VALU_DEP_2)
	v_cndmask_b32_e64 v23, v18, 0x7ff00000, s3
	v_cmp_class_f64_e64 s3, v[16:17], 0x204
	v_frexp_mant_f64_e32 v[18:19], v[22:23]
	s_delay_alu instid0(VALU_DEP_1) | instskip(SKIP_1) | instid1(VALU_DEP_1)
	v_cmp_gt_f64_e32 vcc_lo, s[26:27], v[18:19]
	v_cndmask_b32_e64 v1, 0, 1, vcc_lo
	v_ldexp_f64 v[18:19], v[18:19], v1
	v_frexp_exp_i32_f64_e32 v1, v[22:23]
	s_delay_alu instid0(VALU_DEP_2) | instskip(SKIP_1) | instid1(VALU_DEP_3)
	v_add_f64_e32 v[20:21], 1.0, v[18:19]
	v_add_f64_e32 v[28:29], -1.0, v[18:19]
	v_subrev_co_ci_u32_e64 v1, null, 0, v1, vcc_lo
	s_delay_alu instid0(VALU_DEP_3) | instskip(SKIP_1) | instid1(VALU_DEP_1)
	v_rcp_f64_e32 v[24:25], v[20:21]
	v_add_f64_e32 v[30:31], -1.0, v[20:21]
	v_add_f64_e64 v[18:19], v[18:19], -v[30:31]
	s_delay_alu instid0(TRANS32_DEP_1) | instskip(NEXT) | instid1(VALU_DEP_1)
	v_fma_f64 v[26:27], -v[20:21], v[24:25], 1.0
	v_fmac_f64_e32 v[24:25], v[26:27], v[24:25]
	s_delay_alu instid0(VALU_DEP_1) | instskip(NEXT) | instid1(VALU_DEP_1)
	v_fma_f64 v[26:27], -v[20:21], v[24:25], 1.0
	v_fmac_f64_e32 v[24:25], v[26:27], v[24:25]
	s_delay_alu instid0(VALU_DEP_1) | instskip(NEXT) | instid1(VALU_DEP_1)
	v_mul_f64_e32 v[26:27], v[28:29], v[24:25]
	v_mul_f64_e32 v[32:33], v[20:21], v[26:27]
	s_delay_alu instid0(VALU_DEP_1) | instskip(NEXT) | instid1(VALU_DEP_1)
	v_fma_f64 v[20:21], v[26:27], v[20:21], -v[32:33]
	v_fmac_f64_e32 v[20:21], v[26:27], v[18:19]
	s_delay_alu instid0(VALU_DEP_1) | instskip(NEXT) | instid1(VALU_DEP_1)
	v_add_f64_e32 v[18:19], v[32:33], v[20:21]
	v_add_f64_e64 v[30:31], v[28:29], -v[18:19]
	v_add_f64_e64 v[32:33], v[18:19], -v[32:33]
	s_delay_alu instid0(VALU_DEP_2) | instskip(NEXT) | instid1(VALU_DEP_2)
	v_add_f64_e64 v[28:29], v[28:29], -v[30:31]
	v_add_f64_e64 v[20:21], v[32:33], -v[20:21]
	s_delay_alu instid0(VALU_DEP_2) | instskip(SKIP_1) | instid1(VALU_DEP_2)
	v_add_f64_e64 v[18:19], v[28:29], -v[18:19]
	v_max_num_f64_e64 v[28:29], |v[14:15]|, |v[14:15]|
	v_add_f64_e32 v[18:19], v[20:21], v[18:19]
	v_max_num_f64_e64 v[20:21], |v[16:17]|, |v[16:17]|
	s_delay_alu instid0(VALU_DEP_2) | instskip(NEXT) | instid1(VALU_DEP_1)
	v_add_f64_e32 v[18:19], v[30:31], v[18:19]
	v_mul_f64_e32 v[18:19], v[24:25], v[18:19]
	s_delay_alu instid0(VALU_DEP_3) | instskip(SKIP_1) | instid1(VALU_DEP_3)
	v_max_num_f64_e32 v[24:25], v[28:29], v[20:21]
	v_min_num_f64_e32 v[20:21], v[28:29], v[20:21]
	v_add_f64_e32 v[28:29], v[26:27], v[18:19]
	s_delay_alu instid0(VALU_DEP_2) | instskip(NEXT) | instid1(VALU_DEP_2)
	v_div_scale_f64 v[30:31], null, v[24:25], v[24:25], v[20:21]
	v_mul_f64_e32 v[32:33], v[28:29], v[28:29]
	v_add_f64_e64 v[26:27], v[28:29], -v[26:27]
	s_delay_alu instid0(VALU_DEP_3) | instskip(NEXT) | instid1(VALU_DEP_2)
	v_rcp_f64_e32 v[46:47], v[30:31]
	v_fmamk_f64 v[48:49], v[32:33], 0x3fc3ab76bf559e2b, v[38:39]
	v_mul_f64_e32 v[50:51], v[28:29], v[32:33]
	s_delay_alu instid0(VALU_DEP_3) | instskip(NEXT) | instid1(VALU_DEP_3)
	v_add_f64_e64 v[18:19], v[18:19], -v[26:27]
	v_fmaak_f64 v[48:49], v[32:33], v[48:49], 0x3fc7474dd7f4df2e
	s_delay_alu instid0(TRANS32_DEP_1) | instskip(NEXT) | instid1(VALU_DEP_2)
	v_fma_f64 v[52:53], -v[30:31], v[46:47], 1.0
	v_fmaak_f64 v[48:49], v[32:33], v[48:49], 0x3fcc71c016291751
	s_delay_alu instid0(VALU_DEP_1) | instskip(NEXT) | instid1(VALU_DEP_1)
	v_fmaak_f64 v[48:49], v[32:33], v[48:49], 0x3fd249249b27acf1
	v_fmaak_f64 v[48:49], v[32:33], v[48:49], 0x3fd99999998ef7b6
	v_ldexp_f64 v[18:19], v[18:19], 1
	s_delay_alu instid0(VALU_DEP_2) | instskip(SKIP_2) | instid1(VALU_DEP_3)
	v_fmaak_f64 v[32:33], v[32:33], v[48:49], 0x3fe5555555555780
	v_ldexp_f64 v[48:49], v[28:29], 1
	v_fmac_f64_e32 v[46:47], v[46:47], v[52:53]
	v_mul_f64_e32 v[32:33], v[50:51], v[32:33]
	v_cvt_f64_i32_e32 v[50:51], v1
	v_ashrrev_i32_e32 v1, 31, v15
	s_delay_alu instid0(VALU_DEP_4) | instskip(NEXT) | instid1(VALU_DEP_4)
	v_fma_f64 v[52:53], -v[30:31], v[46:47], 1.0
	v_add_f64_e32 v[28:29], v[48:49], v[32:33]
	s_delay_alu instid0(VALU_DEP_4) | instskip(NEXT) | instid1(VALU_DEP_3)
	v_mul_f64_e32 v[54:55], 0x3fe62e42fefa39ef, v[50:51]
	v_fmac_f64_e32 v[46:47], v[46:47], v[52:53]
	s_delay_alu instid0(VALU_DEP_3) | instskip(SKIP_1) | instid1(VALU_DEP_4)
	v_add_f64_e64 v[26:27], v[28:29], -v[48:49]
	v_div_scale_f64 v[48:49], vcc_lo, v[20:21], v[24:25], v[20:21]
	v_fma_f64 v[52:53], v[50:51], s[28:29], -v[54:55]
	s_delay_alu instid0(VALU_DEP_3) | instskip(NEXT) | instid1(VALU_DEP_3)
	v_add_f64_e64 v[26:27], v[32:33], -v[26:27]
	v_mul_f64_e32 v[32:33], v[48:49], v[46:47]
	s_delay_alu instid0(VALU_DEP_3) | instskip(NEXT) | instid1(VALU_DEP_3)
	v_fmac_f64_e32 v[52:53], 0x3c7abc9e3b39803f, v[50:51]
	v_add_f64_e32 v[18:19], v[18:19], v[26:27]
	s_delay_alu instid0(VALU_DEP_3) | instskip(NEXT) | instid1(VALU_DEP_3)
	v_fma_f64 v[26:27], -v[30:31], v[32:33], v[48:49]
	v_add_f64_e32 v[30:31], v[54:55], v[52:53]
	s_delay_alu instid0(VALU_DEP_3) | instskip(NEXT) | instid1(VALU_DEP_3)
	v_add_f64_e32 v[48:49], v[28:29], v[18:19]
	v_div_fmas_f64 v[26:27], v[26:27], v[46:47], v[32:33]
	v_cmp_class_f64_e64 vcc_lo, v[22:23], 0x204
	s_delay_alu instid0(VALU_DEP_4) | instskip(NEXT) | instid1(VALU_DEP_4)
	v_add_f64_e64 v[46:47], v[30:31], -v[54:55]
	v_add_f64_e32 v[32:33], v[30:31], v[48:49]
	s_delay_alu instid0(VALU_DEP_4) | instskip(SKIP_1) | instid1(VALU_DEP_4)
	v_div_fixup_f64 v[20:21], v[26:27], v[24:25], v[20:21]
	v_add_f64_e64 v[28:29], v[48:49], -v[28:29]
	v_add_f64_e64 v[46:47], v[52:53], -v[46:47]
	s_delay_alu instid0(VALU_DEP_4) | instskip(NEXT) | instid1(VALU_DEP_4)
	v_add_f64_e64 v[24:25], v[32:33], -v[30:31]
	v_mul_f64_e32 v[26:27], v[20:21], v[20:21]
	s_delay_alu instid0(VALU_DEP_4) | instskip(NEXT) | instid1(VALU_DEP_3)
	v_add_f64_e64 v[18:19], v[18:19], -v[28:29]
	v_add_f64_e64 v[50:51], v[32:33], -v[24:25]
	s_delay_alu instid0(VALU_DEP_3) | instskip(SKIP_1) | instid1(VALU_DEP_4)
	v_fmamk_f64 v[54:55], v[26:27], 0x3eeba404b5e68a13, v[40:41]
	v_add_f64_e64 v[24:25], v[48:49], -v[24:25]
	v_add_f64_e32 v[48:49], v[46:47], v[18:19]
	s_delay_alu instid0(VALU_DEP_3) | instskip(SKIP_1) | instid1(VALU_DEP_2)
	v_fmaak_f64 v[54:55], v[26:27], v[54:55], 0x3f4b2bb069efb384
	v_add_f64_e64 v[28:29], v[30:31], -v[50:51]
	v_fmaak_f64 v[30:31], v[26:27], v[54:55], 0xbf67952daf56de9b
	s_delay_alu instid0(VALU_DEP_1) | instskip(NEXT) | instid1(VALU_DEP_1)
	v_fmaak_f64 v[30:31], v[26:27], v[30:31], 0x3f7d6d43a595c56f
	v_fmaak_f64 v[30:31], v[26:27], v[30:31], 0xbf8c6ea4a57d9582
	s_delay_alu instid0(VALU_DEP_1) | instskip(SKIP_1) | instid1(VALU_DEP_2)
	v_fmaak_f64 v[30:31], v[26:27], v[30:31], 0x3f967e295f08b19f
	v_add_f64_e32 v[24:25], v[24:25], v[28:29]
	v_fmaak_f64 v[28:29], v[26:27], v[30:31], 0xbf9e9ae6fc27006a
	v_add_f64_e64 v[30:31], v[48:49], -v[46:47]
	s_delay_alu instid0(VALU_DEP_2) | instskip(NEXT) | instid1(VALU_DEP_1)
	v_fmaak_f64 v[28:29], v[26:27], v[28:29], 0x3fa2c15b5711927a
	v_fmaak_f64 v[28:29], v[26:27], v[28:29], 0xbfa59976e82d3ff0
	s_delay_alu instid0(VALU_DEP_1) | instskip(NEXT) | instid1(VALU_DEP_1)
	v_fmaak_f64 v[28:29], v[26:27], v[28:29], 0x3fa82d5d6ef28734
	v_fmaak_f64 v[28:29], v[26:27], v[28:29], 0xbfaae5ce6a214619
	v_add_f64_e32 v[24:25], v[48:49], v[24:25]
	v_add_f64_e64 v[48:49], v[48:49], -v[30:31]
	v_add_f64_e64 v[18:19], v[18:19], -v[30:31]
	s_delay_alu instid0(VALU_DEP_4) | instskip(NEXT) | instid1(VALU_DEP_1)
	v_fmaak_f64 v[28:29], v[26:27], v[28:29], 0x3fae1bb48427b883
	v_fmaak_f64 v[28:29], v[26:27], v[28:29], 0xbfb110e48b207f05
	s_delay_alu instid0(VALU_DEP_1) | instskip(NEXT) | instid1(VALU_DEP_1)
	v_fmaak_f64 v[28:29], v[26:27], v[28:29], 0x3fb3b13657b87036
	v_fmaak_f64 v[28:29], v[26:27], v[28:29], 0xbfb745d119378e4f
	s_delay_alu instid0(VALU_DEP_1) | instskip(SKIP_1) | instid1(VALU_DEP_2)
	v_fmaak_f64 v[28:29], v[26:27], v[28:29], 0x3fbc71c717e1913c
	v_add_f64_e32 v[50:51], v[32:33], v[24:25]
	v_fmaak_f64 v[28:29], v[26:27], v[28:29], 0xbfc2492492376b7d
	s_delay_alu instid0(VALU_DEP_1) | instskip(NEXT) | instid1(VALU_DEP_1)
	v_fmaak_f64 v[28:29], v[26:27], v[28:29], 0x3fc99999999952cc
	v_fmaak_f64 v[28:29], v[26:27], v[28:29], 0xbfd5555555555523
	s_delay_alu instid0(VALU_DEP_1) | instskip(SKIP_2) | instid1(VALU_DEP_3)
	v_mul_f64_e32 v[26:27], v[26:27], v[28:29]
	v_add_f64_e64 v[28:29], v[46:47], -v[48:49]
	v_add_f64_e64 v[30:31], v[50:51], -v[32:33]
	v_fmac_f64_e32 v[20:21], v[20:21], v[26:27]
	s_delay_alu instid0(VALU_DEP_3) | instskip(NEXT) | instid1(VALU_DEP_3)
	v_add_f64_e32 v[18:19], v[18:19], v[28:29]
	v_add_f64_e64 v[24:25], v[24:25], -v[30:31]
	s_delay_alu instid0(VALU_DEP_3) | instskip(NEXT) | instid1(VALU_DEP_1)
	v_add_f64_e64 v[26:27], -v[20:21], s[30:31]
	v_dual_add_f64 v[18:19], v[18:19], v[24:25] :: v_dual_cndmask_b32 v21, v21, v27, s2
	s_delay_alu instid0(VALU_DEP_2)
	v_cndmask_b32_e64 v20, v20, v26, s2
	v_cmp_gt_i32_e64 s2, 0, v15
	v_and_b32_e32 v27, 0x54442d18, v1
	v_and_b32_e32 v1, 0x400921fb, v1
	v_add_f64_e32 v[18:19], v[50:51], v[18:19]
	v_add_f64_e64 v[24:25], -v[20:21], s[34:35]
	v_cndmask_b32_e64 v26, 0x54442d18, v62, s2
	s_delay_alu instid0(VALU_DEP_3) | instskip(SKIP_1) | instid1(VALU_DEP_4)
	v_dual_cndmask_b32 v19, v19, v23 :: v_dual_cndmask_b32 v18, v18, v22
	v_cmp_eq_f64_e32 vcc_lo, 0, v[16:17]
	v_cndmask_b32_e64 v20, v20, v24, s2
	v_cndmask_b32_e64 v24, 0x3fe921fb, v63, s2
	s_delay_alu instid0(VALU_DEP_4) | instskip(SKIP_1) | instid1(VALU_DEP_3)
	v_dual_add_f64 v[18:19], 1.0, v[18:19] :: v_dual_cndmask_b32 v21, v21, v25, s2
	v_cmp_nge_f64_e64 s2, 0, v[22:23]
	v_bfi_b32 v24, 0x7fffffff, v24, v17
	s_delay_alu instid0(VALU_DEP_3) | instskip(SKIP_1) | instid1(VALU_DEP_4)
	v_dual_cndmask_b32 v20, v20, v27 :: v_dual_cndmask_b32 v1, v21, v1
	v_cmp_ngt_f64_e32 vcc_lo, 0, v[22:23]
	v_cndmask_b32_e64 v18, 0, v18, s2
	v_cmp_neq_f64_e64 s2, 0, v[22:23]
	v_cndmask_b32_e32 v19, 0x7ff80000, v19, vcc_lo
	s_and_b32 vcc_lo, s5, s3
	v_dual_cndmask_b32 v21, v1, v24 :: v_dual_cndmask_b32 v20, v20, v26
	s_delay_alu instid0(VALU_DEP_2)
	v_cndmask_b32_e64 v19, 0xfff00000, v19, s2
.LBB167_32:                             ;   in Loop: Header=BB167_5 Depth=1
	s_or_b32 exec_lo, exec_lo, s4
.LBB167_33:                             ;   in Loop: Header=BB167_5 Depth=1
	s_and_not1_saveexec_b32 s2, s44
	s_cbranch_execz .LBB167_39
; %bb.34:                               ;   in Loop: Header=BB167_5 Depth=1
	v_cmp_ngt_f64_e64 s3, 0x20000000, |v[14:15]|
	v_cmp_ngt_f64_e64 s4, 0x20000000, |v[16:17]|
                                        ; implicit-def: $vgpr22_vgpr23
	s_or_b32 s3, s3, s4
	s_delay_alu instid0(SALU_CYCLE_1) | instskip(NEXT) | instid1(SALU_CYCLE_1)
	s_and_saveexec_b32 s4, s3
	s_xor_b32 s3, exec_lo, s4
	s_cbranch_execz .LBB167_36
; %bb.35:                               ;   in Loop: Header=BB167_5 Depth=1
	v_mul_f64_e32 v[22:23], v[16:17], v[16:17]
	s_delay_alu instid0(VALU_DEP_1)
	v_fmac_f64_e32 v[22:23], v[14:15], v[14:15]
.LBB167_36:                             ;   in Loop: Header=BB167_5 Depth=1
	s_and_not1_saveexec_b32 s3, s3
	s_cbranch_execz .LBB167_38
; %bb.37:                               ;   in Loop: Header=BB167_5 Depth=1
	v_mul_f64_e32 v[18:19], 4.0, v[16:17]
	v_mul_f64_e32 v[14:15], 4.0, v[14:15]
	s_delay_alu instid0(VALU_DEP_2) | instskip(NEXT) | instid1(VALU_DEP_1)
	v_mul_f64_e32 v[18:19], v[18:19], v[18:19]
	v_fmac_f64_e32 v[18:19], v[14:15], v[14:15]
	s_delay_alu instid0(VALU_DEP_1)
	v_ldexp_f64 v[22:23], v[18:19], -4
.LBB167_38:                             ;   in Loop: Header=BB167_5 Depth=1
	s_or_b32 exec_lo, exec_lo, s3
	s_delay_alu instid0(VALU_DEP_1) | instskip(NEXT) | instid1(VALU_DEP_1)
	v_frexp_mant_f64_e32 v[14:15], v[22:23]
	v_cmp_gt_f64_e32 vcc_lo, s[26:27], v[14:15]
	v_cndmask_b32_e64 v1, 0, 1, vcc_lo
	s_delay_alu instid0(VALU_DEP_1) | instskip(SKIP_1) | instid1(VALU_DEP_2)
	v_ldexp_f64 v[14:15], v[14:15], v1
	v_frexp_exp_i32_f64_e32 v1, v[22:23]
	v_add_f64_e32 v[18:19], 1.0, v[14:15]
	v_add_f64_e32 v[26:27], -1.0, v[14:15]
	s_delay_alu instid0(VALU_DEP_3) | instskip(SKIP_1) | instid1(VALU_DEP_4)
	v_subrev_co_ci_u32_e64 v1, null, 0, v1, vcc_lo
	v_cmp_class_f64_e64 vcc_lo, v[22:23], 0x204
	v_rcp_f64_e32 v[20:21], v[18:19]
	v_add_f64_e32 v[28:29], -1.0, v[18:19]
	s_delay_alu instid0(VALU_DEP_1) | instskip(NEXT) | instid1(TRANS32_DEP_1)
	v_add_f64_e64 v[14:15], v[14:15], -v[28:29]
	v_fma_f64 v[24:25], -v[18:19], v[20:21], 1.0
	s_delay_alu instid0(VALU_DEP_1) | instskip(NEXT) | instid1(VALU_DEP_1)
	v_fmac_f64_e32 v[20:21], v[24:25], v[20:21]
	v_fma_f64 v[24:25], -v[18:19], v[20:21], 1.0
	s_delay_alu instid0(VALU_DEP_1) | instskip(NEXT) | instid1(VALU_DEP_1)
	v_fmac_f64_e32 v[20:21], v[24:25], v[20:21]
	v_mul_f64_e32 v[24:25], v[26:27], v[20:21]
	s_delay_alu instid0(VALU_DEP_1) | instskip(NEXT) | instid1(VALU_DEP_1)
	v_mul_f64_e32 v[30:31], v[18:19], v[24:25]
	v_fma_f64 v[18:19], v[24:25], v[18:19], -v[30:31]
	s_delay_alu instid0(VALU_DEP_1) | instskip(NEXT) | instid1(VALU_DEP_1)
	v_fmac_f64_e32 v[18:19], v[24:25], v[14:15]
	v_add_f64_e32 v[14:15], v[30:31], v[18:19]
	s_delay_alu instid0(VALU_DEP_1) | instskip(SKIP_1) | instid1(VALU_DEP_2)
	v_add_f64_e64 v[28:29], v[26:27], -v[14:15]
	v_add_f64_e64 v[30:31], v[14:15], -v[30:31]
	v_add_f64_e64 v[26:27], v[26:27], -v[28:29]
	s_delay_alu instid0(VALU_DEP_2) | instskip(NEXT) | instid1(VALU_DEP_2)
	v_add_f64_e64 v[18:19], v[30:31], -v[18:19]
	v_add_f64_e64 v[14:15], v[26:27], -v[14:15]
	s_delay_alu instid0(VALU_DEP_1) | instskip(NEXT) | instid1(VALU_DEP_1)
	v_add_f64_e32 v[14:15], v[18:19], v[14:15]
	v_add_f64_e32 v[14:15], v[28:29], v[14:15]
	s_delay_alu instid0(VALU_DEP_1) | instskip(NEXT) | instid1(VALU_DEP_1)
	v_mul_f64_e32 v[14:15], v[20:21], v[14:15]
	v_add_f64_e32 v[18:19], v[24:25], v[14:15]
	s_delay_alu instid0(VALU_DEP_1) | instskip(NEXT) | instid1(VALU_DEP_1)
	v_mul_f64_e32 v[20:21], v[18:19], v[18:19]
	v_fmamk_f64 v[26:27], v[20:21], 0x3fc3ab76bf559e2b, v[38:39]
	v_mul_f64_e32 v[28:29], v[18:19], v[20:21]
	s_delay_alu instid0(VALU_DEP_2) | instskip(NEXT) | instid1(VALU_DEP_1)
	v_fmaak_f64 v[26:27], v[20:21], v[26:27], 0x3fc7474dd7f4df2e
	v_fmaak_f64 v[26:27], v[20:21], v[26:27], 0x3fcc71c016291751
	s_delay_alu instid0(VALU_DEP_1) | instskip(NEXT) | instid1(VALU_DEP_1)
	v_fmaak_f64 v[26:27], v[20:21], v[26:27], 0x3fd249249b27acf1
	v_fmaak_f64 v[26:27], v[20:21], v[26:27], 0x3fd99999998ef7b6
	s_delay_alu instid0(VALU_DEP_1) | instskip(SKIP_2) | instid1(VALU_DEP_3)
	v_fmaak_f64 v[20:21], v[20:21], v[26:27], 0x3fe5555555555780
	v_ldexp_f64 v[26:27], v[18:19], 1
	v_add_f64_e64 v[18:19], v[18:19], -v[24:25]
	v_mul_f64_e32 v[20:21], v[28:29], v[20:21]
	v_cvt_f64_i32_e32 v[28:29], v1
	s_delay_alu instid0(VALU_DEP_3) | instskip(NEXT) | instid1(VALU_DEP_3)
	v_add_f64_e64 v[14:15], v[14:15], -v[18:19]
	v_add_f64_e32 v[24:25], v[26:27], v[20:21]
	s_delay_alu instid0(VALU_DEP_3) | instskip(NEXT) | instid1(VALU_DEP_3)
	v_mul_f64_e32 v[30:31], 0x3fe62e42fefa39ef, v[28:29]
	v_ldexp_f64 v[14:15], v[14:15], 1
	s_delay_alu instid0(VALU_DEP_3) | instskip(NEXT) | instid1(VALU_DEP_3)
	v_add_f64_e64 v[18:19], v[24:25], -v[26:27]
	v_fma_f64 v[26:27], v[28:29], s[28:29], -v[30:31]
	s_delay_alu instid0(VALU_DEP_2) | instskip(NEXT) | instid1(VALU_DEP_2)
	v_add_f64_e64 v[18:19], v[20:21], -v[18:19]
	v_fmac_f64_e32 v[26:27], 0x3c7abc9e3b39803f, v[28:29]
	s_delay_alu instid0(VALU_DEP_2) | instskip(NEXT) | instid1(VALU_DEP_2)
	v_add_f64_e32 v[14:15], v[14:15], v[18:19]
	v_add_f64_e32 v[18:19], v[30:31], v[26:27]
	s_delay_alu instid0(VALU_DEP_2) | instskip(NEXT) | instid1(VALU_DEP_2)
	v_add_f64_e32 v[20:21], v[24:25], v[14:15]
	v_add_f64_e64 v[30:31], v[18:19], -v[30:31]
	s_delay_alu instid0(VALU_DEP_2) | instskip(SKIP_1) | instid1(VALU_DEP_3)
	v_add_f64_e32 v[28:29], v[18:19], v[20:21]
	v_add_f64_e64 v[24:25], v[20:21], -v[24:25]
	v_add_f64_e64 v[26:27], v[26:27], -v[30:31]
	s_delay_alu instid0(VALU_DEP_3) | instskip(NEXT) | instid1(VALU_DEP_3)
	v_add_f64_e64 v[32:33], v[28:29], -v[18:19]
	v_add_f64_e64 v[14:15], v[14:15], -v[24:25]
	s_delay_alu instid0(VALU_DEP_2) | instskip(SKIP_1) | instid1(VALU_DEP_3)
	v_add_f64_e64 v[46:47], v[28:29], -v[32:33]
	v_add_f64_e64 v[20:21], v[20:21], -v[32:33]
	v_add_f64_e32 v[24:25], v[26:27], v[14:15]
	s_delay_alu instid0(VALU_DEP_3) | instskip(NEXT) | instid1(VALU_DEP_1)
	v_add_f64_e64 v[18:19], v[18:19], -v[46:47]
	v_add_f64_e32 v[18:19], v[20:21], v[18:19]
	s_delay_alu instid0(VALU_DEP_3) | instskip(NEXT) | instid1(VALU_DEP_2)
	v_add_f64_e64 v[20:21], v[24:25], -v[26:27]
	v_add_f64_e32 v[18:19], v[24:25], v[18:19]
	s_delay_alu instid0(VALU_DEP_2) | instskip(SKIP_1) | instid1(VALU_DEP_3)
	v_add_f64_e64 v[24:25], v[24:25], -v[20:21]
	v_add_f64_e64 v[14:15], v[14:15], -v[20:21]
	v_add_f64_e32 v[30:31], v[28:29], v[18:19]
	s_delay_alu instid0(VALU_DEP_3) | instskip(NEXT) | instid1(VALU_DEP_2)
	v_add_f64_e64 v[20:21], v[26:27], -v[24:25]
	v_add_f64_e64 v[24:25], v[30:31], -v[28:29]
	s_delay_alu instid0(VALU_DEP_2) | instskip(SKIP_1) | instid1(VALU_DEP_3)
	v_add_f64_e32 v[14:15], v[14:15], v[20:21]
	v_mov_b64_e32 v[20:21], 0x7ff8000000000000
	v_add_f64_e64 v[18:19], v[18:19], -v[24:25]
	s_delay_alu instid0(VALU_DEP_1) | instskip(NEXT) | instid1(VALU_DEP_1)
	v_add_f64_e32 v[14:15], v[14:15], v[18:19]
	v_add_f64_e32 v[14:15], v[30:31], v[14:15]
	s_delay_alu instid0(VALU_DEP_1) | instskip(SKIP_1) | instid1(VALU_DEP_2)
	v_dual_cndmask_b32 v1, v14, v22 :: v_dual_cndmask_b32 v14, v15, v23
	v_cmp_ngt_f64_e32 vcc_lo, 0, v[22:23]
	v_cndmask_b32_e32 v14, 0x7ff80000, v14, vcc_lo
	v_cmp_nge_f64_e32 vcc_lo, 0, v[22:23]
	s_delay_alu instid0(VALU_DEP_4) | instskip(SKIP_1) | instid1(VALU_DEP_4)
	v_cndmask_b32_e32 v18, 0, v1, vcc_lo
	v_cmp_neq_f64_e32 vcc_lo, 0, v[22:23]
	v_cndmask_b32_e32 v19, 0xfff00000, v14, vcc_lo
.LBB167_39:                             ;   in Loop: Header=BB167_5 Depth=1
	s_or_b32 exec_lo, exec_lo, s2
                                        ; implicit-def: $vgpr22_vgpr23
	s_delay_alu instid0(SALU_CYCLE_1)
	s_mov_b32 s2, exec_lo
	s_wait_loadcnt 0x2
	v_cmpx_o_f64_e32 v[6:7], v[8:9]
	s_xor_b32 s44, exec_lo, s2
	s_cbranch_execz .LBB167_67
; %bb.40:                               ;   in Loop: Header=BB167_5 Depth=1
	v_cmp_lt_f64_e64 s2, |v[6:7]|, |v[8:9]|
	v_and_b32_e32 v15, 0x7fffffff, v7
	v_and_b32_e32 v1, 0x7fffffff, v9
	v_mov_b32_e32 v14, v8
                                        ; implicit-def: $vgpr22_vgpr23
	s_mov_b32 s3, exec_lo
	s_delay_alu instid0(VALU_DEP_2) | instskip(NEXT) | instid1(VALU_DEP_1)
	v_dual_cndmask_b32 v27, v1, v15, s2 :: v_dual_cndmask_b32 v26, v8, v6, s2
	v_cmpx_nlt_f64_e32 s[20:21], v[26:27]
	s_xor_b32 s45, exec_lo, s3
	s_cbranch_execz .LBB167_64
; %bb.41:                               ;   in Loop: Header=BB167_5 Depth=1
	v_dual_cndmask_b32 v29, v15, v1, s2 :: v_dual_cndmask_b32 v28, v6, v14, s2
                                        ; implicit-def: $vgpr22_vgpr23
	s_mov_b32 s3, exec_lo
	s_delay_alu instid0(VALU_DEP_1)
	v_cmpx_neq_f64_e32 1.0, v[28:29]
	s_xor_b32 s46, exec_lo, s3
	s_cbranch_execz .LBB167_57
; %bb.42:                               ;   in Loop: Header=BB167_5 Depth=1
	v_max_num_f64_e32 v[14:15], v[26:27], v[26:27]
	v_max_num_f64_e32 v[22:23], v[28:29], v[28:29]
	s_delay_alu instid0(VALU_DEP_1) | instskip(SKIP_1) | instid1(VALU_DEP_2)
	v_min_num_f64_e32 v[24:25], v[22:23], v[14:15]
	v_max_num_f64_e32 v[14:15], v[22:23], v[14:15]
	v_cmp_ngt_f64_e32 vcc_lo, s[22:23], v[24:25]
	s_delay_alu instid0(VALU_DEP_2) | instskip(SKIP_1) | instid1(SALU_CYCLE_1)
	v_cmp_nlt_f64_e64 s3, s[24:25], v[14:15]
                                        ; implicit-def: $vgpr22_vgpr23
	s_and_b32 s3, s3, vcc_lo
	s_and_saveexec_b32 s4, s3
	s_delay_alu instid0(SALU_CYCLE_1)
	s_xor_b32 s47, exec_lo, s4
	s_cbranch_execz .LBB167_54
; %bb.43:                               ;   in Loop: Header=BB167_5 Depth=1
                                        ; implicit-def: $vgpr22_vgpr23
	s_mov_b32 s3, exec_lo
	v_cmpx_le_f64_e32 1.0, v[28:29]
	s_xor_b32 s6, exec_lo, s3
	s_cbranch_execz .LBB167_45
; %bb.44:                               ;   in Loop: Header=BB167_5 Depth=1
	v_add_f64_e32 v[14:15], -1.0, v[28:29]
	v_add_f64_e32 v[22:23], 1.0, v[28:29]
	v_cmp_eq_f64_e64 s3, 0, v[8:9]
	v_cmp_class_f64_e64 s7, v[8:9], 0x204
	v_cmp_class_f64_e64 s8, v[6:7], 0x204
	s_delay_alu instid0(VALU_DEP_4) | instskip(NEXT) | instid1(VALU_DEP_1)
	v_mul_f64_e32 v[14:15], v[14:15], v[22:23]
	v_fmac_f64_e32 v[14:15], v[26:27], v[26:27]
	s_delay_alu instid0(VALU_DEP_1) | instskip(SKIP_2) | instid1(VALU_DEP_3)
	v_add_f64_e32 v[22:23], 1.0, v[14:15]
	v_cmp_nge_f64_e64 s4, -1.0, v[14:15]
	v_cmp_neq_f64_e64 s5, 0x7ff00000, v[14:15]
	v_frexp_mant_f64_e32 v[24:25], v[22:23]
	v_frexp_exp_i32_f64_e32 v1, v[22:23]
	v_add_f64_e32 v[26:27], -1.0, v[22:23]
	s_delay_alu instid0(VALU_DEP_3) | instskip(NEXT) | instid1(VALU_DEP_2)
	v_cmp_gt_f64_e32 vcc_lo, s[26:27], v[24:25]
	v_add_f64_e64 v[24:25], v[26:27], -v[22:23]
	v_add_f64_e64 v[26:27], v[14:15], -v[26:27]
	v_subrev_co_ci_u32_e64 v1, null, 0, v1, vcc_lo
	s_delay_alu instid0(VALU_DEP_3) | instskip(NEXT) | instid1(VALU_DEP_2)
	v_add_f64_e32 v[24:25], 1.0, v[24:25]
	v_sub_nc_u32_e32 v16, 0, v1
	s_delay_alu instid0(VALU_DEP_1) | instskip(NEXT) | instid1(VALU_DEP_3)
	v_ldexp_f64 v[22:23], v[22:23], v16
	v_add_f64_e32 v[24:25], v[26:27], v[24:25]
	s_delay_alu instid0(VALU_DEP_2) | instskip(SKIP_1) | instid1(VALU_DEP_3)
	v_add_f64_e32 v[28:29], 1.0, v[22:23]
	v_add_f64_e32 v[46:47], -1.0, v[22:23]
	v_ldexp_f64 v[24:25], v[24:25], v16
	s_delay_alu instid0(VALU_DEP_3) | instskip(NEXT) | instid1(VALU_DEP_3)
	v_add_f64_e32 v[26:27], -1.0, v[28:29]
	v_add_f64_e32 v[48:49], 1.0, v[46:47]
	s_delay_alu instid0(VALU_DEP_2) | instskip(NEXT) | instid1(VALU_DEP_2)
	v_add_f64_e64 v[26:27], v[22:23], -v[26:27]
	v_add_f64_e64 v[22:23], v[22:23], -v[48:49]
	s_delay_alu instid0(VALU_DEP_2) | instskip(NEXT) | instid1(VALU_DEP_2)
	v_add_f64_e32 v[26:27], v[24:25], v[26:27]
	v_add_f64_e32 v[22:23], v[24:25], v[22:23]
	s_delay_alu instid0(VALU_DEP_2) | instskip(NEXT) | instid1(VALU_DEP_2)
	v_add_f64_e32 v[30:31], v[28:29], v[26:27]
	v_add_f64_e32 v[48:49], v[46:47], v[22:23]
	s_delay_alu instid0(VALU_DEP_2) | instskip(SKIP_1) | instid1(VALU_DEP_2)
	v_rcp_f64_e32 v[32:33], v[30:31]
	v_add_f64_e64 v[28:29], v[30:31], -v[28:29]
	v_add_f64_e64 v[46:47], v[48:49], -v[46:47]
	s_delay_alu instid0(VALU_DEP_2) | instskip(NEXT) | instid1(VALU_DEP_2)
	v_add_f64_e64 v[26:27], v[26:27], -v[28:29]
	v_add_f64_e64 v[22:23], v[22:23], -v[46:47]
	s_delay_alu instid0(TRANS32_DEP_1) | instskip(NEXT) | instid1(VALU_DEP_1)
	v_fma_f64 v[50:51], -v[30:31], v[32:33], 1.0
	v_fmac_f64_e32 v[32:33], v[50:51], v[32:33]
	s_delay_alu instid0(VALU_DEP_1) | instskip(NEXT) | instid1(VALU_DEP_1)
	v_fma_f64 v[24:25], -v[30:31], v[32:33], 1.0
	v_fmac_f64_e32 v[32:33], v[24:25], v[32:33]
	s_delay_alu instid0(VALU_DEP_1) | instskip(NEXT) | instid1(VALU_DEP_1)
	v_mul_f64_e32 v[24:25], v[48:49], v[32:33]
	v_mul_f64_e32 v[50:51], v[30:31], v[24:25]
	s_delay_alu instid0(VALU_DEP_1) | instskip(NEXT) | instid1(VALU_DEP_1)
	v_fma_f64 v[28:29], v[24:25], v[30:31], -v[50:51]
	v_fmac_f64_e32 v[28:29], v[24:25], v[26:27]
	s_delay_alu instid0(VALU_DEP_1) | instskip(NEXT) | instid1(VALU_DEP_1)
	v_add_f64_e32 v[52:53], v[50:51], v[28:29]
	v_add_f64_e64 v[54:55], v[48:49], -v[52:53]
	v_add_f64_e64 v[46:47], v[52:53], -v[50:51]
	s_delay_alu instid0(VALU_DEP_2) | instskip(NEXT) | instid1(VALU_DEP_2)
	v_add_f64_e64 v[48:49], v[48:49], -v[54:55]
	v_add_f64_e64 v[28:29], v[46:47], -v[28:29]
	s_delay_alu instid0(VALU_DEP_2) | instskip(NEXT) | instid1(VALU_DEP_1)
	v_add_f64_e64 v[48:49], v[48:49], -v[52:53]
	v_add_f64_e32 v[22:23], v[22:23], v[48:49]
	s_delay_alu instid0(VALU_DEP_1) | instskip(NEXT) | instid1(VALU_DEP_1)
	v_add_f64_e32 v[22:23], v[28:29], v[22:23]
	v_add_f64_e32 v[28:29], v[54:55], v[22:23]
	s_delay_alu instid0(VALU_DEP_1) | instskip(SKIP_1) | instid1(VALU_DEP_2)
	v_mul_f64_e32 v[46:47], v[32:33], v[28:29]
	v_add_f64_e64 v[52:53], v[54:55], -v[28:29]
	v_mul_f64_e32 v[48:49], v[30:31], v[46:47]
	s_delay_alu instid0(VALU_DEP_2) | instskip(NEXT) | instid1(VALU_DEP_2)
	v_add_f64_e32 v[22:23], v[22:23], v[52:53]
	v_fma_f64 v[30:31], v[46:47], v[30:31], -v[48:49]
	s_delay_alu instid0(VALU_DEP_1) | instskip(NEXT) | instid1(VALU_DEP_1)
	v_fmac_f64_e32 v[30:31], v[46:47], v[26:27]
	v_add_f64_e32 v[26:27], v[48:49], v[30:31]
	s_delay_alu instid0(VALU_DEP_1) | instskip(SKIP_1) | instid1(VALU_DEP_2)
	v_add_f64_e64 v[50:51], v[28:29], -v[26:27]
	v_add_f64_e64 v[48:49], v[26:27], -v[48:49]
	;; [unrolled: 1-line block ×3, first 2 shown]
	s_delay_alu instid0(VALU_DEP_1) | instskip(NEXT) | instid1(VALU_DEP_3)
	v_add_f64_e64 v[26:27], v[28:29], -v[26:27]
	v_add_f64_e64 v[28:29], v[48:49], -v[30:31]
	v_max_num_f64_e64 v[30:31], |v[6:7]|, |v[6:7]|
	s_delay_alu instid0(VALU_DEP_3) | instskip(SKIP_1) | instid1(VALU_DEP_2)
	v_add_f64_e32 v[22:23], v[22:23], v[26:27]
	v_add_f64_e32 v[26:27], v[24:25], v[46:47]
	;; [unrolled: 1-line block ×3, first 2 shown]
	s_delay_alu instid0(VALU_DEP_2) | instskip(SKIP_1) | instid1(VALU_DEP_3)
	v_add_f64_e64 v[24:25], v[26:27], -v[24:25]
	v_max_num_f64_e64 v[28:29], |v[8:9]|, |v[8:9]|
	v_add_f64_e32 v[22:23], v[50:51], v[22:23]
	s_delay_alu instid0(VALU_DEP_3) | instskip(NEXT) | instid1(VALU_DEP_2)
	v_add_f64_e64 v[24:25], v[46:47], -v[24:25]
	v_mul_f64_e32 v[22:23], v[32:33], v[22:23]
	s_delay_alu instid0(VALU_DEP_1) | instskip(SKIP_2) | instid1(VALU_DEP_3)
	v_add_f64_e32 v[22:23], v[24:25], v[22:23]
	v_max_num_f64_e32 v[24:25], v[30:31], v[28:29]
	v_min_num_f64_e32 v[28:29], v[30:31], v[28:29]
	v_add_f64_e32 v[30:31], v[26:27], v[22:23]
	s_delay_alu instid0(VALU_DEP_2) | instskip(NEXT) | instid1(VALU_DEP_2)
	v_div_scale_f64 v[32:33], null, v[24:25], v[24:25], v[28:29]
	v_mul_f64_e32 v[46:47], v[30:31], v[30:31]
	v_add_f64_e64 v[26:27], v[30:31], -v[26:27]
	s_delay_alu instid0(VALU_DEP_3) | instskip(NEXT) | instid1(VALU_DEP_2)
	v_rcp_f64_e32 v[48:49], v[32:33]
	v_fmamk_f64 v[50:51], v[46:47], 0x3fc3ab76bf559e2b, v[38:39]
	v_mul_f64_e32 v[52:53], v[30:31], v[46:47]
	s_delay_alu instid0(VALU_DEP_3) | instskip(NEXT) | instid1(VALU_DEP_3)
	v_add_f64_e64 v[22:23], v[22:23], -v[26:27]
	v_fmaak_f64 v[50:51], v[46:47], v[50:51], 0x3fc7474dd7f4df2e
	s_delay_alu instid0(TRANS32_DEP_1) | instskip(NEXT) | instid1(VALU_DEP_2)
	v_fma_f64 v[54:55], -v[32:33], v[48:49], 1.0
	v_fmaak_f64 v[50:51], v[46:47], v[50:51], 0x3fcc71c016291751
	s_delay_alu instid0(VALU_DEP_1) | instskip(NEXT) | instid1(VALU_DEP_1)
	v_fmaak_f64 v[50:51], v[46:47], v[50:51], 0x3fd249249b27acf1
	v_fmaak_f64 v[50:51], v[46:47], v[50:51], 0x3fd99999998ef7b6
	v_ldexp_f64 v[22:23], v[22:23], 1
	s_delay_alu instid0(VALU_DEP_2) | instskip(SKIP_2) | instid1(VALU_DEP_3)
	v_fmaak_f64 v[46:47], v[46:47], v[50:51], 0x3fe5555555555780
	v_ldexp_f64 v[50:51], v[30:31], 1
	v_fmac_f64_e32 v[48:49], v[48:49], v[54:55]
	v_mul_f64_e32 v[46:47], v[52:53], v[46:47]
	v_cvt_f64_i32_e32 v[52:53], v1
	v_ashrrev_i32_e32 v1, 31, v7
	s_delay_alu instid0(VALU_DEP_4) | instskip(NEXT) | instid1(VALU_DEP_4)
	v_fma_f64 v[54:55], -v[32:33], v[48:49], 1.0
	v_add_f64_e32 v[30:31], v[50:51], v[46:47]
	s_delay_alu instid0(VALU_DEP_4) | instskip(NEXT) | instid1(VALU_DEP_3)
	v_mul_f64_e32 v[56:57], 0x3fe62e42fefa39ef, v[52:53]
	v_fmac_f64_e32 v[48:49], v[48:49], v[54:55]
	s_delay_alu instid0(VALU_DEP_3) | instskip(SKIP_1) | instid1(VALU_DEP_4)
	v_add_f64_e64 v[26:27], v[30:31], -v[50:51]
	v_div_scale_f64 v[50:51], vcc_lo, v[28:29], v[24:25], v[28:29]
	v_fma_f64 v[54:55], v[52:53], s[28:29], -v[56:57]
	s_delay_alu instid0(VALU_DEP_3) | instskip(NEXT) | instid1(VALU_DEP_3)
	v_add_f64_e64 v[26:27], v[46:47], -v[26:27]
	v_mul_f64_e32 v[46:47], v[50:51], v[48:49]
	s_delay_alu instid0(VALU_DEP_3) | instskip(NEXT) | instid1(VALU_DEP_3)
	v_fmac_f64_e32 v[54:55], 0x3c7abc9e3b39803f, v[52:53]
	v_add_f64_e32 v[22:23], v[22:23], v[26:27]
	s_delay_alu instid0(VALU_DEP_3) | instskip(NEXT) | instid1(VALU_DEP_3)
	v_fma_f64 v[26:27], -v[32:33], v[46:47], v[50:51]
	v_add_f64_e32 v[32:33], v[56:57], v[54:55]
	s_delay_alu instid0(VALU_DEP_3) | instskip(NEXT) | instid1(VALU_DEP_3)
	v_add_f64_e32 v[50:51], v[30:31], v[22:23]
	v_div_fmas_f64 v[26:27], v[26:27], v[48:49], v[46:47]
	v_cmp_gt_i32_e32 vcc_lo, 0, v7
	s_delay_alu instid0(VALU_DEP_4)
	v_add_f64_e64 v[48:49], v[32:33], -v[56:57]
	v_cndmask_b32_e32 v16, 0x54442d18, v62, vcc_lo
	v_add_f64_e32 v[46:47], v[32:33], v[50:51]
	v_div_fixup_f64 v[24:25], v[26:27], v[24:25], v[28:29]
	v_add_f64_e64 v[30:31], v[50:51], -v[30:31]
	v_add_f64_e64 v[48:49], v[54:55], -v[48:49]
	s_delay_alu instid0(VALU_DEP_4) | instskip(NEXT) | instid1(VALU_DEP_4)
	v_add_f64_e64 v[26:27], v[46:47], -v[32:33]
	v_mul_f64_e32 v[28:29], v[24:25], v[24:25]
	s_delay_alu instid0(VALU_DEP_4) | instskip(NEXT) | instid1(VALU_DEP_3)
	v_add_f64_e64 v[22:23], v[22:23], -v[30:31]
	v_add_f64_e64 v[52:53], v[46:47], -v[26:27]
	s_delay_alu instid0(VALU_DEP_3) | instskip(SKIP_1) | instid1(VALU_DEP_4)
	v_fmamk_f64 v[56:57], v[28:29], 0x3eeba404b5e68a13, v[40:41]
	v_add_f64_e64 v[26:27], v[50:51], -v[26:27]
	v_add_f64_e32 v[50:51], v[48:49], v[22:23]
	s_delay_alu instid0(VALU_DEP_3) | instskip(SKIP_1) | instid1(VALU_DEP_2)
	v_fmaak_f64 v[56:57], v[28:29], v[56:57], 0x3f4b2bb069efb384
	v_add_f64_e64 v[30:31], v[32:33], -v[52:53]
	v_fmaak_f64 v[32:33], v[28:29], v[56:57], 0xbf67952daf56de9b
	s_delay_alu instid0(VALU_DEP_1) | instskip(NEXT) | instid1(VALU_DEP_1)
	v_fmaak_f64 v[32:33], v[28:29], v[32:33], 0x3f7d6d43a595c56f
	v_fmaak_f64 v[32:33], v[28:29], v[32:33], 0xbf8c6ea4a57d9582
	s_delay_alu instid0(VALU_DEP_1) | instskip(NEXT) | instid1(VALU_DEP_1)
	v_fmaak_f64 v[32:33], v[28:29], v[32:33], 0x3f967e295f08b19f
	v_fmaak_f64 v[32:33], v[28:29], v[32:33], 0xbf9e9ae6fc27006a
	v_add_f64_e32 v[26:27], v[26:27], v[30:31]
	s_delay_alu instid0(VALU_DEP_2) | instskip(SKIP_1) | instid1(VALU_DEP_2)
	v_fmaak_f64 v[30:31], v[28:29], v[32:33], 0x3fa2c15b5711927a
	v_add_f64_e64 v[32:33], v[50:51], -v[48:49]
	v_fmaak_f64 v[30:31], v[28:29], v[30:31], 0xbfa59976e82d3ff0
	s_delay_alu instid0(VALU_DEP_1) | instskip(NEXT) | instid1(VALU_DEP_1)
	v_fmaak_f64 v[30:31], v[28:29], v[30:31], 0x3fa82d5d6ef28734
	v_fmaak_f64 v[30:31], v[28:29], v[30:31], 0xbfaae5ce6a214619
	s_delay_alu instid0(VALU_DEP_1) | instskip(SKIP_3) | instid1(VALU_DEP_4)
	v_fmaak_f64 v[30:31], v[28:29], v[30:31], 0x3fae1bb48427b883
	v_add_f64_e32 v[26:27], v[50:51], v[26:27]
	v_add_f64_e64 v[50:51], v[50:51], -v[32:33]
	v_add_f64_e64 v[22:23], v[22:23], -v[32:33]
	v_fmaak_f64 v[30:31], v[28:29], v[30:31], 0xbfb110e48b207f05
	s_delay_alu instid0(VALU_DEP_1) | instskip(NEXT) | instid1(VALU_DEP_1)
	v_fmaak_f64 v[30:31], v[28:29], v[30:31], 0x3fb3b13657b87036
	v_fmaak_f64 v[30:31], v[28:29], v[30:31], 0xbfb745d119378e4f
	s_delay_alu instid0(VALU_DEP_1) | instskip(SKIP_1) | instid1(VALU_DEP_2)
	v_fmaak_f64 v[30:31], v[28:29], v[30:31], 0x3fbc71c717e1913c
	v_add_f64_e32 v[52:53], v[46:47], v[26:27]
	v_fmaak_f64 v[30:31], v[28:29], v[30:31], 0xbfc2492492376b7d
	s_delay_alu instid0(VALU_DEP_1) | instskip(NEXT) | instid1(VALU_DEP_1)
	v_fmaak_f64 v[30:31], v[28:29], v[30:31], 0x3fc99999999952cc
	v_fmaak_f64 v[30:31], v[28:29], v[30:31], 0xbfd5555555555523
	s_delay_alu instid0(VALU_DEP_1) | instskip(SKIP_2) | instid1(VALU_DEP_3)
	v_mul_f64_e32 v[28:29], v[28:29], v[30:31]
	v_add_f64_e64 v[30:31], v[48:49], -v[50:51]
	v_add_f64_e64 v[32:33], v[52:53], -v[46:47]
	v_fmac_f64_e32 v[24:25], v[24:25], v[28:29]
	s_delay_alu instid0(VALU_DEP_3) | instskip(NEXT) | instid1(VALU_DEP_3)
	v_add_f64_e32 v[22:23], v[22:23], v[30:31]
	v_add_f64_e64 v[26:27], v[26:27], -v[32:33]
	s_delay_alu instid0(VALU_DEP_3) | instskip(NEXT) | instid1(VALU_DEP_1)
	v_add_f64_e64 v[28:29], -v[24:25], s[30:31]
	v_dual_add_f64 v[22:23], v[22:23], v[26:27] :: v_dual_cndmask_b32 v25, v25, v29, s2
	s_delay_alu instid0(VALU_DEP_2) | instskip(SKIP_2) | instid1(VALU_DEP_3)
	v_cndmask_b32_e64 v24, v24, v28, s2
	v_and_b32_e32 v28, 0x54442d18, v1
	v_and_b32_e32 v1, 0x400921fb, v1
	v_add_f64_e64 v[26:27], -v[24:25], s[34:35]
	v_add_f64_e32 v[22:23], v[52:53], v[22:23]
	s_delay_alu instid0(VALU_DEP_2) | instskip(SKIP_1) | instid1(VALU_DEP_3)
	v_dual_cndmask_b32 v24, v24, v26 :: v_dual_cndmask_b32 v25, v25, v27
	v_cndmask_b32_e32 v26, 0x3fe921fb, v63, vcc_lo
	v_mul_f64_e32 v[22:23], 0.5, v[22:23]
	v_cmp_ngt_f64_e32 vcc_lo, -1.0, v[14:15]
	s_delay_alu instid0(VALU_DEP_4) | instskip(SKIP_2) | instid1(VALU_DEP_4)
	v_dual_cndmask_b32 v24, v24, v28, s3 :: v_dual_cndmask_b32 v1, v25, v1, s3
	s_and_b32 s3, s4, s5
	v_bfi_b32 v26, 0x7fffffff, v26, v9
                                        ; implicit-def: $vgpr28_vgpr29
	v_cndmask_b32_e64 v22, 0, v22, s3
	v_cmp_neq_f64_e64 s3, -1.0, v[14:15]
	v_cndmask_b32_e64 v23, 0x7ff00000, v23, s5
	s_delay_alu instid0(VALU_DEP_1) | instskip(SKIP_2) | instid1(VALU_DEP_2)
	v_cndmask_b32_e32 v23, 0x7ff80000, v23, vcc_lo
	s_and_b32 vcc_lo, s8, s7
	v_dual_cndmask_b32 v25, v1, v26 :: v_dual_cndmask_b32 v24, v24, v16
                                        ; implicit-def: $vgpr26_vgpr27
	v_cndmask_b32_e64 v23, 0xfff00000, v23, s3
.LBB167_45:                             ;   in Loop: Header=BB167_5 Depth=1
	s_and_not1_saveexec_b32 s48, s6
	s_cbranch_execz .LBB167_53
; %bb.46:                               ;   in Loop: Header=BB167_5 Depth=1
	v_mul_f64_e32 v[14:15], v[26:27], v[26:27]
                                        ; implicit-def: $vgpr22_vgpr23
	s_mov_b32 s3, exec_lo
	s_delay_alu instid0(VALU_DEP_1) | instskip(NEXT) | instid1(VALU_DEP_1)
	v_fmac_f64_e32 v[14:15], v[28:29], v[28:29]
	v_cmpx_ge_f64_e32 s[36:37], v[14:15]
	s_xor_b32 s5, exec_lo, s3
	s_cbranch_execz .LBB167_48
; %bb.47:                               ;   in Loop: Header=BB167_5 Depth=1
	v_frexp_mant_f64_e32 v[22:23], v[14:15]
	v_cmp_eq_f64_e64 s3, 0, v[8:9]
	v_cmp_neq_f64_e64 s4, 0, v[14:15]
	v_cmp_class_f64_e64 s6, v[8:9], 0x204
	v_cmp_class_f64_e64 s7, v[6:7], 0x204
	v_cmp_gt_f64_e32 vcc_lo, s[26:27], v[22:23]
	v_cndmask_b32_e64 v1, 0, 1, vcc_lo
	s_delay_alu instid0(VALU_DEP_1) | instskip(SKIP_1) | instid1(VALU_DEP_2)
	v_ldexp_f64 v[22:23], v[22:23], v1
	v_frexp_exp_i32_f64_e32 v1, v[14:15]
	v_add_f64_e32 v[24:25], 1.0, v[22:23]
	v_add_f64_e32 v[30:31], -1.0, v[22:23]
	s_delay_alu instid0(VALU_DEP_3) | instskip(NEXT) | instid1(VALU_DEP_3)
	v_subrev_co_ci_u32_e64 v1, null, 0, v1, vcc_lo
	v_rcp_f64_e32 v[26:27], v[24:25]
	v_add_f64_e32 v[32:33], -1.0, v[24:25]
	s_delay_alu instid0(VALU_DEP_1) | instskip(NEXT) | instid1(TRANS32_DEP_1)
	v_add_f64_e64 v[22:23], v[22:23], -v[32:33]
	v_fma_f64 v[28:29], -v[24:25], v[26:27], 1.0
	s_delay_alu instid0(VALU_DEP_1) | instskip(NEXT) | instid1(VALU_DEP_1)
	v_fmac_f64_e32 v[26:27], v[28:29], v[26:27]
	v_fma_f64 v[28:29], -v[24:25], v[26:27], 1.0
	s_delay_alu instid0(VALU_DEP_1) | instskip(NEXT) | instid1(VALU_DEP_1)
	v_fmac_f64_e32 v[26:27], v[28:29], v[26:27]
	v_mul_f64_e32 v[28:29], v[30:31], v[26:27]
	s_delay_alu instid0(VALU_DEP_1) | instskip(NEXT) | instid1(VALU_DEP_1)
	v_mul_f64_e32 v[46:47], v[24:25], v[28:29]
	v_fma_f64 v[24:25], v[28:29], v[24:25], -v[46:47]
	s_delay_alu instid0(VALU_DEP_1) | instskip(NEXT) | instid1(VALU_DEP_1)
	v_fmac_f64_e32 v[24:25], v[28:29], v[22:23]
	v_add_f64_e32 v[22:23], v[46:47], v[24:25]
	s_delay_alu instid0(VALU_DEP_1) | instskip(SKIP_1) | instid1(VALU_DEP_2)
	v_add_f64_e64 v[32:33], v[30:31], -v[22:23]
	v_add_f64_e64 v[46:47], v[22:23], -v[46:47]
	v_add_f64_e64 v[30:31], v[30:31], -v[32:33]
	s_delay_alu instid0(VALU_DEP_2) | instskip(NEXT) | instid1(VALU_DEP_2)
	v_add_f64_e64 v[24:25], v[46:47], -v[24:25]
	v_add_f64_e64 v[22:23], v[30:31], -v[22:23]
	v_max_num_f64_e64 v[30:31], |v[6:7]|, |v[6:7]|
	s_delay_alu instid0(VALU_DEP_2) | instskip(SKIP_1) | instid1(VALU_DEP_2)
	v_add_f64_e32 v[22:23], v[24:25], v[22:23]
	v_max_num_f64_e64 v[24:25], |v[8:9]|, |v[8:9]|
	v_add_f64_e32 v[22:23], v[32:33], v[22:23]
	s_delay_alu instid0(VALU_DEP_1) | instskip(NEXT) | instid1(VALU_DEP_3)
	v_mul_f64_e32 v[22:23], v[26:27], v[22:23]
	v_max_num_f64_e32 v[26:27], v[30:31], v[24:25]
	v_min_num_f64_e32 v[24:25], v[30:31], v[24:25]
	s_delay_alu instid0(VALU_DEP_3) | instskip(NEXT) | instid1(VALU_DEP_2)
	v_add_f64_e32 v[30:31], v[28:29], v[22:23]
	v_div_scale_f64 v[32:33], null, v[26:27], v[26:27], v[24:25]
	s_delay_alu instid0(VALU_DEP_2) | instskip(SKIP_1) | instid1(VALU_DEP_3)
	v_mul_f64_e32 v[46:47], v[30:31], v[30:31]
	v_add_f64_e64 v[28:29], v[30:31], -v[28:29]
	v_rcp_f64_e32 v[48:49], v[32:33]
	s_delay_alu instid0(VALU_DEP_2) | instskip(SKIP_1) | instid1(VALU_DEP_3)
	v_fmamk_f64 v[50:51], v[46:47], 0x3fc3ab76bf559e2b, v[38:39]
	v_mul_f64_e32 v[52:53], v[30:31], v[46:47]
	v_add_f64_e64 v[22:23], v[22:23], -v[28:29]
	s_delay_alu instid0(VALU_DEP_3) | instskip(NEXT) | instid1(TRANS32_DEP_1)
	v_fmaak_f64 v[50:51], v[46:47], v[50:51], 0x3fc7474dd7f4df2e
	v_fma_f64 v[54:55], -v[32:33], v[48:49], 1.0
	s_delay_alu instid0(VALU_DEP_2) | instskip(NEXT) | instid1(VALU_DEP_1)
	v_fmaak_f64 v[50:51], v[46:47], v[50:51], 0x3fcc71c016291751
	v_fmaak_f64 v[50:51], v[46:47], v[50:51], 0x3fd249249b27acf1
	s_delay_alu instid0(VALU_DEP_1) | instskip(SKIP_1) | instid1(VALU_DEP_2)
	v_fmaak_f64 v[50:51], v[46:47], v[50:51], 0x3fd99999998ef7b6
	v_ldexp_f64 v[22:23], v[22:23], 1
	v_fmaak_f64 v[46:47], v[46:47], v[50:51], 0x3fe5555555555780
	v_ldexp_f64 v[50:51], v[30:31], 1
	v_fmac_f64_e32 v[48:49], v[48:49], v[54:55]
	s_delay_alu instid0(VALU_DEP_3) | instskip(SKIP_2) | instid1(VALU_DEP_4)
	v_mul_f64_e32 v[46:47], v[52:53], v[46:47]
	v_cvt_f64_i32_e32 v[52:53], v1
	v_ashrrev_i32_e32 v1, 31, v7
	v_fma_f64 v[54:55], -v[32:33], v[48:49], 1.0
	s_delay_alu instid0(VALU_DEP_4) | instskip(NEXT) | instid1(VALU_DEP_4)
	v_add_f64_e32 v[30:31], v[50:51], v[46:47]
	v_mul_f64_e32 v[56:57], 0x3fe62e42fefa39ef, v[52:53]
	s_delay_alu instid0(VALU_DEP_3) | instskip(NEXT) | instid1(VALU_DEP_3)
	v_fmac_f64_e32 v[48:49], v[48:49], v[54:55]
	v_add_f64_e64 v[28:29], v[30:31], -v[50:51]
	v_div_scale_f64 v[50:51], vcc_lo, v[24:25], v[26:27], v[24:25]
	s_delay_alu instid0(VALU_DEP_4) | instskip(NEXT) | instid1(VALU_DEP_3)
	v_fma_f64 v[54:55], v[52:53], s[28:29], -v[56:57]
	v_add_f64_e64 v[28:29], v[46:47], -v[28:29]
	s_delay_alu instid0(VALU_DEP_3) | instskip(NEXT) | instid1(VALU_DEP_3)
	v_mul_f64_e32 v[46:47], v[50:51], v[48:49]
	v_fmac_f64_e32 v[54:55], 0x3c7abc9e3b39803f, v[52:53]
	s_delay_alu instid0(VALU_DEP_3) | instskip(NEXT) | instid1(VALU_DEP_3)
	v_add_f64_e32 v[22:23], v[22:23], v[28:29]
	v_fma_f64 v[28:29], -v[32:33], v[46:47], v[50:51]
	s_delay_alu instid0(VALU_DEP_3) | instskip(NEXT) | instid1(VALU_DEP_3)
	v_add_f64_e32 v[32:33], v[56:57], v[54:55]
	v_add_f64_e32 v[50:51], v[30:31], v[22:23]
	s_delay_alu instid0(VALU_DEP_3) | instskip(SKIP_1) | instid1(VALU_DEP_4)
	v_div_fmas_f64 v[28:29], v[28:29], v[48:49], v[46:47]
	v_cmp_gt_i32_e32 vcc_lo, 0, v7
	v_add_f64_e64 v[48:49], v[32:33], -v[56:57]
	v_cndmask_b32_e32 v14, 0x3fe921fb, v63, vcc_lo
	v_cndmask_b32_e32 v16, 0x54442d18, v62, vcc_lo
	s_delay_alu instid0(VALU_DEP_2) | instskip(SKIP_4) | instid1(VALU_DEP_4)
	v_bfi_b32 v14, 0x7fffffff, v14, v9
	v_add_f64_e32 v[46:47], v[32:33], v[50:51]
	v_div_fixup_f64 v[24:25], v[28:29], v[26:27], v[24:25]
	v_add_f64_e64 v[30:31], v[50:51], -v[30:31]
	v_add_f64_e64 v[48:49], v[54:55], -v[48:49]
	;; [unrolled: 1-line block ×3, first 2 shown]
	s_delay_alu instid0(VALU_DEP_4) | instskip(NEXT) | instid1(VALU_DEP_4)
	v_mul_f64_e32 v[28:29], v[24:25], v[24:25]
	v_add_f64_e64 v[22:23], v[22:23], -v[30:31]
	s_delay_alu instid0(VALU_DEP_3) | instskip(NEXT) | instid1(VALU_DEP_3)
	v_add_f64_e64 v[52:53], v[46:47], -v[26:27]
	v_fmamk_f64 v[56:57], v[28:29], 0x3eeba404b5e68a13, v[40:41]
	v_add_f64_e64 v[26:27], v[50:51], -v[26:27]
	s_delay_alu instid0(VALU_DEP_4) | instskip(NEXT) | instid1(VALU_DEP_3)
	v_add_f64_e32 v[50:51], v[48:49], v[22:23]
	v_fmaak_f64 v[56:57], v[28:29], v[56:57], 0x3f4b2bb069efb384
	s_delay_alu instid0(VALU_DEP_1) | instskip(SKIP_1) | instid1(VALU_DEP_2)
	v_fmaak_f64 v[56:57], v[28:29], v[56:57], 0xbf67952daf56de9b
	v_add_f64_e64 v[30:31], v[32:33], -v[52:53]
	v_fmaak_f64 v[32:33], v[28:29], v[56:57], 0x3f7d6d43a595c56f
	s_delay_alu instid0(VALU_DEP_1) | instskip(NEXT) | instid1(VALU_DEP_1)
	v_fmaak_f64 v[32:33], v[28:29], v[32:33], 0xbf8c6ea4a57d9582
	v_fmaak_f64 v[32:33], v[28:29], v[32:33], 0x3f967e295f08b19f
	s_delay_alu instid0(VALU_DEP_1) | instskip(NEXT) | instid1(VALU_DEP_1)
	v_fmaak_f64 v[32:33], v[28:29], v[32:33], 0xbf9e9ae6fc27006a
	v_fmaak_f64 v[32:33], v[28:29], v[32:33], 0x3fa2c15b5711927a
	v_add_f64_e32 v[26:27], v[26:27], v[30:31]
	s_delay_alu instid0(VALU_DEP_2) | instskip(SKIP_1) | instid1(VALU_DEP_2)
	v_fmaak_f64 v[30:31], v[28:29], v[32:33], 0xbfa59976e82d3ff0
	v_add_f64_e64 v[32:33], v[50:51], -v[48:49]
	v_fmaak_f64 v[30:31], v[28:29], v[30:31], 0x3fa82d5d6ef28734
	s_delay_alu instid0(VALU_DEP_1) | instskip(NEXT) | instid1(VALU_DEP_1)
	v_fmaak_f64 v[30:31], v[28:29], v[30:31], 0xbfaae5ce6a214619
	v_fmaak_f64 v[30:31], v[28:29], v[30:31], 0x3fae1bb48427b883
	s_delay_alu instid0(VALU_DEP_1) | instskip(SKIP_3) | instid1(VALU_DEP_4)
	v_fmaak_f64 v[30:31], v[28:29], v[30:31], 0xbfb110e48b207f05
	v_add_f64_e32 v[26:27], v[50:51], v[26:27]
	v_add_f64_e64 v[50:51], v[50:51], -v[32:33]
	v_add_f64_e64 v[22:23], v[22:23], -v[32:33]
	v_fmaak_f64 v[30:31], v[28:29], v[30:31], 0x3fb3b13657b87036
	s_delay_alu instid0(VALU_DEP_1) | instskip(NEXT) | instid1(VALU_DEP_1)
	v_fmaak_f64 v[30:31], v[28:29], v[30:31], 0xbfb745d119378e4f
	v_fmaak_f64 v[30:31], v[28:29], v[30:31], 0x3fbc71c717e1913c
	s_delay_alu instid0(VALU_DEP_1) | instskip(SKIP_1) | instid1(VALU_DEP_2)
	v_fmaak_f64 v[30:31], v[28:29], v[30:31], 0xbfc2492492376b7d
	v_add_f64_e32 v[52:53], v[46:47], v[26:27]
	v_fmaak_f64 v[30:31], v[28:29], v[30:31], 0x3fc99999999952cc
	s_delay_alu instid0(VALU_DEP_1) | instskip(NEXT) | instid1(VALU_DEP_1)
	v_fmaak_f64 v[30:31], v[28:29], v[30:31], 0xbfd5555555555523
	v_mul_f64_e32 v[28:29], v[28:29], v[30:31]
	v_add_f64_e64 v[30:31], v[48:49], -v[50:51]
	v_add_f64_e64 v[32:33], v[52:53], -v[46:47]
	s_delay_alu instid0(VALU_DEP_3) | instskip(NEXT) | instid1(VALU_DEP_3)
	v_fmac_f64_e32 v[24:25], v[24:25], v[28:29]
	v_add_f64_e32 v[22:23], v[22:23], v[30:31]
	s_delay_alu instid0(VALU_DEP_3) | instskip(NEXT) | instid1(VALU_DEP_3)
	v_add_f64_e64 v[26:27], v[26:27], -v[32:33]
	v_add_f64_e64 v[28:29], -v[24:25], s[30:31]
	s_delay_alu instid0(VALU_DEP_1) | instskip(NEXT) | instid1(VALU_DEP_2)
	v_dual_add_f64 v[22:23], v[22:23], v[26:27] :: v_dual_cndmask_b32 v25, v25, v29, s2
	v_cndmask_b32_e64 v24, v24, v28, s2
	v_and_b32_e32 v28, 0x54442d18, v1
	v_and_b32_e32 v1, 0x400921fb, v1
	s_delay_alu instid0(VALU_DEP_3) | instskip(SKIP_1) | instid1(VALU_DEP_2)
	v_add_f64_e64 v[26:27], -v[24:25], s[34:35]
	v_add_f64_e32 v[22:23], v[52:53], v[22:23]
	v_dual_cndmask_b32 v24, v24, v26 :: v_dual_cndmask_b32 v15, v25, v27
	s_and_b32 vcc_lo, s7, s6
                                        ; implicit-def: $vgpr26_vgpr27
	s_delay_alu instid0(VALU_DEP_1) | instskip(NEXT) | instid1(VALU_DEP_1)
	v_dual_cndmask_b32 v24, v24, v28, s3 :: v_dual_cndmask_b32 v1, v15, v1, s3
                                        ; implicit-def: $vgpr28_vgpr29
	v_dual_mul_f64 v[22:23], 0.5, v[22:23] :: v_dual_cndmask_b32 v24, v24, v16, vcc_lo
	s_delay_alu instid0(VALU_DEP_2) | instskip(NEXT) | instid1(VALU_DEP_2)
	v_cndmask_b32_e32 v25, v1, v14, vcc_lo
	v_cndmask_b32_e64 v23, 0xfff00000, v23, s4
	s_delay_alu instid0(VALU_DEP_3)
	v_cndmask_b32_e64 v22, 0, v22, s4
.LBB167_48:                             ;   in Loop: Header=BB167_5 Depth=1
	s_and_not1_saveexec_b32 s49, s5
	s_cbranch_execz .LBB167_52
; %bb.49:                               ;   in Loop: Header=BB167_5 Depth=1
	v_and_b32_e32 v37, 0x7ffffff8, v29
	v_and_b32_e32 v23, 0x7ffffff8, v27
	v_mov_b32_e32 v22, v36
	s_mov_b32 s50, 0
	v_mov_b32_e32 v30, v36
	v_add_f64_e64 v[14:15], v[28:29], -v[36:37]
	s_delay_alu instid0(VALU_DEP_3)
	v_dual_add_f64 v[24:25], v[26:27], -v[22:23] :: v_dual_mov_b32 v28, v36
	v_add_f64_e32 v[32:33], v[36:37], v[36:37]
	v_mul_f64_e32 v[26:27], v[22:23], v[22:23]
	v_add_f64_e32 v[52:53], v[22:23], v[22:23]
	v_and_b32_e32 v29, -8, v15
	v_and_b32_e32 v31, -8, v25
	s_delay_alu instid0(VALU_DEP_2) | instskip(SKIP_1) | instid1(VALU_DEP_3)
	v_add_f64_e64 v[54:55], v[14:15], -v[28:29]
	v_add_f64_e32 v[58:59], v[28:29], v[28:29]
	v_add_f64_e64 v[56:57], v[24:25], -v[30:31]
	v_add_f64_e32 v[60:61], v[30:31], v[30:31]
	v_mul_f64_e32 v[14:15], v[36:37], v[36:37]
	v_mul_f64_e32 v[50:51], v[32:33], v[28:29]
	;; [unrolled: 1-line block ×11, first 2 shown]
.LBB167_50:                             ;   Parent Loop BB167_5 Depth=1
                                        ; =>  This Inner Loop Header: Depth=2
	v_cmp_nlt_f64_e32 vcc_lo, v[14:15], v[26:27]
	v_dual_cndmask_b32 v57, v15, v27 :: v_dual_cndmask_b32 v56, v14, v26
	v_dual_cndmask_b32 v15, v27, v15 :: v_dual_cndmask_b32 v14, v26, v14
	s_delay_alu instid0(VALU_DEP_2) | instskip(NEXT) | instid1(VALU_DEP_1)
	v_cmp_nlt_f64_e64 s3, v[56:57], v[50:51]
	v_dual_cndmask_b32 v59, v57, v51, s3 :: v_dual_cndmask_b32 v58, v56, v50, s3
	v_dual_cndmask_b32 v27, v51, v57, s3 :: v_dual_cndmask_b32 v26, v50, v56, s3
	s_and_b32 s3, vcc_lo, s3
	s_delay_alu instid0(VALU_DEP_2) | instskip(NEXT) | instid1(VALU_DEP_1)
	v_cmp_nlt_f64_e64 s4, v[58:59], v[24:25]
	v_dual_cndmask_b32 v61, v59, v25, s4 :: v_dual_cndmask_b32 v60, v58, v24, s4
	v_dual_cndmask_b32 v51, v25, v59, s4 :: v_dual_cndmask_b32 v50, v24, v58, s4
	s_delay_alu instid0(VALU_DEP_2) | instskip(NEXT) | instid1(VALU_DEP_1)
	v_cmp_nlt_f64_e64 s5, v[60:61], v[48:49]
	v_dual_cndmask_b32 v65, v61, v49, s5 :: v_dual_cndmask_b32 v64, v60, v48, s5
	v_dual_cndmask_b32 v25, v49, v61, s5 :: v_dual_cndmask_b32 v24, v48, v60, s5
	s_and_b32 s4, s4, s5
	s_delay_alu instid0(VALU_DEP_2) | instskip(NEXT) | instid1(VALU_DEP_1)
	v_cmp_nlt_f64_e64 s6, v[64:65], v[22:23]
	v_dual_cndmask_b32 v67, v65, v23, s6 :: v_dual_cndmask_b32 v66, v64, v22, s6
	v_dual_cndmask_b32 v49, v23, v65, s6 :: v_dual_cndmask_b32 v48, v22, v64, s6
	s_delay_alu instid0(VALU_DEP_2) | instskip(NEXT) | instid1(VALU_DEP_1)
	v_cmp_nlt_f64_e64 s7, v[66:67], v[46:47]
	v_dual_cndmask_b32 v69, v67, v47, s7 :: v_dual_cndmask_b32 v68, v66, v46, s7
	s_and_b32 s5, s6, s7
	v_dual_cndmask_b32 v23, v47, v67, s7 :: v_dual_cndmask_b32 v22, v46, v66, s7
	s_delay_alu instid0(VALU_DEP_2) | instskip(NEXT) | instid1(VALU_DEP_1)
	v_cmp_nlt_f64_e64 s8, v[68:69], v[32:33]
	v_dual_cndmask_b32 v71, v69, v33, s8 :: v_dual_cndmask_b32 v70, v68, v32, s8
	s_and_b32 s5, s5, s8
	;; [unrolled: 5-line block ×6, first 2 shown]
	v_dual_cndmask_b32 v53, v55, v77, s12 :: v_dual_cndmask_b32 v52, v54, v76, s12
	s_and_b32 s4, s5, s4
	s_delay_alu instid0(VALU_DEP_2) | instskip(SKIP_1) | instid1(SALU_CYCLE_1)
	v_mov_b64_e32 v[54:55], v[56:57]
	s_and_b32 s3, s4, s3
	s_and_b32 s3, exec_lo, s3
	s_delay_alu instid0(SALU_CYCLE_1) | instskip(NEXT) | instid1(SALU_CYCLE_1)
	s_or_b32 s50, s3, s50
	s_and_not1_b32 exec_lo, exec_lo, s50
	s_cbranch_execnz .LBB167_50
; %bb.51:                               ;   in Loop: Header=BB167_5 Depth=1
	s_or_b32 exec_lo, exec_lo, s50
	v_add_f64_e32 v[14:15], -1.0, v[14:15]
	v_cmp_eq_f64_e64 s3, 0, v[8:9]
	v_cmp_class_f64_e64 s6, v[8:9], 0x204
	v_cmp_class_f64_e64 s7, v[6:7], 0x204
	s_delay_alu instid0(VALU_DEP_4) | instskip(NEXT) | instid1(VALU_DEP_1)
	v_add_f64_e32 v[14:15], v[14:15], v[26:27]
	v_add_f64_e32 v[14:15], v[14:15], v[50:51]
	s_delay_alu instid0(VALU_DEP_1) | instskip(NEXT) | instid1(VALU_DEP_1)
	v_add_f64_e32 v[14:15], v[14:15], v[24:25]
	v_add_f64_e32 v[14:15], v[14:15], v[48:49]
	s_delay_alu instid0(VALU_DEP_1) | instskip(NEXT) | instid1(VALU_DEP_1)
	;; [unrolled: 3-line block ×5, first 2 shown]
	v_add_f64_e32 v[14:15], v[56:57], v[14:15]
	v_add_f64_e32 v[22:23], 1.0, v[14:15]
	v_cmp_nge_f64_e64 s4, -1.0, v[14:15]
	v_cmp_neq_f64_e64 s5, 0x7ff00000, v[14:15]
	s_delay_alu instid0(VALU_DEP_3) | instskip(SKIP_2) | instid1(VALU_DEP_3)
	v_frexp_mant_f64_e32 v[24:25], v[22:23]
	v_frexp_exp_i32_f64_e32 v1, v[22:23]
	v_add_f64_e32 v[26:27], -1.0, v[22:23]
	v_cmp_gt_f64_e32 vcc_lo, s[26:27], v[24:25]
	s_delay_alu instid0(VALU_DEP_2) | instskip(SKIP_2) | instid1(VALU_DEP_3)
	v_add_f64_e64 v[24:25], v[26:27], -v[22:23]
	v_add_f64_e64 v[26:27], v[14:15], -v[26:27]
	v_subrev_co_ci_u32_e64 v1, null, 0, v1, vcc_lo
	v_add_f64_e32 v[24:25], 1.0, v[24:25]
	s_delay_alu instid0(VALU_DEP_2) | instskip(NEXT) | instid1(VALU_DEP_1)
	v_sub_nc_u32_e32 v16, 0, v1
	v_ldexp_f64 v[22:23], v[22:23], v16
	s_delay_alu instid0(VALU_DEP_3) | instskip(NEXT) | instid1(VALU_DEP_2)
	v_add_f64_e32 v[24:25], v[26:27], v[24:25]
	v_add_f64_e32 v[28:29], 1.0, v[22:23]
	v_add_f64_e32 v[46:47], -1.0, v[22:23]
	s_delay_alu instid0(VALU_DEP_3) | instskip(NEXT) | instid1(VALU_DEP_3)
	v_ldexp_f64 v[24:25], v[24:25], v16
	v_add_f64_e32 v[26:27], -1.0, v[28:29]
	s_delay_alu instid0(VALU_DEP_3) | instskip(NEXT) | instid1(VALU_DEP_2)
	v_add_f64_e32 v[48:49], 1.0, v[46:47]
	v_add_f64_e64 v[26:27], v[22:23], -v[26:27]
	s_delay_alu instid0(VALU_DEP_2) | instskip(NEXT) | instid1(VALU_DEP_2)
	v_add_f64_e64 v[22:23], v[22:23], -v[48:49]
	v_add_f64_e32 v[26:27], v[24:25], v[26:27]
	s_delay_alu instid0(VALU_DEP_2) | instskip(NEXT) | instid1(VALU_DEP_2)
	v_add_f64_e32 v[22:23], v[24:25], v[22:23]
	v_add_f64_e32 v[30:31], v[28:29], v[26:27]
	s_delay_alu instid0(VALU_DEP_2) | instskip(NEXT) | instid1(VALU_DEP_2)
	v_add_f64_e32 v[48:49], v[46:47], v[22:23]
	v_rcp_f64_e32 v[32:33], v[30:31]
	v_add_f64_e64 v[28:29], v[30:31], -v[28:29]
	s_delay_alu instid0(VALU_DEP_2) | instskip(NEXT) | instid1(VALU_DEP_2)
	v_add_f64_e64 v[46:47], v[48:49], -v[46:47]
	v_add_f64_e64 v[26:27], v[26:27], -v[28:29]
	s_delay_alu instid0(VALU_DEP_2) | instskip(NEXT) | instid1(TRANS32_DEP_1)
	v_add_f64_e64 v[22:23], v[22:23], -v[46:47]
	v_fma_f64 v[50:51], -v[30:31], v[32:33], 1.0
	s_delay_alu instid0(VALU_DEP_1) | instskip(NEXT) | instid1(VALU_DEP_1)
	v_fmac_f64_e32 v[32:33], v[50:51], v[32:33]
	v_fma_f64 v[24:25], -v[30:31], v[32:33], 1.0
	s_delay_alu instid0(VALU_DEP_1) | instskip(NEXT) | instid1(VALU_DEP_1)
	v_fmac_f64_e32 v[32:33], v[24:25], v[32:33]
	v_mul_f64_e32 v[24:25], v[48:49], v[32:33]
	s_delay_alu instid0(VALU_DEP_1) | instskip(NEXT) | instid1(VALU_DEP_1)
	v_mul_f64_e32 v[50:51], v[30:31], v[24:25]
	v_fma_f64 v[28:29], v[24:25], v[30:31], -v[50:51]
	s_delay_alu instid0(VALU_DEP_1) | instskip(NEXT) | instid1(VALU_DEP_1)
	v_fmac_f64_e32 v[28:29], v[24:25], v[26:27]
	v_add_f64_e32 v[52:53], v[50:51], v[28:29]
	s_delay_alu instid0(VALU_DEP_1) | instskip(SKIP_1) | instid1(VALU_DEP_2)
	v_add_f64_e64 v[54:55], v[48:49], -v[52:53]
	v_add_f64_e64 v[46:47], v[52:53], -v[50:51]
	;; [unrolled: 1-line block ×3, first 2 shown]
	s_delay_alu instid0(VALU_DEP_2) | instskip(NEXT) | instid1(VALU_DEP_2)
	v_add_f64_e64 v[28:29], v[46:47], -v[28:29]
	v_add_f64_e64 v[48:49], v[48:49], -v[52:53]
	s_delay_alu instid0(VALU_DEP_1) | instskip(NEXT) | instid1(VALU_DEP_1)
	v_add_f64_e32 v[22:23], v[22:23], v[48:49]
	v_add_f64_e32 v[22:23], v[28:29], v[22:23]
	s_delay_alu instid0(VALU_DEP_1) | instskip(NEXT) | instid1(VALU_DEP_1)
	v_add_f64_e32 v[28:29], v[54:55], v[22:23]
	v_mul_f64_e32 v[46:47], v[32:33], v[28:29]
	v_add_f64_e64 v[52:53], v[54:55], -v[28:29]
	s_delay_alu instid0(VALU_DEP_2) | instskip(NEXT) | instid1(VALU_DEP_2)
	v_mul_f64_e32 v[48:49], v[30:31], v[46:47]
	v_add_f64_e32 v[22:23], v[22:23], v[52:53]
	s_delay_alu instid0(VALU_DEP_2) | instskip(NEXT) | instid1(VALU_DEP_1)
	v_fma_f64 v[30:31], v[46:47], v[30:31], -v[48:49]
	v_fmac_f64_e32 v[30:31], v[46:47], v[26:27]
	s_delay_alu instid0(VALU_DEP_1) | instskip(NEXT) | instid1(VALU_DEP_1)
	v_add_f64_e32 v[26:27], v[48:49], v[30:31]
	v_add_f64_e64 v[50:51], v[28:29], -v[26:27]
	v_add_f64_e64 v[48:49], v[26:27], -v[48:49]
	s_delay_alu instid0(VALU_DEP_2) | instskip(NEXT) | instid1(VALU_DEP_1)
	v_add_f64_e64 v[28:29], v[28:29], -v[50:51]
	v_add_f64_e64 v[26:27], v[28:29], -v[26:27]
	s_delay_alu instid0(VALU_DEP_3) | instskip(SKIP_1) | instid1(VALU_DEP_3)
	v_add_f64_e64 v[28:29], v[48:49], -v[30:31]
	v_max_num_f64_e64 v[30:31], |v[6:7]|, |v[6:7]|
	v_add_f64_e32 v[22:23], v[22:23], v[26:27]
	v_add_f64_e32 v[26:27], v[24:25], v[46:47]
	s_delay_alu instid0(VALU_DEP_2) | instskip(NEXT) | instid1(VALU_DEP_2)
	v_add_f64_e32 v[22:23], v[28:29], v[22:23]
	v_add_f64_e64 v[24:25], v[26:27], -v[24:25]
	v_max_num_f64_e64 v[28:29], |v[8:9]|, |v[8:9]|
	s_delay_alu instid0(VALU_DEP_3) | instskip(NEXT) | instid1(VALU_DEP_3)
	v_add_f64_e32 v[22:23], v[50:51], v[22:23]
	v_add_f64_e64 v[24:25], v[46:47], -v[24:25]
	s_delay_alu instid0(VALU_DEP_2) | instskip(NEXT) | instid1(VALU_DEP_1)
	v_mul_f64_e32 v[22:23], v[32:33], v[22:23]
	v_add_f64_e32 v[22:23], v[24:25], v[22:23]
	v_max_num_f64_e32 v[24:25], v[30:31], v[28:29]
	v_min_num_f64_e32 v[28:29], v[30:31], v[28:29]
	s_delay_alu instid0(VALU_DEP_3) | instskip(NEXT) | instid1(VALU_DEP_2)
	v_add_f64_e32 v[30:31], v[26:27], v[22:23]
	v_div_scale_f64 v[32:33], null, v[24:25], v[24:25], v[28:29]
	s_delay_alu instid0(VALU_DEP_2) | instskip(SKIP_1) | instid1(VALU_DEP_3)
	v_mul_f64_e32 v[46:47], v[30:31], v[30:31]
	v_add_f64_e64 v[26:27], v[30:31], -v[26:27]
	v_rcp_f64_e32 v[48:49], v[32:33]
	s_delay_alu instid0(VALU_DEP_2) | instskip(SKIP_1) | instid1(VALU_DEP_3)
	v_fmamk_f64 v[50:51], v[46:47], 0x3fc3ab76bf559e2b, v[38:39]
	v_mul_f64_e32 v[52:53], v[30:31], v[46:47]
	v_add_f64_e64 v[22:23], v[22:23], -v[26:27]
	s_delay_alu instid0(VALU_DEP_3) | instskip(NEXT) | instid1(TRANS32_DEP_1)
	v_fmaak_f64 v[50:51], v[46:47], v[50:51], 0x3fc7474dd7f4df2e
	v_fma_f64 v[54:55], -v[32:33], v[48:49], 1.0
	s_delay_alu instid0(VALU_DEP_2) | instskip(NEXT) | instid1(VALU_DEP_1)
	v_fmaak_f64 v[50:51], v[46:47], v[50:51], 0x3fcc71c016291751
	v_fmaak_f64 v[50:51], v[46:47], v[50:51], 0x3fd249249b27acf1
	s_delay_alu instid0(VALU_DEP_1) | instskip(SKIP_1) | instid1(VALU_DEP_2)
	v_fmaak_f64 v[50:51], v[46:47], v[50:51], 0x3fd99999998ef7b6
	v_ldexp_f64 v[22:23], v[22:23], 1
	v_fmaak_f64 v[46:47], v[46:47], v[50:51], 0x3fe5555555555780
	v_ldexp_f64 v[50:51], v[30:31], 1
	v_fmac_f64_e32 v[48:49], v[48:49], v[54:55]
	s_delay_alu instid0(VALU_DEP_3) | instskip(SKIP_2) | instid1(VALU_DEP_4)
	v_mul_f64_e32 v[46:47], v[52:53], v[46:47]
	v_cvt_f64_i32_e32 v[52:53], v1
	v_ashrrev_i32_e32 v1, 31, v7
	v_fma_f64 v[54:55], -v[32:33], v[48:49], 1.0
	s_delay_alu instid0(VALU_DEP_4) | instskip(NEXT) | instid1(VALU_DEP_4)
	v_add_f64_e32 v[30:31], v[50:51], v[46:47]
	v_mul_f64_e32 v[56:57], 0x3fe62e42fefa39ef, v[52:53]
	s_delay_alu instid0(VALU_DEP_3) | instskip(NEXT) | instid1(VALU_DEP_3)
	v_fmac_f64_e32 v[48:49], v[48:49], v[54:55]
	v_add_f64_e64 v[26:27], v[30:31], -v[50:51]
	v_div_scale_f64 v[50:51], vcc_lo, v[28:29], v[24:25], v[28:29]
	s_delay_alu instid0(VALU_DEP_4) | instskip(NEXT) | instid1(VALU_DEP_3)
	v_fma_f64 v[54:55], v[52:53], s[28:29], -v[56:57]
	v_add_f64_e64 v[26:27], v[46:47], -v[26:27]
	s_delay_alu instid0(VALU_DEP_3) | instskip(NEXT) | instid1(VALU_DEP_3)
	v_mul_f64_e32 v[46:47], v[50:51], v[48:49]
	v_fmac_f64_e32 v[54:55], 0x3c7abc9e3b39803f, v[52:53]
	s_delay_alu instid0(VALU_DEP_3) | instskip(NEXT) | instid1(VALU_DEP_3)
	v_add_f64_e32 v[22:23], v[22:23], v[26:27]
	v_fma_f64 v[26:27], -v[32:33], v[46:47], v[50:51]
	s_delay_alu instid0(VALU_DEP_3) | instskip(NEXT) | instid1(VALU_DEP_3)
	v_add_f64_e32 v[32:33], v[56:57], v[54:55]
	v_add_f64_e32 v[50:51], v[30:31], v[22:23]
	s_delay_alu instid0(VALU_DEP_3) | instskip(SKIP_1) | instid1(VALU_DEP_4)
	v_div_fmas_f64 v[26:27], v[26:27], v[48:49], v[46:47]
	v_cmp_gt_i32_e32 vcc_lo, 0, v7
	v_add_f64_e64 v[48:49], v[32:33], -v[56:57]
	v_cndmask_b32_e32 v16, 0x54442d18, v62, vcc_lo
	v_add_f64_e32 v[46:47], v[32:33], v[50:51]
	v_div_fixup_f64 v[24:25], v[26:27], v[24:25], v[28:29]
	v_add_f64_e64 v[30:31], v[50:51], -v[30:31]
	v_add_f64_e64 v[48:49], v[54:55], -v[48:49]
	s_delay_alu instid0(VALU_DEP_4) | instskip(NEXT) | instid1(VALU_DEP_4)
	v_add_f64_e64 v[26:27], v[46:47], -v[32:33]
	v_mul_f64_e32 v[28:29], v[24:25], v[24:25]
	s_delay_alu instid0(VALU_DEP_4) | instskip(NEXT) | instid1(VALU_DEP_3)
	v_add_f64_e64 v[22:23], v[22:23], -v[30:31]
	v_add_f64_e64 v[52:53], v[46:47], -v[26:27]
	s_delay_alu instid0(VALU_DEP_3) | instskip(SKIP_1) | instid1(VALU_DEP_4)
	v_fmamk_f64 v[56:57], v[28:29], 0x3eeba404b5e68a13, v[40:41]
	v_add_f64_e64 v[26:27], v[50:51], -v[26:27]
	v_add_f64_e32 v[50:51], v[48:49], v[22:23]
	s_delay_alu instid0(VALU_DEP_3) | instskip(SKIP_1) | instid1(VALU_DEP_2)
	v_fmaak_f64 v[56:57], v[28:29], v[56:57], 0x3f4b2bb069efb384
	v_add_f64_e64 v[30:31], v[32:33], -v[52:53]
	v_fmaak_f64 v[32:33], v[28:29], v[56:57], 0xbf67952daf56de9b
	s_delay_alu instid0(VALU_DEP_1) | instskip(NEXT) | instid1(VALU_DEP_1)
	v_fmaak_f64 v[32:33], v[28:29], v[32:33], 0x3f7d6d43a595c56f
	v_fmaak_f64 v[32:33], v[28:29], v[32:33], 0xbf8c6ea4a57d9582
	s_delay_alu instid0(VALU_DEP_1) | instskip(NEXT) | instid1(VALU_DEP_1)
	v_fmaak_f64 v[32:33], v[28:29], v[32:33], 0x3f967e295f08b19f
	v_fmaak_f64 v[32:33], v[28:29], v[32:33], 0xbf9e9ae6fc27006a
	v_add_f64_e32 v[26:27], v[26:27], v[30:31]
	s_delay_alu instid0(VALU_DEP_2) | instskip(SKIP_1) | instid1(VALU_DEP_2)
	v_fmaak_f64 v[30:31], v[28:29], v[32:33], 0x3fa2c15b5711927a
	v_add_f64_e64 v[32:33], v[50:51], -v[48:49]
	v_fmaak_f64 v[30:31], v[28:29], v[30:31], 0xbfa59976e82d3ff0
	s_delay_alu instid0(VALU_DEP_1) | instskip(NEXT) | instid1(VALU_DEP_1)
	v_fmaak_f64 v[30:31], v[28:29], v[30:31], 0x3fa82d5d6ef28734
	v_fmaak_f64 v[30:31], v[28:29], v[30:31], 0xbfaae5ce6a214619
	s_delay_alu instid0(VALU_DEP_1) | instskip(SKIP_3) | instid1(VALU_DEP_4)
	v_fmaak_f64 v[30:31], v[28:29], v[30:31], 0x3fae1bb48427b883
	v_add_f64_e32 v[26:27], v[50:51], v[26:27]
	v_add_f64_e64 v[50:51], v[50:51], -v[32:33]
	v_add_f64_e64 v[22:23], v[22:23], -v[32:33]
	v_fmaak_f64 v[30:31], v[28:29], v[30:31], 0xbfb110e48b207f05
	s_delay_alu instid0(VALU_DEP_1) | instskip(NEXT) | instid1(VALU_DEP_1)
	v_fmaak_f64 v[30:31], v[28:29], v[30:31], 0x3fb3b13657b87036
	v_fmaak_f64 v[30:31], v[28:29], v[30:31], 0xbfb745d119378e4f
	s_delay_alu instid0(VALU_DEP_1) | instskip(SKIP_1) | instid1(VALU_DEP_2)
	v_fmaak_f64 v[30:31], v[28:29], v[30:31], 0x3fbc71c717e1913c
	v_add_f64_e32 v[52:53], v[46:47], v[26:27]
	v_fmaak_f64 v[30:31], v[28:29], v[30:31], 0xbfc2492492376b7d
	s_delay_alu instid0(VALU_DEP_1) | instskip(NEXT) | instid1(VALU_DEP_1)
	v_fmaak_f64 v[30:31], v[28:29], v[30:31], 0x3fc99999999952cc
	v_fmaak_f64 v[30:31], v[28:29], v[30:31], 0xbfd5555555555523
	s_delay_alu instid0(VALU_DEP_1) | instskip(SKIP_2) | instid1(VALU_DEP_3)
	v_mul_f64_e32 v[28:29], v[28:29], v[30:31]
	v_add_f64_e64 v[30:31], v[48:49], -v[50:51]
	v_add_f64_e64 v[32:33], v[52:53], -v[46:47]
	v_fmac_f64_e32 v[24:25], v[24:25], v[28:29]
	s_delay_alu instid0(VALU_DEP_3) | instskip(NEXT) | instid1(VALU_DEP_3)
	v_add_f64_e32 v[22:23], v[22:23], v[30:31]
	v_add_f64_e64 v[26:27], v[26:27], -v[32:33]
	s_delay_alu instid0(VALU_DEP_3) | instskip(NEXT) | instid1(VALU_DEP_1)
	v_add_f64_e64 v[28:29], -v[24:25], s[30:31]
	v_dual_add_f64 v[22:23], v[22:23], v[26:27] :: v_dual_cndmask_b32 v25, v25, v29, s2
	s_delay_alu instid0(VALU_DEP_2) | instskip(SKIP_2) | instid1(VALU_DEP_3)
	v_cndmask_b32_e64 v24, v24, v28, s2
	v_and_b32_e32 v28, 0x54442d18, v1
	v_and_b32_e32 v1, 0x400921fb, v1
	v_add_f64_e64 v[26:27], -v[24:25], s[34:35]
	v_add_f64_e32 v[22:23], v[52:53], v[22:23]
	s_delay_alu instid0(VALU_DEP_2) | instskip(SKIP_1) | instid1(VALU_DEP_3)
	v_dual_cndmask_b32 v24, v24, v26 :: v_dual_cndmask_b32 v25, v25, v27
	v_cndmask_b32_e32 v26, 0x3fe921fb, v63, vcc_lo
	v_mul_f64_e32 v[22:23], 0.5, v[22:23]
	v_cmp_ngt_f64_e32 vcc_lo, -1.0, v[14:15]
	s_delay_alu instid0(VALU_DEP_4) | instskip(SKIP_2) | instid1(VALU_DEP_4)
	v_dual_cndmask_b32 v24, v24, v28, s3 :: v_dual_cndmask_b32 v1, v25, v1, s3
	s_and_b32 s3, s4, s5
	v_bfi_b32 v26, 0x7fffffff, v26, v9
	v_cndmask_b32_e64 v22, 0, v22, s3
	v_cmp_neq_f64_e64 s3, -1.0, v[14:15]
	v_cndmask_b32_e64 v23, 0x7ff00000, v23, s5
	s_delay_alu instid0(VALU_DEP_1) | instskip(SKIP_2) | instid1(VALU_DEP_2)
	v_cndmask_b32_e32 v23, 0x7ff80000, v23, vcc_lo
	s_and_b32 vcc_lo, s7, s6
	v_dual_cndmask_b32 v25, v1, v26 :: v_dual_cndmask_b32 v24, v24, v16
	v_cndmask_b32_e64 v23, 0xfff00000, v23, s3
.LBB167_52:                             ;   in Loop: Header=BB167_5 Depth=1
	s_or_b32 exec_lo, exec_lo, s49
.LBB167_53:                             ;   in Loop: Header=BB167_5 Depth=1
	s_delay_alu instid0(SALU_CYCLE_1)
	s_or_b32 exec_lo, exec_lo, s48
.LBB167_54:                             ;   in Loop: Header=BB167_5 Depth=1
	s_and_not1_saveexec_b32 s5, s47
	s_cbranch_execz .LBB167_56
; %bb.55:                               ;   in Loop: Header=BB167_5 Depth=1
	v_max_num_f64_e64 v[14:15], |v[8:9]|, |v[8:9]|
	v_max_num_f64_e64 v[22:23], |v[6:7]|, |v[6:7]|
	v_cmp_class_f64_e64 s6, v[6:7], 0x204
	v_cmp_class_f64_e64 s7, v[8:9], 0x204
	v_cmp_eq_f64_e64 s4, 0, v[8:9]
	s_delay_alu instid0(VALU_DEP_4) | instskip(SKIP_2) | instid1(VALU_DEP_2)
	v_max_num_f64_e32 v[24:25], v[22:23], v[14:15]
	v_min_num_f64_e32 v[14:15], v[22:23], v[14:15]
	s_or_b32 s3, s6, s7
	v_frexp_exp_i32_f64_e32 v1, v[24:25]
	s_delay_alu instid0(VALU_DEP_1) | instskip(NEXT) | instid1(VALU_DEP_1)
	v_sub_nc_u32_e32 v16, 0, v1
	v_ldexp_f64 v[26:27], |v[8:9]|, v16
	v_ldexp_f64 v[28:29], |v[6:7]|, v16
	s_delay_alu instid0(VALU_DEP_2) | instskip(NEXT) | instid1(VALU_DEP_1)
	v_mul_f64_e32 v[26:27], v[26:27], v[26:27]
	v_fmac_f64_e32 v[26:27], v[28:29], v[28:29]
	s_delay_alu instid0(VALU_DEP_1) | instskip(SKIP_1) | instid1(TRANS32_DEP_1)
	v_rsq_f64_e32 v[28:29], v[26:27]
	v_cmp_eq_f64_e32 vcc_lo, 0, v[26:27]
	v_mul_f64_e32 v[30:31], v[26:27], v[28:29]
	v_mul_f64_e32 v[28:29], 0.5, v[28:29]
	s_delay_alu instid0(VALU_DEP_1) | instskip(NEXT) | instid1(VALU_DEP_1)
	v_fma_f64 v[32:33], -v[28:29], v[30:31], 0.5
	v_fmac_f64_e32 v[30:31], v[30:31], v[32:33]
	v_fmac_f64_e32 v[28:29], v[28:29], v[32:33]
	s_delay_alu instid0(VALU_DEP_2) | instskip(NEXT) | instid1(VALU_DEP_1)
	v_fma_f64 v[32:33], -v[30:31], v[30:31], v[26:27]
	v_fmac_f64_e32 v[30:31], v[32:33], v[28:29]
	s_delay_alu instid0(VALU_DEP_1) | instskip(NEXT) | instid1(VALU_DEP_1)
	v_dual_cndmask_b32 v27, v31, v27 :: v_dual_cndmask_b32 v26, v30, v26
	v_ldexp_f64 v[26:27], v[26:27], v1
	s_delay_alu instid0(VALU_DEP_1) | instskip(NEXT) | instid1(VALU_DEP_2)
	v_cndmask_b32_e64 v27, v27, 0x7ff00000, s3
	v_cndmask_b32_e64 v26, v26, 0, s3
	s_delay_alu instid0(VALU_DEP_1) | instskip(SKIP_1) | instid1(VALU_DEP_2)
	v_frexp_mant_f64_e32 v[28:29], v[26:27]
	v_cmp_class_f64_e64 s3, v[26:27], 0x204
	v_cmp_gt_f64_e32 vcc_lo, s[26:27], v[28:29]
	v_cndmask_b32_e64 v1, 0, 1, vcc_lo
	s_delay_alu instid0(VALU_DEP_1) | instskip(SKIP_1) | instid1(VALU_DEP_2)
	v_ldexp_f64 v[28:29], v[28:29], v1
	v_frexp_exp_i32_f64_e32 v1, v[26:27]
	v_add_f64_e32 v[30:31], 1.0, v[28:29]
	v_add_f64_e32 v[48:49], -1.0, v[28:29]
	s_delay_alu instid0(VALU_DEP_3) | instskip(SKIP_1) | instid1(VALU_DEP_4)
	v_subrev_co_ci_u32_e64 v1, null, 0, v1, vcc_lo
	v_div_scale_f64 v[56:57], vcc_lo, v[14:15], v[24:25], v[14:15]
	v_rcp_f64_e32 v[32:33], v[30:31]
	v_add_f64_e32 v[50:51], -1.0, v[30:31]
	s_delay_alu instid0(VALU_DEP_1) | instskip(NEXT) | instid1(TRANS32_DEP_1)
	v_add_f64_e64 v[28:29], v[28:29], -v[50:51]
	v_fma_f64 v[46:47], -v[30:31], v[32:33], 1.0
	s_delay_alu instid0(VALU_DEP_1) | instskip(NEXT) | instid1(VALU_DEP_1)
	v_fmac_f64_e32 v[32:33], v[46:47], v[32:33]
	v_fma_f64 v[46:47], -v[30:31], v[32:33], 1.0
	s_delay_alu instid0(VALU_DEP_1) | instskip(NEXT) | instid1(VALU_DEP_1)
	v_fmac_f64_e32 v[32:33], v[46:47], v[32:33]
	v_mul_f64_e32 v[46:47], v[48:49], v[32:33]
	s_delay_alu instid0(VALU_DEP_1) | instskip(NEXT) | instid1(VALU_DEP_1)
	v_mul_f64_e32 v[52:53], v[30:31], v[46:47]
	v_fma_f64 v[30:31], v[46:47], v[30:31], -v[52:53]
	s_delay_alu instid0(VALU_DEP_1) | instskip(NEXT) | instid1(VALU_DEP_1)
	v_fmac_f64_e32 v[30:31], v[46:47], v[28:29]
	v_add_f64_e32 v[28:29], v[52:53], v[30:31]
	s_delay_alu instid0(VALU_DEP_1) | instskip(SKIP_1) | instid1(VALU_DEP_2)
	v_add_f64_e64 v[50:51], v[48:49], -v[28:29]
	v_add_f64_e64 v[52:53], v[28:29], -v[52:53]
	;; [unrolled: 1-line block ×3, first 2 shown]
	s_delay_alu instid0(VALU_DEP_2) | instskip(NEXT) | instid1(VALU_DEP_2)
	v_add_f64_e64 v[30:31], v[52:53], -v[30:31]
	v_add_f64_e64 v[28:29], v[48:49], -v[28:29]
	s_delay_alu instid0(VALU_DEP_1) | instskip(NEXT) | instid1(VALU_DEP_1)
	v_add_f64_e32 v[28:29], v[30:31], v[28:29]
	v_add_f64_e32 v[28:29], v[50:51], v[28:29]
	s_delay_alu instid0(VALU_DEP_1) | instskip(SKIP_1) | instid1(VALU_DEP_2)
	v_mul_f64_e32 v[22:23], v[32:33], v[28:29]
	v_div_scale_f64 v[28:29], null, v[24:25], v[24:25], v[14:15]
	v_add_f64_e32 v[30:31], v[46:47], v[22:23]
	s_delay_alu instid0(VALU_DEP_2) | instskip(NEXT) | instid1(VALU_DEP_1)
	v_rcp_f64_e32 v[32:33], v[28:29]
	v_mul_f64_e32 v[48:49], v[30:31], v[30:31]
	s_delay_alu instid0(TRANS32_DEP_1) | instskip(NEXT) | instid1(VALU_DEP_2)
	v_fma_f64 v[52:53], -v[28:29], v[32:33], 1.0
	v_fmamk_f64 v[50:51], v[48:49], 0x3fc3ab76bf559e2b, v[38:39]
	v_mul_f64_e32 v[54:55], v[30:31], v[48:49]
	s_delay_alu instid0(VALU_DEP_3) | instskip(NEXT) | instid1(VALU_DEP_3)
	v_fmac_f64_e32 v[32:33], v[32:33], v[52:53]
	v_fmaak_f64 v[50:51], v[48:49], v[50:51], 0x3fc7474dd7f4df2e
	s_delay_alu instid0(VALU_DEP_1) | instskip(NEXT) | instid1(VALU_DEP_1)
	v_fmaak_f64 v[50:51], v[48:49], v[50:51], 0x3fcc71c016291751
	v_fmaak_f64 v[50:51], v[48:49], v[50:51], 0x3fd249249b27acf1
	s_delay_alu instid0(VALU_DEP_1) | instskip(NEXT) | instid1(VALU_DEP_1)
	v_fmaak_f64 v[50:51], v[48:49], v[50:51], 0x3fd99999998ef7b6
	v_fmaak_f64 v[48:49], v[48:49], v[50:51], 0x3fe5555555555780
	v_ldexp_f64 v[50:51], v[30:31], 1
	v_add_f64_e64 v[30:31], v[30:31], -v[46:47]
	v_fma_f64 v[52:53], -v[28:29], v[32:33], 1.0
	s_delay_alu instid0(VALU_DEP_4)
	v_mul_f64_e32 v[48:49], v[54:55], v[48:49]
	v_cvt_f64_i32_e32 v[54:55], v1
	v_ashrrev_i32_e32 v1, 31, v7
	v_add_f64_e64 v[22:23], v[22:23], -v[30:31]
	v_fmac_f64_e32 v[32:33], v[32:33], v[52:53]
	v_add_f64_e32 v[46:47], v[50:51], v[48:49]
	v_mul_f64_e32 v[52:53], 0x3fe62e42fefa39ef, v[54:55]
	s_delay_alu instid0(VALU_DEP_4) | instskip(NEXT) | instid1(VALU_DEP_3)
	v_ldexp_f64 v[22:23], v[22:23], 1
	v_add_f64_e64 v[30:31], v[46:47], -v[50:51]
	v_mul_f64_e32 v[50:51], v[56:57], v[32:33]
	s_delay_alu instid0(VALU_DEP_4) | instskip(NEXT) | instid1(VALU_DEP_3)
	v_fma_f64 v[58:59], v[54:55], s[28:29], -v[52:53]
	v_add_f64_e64 v[30:31], v[48:49], -v[30:31]
	s_delay_alu instid0(VALU_DEP_3) | instskip(NEXT) | instid1(VALU_DEP_3)
	v_fma_f64 v[28:29], -v[28:29], v[50:51], v[56:57]
	v_fmac_f64_e32 v[58:59], 0x3c7abc9e3b39803f, v[54:55]
	s_delay_alu instid0(VALU_DEP_3) | instskip(NEXT) | instid1(VALU_DEP_3)
	v_add_f64_e32 v[22:23], v[22:23], v[30:31]
	v_div_fmas_f64 v[28:29], v[28:29], v[32:33], v[50:51]
	s_delay_alu instid0(VALU_DEP_3)
	v_add_f64_e32 v[30:31], v[52:53], v[58:59]
	v_cmp_gt_i32_e32 vcc_lo, 0, v7
	v_cndmask_b32_e32 v16, 0x54442d18, v62, vcc_lo
	v_add_f64_e32 v[32:33], v[46:47], v[22:23]
	v_div_fixup_f64 v[14:15], v[28:29], v[24:25], v[14:15]
	v_add_f64_e64 v[52:53], v[30:31], -v[52:53]
	s_delay_alu instid0(VALU_DEP_3) | instskip(NEXT) | instid1(VALU_DEP_3)
	v_add_f64_e32 v[24:25], v[30:31], v[32:33]
	v_mul_f64_e32 v[28:29], v[14:15], v[14:15]
	v_add_f64_e64 v[46:47], v[32:33], -v[46:47]
	s_delay_alu instid0(VALU_DEP_4) | instskip(NEXT) | instid1(VALU_DEP_4)
	v_add_f64_e64 v[52:53], v[58:59], -v[52:53]
	v_add_f64_e64 v[48:49], v[24:25], -v[30:31]
	s_delay_alu instid0(VALU_DEP_4) | instskip(NEXT) | instid1(VALU_DEP_4)
	v_fmamk_f64 v[50:51], v[28:29], 0x3eeba404b5e68a13, v[40:41]
	v_add_f64_e64 v[22:23], v[22:23], -v[46:47]
	s_delay_alu instid0(VALU_DEP_2) | instskip(NEXT) | instid1(VALU_DEP_1)
	v_fmaak_f64 v[50:51], v[28:29], v[50:51], 0x3f4b2bb069efb384
	v_fmaak_f64 v[50:51], v[28:29], v[50:51], 0xbf67952daf56de9b
	s_delay_alu instid0(VALU_DEP_1) | instskip(NEXT) | instid1(VALU_DEP_1)
	v_fmaak_f64 v[50:51], v[28:29], v[50:51], 0x3f7d6d43a595c56f
	v_fmaak_f64 v[50:51], v[28:29], v[50:51], 0xbf8c6ea4a57d9582
	v_add_f64_e64 v[54:55], v[24:25], -v[48:49]
	v_add_f64_e64 v[32:33], v[32:33], -v[48:49]
	v_add_f64_e32 v[48:49], v[52:53], v[22:23]
	s_delay_alu instid0(VALU_DEP_4) | instskip(NEXT) | instid1(VALU_DEP_1)
	v_fmaak_f64 v[50:51], v[28:29], v[50:51], 0x3f967e295f08b19f
	v_fmaak_f64 v[46:47], v[28:29], v[50:51], 0xbf9e9ae6fc27006a
	s_delay_alu instid0(VALU_DEP_1) | instskip(NEXT) | instid1(VALU_DEP_1)
	v_fmaak_f64 v[46:47], v[28:29], v[46:47], 0x3fa2c15b5711927a
	v_fmaak_f64 v[46:47], v[28:29], v[46:47], 0xbfa59976e82d3ff0
	s_delay_alu instid0(VALU_DEP_1) | instskip(SKIP_1) | instid1(VALU_DEP_2)
	v_fmaak_f64 v[46:47], v[28:29], v[46:47], 0x3fa82d5d6ef28734
	v_add_f64_e64 v[30:31], v[30:31], -v[54:55]
	v_fmaak_f64 v[46:47], v[28:29], v[46:47], 0xbfaae5ce6a214619
	s_delay_alu instid0(VALU_DEP_2) | instskip(NEXT) | instid1(VALU_DEP_2)
	v_add_f64_e32 v[30:31], v[32:33], v[30:31]
	v_fmaak_f64 v[32:33], v[28:29], v[46:47], 0x3fae1bb48427b883
	v_add_f64_e64 v[46:47], v[48:49], -v[52:53]
	s_delay_alu instid0(VALU_DEP_2) | instskip(NEXT) | instid1(VALU_DEP_1)
	v_fmaak_f64 v[32:33], v[28:29], v[32:33], 0xbfb110e48b207f05
	v_fmaak_f64 v[32:33], v[28:29], v[32:33], 0x3fb3b13657b87036
	s_delay_alu instid0(VALU_DEP_1) | instskip(NEXT) | instid1(VALU_DEP_1)
	v_fmaak_f64 v[32:33], v[28:29], v[32:33], 0xbfb745d119378e4f
	v_fmaak_f64 v[32:33], v[28:29], v[32:33], 0x3fbc71c717e1913c
	v_add_f64_e32 v[30:31], v[48:49], v[30:31]
	v_add_f64_e64 v[22:23], v[22:23], -v[46:47]
	s_delay_alu instid0(VALU_DEP_3) | instskip(NEXT) | instid1(VALU_DEP_1)
	v_fmaak_f64 v[32:33], v[28:29], v[32:33], 0xbfc2492492376b7d
	v_fmaak_f64 v[32:33], v[28:29], v[32:33], 0x3fc99999999952cc
	s_delay_alu instid0(VALU_DEP_1) | instskip(NEXT) | instid1(VALU_DEP_1)
	v_fmaak_f64 v[32:33], v[28:29], v[32:33], 0xbfd5555555555523
	v_mul_f64_e32 v[28:29], v[28:29], v[32:33]
	v_add_f64_e64 v[32:33], v[48:49], -v[46:47]
	v_add_f64_e32 v[48:49], v[24:25], v[30:31]
	s_delay_alu instid0(VALU_DEP_3) | instskip(NEXT) | instid1(VALU_DEP_3)
	v_fmac_f64_e32 v[14:15], v[14:15], v[28:29]
	v_add_f64_e64 v[28:29], v[52:53], -v[32:33]
	s_delay_alu instid0(VALU_DEP_3) | instskip(NEXT) | instid1(VALU_DEP_3)
	v_add_f64_e64 v[24:25], v[48:49], -v[24:25]
	v_add_f64_e64 v[32:33], -v[14:15], s[30:31]
	s_delay_alu instid0(VALU_DEP_3) | instskip(SKIP_4) | instid1(VALU_DEP_2)
	v_add_f64_e32 v[22:23], v[22:23], v[28:29]
	v_and_b32_e32 v28, 0x54442d18, v1
	v_and_b32_e32 v1, 0x400921fb, v1
	v_add_f64_e64 v[24:25], v[30:31], -v[24:25]
	v_dual_cndmask_b32 v15, v15, v33, s2 :: v_dual_cndmask_b32 v14, v14, v32, s2
	v_add_f64_e32 v[22:23], v[22:23], v[24:25]
	s_delay_alu instid0(VALU_DEP_2) | instskip(NEXT) | instid1(VALU_DEP_1)
	v_add_f64_e64 v[24:25], -v[14:15], s[34:35]
	v_dual_add_f64 v[22:23], v[48:49], v[22:23] :: v_dual_cndmask_b32 v14, v14, v24, vcc_lo
	v_cndmask_b32_e32 v24, 0x3fe921fb, v63, vcc_lo
	s_delay_alu instid0(VALU_DEP_3) | instskip(SKIP_1) | instid1(VALU_DEP_4)
	v_cndmask_b32_e32 v15, v15, v25, vcc_lo
	v_cmp_ngt_f64_e32 vcc_lo, 0, v[26:27]
	v_cndmask_b32_e64 v14, v14, v28, s4
	s_delay_alu instid0(VALU_DEP_4) | instskip(NEXT) | instid1(VALU_DEP_4)
	v_bfi_b32 v24, 0x7fffffff, v24, v9
	v_dual_cndmask_b32 v1, v15, v1, s4 :: v_dual_cndmask_b32 v22, v22, v26, s3
	v_cndmask_b32_e64 v23, v23, v27, s3
	v_cmp_nge_f64_e64 s3, 0, v[26:27]
	s_delay_alu instid0(VALU_DEP_2) | instskip(SKIP_4) | instid1(VALU_DEP_1)
	v_cndmask_b32_e32 v15, 0x7ff80000, v23, vcc_lo
	s_and_b32 vcc_lo, s6, s7
	v_cndmask_b32_e32 v25, v1, v24, vcc_lo
	v_dual_cndmask_b32 v24, v14, v16, vcc_lo :: v_dual_cndmask_b32 v22, 0, v22, s3
	v_cmp_neq_f64_e64 s3, 0, v[26:27]
	v_cndmask_b32_e64 v23, 0xfff00000, v15, s3
.LBB167_56:                             ;   in Loop: Header=BB167_5 Depth=1
	s_or_b32 exec_lo, exec_lo, s5
                                        ; implicit-def: $vgpr26_vgpr27
.LBB167_57:                             ;   in Loop: Header=BB167_5 Depth=1
	s_and_not1_saveexec_b32 s5, s46
	s_cbranch_execz .LBB167_63
; %bb.58:                               ;   in Loop: Header=BB167_5 Depth=1
                                        ; implicit-def: $vgpr22_vgpr23
	s_mov_b32 s3, exec_lo
	v_cmpx_ngt_f64_e32 s[38:39], v[26:27]
	s_xor_b32 s6, exec_lo, s3
	s_cbranch_execz .LBB167_60
; %bb.59:                               ;   in Loop: Header=BB167_5 Depth=1
	v_mul_f64_e32 v[14:15], v[26:27], v[26:27]
	v_cmp_eq_f64_e64 s3, 0, v[8:9]
	v_cmp_class_f64_e64 s7, v[8:9], 0x204
	v_cmp_class_f64_e64 s8, v[6:7], 0x204
	s_delay_alu instid0(VALU_DEP_4) | instskip(NEXT) | instid1(VALU_DEP_1)
	v_add_f64_e32 v[22:23], 1.0, v[14:15]
	v_frexp_mant_f64_e32 v[24:25], v[22:23]
	v_frexp_exp_i32_f64_e32 v1, v[22:23]
	v_add_f64_e32 v[26:27], -1.0, v[22:23]
	s_delay_alu instid0(VALU_DEP_3) | instskip(NEXT) | instid1(VALU_DEP_2)
	v_cmp_gt_f64_e32 vcc_lo, s[26:27], v[24:25]
	v_add_f64_e64 v[24:25], v[26:27], -v[22:23]
	s_delay_alu instid0(VALU_DEP_4) | instskip(NEXT) | instid1(VALU_DEP_2)
	v_subrev_co_ci_u32_e64 v1, null, 0, v1, vcc_lo
	v_add_f64_e32 v[24:25], 1.0, v[24:25]
	s_delay_alu instid0(VALU_DEP_2) | instskip(SKIP_1) | instid1(VALU_DEP_2)
	v_dual_add_f64 v[26:27], v[14:15], -v[26:27] :: v_dual_sub_nc_u32 v16, 0, v1
	v_cmp_neq_f64_e64 s4, 0x7ff00000, v[14:15]
	v_ldexp_f64 v[22:23], v[22:23], v16
	s_delay_alu instid0(VALU_DEP_3) | instskip(NEXT) | instid1(VALU_DEP_2)
	v_add_f64_e32 v[24:25], v[26:27], v[24:25]
	v_add_f64_e32 v[28:29], 1.0, v[22:23]
	v_add_f64_e32 v[46:47], -1.0, v[22:23]
	s_delay_alu instid0(VALU_DEP_3) | instskip(NEXT) | instid1(VALU_DEP_3)
	v_ldexp_f64 v[24:25], v[24:25], v16
	v_add_f64_e32 v[26:27], -1.0, v[28:29]
	s_delay_alu instid0(VALU_DEP_3) | instskip(NEXT) | instid1(VALU_DEP_2)
	v_add_f64_e32 v[48:49], 1.0, v[46:47]
	v_add_f64_e64 v[26:27], v[22:23], -v[26:27]
	s_delay_alu instid0(VALU_DEP_2) | instskip(NEXT) | instid1(VALU_DEP_2)
	v_add_f64_e64 v[22:23], v[22:23], -v[48:49]
	v_add_f64_e32 v[26:27], v[24:25], v[26:27]
	s_delay_alu instid0(VALU_DEP_2) | instskip(NEXT) | instid1(VALU_DEP_2)
	v_add_f64_e32 v[22:23], v[24:25], v[22:23]
	v_add_f64_e32 v[30:31], v[28:29], v[26:27]
	s_delay_alu instid0(VALU_DEP_2) | instskip(NEXT) | instid1(VALU_DEP_2)
	v_add_f64_e32 v[48:49], v[46:47], v[22:23]
	v_rcp_f64_e32 v[32:33], v[30:31]
	v_add_f64_e64 v[28:29], v[28:29], -v[30:31]
	s_delay_alu instid0(VALU_DEP_2) | instskip(NEXT) | instid1(VALU_DEP_2)
	v_add_f64_e64 v[46:47], v[46:47], -v[48:49]
	v_add_f64_e32 v[26:27], v[26:27], v[28:29]
	s_delay_alu instid0(VALU_DEP_2) | instskip(NEXT) | instid1(TRANS32_DEP_1)
	v_add_f64_e32 v[22:23], v[22:23], v[46:47]
	v_fma_f64 v[50:51], -v[30:31], v[32:33], 1.0
	s_delay_alu instid0(VALU_DEP_1) | instskip(NEXT) | instid1(VALU_DEP_1)
	v_fmac_f64_e32 v[32:33], v[50:51], v[32:33]
	v_fma_f64 v[24:25], -v[30:31], v[32:33], 1.0
	s_delay_alu instid0(VALU_DEP_1) | instskip(NEXT) | instid1(VALU_DEP_1)
	v_fmac_f64_e32 v[32:33], v[24:25], v[32:33]
	v_mul_f64_e32 v[24:25], v[48:49], v[32:33]
	s_delay_alu instid0(VALU_DEP_1) | instskip(NEXT) | instid1(VALU_DEP_1)
	v_mul_f64_e32 v[50:51], v[30:31], v[24:25]
	v_fma_f64 v[28:29], v[24:25], v[30:31], -v[50:51]
	s_delay_alu instid0(VALU_DEP_1) | instskip(NEXT) | instid1(VALU_DEP_1)
	v_fmac_f64_e32 v[28:29], v[24:25], v[26:27]
	v_add_f64_e32 v[52:53], v[50:51], v[28:29]
	s_delay_alu instid0(VALU_DEP_1) | instskip(SKIP_1) | instid1(VALU_DEP_2)
	v_add_f64_e64 v[54:55], v[48:49], -v[52:53]
	v_add_f64_e64 v[46:47], v[52:53], -v[50:51]
	;; [unrolled: 1-line block ×3, first 2 shown]
	s_delay_alu instid0(VALU_DEP_2) | instskip(NEXT) | instid1(VALU_DEP_2)
	v_add_f64_e64 v[28:29], v[46:47], -v[28:29]
	v_add_f64_e64 v[48:49], v[48:49], -v[52:53]
	s_delay_alu instid0(VALU_DEP_1) | instskip(NEXT) | instid1(VALU_DEP_1)
	v_add_f64_e32 v[22:23], v[22:23], v[48:49]
	v_add_f64_e32 v[22:23], v[28:29], v[22:23]
	s_delay_alu instid0(VALU_DEP_1) | instskip(NEXT) | instid1(VALU_DEP_1)
	v_add_f64_e32 v[28:29], v[54:55], v[22:23]
	v_mul_f64_e32 v[46:47], v[32:33], v[28:29]
	v_add_f64_e64 v[52:53], v[54:55], -v[28:29]
	s_delay_alu instid0(VALU_DEP_2) | instskip(NEXT) | instid1(VALU_DEP_2)
	v_mul_f64_e32 v[48:49], v[30:31], v[46:47]
	v_add_f64_e32 v[22:23], v[22:23], v[52:53]
	s_delay_alu instid0(VALU_DEP_2) | instskip(NEXT) | instid1(VALU_DEP_1)
	v_fma_f64 v[30:31], v[46:47], v[30:31], -v[48:49]
	v_fmac_f64_e32 v[30:31], v[46:47], v[26:27]
	s_delay_alu instid0(VALU_DEP_1) | instskip(NEXT) | instid1(VALU_DEP_1)
	v_add_f64_e32 v[26:27], v[48:49], v[30:31]
	v_add_f64_e64 v[50:51], v[28:29], -v[26:27]
	v_add_f64_e64 v[48:49], v[26:27], -v[48:49]
	s_delay_alu instid0(VALU_DEP_2) | instskip(NEXT) | instid1(VALU_DEP_1)
	v_add_f64_e64 v[28:29], v[28:29], -v[50:51]
	v_add_f64_e64 v[26:27], v[28:29], -v[26:27]
	s_delay_alu instid0(VALU_DEP_3) | instskip(SKIP_1) | instid1(VALU_DEP_3)
	v_add_f64_e64 v[28:29], v[48:49], -v[30:31]
	v_max_num_f64_e64 v[30:31], |v[6:7]|, |v[6:7]|
	v_add_f64_e32 v[22:23], v[22:23], v[26:27]
	v_add_f64_e32 v[26:27], v[24:25], v[46:47]
	s_delay_alu instid0(VALU_DEP_2) | instskip(NEXT) | instid1(VALU_DEP_2)
	v_add_f64_e32 v[22:23], v[28:29], v[22:23]
	v_add_f64_e64 v[24:25], v[26:27], -v[24:25]
	v_max_num_f64_e64 v[28:29], |v[8:9]|, |v[8:9]|
	s_delay_alu instid0(VALU_DEP_3) | instskip(NEXT) | instid1(VALU_DEP_3)
	v_add_f64_e32 v[22:23], v[50:51], v[22:23]
	v_add_f64_e64 v[24:25], v[46:47], -v[24:25]
	s_delay_alu instid0(VALU_DEP_2) | instskip(NEXT) | instid1(VALU_DEP_1)
	v_mul_f64_e32 v[22:23], v[32:33], v[22:23]
	v_add_f64_e32 v[22:23], v[24:25], v[22:23]
	v_max_num_f64_e32 v[24:25], v[30:31], v[28:29]
	v_min_num_f64_e32 v[28:29], v[30:31], v[28:29]
	s_delay_alu instid0(VALU_DEP_3) | instskip(NEXT) | instid1(VALU_DEP_2)
	v_add_f64_e32 v[30:31], v[26:27], v[22:23]
	v_div_scale_f64 v[32:33], null, v[24:25], v[24:25], v[28:29]
	s_delay_alu instid0(VALU_DEP_2) | instskip(SKIP_1) | instid1(VALU_DEP_3)
	v_mul_f64_e32 v[46:47], v[30:31], v[30:31]
	v_add_f64_e64 v[26:27], v[30:31], -v[26:27]
	v_rcp_f64_e32 v[48:49], v[32:33]
	s_delay_alu instid0(VALU_DEP_2) | instskip(SKIP_1) | instid1(VALU_DEP_3)
	v_fmamk_f64 v[50:51], v[46:47], 0x3fc3ab76bf559e2b, v[38:39]
	v_mul_f64_e32 v[52:53], v[30:31], v[46:47]
	v_add_f64_e64 v[22:23], v[22:23], -v[26:27]
	s_delay_alu instid0(VALU_DEP_3) | instskip(NEXT) | instid1(TRANS32_DEP_1)
	v_fmaak_f64 v[50:51], v[46:47], v[50:51], 0x3fc7474dd7f4df2e
	v_fma_f64 v[54:55], -v[32:33], v[48:49], 1.0
	s_delay_alu instid0(VALU_DEP_2) | instskip(NEXT) | instid1(VALU_DEP_1)
	v_fmaak_f64 v[50:51], v[46:47], v[50:51], 0x3fcc71c016291751
	v_fmaak_f64 v[50:51], v[46:47], v[50:51], 0x3fd249249b27acf1
	s_delay_alu instid0(VALU_DEP_1) | instskip(SKIP_1) | instid1(VALU_DEP_2)
	v_fmaak_f64 v[50:51], v[46:47], v[50:51], 0x3fd99999998ef7b6
	v_ldexp_f64 v[22:23], v[22:23], 1
	v_fmaak_f64 v[46:47], v[46:47], v[50:51], 0x3fe5555555555780
	v_ldexp_f64 v[50:51], v[30:31], 1
	v_fmac_f64_e32 v[48:49], v[48:49], v[54:55]
	s_delay_alu instid0(VALU_DEP_3) | instskip(SKIP_2) | instid1(VALU_DEP_4)
	v_mul_f64_e32 v[46:47], v[52:53], v[46:47]
	v_cvt_f64_i32_e32 v[52:53], v1
	v_ashrrev_i32_e32 v1, 31, v7
	v_fma_f64 v[54:55], -v[32:33], v[48:49], 1.0
	s_delay_alu instid0(VALU_DEP_4) | instskip(NEXT) | instid1(VALU_DEP_4)
	v_add_f64_e32 v[30:31], v[50:51], v[46:47]
	v_mul_f64_e32 v[56:57], 0x3fe62e42fefa39ef, v[52:53]
	s_delay_alu instid0(VALU_DEP_3) | instskip(NEXT) | instid1(VALU_DEP_3)
	v_fmac_f64_e32 v[48:49], v[48:49], v[54:55]
	v_add_f64_e64 v[26:27], v[30:31], -v[50:51]
	v_div_scale_f64 v[50:51], vcc_lo, v[28:29], v[24:25], v[28:29]
	s_delay_alu instid0(VALU_DEP_4) | instskip(NEXT) | instid1(VALU_DEP_3)
	v_fma_f64 v[54:55], v[52:53], s[28:29], -v[56:57]
	v_add_f64_e64 v[26:27], v[46:47], -v[26:27]
	s_delay_alu instid0(VALU_DEP_3) | instskip(NEXT) | instid1(VALU_DEP_3)
	v_mul_f64_e32 v[46:47], v[50:51], v[48:49]
	v_fmac_f64_e32 v[54:55], 0x3c7abc9e3b39803f, v[52:53]
	s_delay_alu instid0(VALU_DEP_3) | instskip(NEXT) | instid1(VALU_DEP_3)
	v_add_f64_e32 v[22:23], v[22:23], v[26:27]
	v_fma_f64 v[26:27], -v[32:33], v[46:47], v[50:51]
	s_delay_alu instid0(VALU_DEP_3) | instskip(NEXT) | instid1(VALU_DEP_3)
	v_add_f64_e32 v[32:33], v[56:57], v[54:55]
	v_add_f64_e32 v[50:51], v[30:31], v[22:23]
	s_delay_alu instid0(VALU_DEP_3) | instskip(SKIP_1) | instid1(VALU_DEP_4)
	v_div_fmas_f64 v[26:27], v[26:27], v[48:49], v[46:47]
	v_cmp_gt_i32_e32 vcc_lo, 0, v7
	v_add_f64_e64 v[48:49], v[32:33], -v[56:57]
	v_cndmask_b32_e32 v14, 0x3fe921fb, v63, vcc_lo
	v_cndmask_b32_e32 v16, 0x54442d18, v62, vcc_lo
	s_delay_alu instid0(VALU_DEP_2) | instskip(SKIP_4) | instid1(VALU_DEP_4)
	v_bfi_b32 v14, 0x7fffffff, v14, v9
	v_add_f64_e32 v[46:47], v[32:33], v[50:51]
	v_div_fixup_f64 v[24:25], v[26:27], v[24:25], v[28:29]
	v_add_f64_e64 v[30:31], v[50:51], -v[30:31]
	v_add_f64_e64 v[48:49], v[54:55], -v[48:49]
	;; [unrolled: 1-line block ×3, first 2 shown]
	s_delay_alu instid0(VALU_DEP_4) | instskip(NEXT) | instid1(VALU_DEP_4)
	v_mul_f64_e32 v[28:29], v[24:25], v[24:25]
	v_add_f64_e64 v[22:23], v[22:23], -v[30:31]
	s_delay_alu instid0(VALU_DEP_3) | instskip(NEXT) | instid1(VALU_DEP_3)
	v_add_f64_e64 v[52:53], v[46:47], -v[26:27]
	v_fmamk_f64 v[56:57], v[28:29], 0x3eeba404b5e68a13, v[40:41]
	v_add_f64_e64 v[26:27], v[50:51], -v[26:27]
	s_delay_alu instid0(VALU_DEP_4) | instskip(NEXT) | instid1(VALU_DEP_3)
	v_add_f64_e32 v[50:51], v[48:49], v[22:23]
	v_fmaak_f64 v[56:57], v[28:29], v[56:57], 0x3f4b2bb069efb384
	s_delay_alu instid0(VALU_DEP_1) | instskip(SKIP_1) | instid1(VALU_DEP_2)
	v_fmaak_f64 v[56:57], v[28:29], v[56:57], 0xbf67952daf56de9b
	v_add_f64_e64 v[30:31], v[32:33], -v[52:53]
	v_fmaak_f64 v[32:33], v[28:29], v[56:57], 0x3f7d6d43a595c56f
	s_delay_alu instid0(VALU_DEP_1) | instskip(NEXT) | instid1(VALU_DEP_1)
	v_fmaak_f64 v[32:33], v[28:29], v[32:33], 0xbf8c6ea4a57d9582
	v_fmaak_f64 v[32:33], v[28:29], v[32:33], 0x3f967e295f08b19f
	s_delay_alu instid0(VALU_DEP_1) | instskip(NEXT) | instid1(VALU_DEP_1)
	v_fmaak_f64 v[32:33], v[28:29], v[32:33], 0xbf9e9ae6fc27006a
	v_fmaak_f64 v[32:33], v[28:29], v[32:33], 0x3fa2c15b5711927a
	v_add_f64_e32 v[26:27], v[26:27], v[30:31]
	s_delay_alu instid0(VALU_DEP_2) | instskip(SKIP_1) | instid1(VALU_DEP_2)
	v_fmaak_f64 v[30:31], v[28:29], v[32:33], 0xbfa59976e82d3ff0
	v_add_f64_e64 v[32:33], v[50:51], -v[48:49]
	v_fmaak_f64 v[30:31], v[28:29], v[30:31], 0x3fa82d5d6ef28734
	s_delay_alu instid0(VALU_DEP_1) | instskip(NEXT) | instid1(VALU_DEP_1)
	v_fmaak_f64 v[30:31], v[28:29], v[30:31], 0xbfaae5ce6a214619
	v_fmaak_f64 v[30:31], v[28:29], v[30:31], 0x3fae1bb48427b883
	s_delay_alu instid0(VALU_DEP_1) | instskip(SKIP_3) | instid1(VALU_DEP_4)
	v_fmaak_f64 v[30:31], v[28:29], v[30:31], 0xbfb110e48b207f05
	v_add_f64_e32 v[26:27], v[50:51], v[26:27]
	v_add_f64_e64 v[50:51], v[50:51], -v[32:33]
	v_add_f64_e64 v[22:23], v[22:23], -v[32:33]
	v_fmaak_f64 v[30:31], v[28:29], v[30:31], 0x3fb3b13657b87036
	s_delay_alu instid0(VALU_DEP_1) | instskip(NEXT) | instid1(VALU_DEP_1)
	v_fmaak_f64 v[30:31], v[28:29], v[30:31], 0xbfb745d119378e4f
	v_fmaak_f64 v[30:31], v[28:29], v[30:31], 0x3fbc71c717e1913c
	s_delay_alu instid0(VALU_DEP_1) | instskip(SKIP_1) | instid1(VALU_DEP_2)
	v_fmaak_f64 v[30:31], v[28:29], v[30:31], 0xbfc2492492376b7d
	v_add_f64_e32 v[52:53], v[46:47], v[26:27]
	v_fmaak_f64 v[30:31], v[28:29], v[30:31], 0x3fc99999999952cc
	s_delay_alu instid0(VALU_DEP_1) | instskip(NEXT) | instid1(VALU_DEP_1)
	v_fmaak_f64 v[30:31], v[28:29], v[30:31], 0xbfd5555555555523
	v_mul_f64_e32 v[28:29], v[28:29], v[30:31]
	v_add_f64_e64 v[30:31], v[48:49], -v[50:51]
	v_add_f64_e64 v[32:33], v[52:53], -v[46:47]
	s_delay_alu instid0(VALU_DEP_3) | instskip(NEXT) | instid1(VALU_DEP_3)
	v_fmac_f64_e32 v[24:25], v[24:25], v[28:29]
	v_add_f64_e32 v[22:23], v[22:23], v[30:31]
	s_delay_alu instid0(VALU_DEP_3) | instskip(NEXT) | instid1(VALU_DEP_3)
	v_add_f64_e64 v[26:27], v[26:27], -v[32:33]
	v_add_f64_e64 v[28:29], -v[24:25], s[30:31]
	s_delay_alu instid0(VALU_DEP_1) | instskip(NEXT) | instid1(VALU_DEP_2)
	v_dual_add_f64 v[22:23], v[22:23], v[26:27] :: v_dual_cndmask_b32 v25, v25, v29, s2
	v_cndmask_b32_e64 v24, v24, v28, s2
	v_and_b32_e32 v28, 0x54442d18, v1
	v_and_b32_e32 v1, 0x400921fb, v1
	s_delay_alu instid0(VALU_DEP_3) | instskip(SKIP_1) | instid1(VALU_DEP_2)
	v_add_f64_e64 v[26:27], -v[24:25], s[34:35]
	v_add_f64_e32 v[22:23], v[52:53], v[22:23]
	v_dual_cndmask_b32 v24, v24, v26 :: v_dual_cndmask_b32 v15, v25, v27
	s_and_b32 vcc_lo, s8, s7
                                        ; implicit-def: $vgpr26_vgpr27
	s_delay_alu instid0(VALU_DEP_1) | instskip(NEXT) | instid1(VALU_DEP_1)
	v_dual_cndmask_b32 v24, v24, v28, s3 :: v_dual_cndmask_b32 v1, v15, v1, s3
	v_dual_mul_f64 v[22:23], 0.5, v[22:23] :: v_dual_cndmask_b32 v24, v24, v16, vcc_lo
	s_delay_alu instid0(VALU_DEP_2) | instskip(NEXT) | instid1(VALU_DEP_2)
	v_cndmask_b32_e32 v25, v1, v14, vcc_lo
	v_cndmask_b32_e64 v23, 0x7ff00000, v23, s4
	s_delay_alu instid0(VALU_DEP_3)
	v_cndmask_b32_e64 v22, 0, v22, s4
.LBB167_60:                             ;   in Loop: Header=BB167_5 Depth=1
	s_and_not1_saveexec_b32 s4, s6
	s_cbranch_execz .LBB167_62
; %bb.61:                               ;   in Loop: Header=BB167_5 Depth=1
	v_max_num_f64_e64 v[14:15], |v[8:9]|, |v[8:9]|
	v_max_num_f64_e64 v[22:23], |v[6:7]|, |v[6:7]|
	v_cmp_eq_f64_e64 s3, 0, v[8:9]
	v_cmp_class_f64_e64 s6, v[8:9], 0x204
	v_cmp_class_f64_e64 s7, v[6:7], 0x204
	v_ashrrev_i32_e32 v1, 31, v7
	v_max_num_f64_e32 v[24:25], v[22:23], v[14:15]
	v_min_num_f64_e32 v[14:15], v[22:23], v[14:15]
	s_delay_alu instid0(VALU_DEP_1) | instskip(SKIP_1) | instid1(VALU_DEP_2)
	v_div_scale_f64 v[22:23], null, v[24:25], v[24:25], v[14:15]
	v_div_scale_f64 v[32:33], vcc_lo, v[14:15], v[24:25], v[14:15]
	v_rcp_f64_e32 v[28:29], v[22:23]
	v_nop
	s_delay_alu instid0(TRANS32_DEP_1) | instskip(NEXT) | instid1(VALU_DEP_1)
	v_fma_f64 v[30:31], -v[22:23], v[28:29], 1.0
	v_fmac_f64_e32 v[28:29], v[28:29], v[30:31]
	s_delay_alu instid0(VALU_DEP_1) | instskip(NEXT) | instid1(VALU_DEP_1)
	v_fma_f64 v[30:31], -v[22:23], v[28:29], 1.0
	v_fmac_f64_e32 v[28:29], v[28:29], v[30:31]
	s_delay_alu instid0(VALU_DEP_1) | instskip(NEXT) | instid1(VALU_DEP_1)
	v_mul_f64_e32 v[30:31], v[32:33], v[28:29]
	v_fma_f64 v[22:23], -v[22:23], v[30:31], v[32:33]
	s_delay_alu instid0(VALU_DEP_1)
	v_div_fmas_f64 v[22:23], v[22:23], v[28:29], v[30:31]
	v_cmp_gt_i32_e32 vcc_lo, 0, v7
	v_and_b32_e32 v28, 0x54442d18, v1
	v_and_b32_e32 v1, 0x400921fb, v1
	v_cndmask_b32_e32 v16, 0x54442d18, v62, vcc_lo
	v_div_fixup_f64 v[14:15], v[22:23], v[24:25], v[14:15]
	s_delay_alu instid0(VALU_DEP_1) | instskip(NEXT) | instid1(VALU_DEP_1)
	v_mul_f64_e32 v[22:23], v[14:15], v[14:15]
	v_fmamk_f64 v[24:25], v[22:23], 0x3eeba404b5e68a13, v[40:41]
	s_delay_alu instid0(VALU_DEP_1) | instskip(NEXT) | instid1(VALU_DEP_1)
	v_fmaak_f64 v[24:25], v[22:23], v[24:25], 0x3f4b2bb069efb384
	v_fmaak_f64 v[24:25], v[22:23], v[24:25], 0xbf67952daf56de9b
	s_delay_alu instid0(VALU_DEP_1) | instskip(NEXT) | instid1(VALU_DEP_1)
	v_fmaak_f64 v[24:25], v[22:23], v[24:25], 0x3f7d6d43a595c56f
	v_fmaak_f64 v[24:25], v[22:23], v[24:25], 0xbf8c6ea4a57d9582
	;; [unrolled: 3-line block ×9, first 2 shown]
	s_delay_alu instid0(VALU_DEP_1) | instskip(NEXT) | instid1(VALU_DEP_1)
	v_mul_f64_e32 v[22:23], v[22:23], v[24:25]
	v_fmac_f64_e32 v[14:15], v[14:15], v[22:23]
	s_delay_alu instid0(VALU_DEP_1) | instskip(NEXT) | instid1(VALU_DEP_1)
	v_add_f64_e64 v[22:23], -v[14:15], s[30:31]
	v_dual_cndmask_b32 v15, v15, v23, s2 :: v_dual_cndmask_b32 v14, v14, v22, s2
	s_delay_alu instid0(VALU_DEP_1) | instskip(NEXT) | instid1(VALU_DEP_1)
	v_add_f64_e64 v[24:25], -v[14:15], s[34:35]
	v_dual_mul_f64 v[22:23], 0.5, v[26:27] :: v_dual_cndmask_b32 v15, v15, v25, vcc_lo
	s_delay_alu instid0(VALU_DEP_2) | instskip(SKIP_2) | instid1(VALU_DEP_2)
	v_cndmask_b32_e32 v14, v14, v24, vcc_lo
	v_cndmask_b32_e32 v24, 0x3fe921fb, v63, vcc_lo
	s_and_b32 vcc_lo, s7, s6
	v_dual_cndmask_b32 v1, v15, v1, s3 :: v_dual_cndmask_b32 v14, v14, v28, s3
	s_delay_alu instid0(VALU_DEP_2) | instskip(NEXT) | instid1(VALU_DEP_1)
	v_bfi_b32 v24, 0x7fffffff, v24, v9
	v_cndmask_b32_e32 v25, v1, v24, vcc_lo
	s_delay_alu instid0(VALU_DEP_3)
	v_cndmask_b32_e32 v24, v14, v16, vcc_lo
	v_mul_f64_e32 v[22:23], v[26:27], v[22:23]
.LBB167_62:                             ;   in Loop: Header=BB167_5 Depth=1
	s_or_b32 exec_lo, exec_lo, s4
.LBB167_63:                             ;   in Loop: Header=BB167_5 Depth=1
	s_delay_alu instid0(SALU_CYCLE_1)
	s_or_b32 exec_lo, exec_lo, s5
.LBB167_64:                             ;   in Loop: Header=BB167_5 Depth=1
	s_and_not1_saveexec_b32 s4, s45
	s_cbranch_execz .LBB167_66
; %bb.65:                               ;   in Loop: Header=BB167_5 Depth=1
	v_div_scale_f64 v[14:15], null, s[40:41], s[40:41], v[6:7]
	v_div_scale_f64 v[22:23], null, s[40:41], s[40:41], v[8:9]
	v_div_scale_f64 v[32:33], vcc_lo, v[6:7], s[40:41], v[6:7]
	s_delay_alu instid0(VALU_DEP_3) | instskip(NEXT) | instid1(VALU_DEP_2)
	v_rcp_f64_e32 v[24:25], v[14:15]
	v_rcp_f64_e32 v[26:27], v[22:23]
	s_delay_alu instid0(TRANS32_DEP_2) | instskip(NEXT) | instid1(TRANS32_DEP_1)
	v_fma_f64 v[28:29], -v[14:15], v[24:25], 1.0
	v_fma_f64 v[30:31], -v[22:23], v[26:27], 1.0
	s_delay_alu instid0(VALU_DEP_2) | instskip(NEXT) | instid1(VALU_DEP_2)
	v_fmac_f64_e32 v[24:25], v[24:25], v[28:29]
	v_fmac_f64_e32 v[26:27], v[26:27], v[30:31]
	s_delay_alu instid0(VALU_DEP_2) | instskip(NEXT) | instid1(VALU_DEP_2)
	v_fma_f64 v[28:29], -v[14:15], v[24:25], 1.0
	v_fma_f64 v[30:31], -v[22:23], v[26:27], 1.0
	s_delay_alu instid0(VALU_DEP_2) | instskip(SKIP_1) | instid1(VALU_DEP_3)
	v_fmac_f64_e32 v[24:25], v[24:25], v[28:29]
	v_div_scale_f64 v[28:29], s3, v[8:9], s[40:41], v[8:9]
	v_fmac_f64_e32 v[26:27], v[26:27], v[30:31]
	s_delay_alu instid0(VALU_DEP_3) | instskip(NEXT) | instid1(VALU_DEP_2)
	v_mul_f64_e32 v[30:31], v[32:33], v[24:25]
	v_mul_f64_e32 v[46:47], v[28:29], v[26:27]
	s_delay_alu instid0(VALU_DEP_2) | instskip(NEXT) | instid1(VALU_DEP_2)
	v_fma_f64 v[14:15], -v[14:15], v[30:31], v[32:33]
	v_fma_f64 v[22:23], -v[22:23], v[46:47], v[28:29]
	s_delay_alu instid0(VALU_DEP_2) | instskip(SKIP_1) | instid1(VALU_DEP_2)
	v_div_fmas_f64 v[14:15], v[14:15], v[24:25], v[30:31]
	s_mov_b32 vcc_lo, s3
	v_div_fmas_f64 v[22:23], v[22:23], v[26:27], v[46:47]
	s_delay_alu instid0(VALU_DEP_2) | instskip(NEXT) | instid1(VALU_DEP_2)
	v_div_fixup_f64 v[14:15], v[14:15], s[40:41], v[6:7]
	v_div_fixup_f64 v[22:23], v[22:23], s[40:41], v[8:9]
	s_delay_alu instid0(VALU_DEP_2) | instskip(NEXT) | instid1(VALU_DEP_2)
	v_cmp_class_f64_e64 s3, v[14:15], 0x204
	v_max_num_f64_e64 v[24:25], |v[14:15]|, |v[22:23]|
	v_cmp_class_f64_e64 s5, v[22:23], 0x204
	s_delay_alu instid0(VALU_DEP_2) | instskip(SKIP_2) | instid1(VALU_DEP_2)
	v_frexp_exp_i32_f64_e32 v1, v[24:25]
	s_or_b32 s3, s3, s5
	v_cmp_class_f64_e64 s5, v[6:7], 0x204
	v_sub_nc_u32_e32 v16, 0, v1
	s_delay_alu instid0(VALU_DEP_1) | instskip(SKIP_1) | instid1(VALU_DEP_2)
	v_ldexp_f64 v[24:25], |v[22:23]|, v16
	v_ldexp_f64 v[26:27], |v[14:15]|, v16
	v_mul_f64_e32 v[24:25], v[24:25], v[24:25]
	s_delay_alu instid0(VALU_DEP_1) | instskip(NEXT) | instid1(VALU_DEP_1)
	v_fmac_f64_e32 v[24:25], v[26:27], v[26:27]
	v_rsq_f64_e32 v[26:27], v[24:25]
	v_cmp_eq_f64_e32 vcc_lo, 0, v[24:25]
	s_delay_alu instid0(TRANS32_DEP_1) | instskip(SKIP_1) | instid1(VALU_DEP_1)
	v_mul_f64_e32 v[28:29], v[24:25], v[26:27]
	v_mul_f64_e32 v[26:27], 0.5, v[26:27]
	v_fma_f64 v[30:31], -v[26:27], v[28:29], 0.5
	s_delay_alu instid0(VALU_DEP_1) | instskip(SKIP_1) | instid1(VALU_DEP_2)
	v_fmac_f64_e32 v[28:29], v[28:29], v[30:31]
	v_fmac_f64_e32 v[26:27], v[26:27], v[30:31]
	v_fma_f64 v[30:31], -v[28:29], v[28:29], v[24:25]
	s_delay_alu instid0(VALU_DEP_1) | instskip(NEXT) | instid1(VALU_DEP_1)
	v_fmac_f64_e32 v[28:29], v[30:31], v[26:27]
	v_dual_cndmask_b32 v25, v29, v25 :: v_dual_cndmask_b32 v24, v28, v24
	v_cmp_o_f64_e32 vcc_lo, v[14:15], v[22:23]
	s_delay_alu instid0(VALU_DEP_2) | instskip(NEXT) | instid1(VALU_DEP_1)
	v_ldexp_f64 v[24:25], v[24:25], v1
	v_cndmask_b32_e32 v1, 0, v24, vcc_lo
	s_delay_alu instid0(VALU_DEP_2) | instskip(NEXT) | instid1(VALU_DEP_1)
	v_cndmask_b32_e32 v14, 0x7ff80000, v25, vcc_lo
	v_cndmask_b32_e64 v15, v14, 0x7ff00000, s3
	s_delay_alu instid0(VALU_DEP_3) | instskip(SKIP_1) | instid1(VALU_DEP_2)
	v_cndmask_b32_e64 v14, v1, 0, s3
	v_cmp_class_f64_e64 s3, v[8:9], 0x204
	v_frexp_mant_f64_e32 v[22:23], v[14:15]
	s_delay_alu instid0(VALU_DEP_1) | instskip(SKIP_1) | instid1(VALU_DEP_1)
	v_cmp_gt_f64_e32 vcc_lo, s[26:27], v[22:23]
	v_cndmask_b32_e64 v1, 0, 1, vcc_lo
	v_ldexp_f64 v[22:23], v[22:23], v1
	v_frexp_exp_i32_f64_e32 v1, v[14:15]
	s_delay_alu instid0(VALU_DEP_2) | instskip(SKIP_1) | instid1(VALU_DEP_3)
	v_add_f64_e32 v[24:25], 1.0, v[22:23]
	v_add_f64_e32 v[30:31], -1.0, v[22:23]
	v_subrev_co_ci_u32_e64 v1, null, 0, v1, vcc_lo
	s_delay_alu instid0(VALU_DEP_3) | instskip(SKIP_1) | instid1(VALU_DEP_1)
	v_rcp_f64_e32 v[26:27], v[24:25]
	v_add_f64_e32 v[32:33], -1.0, v[24:25]
	v_add_f64_e64 v[22:23], v[22:23], -v[32:33]
	s_delay_alu instid0(TRANS32_DEP_1) | instskip(NEXT) | instid1(VALU_DEP_1)
	v_fma_f64 v[28:29], -v[24:25], v[26:27], 1.0
	v_fmac_f64_e32 v[26:27], v[28:29], v[26:27]
	s_delay_alu instid0(VALU_DEP_1) | instskip(NEXT) | instid1(VALU_DEP_1)
	v_fma_f64 v[28:29], -v[24:25], v[26:27], 1.0
	v_fmac_f64_e32 v[26:27], v[28:29], v[26:27]
	s_delay_alu instid0(VALU_DEP_1) | instskip(NEXT) | instid1(VALU_DEP_1)
	v_mul_f64_e32 v[28:29], v[30:31], v[26:27]
	v_mul_f64_e32 v[46:47], v[24:25], v[28:29]
	s_delay_alu instid0(VALU_DEP_1) | instskip(NEXT) | instid1(VALU_DEP_1)
	v_fma_f64 v[24:25], v[28:29], v[24:25], -v[46:47]
	v_fmac_f64_e32 v[24:25], v[28:29], v[22:23]
	s_delay_alu instid0(VALU_DEP_1) | instskip(NEXT) | instid1(VALU_DEP_1)
	v_add_f64_e32 v[22:23], v[46:47], v[24:25]
	v_add_f64_e64 v[32:33], v[30:31], -v[22:23]
	v_add_f64_e64 v[46:47], v[22:23], -v[46:47]
	s_delay_alu instid0(VALU_DEP_2) | instskip(NEXT) | instid1(VALU_DEP_2)
	v_add_f64_e64 v[30:31], v[30:31], -v[32:33]
	v_add_f64_e64 v[24:25], v[46:47], -v[24:25]
	s_delay_alu instid0(VALU_DEP_2) | instskip(SKIP_1) | instid1(VALU_DEP_2)
	v_add_f64_e64 v[22:23], v[30:31], -v[22:23]
	v_max_num_f64_e64 v[30:31], |v[6:7]|, |v[6:7]|
	v_add_f64_e32 v[22:23], v[24:25], v[22:23]
	v_max_num_f64_e64 v[24:25], |v[8:9]|, |v[8:9]|
	s_delay_alu instid0(VALU_DEP_2) | instskip(NEXT) | instid1(VALU_DEP_1)
	v_add_f64_e32 v[22:23], v[32:33], v[22:23]
	v_mul_f64_e32 v[22:23], v[26:27], v[22:23]
	s_delay_alu instid0(VALU_DEP_3) | instskip(SKIP_1) | instid1(VALU_DEP_3)
	v_max_num_f64_e32 v[26:27], v[30:31], v[24:25]
	v_min_num_f64_e32 v[24:25], v[30:31], v[24:25]
	v_add_f64_e32 v[30:31], v[28:29], v[22:23]
	s_delay_alu instid0(VALU_DEP_2) | instskip(NEXT) | instid1(VALU_DEP_2)
	v_div_scale_f64 v[32:33], null, v[26:27], v[26:27], v[24:25]
	v_mul_f64_e32 v[46:47], v[30:31], v[30:31]
	v_add_f64_e64 v[28:29], v[30:31], -v[28:29]
	s_delay_alu instid0(VALU_DEP_3) | instskip(NEXT) | instid1(VALU_DEP_2)
	v_rcp_f64_e32 v[48:49], v[32:33]
	v_fmamk_f64 v[50:51], v[46:47], 0x3fc3ab76bf559e2b, v[38:39]
	v_mul_f64_e32 v[52:53], v[30:31], v[46:47]
	s_delay_alu instid0(VALU_DEP_3) | instskip(NEXT) | instid1(VALU_DEP_3)
	v_add_f64_e64 v[22:23], v[22:23], -v[28:29]
	v_fmaak_f64 v[50:51], v[46:47], v[50:51], 0x3fc7474dd7f4df2e
	s_delay_alu instid0(TRANS32_DEP_1) | instskip(NEXT) | instid1(VALU_DEP_2)
	v_fma_f64 v[54:55], -v[32:33], v[48:49], 1.0
	v_fmaak_f64 v[50:51], v[46:47], v[50:51], 0x3fcc71c016291751
	s_delay_alu instid0(VALU_DEP_1) | instskip(NEXT) | instid1(VALU_DEP_1)
	v_fmaak_f64 v[50:51], v[46:47], v[50:51], 0x3fd249249b27acf1
	v_fmaak_f64 v[50:51], v[46:47], v[50:51], 0x3fd99999998ef7b6
	v_ldexp_f64 v[22:23], v[22:23], 1
	s_delay_alu instid0(VALU_DEP_2) | instskip(SKIP_2) | instid1(VALU_DEP_3)
	v_fmaak_f64 v[46:47], v[46:47], v[50:51], 0x3fe5555555555780
	v_ldexp_f64 v[50:51], v[30:31], 1
	v_fmac_f64_e32 v[48:49], v[48:49], v[54:55]
	v_mul_f64_e32 v[46:47], v[52:53], v[46:47]
	v_cvt_f64_i32_e32 v[52:53], v1
	v_ashrrev_i32_e32 v1, 31, v7
	s_delay_alu instid0(VALU_DEP_4) | instskip(NEXT) | instid1(VALU_DEP_4)
	v_fma_f64 v[54:55], -v[32:33], v[48:49], 1.0
	v_add_f64_e32 v[30:31], v[50:51], v[46:47]
	s_delay_alu instid0(VALU_DEP_4) | instskip(NEXT) | instid1(VALU_DEP_3)
	v_mul_f64_e32 v[56:57], 0x3fe62e42fefa39ef, v[52:53]
	v_fmac_f64_e32 v[48:49], v[48:49], v[54:55]
	s_delay_alu instid0(VALU_DEP_3) | instskip(SKIP_1) | instid1(VALU_DEP_4)
	v_add_f64_e64 v[28:29], v[30:31], -v[50:51]
	v_div_scale_f64 v[50:51], vcc_lo, v[24:25], v[26:27], v[24:25]
	v_fma_f64 v[54:55], v[52:53], s[28:29], -v[56:57]
	s_delay_alu instid0(VALU_DEP_3) | instskip(NEXT) | instid1(VALU_DEP_3)
	v_add_f64_e64 v[28:29], v[46:47], -v[28:29]
	v_mul_f64_e32 v[46:47], v[50:51], v[48:49]
	s_delay_alu instid0(VALU_DEP_3) | instskip(NEXT) | instid1(VALU_DEP_3)
	v_fmac_f64_e32 v[54:55], 0x3c7abc9e3b39803f, v[52:53]
	v_add_f64_e32 v[22:23], v[22:23], v[28:29]
	s_delay_alu instid0(VALU_DEP_3) | instskip(NEXT) | instid1(VALU_DEP_3)
	v_fma_f64 v[28:29], -v[32:33], v[46:47], v[50:51]
	v_add_f64_e32 v[32:33], v[56:57], v[54:55]
	s_delay_alu instid0(VALU_DEP_3) | instskip(NEXT) | instid1(VALU_DEP_3)
	v_add_f64_e32 v[50:51], v[30:31], v[22:23]
	v_div_fmas_f64 v[28:29], v[28:29], v[48:49], v[46:47]
	v_cmp_class_f64_e64 vcc_lo, v[14:15], 0x204
	s_delay_alu instid0(VALU_DEP_4) | instskip(NEXT) | instid1(VALU_DEP_4)
	v_add_f64_e64 v[48:49], v[32:33], -v[56:57]
	v_add_f64_e32 v[46:47], v[32:33], v[50:51]
	s_delay_alu instid0(VALU_DEP_4) | instskip(SKIP_1) | instid1(VALU_DEP_4)
	v_div_fixup_f64 v[24:25], v[28:29], v[26:27], v[24:25]
	v_add_f64_e64 v[30:31], v[50:51], -v[30:31]
	v_add_f64_e64 v[48:49], v[54:55], -v[48:49]
	s_delay_alu instid0(VALU_DEP_4) | instskip(NEXT) | instid1(VALU_DEP_4)
	v_add_f64_e64 v[26:27], v[46:47], -v[32:33]
	v_mul_f64_e32 v[28:29], v[24:25], v[24:25]
	s_delay_alu instid0(VALU_DEP_4) | instskip(NEXT) | instid1(VALU_DEP_3)
	v_add_f64_e64 v[22:23], v[22:23], -v[30:31]
	v_add_f64_e64 v[52:53], v[46:47], -v[26:27]
	s_delay_alu instid0(VALU_DEP_3) | instskip(SKIP_1) | instid1(VALU_DEP_4)
	v_fmamk_f64 v[56:57], v[28:29], 0x3eeba404b5e68a13, v[40:41]
	v_add_f64_e64 v[26:27], v[50:51], -v[26:27]
	v_add_f64_e32 v[50:51], v[48:49], v[22:23]
	s_delay_alu instid0(VALU_DEP_3) | instskip(SKIP_1) | instid1(VALU_DEP_2)
	v_fmaak_f64 v[56:57], v[28:29], v[56:57], 0x3f4b2bb069efb384
	v_add_f64_e64 v[30:31], v[32:33], -v[52:53]
	v_fmaak_f64 v[32:33], v[28:29], v[56:57], 0xbf67952daf56de9b
	s_delay_alu instid0(VALU_DEP_1) | instskip(NEXT) | instid1(VALU_DEP_1)
	v_fmaak_f64 v[32:33], v[28:29], v[32:33], 0x3f7d6d43a595c56f
	v_fmaak_f64 v[32:33], v[28:29], v[32:33], 0xbf8c6ea4a57d9582
	s_delay_alu instid0(VALU_DEP_1) | instskip(SKIP_1) | instid1(VALU_DEP_2)
	v_fmaak_f64 v[32:33], v[28:29], v[32:33], 0x3f967e295f08b19f
	v_add_f64_e32 v[26:27], v[26:27], v[30:31]
	v_fmaak_f64 v[30:31], v[28:29], v[32:33], 0xbf9e9ae6fc27006a
	v_add_f64_e64 v[32:33], v[50:51], -v[48:49]
	s_delay_alu instid0(VALU_DEP_2) | instskip(NEXT) | instid1(VALU_DEP_1)
	v_fmaak_f64 v[30:31], v[28:29], v[30:31], 0x3fa2c15b5711927a
	v_fmaak_f64 v[30:31], v[28:29], v[30:31], 0xbfa59976e82d3ff0
	s_delay_alu instid0(VALU_DEP_1) | instskip(NEXT) | instid1(VALU_DEP_1)
	v_fmaak_f64 v[30:31], v[28:29], v[30:31], 0x3fa82d5d6ef28734
	v_fmaak_f64 v[30:31], v[28:29], v[30:31], 0xbfaae5ce6a214619
	v_add_f64_e32 v[26:27], v[50:51], v[26:27]
	v_add_f64_e64 v[50:51], v[50:51], -v[32:33]
	v_add_f64_e64 v[22:23], v[22:23], -v[32:33]
	s_delay_alu instid0(VALU_DEP_4) | instskip(NEXT) | instid1(VALU_DEP_1)
	v_fmaak_f64 v[30:31], v[28:29], v[30:31], 0x3fae1bb48427b883
	v_fmaak_f64 v[30:31], v[28:29], v[30:31], 0xbfb110e48b207f05
	s_delay_alu instid0(VALU_DEP_1) | instskip(NEXT) | instid1(VALU_DEP_1)
	v_fmaak_f64 v[30:31], v[28:29], v[30:31], 0x3fb3b13657b87036
	v_fmaak_f64 v[30:31], v[28:29], v[30:31], 0xbfb745d119378e4f
	s_delay_alu instid0(VALU_DEP_1) | instskip(SKIP_1) | instid1(VALU_DEP_2)
	v_fmaak_f64 v[30:31], v[28:29], v[30:31], 0x3fbc71c717e1913c
	v_add_f64_e32 v[52:53], v[46:47], v[26:27]
	v_fmaak_f64 v[30:31], v[28:29], v[30:31], 0xbfc2492492376b7d
	s_delay_alu instid0(VALU_DEP_1) | instskip(NEXT) | instid1(VALU_DEP_1)
	v_fmaak_f64 v[30:31], v[28:29], v[30:31], 0x3fc99999999952cc
	v_fmaak_f64 v[30:31], v[28:29], v[30:31], 0xbfd5555555555523
	s_delay_alu instid0(VALU_DEP_1) | instskip(SKIP_2) | instid1(VALU_DEP_3)
	v_mul_f64_e32 v[28:29], v[28:29], v[30:31]
	v_add_f64_e64 v[30:31], v[48:49], -v[50:51]
	v_add_f64_e64 v[32:33], v[52:53], -v[46:47]
	v_fmac_f64_e32 v[24:25], v[24:25], v[28:29]
	s_delay_alu instid0(VALU_DEP_3) | instskip(NEXT) | instid1(VALU_DEP_3)
	v_add_f64_e32 v[22:23], v[22:23], v[30:31]
	v_add_f64_e64 v[26:27], v[26:27], -v[32:33]
	s_delay_alu instid0(VALU_DEP_3) | instskip(NEXT) | instid1(VALU_DEP_1)
	v_add_f64_e64 v[28:29], -v[24:25], s[30:31]
	v_dual_add_f64 v[22:23], v[22:23], v[26:27] :: v_dual_cndmask_b32 v25, v25, v29, s2
	s_delay_alu instid0(VALU_DEP_2)
	v_cndmask_b32_e64 v24, v24, v28, s2
	v_cmp_gt_i32_e64 s2, 0, v7
	v_and_b32_e32 v28, 0x54442d18, v1
	v_and_b32_e32 v1, 0x400921fb, v1
	v_add_f64_e32 v[22:23], v[52:53], v[22:23]
	v_add_f64_e64 v[26:27], -v[24:25], s[34:35]
	v_cndmask_b32_e64 v16, 0x54442d18, v62, s2
	s_delay_alu instid0(VALU_DEP_3) | instskip(SKIP_1) | instid1(VALU_DEP_4)
	v_dual_cndmask_b32 v23, v23, v15 :: v_dual_cndmask_b32 v22, v22, v14
	v_cmp_eq_f64_e32 vcc_lo, 0, v[8:9]
	v_cndmask_b32_e64 v24, v24, v26, s2
	v_cndmask_b32_e64 v26, 0x3fe921fb, v63, s2
	;; [unrolled: 1-line block ×3, first 2 shown]
	v_add_f64_e32 v[22:23], 1.0, v[22:23]
	v_cmp_nge_f64_e64 s2, 0, v[14:15]
	s_delay_alu instid0(VALU_DEP_4) | instskip(NEXT) | instid1(VALU_DEP_4)
	v_bfi_b32 v26, 0x7fffffff, v26, v9
	v_dual_cndmask_b32 v24, v24, v28 :: v_dual_cndmask_b32 v1, v25, v1
	v_cmp_ngt_f64_e32 vcc_lo, 0, v[14:15]
	s_delay_alu instid0(VALU_DEP_4) | instskip(SKIP_4) | instid1(VALU_DEP_2)
	v_cndmask_b32_e64 v22, 0, v22, s2
	v_cmp_neq_f64_e64 s2, 0, v[14:15]
	v_cndmask_b32_e32 v23, 0x7ff80000, v23, vcc_lo
	s_and_b32 vcc_lo, s5, s3
	v_dual_cndmask_b32 v25, v1, v26 :: v_dual_cndmask_b32 v24, v24, v16
	v_cndmask_b32_e64 v23, 0xfff00000, v23, s2
.LBB167_66:                             ;   in Loop: Header=BB167_5 Depth=1
	s_or_b32 exec_lo, exec_lo, s4
.LBB167_67:                             ;   in Loop: Header=BB167_5 Depth=1
	s_and_not1_saveexec_b32 s2, s44
	s_cbranch_execz .LBB167_73
; %bb.68:                               ;   in Loop: Header=BB167_5 Depth=1
	v_cmp_ngt_f64_e64 s3, 0x20000000, |v[6:7]|
	v_cmp_ngt_f64_e64 s4, 0x20000000, |v[8:9]|
                                        ; implicit-def: $vgpr14_vgpr15
	s_or_b32 s3, s3, s4
	s_delay_alu instid0(SALU_CYCLE_1) | instskip(NEXT) | instid1(SALU_CYCLE_1)
	s_and_saveexec_b32 s4, s3
	s_xor_b32 s3, exec_lo, s4
	s_cbranch_execz .LBB167_70
; %bb.69:                               ;   in Loop: Header=BB167_5 Depth=1
	v_mul_f64_e32 v[14:15], v[8:9], v[8:9]
	s_delay_alu instid0(VALU_DEP_1)
	v_fmac_f64_e32 v[14:15], v[6:7], v[6:7]
.LBB167_70:                             ;   in Loop: Header=BB167_5 Depth=1
	s_and_not1_saveexec_b32 s3, s3
	s_cbranch_execz .LBB167_72
; %bb.71:                               ;   in Loop: Header=BB167_5 Depth=1
	v_mul_f64_e32 v[14:15], 4.0, v[8:9]
	v_mul_f64_e32 v[6:7], 4.0, v[6:7]
	s_delay_alu instid0(VALU_DEP_2) | instskip(NEXT) | instid1(VALU_DEP_1)
	v_mul_f64_e32 v[14:15], v[14:15], v[14:15]
	v_fmac_f64_e32 v[14:15], v[6:7], v[6:7]
	s_delay_alu instid0(VALU_DEP_1)
	v_ldexp_f64 v[14:15], v[14:15], -4
.LBB167_72:                             ;   in Loop: Header=BB167_5 Depth=1
	s_or_b32 exec_lo, exec_lo, s3
	s_delay_alu instid0(VALU_DEP_1) | instskip(NEXT) | instid1(VALU_DEP_1)
	v_frexp_mant_f64_e32 v[6:7], v[14:15]
	v_cmp_gt_f64_e32 vcc_lo, s[26:27], v[6:7]
	v_cndmask_b32_e64 v1, 0, 1, vcc_lo
	s_delay_alu instid0(VALU_DEP_1) | instskip(SKIP_1) | instid1(VALU_DEP_2)
	v_ldexp_f64 v[6:7], v[6:7], v1
	v_frexp_exp_i32_f64_e32 v1, v[14:15]
	v_add_f64_e32 v[22:23], 1.0, v[6:7]
	v_add_f64_e32 v[28:29], -1.0, v[6:7]
	s_delay_alu instid0(VALU_DEP_3) | instskip(SKIP_1) | instid1(VALU_DEP_4)
	v_subrev_co_ci_u32_e64 v1, null, 0, v1, vcc_lo
	v_cmp_class_f64_e64 vcc_lo, v[14:15], 0x204
	v_rcp_f64_e32 v[24:25], v[22:23]
	v_add_f64_e32 v[30:31], -1.0, v[22:23]
	s_delay_alu instid0(VALU_DEP_1) | instskip(NEXT) | instid1(TRANS32_DEP_1)
	v_add_f64_e64 v[6:7], v[6:7], -v[30:31]
	v_fma_f64 v[26:27], -v[22:23], v[24:25], 1.0
	s_delay_alu instid0(VALU_DEP_1) | instskip(NEXT) | instid1(VALU_DEP_1)
	v_fmac_f64_e32 v[24:25], v[26:27], v[24:25]
	v_fma_f64 v[26:27], -v[22:23], v[24:25], 1.0
	s_delay_alu instid0(VALU_DEP_1) | instskip(NEXT) | instid1(VALU_DEP_1)
	v_fmac_f64_e32 v[24:25], v[26:27], v[24:25]
	v_mul_f64_e32 v[26:27], v[28:29], v[24:25]
	s_delay_alu instid0(VALU_DEP_1) | instskip(NEXT) | instid1(VALU_DEP_1)
	v_mul_f64_e32 v[32:33], v[22:23], v[26:27]
	v_fma_f64 v[22:23], v[26:27], v[22:23], -v[32:33]
	s_delay_alu instid0(VALU_DEP_1) | instskip(NEXT) | instid1(VALU_DEP_1)
	v_fmac_f64_e32 v[22:23], v[26:27], v[6:7]
	v_add_f64_e32 v[6:7], v[32:33], v[22:23]
	s_delay_alu instid0(VALU_DEP_1) | instskip(SKIP_1) | instid1(VALU_DEP_2)
	v_add_f64_e64 v[30:31], v[28:29], -v[6:7]
	v_add_f64_e64 v[32:33], v[6:7], -v[32:33]
	v_add_f64_e64 v[28:29], v[28:29], -v[30:31]
	s_delay_alu instid0(VALU_DEP_2) | instskip(NEXT) | instid1(VALU_DEP_2)
	v_add_f64_e64 v[22:23], v[32:33], -v[22:23]
	v_add_f64_e64 v[6:7], v[28:29], -v[6:7]
	s_delay_alu instid0(VALU_DEP_1) | instskip(NEXT) | instid1(VALU_DEP_1)
	v_add_f64_e32 v[6:7], v[22:23], v[6:7]
	v_add_f64_e32 v[6:7], v[30:31], v[6:7]
	s_delay_alu instid0(VALU_DEP_1) | instskip(NEXT) | instid1(VALU_DEP_1)
	v_mul_f64_e32 v[6:7], v[24:25], v[6:7]
	v_add_f64_e32 v[22:23], v[26:27], v[6:7]
	s_delay_alu instid0(VALU_DEP_1) | instskip(NEXT) | instid1(VALU_DEP_1)
	v_mul_f64_e32 v[24:25], v[22:23], v[22:23]
	v_fmamk_f64 v[28:29], v[24:25], 0x3fc3ab76bf559e2b, v[38:39]
	v_mul_f64_e32 v[30:31], v[22:23], v[24:25]
	s_delay_alu instid0(VALU_DEP_2) | instskip(NEXT) | instid1(VALU_DEP_1)
	v_fmaak_f64 v[28:29], v[24:25], v[28:29], 0x3fc7474dd7f4df2e
	v_fmaak_f64 v[28:29], v[24:25], v[28:29], 0x3fcc71c016291751
	s_delay_alu instid0(VALU_DEP_1) | instskip(NEXT) | instid1(VALU_DEP_1)
	v_fmaak_f64 v[28:29], v[24:25], v[28:29], 0x3fd249249b27acf1
	v_fmaak_f64 v[28:29], v[24:25], v[28:29], 0x3fd99999998ef7b6
	s_delay_alu instid0(VALU_DEP_1) | instskip(SKIP_2) | instid1(VALU_DEP_3)
	v_fmaak_f64 v[24:25], v[24:25], v[28:29], 0x3fe5555555555780
	v_ldexp_f64 v[28:29], v[22:23], 1
	v_add_f64_e64 v[22:23], v[22:23], -v[26:27]
	v_mul_f64_e32 v[24:25], v[30:31], v[24:25]
	v_cvt_f64_i32_e32 v[30:31], v1
	s_delay_alu instid0(VALU_DEP_3) | instskip(NEXT) | instid1(VALU_DEP_3)
	v_add_f64_e64 v[6:7], v[6:7], -v[22:23]
	v_add_f64_e32 v[26:27], v[28:29], v[24:25]
	s_delay_alu instid0(VALU_DEP_3) | instskip(NEXT) | instid1(VALU_DEP_3)
	v_mul_f64_e32 v[32:33], 0x3fe62e42fefa39ef, v[30:31]
	v_ldexp_f64 v[6:7], v[6:7], 1
	s_delay_alu instid0(VALU_DEP_3) | instskip(NEXT) | instid1(VALU_DEP_3)
	v_add_f64_e64 v[22:23], v[26:27], -v[28:29]
	v_fma_f64 v[28:29], v[30:31], s[28:29], -v[32:33]
	s_delay_alu instid0(VALU_DEP_2) | instskip(NEXT) | instid1(VALU_DEP_2)
	v_add_f64_e64 v[22:23], v[24:25], -v[22:23]
	v_fmac_f64_e32 v[28:29], 0x3c7abc9e3b39803f, v[30:31]
	s_delay_alu instid0(VALU_DEP_2) | instskip(NEXT) | instid1(VALU_DEP_2)
	v_add_f64_e32 v[6:7], v[6:7], v[22:23]
	v_add_f64_e32 v[22:23], v[32:33], v[28:29]
	s_delay_alu instid0(VALU_DEP_2) | instskip(NEXT) | instid1(VALU_DEP_2)
	v_add_f64_e32 v[24:25], v[26:27], v[6:7]
	v_add_f64_e64 v[32:33], v[22:23], -v[32:33]
	s_delay_alu instid0(VALU_DEP_2) | instskip(SKIP_1) | instid1(VALU_DEP_3)
	v_add_f64_e32 v[30:31], v[22:23], v[24:25]
	v_add_f64_e64 v[26:27], v[24:25], -v[26:27]
	v_add_f64_e64 v[28:29], v[28:29], -v[32:33]
	s_delay_alu instid0(VALU_DEP_3) | instskip(NEXT) | instid1(VALU_DEP_3)
	v_add_f64_e64 v[46:47], v[30:31], -v[22:23]
	v_add_f64_e64 v[6:7], v[6:7], -v[26:27]
	s_delay_alu instid0(VALU_DEP_2) | instskip(SKIP_1) | instid1(VALU_DEP_3)
	v_add_f64_e64 v[48:49], v[30:31], -v[46:47]
	v_add_f64_e64 v[24:25], v[24:25], -v[46:47]
	v_add_f64_e32 v[26:27], v[28:29], v[6:7]
	s_delay_alu instid0(VALU_DEP_3) | instskip(NEXT) | instid1(VALU_DEP_1)
	v_add_f64_e64 v[22:23], v[22:23], -v[48:49]
	v_add_f64_e32 v[22:23], v[24:25], v[22:23]
	s_delay_alu instid0(VALU_DEP_3) | instskip(NEXT) | instid1(VALU_DEP_2)
	v_add_f64_e64 v[24:25], v[26:27], -v[28:29]
	v_add_f64_e32 v[22:23], v[26:27], v[22:23]
	s_delay_alu instid0(VALU_DEP_2) | instskip(SKIP_1) | instid1(VALU_DEP_3)
	v_add_f64_e64 v[26:27], v[26:27], -v[24:25]
	v_add_f64_e64 v[6:7], v[6:7], -v[24:25]
	v_add_f64_e32 v[32:33], v[30:31], v[22:23]
	s_delay_alu instid0(VALU_DEP_3) | instskip(NEXT) | instid1(VALU_DEP_2)
	v_add_f64_e64 v[24:25], v[28:29], -v[26:27]
	v_add_f64_e64 v[26:27], v[32:33], -v[30:31]
	s_delay_alu instid0(VALU_DEP_2) | instskip(SKIP_1) | instid1(VALU_DEP_3)
	v_add_f64_e32 v[6:7], v[6:7], v[24:25]
	v_mov_b64_e32 v[24:25], 0x7ff8000000000000
	v_add_f64_e64 v[22:23], v[22:23], -v[26:27]
	s_delay_alu instid0(VALU_DEP_1) | instskip(NEXT) | instid1(VALU_DEP_1)
	v_add_f64_e32 v[6:7], v[6:7], v[22:23]
	v_add_f64_e32 v[6:7], v[32:33], v[6:7]
	s_delay_alu instid0(VALU_DEP_1) | instskip(SKIP_1) | instid1(VALU_DEP_2)
	v_dual_cndmask_b32 v1, v6, v14 :: v_dual_cndmask_b32 v6, v7, v15
	v_cmp_ngt_f64_e32 vcc_lo, 0, v[14:15]
	v_cndmask_b32_e32 v6, 0x7ff80000, v6, vcc_lo
	v_cmp_nge_f64_e32 vcc_lo, 0, v[14:15]
	s_delay_alu instid0(VALU_DEP_4) | instskip(SKIP_1) | instid1(VALU_DEP_4)
	v_cndmask_b32_e32 v22, 0, v1, vcc_lo
	v_cmp_neq_f64_e32 vcc_lo, 0, v[14:15]
	v_cndmask_b32_e32 v23, 0xfff00000, v6, vcc_lo
.LBB167_73:                             ;   in Loop: Header=BB167_5 Depth=1
	s_or_b32 exec_lo, exec_lo, s2
                                        ; implicit-def: $vgpr26_vgpr27
	s_delay_alu instid0(SALU_CYCLE_1)
	s_mov_b32 s2, exec_lo
	s_wait_loadcnt 0x0
	v_cmpx_o_f64_e32 v[10:11], v[12:13]
	s_xor_b32 s44, exec_lo, s2
	s_cbranch_execz .LBB167_101
; %bb.74:                               ;   in Loop: Header=BB167_5 Depth=1
	v_cmp_lt_f64_e64 s2, |v[10:11]|, |v[12:13]|
	v_and_b32_e32 v7, 0x7fffffff, v11
	v_and_b32_e32 v1, 0x7fffffff, v13
	v_mov_b32_e32 v6, v12
                                        ; implicit-def: $vgpr26_vgpr27
	s_mov_b32 s3, exec_lo
	s_delay_alu instid0(VALU_DEP_2) | instskip(NEXT) | instid1(VALU_DEP_1)
	v_dual_cndmask_b32 v15, v1, v7, s2 :: v_dual_cndmask_b32 v14, v12, v10, s2
	v_cmpx_nlt_f64_e32 s[20:21], v[14:15]
	s_xor_b32 s45, exec_lo, s3
	s_cbranch_execz .LBB167_98
; %bb.75:                               ;   in Loop: Header=BB167_5 Depth=1
	v_dual_cndmask_b32 v31, v7, v1, s2 :: v_dual_cndmask_b32 v30, v10, v6, s2
                                        ; implicit-def: $vgpr26_vgpr27
	s_mov_b32 s3, exec_lo
	s_delay_alu instid0(VALU_DEP_1)
	v_cmpx_neq_f64_e32 1.0, v[30:31]
	s_xor_b32 s46, exec_lo, s3
	s_cbranch_execz .LBB167_91
; %bb.76:                               ;   in Loop: Header=BB167_5 Depth=1
	v_max_num_f64_e32 v[6:7], v[14:15], v[14:15]
	v_max_num_f64_e32 v[26:27], v[30:31], v[30:31]
	s_delay_alu instid0(VALU_DEP_1) | instskip(SKIP_1) | instid1(VALU_DEP_2)
	v_min_num_f64_e32 v[28:29], v[26:27], v[6:7]
	v_max_num_f64_e32 v[6:7], v[26:27], v[6:7]
	v_cmp_ngt_f64_e32 vcc_lo, s[22:23], v[28:29]
	s_delay_alu instid0(VALU_DEP_2) | instskip(SKIP_1) | instid1(SALU_CYCLE_1)
	v_cmp_nlt_f64_e64 s3, s[24:25], v[6:7]
                                        ; implicit-def: $vgpr26_vgpr27
	s_and_b32 s3, s3, vcc_lo
	s_and_saveexec_b32 s4, s3
	s_delay_alu instid0(SALU_CYCLE_1)
	s_xor_b32 s47, exec_lo, s4
	s_cbranch_execz .LBB167_88
; %bb.77:                               ;   in Loop: Header=BB167_5 Depth=1
                                        ; implicit-def: $vgpr26_vgpr27
	s_mov_b32 s3, exec_lo
	v_cmpx_le_f64_e32 1.0, v[30:31]
	s_xor_b32 s6, exec_lo, s3
	s_cbranch_execz .LBB167_79
; %bb.78:                               ;   in Loop: Header=BB167_5 Depth=1
	v_add_f64_e32 v[6:7], -1.0, v[30:31]
	v_add_f64_e32 v[26:27], 1.0, v[30:31]
	v_cmp_eq_f64_e64 s3, 0, v[12:13]
	v_cmp_class_f64_e64 s7, v[12:13], 0x204
	v_cmp_class_f64_e64 s8, v[10:11], 0x204
	s_delay_alu instid0(VALU_DEP_4) | instskip(NEXT) | instid1(VALU_DEP_1)
	v_mul_f64_e32 v[6:7], v[6:7], v[26:27]
	v_fmac_f64_e32 v[6:7], v[14:15], v[14:15]
	s_delay_alu instid0(VALU_DEP_1) | instskip(SKIP_2) | instid1(VALU_DEP_3)
	v_add_f64_e32 v[14:15], 1.0, v[6:7]
	v_cmp_nge_f64_e64 s4, -1.0, v[6:7]
	v_cmp_neq_f64_e64 s5, 0x7ff00000, v[6:7]
	v_frexp_mant_f64_e32 v[26:27], v[14:15]
	v_frexp_exp_i32_f64_e32 v1, v[14:15]
	v_add_f64_e32 v[28:29], -1.0, v[14:15]
	s_delay_alu instid0(VALU_DEP_3) | instskip(NEXT) | instid1(VALU_DEP_2)
	v_cmp_gt_f64_e32 vcc_lo, s[26:27], v[26:27]
	v_add_f64_e64 v[26:27], v[28:29], -v[14:15]
	v_add_f64_e64 v[28:29], v[6:7], -v[28:29]
	v_subrev_co_ci_u32_e64 v1, null, 0, v1, vcc_lo
	s_delay_alu instid0(VALU_DEP_1) | instskip(NEXT) | instid1(VALU_DEP_1)
	v_dual_add_f64 v[26:27], 1.0, v[26:27] :: v_dual_sub_nc_u32 v8, 0, v1
	v_ldexp_f64 v[14:15], v[14:15], v8
	s_delay_alu instid0(VALU_DEP_2) | instskip(NEXT) | instid1(VALU_DEP_2)
	v_add_f64_e32 v[26:27], v[28:29], v[26:27]
	v_add_f64_e32 v[30:31], 1.0, v[14:15]
	v_add_f64_e32 v[48:49], -1.0, v[14:15]
	s_delay_alu instid0(VALU_DEP_3) | instskip(NEXT) | instid1(VALU_DEP_3)
	v_ldexp_f64 v[26:27], v[26:27], v8
	v_add_f64_e32 v[28:29], -1.0, v[30:31]
	s_delay_alu instid0(VALU_DEP_3) | instskip(NEXT) | instid1(VALU_DEP_2)
	v_add_f64_e32 v[50:51], 1.0, v[48:49]
	v_add_f64_e64 v[28:29], v[14:15], -v[28:29]
	s_delay_alu instid0(VALU_DEP_2) | instskip(NEXT) | instid1(VALU_DEP_2)
	v_add_f64_e64 v[14:15], v[14:15], -v[50:51]
	v_add_f64_e32 v[28:29], v[26:27], v[28:29]
	s_delay_alu instid0(VALU_DEP_2) | instskip(NEXT) | instid1(VALU_DEP_2)
	v_add_f64_e32 v[14:15], v[26:27], v[14:15]
	v_add_f64_e32 v[32:33], v[30:31], v[28:29]
	s_delay_alu instid0(VALU_DEP_2) | instskip(NEXT) | instid1(VALU_DEP_2)
	v_add_f64_e32 v[50:51], v[48:49], v[14:15]
	v_rcp_f64_e32 v[46:47], v[32:33]
	v_add_f64_e64 v[30:31], v[32:33], -v[30:31]
	s_delay_alu instid0(VALU_DEP_2) | instskip(NEXT) | instid1(VALU_DEP_2)
	v_add_f64_e64 v[48:49], v[50:51], -v[48:49]
	v_add_f64_e64 v[28:29], v[28:29], -v[30:31]
	s_delay_alu instid0(VALU_DEP_2) | instskip(NEXT) | instid1(TRANS32_DEP_1)
	v_add_f64_e64 v[14:15], v[14:15], -v[48:49]
	v_fma_f64 v[52:53], -v[32:33], v[46:47], 1.0
	s_delay_alu instid0(VALU_DEP_1) | instskip(NEXT) | instid1(VALU_DEP_1)
	v_fmac_f64_e32 v[46:47], v[52:53], v[46:47]
	v_fma_f64 v[26:27], -v[32:33], v[46:47], 1.0
	s_delay_alu instid0(VALU_DEP_1) | instskip(NEXT) | instid1(VALU_DEP_1)
	v_fmac_f64_e32 v[46:47], v[26:27], v[46:47]
	v_mul_f64_e32 v[26:27], v[50:51], v[46:47]
	s_delay_alu instid0(VALU_DEP_1) | instskip(NEXT) | instid1(VALU_DEP_1)
	v_mul_f64_e32 v[52:53], v[32:33], v[26:27]
	v_fma_f64 v[30:31], v[26:27], v[32:33], -v[52:53]
	s_delay_alu instid0(VALU_DEP_1) | instskip(NEXT) | instid1(VALU_DEP_1)
	v_fmac_f64_e32 v[30:31], v[26:27], v[28:29]
	v_add_f64_e32 v[54:55], v[52:53], v[30:31]
	s_delay_alu instid0(VALU_DEP_1) | instskip(SKIP_1) | instid1(VALU_DEP_2)
	v_add_f64_e64 v[56:57], v[50:51], -v[54:55]
	v_add_f64_e64 v[48:49], v[54:55], -v[52:53]
	;; [unrolled: 1-line block ×3, first 2 shown]
	s_delay_alu instid0(VALU_DEP_2) | instskip(NEXT) | instid1(VALU_DEP_2)
	v_add_f64_e64 v[30:31], v[48:49], -v[30:31]
	v_add_f64_e64 v[50:51], v[50:51], -v[54:55]
	s_delay_alu instid0(VALU_DEP_1) | instskip(NEXT) | instid1(VALU_DEP_1)
	v_add_f64_e32 v[14:15], v[14:15], v[50:51]
	v_add_f64_e32 v[14:15], v[30:31], v[14:15]
	s_delay_alu instid0(VALU_DEP_1) | instskip(NEXT) | instid1(VALU_DEP_1)
	v_add_f64_e32 v[30:31], v[56:57], v[14:15]
	v_mul_f64_e32 v[48:49], v[46:47], v[30:31]
	v_add_f64_e64 v[54:55], v[56:57], -v[30:31]
	s_delay_alu instid0(VALU_DEP_2) | instskip(NEXT) | instid1(VALU_DEP_2)
	v_mul_f64_e32 v[50:51], v[32:33], v[48:49]
	v_add_f64_e32 v[14:15], v[14:15], v[54:55]
	s_delay_alu instid0(VALU_DEP_2) | instskip(NEXT) | instid1(VALU_DEP_1)
	v_fma_f64 v[32:33], v[48:49], v[32:33], -v[50:51]
	v_fmac_f64_e32 v[32:33], v[48:49], v[28:29]
	s_delay_alu instid0(VALU_DEP_1) | instskip(NEXT) | instid1(VALU_DEP_1)
	v_add_f64_e32 v[28:29], v[50:51], v[32:33]
	v_add_f64_e64 v[52:53], v[30:31], -v[28:29]
	v_add_f64_e64 v[50:51], v[28:29], -v[50:51]
	s_delay_alu instid0(VALU_DEP_2) | instskip(NEXT) | instid1(VALU_DEP_1)
	v_add_f64_e64 v[30:31], v[30:31], -v[52:53]
	v_add_f64_e64 v[28:29], v[30:31], -v[28:29]
	s_delay_alu instid0(VALU_DEP_3) | instskip(SKIP_1) | instid1(VALU_DEP_3)
	v_add_f64_e64 v[30:31], v[50:51], -v[32:33]
	v_max_num_f64_e64 v[32:33], |v[10:11]|, |v[10:11]|
	v_add_f64_e32 v[14:15], v[14:15], v[28:29]
	v_add_f64_e32 v[28:29], v[26:27], v[48:49]
	s_delay_alu instid0(VALU_DEP_2) | instskip(NEXT) | instid1(VALU_DEP_2)
	v_add_f64_e32 v[14:15], v[30:31], v[14:15]
	v_add_f64_e64 v[26:27], v[28:29], -v[26:27]
	v_max_num_f64_e64 v[30:31], |v[12:13]|, |v[12:13]|
	s_delay_alu instid0(VALU_DEP_3) | instskip(NEXT) | instid1(VALU_DEP_3)
	v_add_f64_e32 v[14:15], v[52:53], v[14:15]
	v_add_f64_e64 v[26:27], v[48:49], -v[26:27]
	s_delay_alu instid0(VALU_DEP_2) | instskip(NEXT) | instid1(VALU_DEP_1)
	v_mul_f64_e32 v[14:15], v[46:47], v[14:15]
	v_add_f64_e32 v[14:15], v[26:27], v[14:15]
	v_max_num_f64_e32 v[26:27], v[32:33], v[30:31]
	v_min_num_f64_e32 v[30:31], v[32:33], v[30:31]
	s_delay_alu instid0(VALU_DEP_3) | instskip(NEXT) | instid1(VALU_DEP_2)
	v_add_f64_e32 v[32:33], v[28:29], v[14:15]
	v_div_scale_f64 v[46:47], null, v[26:27], v[26:27], v[30:31]
	s_delay_alu instid0(VALU_DEP_2) | instskip(SKIP_1) | instid1(VALU_DEP_3)
	v_mul_f64_e32 v[48:49], v[32:33], v[32:33]
	v_add_f64_e64 v[28:29], v[32:33], -v[28:29]
	v_rcp_f64_e32 v[50:51], v[46:47]
	s_delay_alu instid0(VALU_DEP_2) | instskip(SKIP_1) | instid1(VALU_DEP_3)
	v_fmamk_f64 v[52:53], v[48:49], 0x3fc3ab76bf559e2b, v[38:39]
	v_mul_f64_e32 v[54:55], v[32:33], v[48:49]
	v_add_f64_e64 v[14:15], v[14:15], -v[28:29]
	s_delay_alu instid0(VALU_DEP_3) | instskip(NEXT) | instid1(TRANS32_DEP_1)
	v_fmaak_f64 v[52:53], v[48:49], v[52:53], 0x3fc7474dd7f4df2e
	v_fma_f64 v[56:57], -v[46:47], v[50:51], 1.0
	s_delay_alu instid0(VALU_DEP_2) | instskip(NEXT) | instid1(VALU_DEP_1)
	v_fmaak_f64 v[52:53], v[48:49], v[52:53], 0x3fcc71c016291751
	v_fmaak_f64 v[52:53], v[48:49], v[52:53], 0x3fd249249b27acf1
	s_delay_alu instid0(VALU_DEP_1) | instskip(SKIP_1) | instid1(VALU_DEP_2)
	v_fmaak_f64 v[52:53], v[48:49], v[52:53], 0x3fd99999998ef7b6
	v_ldexp_f64 v[14:15], v[14:15], 1
	v_fmaak_f64 v[48:49], v[48:49], v[52:53], 0x3fe5555555555780
	v_ldexp_f64 v[52:53], v[32:33], 1
	v_fmac_f64_e32 v[50:51], v[50:51], v[56:57]
	s_delay_alu instid0(VALU_DEP_3) | instskip(SKIP_2) | instid1(VALU_DEP_1)
	v_mul_f64_e32 v[48:49], v[54:55], v[48:49]
	v_cvt_f64_i32_e32 v[54:55], v1
	v_ashrrev_i32_e32 v1, 31, v11
	v_and_b32_e32 v16, 0x54442d18, v1
	v_and_b32_e32 v1, 0x400921fb, v1
	v_fma_f64 v[56:57], -v[46:47], v[50:51], 1.0
	v_add_f64_e32 v[32:33], v[52:53], v[48:49]
	v_mul_f64_e32 v[58:59], 0x3fe62e42fefa39ef, v[54:55]
	s_delay_alu instid0(VALU_DEP_3) | instskip(NEXT) | instid1(VALU_DEP_3)
	v_fmac_f64_e32 v[50:51], v[50:51], v[56:57]
	v_add_f64_e64 v[28:29], v[32:33], -v[52:53]
	v_div_scale_f64 v[52:53], vcc_lo, v[30:31], v[26:27], v[30:31]
	s_delay_alu instid0(VALU_DEP_4) | instskip(NEXT) | instid1(VALU_DEP_3)
	v_fma_f64 v[56:57], v[54:55], s[28:29], -v[58:59]
	v_add_f64_e64 v[28:29], v[48:49], -v[28:29]
	s_delay_alu instid0(VALU_DEP_3) | instskip(NEXT) | instid1(VALU_DEP_3)
	v_mul_f64_e32 v[48:49], v[52:53], v[50:51]
	v_fmac_f64_e32 v[56:57], 0x3c7abc9e3b39803f, v[54:55]
	s_delay_alu instid0(VALU_DEP_3) | instskip(NEXT) | instid1(VALU_DEP_3)
	v_add_f64_e32 v[14:15], v[14:15], v[28:29]
	v_fma_f64 v[28:29], -v[46:47], v[48:49], v[52:53]
	s_delay_alu instid0(VALU_DEP_3) | instskip(NEXT) | instid1(VALU_DEP_3)
	v_add_f64_e32 v[46:47], v[58:59], v[56:57]
	v_add_f64_e32 v[52:53], v[32:33], v[14:15]
	s_delay_alu instid0(VALU_DEP_3) | instskip(SKIP_1) | instid1(VALU_DEP_4)
	v_div_fmas_f64 v[28:29], v[28:29], v[50:51], v[48:49]
	v_cmp_gt_i32_e32 vcc_lo, 0, v11
	v_add_f64_e64 v[50:51], v[46:47], -v[58:59]
	v_cndmask_b32_e32 v8, 0x54442d18, v62, vcc_lo
	v_add_f64_e32 v[48:49], v[46:47], v[52:53]
	v_div_fixup_f64 v[26:27], v[28:29], v[26:27], v[30:31]
	v_add_f64_e64 v[32:33], v[52:53], -v[32:33]
	v_add_f64_e64 v[50:51], v[56:57], -v[50:51]
	s_delay_alu instid0(VALU_DEP_4) | instskip(NEXT) | instid1(VALU_DEP_4)
	v_add_f64_e64 v[28:29], v[48:49], -v[46:47]
	v_mul_f64_e32 v[30:31], v[26:27], v[26:27]
	s_delay_alu instid0(VALU_DEP_4) | instskip(NEXT) | instid1(VALU_DEP_3)
	v_add_f64_e64 v[14:15], v[14:15], -v[32:33]
	v_add_f64_e64 v[54:55], v[48:49], -v[28:29]
	s_delay_alu instid0(VALU_DEP_3) | instskip(SKIP_1) | instid1(VALU_DEP_4)
	v_fmamk_f64 v[58:59], v[30:31], 0x3eeba404b5e68a13, v[40:41]
	v_add_f64_e64 v[28:29], v[52:53], -v[28:29]
	v_add_f64_e32 v[52:53], v[50:51], v[14:15]
	s_delay_alu instid0(VALU_DEP_3) | instskip(SKIP_1) | instid1(VALU_DEP_2)
	v_fmaak_f64 v[58:59], v[30:31], v[58:59], 0x3f4b2bb069efb384
	v_add_f64_e64 v[32:33], v[46:47], -v[54:55]
	v_fmaak_f64 v[46:47], v[30:31], v[58:59], 0xbf67952daf56de9b
	s_delay_alu instid0(VALU_DEP_1) | instskip(NEXT) | instid1(VALU_DEP_1)
	v_fmaak_f64 v[46:47], v[30:31], v[46:47], 0x3f7d6d43a595c56f
	v_fmaak_f64 v[46:47], v[30:31], v[46:47], 0xbf8c6ea4a57d9582
	s_delay_alu instid0(VALU_DEP_1) | instskip(NEXT) | instid1(VALU_DEP_1)
	v_fmaak_f64 v[46:47], v[30:31], v[46:47], 0x3f967e295f08b19f
	v_fmaak_f64 v[46:47], v[30:31], v[46:47], 0xbf9e9ae6fc27006a
	v_add_f64_e32 v[28:29], v[28:29], v[32:33]
	s_delay_alu instid0(VALU_DEP_2) | instskip(SKIP_1) | instid1(VALU_DEP_2)
	v_fmaak_f64 v[32:33], v[30:31], v[46:47], 0x3fa2c15b5711927a
	v_add_f64_e64 v[46:47], v[52:53], -v[50:51]
	v_fmaak_f64 v[32:33], v[30:31], v[32:33], 0xbfa59976e82d3ff0
	s_delay_alu instid0(VALU_DEP_1) | instskip(NEXT) | instid1(VALU_DEP_1)
	v_fmaak_f64 v[32:33], v[30:31], v[32:33], 0x3fa82d5d6ef28734
	v_fmaak_f64 v[32:33], v[30:31], v[32:33], 0xbfaae5ce6a214619
	s_delay_alu instid0(VALU_DEP_1) | instskip(SKIP_3) | instid1(VALU_DEP_4)
	v_fmaak_f64 v[32:33], v[30:31], v[32:33], 0x3fae1bb48427b883
	v_add_f64_e32 v[28:29], v[52:53], v[28:29]
	v_add_f64_e64 v[52:53], v[52:53], -v[46:47]
	v_add_f64_e64 v[14:15], v[14:15], -v[46:47]
	v_fmaak_f64 v[32:33], v[30:31], v[32:33], 0xbfb110e48b207f05
	s_delay_alu instid0(VALU_DEP_1) | instskip(NEXT) | instid1(VALU_DEP_1)
	v_fmaak_f64 v[32:33], v[30:31], v[32:33], 0x3fb3b13657b87036
	v_fmaak_f64 v[32:33], v[30:31], v[32:33], 0xbfb745d119378e4f
	s_delay_alu instid0(VALU_DEP_1) | instskip(SKIP_1) | instid1(VALU_DEP_2)
	v_fmaak_f64 v[32:33], v[30:31], v[32:33], 0x3fbc71c717e1913c
	v_add_f64_e32 v[54:55], v[48:49], v[28:29]
	v_fmaak_f64 v[32:33], v[30:31], v[32:33], 0xbfc2492492376b7d
	s_delay_alu instid0(VALU_DEP_1) | instskip(NEXT) | instid1(VALU_DEP_1)
	v_fmaak_f64 v[32:33], v[30:31], v[32:33], 0x3fc99999999952cc
	v_fmaak_f64 v[32:33], v[30:31], v[32:33], 0xbfd5555555555523
	s_delay_alu instid0(VALU_DEP_1) | instskip(SKIP_2) | instid1(VALU_DEP_3)
	v_mul_f64_e32 v[30:31], v[30:31], v[32:33]
	v_add_f64_e64 v[32:33], v[50:51], -v[52:53]
	v_add_f64_e64 v[46:47], v[54:55], -v[48:49]
	v_fmac_f64_e32 v[26:27], v[26:27], v[30:31]
	s_delay_alu instid0(VALU_DEP_3) | instskip(NEXT) | instid1(VALU_DEP_3)
	v_add_f64_e32 v[14:15], v[14:15], v[32:33]
	v_add_f64_e64 v[28:29], v[28:29], -v[46:47]
	s_delay_alu instid0(VALU_DEP_3) | instskip(NEXT) | instid1(VALU_DEP_2)
	v_add_f64_e64 v[30:31], -v[26:27], s[30:31]
	v_add_f64_e32 v[14:15], v[14:15], v[28:29]
	s_delay_alu instid0(VALU_DEP_2) | instskip(NEXT) | instid1(VALU_DEP_1)
	v_dual_cndmask_b32 v27, v27, v31, s2 :: v_dual_cndmask_b32 v26, v26, v30, s2
                                        ; implicit-def: $vgpr30_vgpr31
	v_add_f64_e64 v[28:29], -v[26:27], s[34:35]
	s_delay_alu instid0(VALU_DEP_3) | instskip(NEXT) | instid1(VALU_DEP_2)
	v_add_f64_e32 v[14:15], v[54:55], v[14:15]
	v_dual_cndmask_b32 v26, v26, v28 :: v_dual_cndmask_b32 v27, v27, v29
	v_cndmask_b32_e32 v28, 0x3fe921fb, v63, vcc_lo
	s_delay_alu instid0(VALU_DEP_3) | instskip(SKIP_1) | instid1(VALU_DEP_4)
	v_mul_f64_e32 v[14:15], 0.5, v[14:15]
	v_cmp_ngt_f64_e32 vcc_lo, -1.0, v[6:7]
	v_dual_cndmask_b32 v16, v26, v16, s3 :: v_dual_cndmask_b32 v1, v27, v1, s3
	s_and_b32 s3, s4, s5
	v_bfi_b32 v28, 0x7fffffff, v28, v13
	s_delay_alu instid0(VALU_DEP_4) | instskip(SKIP_2) | instid1(VALU_DEP_1)
	v_cndmask_b32_e64 v26, 0, v14, s3
	v_cmp_neq_f64_e64 s3, -1.0, v[6:7]
	v_cndmask_b32_e64 v15, 0x7ff00000, v15, s5
	v_cndmask_b32_e32 v15, 0x7ff80000, v15, vcc_lo
	s_and_b32 vcc_lo, s8, s7
	v_cndmask_b32_e32 v29, v1, v28, vcc_lo
	v_cndmask_b32_e32 v28, v16, v8, vcc_lo
	s_delay_alu instid0(VALU_DEP_3)
	v_cndmask_b32_e64 v27, 0xfff00000, v15, s3
                                        ; implicit-def: $vgpr14_vgpr15
.LBB167_79:                             ;   in Loop: Header=BB167_5 Depth=1
	s_and_not1_saveexec_b32 s48, s6
	s_cbranch_execz .LBB167_87
; %bb.80:                               ;   in Loop: Header=BB167_5 Depth=1
	v_mul_f64_e32 v[6:7], v[14:15], v[14:15]
                                        ; implicit-def: $vgpr26_vgpr27
	s_mov_b32 s3, exec_lo
	s_delay_alu instid0(VALU_DEP_1) | instskip(NEXT) | instid1(VALU_DEP_1)
	v_fmac_f64_e32 v[6:7], v[30:31], v[30:31]
	v_cmpx_ge_f64_e32 s[36:37], v[6:7]
	s_xor_b32 s5, exec_lo, s3
	s_cbranch_execz .LBB167_82
; %bb.81:                               ;   in Loop: Header=BB167_5 Depth=1
	v_frexp_mant_f64_e32 v[14:15], v[6:7]
	v_cmp_eq_f64_e64 s3, 0, v[12:13]
	v_cmp_neq_f64_e64 s4, 0, v[6:7]
	v_cmp_class_f64_e64 s6, v[12:13], 0x204
	v_cmp_class_f64_e64 s7, v[10:11], 0x204
	v_cmp_gt_f64_e32 vcc_lo, s[26:27], v[14:15]
	v_cndmask_b32_e64 v1, 0, 1, vcc_lo
	s_delay_alu instid0(VALU_DEP_1) | instskip(SKIP_1) | instid1(VALU_DEP_2)
	v_ldexp_f64 v[14:15], v[14:15], v1
	v_frexp_exp_i32_f64_e32 v1, v[6:7]
	v_add_f64_e32 v[26:27], 1.0, v[14:15]
	v_add_f64_e32 v[32:33], -1.0, v[14:15]
	s_delay_alu instid0(VALU_DEP_3) | instskip(NEXT) | instid1(VALU_DEP_3)
	v_subrev_co_ci_u32_e64 v1, null, 0, v1, vcc_lo
	v_rcp_f64_e32 v[28:29], v[26:27]
	v_add_f64_e32 v[46:47], -1.0, v[26:27]
	s_delay_alu instid0(VALU_DEP_1) | instskip(NEXT) | instid1(TRANS32_DEP_1)
	v_add_f64_e64 v[14:15], v[14:15], -v[46:47]
	v_fma_f64 v[30:31], -v[26:27], v[28:29], 1.0
	s_delay_alu instid0(VALU_DEP_1) | instskip(NEXT) | instid1(VALU_DEP_1)
	v_fmac_f64_e32 v[28:29], v[30:31], v[28:29]
	v_fma_f64 v[30:31], -v[26:27], v[28:29], 1.0
	s_delay_alu instid0(VALU_DEP_1) | instskip(NEXT) | instid1(VALU_DEP_1)
	v_fmac_f64_e32 v[28:29], v[30:31], v[28:29]
	v_mul_f64_e32 v[30:31], v[32:33], v[28:29]
	s_delay_alu instid0(VALU_DEP_1) | instskip(NEXT) | instid1(VALU_DEP_1)
	v_mul_f64_e32 v[48:49], v[26:27], v[30:31]
	v_fma_f64 v[26:27], v[30:31], v[26:27], -v[48:49]
	s_delay_alu instid0(VALU_DEP_1) | instskip(NEXT) | instid1(VALU_DEP_1)
	v_fmac_f64_e32 v[26:27], v[30:31], v[14:15]
	v_add_f64_e32 v[14:15], v[48:49], v[26:27]
	s_delay_alu instid0(VALU_DEP_1) | instskip(SKIP_1) | instid1(VALU_DEP_2)
	v_add_f64_e64 v[46:47], v[32:33], -v[14:15]
	v_add_f64_e64 v[48:49], v[14:15], -v[48:49]
	v_add_f64_e64 v[32:33], v[32:33], -v[46:47]
	s_delay_alu instid0(VALU_DEP_2) | instskip(NEXT) | instid1(VALU_DEP_2)
	v_add_f64_e64 v[26:27], v[48:49], -v[26:27]
	v_add_f64_e64 v[14:15], v[32:33], -v[14:15]
	v_max_num_f64_e64 v[32:33], |v[10:11]|, |v[10:11]|
	s_delay_alu instid0(VALU_DEP_2) | instskip(SKIP_1) | instid1(VALU_DEP_2)
	v_add_f64_e32 v[14:15], v[26:27], v[14:15]
	v_max_num_f64_e64 v[26:27], |v[12:13]|, |v[12:13]|
	v_add_f64_e32 v[14:15], v[46:47], v[14:15]
	s_delay_alu instid0(VALU_DEP_1) | instskip(NEXT) | instid1(VALU_DEP_3)
	v_mul_f64_e32 v[14:15], v[28:29], v[14:15]
	v_max_num_f64_e32 v[28:29], v[32:33], v[26:27]
	v_min_num_f64_e32 v[26:27], v[32:33], v[26:27]
	s_delay_alu instid0(VALU_DEP_3) | instskip(NEXT) | instid1(VALU_DEP_2)
	v_add_f64_e32 v[32:33], v[30:31], v[14:15]
	v_div_scale_f64 v[46:47], null, v[28:29], v[28:29], v[26:27]
	s_delay_alu instid0(VALU_DEP_2) | instskip(NEXT) | instid1(VALU_DEP_2)
	v_mul_f64_e32 v[48:49], v[32:33], v[32:33]
	v_rcp_f64_e32 v[50:51], v[46:47]
	s_delay_alu instid0(VALU_DEP_1) | instskip(SKIP_1) | instid1(VALU_DEP_2)
	v_fmamk_f64 v[52:53], v[48:49], 0x3fc3ab76bf559e2b, v[38:39]
	v_mul_f64_e32 v[54:55], v[32:33], v[48:49]
	v_fmaak_f64 v[52:53], v[48:49], v[52:53], 0x3fc7474dd7f4df2e
	s_delay_alu instid0(TRANS32_DEP_1) | instskip(NEXT) | instid1(VALU_DEP_2)
	v_fma_f64 v[56:57], -v[46:47], v[50:51], 1.0
	v_fmaak_f64 v[52:53], v[48:49], v[52:53], 0x3fcc71c016291751
	s_delay_alu instid0(VALU_DEP_1) | instskip(NEXT) | instid1(VALU_DEP_1)
	v_fmaak_f64 v[52:53], v[48:49], v[52:53], 0x3fd249249b27acf1
	v_fmaak_f64 v[52:53], v[48:49], v[52:53], 0x3fd99999998ef7b6
	s_delay_alu instid0(VALU_DEP_1) | instskip(SKIP_2) | instid1(VALU_DEP_3)
	v_fmaak_f64 v[48:49], v[48:49], v[52:53], 0x3fe5555555555780
	v_ldexp_f64 v[52:53], v[32:33], 1
	v_fmac_f64_e32 v[50:51], v[50:51], v[56:57]
	v_mul_f64_e32 v[48:49], v[54:55], v[48:49]
	v_cvt_f64_i32_e32 v[54:55], v1
	v_ashrrev_i32_e32 v1, 31, v11
	v_add_f64_e64 v[30:31], v[32:33], -v[30:31]
	s_delay_alu instid0(VALU_DEP_2)
	v_and_b32_e32 v16, 0x54442d18, v1
	v_and_b32_e32 v1, 0x400921fb, v1
	v_fma_f64 v[56:57], -v[46:47], v[50:51], 1.0
	v_add_f64_e32 v[32:33], v[52:53], v[48:49]
	v_mul_f64_e32 v[58:59], 0x3fe62e42fefa39ef, v[54:55]
	v_add_f64_e64 v[14:15], v[14:15], -v[30:31]
	s_delay_alu instid0(VALU_DEP_4) | instskip(NEXT) | instid1(VALU_DEP_4)
	v_fmac_f64_e32 v[50:51], v[50:51], v[56:57]
	v_add_f64_e64 v[30:31], v[32:33], -v[52:53]
	v_div_scale_f64 v[52:53], vcc_lo, v[26:27], v[28:29], v[26:27]
	v_fma_f64 v[56:57], v[54:55], s[28:29], -v[58:59]
	v_ldexp_f64 v[14:15], v[14:15], 1
	s_delay_alu instid0(VALU_DEP_4) | instskip(NEXT) | instid1(VALU_DEP_4)
	v_add_f64_e64 v[30:31], v[48:49], -v[30:31]
	v_mul_f64_e32 v[48:49], v[52:53], v[50:51]
	s_delay_alu instid0(VALU_DEP_4) | instskip(NEXT) | instid1(VALU_DEP_3)
	v_fmac_f64_e32 v[56:57], 0x3c7abc9e3b39803f, v[54:55]
	v_add_f64_e32 v[14:15], v[14:15], v[30:31]
	s_delay_alu instid0(VALU_DEP_3) | instskip(NEXT) | instid1(VALU_DEP_3)
	v_fma_f64 v[30:31], -v[46:47], v[48:49], v[52:53]
	v_add_f64_e32 v[46:47], v[58:59], v[56:57]
	s_delay_alu instid0(VALU_DEP_3) | instskip(NEXT) | instid1(VALU_DEP_3)
	v_add_f64_e32 v[52:53], v[32:33], v[14:15]
	v_div_fmas_f64 v[30:31], v[30:31], v[50:51], v[48:49]
	v_cmp_gt_i32_e32 vcc_lo, 0, v11
	s_delay_alu instid0(VALU_DEP_4) | instskip(SKIP_2) | instid1(VALU_DEP_2)
	v_add_f64_e64 v[50:51], v[46:47], -v[58:59]
	v_cndmask_b32_e32 v6, 0x3fe921fb, v63, vcc_lo
	v_cndmask_b32_e32 v8, 0x54442d18, v62, vcc_lo
	v_bfi_b32 v6, 0x7fffffff, v6, v13
	v_add_f64_e32 v[48:49], v[46:47], v[52:53]
	v_div_fixup_f64 v[26:27], v[30:31], v[28:29], v[26:27]
	v_add_f64_e64 v[32:33], v[52:53], -v[32:33]
	v_add_f64_e64 v[50:51], v[56:57], -v[50:51]
	s_delay_alu instid0(VALU_DEP_4) | instskip(NEXT) | instid1(VALU_DEP_4)
	v_add_f64_e64 v[28:29], v[48:49], -v[46:47]
	v_mul_f64_e32 v[30:31], v[26:27], v[26:27]
	s_delay_alu instid0(VALU_DEP_4) | instskip(NEXT) | instid1(VALU_DEP_3)
	v_add_f64_e64 v[14:15], v[14:15], -v[32:33]
	v_add_f64_e64 v[54:55], v[48:49], -v[28:29]
	s_delay_alu instid0(VALU_DEP_3) | instskip(SKIP_1) | instid1(VALU_DEP_4)
	v_fmamk_f64 v[58:59], v[30:31], 0x3eeba404b5e68a13, v[40:41]
	v_add_f64_e64 v[28:29], v[52:53], -v[28:29]
	v_add_f64_e32 v[52:53], v[50:51], v[14:15]
	s_delay_alu instid0(VALU_DEP_3) | instskip(NEXT) | instid1(VALU_DEP_1)
	v_fmaak_f64 v[58:59], v[30:31], v[58:59], 0x3f4b2bb069efb384
	v_fmaak_f64 v[58:59], v[30:31], v[58:59], 0xbf67952daf56de9b
	v_add_f64_e64 v[32:33], v[46:47], -v[54:55]
	s_delay_alu instid0(VALU_DEP_2) | instskip(NEXT) | instid1(VALU_DEP_1)
	v_fmaak_f64 v[46:47], v[30:31], v[58:59], 0x3f7d6d43a595c56f
	v_fmaak_f64 v[46:47], v[30:31], v[46:47], 0xbf8c6ea4a57d9582
	s_delay_alu instid0(VALU_DEP_1) | instskip(NEXT) | instid1(VALU_DEP_1)
	v_fmaak_f64 v[46:47], v[30:31], v[46:47], 0x3f967e295f08b19f
	v_fmaak_f64 v[46:47], v[30:31], v[46:47], 0xbf9e9ae6fc27006a
	s_delay_alu instid0(VALU_DEP_1) | instskip(SKIP_1) | instid1(VALU_DEP_2)
	v_fmaak_f64 v[46:47], v[30:31], v[46:47], 0x3fa2c15b5711927a
	v_add_f64_e32 v[28:29], v[28:29], v[32:33]
	v_fmaak_f64 v[32:33], v[30:31], v[46:47], 0xbfa59976e82d3ff0
	v_add_f64_e64 v[46:47], v[52:53], -v[50:51]
	s_delay_alu instid0(VALU_DEP_2) | instskip(NEXT) | instid1(VALU_DEP_1)
	v_fmaak_f64 v[32:33], v[30:31], v[32:33], 0x3fa82d5d6ef28734
	v_fmaak_f64 v[32:33], v[30:31], v[32:33], 0xbfaae5ce6a214619
	s_delay_alu instid0(VALU_DEP_1) | instskip(NEXT) | instid1(VALU_DEP_1)
	v_fmaak_f64 v[32:33], v[30:31], v[32:33], 0x3fae1bb48427b883
	v_fmaak_f64 v[32:33], v[30:31], v[32:33], 0xbfb110e48b207f05
	v_add_f64_e32 v[28:29], v[52:53], v[28:29]
	v_add_f64_e64 v[52:53], v[52:53], -v[46:47]
	v_add_f64_e64 v[14:15], v[14:15], -v[46:47]
	s_delay_alu instid0(VALU_DEP_4) | instskip(NEXT) | instid1(VALU_DEP_1)
	v_fmaak_f64 v[32:33], v[30:31], v[32:33], 0x3fb3b13657b87036
	v_fmaak_f64 v[32:33], v[30:31], v[32:33], 0xbfb745d119378e4f
	s_delay_alu instid0(VALU_DEP_1) | instskip(NEXT) | instid1(VALU_DEP_1)
	v_fmaak_f64 v[32:33], v[30:31], v[32:33], 0x3fbc71c717e1913c
	v_fmaak_f64 v[32:33], v[30:31], v[32:33], 0xbfc2492492376b7d
	v_add_f64_e32 v[54:55], v[48:49], v[28:29]
	s_delay_alu instid0(VALU_DEP_2) | instskip(NEXT) | instid1(VALU_DEP_1)
	v_fmaak_f64 v[32:33], v[30:31], v[32:33], 0x3fc99999999952cc
	v_fmaak_f64 v[32:33], v[30:31], v[32:33], 0xbfd5555555555523
	s_delay_alu instid0(VALU_DEP_1) | instskip(SKIP_2) | instid1(VALU_DEP_3)
	v_mul_f64_e32 v[30:31], v[30:31], v[32:33]
	v_add_f64_e64 v[32:33], v[50:51], -v[52:53]
	v_add_f64_e64 v[46:47], v[54:55], -v[48:49]
	v_fmac_f64_e32 v[26:27], v[26:27], v[30:31]
	s_delay_alu instid0(VALU_DEP_3) | instskip(NEXT) | instid1(VALU_DEP_3)
	v_add_f64_e32 v[14:15], v[14:15], v[32:33]
	v_add_f64_e64 v[28:29], v[28:29], -v[46:47]
	s_delay_alu instid0(VALU_DEP_3) | instskip(NEXT) | instid1(VALU_DEP_2)
	v_add_f64_e64 v[30:31], -v[26:27], s[30:31]
	v_add_f64_e32 v[14:15], v[14:15], v[28:29]
	s_delay_alu instid0(VALU_DEP_2) | instskip(NEXT) | instid1(VALU_DEP_1)
	v_dual_cndmask_b32 v27, v27, v31, s2 :: v_dual_cndmask_b32 v26, v26, v30, s2
                                        ; implicit-def: $vgpr30_vgpr31
	v_add_f64_e64 v[28:29], -v[26:27], s[34:35]
	s_delay_alu instid0(VALU_DEP_3) | instskip(NEXT) | instid1(VALU_DEP_2)
	v_add_f64_e32 v[14:15], v[54:55], v[14:15]
	v_dual_cndmask_b32 v26, v26, v28 :: v_dual_cndmask_b32 v7, v27, v29
	s_and_b32 vcc_lo, s7, s6
	s_delay_alu instid0(VALU_DEP_1) | instskip(NEXT) | instid1(VALU_DEP_1)
	v_dual_cndmask_b32 v16, v26, v16, s3 :: v_dual_cndmask_b32 v1, v7, v1, s3
	v_dual_mul_f64 v[14:15], 0.5, v[14:15] :: v_dual_cndmask_b32 v28, v16, v8, vcc_lo
	s_delay_alu instid0(VALU_DEP_2) | instskip(NEXT) | instid1(VALU_DEP_2)
	v_cndmask_b32_e32 v29, v1, v6, vcc_lo
	v_cndmask_b32_e64 v27, 0xfff00000, v15, s4
	s_delay_alu instid0(VALU_DEP_3)
	v_cndmask_b32_e64 v26, 0, v14, s4
                                        ; implicit-def: $vgpr14_vgpr15
.LBB167_82:                             ;   in Loop: Header=BB167_5 Depth=1
	s_and_not1_saveexec_b32 s49, s5
	s_cbranch_execz .LBB167_86
; %bb.83:                               ;   in Loop: Header=BB167_5 Depth=1
	v_and_b32_e32 v37, 0x7ffffff8, v31
	v_and_b32_e32 v27, 0x7ffffff8, v15
	v_mov_b32_e32 v26, v36
	s_mov_b32 s50, 0
	s_delay_alu instid0(VALU_DEP_3) | instskip(NEXT) | instid1(VALU_DEP_2)
	v_dual_add_f64 v[6:7], v[30:31], -v[36:37] :: v_dual_mov_b32 v30, v36
	v_dual_add_f64 v[14:15], v[14:15], -v[26:27] :: v_dual_mov_b32 v32, v36
	v_add_f64_e32 v[46:47], v[36:37], v[36:37]
	v_add_f64_e32 v[54:55], v[26:27], v[26:27]
	v_mul_f64_e32 v[28:29], v[26:27], v[26:27]
	v_and_b32_e32 v31, -8, v7
	v_and_b32_e32 v33, -8, v15
	s_delay_alu instid0(VALU_DEP_2) | instskip(SKIP_1) | instid1(VALU_DEP_3)
	v_add_f64_e64 v[56:57], v[6:7], -v[30:31]
	v_add_f64_e32 v[60:61], v[30:31], v[30:31]
	v_add_f64_e64 v[58:59], v[14:15], -v[32:33]
	v_add_f64_e32 v[64:65], v[32:33], v[32:33]
	v_mul_f64_e32 v[6:7], v[36:37], v[36:37]
	v_mul_f64_e32 v[52:53], v[46:47], v[30:31]
	;; [unrolled: 1-line block ×11, first 2 shown]
.LBB167_84:                             ;   Parent Loop BB167_5 Depth=1
                                        ; =>  This Inner Loop Header: Depth=2
	v_cmp_nlt_f64_e32 vcc_lo, v[6:7], v[28:29]
	v_dual_cndmask_b32 v59, v7, v29 :: v_dual_cndmask_b32 v58, v6, v28
	v_dual_cndmask_b32 v7, v29, v7 :: v_dual_cndmask_b32 v6, v28, v6
	s_delay_alu instid0(VALU_DEP_2) | instskip(NEXT) | instid1(VALU_DEP_1)
	v_cmp_nlt_f64_e64 s3, v[58:59], v[52:53]
	v_dual_cndmask_b32 v61, v59, v53, s3 :: v_dual_cndmask_b32 v60, v58, v52, s3
	v_dual_cndmask_b32 v29, v53, v59, s3 :: v_dual_cndmask_b32 v28, v52, v58, s3
	s_and_b32 s3, vcc_lo, s3
	s_delay_alu instid0(VALU_DEP_2) | instskip(NEXT) | instid1(VALU_DEP_1)
	v_cmp_nlt_f64_e64 s4, v[60:61], v[26:27]
	v_dual_cndmask_b32 v65, v61, v27, s4 :: v_dual_cndmask_b32 v64, v60, v26, s4
	v_dual_cndmask_b32 v53, v27, v61, s4 :: v_dual_cndmask_b32 v52, v26, v60, s4
	s_delay_alu instid0(VALU_DEP_2) | instskip(NEXT) | instid1(VALU_DEP_1)
	v_cmp_nlt_f64_e64 s5, v[64:65], v[50:51]
	v_dual_cndmask_b32 v67, v65, v51, s5 :: v_dual_cndmask_b32 v66, v64, v50, s5
	v_dual_cndmask_b32 v27, v51, v65, s5 :: v_dual_cndmask_b32 v26, v50, v64, s5
	s_and_b32 s4, s4, s5
	s_delay_alu instid0(VALU_DEP_2) | instskip(NEXT) | instid1(VALU_DEP_1)
	v_cmp_nlt_f64_e64 s6, v[66:67], v[14:15]
	v_dual_cndmask_b32 v69, v67, v15, s6 :: v_dual_cndmask_b32 v68, v66, v14, s6
	v_dual_cndmask_b32 v51, v15, v67, s6 :: v_dual_cndmask_b32 v50, v14, v66, s6
	s_delay_alu instid0(VALU_DEP_2) | instskip(NEXT) | instid1(VALU_DEP_1)
	v_cmp_nlt_f64_e64 s7, v[68:69], v[48:49]
	v_dual_cndmask_b32 v71, v69, v49, s7 :: v_dual_cndmask_b32 v70, v68, v48, s7
	s_and_b32 s5, s6, s7
	v_dual_cndmask_b32 v15, v49, v69, s7 :: v_dual_cndmask_b32 v14, v48, v68, s7
	s_delay_alu instid0(VALU_DEP_2) | instskip(NEXT) | instid1(VALU_DEP_1)
	v_cmp_nlt_f64_e64 s8, v[70:71], v[46:47]
	v_dual_cndmask_b32 v73, v71, v47, s8 :: v_dual_cndmask_b32 v72, v70, v46, s8
	s_and_b32 s5, s5, s8
	v_dual_cndmask_b32 v49, v47, v71, s8 :: v_dual_cndmask_b32 v48, v46, v70, s8
	s_delay_alu instid0(VALU_DEP_2) | instskip(NEXT) | instid1(VALU_DEP_1)
	v_cmp_nlt_f64_e64 s9, v[72:73], v[32:33]
	v_dual_cndmask_b32 v75, v73, v33, s9 :: v_dual_cndmask_b32 v74, v72, v32, s9
	s_and_b32 s5, s5, s9
	v_dual_cndmask_b32 v47, v33, v73, s9 :: v_dual_cndmask_b32 v46, v32, v72, s9
	s_delay_alu instid0(VALU_DEP_2) | instskip(NEXT) | instid1(VALU_DEP_1)
	v_cmp_nlt_f64_e64 s10, v[74:75], v[30:31]
	v_dual_cndmask_b32 v77, v75, v31, s10 :: v_dual_cndmask_b32 v76, v74, v30, s10
	s_and_b32 s5, s5, s10
	v_dual_cndmask_b32 v33, v31, v75, s10 :: v_dual_cndmask_b32 v32, v30, v74, s10
	s_delay_alu instid0(VALU_DEP_2) | instskip(NEXT) | instid1(VALU_DEP_1)
	v_cmp_nlt_f64_e64 s11, v[76:77], v[54:55]
	v_dual_cndmask_b32 v79, v77, v55, s11 :: v_dual_cndmask_b32 v78, v76, v54, s11
	s_and_b32 s5, s5, s11
	v_dual_cndmask_b32 v31, v55, v77, s11 :: v_dual_cndmask_b32 v30, v54, v76, s11
	s_delay_alu instid0(VALU_DEP_2) | instskip(NEXT) | instid1(VALU_DEP_1)
	v_cmp_nlt_f64_e64 s12, v[78:79], v[56:57]
	v_dual_cndmask_b32 v59, v79, v57, s12 :: v_dual_cndmask_b32 v58, v78, v56, s12
	s_and_b32 s5, s5, s12
	v_dual_cndmask_b32 v55, v57, v79, s12 :: v_dual_cndmask_b32 v54, v56, v78, s12
	s_and_b32 s4, s5, s4
	s_delay_alu instid0(VALU_DEP_2) | instskip(SKIP_1) | instid1(SALU_CYCLE_1)
	v_mov_b64_e32 v[56:57], v[58:59]
	s_and_b32 s3, s4, s3
	s_and_b32 s3, exec_lo, s3
	s_delay_alu instid0(SALU_CYCLE_1) | instskip(NEXT) | instid1(SALU_CYCLE_1)
	s_or_b32 s50, s3, s50
	s_and_not1_b32 exec_lo, exec_lo, s50
	s_cbranch_execnz .LBB167_84
; %bb.85:                               ;   in Loop: Header=BB167_5 Depth=1
	s_or_b32 exec_lo, exec_lo, s50
	v_add_f64_e32 v[6:7], -1.0, v[6:7]
	v_cmp_eq_f64_e64 s3, 0, v[12:13]
	v_cmp_class_f64_e64 s6, v[12:13], 0x204
	v_cmp_class_f64_e64 s7, v[10:11], 0x204
	s_delay_alu instid0(VALU_DEP_4) | instskip(NEXT) | instid1(VALU_DEP_1)
	v_add_f64_e32 v[6:7], v[6:7], v[28:29]
	v_add_f64_e32 v[6:7], v[6:7], v[52:53]
	s_delay_alu instid0(VALU_DEP_1) | instskip(NEXT) | instid1(VALU_DEP_1)
	v_add_f64_e32 v[6:7], v[6:7], v[26:27]
	v_add_f64_e32 v[6:7], v[6:7], v[50:51]
	s_delay_alu instid0(VALU_DEP_1) | instskip(NEXT) | instid1(VALU_DEP_1)
	;; [unrolled: 3-line block ×5, first 2 shown]
	v_add_f64_e32 v[6:7], v[58:59], v[6:7]
	v_add_f64_e32 v[14:15], 1.0, v[6:7]
	v_cmp_nge_f64_e64 s4, -1.0, v[6:7]
	v_cmp_neq_f64_e64 s5, 0x7ff00000, v[6:7]
	s_delay_alu instid0(VALU_DEP_3) | instskip(SKIP_2) | instid1(VALU_DEP_3)
	v_frexp_mant_f64_e32 v[26:27], v[14:15]
	v_frexp_exp_i32_f64_e32 v1, v[14:15]
	v_add_f64_e32 v[28:29], -1.0, v[14:15]
	v_cmp_gt_f64_e32 vcc_lo, s[26:27], v[26:27]
	s_delay_alu instid0(VALU_DEP_2) | instskip(SKIP_2) | instid1(VALU_DEP_1)
	v_add_f64_e64 v[26:27], v[28:29], -v[14:15]
	v_add_f64_e64 v[28:29], v[6:7], -v[28:29]
	v_subrev_co_ci_u32_e64 v1, null, 0, v1, vcc_lo
	v_dual_add_f64 v[26:27], 1.0, v[26:27] :: v_dual_sub_nc_u32 v8, 0, v1
	s_delay_alu instid0(VALU_DEP_1) | instskip(NEXT) | instid1(VALU_DEP_2)
	v_ldexp_f64 v[14:15], v[14:15], v8
	v_add_f64_e32 v[26:27], v[28:29], v[26:27]
	s_delay_alu instid0(VALU_DEP_2) | instskip(SKIP_1) | instid1(VALU_DEP_3)
	v_add_f64_e32 v[30:31], 1.0, v[14:15]
	v_add_f64_e32 v[48:49], -1.0, v[14:15]
	v_ldexp_f64 v[26:27], v[26:27], v8
	s_delay_alu instid0(VALU_DEP_3) | instskip(NEXT) | instid1(VALU_DEP_3)
	v_add_f64_e32 v[28:29], -1.0, v[30:31]
	v_add_f64_e32 v[50:51], 1.0, v[48:49]
	s_delay_alu instid0(VALU_DEP_2) | instskip(NEXT) | instid1(VALU_DEP_2)
	v_add_f64_e64 v[28:29], v[14:15], -v[28:29]
	v_add_f64_e64 v[14:15], v[14:15], -v[50:51]
	s_delay_alu instid0(VALU_DEP_2) | instskip(NEXT) | instid1(VALU_DEP_2)
	v_add_f64_e32 v[28:29], v[26:27], v[28:29]
	v_add_f64_e32 v[14:15], v[26:27], v[14:15]
	s_delay_alu instid0(VALU_DEP_2) | instskip(NEXT) | instid1(VALU_DEP_2)
	v_add_f64_e32 v[32:33], v[30:31], v[28:29]
	v_add_f64_e32 v[50:51], v[48:49], v[14:15]
	s_delay_alu instid0(VALU_DEP_2) | instskip(SKIP_1) | instid1(VALU_DEP_2)
	v_rcp_f64_e32 v[46:47], v[32:33]
	v_add_f64_e64 v[30:31], v[32:33], -v[30:31]
	v_add_f64_e64 v[48:49], v[50:51], -v[48:49]
	s_delay_alu instid0(VALU_DEP_2) | instskip(NEXT) | instid1(VALU_DEP_2)
	v_add_f64_e64 v[28:29], v[28:29], -v[30:31]
	v_add_f64_e64 v[14:15], v[14:15], -v[48:49]
	s_delay_alu instid0(TRANS32_DEP_1) | instskip(NEXT) | instid1(VALU_DEP_1)
	v_fma_f64 v[52:53], -v[32:33], v[46:47], 1.0
	v_fmac_f64_e32 v[46:47], v[52:53], v[46:47]
	s_delay_alu instid0(VALU_DEP_1) | instskip(NEXT) | instid1(VALU_DEP_1)
	v_fma_f64 v[26:27], -v[32:33], v[46:47], 1.0
	v_fmac_f64_e32 v[46:47], v[26:27], v[46:47]
	s_delay_alu instid0(VALU_DEP_1) | instskip(NEXT) | instid1(VALU_DEP_1)
	v_mul_f64_e32 v[26:27], v[50:51], v[46:47]
	v_mul_f64_e32 v[52:53], v[32:33], v[26:27]
	s_delay_alu instid0(VALU_DEP_1) | instskip(NEXT) | instid1(VALU_DEP_1)
	v_fma_f64 v[30:31], v[26:27], v[32:33], -v[52:53]
	v_fmac_f64_e32 v[30:31], v[26:27], v[28:29]
	s_delay_alu instid0(VALU_DEP_1) | instskip(NEXT) | instid1(VALU_DEP_1)
	v_add_f64_e32 v[54:55], v[52:53], v[30:31]
	v_add_f64_e64 v[56:57], v[50:51], -v[54:55]
	v_add_f64_e64 v[48:49], v[54:55], -v[52:53]
	s_delay_alu instid0(VALU_DEP_2) | instskip(NEXT) | instid1(VALU_DEP_2)
	v_add_f64_e64 v[50:51], v[50:51], -v[56:57]
	v_add_f64_e64 v[30:31], v[48:49], -v[30:31]
	s_delay_alu instid0(VALU_DEP_2) | instskip(NEXT) | instid1(VALU_DEP_1)
	v_add_f64_e64 v[50:51], v[50:51], -v[54:55]
	v_add_f64_e32 v[14:15], v[14:15], v[50:51]
	s_delay_alu instid0(VALU_DEP_1) | instskip(NEXT) | instid1(VALU_DEP_1)
	v_add_f64_e32 v[14:15], v[30:31], v[14:15]
	v_add_f64_e32 v[30:31], v[56:57], v[14:15]
	s_delay_alu instid0(VALU_DEP_1) | instskip(SKIP_1) | instid1(VALU_DEP_2)
	v_mul_f64_e32 v[48:49], v[46:47], v[30:31]
	v_add_f64_e64 v[54:55], v[56:57], -v[30:31]
	v_mul_f64_e32 v[50:51], v[32:33], v[48:49]
	s_delay_alu instid0(VALU_DEP_2) | instskip(NEXT) | instid1(VALU_DEP_2)
	v_add_f64_e32 v[14:15], v[14:15], v[54:55]
	v_fma_f64 v[32:33], v[48:49], v[32:33], -v[50:51]
	s_delay_alu instid0(VALU_DEP_1) | instskip(NEXT) | instid1(VALU_DEP_1)
	v_fmac_f64_e32 v[32:33], v[48:49], v[28:29]
	v_add_f64_e32 v[28:29], v[50:51], v[32:33]
	s_delay_alu instid0(VALU_DEP_1) | instskip(SKIP_1) | instid1(VALU_DEP_2)
	v_add_f64_e64 v[52:53], v[30:31], -v[28:29]
	v_add_f64_e64 v[50:51], v[28:29], -v[50:51]
	;; [unrolled: 1-line block ×3, first 2 shown]
	s_delay_alu instid0(VALU_DEP_1) | instskip(NEXT) | instid1(VALU_DEP_3)
	v_add_f64_e64 v[28:29], v[30:31], -v[28:29]
	v_add_f64_e64 v[30:31], v[50:51], -v[32:33]
	v_max_num_f64_e64 v[32:33], |v[10:11]|, |v[10:11]|
	s_delay_alu instid0(VALU_DEP_3) | instskip(SKIP_1) | instid1(VALU_DEP_2)
	v_add_f64_e32 v[14:15], v[14:15], v[28:29]
	v_add_f64_e32 v[28:29], v[26:27], v[48:49]
	v_add_f64_e32 v[14:15], v[30:31], v[14:15]
	s_delay_alu instid0(VALU_DEP_2) | instskip(SKIP_1) | instid1(VALU_DEP_3)
	v_add_f64_e64 v[26:27], v[28:29], -v[26:27]
	v_max_num_f64_e64 v[30:31], |v[12:13]|, |v[12:13]|
	v_add_f64_e32 v[14:15], v[52:53], v[14:15]
	s_delay_alu instid0(VALU_DEP_3) | instskip(NEXT) | instid1(VALU_DEP_2)
	v_add_f64_e64 v[26:27], v[48:49], -v[26:27]
	v_mul_f64_e32 v[14:15], v[46:47], v[14:15]
	s_delay_alu instid0(VALU_DEP_1) | instskip(SKIP_2) | instid1(VALU_DEP_3)
	v_add_f64_e32 v[14:15], v[26:27], v[14:15]
	v_max_num_f64_e32 v[26:27], v[32:33], v[30:31]
	v_min_num_f64_e32 v[30:31], v[32:33], v[30:31]
	v_add_f64_e32 v[32:33], v[28:29], v[14:15]
	s_delay_alu instid0(VALU_DEP_2) | instskip(NEXT) | instid1(VALU_DEP_2)
	v_div_scale_f64 v[46:47], null, v[26:27], v[26:27], v[30:31]
	v_mul_f64_e32 v[48:49], v[32:33], v[32:33]
	v_add_f64_e64 v[28:29], v[32:33], -v[28:29]
	s_delay_alu instid0(VALU_DEP_3) | instskip(NEXT) | instid1(VALU_DEP_2)
	v_rcp_f64_e32 v[50:51], v[46:47]
	v_fmamk_f64 v[52:53], v[48:49], 0x3fc3ab76bf559e2b, v[38:39]
	v_mul_f64_e32 v[54:55], v[32:33], v[48:49]
	s_delay_alu instid0(VALU_DEP_3) | instskip(NEXT) | instid1(VALU_DEP_3)
	v_add_f64_e64 v[14:15], v[14:15], -v[28:29]
	v_fmaak_f64 v[52:53], v[48:49], v[52:53], 0x3fc7474dd7f4df2e
	s_delay_alu instid0(TRANS32_DEP_1) | instskip(NEXT) | instid1(VALU_DEP_2)
	v_fma_f64 v[56:57], -v[46:47], v[50:51], 1.0
	v_fmaak_f64 v[52:53], v[48:49], v[52:53], 0x3fcc71c016291751
	s_delay_alu instid0(VALU_DEP_1) | instskip(NEXT) | instid1(VALU_DEP_1)
	v_fmaak_f64 v[52:53], v[48:49], v[52:53], 0x3fd249249b27acf1
	v_fmaak_f64 v[52:53], v[48:49], v[52:53], 0x3fd99999998ef7b6
	v_ldexp_f64 v[14:15], v[14:15], 1
	s_delay_alu instid0(VALU_DEP_2) | instskip(SKIP_2) | instid1(VALU_DEP_3)
	v_fmaak_f64 v[48:49], v[48:49], v[52:53], 0x3fe5555555555780
	v_ldexp_f64 v[52:53], v[32:33], 1
	v_fmac_f64_e32 v[50:51], v[50:51], v[56:57]
	v_mul_f64_e32 v[48:49], v[54:55], v[48:49]
	v_cvt_f64_i32_e32 v[54:55], v1
	v_ashrrev_i32_e32 v1, 31, v11
	s_delay_alu instid0(VALU_DEP_1) | instskip(SKIP_4) | instid1(VALU_DEP_3)
	v_and_b32_e32 v16, 0x54442d18, v1
	v_and_b32_e32 v1, 0x400921fb, v1
	v_fma_f64 v[56:57], -v[46:47], v[50:51], 1.0
	v_add_f64_e32 v[32:33], v[52:53], v[48:49]
	v_mul_f64_e32 v[58:59], 0x3fe62e42fefa39ef, v[54:55]
	v_fmac_f64_e32 v[50:51], v[50:51], v[56:57]
	s_delay_alu instid0(VALU_DEP_3) | instskip(SKIP_1) | instid1(VALU_DEP_4)
	v_add_f64_e64 v[28:29], v[32:33], -v[52:53]
	v_div_scale_f64 v[52:53], vcc_lo, v[30:31], v[26:27], v[30:31]
	v_fma_f64 v[56:57], v[54:55], s[28:29], -v[58:59]
	s_delay_alu instid0(VALU_DEP_3) | instskip(NEXT) | instid1(VALU_DEP_3)
	v_add_f64_e64 v[28:29], v[48:49], -v[28:29]
	v_mul_f64_e32 v[48:49], v[52:53], v[50:51]
	s_delay_alu instid0(VALU_DEP_3) | instskip(NEXT) | instid1(VALU_DEP_3)
	v_fmac_f64_e32 v[56:57], 0x3c7abc9e3b39803f, v[54:55]
	v_add_f64_e32 v[14:15], v[14:15], v[28:29]
	s_delay_alu instid0(VALU_DEP_3) | instskip(NEXT) | instid1(VALU_DEP_3)
	v_fma_f64 v[28:29], -v[46:47], v[48:49], v[52:53]
	v_add_f64_e32 v[46:47], v[58:59], v[56:57]
	s_delay_alu instid0(VALU_DEP_3) | instskip(NEXT) | instid1(VALU_DEP_3)
	v_add_f64_e32 v[52:53], v[32:33], v[14:15]
	v_div_fmas_f64 v[28:29], v[28:29], v[50:51], v[48:49]
	v_cmp_gt_i32_e32 vcc_lo, 0, v11
	s_delay_alu instid0(VALU_DEP_4)
	v_add_f64_e64 v[50:51], v[46:47], -v[58:59]
	v_cndmask_b32_e32 v8, 0x54442d18, v62, vcc_lo
	v_add_f64_e32 v[48:49], v[46:47], v[52:53]
	v_div_fixup_f64 v[26:27], v[28:29], v[26:27], v[30:31]
	v_add_f64_e64 v[32:33], v[52:53], -v[32:33]
	v_add_f64_e64 v[50:51], v[56:57], -v[50:51]
	s_delay_alu instid0(VALU_DEP_4) | instskip(NEXT) | instid1(VALU_DEP_4)
	v_add_f64_e64 v[28:29], v[48:49], -v[46:47]
	v_mul_f64_e32 v[30:31], v[26:27], v[26:27]
	s_delay_alu instid0(VALU_DEP_4) | instskip(NEXT) | instid1(VALU_DEP_3)
	v_add_f64_e64 v[14:15], v[14:15], -v[32:33]
	v_add_f64_e64 v[54:55], v[48:49], -v[28:29]
	s_delay_alu instid0(VALU_DEP_3) | instskip(SKIP_1) | instid1(VALU_DEP_4)
	v_fmamk_f64 v[58:59], v[30:31], 0x3eeba404b5e68a13, v[40:41]
	v_add_f64_e64 v[28:29], v[52:53], -v[28:29]
	v_add_f64_e32 v[52:53], v[50:51], v[14:15]
	s_delay_alu instid0(VALU_DEP_3) | instskip(SKIP_1) | instid1(VALU_DEP_2)
	v_fmaak_f64 v[58:59], v[30:31], v[58:59], 0x3f4b2bb069efb384
	v_add_f64_e64 v[32:33], v[46:47], -v[54:55]
	v_fmaak_f64 v[46:47], v[30:31], v[58:59], 0xbf67952daf56de9b
	s_delay_alu instid0(VALU_DEP_1) | instskip(NEXT) | instid1(VALU_DEP_1)
	v_fmaak_f64 v[46:47], v[30:31], v[46:47], 0x3f7d6d43a595c56f
	v_fmaak_f64 v[46:47], v[30:31], v[46:47], 0xbf8c6ea4a57d9582
	s_delay_alu instid0(VALU_DEP_1) | instskip(NEXT) | instid1(VALU_DEP_1)
	v_fmaak_f64 v[46:47], v[30:31], v[46:47], 0x3f967e295f08b19f
	v_fmaak_f64 v[46:47], v[30:31], v[46:47], 0xbf9e9ae6fc27006a
	v_add_f64_e32 v[28:29], v[28:29], v[32:33]
	s_delay_alu instid0(VALU_DEP_2) | instskip(SKIP_1) | instid1(VALU_DEP_2)
	v_fmaak_f64 v[32:33], v[30:31], v[46:47], 0x3fa2c15b5711927a
	v_add_f64_e64 v[46:47], v[52:53], -v[50:51]
	v_fmaak_f64 v[32:33], v[30:31], v[32:33], 0xbfa59976e82d3ff0
	s_delay_alu instid0(VALU_DEP_1) | instskip(NEXT) | instid1(VALU_DEP_1)
	v_fmaak_f64 v[32:33], v[30:31], v[32:33], 0x3fa82d5d6ef28734
	v_fmaak_f64 v[32:33], v[30:31], v[32:33], 0xbfaae5ce6a214619
	s_delay_alu instid0(VALU_DEP_1) | instskip(SKIP_3) | instid1(VALU_DEP_4)
	v_fmaak_f64 v[32:33], v[30:31], v[32:33], 0x3fae1bb48427b883
	v_add_f64_e32 v[28:29], v[52:53], v[28:29]
	v_add_f64_e64 v[52:53], v[52:53], -v[46:47]
	v_add_f64_e64 v[14:15], v[14:15], -v[46:47]
	v_fmaak_f64 v[32:33], v[30:31], v[32:33], 0xbfb110e48b207f05
	s_delay_alu instid0(VALU_DEP_1) | instskip(NEXT) | instid1(VALU_DEP_1)
	v_fmaak_f64 v[32:33], v[30:31], v[32:33], 0x3fb3b13657b87036
	v_fmaak_f64 v[32:33], v[30:31], v[32:33], 0xbfb745d119378e4f
	s_delay_alu instid0(VALU_DEP_1) | instskip(SKIP_1) | instid1(VALU_DEP_2)
	v_fmaak_f64 v[32:33], v[30:31], v[32:33], 0x3fbc71c717e1913c
	v_add_f64_e32 v[54:55], v[48:49], v[28:29]
	v_fmaak_f64 v[32:33], v[30:31], v[32:33], 0xbfc2492492376b7d
	s_delay_alu instid0(VALU_DEP_1) | instskip(NEXT) | instid1(VALU_DEP_1)
	v_fmaak_f64 v[32:33], v[30:31], v[32:33], 0x3fc99999999952cc
	v_fmaak_f64 v[32:33], v[30:31], v[32:33], 0xbfd5555555555523
	s_delay_alu instid0(VALU_DEP_1) | instskip(SKIP_2) | instid1(VALU_DEP_3)
	v_mul_f64_e32 v[30:31], v[30:31], v[32:33]
	v_add_f64_e64 v[32:33], v[50:51], -v[52:53]
	v_add_f64_e64 v[46:47], v[54:55], -v[48:49]
	v_fmac_f64_e32 v[26:27], v[26:27], v[30:31]
	s_delay_alu instid0(VALU_DEP_3) | instskip(NEXT) | instid1(VALU_DEP_3)
	v_add_f64_e32 v[14:15], v[14:15], v[32:33]
	v_add_f64_e64 v[28:29], v[28:29], -v[46:47]
	s_delay_alu instid0(VALU_DEP_3) | instskip(NEXT) | instid1(VALU_DEP_2)
	v_add_f64_e64 v[30:31], -v[26:27], s[30:31]
	v_add_f64_e32 v[14:15], v[14:15], v[28:29]
	s_delay_alu instid0(VALU_DEP_2) | instskip(NEXT) | instid1(VALU_DEP_1)
	v_dual_cndmask_b32 v27, v27, v31, s2 :: v_dual_cndmask_b32 v26, v26, v30, s2
	v_add_f64_e64 v[28:29], -v[26:27], s[34:35]
	s_delay_alu instid0(VALU_DEP_3) | instskip(NEXT) | instid1(VALU_DEP_2)
	v_add_f64_e32 v[14:15], v[54:55], v[14:15]
	v_dual_cndmask_b32 v26, v26, v28 :: v_dual_cndmask_b32 v27, v27, v29
	v_cndmask_b32_e32 v28, 0x3fe921fb, v63, vcc_lo
	s_delay_alu instid0(VALU_DEP_3) | instskip(SKIP_1) | instid1(VALU_DEP_4)
	v_mul_f64_e32 v[14:15], 0.5, v[14:15]
	v_cmp_ngt_f64_e32 vcc_lo, -1.0, v[6:7]
	v_dual_cndmask_b32 v16, v26, v16, s3 :: v_dual_cndmask_b32 v1, v27, v1, s3
	s_and_b32 s3, s4, s5
	v_bfi_b32 v28, 0x7fffffff, v28, v13
	s_delay_alu instid0(VALU_DEP_4) | instskip(SKIP_2) | instid1(VALU_DEP_1)
	v_cndmask_b32_e64 v26, 0, v14, s3
	v_cmp_neq_f64_e64 s3, -1.0, v[6:7]
	v_cndmask_b32_e64 v15, 0x7ff00000, v15, s5
	v_cndmask_b32_e32 v15, 0x7ff80000, v15, vcc_lo
	s_and_b32 vcc_lo, s7, s6
	v_cndmask_b32_e32 v29, v1, v28, vcc_lo
	v_cndmask_b32_e32 v28, v16, v8, vcc_lo
	s_delay_alu instid0(VALU_DEP_3)
	v_cndmask_b32_e64 v27, 0xfff00000, v15, s3
.LBB167_86:                             ;   in Loop: Header=BB167_5 Depth=1
	s_or_b32 exec_lo, exec_lo, s49
.LBB167_87:                             ;   in Loop: Header=BB167_5 Depth=1
	s_delay_alu instid0(SALU_CYCLE_1)
	s_or_b32 exec_lo, exec_lo, s48
.LBB167_88:                             ;   in Loop: Header=BB167_5 Depth=1
	s_and_not1_saveexec_b32 s5, s47
	s_cbranch_execz .LBB167_90
; %bb.89:                               ;   in Loop: Header=BB167_5 Depth=1
	v_max_num_f64_e64 v[6:7], |v[12:13]|, |v[12:13]|
	v_max_num_f64_e64 v[14:15], |v[10:11]|, |v[10:11]|
	v_cmp_eq_f64_e64 s4, 0, v[12:13]
	v_cmp_class_f64_e64 s6, v[10:11], 0x204
	v_cmp_class_f64_e64 s7, v[12:13], 0x204
	s_delay_alu instid0(VALU_DEP_4) | instskip(SKIP_2) | instid1(VALU_DEP_2)
	v_max_num_f64_e32 v[26:27], v[14:15], v[6:7]
	v_min_num_f64_e32 v[6:7], v[14:15], v[6:7]
	s_or_b32 s3, s6, s7
	v_frexp_exp_i32_f64_e32 v1, v[26:27]
	s_delay_alu instid0(VALU_DEP_1) | instskip(NEXT) | instid1(VALU_DEP_1)
	v_sub_nc_u32_e32 v8, 0, v1
	v_ldexp_f64 v[28:29], |v[12:13]|, v8
	v_ldexp_f64 v[30:31], |v[10:11]|, v8
	s_delay_alu instid0(VALU_DEP_2) | instskip(NEXT) | instid1(VALU_DEP_1)
	v_mul_f64_e32 v[28:29], v[28:29], v[28:29]
	v_fmac_f64_e32 v[28:29], v[30:31], v[30:31]
	s_delay_alu instid0(VALU_DEP_1) | instskip(SKIP_1) | instid1(TRANS32_DEP_1)
	v_rsq_f64_e32 v[30:31], v[28:29]
	v_cmp_eq_f64_e32 vcc_lo, 0, v[28:29]
	v_mul_f64_e32 v[32:33], v[28:29], v[30:31]
	v_mul_f64_e32 v[30:31], 0.5, v[30:31]
	s_delay_alu instid0(VALU_DEP_1) | instskip(NEXT) | instid1(VALU_DEP_1)
	v_fma_f64 v[46:47], -v[30:31], v[32:33], 0.5
	v_fmac_f64_e32 v[32:33], v[32:33], v[46:47]
	v_fmac_f64_e32 v[30:31], v[30:31], v[46:47]
	s_delay_alu instid0(VALU_DEP_2) | instskip(NEXT) | instid1(VALU_DEP_1)
	v_fma_f64 v[46:47], -v[32:33], v[32:33], v[28:29]
	v_fmac_f64_e32 v[32:33], v[46:47], v[30:31]
	s_delay_alu instid0(VALU_DEP_1) | instskip(NEXT) | instid1(VALU_DEP_1)
	v_dual_cndmask_b32 v29, v33, v29 :: v_dual_cndmask_b32 v28, v32, v28
	v_ldexp_f64 v[28:29], v[28:29], v1
	s_delay_alu instid0(VALU_DEP_1) | instskip(NEXT) | instid1(VALU_DEP_2)
	v_cndmask_b32_e64 v31, v29, 0x7ff00000, s3
	v_cndmask_b32_e64 v30, v28, 0, s3
	s_delay_alu instid0(VALU_DEP_1) | instskip(SKIP_1) | instid1(VALU_DEP_2)
	v_frexp_mant_f64_e32 v[28:29], v[30:31]
	v_cmp_class_f64_e64 s3, v[30:31], 0x204
	v_cmp_gt_f64_e32 vcc_lo, s[26:27], v[28:29]
	v_cndmask_b32_e64 v1, 0, 1, vcc_lo
	s_delay_alu instid0(VALU_DEP_1) | instskip(SKIP_1) | instid1(VALU_DEP_2)
	v_ldexp_f64 v[28:29], v[28:29], v1
	v_frexp_exp_i32_f64_e32 v1, v[30:31]
	v_add_f64_e32 v[32:33], 1.0, v[28:29]
	v_add_f64_e32 v[50:51], -1.0, v[28:29]
	s_delay_alu instid0(VALU_DEP_3) | instskip(SKIP_1) | instid1(VALU_DEP_4)
	v_subrev_co_ci_u32_e64 v1, null, 0, v1, vcc_lo
	v_div_scale_f64 v[58:59], vcc_lo, v[6:7], v[26:27], v[6:7]
	v_rcp_f64_e32 v[46:47], v[32:33]
	v_add_f64_e32 v[52:53], -1.0, v[32:33]
	s_delay_alu instid0(VALU_DEP_1) | instskip(NEXT) | instid1(TRANS32_DEP_1)
	v_add_f64_e64 v[28:29], v[28:29], -v[52:53]
	v_fma_f64 v[48:49], -v[32:33], v[46:47], 1.0
	s_delay_alu instid0(VALU_DEP_1) | instskip(NEXT) | instid1(VALU_DEP_1)
	v_fmac_f64_e32 v[46:47], v[48:49], v[46:47]
	v_fma_f64 v[48:49], -v[32:33], v[46:47], 1.0
	s_delay_alu instid0(VALU_DEP_1) | instskip(NEXT) | instid1(VALU_DEP_1)
	v_fmac_f64_e32 v[46:47], v[48:49], v[46:47]
	v_mul_f64_e32 v[48:49], v[50:51], v[46:47]
	s_delay_alu instid0(VALU_DEP_1) | instskip(NEXT) | instid1(VALU_DEP_1)
	v_mul_f64_e32 v[54:55], v[32:33], v[48:49]
	v_fma_f64 v[32:33], v[48:49], v[32:33], -v[54:55]
	s_delay_alu instid0(VALU_DEP_1) | instskip(NEXT) | instid1(VALU_DEP_1)
	v_fmac_f64_e32 v[32:33], v[48:49], v[28:29]
	v_add_f64_e32 v[28:29], v[54:55], v[32:33]
	s_delay_alu instid0(VALU_DEP_1) | instskip(SKIP_1) | instid1(VALU_DEP_2)
	v_add_f64_e64 v[52:53], v[50:51], -v[28:29]
	v_add_f64_e64 v[54:55], v[28:29], -v[54:55]
	;; [unrolled: 1-line block ×3, first 2 shown]
	s_delay_alu instid0(VALU_DEP_2) | instskip(NEXT) | instid1(VALU_DEP_2)
	v_add_f64_e64 v[32:33], v[54:55], -v[32:33]
	v_add_f64_e64 v[28:29], v[50:51], -v[28:29]
	s_delay_alu instid0(VALU_DEP_1) | instskip(NEXT) | instid1(VALU_DEP_1)
	v_add_f64_e32 v[28:29], v[32:33], v[28:29]
	v_add_f64_e32 v[28:29], v[52:53], v[28:29]
	s_delay_alu instid0(VALU_DEP_1) | instskip(SKIP_1) | instid1(VALU_DEP_2)
	v_mul_f64_e32 v[14:15], v[46:47], v[28:29]
	v_div_scale_f64 v[28:29], null, v[26:27], v[26:27], v[6:7]
	v_add_f64_e32 v[32:33], v[48:49], v[14:15]
	s_delay_alu instid0(VALU_DEP_2) | instskip(NEXT) | instid1(VALU_DEP_1)
	v_rcp_f64_e32 v[46:47], v[28:29]
	v_mul_f64_e32 v[50:51], v[32:33], v[32:33]
	s_delay_alu instid0(TRANS32_DEP_1) | instskip(NEXT) | instid1(VALU_DEP_2)
	v_fma_f64 v[54:55], -v[28:29], v[46:47], 1.0
	v_fmamk_f64 v[52:53], v[50:51], 0x3fc3ab76bf559e2b, v[38:39]
	v_mul_f64_e32 v[56:57], v[32:33], v[50:51]
	s_delay_alu instid0(VALU_DEP_3) | instskip(NEXT) | instid1(VALU_DEP_3)
	v_fmac_f64_e32 v[46:47], v[46:47], v[54:55]
	v_fmaak_f64 v[52:53], v[50:51], v[52:53], 0x3fc7474dd7f4df2e
	s_delay_alu instid0(VALU_DEP_1) | instskip(NEXT) | instid1(VALU_DEP_1)
	v_fmaak_f64 v[52:53], v[50:51], v[52:53], 0x3fcc71c016291751
	v_fmaak_f64 v[52:53], v[50:51], v[52:53], 0x3fd249249b27acf1
	s_delay_alu instid0(VALU_DEP_1) | instskip(NEXT) | instid1(VALU_DEP_1)
	v_fmaak_f64 v[52:53], v[50:51], v[52:53], 0x3fd99999998ef7b6
	v_fmaak_f64 v[50:51], v[50:51], v[52:53], 0x3fe5555555555780
	v_ldexp_f64 v[52:53], v[32:33], 1
	v_add_f64_e64 v[32:33], v[32:33], -v[48:49]
	v_fma_f64 v[54:55], -v[28:29], v[46:47], 1.0
	s_delay_alu instid0(VALU_DEP_4) | instskip(SKIP_2) | instid1(VALU_DEP_1)
	v_mul_f64_e32 v[50:51], v[56:57], v[50:51]
	v_cvt_f64_i32_e32 v[56:57], v1
	v_ashrrev_i32_e32 v1, 31, v11
	v_and_b32_e32 v16, 0x54442d18, v1
	v_and_b32_e32 v1, 0x400921fb, v1
	v_add_f64_e64 v[14:15], v[14:15], -v[32:33]
	v_fmac_f64_e32 v[46:47], v[46:47], v[54:55]
	v_add_f64_e32 v[48:49], v[52:53], v[50:51]
	v_mul_f64_e32 v[54:55], 0x3fe62e42fefa39ef, v[56:57]
	s_delay_alu instid0(VALU_DEP_4) | instskip(NEXT) | instid1(VALU_DEP_3)
	v_ldexp_f64 v[14:15], v[14:15], 1
	v_add_f64_e64 v[32:33], v[48:49], -v[52:53]
	v_mul_f64_e32 v[52:53], v[58:59], v[46:47]
	s_delay_alu instid0(VALU_DEP_4) | instskip(NEXT) | instid1(VALU_DEP_3)
	v_fma_f64 v[60:61], v[56:57], s[28:29], -v[54:55]
	v_add_f64_e64 v[32:33], v[50:51], -v[32:33]
	s_delay_alu instid0(VALU_DEP_3) | instskip(NEXT) | instid1(VALU_DEP_3)
	v_fma_f64 v[28:29], -v[28:29], v[52:53], v[58:59]
	v_fmac_f64_e32 v[60:61], 0x3c7abc9e3b39803f, v[56:57]
	s_delay_alu instid0(VALU_DEP_3) | instskip(NEXT) | instid1(VALU_DEP_3)
	v_add_f64_e32 v[14:15], v[14:15], v[32:33]
	v_div_fmas_f64 v[28:29], v[28:29], v[46:47], v[52:53]
	s_delay_alu instid0(VALU_DEP_3)
	v_add_f64_e32 v[32:33], v[54:55], v[60:61]
	v_cmp_gt_i32_e32 vcc_lo, 0, v11
	v_cndmask_b32_e32 v8, 0x54442d18, v62, vcc_lo
	v_add_f64_e32 v[46:47], v[48:49], v[14:15]
	v_div_fixup_f64 v[6:7], v[28:29], v[26:27], v[6:7]
	v_add_f64_e64 v[54:55], v[32:33], -v[54:55]
	s_delay_alu instid0(VALU_DEP_3) | instskip(NEXT) | instid1(VALU_DEP_3)
	v_add_f64_e32 v[26:27], v[32:33], v[46:47]
	v_mul_f64_e32 v[28:29], v[6:7], v[6:7]
	v_add_f64_e64 v[48:49], v[46:47], -v[48:49]
	s_delay_alu instid0(VALU_DEP_4) | instskip(NEXT) | instid1(VALU_DEP_4)
	v_add_f64_e64 v[54:55], v[60:61], -v[54:55]
	v_add_f64_e64 v[50:51], v[26:27], -v[32:33]
	s_delay_alu instid0(VALU_DEP_4) | instskip(NEXT) | instid1(VALU_DEP_4)
	v_fmamk_f64 v[52:53], v[28:29], 0x3eeba404b5e68a13, v[40:41]
	v_add_f64_e64 v[14:15], v[14:15], -v[48:49]
	s_delay_alu instid0(VALU_DEP_2) | instskip(NEXT) | instid1(VALU_DEP_1)
	v_fmaak_f64 v[52:53], v[28:29], v[52:53], 0x3f4b2bb069efb384
	v_fmaak_f64 v[52:53], v[28:29], v[52:53], 0xbf67952daf56de9b
	s_delay_alu instid0(VALU_DEP_1) | instskip(NEXT) | instid1(VALU_DEP_1)
	v_fmaak_f64 v[52:53], v[28:29], v[52:53], 0x3f7d6d43a595c56f
	v_fmaak_f64 v[52:53], v[28:29], v[52:53], 0xbf8c6ea4a57d9582
	v_add_f64_e64 v[56:57], v[26:27], -v[50:51]
	v_add_f64_e64 v[46:47], v[46:47], -v[50:51]
	v_add_f64_e32 v[50:51], v[54:55], v[14:15]
	s_delay_alu instid0(VALU_DEP_4) | instskip(NEXT) | instid1(VALU_DEP_1)
	v_fmaak_f64 v[52:53], v[28:29], v[52:53], 0x3f967e295f08b19f
	v_fmaak_f64 v[48:49], v[28:29], v[52:53], 0xbf9e9ae6fc27006a
	s_delay_alu instid0(VALU_DEP_1) | instskip(NEXT) | instid1(VALU_DEP_1)
	v_fmaak_f64 v[48:49], v[28:29], v[48:49], 0x3fa2c15b5711927a
	v_fmaak_f64 v[48:49], v[28:29], v[48:49], 0xbfa59976e82d3ff0
	s_delay_alu instid0(VALU_DEP_1) | instskip(SKIP_1) | instid1(VALU_DEP_2)
	v_fmaak_f64 v[48:49], v[28:29], v[48:49], 0x3fa82d5d6ef28734
	v_add_f64_e64 v[32:33], v[32:33], -v[56:57]
	v_fmaak_f64 v[48:49], v[28:29], v[48:49], 0xbfaae5ce6a214619
	s_delay_alu instid0(VALU_DEP_2) | instskip(NEXT) | instid1(VALU_DEP_2)
	v_add_f64_e32 v[32:33], v[46:47], v[32:33]
	v_fmaak_f64 v[46:47], v[28:29], v[48:49], 0x3fae1bb48427b883
	v_add_f64_e64 v[48:49], v[50:51], -v[54:55]
	s_delay_alu instid0(VALU_DEP_2) | instskip(NEXT) | instid1(VALU_DEP_1)
	v_fmaak_f64 v[46:47], v[28:29], v[46:47], 0xbfb110e48b207f05
	v_fmaak_f64 v[46:47], v[28:29], v[46:47], 0x3fb3b13657b87036
	s_delay_alu instid0(VALU_DEP_1) | instskip(NEXT) | instid1(VALU_DEP_1)
	v_fmaak_f64 v[46:47], v[28:29], v[46:47], 0xbfb745d119378e4f
	v_fmaak_f64 v[46:47], v[28:29], v[46:47], 0x3fbc71c717e1913c
	v_add_f64_e32 v[32:33], v[50:51], v[32:33]
	v_add_f64_e64 v[14:15], v[14:15], -v[48:49]
	s_delay_alu instid0(VALU_DEP_3) | instskip(NEXT) | instid1(VALU_DEP_1)
	v_fmaak_f64 v[46:47], v[28:29], v[46:47], 0xbfc2492492376b7d
	v_fmaak_f64 v[46:47], v[28:29], v[46:47], 0x3fc99999999952cc
	s_delay_alu instid0(VALU_DEP_1) | instskip(NEXT) | instid1(VALU_DEP_1)
	v_fmaak_f64 v[46:47], v[28:29], v[46:47], 0xbfd5555555555523
	v_mul_f64_e32 v[28:29], v[28:29], v[46:47]
	v_add_f64_e64 v[46:47], v[50:51], -v[48:49]
	v_add_f64_e32 v[50:51], v[26:27], v[32:33]
	s_delay_alu instid0(VALU_DEP_3) | instskip(NEXT) | instid1(VALU_DEP_3)
	v_fmac_f64_e32 v[6:7], v[6:7], v[28:29]
	v_add_f64_e64 v[28:29], v[54:55], -v[46:47]
	s_delay_alu instid0(VALU_DEP_3) | instskip(NEXT) | instid1(VALU_DEP_3)
	v_add_f64_e64 v[26:27], v[50:51], -v[26:27]
	v_add_f64_e64 v[46:47], -v[6:7], s[30:31]
	s_delay_alu instid0(VALU_DEP_3) | instskip(NEXT) | instid1(VALU_DEP_3)
	v_add_f64_e32 v[14:15], v[14:15], v[28:29]
	v_add_f64_e64 v[26:27], v[32:33], -v[26:27]
	s_delay_alu instid0(VALU_DEP_3) | instskip(NEXT) | instid1(VALU_DEP_2)
	v_dual_cndmask_b32 v7, v7, v47, s2 :: v_dual_cndmask_b32 v6, v6, v46, s2
	v_add_f64_e32 v[14:15], v[14:15], v[26:27]
	s_delay_alu instid0(VALU_DEP_2) | instskip(NEXT) | instid1(VALU_DEP_2)
	v_add_f64_e64 v[26:27], -v[6:7], s[34:35]
	v_add_f64_e32 v[14:15], v[50:51], v[14:15]
	s_delay_alu instid0(VALU_DEP_2) | instskip(SKIP_1) | instid1(VALU_DEP_4)
	v_cndmask_b32_e32 v6, v6, v26, vcc_lo
	v_cndmask_b32_e32 v26, 0x3fe921fb, v63, vcc_lo
	;; [unrolled: 1-line block ×3, first 2 shown]
	v_cmp_ngt_f64_e32 vcc_lo, 0, v[30:31]
	s_delay_alu instid0(VALU_DEP_4) | instskip(NEXT) | instid1(VALU_DEP_4)
	v_cndmask_b32_e64 v6, v6, v16, s4
	v_bfi_b32 v26, 0x7fffffff, v26, v13
	s_delay_alu instid0(VALU_DEP_4) | instskip(SKIP_2) | instid1(VALU_DEP_2)
	v_dual_cndmask_b32 v1, v7, v1, s4 :: v_dual_cndmask_b32 v14, v14, v30, s3
	v_cndmask_b32_e64 v15, v15, v31, s3
	v_cmp_nge_f64_e64 s3, 0, v[30:31]
	v_cndmask_b32_e32 v7, 0x7ff80000, v15, vcc_lo
	s_and_b32 vcc_lo, s6, s7
	v_dual_cndmask_b32 v29, v1, v26 :: v_dual_cndmask_b32 v28, v6, v8
	v_cndmask_b32_e64 v26, 0, v14, s3
	v_cmp_neq_f64_e64 s3, 0, v[30:31]
	s_delay_alu instid0(VALU_DEP_1)
	v_cndmask_b32_e64 v27, 0xfff00000, v7, s3
.LBB167_90:                             ;   in Loop: Header=BB167_5 Depth=1
	s_or_b32 exec_lo, exec_lo, s5
                                        ; implicit-def: $vgpr14_vgpr15
.LBB167_91:                             ;   in Loop: Header=BB167_5 Depth=1
	s_and_not1_saveexec_b32 s5, s46
	s_cbranch_execz .LBB167_97
; %bb.92:                               ;   in Loop: Header=BB167_5 Depth=1
                                        ; implicit-def: $vgpr26_vgpr27
	s_mov_b32 s3, exec_lo
	v_cmpx_ngt_f64_e32 s[38:39], v[14:15]
	s_xor_b32 s6, exec_lo, s3
	s_cbranch_execz .LBB167_94
; %bb.93:                               ;   in Loop: Header=BB167_5 Depth=1
	v_mul_f64_e32 v[6:7], v[14:15], v[14:15]
	v_cmp_eq_f64_e64 s3, 0, v[12:13]
	v_cmp_class_f64_e64 s7, v[12:13], 0x204
	v_cmp_class_f64_e64 s8, v[10:11], 0x204
	s_delay_alu instid0(VALU_DEP_4) | instskip(NEXT) | instid1(VALU_DEP_1)
	v_add_f64_e32 v[14:15], 1.0, v[6:7]
	v_frexp_mant_f64_e32 v[26:27], v[14:15]
	v_frexp_exp_i32_f64_e32 v1, v[14:15]
	v_add_f64_e32 v[28:29], -1.0, v[14:15]
	s_delay_alu instid0(VALU_DEP_3) | instskip(NEXT) | instid1(VALU_DEP_2)
	v_cmp_gt_f64_e32 vcc_lo, s[26:27], v[26:27]
	v_add_f64_e64 v[26:27], v[28:29], -v[14:15]
	s_delay_alu instid0(VALU_DEP_4) | instskip(NEXT) | instid1(VALU_DEP_1)
	v_subrev_co_ci_u32_e64 v1, null, 0, v1, vcc_lo
	v_dual_add_f64 v[26:27], 1.0, v[26:27] :: v_dual_sub_nc_u32 v8, 0, v1
	v_add_f64_e64 v[28:29], v[6:7], -v[28:29]
	v_cmp_neq_f64_e64 s4, 0x7ff00000, v[6:7]
	s_delay_alu instid0(VALU_DEP_3) | instskip(NEXT) | instid1(VALU_DEP_3)
	v_ldexp_f64 v[14:15], v[14:15], v8
	v_add_f64_e32 v[26:27], v[28:29], v[26:27]
	s_delay_alu instid0(VALU_DEP_2) | instskip(SKIP_1) | instid1(VALU_DEP_3)
	v_add_f64_e32 v[30:31], 1.0, v[14:15]
	v_add_f64_e32 v[48:49], -1.0, v[14:15]
	v_ldexp_f64 v[26:27], v[26:27], v8
	s_delay_alu instid0(VALU_DEP_3) | instskip(NEXT) | instid1(VALU_DEP_3)
	v_add_f64_e32 v[28:29], -1.0, v[30:31]
	v_add_f64_e32 v[50:51], 1.0, v[48:49]
	s_delay_alu instid0(VALU_DEP_2) | instskip(NEXT) | instid1(VALU_DEP_2)
	v_add_f64_e64 v[28:29], v[14:15], -v[28:29]
	v_add_f64_e64 v[14:15], v[14:15], -v[50:51]
	s_delay_alu instid0(VALU_DEP_2) | instskip(NEXT) | instid1(VALU_DEP_2)
	v_add_f64_e32 v[28:29], v[26:27], v[28:29]
	v_add_f64_e32 v[14:15], v[26:27], v[14:15]
	s_delay_alu instid0(VALU_DEP_2) | instskip(NEXT) | instid1(VALU_DEP_2)
	v_add_f64_e32 v[32:33], v[30:31], v[28:29]
	v_add_f64_e32 v[50:51], v[48:49], v[14:15]
	s_delay_alu instid0(VALU_DEP_2) | instskip(SKIP_1) | instid1(VALU_DEP_2)
	v_rcp_f64_e32 v[46:47], v[32:33]
	v_add_f64_e64 v[30:31], v[30:31], -v[32:33]
	v_add_f64_e64 v[48:49], v[48:49], -v[50:51]
	s_delay_alu instid0(VALU_DEP_2) | instskip(NEXT) | instid1(VALU_DEP_2)
	v_add_f64_e32 v[28:29], v[28:29], v[30:31]
	v_add_f64_e32 v[14:15], v[14:15], v[48:49]
	s_delay_alu instid0(TRANS32_DEP_1) | instskip(NEXT) | instid1(VALU_DEP_1)
	v_fma_f64 v[52:53], -v[32:33], v[46:47], 1.0
	v_fmac_f64_e32 v[46:47], v[52:53], v[46:47]
	s_delay_alu instid0(VALU_DEP_1) | instskip(NEXT) | instid1(VALU_DEP_1)
	v_fma_f64 v[26:27], -v[32:33], v[46:47], 1.0
	v_fmac_f64_e32 v[46:47], v[26:27], v[46:47]
	s_delay_alu instid0(VALU_DEP_1) | instskip(NEXT) | instid1(VALU_DEP_1)
	v_mul_f64_e32 v[26:27], v[50:51], v[46:47]
	v_mul_f64_e32 v[52:53], v[32:33], v[26:27]
	s_delay_alu instid0(VALU_DEP_1) | instskip(NEXT) | instid1(VALU_DEP_1)
	v_fma_f64 v[30:31], v[26:27], v[32:33], -v[52:53]
	v_fmac_f64_e32 v[30:31], v[26:27], v[28:29]
	s_delay_alu instid0(VALU_DEP_1) | instskip(NEXT) | instid1(VALU_DEP_1)
	v_add_f64_e32 v[54:55], v[52:53], v[30:31]
	v_add_f64_e64 v[56:57], v[50:51], -v[54:55]
	v_add_f64_e64 v[48:49], v[54:55], -v[52:53]
	s_delay_alu instid0(VALU_DEP_2) | instskip(NEXT) | instid1(VALU_DEP_2)
	v_add_f64_e64 v[50:51], v[50:51], -v[56:57]
	v_add_f64_e64 v[30:31], v[48:49], -v[30:31]
	s_delay_alu instid0(VALU_DEP_2) | instskip(NEXT) | instid1(VALU_DEP_1)
	v_add_f64_e64 v[50:51], v[50:51], -v[54:55]
	v_add_f64_e32 v[14:15], v[14:15], v[50:51]
	s_delay_alu instid0(VALU_DEP_1) | instskip(NEXT) | instid1(VALU_DEP_1)
	v_add_f64_e32 v[14:15], v[30:31], v[14:15]
	v_add_f64_e32 v[30:31], v[56:57], v[14:15]
	s_delay_alu instid0(VALU_DEP_1) | instskip(SKIP_1) | instid1(VALU_DEP_2)
	v_mul_f64_e32 v[48:49], v[46:47], v[30:31]
	v_add_f64_e64 v[54:55], v[56:57], -v[30:31]
	v_mul_f64_e32 v[50:51], v[32:33], v[48:49]
	s_delay_alu instid0(VALU_DEP_2) | instskip(NEXT) | instid1(VALU_DEP_2)
	v_add_f64_e32 v[14:15], v[14:15], v[54:55]
	v_fma_f64 v[32:33], v[48:49], v[32:33], -v[50:51]
	s_delay_alu instid0(VALU_DEP_1) | instskip(NEXT) | instid1(VALU_DEP_1)
	v_fmac_f64_e32 v[32:33], v[48:49], v[28:29]
	v_add_f64_e32 v[28:29], v[50:51], v[32:33]
	s_delay_alu instid0(VALU_DEP_1) | instskip(SKIP_1) | instid1(VALU_DEP_2)
	v_add_f64_e64 v[52:53], v[30:31], -v[28:29]
	v_add_f64_e64 v[50:51], v[28:29], -v[50:51]
	;; [unrolled: 1-line block ×3, first 2 shown]
	s_delay_alu instid0(VALU_DEP_1) | instskip(NEXT) | instid1(VALU_DEP_3)
	v_add_f64_e64 v[28:29], v[30:31], -v[28:29]
	v_add_f64_e64 v[30:31], v[50:51], -v[32:33]
	v_max_num_f64_e64 v[32:33], |v[10:11]|, |v[10:11]|
	s_delay_alu instid0(VALU_DEP_3) | instskip(SKIP_1) | instid1(VALU_DEP_2)
	v_add_f64_e32 v[14:15], v[14:15], v[28:29]
	v_add_f64_e32 v[28:29], v[26:27], v[48:49]
	;; [unrolled: 1-line block ×3, first 2 shown]
	s_delay_alu instid0(VALU_DEP_2) | instskip(SKIP_1) | instid1(VALU_DEP_3)
	v_add_f64_e64 v[26:27], v[28:29], -v[26:27]
	v_max_num_f64_e64 v[30:31], |v[12:13]|, |v[12:13]|
	v_add_f64_e32 v[14:15], v[52:53], v[14:15]
	s_delay_alu instid0(VALU_DEP_3) | instskip(NEXT) | instid1(VALU_DEP_2)
	v_add_f64_e64 v[26:27], v[48:49], -v[26:27]
	v_mul_f64_e32 v[14:15], v[46:47], v[14:15]
	s_delay_alu instid0(VALU_DEP_1) | instskip(SKIP_2) | instid1(VALU_DEP_3)
	v_add_f64_e32 v[14:15], v[26:27], v[14:15]
	v_max_num_f64_e32 v[26:27], v[32:33], v[30:31]
	v_min_num_f64_e32 v[30:31], v[32:33], v[30:31]
	v_add_f64_e32 v[32:33], v[28:29], v[14:15]
	s_delay_alu instid0(VALU_DEP_2) | instskip(NEXT) | instid1(VALU_DEP_2)
	v_div_scale_f64 v[46:47], null, v[26:27], v[26:27], v[30:31]
	v_mul_f64_e32 v[48:49], v[32:33], v[32:33]
	v_add_f64_e64 v[28:29], v[32:33], -v[28:29]
	s_delay_alu instid0(VALU_DEP_3) | instskip(NEXT) | instid1(VALU_DEP_2)
	v_rcp_f64_e32 v[50:51], v[46:47]
	v_fmamk_f64 v[52:53], v[48:49], 0x3fc3ab76bf559e2b, v[38:39]
	v_mul_f64_e32 v[54:55], v[32:33], v[48:49]
	s_delay_alu instid0(VALU_DEP_3) | instskip(NEXT) | instid1(VALU_DEP_3)
	v_add_f64_e64 v[14:15], v[14:15], -v[28:29]
	v_fmaak_f64 v[52:53], v[48:49], v[52:53], 0x3fc7474dd7f4df2e
	s_delay_alu instid0(TRANS32_DEP_1) | instskip(NEXT) | instid1(VALU_DEP_2)
	v_fma_f64 v[56:57], -v[46:47], v[50:51], 1.0
	v_fmaak_f64 v[52:53], v[48:49], v[52:53], 0x3fcc71c016291751
	s_delay_alu instid0(VALU_DEP_1) | instskip(NEXT) | instid1(VALU_DEP_1)
	v_fmaak_f64 v[52:53], v[48:49], v[52:53], 0x3fd249249b27acf1
	v_fmaak_f64 v[52:53], v[48:49], v[52:53], 0x3fd99999998ef7b6
	v_ldexp_f64 v[14:15], v[14:15], 1
	s_delay_alu instid0(VALU_DEP_2) | instskip(SKIP_2) | instid1(VALU_DEP_3)
	v_fmaak_f64 v[48:49], v[48:49], v[52:53], 0x3fe5555555555780
	v_ldexp_f64 v[52:53], v[32:33], 1
	v_fmac_f64_e32 v[50:51], v[50:51], v[56:57]
	v_mul_f64_e32 v[48:49], v[54:55], v[48:49]
	v_cvt_f64_i32_e32 v[54:55], v1
	v_ashrrev_i32_e32 v1, 31, v11
	s_delay_alu instid0(VALU_DEP_1) | instskip(SKIP_4) | instid1(VALU_DEP_3)
	v_and_b32_e32 v16, 0x54442d18, v1
	v_and_b32_e32 v1, 0x400921fb, v1
	v_fma_f64 v[56:57], -v[46:47], v[50:51], 1.0
	v_add_f64_e32 v[32:33], v[52:53], v[48:49]
	v_mul_f64_e32 v[58:59], 0x3fe62e42fefa39ef, v[54:55]
	v_fmac_f64_e32 v[50:51], v[50:51], v[56:57]
	s_delay_alu instid0(VALU_DEP_3) | instskip(SKIP_1) | instid1(VALU_DEP_4)
	v_add_f64_e64 v[28:29], v[32:33], -v[52:53]
	v_div_scale_f64 v[52:53], vcc_lo, v[30:31], v[26:27], v[30:31]
	v_fma_f64 v[56:57], v[54:55], s[28:29], -v[58:59]
	s_delay_alu instid0(VALU_DEP_3) | instskip(NEXT) | instid1(VALU_DEP_3)
	v_add_f64_e64 v[28:29], v[48:49], -v[28:29]
	v_mul_f64_e32 v[48:49], v[52:53], v[50:51]
	s_delay_alu instid0(VALU_DEP_3) | instskip(NEXT) | instid1(VALU_DEP_3)
	v_fmac_f64_e32 v[56:57], 0x3c7abc9e3b39803f, v[54:55]
	v_add_f64_e32 v[14:15], v[14:15], v[28:29]
	s_delay_alu instid0(VALU_DEP_3) | instskip(NEXT) | instid1(VALU_DEP_3)
	v_fma_f64 v[28:29], -v[46:47], v[48:49], v[52:53]
	v_add_f64_e32 v[46:47], v[58:59], v[56:57]
	s_delay_alu instid0(VALU_DEP_3) | instskip(NEXT) | instid1(VALU_DEP_3)
	v_add_f64_e32 v[52:53], v[32:33], v[14:15]
	v_div_fmas_f64 v[28:29], v[28:29], v[50:51], v[48:49]
	v_cmp_gt_i32_e32 vcc_lo, 0, v11
	s_delay_alu instid0(VALU_DEP_4) | instskip(SKIP_2) | instid1(VALU_DEP_2)
	v_add_f64_e64 v[50:51], v[46:47], -v[58:59]
	v_cndmask_b32_e32 v6, 0x3fe921fb, v63, vcc_lo
	v_cndmask_b32_e32 v8, 0x54442d18, v62, vcc_lo
	v_bfi_b32 v6, 0x7fffffff, v6, v13
	v_add_f64_e32 v[48:49], v[46:47], v[52:53]
	v_div_fixup_f64 v[26:27], v[28:29], v[26:27], v[30:31]
	v_add_f64_e64 v[32:33], v[52:53], -v[32:33]
	v_add_f64_e64 v[50:51], v[56:57], -v[50:51]
	s_delay_alu instid0(VALU_DEP_4) | instskip(NEXT) | instid1(VALU_DEP_4)
	v_add_f64_e64 v[28:29], v[48:49], -v[46:47]
	v_mul_f64_e32 v[30:31], v[26:27], v[26:27]
	s_delay_alu instid0(VALU_DEP_4) | instskip(NEXT) | instid1(VALU_DEP_3)
	v_add_f64_e64 v[14:15], v[14:15], -v[32:33]
	v_add_f64_e64 v[54:55], v[48:49], -v[28:29]
	s_delay_alu instid0(VALU_DEP_3) | instskip(SKIP_1) | instid1(VALU_DEP_4)
	v_fmamk_f64 v[58:59], v[30:31], 0x3eeba404b5e68a13, v[40:41]
	v_add_f64_e64 v[28:29], v[52:53], -v[28:29]
	v_add_f64_e32 v[52:53], v[50:51], v[14:15]
	s_delay_alu instid0(VALU_DEP_3) | instskip(NEXT) | instid1(VALU_DEP_1)
	v_fmaak_f64 v[58:59], v[30:31], v[58:59], 0x3f4b2bb069efb384
	v_fmaak_f64 v[58:59], v[30:31], v[58:59], 0xbf67952daf56de9b
	v_add_f64_e64 v[32:33], v[46:47], -v[54:55]
	s_delay_alu instid0(VALU_DEP_2) | instskip(NEXT) | instid1(VALU_DEP_1)
	v_fmaak_f64 v[46:47], v[30:31], v[58:59], 0x3f7d6d43a595c56f
	v_fmaak_f64 v[46:47], v[30:31], v[46:47], 0xbf8c6ea4a57d9582
	s_delay_alu instid0(VALU_DEP_1) | instskip(NEXT) | instid1(VALU_DEP_1)
	v_fmaak_f64 v[46:47], v[30:31], v[46:47], 0x3f967e295f08b19f
	v_fmaak_f64 v[46:47], v[30:31], v[46:47], 0xbf9e9ae6fc27006a
	s_delay_alu instid0(VALU_DEP_1) | instskip(SKIP_1) | instid1(VALU_DEP_2)
	v_fmaak_f64 v[46:47], v[30:31], v[46:47], 0x3fa2c15b5711927a
	v_add_f64_e32 v[28:29], v[28:29], v[32:33]
	v_fmaak_f64 v[32:33], v[30:31], v[46:47], 0xbfa59976e82d3ff0
	v_add_f64_e64 v[46:47], v[52:53], -v[50:51]
	s_delay_alu instid0(VALU_DEP_2) | instskip(NEXT) | instid1(VALU_DEP_1)
	v_fmaak_f64 v[32:33], v[30:31], v[32:33], 0x3fa82d5d6ef28734
	v_fmaak_f64 v[32:33], v[30:31], v[32:33], 0xbfaae5ce6a214619
	s_delay_alu instid0(VALU_DEP_1) | instskip(NEXT) | instid1(VALU_DEP_1)
	v_fmaak_f64 v[32:33], v[30:31], v[32:33], 0x3fae1bb48427b883
	v_fmaak_f64 v[32:33], v[30:31], v[32:33], 0xbfb110e48b207f05
	v_add_f64_e32 v[28:29], v[52:53], v[28:29]
	v_add_f64_e64 v[52:53], v[52:53], -v[46:47]
	v_add_f64_e64 v[14:15], v[14:15], -v[46:47]
	s_delay_alu instid0(VALU_DEP_4) | instskip(NEXT) | instid1(VALU_DEP_1)
	v_fmaak_f64 v[32:33], v[30:31], v[32:33], 0x3fb3b13657b87036
	v_fmaak_f64 v[32:33], v[30:31], v[32:33], 0xbfb745d119378e4f
	s_delay_alu instid0(VALU_DEP_1) | instskip(NEXT) | instid1(VALU_DEP_1)
	v_fmaak_f64 v[32:33], v[30:31], v[32:33], 0x3fbc71c717e1913c
	v_fmaak_f64 v[32:33], v[30:31], v[32:33], 0xbfc2492492376b7d
	v_add_f64_e32 v[54:55], v[48:49], v[28:29]
	s_delay_alu instid0(VALU_DEP_2) | instskip(NEXT) | instid1(VALU_DEP_1)
	v_fmaak_f64 v[32:33], v[30:31], v[32:33], 0x3fc99999999952cc
	v_fmaak_f64 v[32:33], v[30:31], v[32:33], 0xbfd5555555555523
	s_delay_alu instid0(VALU_DEP_1) | instskip(SKIP_2) | instid1(VALU_DEP_3)
	v_mul_f64_e32 v[30:31], v[30:31], v[32:33]
	v_add_f64_e64 v[32:33], v[50:51], -v[52:53]
	v_add_f64_e64 v[46:47], v[54:55], -v[48:49]
	v_fmac_f64_e32 v[26:27], v[26:27], v[30:31]
	s_delay_alu instid0(VALU_DEP_3) | instskip(NEXT) | instid1(VALU_DEP_3)
	v_add_f64_e32 v[14:15], v[14:15], v[32:33]
	v_add_f64_e64 v[28:29], v[28:29], -v[46:47]
	s_delay_alu instid0(VALU_DEP_3) | instskip(NEXT) | instid1(VALU_DEP_2)
	v_add_f64_e64 v[30:31], -v[26:27], s[30:31]
	v_add_f64_e32 v[14:15], v[14:15], v[28:29]
	s_delay_alu instid0(VALU_DEP_2) | instskip(NEXT) | instid1(VALU_DEP_1)
	v_dual_cndmask_b32 v27, v27, v31, s2 :: v_dual_cndmask_b32 v26, v26, v30, s2
	v_add_f64_e64 v[28:29], -v[26:27], s[34:35]
	s_delay_alu instid0(VALU_DEP_3) | instskip(NEXT) | instid1(VALU_DEP_2)
	v_add_f64_e32 v[14:15], v[54:55], v[14:15]
	v_dual_cndmask_b32 v26, v26, v28 :: v_dual_cndmask_b32 v7, v27, v29
	s_and_b32 vcc_lo, s8, s7
	s_delay_alu instid0(VALU_DEP_1) | instskip(NEXT) | instid1(VALU_DEP_1)
	v_dual_cndmask_b32 v16, v26, v16, s3 :: v_dual_cndmask_b32 v1, v7, v1, s3
	v_dual_mul_f64 v[14:15], 0.5, v[14:15] :: v_dual_cndmask_b32 v28, v16, v8, vcc_lo
	s_delay_alu instid0(VALU_DEP_2) | instskip(NEXT) | instid1(VALU_DEP_2)
	v_cndmask_b32_e32 v29, v1, v6, vcc_lo
	v_cndmask_b32_e64 v27, 0x7ff00000, v15, s4
	s_delay_alu instid0(VALU_DEP_3)
	v_cndmask_b32_e64 v26, 0, v14, s4
                                        ; implicit-def: $vgpr14_vgpr15
.LBB167_94:                             ;   in Loop: Header=BB167_5 Depth=1
	s_and_not1_saveexec_b32 s4, s6
	s_cbranch_execz .LBB167_96
; %bb.95:                               ;   in Loop: Header=BB167_5 Depth=1
	v_max_num_f64_e64 v[6:7], |v[12:13]|, |v[12:13]|
	v_max_num_f64_e64 v[26:27], |v[10:11]|, |v[10:11]|
	v_cmp_eq_f64_e64 s3, 0, v[12:13]
	v_cmp_class_f64_e64 s6, v[12:13], 0x204
	v_cmp_class_f64_e64 s7, v[10:11], 0x204
	v_ashrrev_i32_e32 v1, 31, v11
	s_delay_alu instid0(VALU_DEP_1) | instskip(SKIP_3) | instid1(VALU_DEP_1)
	v_and_b32_e32 v16, 0x54442d18, v1
	v_and_b32_e32 v1, 0x400921fb, v1
	v_max_num_f64_e32 v[28:29], v[26:27], v[6:7]
	v_min_num_f64_e32 v[6:7], v[26:27], v[6:7]
	v_div_scale_f64 v[26:27], null, v[28:29], v[28:29], v[6:7]
	v_div_scale_f64 v[46:47], vcc_lo, v[6:7], v[28:29], v[6:7]
	s_delay_alu instid0(VALU_DEP_2) | instskip(SKIP_1) | instid1(TRANS32_DEP_1)
	v_rcp_f64_e32 v[30:31], v[26:27]
	v_nop
	v_fma_f64 v[32:33], -v[26:27], v[30:31], 1.0
	s_delay_alu instid0(VALU_DEP_1) | instskip(NEXT) | instid1(VALU_DEP_1)
	v_fmac_f64_e32 v[30:31], v[30:31], v[32:33]
	v_fma_f64 v[32:33], -v[26:27], v[30:31], 1.0
	s_delay_alu instid0(VALU_DEP_1) | instskip(NEXT) | instid1(VALU_DEP_1)
	v_fmac_f64_e32 v[30:31], v[30:31], v[32:33]
	v_mul_f64_e32 v[32:33], v[46:47], v[30:31]
	s_delay_alu instid0(VALU_DEP_1) | instskip(NEXT) | instid1(VALU_DEP_1)
	v_fma_f64 v[26:27], -v[26:27], v[32:33], v[46:47]
	v_div_fmas_f64 v[26:27], v[26:27], v[30:31], v[32:33]
	v_cmp_gt_i32_e32 vcc_lo, 0, v11
	v_cndmask_b32_e32 v8, 0x54442d18, v62, vcc_lo
	s_delay_alu instid0(VALU_DEP_3) | instskip(NEXT) | instid1(VALU_DEP_1)
	v_div_fixup_f64 v[6:7], v[26:27], v[28:29], v[6:7]
	v_mul_f64_e32 v[26:27], v[6:7], v[6:7]
	s_delay_alu instid0(VALU_DEP_1) | instskip(NEXT) | instid1(VALU_DEP_1)
	v_fmamk_f64 v[28:29], v[26:27], 0x3eeba404b5e68a13, v[40:41]
	v_fmaak_f64 v[28:29], v[26:27], v[28:29], 0x3f4b2bb069efb384
	s_delay_alu instid0(VALU_DEP_1) | instskip(NEXT) | instid1(VALU_DEP_1)
	v_fmaak_f64 v[28:29], v[26:27], v[28:29], 0xbf67952daf56de9b
	v_fmaak_f64 v[28:29], v[26:27], v[28:29], 0x3f7d6d43a595c56f
	s_delay_alu instid0(VALU_DEP_1) | instskip(NEXT) | instid1(VALU_DEP_1)
	v_fmaak_f64 v[28:29], v[26:27], v[28:29], 0xbf8c6ea4a57d9582
	;; [unrolled: 3-line block ×9, first 2 shown]
	v_mul_f64_e32 v[26:27], v[26:27], v[28:29]
	s_delay_alu instid0(VALU_DEP_1) | instskip(NEXT) | instid1(VALU_DEP_1)
	v_fmac_f64_e32 v[6:7], v[6:7], v[26:27]
	v_add_f64_e64 v[26:27], -v[6:7], s[30:31]
	s_delay_alu instid0(VALU_DEP_1) | instskip(NEXT) | instid1(VALU_DEP_1)
	v_dual_cndmask_b32 v7, v7, v27, s2 :: v_dual_cndmask_b32 v6, v6, v26, s2
	v_add_f64_e64 v[28:29], -v[6:7], s[34:35]
	s_delay_alu instid0(VALU_DEP_1) | instskip(NEXT) | instid1(VALU_DEP_1)
	v_dual_mul_f64 v[26:27], 0.5, v[14:15] :: v_dual_cndmask_b32 v6, v6, v28, vcc_lo
	v_mul_f64_e32 v[26:27], v[14:15], v[26:27]
	v_cndmask_b32_e32 v14, 0x3fe921fb, v63, vcc_lo
	s_delay_alu instid0(VALU_DEP_4) | instskip(SKIP_2) | instid1(VALU_DEP_3)
	v_cndmask_b32_e32 v7, v7, v29, vcc_lo
	s_and_b32 vcc_lo, s7, s6
	v_cndmask_b32_e64 v6, v6, v16, s3
	v_bfi_b32 v14, 0x7fffffff, v14, v13
	s_delay_alu instid0(VALU_DEP_2) | instskip(NEXT) | instid1(VALU_DEP_1)
	v_dual_cndmask_b32 v1, v7, v1, s3 :: v_dual_cndmask_b32 v28, v6, v8, vcc_lo
	v_cndmask_b32_e32 v29, v1, v14, vcc_lo
.LBB167_96:                             ;   in Loop: Header=BB167_5 Depth=1
	s_or_b32 exec_lo, exec_lo, s4
.LBB167_97:                             ;   in Loop: Header=BB167_5 Depth=1
	s_delay_alu instid0(SALU_CYCLE_1)
	s_or_b32 exec_lo, exec_lo, s5
.LBB167_98:                             ;   in Loop: Header=BB167_5 Depth=1
	s_and_not1_saveexec_b32 s4, s45
	s_cbranch_execz .LBB167_100
; %bb.99:                               ;   in Loop: Header=BB167_5 Depth=1
	v_div_scale_f64 v[6:7], null, s[40:41], s[40:41], v[10:11]
	v_div_scale_f64 v[14:15], null, s[40:41], s[40:41], v[12:13]
	v_div_scale_f64 v[46:47], vcc_lo, v[10:11], s[40:41], v[10:11]
	s_delay_alu instid0(VALU_DEP_3) | instskip(NEXT) | instid1(VALU_DEP_2)
	v_rcp_f64_e32 v[26:27], v[6:7]
	v_rcp_f64_e32 v[28:29], v[14:15]
	s_delay_alu instid0(TRANS32_DEP_2) | instskip(NEXT) | instid1(TRANS32_DEP_1)
	v_fma_f64 v[30:31], -v[6:7], v[26:27], 1.0
	v_fma_f64 v[32:33], -v[14:15], v[28:29], 1.0
	s_delay_alu instid0(VALU_DEP_2) | instskip(NEXT) | instid1(VALU_DEP_2)
	v_fmac_f64_e32 v[26:27], v[26:27], v[30:31]
	v_fmac_f64_e32 v[28:29], v[28:29], v[32:33]
	s_delay_alu instid0(VALU_DEP_2) | instskip(NEXT) | instid1(VALU_DEP_2)
	v_fma_f64 v[30:31], -v[6:7], v[26:27], 1.0
	v_fma_f64 v[32:33], -v[14:15], v[28:29], 1.0
	s_delay_alu instid0(VALU_DEP_2) | instskip(SKIP_1) | instid1(VALU_DEP_3)
	v_fmac_f64_e32 v[26:27], v[26:27], v[30:31]
	v_div_scale_f64 v[30:31], s3, v[12:13], s[40:41], v[12:13]
	v_fmac_f64_e32 v[28:29], v[28:29], v[32:33]
	s_delay_alu instid0(VALU_DEP_3) | instskip(NEXT) | instid1(VALU_DEP_2)
	v_mul_f64_e32 v[32:33], v[46:47], v[26:27]
	v_mul_f64_e32 v[48:49], v[30:31], v[28:29]
	s_delay_alu instid0(VALU_DEP_2) | instskip(NEXT) | instid1(VALU_DEP_2)
	v_fma_f64 v[6:7], -v[6:7], v[32:33], v[46:47]
	v_fma_f64 v[14:15], -v[14:15], v[48:49], v[30:31]
	s_delay_alu instid0(VALU_DEP_2) | instskip(SKIP_1) | instid1(VALU_DEP_2)
	v_div_fmas_f64 v[6:7], v[6:7], v[26:27], v[32:33]
	s_mov_b32 vcc_lo, s3
	v_div_fmas_f64 v[14:15], v[14:15], v[28:29], v[48:49]
	s_delay_alu instid0(VALU_DEP_2) | instskip(NEXT) | instid1(VALU_DEP_2)
	v_div_fixup_f64 v[6:7], v[6:7], s[40:41], v[10:11]
	v_div_fixup_f64 v[14:15], v[14:15], s[40:41], v[12:13]
	s_delay_alu instid0(VALU_DEP_2) | instskip(NEXT) | instid1(VALU_DEP_2)
	v_cmp_class_f64_e64 s3, v[6:7], 0x204
	v_max_num_f64_e64 v[26:27], |v[6:7]|, |v[14:15]|
	v_cmp_class_f64_e64 s5, v[14:15], 0x204
	s_delay_alu instid0(VALU_DEP_2) | instskip(SKIP_2) | instid1(VALU_DEP_2)
	v_frexp_exp_i32_f64_e32 v1, v[26:27]
	s_or_b32 s3, s3, s5
	v_cmp_class_f64_e64 s5, v[10:11], 0x204
	v_sub_nc_u32_e32 v8, 0, v1
	s_delay_alu instid0(VALU_DEP_1) | instskip(SKIP_1) | instid1(VALU_DEP_2)
	v_ldexp_f64 v[26:27], |v[14:15]|, v8
	v_ldexp_f64 v[28:29], |v[6:7]|, v8
	v_mul_f64_e32 v[26:27], v[26:27], v[26:27]
	s_delay_alu instid0(VALU_DEP_1) | instskip(NEXT) | instid1(VALU_DEP_1)
	v_fmac_f64_e32 v[26:27], v[28:29], v[28:29]
	v_rsq_f64_e32 v[28:29], v[26:27]
	v_cmp_eq_f64_e32 vcc_lo, 0, v[26:27]
	s_delay_alu instid0(TRANS32_DEP_1) | instskip(SKIP_1) | instid1(VALU_DEP_1)
	v_mul_f64_e32 v[30:31], v[26:27], v[28:29]
	v_mul_f64_e32 v[28:29], 0.5, v[28:29]
	v_fma_f64 v[32:33], -v[28:29], v[30:31], 0.5
	s_delay_alu instid0(VALU_DEP_1) | instskip(SKIP_1) | instid1(VALU_DEP_2)
	v_fmac_f64_e32 v[30:31], v[30:31], v[32:33]
	v_fmac_f64_e32 v[28:29], v[28:29], v[32:33]
	v_fma_f64 v[32:33], -v[30:31], v[30:31], v[26:27]
	s_delay_alu instid0(VALU_DEP_1) | instskip(NEXT) | instid1(VALU_DEP_1)
	v_fmac_f64_e32 v[30:31], v[32:33], v[28:29]
	v_dual_cndmask_b32 v27, v31, v27 :: v_dual_cndmask_b32 v26, v30, v26
	v_cmp_o_f64_e32 vcc_lo, v[6:7], v[14:15]
	s_delay_alu instid0(VALU_DEP_2) | instskip(NEXT) | instid1(VALU_DEP_1)
	v_ldexp_f64 v[26:27], v[26:27], v1
	v_cndmask_b32_e32 v1, 0, v26, vcc_lo
	s_delay_alu instid0(VALU_DEP_2) | instskip(NEXT) | instid1(VALU_DEP_1)
	v_cndmask_b32_e32 v6, 0x7ff80000, v27, vcc_lo
	v_cndmask_b32_e64 v7, v6, 0x7ff00000, s3
	s_delay_alu instid0(VALU_DEP_3) | instskip(SKIP_1) | instid1(VALU_DEP_2)
	v_cndmask_b32_e64 v6, v1, 0, s3
	v_cmp_class_f64_e64 s3, v[12:13], 0x204
	v_frexp_mant_f64_e32 v[14:15], v[6:7]
	s_delay_alu instid0(VALU_DEP_1) | instskip(SKIP_1) | instid1(VALU_DEP_1)
	v_cmp_gt_f64_e32 vcc_lo, s[26:27], v[14:15]
	v_cndmask_b32_e64 v1, 0, 1, vcc_lo
	v_ldexp_f64 v[14:15], v[14:15], v1
	v_frexp_exp_i32_f64_e32 v1, v[6:7]
	s_delay_alu instid0(VALU_DEP_2) | instskip(SKIP_1) | instid1(VALU_DEP_3)
	v_add_f64_e32 v[26:27], 1.0, v[14:15]
	v_add_f64_e32 v[32:33], -1.0, v[14:15]
	v_subrev_co_ci_u32_e64 v1, null, 0, v1, vcc_lo
	s_delay_alu instid0(VALU_DEP_3) | instskip(SKIP_1) | instid1(VALU_DEP_1)
	v_rcp_f64_e32 v[28:29], v[26:27]
	v_add_f64_e32 v[46:47], -1.0, v[26:27]
	v_add_f64_e64 v[14:15], v[14:15], -v[46:47]
	s_delay_alu instid0(TRANS32_DEP_1) | instskip(NEXT) | instid1(VALU_DEP_1)
	v_fma_f64 v[30:31], -v[26:27], v[28:29], 1.0
	v_fmac_f64_e32 v[28:29], v[30:31], v[28:29]
	s_delay_alu instid0(VALU_DEP_1) | instskip(NEXT) | instid1(VALU_DEP_1)
	v_fma_f64 v[30:31], -v[26:27], v[28:29], 1.0
	v_fmac_f64_e32 v[28:29], v[30:31], v[28:29]
	s_delay_alu instid0(VALU_DEP_1) | instskip(NEXT) | instid1(VALU_DEP_1)
	v_mul_f64_e32 v[30:31], v[32:33], v[28:29]
	v_mul_f64_e32 v[48:49], v[26:27], v[30:31]
	s_delay_alu instid0(VALU_DEP_1) | instskip(NEXT) | instid1(VALU_DEP_1)
	v_fma_f64 v[26:27], v[30:31], v[26:27], -v[48:49]
	v_fmac_f64_e32 v[26:27], v[30:31], v[14:15]
	s_delay_alu instid0(VALU_DEP_1) | instskip(NEXT) | instid1(VALU_DEP_1)
	v_add_f64_e32 v[14:15], v[48:49], v[26:27]
	v_add_f64_e64 v[46:47], v[32:33], -v[14:15]
	v_add_f64_e64 v[48:49], v[14:15], -v[48:49]
	s_delay_alu instid0(VALU_DEP_2) | instskip(NEXT) | instid1(VALU_DEP_2)
	v_add_f64_e64 v[32:33], v[32:33], -v[46:47]
	v_add_f64_e64 v[26:27], v[48:49], -v[26:27]
	s_delay_alu instid0(VALU_DEP_2) | instskip(SKIP_1) | instid1(VALU_DEP_2)
	v_add_f64_e64 v[14:15], v[32:33], -v[14:15]
	v_max_num_f64_e64 v[32:33], |v[10:11]|, |v[10:11]|
	v_add_f64_e32 v[14:15], v[26:27], v[14:15]
	v_max_num_f64_e64 v[26:27], |v[12:13]|, |v[12:13]|
	s_delay_alu instid0(VALU_DEP_2) | instskip(NEXT) | instid1(VALU_DEP_1)
	v_add_f64_e32 v[14:15], v[46:47], v[14:15]
	v_mul_f64_e32 v[14:15], v[28:29], v[14:15]
	s_delay_alu instid0(VALU_DEP_3) | instskip(SKIP_1) | instid1(VALU_DEP_3)
	v_max_num_f64_e32 v[28:29], v[32:33], v[26:27]
	v_min_num_f64_e32 v[26:27], v[32:33], v[26:27]
	v_add_f64_e32 v[32:33], v[30:31], v[14:15]
	s_delay_alu instid0(VALU_DEP_2) | instskip(NEXT) | instid1(VALU_DEP_2)
	v_div_scale_f64 v[46:47], null, v[28:29], v[28:29], v[26:27]
	v_mul_f64_e32 v[48:49], v[32:33], v[32:33]
	v_add_f64_e64 v[30:31], v[32:33], -v[30:31]
	s_delay_alu instid0(VALU_DEP_3) | instskip(NEXT) | instid1(VALU_DEP_2)
	v_rcp_f64_e32 v[50:51], v[46:47]
	v_fmamk_f64 v[52:53], v[48:49], 0x3fc3ab76bf559e2b, v[38:39]
	v_mul_f64_e32 v[54:55], v[32:33], v[48:49]
	s_delay_alu instid0(VALU_DEP_3) | instskip(NEXT) | instid1(VALU_DEP_3)
	v_add_f64_e64 v[14:15], v[14:15], -v[30:31]
	v_fmaak_f64 v[52:53], v[48:49], v[52:53], 0x3fc7474dd7f4df2e
	s_delay_alu instid0(TRANS32_DEP_1) | instskip(NEXT) | instid1(VALU_DEP_2)
	v_fma_f64 v[56:57], -v[46:47], v[50:51], 1.0
	v_fmaak_f64 v[52:53], v[48:49], v[52:53], 0x3fcc71c016291751
	s_delay_alu instid0(VALU_DEP_1) | instskip(NEXT) | instid1(VALU_DEP_1)
	v_fmaak_f64 v[52:53], v[48:49], v[52:53], 0x3fd249249b27acf1
	v_fmaak_f64 v[52:53], v[48:49], v[52:53], 0x3fd99999998ef7b6
	v_ldexp_f64 v[14:15], v[14:15], 1
	s_delay_alu instid0(VALU_DEP_2) | instskip(SKIP_2) | instid1(VALU_DEP_3)
	v_fmaak_f64 v[48:49], v[48:49], v[52:53], 0x3fe5555555555780
	v_ldexp_f64 v[52:53], v[32:33], 1
	v_fmac_f64_e32 v[50:51], v[50:51], v[56:57]
	v_mul_f64_e32 v[48:49], v[54:55], v[48:49]
	v_cvt_f64_i32_e32 v[54:55], v1
	v_ashrrev_i32_e32 v1, 31, v11
	s_delay_alu instid0(VALU_DEP_1) | instskip(SKIP_4) | instid1(VALU_DEP_3)
	v_and_b32_e32 v16, 0x54442d18, v1
	v_and_b32_e32 v1, 0x400921fb, v1
	v_fma_f64 v[56:57], -v[46:47], v[50:51], 1.0
	v_add_f64_e32 v[32:33], v[52:53], v[48:49]
	v_mul_f64_e32 v[58:59], 0x3fe62e42fefa39ef, v[54:55]
	v_fmac_f64_e32 v[50:51], v[50:51], v[56:57]
	s_delay_alu instid0(VALU_DEP_3) | instskip(SKIP_1) | instid1(VALU_DEP_4)
	v_add_f64_e64 v[30:31], v[32:33], -v[52:53]
	v_div_scale_f64 v[52:53], vcc_lo, v[26:27], v[28:29], v[26:27]
	v_fma_f64 v[56:57], v[54:55], s[28:29], -v[58:59]
	s_delay_alu instid0(VALU_DEP_3) | instskip(NEXT) | instid1(VALU_DEP_3)
	v_add_f64_e64 v[30:31], v[48:49], -v[30:31]
	v_mul_f64_e32 v[48:49], v[52:53], v[50:51]
	s_delay_alu instid0(VALU_DEP_3) | instskip(NEXT) | instid1(VALU_DEP_3)
	v_fmac_f64_e32 v[56:57], 0x3c7abc9e3b39803f, v[54:55]
	v_add_f64_e32 v[14:15], v[14:15], v[30:31]
	s_delay_alu instid0(VALU_DEP_3) | instskip(NEXT) | instid1(VALU_DEP_3)
	v_fma_f64 v[30:31], -v[46:47], v[48:49], v[52:53]
	v_add_f64_e32 v[46:47], v[58:59], v[56:57]
	s_delay_alu instid0(VALU_DEP_3) | instskip(NEXT) | instid1(VALU_DEP_3)
	v_add_f64_e32 v[52:53], v[32:33], v[14:15]
	v_div_fmas_f64 v[30:31], v[30:31], v[50:51], v[48:49]
	v_cmp_class_f64_e64 vcc_lo, v[6:7], 0x204
	s_delay_alu instid0(VALU_DEP_4) | instskip(NEXT) | instid1(VALU_DEP_4)
	v_add_f64_e64 v[50:51], v[46:47], -v[58:59]
	v_add_f64_e32 v[48:49], v[46:47], v[52:53]
	s_delay_alu instid0(VALU_DEP_4) | instskip(SKIP_1) | instid1(VALU_DEP_4)
	v_div_fixup_f64 v[26:27], v[30:31], v[28:29], v[26:27]
	v_add_f64_e64 v[32:33], v[52:53], -v[32:33]
	v_add_f64_e64 v[50:51], v[56:57], -v[50:51]
	s_delay_alu instid0(VALU_DEP_4) | instskip(NEXT) | instid1(VALU_DEP_4)
	v_add_f64_e64 v[28:29], v[48:49], -v[46:47]
	v_mul_f64_e32 v[30:31], v[26:27], v[26:27]
	s_delay_alu instid0(VALU_DEP_4) | instskip(NEXT) | instid1(VALU_DEP_3)
	v_add_f64_e64 v[14:15], v[14:15], -v[32:33]
	v_add_f64_e64 v[54:55], v[48:49], -v[28:29]
	s_delay_alu instid0(VALU_DEP_3) | instskip(SKIP_1) | instid1(VALU_DEP_4)
	v_fmamk_f64 v[58:59], v[30:31], 0x3eeba404b5e68a13, v[40:41]
	v_add_f64_e64 v[28:29], v[52:53], -v[28:29]
	v_add_f64_e32 v[52:53], v[50:51], v[14:15]
	s_delay_alu instid0(VALU_DEP_3) | instskip(SKIP_1) | instid1(VALU_DEP_2)
	v_fmaak_f64 v[58:59], v[30:31], v[58:59], 0x3f4b2bb069efb384
	v_add_f64_e64 v[32:33], v[46:47], -v[54:55]
	v_fmaak_f64 v[46:47], v[30:31], v[58:59], 0xbf67952daf56de9b
	s_delay_alu instid0(VALU_DEP_1) | instskip(NEXT) | instid1(VALU_DEP_1)
	v_fmaak_f64 v[46:47], v[30:31], v[46:47], 0x3f7d6d43a595c56f
	v_fmaak_f64 v[46:47], v[30:31], v[46:47], 0xbf8c6ea4a57d9582
	s_delay_alu instid0(VALU_DEP_1) | instskip(SKIP_1) | instid1(VALU_DEP_2)
	v_fmaak_f64 v[46:47], v[30:31], v[46:47], 0x3f967e295f08b19f
	v_add_f64_e32 v[28:29], v[28:29], v[32:33]
	v_fmaak_f64 v[32:33], v[30:31], v[46:47], 0xbf9e9ae6fc27006a
	v_add_f64_e64 v[46:47], v[52:53], -v[50:51]
	s_delay_alu instid0(VALU_DEP_2) | instskip(NEXT) | instid1(VALU_DEP_1)
	v_fmaak_f64 v[32:33], v[30:31], v[32:33], 0x3fa2c15b5711927a
	v_fmaak_f64 v[32:33], v[30:31], v[32:33], 0xbfa59976e82d3ff0
	s_delay_alu instid0(VALU_DEP_1) | instskip(NEXT) | instid1(VALU_DEP_1)
	v_fmaak_f64 v[32:33], v[30:31], v[32:33], 0x3fa82d5d6ef28734
	v_fmaak_f64 v[32:33], v[30:31], v[32:33], 0xbfaae5ce6a214619
	v_add_f64_e32 v[28:29], v[52:53], v[28:29]
	v_add_f64_e64 v[52:53], v[52:53], -v[46:47]
	v_add_f64_e64 v[14:15], v[14:15], -v[46:47]
	s_delay_alu instid0(VALU_DEP_4) | instskip(NEXT) | instid1(VALU_DEP_1)
	v_fmaak_f64 v[32:33], v[30:31], v[32:33], 0x3fae1bb48427b883
	v_fmaak_f64 v[32:33], v[30:31], v[32:33], 0xbfb110e48b207f05
	s_delay_alu instid0(VALU_DEP_1) | instskip(NEXT) | instid1(VALU_DEP_1)
	v_fmaak_f64 v[32:33], v[30:31], v[32:33], 0x3fb3b13657b87036
	v_fmaak_f64 v[32:33], v[30:31], v[32:33], 0xbfb745d119378e4f
	s_delay_alu instid0(VALU_DEP_1) | instskip(SKIP_1) | instid1(VALU_DEP_2)
	v_fmaak_f64 v[32:33], v[30:31], v[32:33], 0x3fbc71c717e1913c
	v_add_f64_e32 v[54:55], v[48:49], v[28:29]
	v_fmaak_f64 v[32:33], v[30:31], v[32:33], 0xbfc2492492376b7d
	s_delay_alu instid0(VALU_DEP_1) | instskip(NEXT) | instid1(VALU_DEP_1)
	v_fmaak_f64 v[32:33], v[30:31], v[32:33], 0x3fc99999999952cc
	v_fmaak_f64 v[32:33], v[30:31], v[32:33], 0xbfd5555555555523
	s_delay_alu instid0(VALU_DEP_1) | instskip(SKIP_2) | instid1(VALU_DEP_3)
	v_mul_f64_e32 v[30:31], v[30:31], v[32:33]
	v_add_f64_e64 v[32:33], v[50:51], -v[52:53]
	v_add_f64_e64 v[46:47], v[54:55], -v[48:49]
	v_fmac_f64_e32 v[26:27], v[26:27], v[30:31]
	s_delay_alu instid0(VALU_DEP_3) | instskip(NEXT) | instid1(VALU_DEP_3)
	v_add_f64_e32 v[14:15], v[14:15], v[32:33]
	v_add_f64_e64 v[28:29], v[28:29], -v[46:47]
	s_delay_alu instid0(VALU_DEP_3) | instskip(NEXT) | instid1(VALU_DEP_2)
	v_add_f64_e64 v[30:31], -v[26:27], s[30:31]
	v_add_f64_e32 v[14:15], v[14:15], v[28:29]
	s_delay_alu instid0(VALU_DEP_2) | instskip(SKIP_1) | instid1(VALU_DEP_3)
	v_dual_cndmask_b32 v27, v27, v31, s2 :: v_dual_cndmask_b32 v26, v26, v30, s2
	v_cmp_gt_i32_e64 s2, 0, v11
	v_add_f64_e32 v[14:15], v[54:55], v[14:15]
	s_delay_alu instid0(VALU_DEP_3) | instskip(NEXT) | instid1(VALU_DEP_3)
	v_add_f64_e64 v[28:29], -v[26:27], s[34:35]
	v_cndmask_b32_e64 v8, 0x54442d18, v62, s2
	s_delay_alu instid0(VALU_DEP_3) | instskip(SKIP_1) | instid1(VALU_DEP_4)
	v_dual_cndmask_b32 v15, v15, v7 :: v_dual_cndmask_b32 v14, v14, v6
	v_cmp_eq_f64_e32 vcc_lo, 0, v[12:13]
	v_cndmask_b32_e64 v26, v26, v28, s2
	v_cndmask_b32_e64 v28, 0x3fe921fb, v63, s2
	s_delay_alu instid0(VALU_DEP_4) | instskip(SKIP_1) | instid1(VALU_DEP_3)
	v_dual_add_f64 v[14:15], 1.0, v[14:15] :: v_dual_cndmask_b32 v27, v27, v29, s2
	v_cmp_nge_f64_e64 s2, 0, v[6:7]
	v_bfi_b32 v28, 0x7fffffff, v28, v13
	s_delay_alu instid0(VALU_DEP_3) | instskip(SKIP_1) | instid1(VALU_DEP_4)
	v_dual_cndmask_b32 v16, v26, v16 :: v_dual_cndmask_b32 v1, v27, v1
	v_cmp_ngt_f64_e32 vcc_lo, 0, v[6:7]
	v_cndmask_b32_e64 v26, 0, v14, s2
	v_cmp_neq_f64_e64 s2, 0, v[6:7]
	v_cndmask_b32_e32 v15, 0x7ff80000, v15, vcc_lo
	s_and_b32 vcc_lo, s5, s3
	v_cndmask_b32_e32 v29, v1, v28, vcc_lo
	v_cndmask_b32_e32 v28, v16, v8, vcc_lo
	s_delay_alu instid0(VALU_DEP_3)
	v_cndmask_b32_e64 v27, 0xfff00000, v15, s2
.LBB167_100:                            ;   in Loop: Header=BB167_5 Depth=1
	s_or_b32 exec_lo, exec_lo, s4
.LBB167_101:                            ;   in Loop: Header=BB167_5 Depth=1
	s_and_not1_saveexec_b32 s2, s44
	s_cbranch_execz .LBB167_107
; %bb.102:                              ;   in Loop: Header=BB167_5 Depth=1
	v_cmp_ngt_f64_e64 s3, 0x20000000, |v[10:11]|
	v_cmp_ngt_f64_e64 s4, 0x20000000, |v[12:13]|
                                        ; implicit-def: $vgpr6_vgpr7
	s_or_b32 s3, s3, s4
	s_delay_alu instid0(SALU_CYCLE_1) | instskip(NEXT) | instid1(SALU_CYCLE_1)
	s_and_saveexec_b32 s4, s3
	s_xor_b32 s3, exec_lo, s4
	s_cbranch_execz .LBB167_104
; %bb.103:                              ;   in Loop: Header=BB167_5 Depth=1
	v_mul_f64_e32 v[6:7], v[12:13], v[12:13]
	s_delay_alu instid0(VALU_DEP_1)
	v_fmac_f64_e32 v[6:7], v[10:11], v[10:11]
.LBB167_104:                            ;   in Loop: Header=BB167_5 Depth=1
	s_and_not1_saveexec_b32 s3, s3
	s_cbranch_execz .LBB167_106
; %bb.105:                              ;   in Loop: Header=BB167_5 Depth=1
	v_mul_f64_e32 v[6:7], 4.0, v[12:13]
	v_mul_f64_e32 v[10:11], 4.0, v[10:11]
	s_delay_alu instid0(VALU_DEP_2) | instskip(NEXT) | instid1(VALU_DEP_1)
	v_mul_f64_e32 v[6:7], v[6:7], v[6:7]
	v_fmac_f64_e32 v[6:7], v[10:11], v[10:11]
	s_delay_alu instid0(VALU_DEP_1)
	v_ldexp_f64 v[6:7], v[6:7], -4
.LBB167_106:                            ;   in Loop: Header=BB167_5 Depth=1
	s_or_b32 exec_lo, exec_lo, s3
	s_delay_alu instid0(VALU_DEP_1) | instskip(NEXT) | instid1(VALU_DEP_1)
	v_frexp_mant_f64_e32 v[10:11], v[6:7]
	v_cmp_gt_f64_e32 vcc_lo, s[26:27], v[10:11]
	v_cndmask_b32_e64 v1, 0, 1, vcc_lo
	s_delay_alu instid0(VALU_DEP_1) | instskip(SKIP_1) | instid1(VALU_DEP_2)
	v_ldexp_f64 v[10:11], v[10:11], v1
	v_frexp_exp_i32_f64_e32 v1, v[6:7]
	v_add_f64_e32 v[14:15], 1.0, v[10:11]
	v_add_f64_e32 v[30:31], -1.0, v[10:11]
	s_delay_alu instid0(VALU_DEP_3) | instskip(SKIP_1) | instid1(VALU_DEP_4)
	v_subrev_co_ci_u32_e64 v1, null, 0, v1, vcc_lo
	v_cmp_class_f64_e64 vcc_lo, v[6:7], 0x204
	v_rcp_f64_e32 v[26:27], v[14:15]
	v_add_f64_e32 v[32:33], -1.0, v[14:15]
	s_delay_alu instid0(VALU_DEP_1) | instskip(NEXT) | instid1(TRANS32_DEP_1)
	v_add_f64_e64 v[10:11], v[10:11], -v[32:33]
	v_fma_f64 v[28:29], -v[14:15], v[26:27], 1.0
	s_delay_alu instid0(VALU_DEP_1) | instskip(NEXT) | instid1(VALU_DEP_1)
	v_fmac_f64_e32 v[26:27], v[28:29], v[26:27]
	v_fma_f64 v[28:29], -v[14:15], v[26:27], 1.0
	s_delay_alu instid0(VALU_DEP_1) | instskip(NEXT) | instid1(VALU_DEP_1)
	v_fmac_f64_e32 v[26:27], v[28:29], v[26:27]
	v_mul_f64_e32 v[28:29], v[30:31], v[26:27]
	s_delay_alu instid0(VALU_DEP_1) | instskip(NEXT) | instid1(VALU_DEP_1)
	v_mul_f64_e32 v[46:47], v[14:15], v[28:29]
	v_fma_f64 v[14:15], v[28:29], v[14:15], -v[46:47]
	s_delay_alu instid0(VALU_DEP_1) | instskip(NEXT) | instid1(VALU_DEP_1)
	v_fmac_f64_e32 v[14:15], v[28:29], v[10:11]
	v_add_f64_e32 v[10:11], v[46:47], v[14:15]
	s_delay_alu instid0(VALU_DEP_1) | instskip(SKIP_1) | instid1(VALU_DEP_2)
	v_add_f64_e64 v[32:33], v[30:31], -v[10:11]
	v_add_f64_e64 v[46:47], v[10:11], -v[46:47]
	;; [unrolled: 1-line block ×3, first 2 shown]
	s_delay_alu instid0(VALU_DEP_2) | instskip(NEXT) | instid1(VALU_DEP_2)
	v_add_f64_e64 v[14:15], v[46:47], -v[14:15]
	v_add_f64_e64 v[10:11], v[30:31], -v[10:11]
	s_delay_alu instid0(VALU_DEP_1) | instskip(NEXT) | instid1(VALU_DEP_1)
	v_add_f64_e32 v[10:11], v[14:15], v[10:11]
	v_add_f64_e32 v[10:11], v[32:33], v[10:11]
	s_delay_alu instid0(VALU_DEP_1) | instskip(NEXT) | instid1(VALU_DEP_1)
	v_mul_f64_e32 v[10:11], v[26:27], v[10:11]
	v_add_f64_e32 v[14:15], v[28:29], v[10:11]
	s_delay_alu instid0(VALU_DEP_1) | instskip(NEXT) | instid1(VALU_DEP_1)
	v_mul_f64_e32 v[26:27], v[14:15], v[14:15]
	v_fmamk_f64 v[30:31], v[26:27], 0x3fc3ab76bf559e2b, v[38:39]
	v_mul_f64_e32 v[32:33], v[14:15], v[26:27]
	s_delay_alu instid0(VALU_DEP_2) | instskip(NEXT) | instid1(VALU_DEP_1)
	v_fmaak_f64 v[30:31], v[26:27], v[30:31], 0x3fc7474dd7f4df2e
	v_fmaak_f64 v[30:31], v[26:27], v[30:31], 0x3fcc71c016291751
	s_delay_alu instid0(VALU_DEP_1) | instskip(NEXT) | instid1(VALU_DEP_1)
	v_fmaak_f64 v[30:31], v[26:27], v[30:31], 0x3fd249249b27acf1
	v_fmaak_f64 v[30:31], v[26:27], v[30:31], 0x3fd99999998ef7b6
	s_delay_alu instid0(VALU_DEP_1) | instskip(SKIP_2) | instid1(VALU_DEP_3)
	v_fmaak_f64 v[26:27], v[26:27], v[30:31], 0x3fe5555555555780
	v_ldexp_f64 v[30:31], v[14:15], 1
	v_add_f64_e64 v[14:15], v[14:15], -v[28:29]
	v_mul_f64_e32 v[26:27], v[32:33], v[26:27]
	v_cvt_f64_i32_e32 v[32:33], v1
	s_delay_alu instid0(VALU_DEP_3) | instskip(NEXT) | instid1(VALU_DEP_3)
	v_add_f64_e64 v[10:11], v[10:11], -v[14:15]
	v_add_f64_e32 v[28:29], v[30:31], v[26:27]
	s_delay_alu instid0(VALU_DEP_3) | instskip(NEXT) | instid1(VALU_DEP_3)
	v_mul_f64_e32 v[46:47], 0x3fe62e42fefa39ef, v[32:33]
	v_ldexp_f64 v[10:11], v[10:11], 1
	s_delay_alu instid0(VALU_DEP_3) | instskip(NEXT) | instid1(VALU_DEP_3)
	v_add_f64_e64 v[14:15], v[28:29], -v[30:31]
	v_fma_f64 v[30:31], v[32:33], s[28:29], -v[46:47]
	s_delay_alu instid0(VALU_DEP_2) | instskip(NEXT) | instid1(VALU_DEP_2)
	v_add_f64_e64 v[14:15], v[26:27], -v[14:15]
	v_fmac_f64_e32 v[30:31], 0x3c7abc9e3b39803f, v[32:33]
	s_delay_alu instid0(VALU_DEP_2) | instskip(NEXT) | instid1(VALU_DEP_2)
	v_add_f64_e32 v[10:11], v[10:11], v[14:15]
	v_add_f64_e32 v[14:15], v[46:47], v[30:31]
	s_delay_alu instid0(VALU_DEP_2) | instskip(NEXT) | instid1(VALU_DEP_2)
	v_add_f64_e32 v[26:27], v[28:29], v[10:11]
	v_add_f64_e64 v[46:47], v[14:15], -v[46:47]
	s_delay_alu instid0(VALU_DEP_2) | instskip(SKIP_1) | instid1(VALU_DEP_3)
	v_add_f64_e32 v[32:33], v[14:15], v[26:27]
	v_add_f64_e64 v[28:29], v[26:27], -v[28:29]
	v_add_f64_e64 v[30:31], v[30:31], -v[46:47]
	s_delay_alu instid0(VALU_DEP_3) | instskip(NEXT) | instid1(VALU_DEP_3)
	v_add_f64_e64 v[48:49], v[32:33], -v[14:15]
	v_add_f64_e64 v[10:11], v[10:11], -v[28:29]
	s_delay_alu instid0(VALU_DEP_2) | instskip(SKIP_1) | instid1(VALU_DEP_3)
	v_add_f64_e64 v[50:51], v[32:33], -v[48:49]
	v_add_f64_e64 v[26:27], v[26:27], -v[48:49]
	v_add_f64_e32 v[28:29], v[30:31], v[10:11]
	s_delay_alu instid0(VALU_DEP_3) | instskip(NEXT) | instid1(VALU_DEP_1)
	v_add_f64_e64 v[14:15], v[14:15], -v[50:51]
	v_add_f64_e32 v[14:15], v[26:27], v[14:15]
	s_delay_alu instid0(VALU_DEP_3) | instskip(NEXT) | instid1(VALU_DEP_2)
	v_add_f64_e64 v[26:27], v[28:29], -v[30:31]
	v_add_f64_e32 v[14:15], v[28:29], v[14:15]
	s_delay_alu instid0(VALU_DEP_2) | instskip(SKIP_1) | instid1(VALU_DEP_3)
	v_add_f64_e64 v[28:29], v[28:29], -v[26:27]
	v_add_f64_e64 v[10:11], v[10:11], -v[26:27]
	v_add_f64_e32 v[46:47], v[32:33], v[14:15]
	s_delay_alu instid0(VALU_DEP_3) | instskip(NEXT) | instid1(VALU_DEP_2)
	v_add_f64_e64 v[26:27], v[30:31], -v[28:29]
	v_add_f64_e64 v[28:29], v[46:47], -v[32:33]
	s_delay_alu instid0(VALU_DEP_2) | instskip(NEXT) | instid1(VALU_DEP_2)
	v_add_f64_e32 v[10:11], v[10:11], v[26:27]
	v_add_f64_e64 v[14:15], v[14:15], -v[28:29]
	v_mov_b64_e32 v[28:29], 0x7ff8000000000000
	s_delay_alu instid0(VALU_DEP_2) | instskip(NEXT) | instid1(VALU_DEP_1)
	v_add_f64_e32 v[10:11], v[10:11], v[14:15]
	v_add_f64_e32 v[10:11], v[46:47], v[10:11]
	s_delay_alu instid0(VALU_DEP_1) | instskip(SKIP_1) | instid1(VALU_DEP_2)
	v_dual_cndmask_b32 v1, v10, v6 :: v_dual_cndmask_b32 v8, v11, v7
	v_cmp_ngt_f64_e32 vcc_lo, 0, v[6:7]
	v_cndmask_b32_e32 v8, 0x7ff80000, v8, vcc_lo
	v_cmp_nge_f64_e32 vcc_lo, 0, v[6:7]
	s_delay_alu instid0(VALU_DEP_4) | instskip(SKIP_1) | instid1(VALU_DEP_4)
	v_cndmask_b32_e32 v26, 0, v1, vcc_lo
	v_cmp_neq_f64_e32 vcc_lo, 0, v[6:7]
	v_cndmask_b32_e32 v27, 0xfff00000, v8, vcc_lo
.LBB167_107:                            ;   in Loop: Header=BB167_5 Depth=1
	s_or_b32 exec_lo, exec_lo, s2
                                        ; implicit-def: $vgpr30_vgpr31
	s_delay_alu instid0(SALU_CYCLE_1)
	s_mov_b32 s2, exec_lo
	v_cmpx_o_f64_e32 v[2:3], v[4:5]
	s_xor_b32 s44, exec_lo, s2
	s_cbranch_execz .LBB167_135
; %bb.108:                              ;   in Loop: Header=BB167_5 Depth=1
	v_cmp_lt_f64_e64 s2, |v[2:3]|, |v[4:5]|
	v_and_b32_e32 v7, 0x7fffffff, v3
	v_and_b32_e32 v1, 0x7fffffff, v5
	v_mov_b32_e32 v6, v4
                                        ; implicit-def: $vgpr30_vgpr31
	s_mov_b32 s3, exec_lo
	s_delay_alu instid0(VALU_DEP_2) | instskip(NEXT) | instid1(VALU_DEP_1)
	v_dual_cndmask_b32 v11, v1, v7, s2 :: v_dual_cndmask_b32 v10, v4, v2, s2
	v_cmpx_nlt_f64_e32 s[20:21], v[10:11]
	s_xor_b32 s45, exec_lo, s3
	s_cbranch_execz .LBB167_132
; %bb.109:                              ;   in Loop: Header=BB167_5 Depth=1
	v_dual_cndmask_b32 v15, v7, v1, s2 :: v_dual_cndmask_b32 v14, v2, v6, s2
                                        ; implicit-def: $vgpr30_vgpr31
	s_mov_b32 s3, exec_lo
	s_delay_alu instid0(VALU_DEP_1)
	v_cmpx_neq_f64_e32 1.0, v[14:15]
	s_xor_b32 s46, exec_lo, s3
	s_cbranch_execz .LBB167_125
; %bb.110:                              ;   in Loop: Header=BB167_5 Depth=1
	v_max_num_f64_e32 v[6:7], v[10:11], v[10:11]
	v_max_num_f64_e32 v[30:31], v[14:15], v[14:15]
	s_delay_alu instid0(VALU_DEP_1) | instskip(SKIP_1) | instid1(VALU_DEP_2)
	v_min_num_f64_e32 v[32:33], v[30:31], v[6:7]
	v_max_num_f64_e32 v[6:7], v[30:31], v[6:7]
	v_cmp_ngt_f64_e32 vcc_lo, s[22:23], v[32:33]
	s_delay_alu instid0(VALU_DEP_2) | instskip(SKIP_1) | instid1(SALU_CYCLE_1)
	v_cmp_nlt_f64_e64 s3, s[24:25], v[6:7]
                                        ; implicit-def: $vgpr30_vgpr31
	s_and_b32 s3, s3, vcc_lo
	s_and_saveexec_b32 s4, s3
	s_delay_alu instid0(SALU_CYCLE_1)
	s_xor_b32 s47, exec_lo, s4
	s_cbranch_execz .LBB167_122
; %bb.111:                              ;   in Loop: Header=BB167_5 Depth=1
                                        ; implicit-def: $vgpr30_vgpr31
	s_mov_b32 s3, exec_lo
	v_cmpx_le_f64_e32 1.0, v[14:15]
	s_xor_b32 s6, exec_lo, s3
	s_cbranch_execz .LBB167_113
; %bb.112:                              ;   in Loop: Header=BB167_5 Depth=1
	v_add_f64_e32 v[6:7], -1.0, v[14:15]
	v_add_f64_e32 v[14:15], 1.0, v[14:15]
	v_cmp_eq_f64_e64 s3, 0, v[4:5]
	v_cmp_class_f64_e64 s7, v[4:5], 0x204
	v_cmp_class_f64_e64 s8, v[2:3], 0x204
	s_delay_alu instid0(VALU_DEP_4) | instskip(NEXT) | instid1(VALU_DEP_1)
	v_mul_f64_e32 v[6:7], v[6:7], v[14:15]
	v_fmac_f64_e32 v[6:7], v[10:11], v[10:11]
	s_delay_alu instid0(VALU_DEP_1) | instskip(SKIP_2) | instid1(VALU_DEP_3)
	v_add_f64_e32 v[10:11], 1.0, v[6:7]
	v_cmp_nge_f64_e64 s4, -1.0, v[6:7]
	v_cmp_neq_f64_e64 s5, 0x7ff00000, v[6:7]
	v_frexp_mant_f64_e32 v[14:15], v[10:11]
	v_frexp_exp_i32_f64_e32 v1, v[10:11]
	v_add_f64_e32 v[30:31], -1.0, v[10:11]
	s_delay_alu instid0(VALU_DEP_3) | instskip(NEXT) | instid1(VALU_DEP_2)
	v_cmp_gt_f64_e32 vcc_lo, s[26:27], v[14:15]
	v_add_f64_e64 v[14:15], v[30:31], -v[10:11]
	v_add_f64_e64 v[30:31], v[6:7], -v[30:31]
	v_subrev_co_ci_u32_e64 v1, null, 0, v1, vcc_lo
	s_delay_alu instid0(VALU_DEP_1) | instskip(NEXT) | instid1(VALU_DEP_1)
	v_dual_add_f64 v[14:15], 1.0, v[14:15] :: v_dual_sub_nc_u32 v8, 0, v1
	v_ldexp_f64 v[10:11], v[10:11], v8
	s_delay_alu instid0(VALU_DEP_2) | instskip(NEXT) | instid1(VALU_DEP_2)
	v_add_f64_e32 v[14:15], v[30:31], v[14:15]
	v_add_f64_e32 v[32:33], 1.0, v[10:11]
	v_add_f64_e32 v[50:51], -1.0, v[10:11]
	s_delay_alu instid0(VALU_DEP_3) | instskip(NEXT) | instid1(VALU_DEP_3)
	v_ldexp_f64 v[14:15], v[14:15], v8
	v_add_f64_e32 v[30:31], -1.0, v[32:33]
	s_delay_alu instid0(VALU_DEP_3) | instskip(NEXT) | instid1(VALU_DEP_2)
	v_add_f64_e32 v[52:53], 1.0, v[50:51]
	v_add_f64_e64 v[30:31], v[10:11], -v[30:31]
	s_delay_alu instid0(VALU_DEP_2) | instskip(NEXT) | instid1(VALU_DEP_2)
	v_add_f64_e64 v[10:11], v[10:11], -v[52:53]
	v_add_f64_e32 v[30:31], v[14:15], v[30:31]
	s_delay_alu instid0(VALU_DEP_2) | instskip(NEXT) | instid1(VALU_DEP_2)
	v_add_f64_e32 v[10:11], v[14:15], v[10:11]
	v_add_f64_e32 v[46:47], v[32:33], v[30:31]
	s_delay_alu instid0(VALU_DEP_2) | instskip(NEXT) | instid1(VALU_DEP_2)
	v_add_f64_e32 v[52:53], v[50:51], v[10:11]
	v_rcp_f64_e32 v[48:49], v[46:47]
	v_add_f64_e64 v[32:33], v[46:47], -v[32:33]
	s_delay_alu instid0(VALU_DEP_2) | instskip(NEXT) | instid1(VALU_DEP_2)
	v_add_f64_e64 v[50:51], v[52:53], -v[50:51]
	v_add_f64_e64 v[30:31], v[30:31], -v[32:33]
	s_delay_alu instid0(VALU_DEP_2) | instskip(NEXT) | instid1(TRANS32_DEP_1)
	v_add_f64_e64 v[10:11], v[10:11], -v[50:51]
	v_fma_f64 v[54:55], -v[46:47], v[48:49], 1.0
	s_delay_alu instid0(VALU_DEP_1) | instskip(NEXT) | instid1(VALU_DEP_1)
	v_fmac_f64_e32 v[48:49], v[54:55], v[48:49]
	v_fma_f64 v[14:15], -v[46:47], v[48:49], 1.0
	s_delay_alu instid0(VALU_DEP_1) | instskip(NEXT) | instid1(VALU_DEP_1)
	v_fmac_f64_e32 v[48:49], v[14:15], v[48:49]
	v_mul_f64_e32 v[14:15], v[52:53], v[48:49]
	s_delay_alu instid0(VALU_DEP_1) | instskip(NEXT) | instid1(VALU_DEP_1)
	v_mul_f64_e32 v[54:55], v[46:47], v[14:15]
	v_fma_f64 v[32:33], v[14:15], v[46:47], -v[54:55]
	s_delay_alu instid0(VALU_DEP_1) | instskip(NEXT) | instid1(VALU_DEP_1)
	v_fmac_f64_e32 v[32:33], v[14:15], v[30:31]
	v_add_f64_e32 v[56:57], v[54:55], v[32:33]
	s_delay_alu instid0(VALU_DEP_1) | instskip(SKIP_1) | instid1(VALU_DEP_2)
	v_add_f64_e64 v[58:59], v[52:53], -v[56:57]
	v_add_f64_e64 v[50:51], v[56:57], -v[54:55]
	v_add_f64_e64 v[52:53], v[52:53], -v[58:59]
	s_delay_alu instid0(VALU_DEP_2) | instskip(NEXT) | instid1(VALU_DEP_2)
	v_add_f64_e64 v[32:33], v[50:51], -v[32:33]
	v_add_f64_e64 v[52:53], v[52:53], -v[56:57]
	s_delay_alu instid0(VALU_DEP_1) | instskip(NEXT) | instid1(VALU_DEP_1)
	v_add_f64_e32 v[10:11], v[10:11], v[52:53]
	v_add_f64_e32 v[10:11], v[32:33], v[10:11]
	s_delay_alu instid0(VALU_DEP_1) | instskip(NEXT) | instid1(VALU_DEP_1)
	v_add_f64_e32 v[32:33], v[58:59], v[10:11]
	v_mul_f64_e32 v[50:51], v[48:49], v[32:33]
	v_add_f64_e64 v[56:57], v[58:59], -v[32:33]
	s_delay_alu instid0(VALU_DEP_2) | instskip(NEXT) | instid1(VALU_DEP_2)
	v_mul_f64_e32 v[52:53], v[46:47], v[50:51]
	v_add_f64_e32 v[10:11], v[10:11], v[56:57]
	s_delay_alu instid0(VALU_DEP_2) | instskip(NEXT) | instid1(VALU_DEP_1)
	v_fma_f64 v[46:47], v[50:51], v[46:47], -v[52:53]
	v_fmac_f64_e32 v[46:47], v[50:51], v[30:31]
	s_delay_alu instid0(VALU_DEP_1) | instskip(NEXT) | instid1(VALU_DEP_1)
	v_add_f64_e32 v[30:31], v[52:53], v[46:47]
	v_add_f64_e64 v[54:55], v[32:33], -v[30:31]
	v_add_f64_e64 v[52:53], v[30:31], -v[52:53]
	s_delay_alu instid0(VALU_DEP_2) | instskip(NEXT) | instid1(VALU_DEP_1)
	v_add_f64_e64 v[32:33], v[32:33], -v[54:55]
	v_add_f64_e64 v[30:31], v[32:33], -v[30:31]
	s_delay_alu instid0(VALU_DEP_3) | instskip(SKIP_1) | instid1(VALU_DEP_3)
	v_add_f64_e64 v[32:33], v[52:53], -v[46:47]
	v_max_num_f64_e64 v[46:47], |v[2:3]|, |v[2:3]|
	v_add_f64_e32 v[10:11], v[10:11], v[30:31]
	v_add_f64_e32 v[30:31], v[14:15], v[50:51]
	s_delay_alu instid0(VALU_DEP_2) | instskip(NEXT) | instid1(VALU_DEP_2)
	v_add_f64_e32 v[10:11], v[32:33], v[10:11]
	v_add_f64_e64 v[14:15], v[30:31], -v[14:15]
	v_max_num_f64_e64 v[32:33], |v[4:5]|, |v[4:5]|
	s_delay_alu instid0(VALU_DEP_3) | instskip(NEXT) | instid1(VALU_DEP_3)
	v_add_f64_e32 v[10:11], v[54:55], v[10:11]
	v_add_f64_e64 v[14:15], v[50:51], -v[14:15]
	s_delay_alu instid0(VALU_DEP_2) | instskip(NEXT) | instid1(VALU_DEP_1)
	v_mul_f64_e32 v[10:11], v[48:49], v[10:11]
	v_add_f64_e32 v[10:11], v[14:15], v[10:11]
	v_max_num_f64_e32 v[14:15], v[46:47], v[32:33]
	v_min_num_f64_e32 v[32:33], v[46:47], v[32:33]
	s_delay_alu instid0(VALU_DEP_3) | instskip(NEXT) | instid1(VALU_DEP_2)
	v_add_f64_e32 v[46:47], v[30:31], v[10:11]
	v_div_scale_f64 v[48:49], null, v[14:15], v[14:15], v[32:33]
	s_delay_alu instid0(VALU_DEP_2) | instskip(SKIP_1) | instid1(VALU_DEP_3)
	v_mul_f64_e32 v[50:51], v[46:47], v[46:47]
	v_add_f64_e64 v[30:31], v[46:47], -v[30:31]
	v_rcp_f64_e32 v[52:53], v[48:49]
	s_delay_alu instid0(VALU_DEP_2) | instskip(SKIP_1) | instid1(VALU_DEP_3)
	v_fmamk_f64 v[54:55], v[50:51], 0x3fc3ab76bf559e2b, v[38:39]
	v_mul_f64_e32 v[56:57], v[46:47], v[50:51]
	v_add_f64_e64 v[10:11], v[10:11], -v[30:31]
	s_delay_alu instid0(VALU_DEP_3) | instskip(NEXT) | instid1(TRANS32_DEP_1)
	v_fmaak_f64 v[54:55], v[50:51], v[54:55], 0x3fc7474dd7f4df2e
	v_fma_f64 v[58:59], -v[48:49], v[52:53], 1.0
	s_delay_alu instid0(VALU_DEP_2) | instskip(NEXT) | instid1(VALU_DEP_1)
	v_fmaak_f64 v[54:55], v[50:51], v[54:55], 0x3fcc71c016291751
	v_fmaak_f64 v[54:55], v[50:51], v[54:55], 0x3fd249249b27acf1
	s_delay_alu instid0(VALU_DEP_1) | instskip(SKIP_1) | instid1(VALU_DEP_2)
	v_fmaak_f64 v[54:55], v[50:51], v[54:55], 0x3fd99999998ef7b6
	v_ldexp_f64 v[10:11], v[10:11], 1
	v_fmaak_f64 v[50:51], v[50:51], v[54:55], 0x3fe5555555555780
	v_ldexp_f64 v[54:55], v[46:47], 1
	v_fmac_f64_e32 v[52:53], v[52:53], v[58:59]
	s_delay_alu instid0(VALU_DEP_3) | instskip(SKIP_2) | instid1(VALU_DEP_1)
	v_mul_f64_e32 v[50:51], v[56:57], v[50:51]
	v_cvt_f64_i32_e32 v[56:57], v1
	v_ashrrev_i32_e32 v1, 31, v3
	v_and_b32_e32 v12, 0x54442d18, v1
	v_and_b32_e32 v1, 0x400921fb, v1
	v_fma_f64 v[58:59], -v[48:49], v[52:53], 1.0
	v_add_f64_e32 v[46:47], v[54:55], v[50:51]
	v_mul_f64_e32 v[60:61], 0x3fe62e42fefa39ef, v[56:57]
	s_delay_alu instid0(VALU_DEP_3) | instskip(NEXT) | instid1(VALU_DEP_3)
	v_fmac_f64_e32 v[52:53], v[52:53], v[58:59]
	v_add_f64_e64 v[30:31], v[46:47], -v[54:55]
	v_div_scale_f64 v[54:55], vcc_lo, v[32:33], v[14:15], v[32:33]
	s_delay_alu instid0(VALU_DEP_4) | instskip(NEXT) | instid1(VALU_DEP_3)
	v_fma_f64 v[58:59], v[56:57], s[28:29], -v[60:61]
	v_add_f64_e64 v[30:31], v[50:51], -v[30:31]
	s_delay_alu instid0(VALU_DEP_3) | instskip(NEXT) | instid1(VALU_DEP_3)
	v_mul_f64_e32 v[50:51], v[54:55], v[52:53]
	v_fmac_f64_e32 v[58:59], 0x3c7abc9e3b39803f, v[56:57]
	s_delay_alu instid0(VALU_DEP_3) | instskip(NEXT) | instid1(VALU_DEP_3)
	v_add_f64_e32 v[10:11], v[10:11], v[30:31]
	v_fma_f64 v[30:31], -v[48:49], v[50:51], v[54:55]
	s_delay_alu instid0(VALU_DEP_3) | instskip(NEXT) | instid1(VALU_DEP_3)
	v_add_f64_e32 v[48:49], v[60:61], v[58:59]
	v_add_f64_e32 v[54:55], v[46:47], v[10:11]
	s_delay_alu instid0(VALU_DEP_3) | instskip(SKIP_1) | instid1(VALU_DEP_4)
	v_div_fmas_f64 v[30:31], v[30:31], v[52:53], v[50:51]
	v_cmp_gt_i32_e32 vcc_lo, 0, v3
	v_add_f64_e64 v[52:53], v[48:49], -v[60:61]
	v_cndmask_b32_e32 v8, 0x54442d18, v62, vcc_lo
	v_cndmask_b32_e32 v16, 0x3fe921fb, v63, vcc_lo
	s_delay_alu instid0(VALU_DEP_1) | instskip(SKIP_4) | instid1(VALU_DEP_4)
	v_bfi_b32 v16, 0x7fffffff, v16, v5
	v_add_f64_e32 v[50:51], v[48:49], v[54:55]
	v_div_fixup_f64 v[14:15], v[30:31], v[14:15], v[32:33]
	v_add_f64_e64 v[46:47], v[54:55], -v[46:47]
	v_add_f64_e64 v[52:53], v[58:59], -v[52:53]
	;; [unrolled: 1-line block ×3, first 2 shown]
	s_delay_alu instid0(VALU_DEP_4) | instskip(NEXT) | instid1(VALU_DEP_4)
	v_mul_f64_e32 v[32:33], v[14:15], v[14:15]
	v_add_f64_e64 v[10:11], v[10:11], -v[46:47]
	s_delay_alu instid0(VALU_DEP_3) | instskip(NEXT) | instid1(VALU_DEP_3)
	v_add_f64_e64 v[56:57], v[50:51], -v[30:31]
	v_fmamk_f64 v[60:61], v[32:33], 0x3eeba404b5e68a13, v[40:41]
	v_add_f64_e64 v[30:31], v[54:55], -v[30:31]
	s_delay_alu instid0(VALU_DEP_4) | instskip(NEXT) | instid1(VALU_DEP_3)
	v_add_f64_e32 v[54:55], v[52:53], v[10:11]
	v_fmaak_f64 v[60:61], v[32:33], v[60:61], 0x3f4b2bb069efb384
	v_add_f64_e64 v[46:47], v[48:49], -v[56:57]
	s_delay_alu instid0(VALU_DEP_2) | instskip(NEXT) | instid1(VALU_DEP_1)
	v_fmaak_f64 v[48:49], v[32:33], v[60:61], 0xbf67952daf56de9b
	v_fmaak_f64 v[48:49], v[32:33], v[48:49], 0x3f7d6d43a595c56f
	s_delay_alu instid0(VALU_DEP_1) | instskip(NEXT) | instid1(VALU_DEP_1)
	v_fmaak_f64 v[48:49], v[32:33], v[48:49], 0xbf8c6ea4a57d9582
	v_fmaak_f64 v[48:49], v[32:33], v[48:49], 0x3f967e295f08b19f
	s_delay_alu instid0(VALU_DEP_1) | instskip(SKIP_1) | instid1(VALU_DEP_2)
	v_fmaak_f64 v[48:49], v[32:33], v[48:49], 0xbf9e9ae6fc27006a
	v_add_f64_e32 v[30:31], v[30:31], v[46:47]
	v_fmaak_f64 v[46:47], v[32:33], v[48:49], 0x3fa2c15b5711927a
	v_add_f64_e64 v[48:49], v[54:55], -v[52:53]
	s_delay_alu instid0(VALU_DEP_2) | instskip(NEXT) | instid1(VALU_DEP_1)
	v_fmaak_f64 v[46:47], v[32:33], v[46:47], 0xbfa59976e82d3ff0
	v_fmaak_f64 v[46:47], v[32:33], v[46:47], 0x3fa82d5d6ef28734
	s_delay_alu instid0(VALU_DEP_1) | instskip(NEXT) | instid1(VALU_DEP_1)
	v_fmaak_f64 v[46:47], v[32:33], v[46:47], 0xbfaae5ce6a214619
	v_fmaak_f64 v[46:47], v[32:33], v[46:47], 0x3fae1bb48427b883
	v_add_f64_e32 v[30:31], v[54:55], v[30:31]
	v_add_f64_e64 v[54:55], v[54:55], -v[48:49]
	v_add_f64_e64 v[10:11], v[10:11], -v[48:49]
	s_delay_alu instid0(VALU_DEP_4) | instskip(NEXT) | instid1(VALU_DEP_1)
	v_fmaak_f64 v[46:47], v[32:33], v[46:47], 0xbfb110e48b207f05
	v_fmaak_f64 v[46:47], v[32:33], v[46:47], 0x3fb3b13657b87036
	s_delay_alu instid0(VALU_DEP_1) | instskip(NEXT) | instid1(VALU_DEP_1)
	v_fmaak_f64 v[46:47], v[32:33], v[46:47], 0xbfb745d119378e4f
	v_fmaak_f64 v[46:47], v[32:33], v[46:47], 0x3fbc71c717e1913c
	v_add_f64_e32 v[56:57], v[50:51], v[30:31]
	s_delay_alu instid0(VALU_DEP_2) | instskip(NEXT) | instid1(VALU_DEP_1)
	v_fmaak_f64 v[46:47], v[32:33], v[46:47], 0xbfc2492492376b7d
	v_fmaak_f64 v[46:47], v[32:33], v[46:47], 0x3fc99999999952cc
	s_delay_alu instid0(VALU_DEP_1) | instskip(NEXT) | instid1(VALU_DEP_1)
	v_fmaak_f64 v[46:47], v[32:33], v[46:47], 0xbfd5555555555523
	v_mul_f64_e32 v[32:33], v[32:33], v[46:47]
	v_add_f64_e64 v[46:47], v[52:53], -v[54:55]
	v_add_f64_e64 v[48:49], v[56:57], -v[50:51]
	s_delay_alu instid0(VALU_DEP_3) | instskip(NEXT) | instid1(VALU_DEP_3)
	v_fmac_f64_e32 v[14:15], v[14:15], v[32:33]
	v_add_f64_e32 v[10:11], v[10:11], v[46:47]
	s_delay_alu instid0(VALU_DEP_3) | instskip(NEXT) | instid1(VALU_DEP_3)
	v_add_f64_e64 v[30:31], v[30:31], -v[48:49]
	v_add_f64_e64 v[32:33], -v[14:15], s[30:31]
	s_delay_alu instid0(VALU_DEP_2) | instskip(NEXT) | instid1(VALU_DEP_2)
	v_add_f64_e32 v[10:11], v[10:11], v[30:31]
	v_dual_cndmask_b32 v15, v15, v33, s2 :: v_dual_cndmask_b32 v14, v14, v32, s2
	s_delay_alu instid0(VALU_DEP_1) | instskip(NEXT) | instid1(VALU_DEP_3)
	v_add_f64_e64 v[30:31], -v[14:15], s[34:35]
	v_add_f64_e32 v[10:11], v[56:57], v[10:11]
	s_delay_alu instid0(VALU_DEP_2) | instskip(SKIP_1) | instid1(VALU_DEP_2)
	v_dual_cndmask_b32 v14, v14, v30 :: v_dual_cndmask_b32 v15, v15, v31
	v_cmp_ngt_f64_e32 vcc_lo, -1.0, v[6:7]
	v_dual_mul_f64 v[10:11], 0.5, v[10:11] :: v_dual_cndmask_b32 v12, v14, v12, s3
	s_delay_alu instid0(VALU_DEP_3)
	v_cndmask_b32_e64 v1, v15, v1, s3
	s_and_b32 s3, s4, s5
                                        ; implicit-def: $vgpr14_vgpr15
	s_delay_alu instid0(VALU_DEP_2) | instid1(SALU_CYCLE_1)
	v_cndmask_b32_e64 v30, 0, v10, s3
	v_cmp_neq_f64_e64 s3, -1.0, v[6:7]
	s_delay_alu instid0(VALU_DEP_4) | instskip(NEXT) | instid1(VALU_DEP_1)
	v_cndmask_b32_e64 v11, 0x7ff00000, v11, s5
	v_cndmask_b32_e32 v11, 0x7ff80000, v11, vcc_lo
	s_and_b32 vcc_lo, s8, s7
	v_cndmask_b32_e32 v33, v1, v16, vcc_lo
	v_cndmask_b32_e32 v32, v12, v8, vcc_lo
	s_delay_alu instid0(VALU_DEP_3)
	v_cndmask_b32_e64 v31, 0xfff00000, v11, s3
                                        ; implicit-def: $vgpr10_vgpr11
.LBB167_113:                            ;   in Loop: Header=BB167_5 Depth=1
	s_and_not1_saveexec_b32 s48, s6
	s_cbranch_execz .LBB167_121
; %bb.114:                              ;   in Loop: Header=BB167_5 Depth=1
	v_mul_f64_e32 v[6:7], v[10:11], v[10:11]
                                        ; implicit-def: $vgpr30_vgpr31
	s_mov_b32 s3, exec_lo
	s_delay_alu instid0(VALU_DEP_1) | instskip(NEXT) | instid1(VALU_DEP_1)
	v_fmac_f64_e32 v[6:7], v[14:15], v[14:15]
	v_cmpx_ge_f64_e32 s[36:37], v[6:7]
	s_xor_b32 s5, exec_lo, s3
	s_cbranch_execz .LBB167_116
; %bb.115:                              ;   in Loop: Header=BB167_5 Depth=1
	v_frexp_mant_f64_e32 v[10:11], v[6:7]
	v_cmp_eq_f64_e64 s3, 0, v[4:5]
	v_cmp_neq_f64_e64 s4, 0, v[6:7]
	v_cmp_class_f64_e64 s6, v[4:5], 0x204
	v_cmp_class_f64_e64 s7, v[2:3], 0x204
	v_cmp_gt_f64_e32 vcc_lo, s[26:27], v[10:11]
	v_cndmask_b32_e64 v1, 0, 1, vcc_lo
	s_delay_alu instid0(VALU_DEP_1) | instskip(SKIP_1) | instid1(VALU_DEP_2)
	v_ldexp_f64 v[10:11], v[10:11], v1
	v_frexp_exp_i32_f64_e32 v1, v[6:7]
	v_add_f64_e32 v[14:15], 1.0, v[10:11]
	v_add_f64_e32 v[46:47], -1.0, v[10:11]
	s_delay_alu instid0(VALU_DEP_3) | instskip(NEXT) | instid1(VALU_DEP_3)
	v_subrev_co_ci_u32_e64 v1, null, 0, v1, vcc_lo
	v_rcp_f64_e32 v[30:31], v[14:15]
	v_add_f64_e32 v[48:49], -1.0, v[14:15]
	s_delay_alu instid0(VALU_DEP_1) | instskip(NEXT) | instid1(TRANS32_DEP_1)
	v_add_f64_e64 v[10:11], v[10:11], -v[48:49]
	v_fma_f64 v[32:33], -v[14:15], v[30:31], 1.0
	s_delay_alu instid0(VALU_DEP_1) | instskip(NEXT) | instid1(VALU_DEP_1)
	v_fmac_f64_e32 v[30:31], v[32:33], v[30:31]
	v_fma_f64 v[32:33], -v[14:15], v[30:31], 1.0
	s_delay_alu instid0(VALU_DEP_1) | instskip(NEXT) | instid1(VALU_DEP_1)
	v_fmac_f64_e32 v[30:31], v[32:33], v[30:31]
	v_mul_f64_e32 v[32:33], v[46:47], v[30:31]
	s_delay_alu instid0(VALU_DEP_1) | instskip(NEXT) | instid1(VALU_DEP_1)
	v_mul_f64_e32 v[50:51], v[14:15], v[32:33]
	v_fma_f64 v[14:15], v[32:33], v[14:15], -v[50:51]
	s_delay_alu instid0(VALU_DEP_1) | instskip(NEXT) | instid1(VALU_DEP_1)
	v_fmac_f64_e32 v[14:15], v[32:33], v[10:11]
	v_add_f64_e32 v[10:11], v[50:51], v[14:15]
	s_delay_alu instid0(VALU_DEP_1) | instskip(SKIP_1) | instid1(VALU_DEP_2)
	v_add_f64_e64 v[48:49], v[46:47], -v[10:11]
	v_add_f64_e64 v[50:51], v[10:11], -v[50:51]
	;; [unrolled: 1-line block ×3, first 2 shown]
	s_delay_alu instid0(VALU_DEP_2) | instskip(NEXT) | instid1(VALU_DEP_2)
	v_add_f64_e64 v[14:15], v[50:51], -v[14:15]
	v_add_f64_e64 v[10:11], v[46:47], -v[10:11]
	v_max_num_f64_e64 v[46:47], |v[2:3]|, |v[2:3]|
	s_delay_alu instid0(VALU_DEP_2) | instskip(SKIP_1) | instid1(VALU_DEP_2)
	v_add_f64_e32 v[10:11], v[14:15], v[10:11]
	v_max_num_f64_e64 v[14:15], |v[4:5]|, |v[4:5]|
	v_add_f64_e32 v[10:11], v[48:49], v[10:11]
	s_delay_alu instid0(VALU_DEP_1) | instskip(NEXT) | instid1(VALU_DEP_3)
	v_mul_f64_e32 v[10:11], v[30:31], v[10:11]
	v_max_num_f64_e32 v[30:31], v[46:47], v[14:15]
	v_min_num_f64_e32 v[14:15], v[46:47], v[14:15]
	s_delay_alu instid0(VALU_DEP_3) | instskip(NEXT) | instid1(VALU_DEP_2)
	v_add_f64_e32 v[46:47], v[32:33], v[10:11]
	v_div_scale_f64 v[48:49], null, v[30:31], v[30:31], v[14:15]
	s_delay_alu instid0(VALU_DEP_2) | instskip(SKIP_1) | instid1(VALU_DEP_3)
	v_mul_f64_e32 v[50:51], v[46:47], v[46:47]
	v_add_f64_e64 v[32:33], v[46:47], -v[32:33]
	v_rcp_f64_e32 v[52:53], v[48:49]
	s_delay_alu instid0(VALU_DEP_2) | instskip(SKIP_1) | instid1(VALU_DEP_3)
	v_fmamk_f64 v[54:55], v[50:51], 0x3fc3ab76bf559e2b, v[38:39]
	v_mul_f64_e32 v[56:57], v[46:47], v[50:51]
	v_add_f64_e64 v[10:11], v[10:11], -v[32:33]
	s_delay_alu instid0(VALU_DEP_3) | instskip(NEXT) | instid1(TRANS32_DEP_1)
	v_fmaak_f64 v[54:55], v[50:51], v[54:55], 0x3fc7474dd7f4df2e
	v_fma_f64 v[58:59], -v[48:49], v[52:53], 1.0
	s_delay_alu instid0(VALU_DEP_2) | instskip(NEXT) | instid1(VALU_DEP_1)
	v_fmaak_f64 v[54:55], v[50:51], v[54:55], 0x3fcc71c016291751
	v_fmaak_f64 v[54:55], v[50:51], v[54:55], 0x3fd249249b27acf1
	s_delay_alu instid0(VALU_DEP_1) | instskip(SKIP_1) | instid1(VALU_DEP_2)
	v_fmaak_f64 v[54:55], v[50:51], v[54:55], 0x3fd99999998ef7b6
	v_ldexp_f64 v[10:11], v[10:11], 1
	v_fmaak_f64 v[50:51], v[50:51], v[54:55], 0x3fe5555555555780
	v_ldexp_f64 v[54:55], v[46:47], 1
	v_fmac_f64_e32 v[52:53], v[52:53], v[58:59]
	s_delay_alu instid0(VALU_DEP_3) | instskip(SKIP_2) | instid1(VALU_DEP_1)
	v_mul_f64_e32 v[50:51], v[56:57], v[50:51]
	v_cvt_f64_i32_e32 v[56:57], v1
	v_ashrrev_i32_e32 v1, 31, v3
	v_and_b32_e32 v12, 0x54442d18, v1
	v_and_b32_e32 v1, 0x400921fb, v1
	v_fma_f64 v[58:59], -v[48:49], v[52:53], 1.0
	v_add_f64_e32 v[46:47], v[54:55], v[50:51]
	v_mul_f64_e32 v[60:61], 0x3fe62e42fefa39ef, v[56:57]
	s_delay_alu instid0(VALU_DEP_3) | instskip(NEXT) | instid1(VALU_DEP_3)
	v_fmac_f64_e32 v[52:53], v[52:53], v[58:59]
	v_add_f64_e64 v[32:33], v[46:47], -v[54:55]
	v_div_scale_f64 v[54:55], vcc_lo, v[14:15], v[30:31], v[14:15]
	s_delay_alu instid0(VALU_DEP_4) | instskip(NEXT) | instid1(VALU_DEP_3)
	v_fma_f64 v[58:59], v[56:57], s[28:29], -v[60:61]
	v_add_f64_e64 v[32:33], v[50:51], -v[32:33]
	s_delay_alu instid0(VALU_DEP_3) | instskip(NEXT) | instid1(VALU_DEP_3)
	v_mul_f64_e32 v[50:51], v[54:55], v[52:53]
	v_fmac_f64_e32 v[58:59], 0x3c7abc9e3b39803f, v[56:57]
	s_delay_alu instid0(VALU_DEP_3) | instskip(NEXT) | instid1(VALU_DEP_3)
	v_add_f64_e32 v[10:11], v[10:11], v[32:33]
	v_fma_f64 v[32:33], -v[48:49], v[50:51], v[54:55]
	s_delay_alu instid0(VALU_DEP_3) | instskip(NEXT) | instid1(VALU_DEP_3)
	v_add_f64_e32 v[48:49], v[60:61], v[58:59]
	v_add_f64_e32 v[54:55], v[46:47], v[10:11]
	s_delay_alu instid0(VALU_DEP_3) | instskip(SKIP_1) | instid1(VALU_DEP_4)
	v_div_fmas_f64 v[32:33], v[32:33], v[52:53], v[50:51]
	v_cmp_gt_i32_e32 vcc_lo, 0, v3
	v_add_f64_e64 v[52:53], v[48:49], -v[60:61]
	v_cndmask_b32_e32 v6, 0x3fe921fb, v63, vcc_lo
	v_cndmask_b32_e32 v8, 0x54442d18, v62, vcc_lo
	s_delay_alu instid0(VALU_DEP_2) | instskip(SKIP_4) | instid1(VALU_DEP_4)
	v_bfi_b32 v6, 0x7fffffff, v6, v5
	v_add_f64_e32 v[50:51], v[48:49], v[54:55]
	v_div_fixup_f64 v[14:15], v[32:33], v[30:31], v[14:15]
	v_add_f64_e64 v[46:47], v[54:55], -v[46:47]
	v_add_f64_e64 v[52:53], v[58:59], -v[52:53]
	;; [unrolled: 1-line block ×3, first 2 shown]
	s_delay_alu instid0(VALU_DEP_4) | instskip(NEXT) | instid1(VALU_DEP_4)
	v_mul_f64_e32 v[32:33], v[14:15], v[14:15]
	v_add_f64_e64 v[10:11], v[10:11], -v[46:47]
	s_delay_alu instid0(VALU_DEP_3) | instskip(NEXT) | instid1(VALU_DEP_3)
	v_add_f64_e64 v[56:57], v[50:51], -v[30:31]
	v_fmamk_f64 v[60:61], v[32:33], 0x3eeba404b5e68a13, v[40:41]
	v_add_f64_e64 v[30:31], v[54:55], -v[30:31]
	s_delay_alu instid0(VALU_DEP_4) | instskip(NEXT) | instid1(VALU_DEP_3)
	v_add_f64_e32 v[54:55], v[52:53], v[10:11]
	v_fmaak_f64 v[60:61], v[32:33], v[60:61], 0x3f4b2bb069efb384
	s_delay_alu instid0(VALU_DEP_1) | instskip(SKIP_1) | instid1(VALU_DEP_2)
	v_fmaak_f64 v[60:61], v[32:33], v[60:61], 0xbf67952daf56de9b
	v_add_f64_e64 v[46:47], v[48:49], -v[56:57]
	v_fmaak_f64 v[48:49], v[32:33], v[60:61], 0x3f7d6d43a595c56f
	s_delay_alu instid0(VALU_DEP_1) | instskip(NEXT) | instid1(VALU_DEP_1)
	v_fmaak_f64 v[48:49], v[32:33], v[48:49], 0xbf8c6ea4a57d9582
	v_fmaak_f64 v[48:49], v[32:33], v[48:49], 0x3f967e295f08b19f
	s_delay_alu instid0(VALU_DEP_1) | instskip(NEXT) | instid1(VALU_DEP_1)
	v_fmaak_f64 v[48:49], v[32:33], v[48:49], 0xbf9e9ae6fc27006a
	v_fmaak_f64 v[48:49], v[32:33], v[48:49], 0x3fa2c15b5711927a
	v_add_f64_e32 v[30:31], v[30:31], v[46:47]
	s_delay_alu instid0(VALU_DEP_2) | instskip(SKIP_1) | instid1(VALU_DEP_2)
	v_fmaak_f64 v[46:47], v[32:33], v[48:49], 0xbfa59976e82d3ff0
	v_add_f64_e64 v[48:49], v[54:55], -v[52:53]
	v_fmaak_f64 v[46:47], v[32:33], v[46:47], 0x3fa82d5d6ef28734
	s_delay_alu instid0(VALU_DEP_1) | instskip(NEXT) | instid1(VALU_DEP_1)
	v_fmaak_f64 v[46:47], v[32:33], v[46:47], 0xbfaae5ce6a214619
	v_fmaak_f64 v[46:47], v[32:33], v[46:47], 0x3fae1bb48427b883
	s_delay_alu instid0(VALU_DEP_1) | instskip(SKIP_3) | instid1(VALU_DEP_4)
	v_fmaak_f64 v[46:47], v[32:33], v[46:47], 0xbfb110e48b207f05
	v_add_f64_e32 v[30:31], v[54:55], v[30:31]
	v_add_f64_e64 v[54:55], v[54:55], -v[48:49]
	v_add_f64_e64 v[10:11], v[10:11], -v[48:49]
	v_fmaak_f64 v[46:47], v[32:33], v[46:47], 0x3fb3b13657b87036
	s_delay_alu instid0(VALU_DEP_1) | instskip(NEXT) | instid1(VALU_DEP_1)
	v_fmaak_f64 v[46:47], v[32:33], v[46:47], 0xbfb745d119378e4f
	v_fmaak_f64 v[46:47], v[32:33], v[46:47], 0x3fbc71c717e1913c
	s_delay_alu instid0(VALU_DEP_1) | instskip(SKIP_1) | instid1(VALU_DEP_2)
	v_fmaak_f64 v[46:47], v[32:33], v[46:47], 0xbfc2492492376b7d
	v_add_f64_e32 v[56:57], v[50:51], v[30:31]
	v_fmaak_f64 v[46:47], v[32:33], v[46:47], 0x3fc99999999952cc
	s_delay_alu instid0(VALU_DEP_1) | instskip(NEXT) | instid1(VALU_DEP_1)
	v_fmaak_f64 v[46:47], v[32:33], v[46:47], 0xbfd5555555555523
	v_mul_f64_e32 v[32:33], v[32:33], v[46:47]
	v_add_f64_e64 v[46:47], v[52:53], -v[54:55]
	v_add_f64_e64 v[48:49], v[56:57], -v[50:51]
	s_delay_alu instid0(VALU_DEP_3) | instskip(NEXT) | instid1(VALU_DEP_3)
	v_fmac_f64_e32 v[14:15], v[14:15], v[32:33]
	v_add_f64_e32 v[10:11], v[10:11], v[46:47]
	s_delay_alu instid0(VALU_DEP_3) | instskip(NEXT) | instid1(VALU_DEP_3)
	v_add_f64_e64 v[30:31], v[30:31], -v[48:49]
	v_add_f64_e64 v[32:33], -v[14:15], s[30:31]
	s_delay_alu instid0(VALU_DEP_2) | instskip(NEXT) | instid1(VALU_DEP_2)
	v_add_f64_e32 v[10:11], v[10:11], v[30:31]
	v_dual_cndmask_b32 v15, v15, v33, s2 :: v_dual_cndmask_b32 v14, v14, v32, s2
	s_delay_alu instid0(VALU_DEP_1) | instskip(NEXT) | instid1(VALU_DEP_3)
	v_add_f64_e64 v[30:31], -v[14:15], s[34:35]
	v_add_f64_e32 v[10:11], v[56:57], v[10:11]
	s_delay_alu instid0(VALU_DEP_2) | instskip(SKIP_1) | instid1(VALU_DEP_1)
	v_dual_cndmask_b32 v14, v14, v30 :: v_dual_cndmask_b32 v7, v15, v31
	s_and_b32 vcc_lo, s7, s6
	v_dual_cndmask_b32 v12, v14, v12, s3 :: v_dual_cndmask_b32 v1, v7, v1, s3
                                        ; implicit-def: $vgpr14_vgpr15
	s_delay_alu instid0(VALU_DEP_1) | instskip(NEXT) | instid1(VALU_DEP_2)
	v_dual_mul_f64 v[10:11], 0.5, v[10:11] :: v_dual_cndmask_b32 v32, v12, v8, vcc_lo
	v_cndmask_b32_e32 v33, v1, v6, vcc_lo
	s_delay_alu instid0(VALU_DEP_2) | instskip(NEXT) | instid1(VALU_DEP_3)
	v_cndmask_b32_e64 v31, 0xfff00000, v11, s4
	v_cndmask_b32_e64 v30, 0, v10, s4
                                        ; implicit-def: $vgpr10_vgpr11
.LBB167_116:                            ;   in Loop: Header=BB167_5 Depth=1
	s_and_not1_saveexec_b32 s49, s5
	s_cbranch_execz .LBB167_120
; %bb.117:                              ;   in Loop: Header=BB167_5 Depth=1
	v_and_b32_e32 v37, 0x7ffffff8, v15
	v_and_b32_e32 v31, 0x7ffffff8, v11
	v_mov_b32_e32 v30, v36
	s_mov_b32 s50, 0
	s_delay_alu instid0(VALU_DEP_3) | instskip(NEXT) | instid1(VALU_DEP_2)
	v_dual_add_f64 v[6:7], v[14:15], -v[36:37] :: v_dual_mov_b32 v32, v36
	v_dual_add_f64 v[10:11], v[10:11], -v[30:31] :: v_dual_mov_b32 v46, v36
	v_add_f64_e32 v[48:49], v[36:37], v[36:37]
	v_add_f64_e32 v[56:57], v[30:31], v[30:31]
	v_mul_f64_e32 v[30:31], v[30:31], v[30:31]
	v_and_b32_e32 v33, -8, v7
	s_delay_alu instid0(VALU_DEP_1) | instskip(SKIP_1) | instid1(VALU_DEP_2)
	v_dual_add_f64 v[58:59], v[6:7], -v[32:33] :: v_dual_bitop2_b32 v47, -8, v11 bitop3:0x40
	v_add_f64_e32 v[64:65], v[32:33], v[32:33]
	v_add_f64_e64 v[60:61], v[10:11], -v[46:47]
	v_add_f64_e32 v[66:67], v[46:47], v[46:47]
	v_mul_f64_e32 v[6:7], v[36:37], v[36:37]
	v_mul_f64_e32 v[54:55], v[48:49], v[32:33]
	;; [unrolled: 1-line block ×11, first 2 shown]
.LBB167_118:                            ;   Parent Loop BB167_5 Depth=1
                                        ; =>  This Inner Loop Header: Depth=2
	v_cmp_nlt_f64_e32 vcc_lo, v[6:7], v[30:31]
	v_dual_cndmask_b32 v61, v7, v31 :: v_dual_cndmask_b32 v60, v6, v30
	v_dual_cndmask_b32 v7, v31, v7 :: v_dual_cndmask_b32 v6, v30, v6
	s_delay_alu instid0(VALU_DEP_2) | instskip(NEXT) | instid1(VALU_DEP_1)
	v_cmp_nlt_f64_e64 s3, v[60:61], v[54:55]
	v_dual_cndmask_b32 v65, v61, v55, s3 :: v_dual_cndmask_b32 v64, v60, v54, s3
	v_dual_cndmask_b32 v31, v55, v61, s3 :: v_dual_cndmask_b32 v30, v54, v60, s3
	s_and_b32 s3, vcc_lo, s3
	s_delay_alu instid0(VALU_DEP_2) | instskip(NEXT) | instid1(VALU_DEP_1)
	v_cmp_nlt_f64_e64 s4, v[64:65], v[14:15]
	v_dual_cndmask_b32 v67, v65, v15, s4 :: v_dual_cndmask_b32 v66, v64, v14, s4
	v_dual_cndmask_b32 v55, v15, v65, s4 :: v_dual_cndmask_b32 v54, v14, v64, s4
	s_delay_alu instid0(VALU_DEP_2) | instskip(NEXT) | instid1(VALU_DEP_1)
	v_cmp_nlt_f64_e64 s5, v[66:67], v[52:53]
	v_dual_cndmask_b32 v69, v67, v53, s5 :: v_dual_cndmask_b32 v68, v66, v52, s5
	v_dual_cndmask_b32 v15, v53, v67, s5 :: v_dual_cndmask_b32 v14, v52, v66, s5
	s_and_b32 s4, s4, s5
	s_delay_alu instid0(VALU_DEP_2) | instskip(NEXT) | instid1(VALU_DEP_1)
	v_cmp_nlt_f64_e64 s6, v[68:69], v[10:11]
	v_dual_cndmask_b32 v71, v69, v11, s6 :: v_dual_cndmask_b32 v70, v68, v10, s6
	v_dual_cndmask_b32 v53, v11, v69, s6 :: v_dual_cndmask_b32 v52, v10, v68, s6
	s_delay_alu instid0(VALU_DEP_2) | instskip(NEXT) | instid1(VALU_DEP_1)
	v_cmp_nlt_f64_e64 s7, v[70:71], v[50:51]
	v_dual_cndmask_b32 v73, v71, v51, s7 :: v_dual_cndmask_b32 v72, v70, v50, s7
	s_and_b32 s5, s6, s7
	v_dual_cndmask_b32 v11, v51, v71, s7 :: v_dual_cndmask_b32 v10, v50, v70, s7
	s_delay_alu instid0(VALU_DEP_2) | instskip(NEXT) | instid1(VALU_DEP_1)
	v_cmp_nlt_f64_e64 s8, v[72:73], v[48:49]
	v_dual_cndmask_b32 v75, v73, v49, s8 :: v_dual_cndmask_b32 v74, v72, v48, s8
	s_and_b32 s5, s5, s8
	;; [unrolled: 5-line block ×6, first 2 shown]
	v_dual_cndmask_b32 v57, v59, v81, s12 :: v_dual_cndmask_b32 v56, v58, v80, s12
	s_and_b32 s4, s5, s4
	s_delay_alu instid0(VALU_DEP_2) | instskip(SKIP_1) | instid1(SALU_CYCLE_1)
	v_mov_b64_e32 v[58:59], v[60:61]
	s_and_b32 s3, s4, s3
	s_and_b32 s3, exec_lo, s3
	s_delay_alu instid0(SALU_CYCLE_1) | instskip(NEXT) | instid1(SALU_CYCLE_1)
	s_or_b32 s50, s3, s50
	s_and_not1_b32 exec_lo, exec_lo, s50
	s_cbranch_execnz .LBB167_118
; %bb.119:                              ;   in Loop: Header=BB167_5 Depth=1
	s_or_b32 exec_lo, exec_lo, s50
	v_add_f64_e32 v[6:7], -1.0, v[6:7]
	v_cmp_eq_f64_e64 s3, 0, v[4:5]
	v_cmp_class_f64_e64 s6, v[4:5], 0x204
	v_cmp_class_f64_e64 s7, v[2:3], 0x204
	s_delay_alu instid0(VALU_DEP_4) | instskip(NEXT) | instid1(VALU_DEP_1)
	v_add_f64_e32 v[6:7], v[6:7], v[30:31]
	v_add_f64_e32 v[6:7], v[6:7], v[54:55]
	s_delay_alu instid0(VALU_DEP_1) | instskip(NEXT) | instid1(VALU_DEP_1)
	v_add_f64_e32 v[6:7], v[6:7], v[14:15]
	v_add_f64_e32 v[6:7], v[6:7], v[52:53]
	s_delay_alu instid0(VALU_DEP_1) | instskip(NEXT) | instid1(VALU_DEP_1)
	;; [unrolled: 3-line block ×5, first 2 shown]
	v_add_f64_e32 v[6:7], v[60:61], v[6:7]
	v_add_f64_e32 v[10:11], 1.0, v[6:7]
	s_delay_alu instid0(VALU_DEP_1) | instskip(SKIP_2) | instid1(VALU_DEP_3)
	v_frexp_mant_f64_e32 v[14:15], v[10:11]
	v_frexp_exp_i32_f64_e32 v1, v[10:11]
	v_add_f64_e32 v[30:31], -1.0, v[10:11]
	v_cmp_gt_f64_e32 vcc_lo, s[26:27], v[14:15]
	s_delay_alu instid0(VALU_DEP_2) | instskip(SKIP_2) | instid1(VALU_DEP_1)
	v_add_f64_e64 v[14:15], v[30:31], -v[10:11]
	v_add_f64_e64 v[30:31], v[6:7], -v[30:31]
	v_subrev_co_ci_u32_e64 v1, null, 0, v1, vcc_lo
	v_dual_add_f64 v[14:15], 1.0, v[14:15] :: v_dual_sub_nc_u32 v8, 0, v1
	s_delay_alu instid0(VALU_DEP_1) | instskip(NEXT) | instid1(VALU_DEP_2)
	v_ldexp_f64 v[10:11], v[10:11], v8
	v_add_f64_e32 v[14:15], v[30:31], v[14:15]
	s_delay_alu instid0(VALU_DEP_2) | instskip(SKIP_1) | instid1(VALU_DEP_3)
	v_add_f64_e32 v[32:33], 1.0, v[10:11]
	v_add_f64_e32 v[50:51], -1.0, v[10:11]
	v_ldexp_f64 v[14:15], v[14:15], v8
	s_delay_alu instid0(VALU_DEP_3) | instskip(NEXT) | instid1(VALU_DEP_3)
	v_add_f64_e32 v[30:31], -1.0, v[32:33]
	v_add_f64_e32 v[52:53], 1.0, v[50:51]
	s_delay_alu instid0(VALU_DEP_2) | instskip(NEXT) | instid1(VALU_DEP_2)
	v_add_f64_e64 v[30:31], v[10:11], -v[30:31]
	v_add_f64_e64 v[10:11], v[10:11], -v[52:53]
	s_delay_alu instid0(VALU_DEP_2) | instskip(NEXT) | instid1(VALU_DEP_2)
	v_add_f64_e32 v[30:31], v[14:15], v[30:31]
	v_add_f64_e32 v[10:11], v[14:15], v[10:11]
	s_delay_alu instid0(VALU_DEP_2) | instskip(NEXT) | instid1(VALU_DEP_2)
	v_add_f64_e32 v[46:47], v[32:33], v[30:31]
	v_add_f64_e32 v[52:53], v[50:51], v[10:11]
	s_delay_alu instid0(VALU_DEP_2) | instskip(SKIP_1) | instid1(VALU_DEP_2)
	v_rcp_f64_e32 v[48:49], v[46:47]
	v_add_f64_e64 v[32:33], v[46:47], -v[32:33]
	v_add_f64_e64 v[50:51], v[52:53], -v[50:51]
	s_delay_alu instid0(VALU_DEP_2) | instskip(NEXT) | instid1(VALU_DEP_2)
	v_add_f64_e64 v[30:31], v[30:31], -v[32:33]
	v_add_f64_e64 v[10:11], v[10:11], -v[50:51]
	s_delay_alu instid0(TRANS32_DEP_1) | instskip(NEXT) | instid1(VALU_DEP_1)
	v_fma_f64 v[54:55], -v[46:47], v[48:49], 1.0
	v_fmac_f64_e32 v[48:49], v[54:55], v[48:49]
	s_delay_alu instid0(VALU_DEP_1) | instskip(NEXT) | instid1(VALU_DEP_1)
	v_fma_f64 v[14:15], -v[46:47], v[48:49], 1.0
	v_fmac_f64_e32 v[48:49], v[14:15], v[48:49]
	s_delay_alu instid0(VALU_DEP_1) | instskip(NEXT) | instid1(VALU_DEP_1)
	v_mul_f64_e32 v[14:15], v[52:53], v[48:49]
	v_mul_f64_e32 v[54:55], v[46:47], v[14:15]
	s_delay_alu instid0(VALU_DEP_1) | instskip(NEXT) | instid1(VALU_DEP_1)
	v_fma_f64 v[32:33], v[14:15], v[46:47], -v[54:55]
	v_fmac_f64_e32 v[32:33], v[14:15], v[30:31]
	s_delay_alu instid0(VALU_DEP_1) | instskip(NEXT) | instid1(VALU_DEP_1)
	v_add_f64_e32 v[56:57], v[54:55], v[32:33]
	v_add_f64_e64 v[58:59], v[52:53], -v[56:57]
	v_add_f64_e64 v[50:51], v[56:57], -v[54:55]
	s_delay_alu instid0(VALU_DEP_2) | instskip(NEXT) | instid1(VALU_DEP_2)
	v_add_f64_e64 v[52:53], v[52:53], -v[58:59]
	v_add_f64_e64 v[32:33], v[50:51], -v[32:33]
	s_delay_alu instid0(VALU_DEP_2) | instskip(NEXT) | instid1(VALU_DEP_1)
	v_add_f64_e64 v[52:53], v[52:53], -v[56:57]
	v_add_f64_e32 v[10:11], v[10:11], v[52:53]
	s_delay_alu instid0(VALU_DEP_1) | instskip(NEXT) | instid1(VALU_DEP_1)
	v_add_f64_e32 v[10:11], v[32:33], v[10:11]
	v_add_f64_e32 v[32:33], v[58:59], v[10:11]
	s_delay_alu instid0(VALU_DEP_1) | instskip(SKIP_1) | instid1(VALU_DEP_2)
	v_mul_f64_e32 v[50:51], v[48:49], v[32:33]
	v_add_f64_e64 v[56:57], v[58:59], -v[32:33]
	v_mul_f64_e32 v[52:53], v[46:47], v[50:51]
	s_delay_alu instid0(VALU_DEP_2) | instskip(NEXT) | instid1(VALU_DEP_2)
	v_add_f64_e32 v[10:11], v[10:11], v[56:57]
	v_fma_f64 v[46:47], v[50:51], v[46:47], -v[52:53]
	s_delay_alu instid0(VALU_DEP_1) | instskip(NEXT) | instid1(VALU_DEP_1)
	v_fmac_f64_e32 v[46:47], v[50:51], v[30:31]
	v_add_f64_e32 v[30:31], v[52:53], v[46:47]
	s_delay_alu instid0(VALU_DEP_1) | instskip(SKIP_1) | instid1(VALU_DEP_2)
	v_add_f64_e64 v[54:55], v[32:33], -v[30:31]
	v_add_f64_e64 v[52:53], v[30:31], -v[52:53]
	;; [unrolled: 1-line block ×3, first 2 shown]
	s_delay_alu instid0(VALU_DEP_1) | instskip(NEXT) | instid1(VALU_DEP_3)
	v_add_f64_e64 v[30:31], v[32:33], -v[30:31]
	v_add_f64_e64 v[32:33], v[52:53], -v[46:47]
	v_max_num_f64_e64 v[46:47], |v[2:3]|, |v[2:3]|
	s_delay_alu instid0(VALU_DEP_3) | instskip(SKIP_1) | instid1(VALU_DEP_2)
	v_add_f64_e32 v[10:11], v[10:11], v[30:31]
	v_add_f64_e32 v[30:31], v[14:15], v[50:51]
	;; [unrolled: 1-line block ×3, first 2 shown]
	s_delay_alu instid0(VALU_DEP_2) | instskip(SKIP_1) | instid1(VALU_DEP_3)
	v_add_f64_e64 v[14:15], v[30:31], -v[14:15]
	v_max_num_f64_e64 v[32:33], |v[4:5]|, |v[4:5]|
	v_add_f64_e32 v[10:11], v[54:55], v[10:11]
	s_delay_alu instid0(VALU_DEP_3) | instskip(NEXT) | instid1(VALU_DEP_2)
	v_add_f64_e64 v[14:15], v[50:51], -v[14:15]
	v_mul_f64_e32 v[10:11], v[48:49], v[10:11]
	s_delay_alu instid0(VALU_DEP_1) | instskip(SKIP_2) | instid1(VALU_DEP_3)
	v_add_f64_e32 v[10:11], v[14:15], v[10:11]
	v_max_num_f64_e32 v[14:15], v[46:47], v[32:33]
	v_min_num_f64_e32 v[32:33], v[46:47], v[32:33]
	v_add_f64_e32 v[46:47], v[30:31], v[10:11]
	s_delay_alu instid0(VALU_DEP_2) | instskip(NEXT) | instid1(VALU_DEP_2)
	v_div_scale_f64 v[48:49], null, v[14:15], v[14:15], v[32:33]
	v_mul_f64_e32 v[50:51], v[46:47], v[46:47]
	v_add_f64_e64 v[30:31], v[46:47], -v[30:31]
	s_delay_alu instid0(VALU_DEP_3) | instskip(NEXT) | instid1(VALU_DEP_2)
	v_rcp_f64_e32 v[52:53], v[48:49]
	v_fmamk_f64 v[54:55], v[50:51], 0x3fc3ab76bf559e2b, v[38:39]
	v_mul_f64_e32 v[56:57], v[46:47], v[50:51]
	s_delay_alu instid0(VALU_DEP_3) | instskip(NEXT) | instid1(VALU_DEP_3)
	v_add_f64_e64 v[10:11], v[10:11], -v[30:31]
	v_fmaak_f64 v[54:55], v[50:51], v[54:55], 0x3fc7474dd7f4df2e
	s_delay_alu instid0(TRANS32_DEP_1) | instskip(NEXT) | instid1(VALU_DEP_2)
	v_fma_f64 v[58:59], -v[48:49], v[52:53], 1.0
	v_fmaak_f64 v[54:55], v[50:51], v[54:55], 0x3fcc71c016291751
	s_delay_alu instid0(VALU_DEP_1) | instskip(NEXT) | instid1(VALU_DEP_1)
	v_fmaak_f64 v[54:55], v[50:51], v[54:55], 0x3fd249249b27acf1
	v_fmaak_f64 v[54:55], v[50:51], v[54:55], 0x3fd99999998ef7b6
	v_ldexp_f64 v[10:11], v[10:11], 1
	s_delay_alu instid0(VALU_DEP_2) | instskip(SKIP_2) | instid1(VALU_DEP_3)
	v_fmaak_f64 v[50:51], v[50:51], v[54:55], 0x3fe5555555555780
	v_ldexp_f64 v[54:55], v[46:47], 1
	v_fmac_f64_e32 v[52:53], v[52:53], v[58:59]
	v_mul_f64_e32 v[50:51], v[56:57], v[50:51]
	v_cvt_f64_i32_e32 v[56:57], v1
	v_ashrrev_i32_e32 v1, 31, v3
	s_delay_alu instid0(VALU_DEP_1) | instskip(SKIP_4) | instid1(VALU_DEP_3)
	v_and_b32_e32 v12, 0x54442d18, v1
	v_and_b32_e32 v1, 0x400921fb, v1
	v_fma_f64 v[58:59], -v[48:49], v[52:53], 1.0
	v_add_f64_e32 v[46:47], v[54:55], v[50:51]
	v_mul_f64_e32 v[60:61], 0x3fe62e42fefa39ef, v[56:57]
	v_fmac_f64_e32 v[52:53], v[52:53], v[58:59]
	s_delay_alu instid0(VALU_DEP_3) | instskip(SKIP_1) | instid1(VALU_DEP_4)
	v_add_f64_e64 v[30:31], v[46:47], -v[54:55]
	v_div_scale_f64 v[54:55], vcc_lo, v[32:33], v[14:15], v[32:33]
	v_fma_f64 v[58:59], v[56:57], s[28:29], -v[60:61]
	s_delay_alu instid0(VALU_DEP_3) | instskip(NEXT) | instid1(VALU_DEP_3)
	v_add_f64_e64 v[30:31], v[50:51], -v[30:31]
	v_mul_f64_e32 v[50:51], v[54:55], v[52:53]
	s_delay_alu instid0(VALU_DEP_3) | instskip(NEXT) | instid1(VALU_DEP_3)
	v_fmac_f64_e32 v[58:59], 0x3c7abc9e3b39803f, v[56:57]
	v_add_f64_e32 v[10:11], v[10:11], v[30:31]
	s_delay_alu instid0(VALU_DEP_3) | instskip(NEXT) | instid1(VALU_DEP_3)
	v_fma_f64 v[30:31], -v[48:49], v[50:51], v[54:55]
	v_add_f64_e32 v[48:49], v[60:61], v[58:59]
	s_delay_alu instid0(VALU_DEP_3) | instskip(NEXT) | instid1(VALU_DEP_3)
	v_add_f64_e32 v[54:55], v[46:47], v[10:11]
	v_div_fmas_f64 v[30:31], v[30:31], v[52:53], v[50:51]
	v_cmp_gt_i32_e32 vcc_lo, 0, v3
	s_delay_alu instid0(VALU_DEP_4) | instskip(SKIP_2) | instid1(VALU_DEP_1)
	v_add_f64_e64 v[52:53], v[48:49], -v[60:61]
	v_cndmask_b32_e32 v8, 0x54442d18, v62, vcc_lo
	v_cndmask_b32_e32 v16, 0x3fe921fb, v63, vcc_lo
	v_bfi_b32 v16, 0x7fffffff, v16, v5
	v_add_f64_e32 v[50:51], v[48:49], v[54:55]
	v_div_fixup_f64 v[14:15], v[30:31], v[14:15], v[32:33]
	v_add_f64_e64 v[46:47], v[54:55], -v[46:47]
	v_add_f64_e64 v[52:53], v[58:59], -v[52:53]
	s_delay_alu instid0(VALU_DEP_4) | instskip(NEXT) | instid1(VALU_DEP_4)
	v_add_f64_e64 v[30:31], v[50:51], -v[48:49]
	v_mul_f64_e32 v[32:33], v[14:15], v[14:15]
	s_delay_alu instid0(VALU_DEP_4) | instskip(NEXT) | instid1(VALU_DEP_3)
	v_add_f64_e64 v[10:11], v[10:11], -v[46:47]
	v_add_f64_e64 v[56:57], v[50:51], -v[30:31]
	s_delay_alu instid0(VALU_DEP_3) | instskip(SKIP_1) | instid1(VALU_DEP_4)
	v_fmamk_f64 v[60:61], v[32:33], 0x3eeba404b5e68a13, v[40:41]
	v_add_f64_e64 v[30:31], v[54:55], -v[30:31]
	v_add_f64_e32 v[54:55], v[52:53], v[10:11]
	s_delay_alu instid0(VALU_DEP_3) | instskip(SKIP_1) | instid1(VALU_DEP_2)
	v_fmaak_f64 v[60:61], v[32:33], v[60:61], 0x3f4b2bb069efb384
	v_add_f64_e64 v[46:47], v[48:49], -v[56:57]
	v_fmaak_f64 v[48:49], v[32:33], v[60:61], 0xbf67952daf56de9b
	s_delay_alu instid0(VALU_DEP_1) | instskip(NEXT) | instid1(VALU_DEP_1)
	v_fmaak_f64 v[48:49], v[32:33], v[48:49], 0x3f7d6d43a595c56f
	v_fmaak_f64 v[48:49], v[32:33], v[48:49], 0xbf8c6ea4a57d9582
	s_delay_alu instid0(VALU_DEP_1) | instskip(NEXT) | instid1(VALU_DEP_1)
	v_fmaak_f64 v[48:49], v[32:33], v[48:49], 0x3f967e295f08b19f
	v_fmaak_f64 v[48:49], v[32:33], v[48:49], 0xbf9e9ae6fc27006a
	v_add_f64_e32 v[30:31], v[30:31], v[46:47]
	s_delay_alu instid0(VALU_DEP_2) | instskip(SKIP_1) | instid1(VALU_DEP_2)
	v_fmaak_f64 v[46:47], v[32:33], v[48:49], 0x3fa2c15b5711927a
	v_add_f64_e64 v[48:49], v[54:55], -v[52:53]
	v_fmaak_f64 v[46:47], v[32:33], v[46:47], 0xbfa59976e82d3ff0
	s_delay_alu instid0(VALU_DEP_1) | instskip(NEXT) | instid1(VALU_DEP_1)
	v_fmaak_f64 v[46:47], v[32:33], v[46:47], 0x3fa82d5d6ef28734
	v_fmaak_f64 v[46:47], v[32:33], v[46:47], 0xbfaae5ce6a214619
	s_delay_alu instid0(VALU_DEP_1) | instskip(SKIP_3) | instid1(VALU_DEP_4)
	v_fmaak_f64 v[46:47], v[32:33], v[46:47], 0x3fae1bb48427b883
	v_add_f64_e32 v[30:31], v[54:55], v[30:31]
	v_add_f64_e64 v[54:55], v[54:55], -v[48:49]
	v_add_f64_e64 v[10:11], v[10:11], -v[48:49]
	v_fmaak_f64 v[46:47], v[32:33], v[46:47], 0xbfb110e48b207f05
	s_delay_alu instid0(VALU_DEP_1) | instskip(NEXT) | instid1(VALU_DEP_1)
	v_fmaak_f64 v[46:47], v[32:33], v[46:47], 0x3fb3b13657b87036
	v_fmaak_f64 v[46:47], v[32:33], v[46:47], 0xbfb745d119378e4f
	s_delay_alu instid0(VALU_DEP_1) | instskip(SKIP_1) | instid1(VALU_DEP_2)
	v_fmaak_f64 v[46:47], v[32:33], v[46:47], 0x3fbc71c717e1913c
	v_add_f64_e32 v[56:57], v[50:51], v[30:31]
	v_fmaak_f64 v[46:47], v[32:33], v[46:47], 0xbfc2492492376b7d
	s_delay_alu instid0(VALU_DEP_1) | instskip(NEXT) | instid1(VALU_DEP_1)
	v_fmaak_f64 v[46:47], v[32:33], v[46:47], 0x3fc99999999952cc
	v_fmaak_f64 v[46:47], v[32:33], v[46:47], 0xbfd5555555555523
	s_delay_alu instid0(VALU_DEP_1) | instskip(SKIP_2) | instid1(VALU_DEP_3)
	v_mul_f64_e32 v[32:33], v[32:33], v[46:47]
	v_add_f64_e64 v[46:47], v[52:53], -v[54:55]
	v_add_f64_e64 v[48:49], v[56:57], -v[50:51]
	v_fmac_f64_e32 v[14:15], v[14:15], v[32:33]
	s_delay_alu instid0(VALU_DEP_3) | instskip(NEXT) | instid1(VALU_DEP_3)
	v_add_f64_e32 v[10:11], v[10:11], v[46:47]
	v_add_f64_e64 v[30:31], v[30:31], -v[48:49]
	s_delay_alu instid0(VALU_DEP_3) | instskip(NEXT) | instid1(VALU_DEP_2)
	v_add_f64_e64 v[32:33], -v[14:15], s[30:31]
	v_add_f64_e32 v[10:11], v[10:11], v[30:31]
	s_delay_alu instid0(VALU_DEP_2) | instskip(SKIP_2) | instid1(VALU_DEP_3)
	v_dual_cndmask_b32 v15, v15, v33, s2 :: v_dual_cndmask_b32 v14, v14, v32, s2
	v_cmp_nge_f64_e64 s4, -1.0, v[6:7]
	v_cmp_neq_f64_e64 s5, 0x7ff00000, v[6:7]
	v_add_f64_e64 v[30:31], -v[14:15], s[34:35]
	v_add_f64_e32 v[10:11], v[56:57], v[10:11]
	s_delay_alu instid0(VALU_DEP_2) | instskip(SKIP_1) | instid1(VALU_DEP_2)
	v_dual_cndmask_b32 v14, v14, v30 :: v_dual_cndmask_b32 v15, v15, v31
	v_cmp_ngt_f64_e32 vcc_lo, -1.0, v[6:7]
	v_dual_mul_f64 v[10:11], 0.5, v[10:11] :: v_dual_cndmask_b32 v12, v14, v12, s3
	s_delay_alu instid0(VALU_DEP_3)
	v_cndmask_b32_e64 v1, v15, v1, s3
	s_and_b32 s3, s4, s5
	s_delay_alu instid0(VALU_DEP_2) | instid1(SALU_CYCLE_1)
	v_cndmask_b32_e64 v30, 0, v10, s3
	v_cmp_neq_f64_e64 s3, -1.0, v[6:7]
	s_delay_alu instid0(VALU_DEP_4) | instskip(NEXT) | instid1(VALU_DEP_1)
	v_cndmask_b32_e64 v11, 0x7ff00000, v11, s5
	v_cndmask_b32_e32 v11, 0x7ff80000, v11, vcc_lo
	s_and_b32 vcc_lo, s7, s6
	v_cndmask_b32_e32 v33, v1, v16, vcc_lo
	v_cndmask_b32_e32 v32, v12, v8, vcc_lo
	s_delay_alu instid0(VALU_DEP_3)
	v_cndmask_b32_e64 v31, 0xfff00000, v11, s3
.LBB167_120:                            ;   in Loop: Header=BB167_5 Depth=1
	s_or_b32 exec_lo, exec_lo, s49
.LBB167_121:                            ;   in Loop: Header=BB167_5 Depth=1
	s_delay_alu instid0(SALU_CYCLE_1)
	s_or_b32 exec_lo, exec_lo, s48
.LBB167_122:                            ;   in Loop: Header=BB167_5 Depth=1
	s_and_not1_saveexec_b32 s5, s47
	s_cbranch_execz .LBB167_124
; %bb.123:                              ;   in Loop: Header=BB167_5 Depth=1
	v_max_num_f64_e64 v[6:7], |v[4:5]|, |v[4:5]|
	v_max_num_f64_e64 v[10:11], |v[2:3]|, |v[2:3]|
	v_cmp_class_f64_e64 s6, v[2:3], 0x204
	v_cmp_class_f64_e64 s7, v[4:5], 0x204
	v_cmp_eq_f64_e64 s4, 0, v[4:5]
	s_delay_alu instid0(VALU_DEP_4) | instskip(SKIP_2) | instid1(VALU_DEP_2)
	v_max_num_f64_e32 v[14:15], v[10:11], v[6:7]
	v_min_num_f64_e32 v[6:7], v[10:11], v[6:7]
	s_or_b32 s3, s6, s7
	v_frexp_exp_i32_f64_e32 v1, v[14:15]
	s_delay_alu instid0(VALU_DEP_1) | instskip(NEXT) | instid1(VALU_DEP_1)
	v_sub_nc_u32_e32 v8, 0, v1
	v_ldexp_f64 v[30:31], |v[4:5]|, v8
	v_ldexp_f64 v[32:33], |v[2:3]|, v8
	s_delay_alu instid0(VALU_DEP_2) | instskip(NEXT) | instid1(VALU_DEP_1)
	v_mul_f64_e32 v[30:31], v[30:31], v[30:31]
	v_fmac_f64_e32 v[30:31], v[32:33], v[32:33]
	s_delay_alu instid0(VALU_DEP_1) | instskip(SKIP_1) | instid1(TRANS32_DEP_1)
	v_rsq_f64_e32 v[32:33], v[30:31]
	v_cmp_eq_f64_e32 vcc_lo, 0, v[30:31]
	v_mul_f64_e32 v[46:47], v[30:31], v[32:33]
	v_mul_f64_e32 v[32:33], 0.5, v[32:33]
	s_delay_alu instid0(VALU_DEP_1) | instskip(NEXT) | instid1(VALU_DEP_1)
	v_fma_f64 v[48:49], -v[32:33], v[46:47], 0.5
	v_fmac_f64_e32 v[46:47], v[46:47], v[48:49]
	v_fmac_f64_e32 v[32:33], v[32:33], v[48:49]
	s_delay_alu instid0(VALU_DEP_2) | instskip(NEXT) | instid1(VALU_DEP_1)
	v_fma_f64 v[48:49], -v[46:47], v[46:47], v[30:31]
	v_fmac_f64_e32 v[46:47], v[48:49], v[32:33]
	s_delay_alu instid0(VALU_DEP_1) | instskip(NEXT) | instid1(VALU_DEP_1)
	v_dual_cndmask_b32 v31, v47, v31 :: v_dual_cndmask_b32 v30, v46, v30
	v_ldexp_f64 v[30:31], v[30:31], v1
	s_delay_alu instid0(VALU_DEP_1) | instskip(NEXT) | instid1(VALU_DEP_2)
	v_cndmask_b32_e64 v47, v31, 0x7ff00000, s3
	v_cndmask_b32_e64 v46, v30, 0, s3
	s_delay_alu instid0(VALU_DEP_1) | instskip(SKIP_1) | instid1(VALU_DEP_2)
	v_frexp_mant_f64_e32 v[30:31], v[46:47]
	v_cmp_class_f64_e64 s3, v[46:47], 0x204
	v_cmp_gt_f64_e32 vcc_lo, s[26:27], v[30:31]
	v_cndmask_b32_e64 v1, 0, 1, vcc_lo
	s_delay_alu instid0(VALU_DEP_1) | instskip(SKIP_1) | instid1(VALU_DEP_2)
	v_ldexp_f64 v[30:31], v[30:31], v1
	v_frexp_exp_i32_f64_e32 v1, v[46:47]
	v_add_f64_e32 v[32:33], 1.0, v[30:31]
	v_add_f64_e32 v[52:53], -1.0, v[30:31]
	s_delay_alu instid0(VALU_DEP_3) | instskip(SKIP_1) | instid1(VALU_DEP_4)
	v_subrev_co_ci_u32_e64 v1, null, 0, v1, vcc_lo
	v_div_scale_f64 v[60:61], vcc_lo, v[6:7], v[14:15], v[6:7]
	v_rcp_f64_e32 v[48:49], v[32:33]
	v_add_f64_e32 v[54:55], -1.0, v[32:33]
	s_delay_alu instid0(VALU_DEP_1) | instskip(NEXT) | instid1(TRANS32_DEP_1)
	v_add_f64_e64 v[30:31], v[30:31], -v[54:55]
	v_fma_f64 v[50:51], -v[32:33], v[48:49], 1.0
	s_delay_alu instid0(VALU_DEP_1) | instskip(NEXT) | instid1(VALU_DEP_1)
	v_fmac_f64_e32 v[48:49], v[50:51], v[48:49]
	v_fma_f64 v[50:51], -v[32:33], v[48:49], 1.0
	s_delay_alu instid0(VALU_DEP_1) | instskip(NEXT) | instid1(VALU_DEP_1)
	v_fmac_f64_e32 v[48:49], v[50:51], v[48:49]
	v_mul_f64_e32 v[50:51], v[52:53], v[48:49]
	s_delay_alu instid0(VALU_DEP_1) | instskip(NEXT) | instid1(VALU_DEP_1)
	v_mul_f64_e32 v[56:57], v[32:33], v[50:51]
	v_fma_f64 v[32:33], v[50:51], v[32:33], -v[56:57]
	s_delay_alu instid0(VALU_DEP_1) | instskip(NEXT) | instid1(VALU_DEP_1)
	v_fmac_f64_e32 v[32:33], v[50:51], v[30:31]
	v_add_f64_e32 v[30:31], v[56:57], v[32:33]
	s_delay_alu instid0(VALU_DEP_1) | instskip(SKIP_1) | instid1(VALU_DEP_2)
	v_add_f64_e64 v[54:55], v[52:53], -v[30:31]
	v_add_f64_e64 v[56:57], v[30:31], -v[56:57]
	;; [unrolled: 1-line block ×3, first 2 shown]
	s_delay_alu instid0(VALU_DEP_2) | instskip(NEXT) | instid1(VALU_DEP_2)
	v_add_f64_e64 v[32:33], v[56:57], -v[32:33]
	v_add_f64_e64 v[30:31], v[52:53], -v[30:31]
	s_delay_alu instid0(VALU_DEP_1) | instskip(NEXT) | instid1(VALU_DEP_1)
	v_add_f64_e32 v[30:31], v[32:33], v[30:31]
	v_add_f64_e32 v[30:31], v[54:55], v[30:31]
	s_delay_alu instid0(VALU_DEP_1) | instskip(SKIP_1) | instid1(VALU_DEP_2)
	v_mul_f64_e32 v[10:11], v[48:49], v[30:31]
	v_div_scale_f64 v[30:31], null, v[14:15], v[14:15], v[6:7]
	v_add_f64_e32 v[32:33], v[50:51], v[10:11]
	s_delay_alu instid0(VALU_DEP_2) | instskip(NEXT) | instid1(VALU_DEP_1)
	v_rcp_f64_e32 v[48:49], v[30:31]
	v_mul_f64_e32 v[52:53], v[32:33], v[32:33]
	s_delay_alu instid0(TRANS32_DEP_1) | instskip(NEXT) | instid1(VALU_DEP_2)
	v_fma_f64 v[56:57], -v[30:31], v[48:49], 1.0
	v_fmamk_f64 v[54:55], v[52:53], 0x3fc3ab76bf559e2b, v[38:39]
	v_mul_f64_e32 v[58:59], v[32:33], v[52:53]
	s_delay_alu instid0(VALU_DEP_3) | instskip(NEXT) | instid1(VALU_DEP_3)
	v_fmac_f64_e32 v[48:49], v[48:49], v[56:57]
	v_fmaak_f64 v[54:55], v[52:53], v[54:55], 0x3fc7474dd7f4df2e
	s_delay_alu instid0(VALU_DEP_1) | instskip(NEXT) | instid1(VALU_DEP_1)
	v_fmaak_f64 v[54:55], v[52:53], v[54:55], 0x3fcc71c016291751
	v_fmaak_f64 v[54:55], v[52:53], v[54:55], 0x3fd249249b27acf1
	s_delay_alu instid0(VALU_DEP_1) | instskip(NEXT) | instid1(VALU_DEP_1)
	v_fmaak_f64 v[54:55], v[52:53], v[54:55], 0x3fd99999998ef7b6
	v_fmaak_f64 v[52:53], v[52:53], v[54:55], 0x3fe5555555555780
	v_ldexp_f64 v[54:55], v[32:33], 1
	v_add_f64_e64 v[32:33], v[32:33], -v[50:51]
	v_fma_f64 v[56:57], -v[30:31], v[48:49], 1.0
	s_delay_alu instid0(VALU_DEP_4) | instskip(SKIP_2) | instid1(VALU_DEP_1)
	v_mul_f64_e32 v[52:53], v[58:59], v[52:53]
	v_cvt_f64_i32_e32 v[58:59], v1
	v_ashrrev_i32_e32 v1, 31, v3
	v_and_b32_e32 v12, 0x54442d18, v1
	v_and_b32_e32 v1, 0x400921fb, v1
	v_add_f64_e64 v[10:11], v[10:11], -v[32:33]
	v_fmac_f64_e32 v[48:49], v[48:49], v[56:57]
	v_add_f64_e32 v[50:51], v[54:55], v[52:53]
	v_mul_f64_e32 v[56:57], 0x3fe62e42fefa39ef, v[58:59]
	s_delay_alu instid0(VALU_DEP_4) | instskip(NEXT) | instid1(VALU_DEP_3)
	v_ldexp_f64 v[10:11], v[10:11], 1
	v_add_f64_e64 v[32:33], v[50:51], -v[54:55]
	v_mul_f64_e32 v[54:55], v[60:61], v[48:49]
	s_delay_alu instid0(VALU_DEP_4) | instskip(NEXT) | instid1(VALU_DEP_3)
	v_fma_f64 v[64:65], v[58:59], s[28:29], -v[56:57]
	v_add_f64_e64 v[32:33], v[52:53], -v[32:33]
	s_delay_alu instid0(VALU_DEP_3) | instskip(NEXT) | instid1(VALU_DEP_3)
	v_fma_f64 v[30:31], -v[30:31], v[54:55], v[60:61]
	v_fmac_f64_e32 v[64:65], 0x3c7abc9e3b39803f, v[58:59]
	s_delay_alu instid0(VALU_DEP_3) | instskip(NEXT) | instid1(VALU_DEP_3)
	v_add_f64_e32 v[10:11], v[10:11], v[32:33]
	v_div_fmas_f64 v[30:31], v[30:31], v[48:49], v[54:55]
	s_delay_alu instid0(VALU_DEP_3)
	v_add_f64_e32 v[32:33], v[56:57], v[64:65]
	v_cmp_gt_i32_e32 vcc_lo, 0, v3
	v_cndmask_b32_e32 v8, 0x54442d18, v62, vcc_lo
	v_add_f64_e32 v[48:49], v[50:51], v[10:11]
	v_div_fixup_f64 v[6:7], v[30:31], v[14:15], v[6:7]
	v_add_f64_e64 v[56:57], v[32:33], -v[56:57]
	s_delay_alu instid0(VALU_DEP_3) | instskip(NEXT) | instid1(VALU_DEP_3)
	v_add_f64_e32 v[14:15], v[32:33], v[48:49]
	v_mul_f64_e32 v[30:31], v[6:7], v[6:7]
	v_add_f64_e64 v[50:51], v[48:49], -v[50:51]
	s_delay_alu instid0(VALU_DEP_4) | instskip(NEXT) | instid1(VALU_DEP_4)
	v_add_f64_e64 v[56:57], v[64:65], -v[56:57]
	v_add_f64_e64 v[52:53], v[14:15], -v[32:33]
	s_delay_alu instid0(VALU_DEP_4) | instskip(NEXT) | instid1(VALU_DEP_4)
	v_fmamk_f64 v[54:55], v[30:31], 0x3eeba404b5e68a13, v[40:41]
	v_add_f64_e64 v[10:11], v[10:11], -v[50:51]
	s_delay_alu instid0(VALU_DEP_2) | instskip(NEXT) | instid1(VALU_DEP_1)
	v_fmaak_f64 v[54:55], v[30:31], v[54:55], 0x3f4b2bb069efb384
	v_fmaak_f64 v[54:55], v[30:31], v[54:55], 0xbf67952daf56de9b
	s_delay_alu instid0(VALU_DEP_1) | instskip(NEXT) | instid1(VALU_DEP_1)
	v_fmaak_f64 v[54:55], v[30:31], v[54:55], 0x3f7d6d43a595c56f
	v_fmaak_f64 v[54:55], v[30:31], v[54:55], 0xbf8c6ea4a57d9582
	v_add_f64_e64 v[58:59], v[14:15], -v[52:53]
	v_add_f64_e64 v[48:49], v[48:49], -v[52:53]
	v_add_f64_e32 v[52:53], v[56:57], v[10:11]
	s_delay_alu instid0(VALU_DEP_4) | instskip(NEXT) | instid1(VALU_DEP_1)
	v_fmaak_f64 v[54:55], v[30:31], v[54:55], 0x3f967e295f08b19f
	v_fmaak_f64 v[50:51], v[30:31], v[54:55], 0xbf9e9ae6fc27006a
	s_delay_alu instid0(VALU_DEP_1) | instskip(NEXT) | instid1(VALU_DEP_1)
	v_fmaak_f64 v[50:51], v[30:31], v[50:51], 0x3fa2c15b5711927a
	v_fmaak_f64 v[50:51], v[30:31], v[50:51], 0xbfa59976e82d3ff0
	s_delay_alu instid0(VALU_DEP_1) | instskip(SKIP_1) | instid1(VALU_DEP_2)
	v_fmaak_f64 v[50:51], v[30:31], v[50:51], 0x3fa82d5d6ef28734
	v_add_f64_e64 v[32:33], v[32:33], -v[58:59]
	v_fmaak_f64 v[50:51], v[30:31], v[50:51], 0xbfaae5ce6a214619
	s_delay_alu instid0(VALU_DEP_2) | instskip(NEXT) | instid1(VALU_DEP_2)
	v_add_f64_e32 v[32:33], v[48:49], v[32:33]
	v_fmaak_f64 v[48:49], v[30:31], v[50:51], 0x3fae1bb48427b883
	v_add_f64_e64 v[50:51], v[52:53], -v[56:57]
	s_delay_alu instid0(VALU_DEP_2) | instskip(NEXT) | instid1(VALU_DEP_1)
	v_fmaak_f64 v[48:49], v[30:31], v[48:49], 0xbfb110e48b207f05
	v_fmaak_f64 v[48:49], v[30:31], v[48:49], 0x3fb3b13657b87036
	s_delay_alu instid0(VALU_DEP_1) | instskip(NEXT) | instid1(VALU_DEP_1)
	v_fmaak_f64 v[48:49], v[30:31], v[48:49], 0xbfb745d119378e4f
	v_fmaak_f64 v[48:49], v[30:31], v[48:49], 0x3fbc71c717e1913c
	v_add_f64_e32 v[32:33], v[52:53], v[32:33]
	v_add_f64_e64 v[10:11], v[10:11], -v[50:51]
	s_delay_alu instid0(VALU_DEP_3) | instskip(NEXT) | instid1(VALU_DEP_1)
	v_fmaak_f64 v[48:49], v[30:31], v[48:49], 0xbfc2492492376b7d
	v_fmaak_f64 v[48:49], v[30:31], v[48:49], 0x3fc99999999952cc
	s_delay_alu instid0(VALU_DEP_1) | instskip(NEXT) | instid1(VALU_DEP_1)
	v_fmaak_f64 v[48:49], v[30:31], v[48:49], 0xbfd5555555555523
	v_mul_f64_e32 v[30:31], v[30:31], v[48:49]
	v_add_f64_e64 v[48:49], v[52:53], -v[50:51]
	v_add_f64_e32 v[52:53], v[14:15], v[32:33]
	s_delay_alu instid0(VALU_DEP_3) | instskip(NEXT) | instid1(VALU_DEP_3)
	v_fmac_f64_e32 v[6:7], v[6:7], v[30:31]
	v_add_f64_e64 v[30:31], v[56:57], -v[48:49]
	s_delay_alu instid0(VALU_DEP_3) | instskip(NEXT) | instid1(VALU_DEP_3)
	v_add_f64_e64 v[14:15], v[52:53], -v[14:15]
	v_add_f64_e64 v[48:49], -v[6:7], s[30:31]
	s_delay_alu instid0(VALU_DEP_3) | instskip(NEXT) | instid1(VALU_DEP_2)
	v_add_f64_e32 v[10:11], v[10:11], v[30:31]
	v_dual_add_f64 v[14:15], v[32:33], -v[14:15] :: v_dual_cndmask_b32 v7, v7, v49, s2
	s_delay_alu instid0(VALU_DEP_3) | instskip(NEXT) | instid1(VALU_DEP_2)
	v_cndmask_b32_e64 v6, v6, v48, s2
	v_add_f64_e32 v[10:11], v[10:11], v[14:15]
	s_delay_alu instid0(VALU_DEP_2) | instskip(NEXT) | instid1(VALU_DEP_2)
	v_add_f64_e64 v[14:15], -v[6:7], s[34:35]
	v_add_f64_e32 v[10:11], v[52:53], v[10:11]
	s_delay_alu instid0(VALU_DEP_2) | instskip(SKIP_1) | instid1(VALU_DEP_4)
	v_cndmask_b32_e32 v6, v6, v14, vcc_lo
	v_cndmask_b32_e32 v14, 0x3fe921fb, v63, vcc_lo
	;; [unrolled: 1-line block ×3, first 2 shown]
	v_cmp_ngt_f64_e32 vcc_lo, 0, v[46:47]
	s_delay_alu instid0(VALU_DEP_4) | instskip(NEXT) | instid1(VALU_DEP_4)
	v_cndmask_b32_e64 v6, v6, v12, s4
	v_bfi_b32 v14, 0x7fffffff, v14, v5
	s_delay_alu instid0(VALU_DEP_4) | instskip(SKIP_2) | instid1(VALU_DEP_2)
	v_dual_cndmask_b32 v1, v7, v1, s4 :: v_dual_cndmask_b32 v10, v10, v46, s3
	v_cndmask_b32_e64 v11, v11, v47, s3
	v_cmp_nge_f64_e64 s3, 0, v[46:47]
	v_cndmask_b32_e32 v7, 0x7ff80000, v11, vcc_lo
	s_and_b32 vcc_lo, s6, s7
	v_dual_cndmask_b32 v33, v1, v14 :: v_dual_cndmask_b32 v32, v6, v8
	v_cndmask_b32_e64 v30, 0, v10, s3
	v_cmp_neq_f64_e64 s3, 0, v[46:47]
	s_delay_alu instid0(VALU_DEP_1)
	v_cndmask_b32_e64 v31, 0xfff00000, v7, s3
.LBB167_124:                            ;   in Loop: Header=BB167_5 Depth=1
	s_or_b32 exec_lo, exec_lo, s5
                                        ; implicit-def: $vgpr10_vgpr11
.LBB167_125:                            ;   in Loop: Header=BB167_5 Depth=1
	s_and_not1_saveexec_b32 s5, s46
	s_cbranch_execz .LBB167_131
; %bb.126:                              ;   in Loop: Header=BB167_5 Depth=1
                                        ; implicit-def: $vgpr30_vgpr31
	s_mov_b32 s3, exec_lo
	v_cmpx_ngt_f64_e32 s[38:39], v[10:11]
	s_xor_b32 s6, exec_lo, s3
	s_cbranch_execz .LBB167_128
; %bb.127:                              ;   in Loop: Header=BB167_5 Depth=1
	v_mul_f64_e32 v[6:7], v[10:11], v[10:11]
	v_cmp_eq_f64_e64 s3, 0, v[4:5]
	v_cmp_class_f64_e64 s7, v[4:5], 0x204
	v_cmp_class_f64_e64 s8, v[2:3], 0x204
	s_delay_alu instid0(VALU_DEP_4) | instskip(NEXT) | instid1(VALU_DEP_1)
	v_add_f64_e32 v[10:11], 1.0, v[6:7]
	v_frexp_mant_f64_e32 v[14:15], v[10:11]
	v_frexp_exp_i32_f64_e32 v1, v[10:11]
	v_add_f64_e32 v[30:31], -1.0, v[10:11]
	s_delay_alu instid0(VALU_DEP_3) | instskip(NEXT) | instid1(VALU_DEP_2)
	v_cmp_gt_f64_e32 vcc_lo, s[26:27], v[14:15]
	v_add_f64_e64 v[14:15], v[30:31], -v[10:11]
	s_delay_alu instid0(VALU_DEP_4) | instskip(NEXT) | instid1(VALU_DEP_1)
	v_subrev_co_ci_u32_e64 v1, null, 0, v1, vcc_lo
	v_dual_add_f64 v[14:15], 1.0, v[14:15] :: v_dual_sub_nc_u32 v8, 0, v1
	v_add_f64_e64 v[30:31], v[6:7], -v[30:31]
	v_cmp_neq_f64_e64 s4, 0x7ff00000, v[6:7]
	s_delay_alu instid0(VALU_DEP_3) | instskip(NEXT) | instid1(VALU_DEP_3)
	v_ldexp_f64 v[10:11], v[10:11], v8
	v_add_f64_e32 v[14:15], v[30:31], v[14:15]
	s_delay_alu instid0(VALU_DEP_2) | instskip(SKIP_1) | instid1(VALU_DEP_3)
	v_add_f64_e32 v[32:33], 1.0, v[10:11]
	v_add_f64_e32 v[50:51], -1.0, v[10:11]
	v_ldexp_f64 v[14:15], v[14:15], v8
	s_delay_alu instid0(VALU_DEP_3) | instskip(NEXT) | instid1(VALU_DEP_3)
	v_add_f64_e32 v[30:31], -1.0, v[32:33]
	v_add_f64_e32 v[52:53], 1.0, v[50:51]
	s_delay_alu instid0(VALU_DEP_2) | instskip(NEXT) | instid1(VALU_DEP_2)
	v_add_f64_e64 v[30:31], v[10:11], -v[30:31]
	v_add_f64_e64 v[10:11], v[10:11], -v[52:53]
	s_delay_alu instid0(VALU_DEP_2) | instskip(NEXT) | instid1(VALU_DEP_2)
	v_add_f64_e32 v[30:31], v[14:15], v[30:31]
	v_add_f64_e32 v[10:11], v[14:15], v[10:11]
	s_delay_alu instid0(VALU_DEP_2) | instskip(NEXT) | instid1(VALU_DEP_2)
	v_add_f64_e32 v[46:47], v[32:33], v[30:31]
	v_add_f64_e32 v[52:53], v[50:51], v[10:11]
	s_delay_alu instid0(VALU_DEP_2) | instskip(SKIP_1) | instid1(VALU_DEP_2)
	v_rcp_f64_e32 v[48:49], v[46:47]
	v_add_f64_e64 v[32:33], v[32:33], -v[46:47]
	v_add_f64_e64 v[50:51], v[50:51], -v[52:53]
	s_delay_alu instid0(VALU_DEP_2) | instskip(NEXT) | instid1(VALU_DEP_2)
	v_add_f64_e32 v[30:31], v[30:31], v[32:33]
	v_add_f64_e32 v[10:11], v[10:11], v[50:51]
	s_delay_alu instid0(TRANS32_DEP_1) | instskip(NEXT) | instid1(VALU_DEP_1)
	v_fma_f64 v[54:55], -v[46:47], v[48:49], 1.0
	v_fmac_f64_e32 v[48:49], v[54:55], v[48:49]
	s_delay_alu instid0(VALU_DEP_1) | instskip(NEXT) | instid1(VALU_DEP_1)
	v_fma_f64 v[14:15], -v[46:47], v[48:49], 1.0
	v_fmac_f64_e32 v[48:49], v[14:15], v[48:49]
	s_delay_alu instid0(VALU_DEP_1) | instskip(NEXT) | instid1(VALU_DEP_1)
	v_mul_f64_e32 v[14:15], v[52:53], v[48:49]
	v_mul_f64_e32 v[54:55], v[46:47], v[14:15]
	s_delay_alu instid0(VALU_DEP_1) | instskip(NEXT) | instid1(VALU_DEP_1)
	v_fma_f64 v[32:33], v[14:15], v[46:47], -v[54:55]
	v_fmac_f64_e32 v[32:33], v[14:15], v[30:31]
	s_delay_alu instid0(VALU_DEP_1) | instskip(NEXT) | instid1(VALU_DEP_1)
	v_add_f64_e32 v[56:57], v[54:55], v[32:33]
	v_add_f64_e64 v[58:59], v[52:53], -v[56:57]
	v_add_f64_e64 v[50:51], v[56:57], -v[54:55]
	s_delay_alu instid0(VALU_DEP_2) | instskip(NEXT) | instid1(VALU_DEP_2)
	v_add_f64_e64 v[52:53], v[52:53], -v[58:59]
	v_add_f64_e64 v[32:33], v[50:51], -v[32:33]
	s_delay_alu instid0(VALU_DEP_2) | instskip(NEXT) | instid1(VALU_DEP_1)
	v_add_f64_e64 v[52:53], v[52:53], -v[56:57]
	v_add_f64_e32 v[10:11], v[10:11], v[52:53]
	s_delay_alu instid0(VALU_DEP_1) | instskip(NEXT) | instid1(VALU_DEP_1)
	v_add_f64_e32 v[10:11], v[32:33], v[10:11]
	v_add_f64_e32 v[32:33], v[58:59], v[10:11]
	s_delay_alu instid0(VALU_DEP_1) | instskip(SKIP_1) | instid1(VALU_DEP_2)
	v_mul_f64_e32 v[50:51], v[48:49], v[32:33]
	v_add_f64_e64 v[56:57], v[58:59], -v[32:33]
	v_mul_f64_e32 v[52:53], v[46:47], v[50:51]
	s_delay_alu instid0(VALU_DEP_2) | instskip(NEXT) | instid1(VALU_DEP_2)
	v_add_f64_e32 v[10:11], v[10:11], v[56:57]
	v_fma_f64 v[46:47], v[50:51], v[46:47], -v[52:53]
	s_delay_alu instid0(VALU_DEP_1) | instskip(NEXT) | instid1(VALU_DEP_1)
	v_fmac_f64_e32 v[46:47], v[50:51], v[30:31]
	v_add_f64_e32 v[30:31], v[52:53], v[46:47]
	s_delay_alu instid0(VALU_DEP_1) | instskip(SKIP_1) | instid1(VALU_DEP_2)
	v_add_f64_e64 v[54:55], v[32:33], -v[30:31]
	v_add_f64_e64 v[52:53], v[30:31], -v[52:53]
	;; [unrolled: 1-line block ×3, first 2 shown]
	s_delay_alu instid0(VALU_DEP_1) | instskip(NEXT) | instid1(VALU_DEP_3)
	v_add_f64_e64 v[30:31], v[32:33], -v[30:31]
	v_add_f64_e64 v[32:33], v[52:53], -v[46:47]
	v_max_num_f64_e64 v[46:47], |v[2:3]|, |v[2:3]|
	s_delay_alu instid0(VALU_DEP_3) | instskip(SKIP_1) | instid1(VALU_DEP_2)
	v_add_f64_e32 v[10:11], v[10:11], v[30:31]
	v_add_f64_e32 v[30:31], v[14:15], v[50:51]
	;; [unrolled: 1-line block ×3, first 2 shown]
	s_delay_alu instid0(VALU_DEP_2) | instskip(SKIP_1) | instid1(VALU_DEP_3)
	v_add_f64_e64 v[14:15], v[30:31], -v[14:15]
	v_max_num_f64_e64 v[32:33], |v[4:5]|, |v[4:5]|
	v_add_f64_e32 v[10:11], v[54:55], v[10:11]
	s_delay_alu instid0(VALU_DEP_3) | instskip(NEXT) | instid1(VALU_DEP_2)
	v_add_f64_e64 v[14:15], v[50:51], -v[14:15]
	v_mul_f64_e32 v[10:11], v[48:49], v[10:11]
	s_delay_alu instid0(VALU_DEP_1) | instskip(SKIP_2) | instid1(VALU_DEP_3)
	v_add_f64_e32 v[10:11], v[14:15], v[10:11]
	v_max_num_f64_e32 v[14:15], v[46:47], v[32:33]
	v_min_num_f64_e32 v[32:33], v[46:47], v[32:33]
	v_add_f64_e32 v[46:47], v[30:31], v[10:11]
	s_delay_alu instid0(VALU_DEP_2) | instskip(NEXT) | instid1(VALU_DEP_2)
	v_div_scale_f64 v[48:49], null, v[14:15], v[14:15], v[32:33]
	v_mul_f64_e32 v[50:51], v[46:47], v[46:47]
	v_add_f64_e64 v[30:31], v[46:47], -v[30:31]
	s_delay_alu instid0(VALU_DEP_3) | instskip(NEXT) | instid1(VALU_DEP_2)
	v_rcp_f64_e32 v[52:53], v[48:49]
	v_fmamk_f64 v[54:55], v[50:51], 0x3fc3ab76bf559e2b, v[38:39]
	v_mul_f64_e32 v[56:57], v[46:47], v[50:51]
	s_delay_alu instid0(VALU_DEP_3) | instskip(NEXT) | instid1(VALU_DEP_3)
	v_add_f64_e64 v[10:11], v[10:11], -v[30:31]
	v_fmaak_f64 v[54:55], v[50:51], v[54:55], 0x3fc7474dd7f4df2e
	s_delay_alu instid0(TRANS32_DEP_1) | instskip(NEXT) | instid1(VALU_DEP_2)
	v_fma_f64 v[58:59], -v[48:49], v[52:53], 1.0
	v_fmaak_f64 v[54:55], v[50:51], v[54:55], 0x3fcc71c016291751
	s_delay_alu instid0(VALU_DEP_1) | instskip(NEXT) | instid1(VALU_DEP_1)
	v_fmaak_f64 v[54:55], v[50:51], v[54:55], 0x3fd249249b27acf1
	v_fmaak_f64 v[54:55], v[50:51], v[54:55], 0x3fd99999998ef7b6
	v_ldexp_f64 v[10:11], v[10:11], 1
	s_delay_alu instid0(VALU_DEP_2) | instskip(SKIP_2) | instid1(VALU_DEP_3)
	v_fmaak_f64 v[50:51], v[50:51], v[54:55], 0x3fe5555555555780
	v_ldexp_f64 v[54:55], v[46:47], 1
	v_fmac_f64_e32 v[52:53], v[52:53], v[58:59]
	v_mul_f64_e32 v[50:51], v[56:57], v[50:51]
	v_cvt_f64_i32_e32 v[56:57], v1
	v_ashrrev_i32_e32 v1, 31, v3
	s_delay_alu instid0(VALU_DEP_1) | instskip(SKIP_4) | instid1(VALU_DEP_3)
	v_and_b32_e32 v12, 0x54442d18, v1
	v_and_b32_e32 v1, 0x400921fb, v1
	v_fma_f64 v[58:59], -v[48:49], v[52:53], 1.0
	v_add_f64_e32 v[46:47], v[54:55], v[50:51]
	v_mul_f64_e32 v[60:61], 0x3fe62e42fefa39ef, v[56:57]
	v_fmac_f64_e32 v[52:53], v[52:53], v[58:59]
	s_delay_alu instid0(VALU_DEP_3) | instskip(SKIP_1) | instid1(VALU_DEP_4)
	v_add_f64_e64 v[30:31], v[46:47], -v[54:55]
	v_div_scale_f64 v[54:55], vcc_lo, v[32:33], v[14:15], v[32:33]
	v_fma_f64 v[58:59], v[56:57], s[28:29], -v[60:61]
	s_delay_alu instid0(VALU_DEP_3) | instskip(NEXT) | instid1(VALU_DEP_3)
	v_add_f64_e64 v[30:31], v[50:51], -v[30:31]
	v_mul_f64_e32 v[50:51], v[54:55], v[52:53]
	s_delay_alu instid0(VALU_DEP_3) | instskip(NEXT) | instid1(VALU_DEP_3)
	v_fmac_f64_e32 v[58:59], 0x3c7abc9e3b39803f, v[56:57]
	v_add_f64_e32 v[10:11], v[10:11], v[30:31]
	s_delay_alu instid0(VALU_DEP_3) | instskip(NEXT) | instid1(VALU_DEP_3)
	v_fma_f64 v[30:31], -v[48:49], v[50:51], v[54:55]
	v_add_f64_e32 v[48:49], v[60:61], v[58:59]
	s_delay_alu instid0(VALU_DEP_3) | instskip(NEXT) | instid1(VALU_DEP_3)
	v_add_f64_e32 v[54:55], v[46:47], v[10:11]
	v_div_fmas_f64 v[30:31], v[30:31], v[52:53], v[50:51]
	v_cmp_gt_i32_e32 vcc_lo, 0, v3
	s_delay_alu instid0(VALU_DEP_4) | instskip(SKIP_2) | instid1(VALU_DEP_2)
	v_add_f64_e64 v[52:53], v[48:49], -v[60:61]
	v_cndmask_b32_e32 v6, 0x3fe921fb, v63, vcc_lo
	v_cndmask_b32_e32 v8, 0x54442d18, v62, vcc_lo
	v_bfi_b32 v6, 0x7fffffff, v6, v5
	v_add_f64_e32 v[50:51], v[48:49], v[54:55]
	v_div_fixup_f64 v[14:15], v[30:31], v[14:15], v[32:33]
	v_add_f64_e64 v[46:47], v[54:55], -v[46:47]
	v_add_f64_e64 v[52:53], v[58:59], -v[52:53]
	s_delay_alu instid0(VALU_DEP_4) | instskip(NEXT) | instid1(VALU_DEP_4)
	v_add_f64_e64 v[30:31], v[50:51], -v[48:49]
	v_mul_f64_e32 v[32:33], v[14:15], v[14:15]
	s_delay_alu instid0(VALU_DEP_4) | instskip(NEXT) | instid1(VALU_DEP_3)
	v_add_f64_e64 v[10:11], v[10:11], -v[46:47]
	v_add_f64_e64 v[56:57], v[50:51], -v[30:31]
	s_delay_alu instid0(VALU_DEP_3) | instskip(SKIP_1) | instid1(VALU_DEP_4)
	v_fmamk_f64 v[60:61], v[32:33], 0x3eeba404b5e68a13, v[40:41]
	v_add_f64_e64 v[30:31], v[54:55], -v[30:31]
	v_add_f64_e32 v[54:55], v[52:53], v[10:11]
	s_delay_alu instid0(VALU_DEP_3) | instskip(NEXT) | instid1(VALU_DEP_1)
	v_fmaak_f64 v[60:61], v[32:33], v[60:61], 0x3f4b2bb069efb384
	v_fmaak_f64 v[60:61], v[32:33], v[60:61], 0xbf67952daf56de9b
	v_add_f64_e64 v[46:47], v[48:49], -v[56:57]
	s_delay_alu instid0(VALU_DEP_2) | instskip(NEXT) | instid1(VALU_DEP_1)
	v_fmaak_f64 v[48:49], v[32:33], v[60:61], 0x3f7d6d43a595c56f
	v_fmaak_f64 v[48:49], v[32:33], v[48:49], 0xbf8c6ea4a57d9582
	s_delay_alu instid0(VALU_DEP_1) | instskip(NEXT) | instid1(VALU_DEP_1)
	v_fmaak_f64 v[48:49], v[32:33], v[48:49], 0x3f967e295f08b19f
	v_fmaak_f64 v[48:49], v[32:33], v[48:49], 0xbf9e9ae6fc27006a
	s_delay_alu instid0(VALU_DEP_1) | instskip(SKIP_1) | instid1(VALU_DEP_2)
	v_fmaak_f64 v[48:49], v[32:33], v[48:49], 0x3fa2c15b5711927a
	v_add_f64_e32 v[30:31], v[30:31], v[46:47]
	v_fmaak_f64 v[46:47], v[32:33], v[48:49], 0xbfa59976e82d3ff0
	v_add_f64_e64 v[48:49], v[54:55], -v[52:53]
	s_delay_alu instid0(VALU_DEP_2) | instskip(NEXT) | instid1(VALU_DEP_1)
	v_fmaak_f64 v[46:47], v[32:33], v[46:47], 0x3fa82d5d6ef28734
	v_fmaak_f64 v[46:47], v[32:33], v[46:47], 0xbfaae5ce6a214619
	s_delay_alu instid0(VALU_DEP_1) | instskip(NEXT) | instid1(VALU_DEP_1)
	v_fmaak_f64 v[46:47], v[32:33], v[46:47], 0x3fae1bb48427b883
	v_fmaak_f64 v[46:47], v[32:33], v[46:47], 0xbfb110e48b207f05
	v_add_f64_e32 v[30:31], v[54:55], v[30:31]
	v_add_f64_e64 v[54:55], v[54:55], -v[48:49]
	v_add_f64_e64 v[10:11], v[10:11], -v[48:49]
	s_delay_alu instid0(VALU_DEP_4) | instskip(NEXT) | instid1(VALU_DEP_1)
	v_fmaak_f64 v[46:47], v[32:33], v[46:47], 0x3fb3b13657b87036
	v_fmaak_f64 v[46:47], v[32:33], v[46:47], 0xbfb745d119378e4f
	s_delay_alu instid0(VALU_DEP_1) | instskip(NEXT) | instid1(VALU_DEP_1)
	v_fmaak_f64 v[46:47], v[32:33], v[46:47], 0x3fbc71c717e1913c
	v_fmaak_f64 v[46:47], v[32:33], v[46:47], 0xbfc2492492376b7d
	v_add_f64_e32 v[56:57], v[50:51], v[30:31]
	s_delay_alu instid0(VALU_DEP_2) | instskip(NEXT) | instid1(VALU_DEP_1)
	v_fmaak_f64 v[46:47], v[32:33], v[46:47], 0x3fc99999999952cc
	v_fmaak_f64 v[46:47], v[32:33], v[46:47], 0xbfd5555555555523
	s_delay_alu instid0(VALU_DEP_1) | instskip(SKIP_2) | instid1(VALU_DEP_3)
	v_mul_f64_e32 v[32:33], v[32:33], v[46:47]
	v_add_f64_e64 v[46:47], v[52:53], -v[54:55]
	v_add_f64_e64 v[48:49], v[56:57], -v[50:51]
	v_fmac_f64_e32 v[14:15], v[14:15], v[32:33]
	s_delay_alu instid0(VALU_DEP_3) | instskip(NEXT) | instid1(VALU_DEP_3)
	v_add_f64_e32 v[10:11], v[10:11], v[46:47]
	v_add_f64_e64 v[30:31], v[30:31], -v[48:49]
	s_delay_alu instid0(VALU_DEP_3) | instskip(NEXT) | instid1(VALU_DEP_2)
	v_add_f64_e64 v[32:33], -v[14:15], s[30:31]
	v_add_f64_e32 v[10:11], v[10:11], v[30:31]
	s_delay_alu instid0(VALU_DEP_2) | instskip(NEXT) | instid1(VALU_DEP_1)
	v_dual_cndmask_b32 v15, v15, v33, s2 :: v_dual_cndmask_b32 v14, v14, v32, s2
	v_add_f64_e64 v[30:31], -v[14:15], s[34:35]
	s_delay_alu instid0(VALU_DEP_3) | instskip(NEXT) | instid1(VALU_DEP_2)
	v_add_f64_e32 v[10:11], v[56:57], v[10:11]
	v_dual_cndmask_b32 v14, v14, v30 :: v_dual_cndmask_b32 v7, v15, v31
	s_and_b32 vcc_lo, s8, s7
	s_delay_alu instid0(VALU_DEP_1) | instskip(NEXT) | instid1(VALU_DEP_1)
	v_dual_cndmask_b32 v12, v14, v12, s3 :: v_dual_cndmask_b32 v1, v7, v1, s3
	v_dual_mul_f64 v[10:11], 0.5, v[10:11] :: v_dual_cndmask_b32 v32, v12, v8, vcc_lo
	s_delay_alu instid0(VALU_DEP_2) | instskip(NEXT) | instid1(VALU_DEP_2)
	v_cndmask_b32_e32 v33, v1, v6, vcc_lo
	v_cndmask_b32_e64 v31, 0x7ff00000, v11, s4
	s_delay_alu instid0(VALU_DEP_3)
	v_cndmask_b32_e64 v30, 0, v10, s4
                                        ; implicit-def: $vgpr10_vgpr11
.LBB167_128:                            ;   in Loop: Header=BB167_5 Depth=1
	s_and_not1_saveexec_b32 s4, s6
	s_cbranch_execz .LBB167_130
; %bb.129:                              ;   in Loop: Header=BB167_5 Depth=1
	v_max_num_f64_e64 v[6:7], |v[4:5]|, |v[4:5]|
	v_max_num_f64_e64 v[14:15], |v[2:3]|, |v[2:3]|
	v_cmp_eq_f64_e64 s3, 0, v[4:5]
	v_cmp_class_f64_e64 s6, v[4:5], 0x204
	v_cmp_class_f64_e64 s7, v[2:3], 0x204
	v_ashrrev_i32_e32 v1, 31, v3
	s_delay_alu instid0(VALU_DEP_1) | instskip(SKIP_3) | instid1(VALU_DEP_1)
	v_and_b32_e32 v12, 0x54442d18, v1
	v_and_b32_e32 v1, 0x400921fb, v1
	v_max_num_f64_e32 v[30:31], v[14:15], v[6:7]
	v_min_num_f64_e32 v[6:7], v[14:15], v[6:7]
	v_div_scale_f64 v[14:15], null, v[30:31], v[30:31], v[6:7]
	v_div_scale_f64 v[48:49], vcc_lo, v[6:7], v[30:31], v[6:7]
	s_delay_alu instid0(VALU_DEP_2) | instskip(SKIP_1) | instid1(TRANS32_DEP_1)
	v_rcp_f64_e32 v[32:33], v[14:15]
	v_nop
	v_fma_f64 v[46:47], -v[14:15], v[32:33], 1.0
	s_delay_alu instid0(VALU_DEP_1) | instskip(NEXT) | instid1(VALU_DEP_1)
	v_fmac_f64_e32 v[32:33], v[32:33], v[46:47]
	v_fma_f64 v[46:47], -v[14:15], v[32:33], 1.0
	s_delay_alu instid0(VALU_DEP_1) | instskip(NEXT) | instid1(VALU_DEP_1)
	v_fmac_f64_e32 v[32:33], v[32:33], v[46:47]
	v_mul_f64_e32 v[46:47], v[48:49], v[32:33]
	s_delay_alu instid0(VALU_DEP_1) | instskip(NEXT) | instid1(VALU_DEP_1)
	v_fma_f64 v[14:15], -v[14:15], v[46:47], v[48:49]
	v_div_fmas_f64 v[14:15], v[14:15], v[32:33], v[46:47]
	v_cmp_gt_i32_e32 vcc_lo, 0, v3
	v_cndmask_b32_e32 v8, 0x54442d18, v62, vcc_lo
	s_delay_alu instid0(VALU_DEP_3) | instskip(NEXT) | instid1(VALU_DEP_1)
	v_div_fixup_f64 v[6:7], v[14:15], v[30:31], v[6:7]
	v_mul_f64_e32 v[14:15], v[6:7], v[6:7]
	s_delay_alu instid0(VALU_DEP_1) | instskip(NEXT) | instid1(VALU_DEP_1)
	v_fmamk_f64 v[30:31], v[14:15], 0x3eeba404b5e68a13, v[40:41]
	v_fmaak_f64 v[30:31], v[14:15], v[30:31], 0x3f4b2bb069efb384
	s_delay_alu instid0(VALU_DEP_1) | instskip(NEXT) | instid1(VALU_DEP_1)
	v_fmaak_f64 v[30:31], v[14:15], v[30:31], 0xbf67952daf56de9b
	v_fmaak_f64 v[30:31], v[14:15], v[30:31], 0x3f7d6d43a595c56f
	s_delay_alu instid0(VALU_DEP_1) | instskip(NEXT) | instid1(VALU_DEP_1)
	v_fmaak_f64 v[30:31], v[14:15], v[30:31], 0xbf8c6ea4a57d9582
	;; [unrolled: 3-line block ×9, first 2 shown]
	v_mul_f64_e32 v[14:15], v[14:15], v[30:31]
	s_delay_alu instid0(VALU_DEP_1) | instskip(NEXT) | instid1(VALU_DEP_1)
	v_fmac_f64_e32 v[6:7], v[6:7], v[14:15]
	v_add_f64_e64 v[14:15], -v[6:7], s[30:31]
	s_delay_alu instid0(VALU_DEP_1) | instskip(NEXT) | instid1(VALU_DEP_1)
	v_dual_cndmask_b32 v7, v7, v15, s2 :: v_dual_cndmask_b32 v6, v6, v14, s2
	v_add_f64_e64 v[14:15], -v[6:7], s[34:35]
	s_delay_alu instid0(VALU_DEP_1) | instskip(NEXT) | instid1(VALU_DEP_1)
	v_dual_cndmask_b32 v6, v6, v14 :: v_dual_cndmask_b32 v7, v7, v15
	v_dual_mul_f64 v[30:31], 0.5, v[10:11] :: v_dual_cndmask_b32 v6, v6, v12, s3
	s_delay_alu instid0(VALU_DEP_1)
	v_mul_f64_e32 v[30:31], v[10:11], v[30:31]
	v_cndmask_b32_e32 v10, 0x3fe921fb, v63, vcc_lo
	s_and_b32 vcc_lo, s7, s6
	s_delay_alu instid0(VALU_DEP_3) | instid1(SALU_CYCLE_1)
	v_dual_cndmask_b32 v1, v7, v1, s3 :: v_dual_cndmask_b32 v32, v6, v8, vcc_lo
	s_delay_alu instid0(VALU_DEP_2) | instskip(NEXT) | instid1(VALU_DEP_1)
	v_bfi_b32 v10, 0x7fffffff, v10, v5
	v_cndmask_b32_e32 v33, v1, v10, vcc_lo
.LBB167_130:                            ;   in Loop: Header=BB167_5 Depth=1
	s_or_b32 exec_lo, exec_lo, s4
.LBB167_131:                            ;   in Loop: Header=BB167_5 Depth=1
	s_delay_alu instid0(SALU_CYCLE_1)
	s_or_b32 exec_lo, exec_lo, s5
.LBB167_132:                            ;   in Loop: Header=BB167_5 Depth=1
	s_and_not1_saveexec_b32 s4, s45
	s_cbranch_execz .LBB167_134
; %bb.133:                              ;   in Loop: Header=BB167_5 Depth=1
	v_div_scale_f64 v[6:7], null, s[40:41], s[40:41], v[2:3]
	v_div_scale_f64 v[10:11], null, s[40:41], s[40:41], v[4:5]
	v_div_scale_f64 v[48:49], vcc_lo, v[2:3], s[40:41], v[2:3]
	s_delay_alu instid0(VALU_DEP_3) | instskip(NEXT) | instid1(VALU_DEP_2)
	v_rcp_f64_e32 v[14:15], v[6:7]
	v_rcp_f64_e32 v[30:31], v[10:11]
	s_delay_alu instid0(TRANS32_DEP_2) | instskip(NEXT) | instid1(TRANS32_DEP_1)
	v_fma_f64 v[32:33], -v[6:7], v[14:15], 1.0
	v_fma_f64 v[46:47], -v[10:11], v[30:31], 1.0
	s_delay_alu instid0(VALU_DEP_2) | instskip(NEXT) | instid1(VALU_DEP_2)
	v_fmac_f64_e32 v[14:15], v[14:15], v[32:33]
	v_fmac_f64_e32 v[30:31], v[30:31], v[46:47]
	s_delay_alu instid0(VALU_DEP_2) | instskip(NEXT) | instid1(VALU_DEP_2)
	v_fma_f64 v[32:33], -v[6:7], v[14:15], 1.0
	v_fma_f64 v[46:47], -v[10:11], v[30:31], 1.0
	s_delay_alu instid0(VALU_DEP_2) | instskip(SKIP_1) | instid1(VALU_DEP_3)
	v_fmac_f64_e32 v[14:15], v[14:15], v[32:33]
	v_div_scale_f64 v[32:33], s3, v[4:5], s[40:41], v[4:5]
	v_fmac_f64_e32 v[30:31], v[30:31], v[46:47]
	s_delay_alu instid0(VALU_DEP_3) | instskip(NEXT) | instid1(VALU_DEP_2)
	v_mul_f64_e32 v[46:47], v[48:49], v[14:15]
	v_mul_f64_e32 v[50:51], v[32:33], v[30:31]
	s_delay_alu instid0(VALU_DEP_2) | instskip(NEXT) | instid1(VALU_DEP_2)
	v_fma_f64 v[6:7], -v[6:7], v[46:47], v[48:49]
	v_fma_f64 v[10:11], -v[10:11], v[50:51], v[32:33]
	s_delay_alu instid0(VALU_DEP_2) | instskip(SKIP_1) | instid1(VALU_DEP_2)
	v_div_fmas_f64 v[6:7], v[6:7], v[14:15], v[46:47]
	s_mov_b32 vcc_lo, s3
	v_div_fmas_f64 v[10:11], v[10:11], v[30:31], v[50:51]
	s_delay_alu instid0(VALU_DEP_2) | instskip(NEXT) | instid1(VALU_DEP_2)
	v_div_fixup_f64 v[6:7], v[6:7], s[40:41], v[2:3]
	v_div_fixup_f64 v[10:11], v[10:11], s[40:41], v[4:5]
	s_delay_alu instid0(VALU_DEP_2) | instskip(NEXT) | instid1(VALU_DEP_2)
	v_cmp_class_f64_e64 s3, v[6:7], 0x204
	v_max_num_f64_e64 v[14:15], |v[6:7]|, |v[10:11]|
	v_cmp_class_f64_e64 s5, v[10:11], 0x204
	s_delay_alu instid0(VALU_DEP_2) | instskip(SKIP_2) | instid1(VALU_DEP_2)
	v_frexp_exp_i32_f64_e32 v1, v[14:15]
	s_or_b32 s3, s3, s5
	v_cmp_class_f64_e64 s5, v[2:3], 0x204
	v_sub_nc_u32_e32 v8, 0, v1
	s_delay_alu instid0(VALU_DEP_1) | instskip(SKIP_1) | instid1(VALU_DEP_2)
	v_ldexp_f64 v[14:15], |v[10:11]|, v8
	v_ldexp_f64 v[30:31], |v[6:7]|, v8
	v_mul_f64_e32 v[14:15], v[14:15], v[14:15]
	s_delay_alu instid0(VALU_DEP_1) | instskip(NEXT) | instid1(VALU_DEP_1)
	v_fmac_f64_e32 v[14:15], v[30:31], v[30:31]
	v_rsq_f64_e32 v[30:31], v[14:15]
	v_cmp_eq_f64_e32 vcc_lo, 0, v[14:15]
	s_delay_alu instid0(TRANS32_DEP_1) | instskip(SKIP_1) | instid1(VALU_DEP_1)
	v_mul_f64_e32 v[32:33], v[14:15], v[30:31]
	v_mul_f64_e32 v[30:31], 0.5, v[30:31]
	v_fma_f64 v[46:47], -v[30:31], v[32:33], 0.5
	s_delay_alu instid0(VALU_DEP_1) | instskip(SKIP_1) | instid1(VALU_DEP_2)
	v_fmac_f64_e32 v[32:33], v[32:33], v[46:47]
	v_fmac_f64_e32 v[30:31], v[30:31], v[46:47]
	v_fma_f64 v[46:47], -v[32:33], v[32:33], v[14:15]
	s_delay_alu instid0(VALU_DEP_1) | instskip(NEXT) | instid1(VALU_DEP_1)
	v_fmac_f64_e32 v[32:33], v[46:47], v[30:31]
	v_dual_cndmask_b32 v15, v33, v15 :: v_dual_cndmask_b32 v14, v32, v14
	v_cmp_o_f64_e32 vcc_lo, v[6:7], v[10:11]
	s_delay_alu instid0(VALU_DEP_2) | instskip(NEXT) | instid1(VALU_DEP_1)
	v_ldexp_f64 v[14:15], v[14:15], v1
	v_cndmask_b32_e32 v1, 0, v14, vcc_lo
	s_delay_alu instid0(VALU_DEP_2) | instskip(NEXT) | instid1(VALU_DEP_1)
	v_cndmask_b32_e32 v6, 0x7ff80000, v15, vcc_lo
	v_cndmask_b32_e64 v7, v6, 0x7ff00000, s3
	s_delay_alu instid0(VALU_DEP_3) | instskip(SKIP_1) | instid1(VALU_DEP_2)
	v_cndmask_b32_e64 v6, v1, 0, s3
	v_cmp_class_f64_e64 s3, v[4:5], 0x204
	v_frexp_mant_f64_e32 v[10:11], v[6:7]
	s_delay_alu instid0(VALU_DEP_1) | instskip(SKIP_1) | instid1(VALU_DEP_1)
	v_cmp_gt_f64_e32 vcc_lo, s[26:27], v[10:11]
	v_cndmask_b32_e64 v1, 0, 1, vcc_lo
	v_ldexp_f64 v[10:11], v[10:11], v1
	v_frexp_exp_i32_f64_e32 v1, v[6:7]
	s_delay_alu instid0(VALU_DEP_2) | instskip(SKIP_1) | instid1(VALU_DEP_3)
	v_add_f64_e32 v[14:15], 1.0, v[10:11]
	v_add_f64_e32 v[46:47], -1.0, v[10:11]
	v_subrev_co_ci_u32_e64 v1, null, 0, v1, vcc_lo
	s_delay_alu instid0(VALU_DEP_3) | instskip(SKIP_1) | instid1(VALU_DEP_1)
	v_rcp_f64_e32 v[30:31], v[14:15]
	v_add_f64_e32 v[48:49], -1.0, v[14:15]
	v_add_f64_e64 v[10:11], v[10:11], -v[48:49]
	s_delay_alu instid0(TRANS32_DEP_1) | instskip(NEXT) | instid1(VALU_DEP_1)
	v_fma_f64 v[32:33], -v[14:15], v[30:31], 1.0
	v_fmac_f64_e32 v[30:31], v[32:33], v[30:31]
	s_delay_alu instid0(VALU_DEP_1) | instskip(NEXT) | instid1(VALU_DEP_1)
	v_fma_f64 v[32:33], -v[14:15], v[30:31], 1.0
	v_fmac_f64_e32 v[30:31], v[32:33], v[30:31]
	s_delay_alu instid0(VALU_DEP_1) | instskip(NEXT) | instid1(VALU_DEP_1)
	v_mul_f64_e32 v[32:33], v[46:47], v[30:31]
	v_mul_f64_e32 v[50:51], v[14:15], v[32:33]
	s_delay_alu instid0(VALU_DEP_1) | instskip(NEXT) | instid1(VALU_DEP_1)
	v_fma_f64 v[14:15], v[32:33], v[14:15], -v[50:51]
	v_fmac_f64_e32 v[14:15], v[32:33], v[10:11]
	s_delay_alu instid0(VALU_DEP_1) | instskip(NEXT) | instid1(VALU_DEP_1)
	v_add_f64_e32 v[10:11], v[50:51], v[14:15]
	v_add_f64_e64 v[48:49], v[46:47], -v[10:11]
	v_add_f64_e64 v[50:51], v[10:11], -v[50:51]
	s_delay_alu instid0(VALU_DEP_2) | instskip(NEXT) | instid1(VALU_DEP_2)
	v_add_f64_e64 v[46:47], v[46:47], -v[48:49]
	v_add_f64_e64 v[14:15], v[50:51], -v[14:15]
	s_delay_alu instid0(VALU_DEP_2) | instskip(SKIP_1) | instid1(VALU_DEP_2)
	v_add_f64_e64 v[10:11], v[46:47], -v[10:11]
	v_max_num_f64_e64 v[46:47], |v[2:3]|, |v[2:3]|
	v_add_f64_e32 v[10:11], v[14:15], v[10:11]
	v_max_num_f64_e64 v[14:15], |v[4:5]|, |v[4:5]|
	s_delay_alu instid0(VALU_DEP_2) | instskip(NEXT) | instid1(VALU_DEP_1)
	v_add_f64_e32 v[10:11], v[48:49], v[10:11]
	v_mul_f64_e32 v[10:11], v[30:31], v[10:11]
	s_delay_alu instid0(VALU_DEP_3) | instskip(SKIP_1) | instid1(VALU_DEP_3)
	v_max_num_f64_e32 v[30:31], v[46:47], v[14:15]
	v_min_num_f64_e32 v[14:15], v[46:47], v[14:15]
	v_add_f64_e32 v[46:47], v[32:33], v[10:11]
	s_delay_alu instid0(VALU_DEP_2) | instskip(NEXT) | instid1(VALU_DEP_2)
	v_div_scale_f64 v[48:49], null, v[30:31], v[30:31], v[14:15]
	v_mul_f64_e32 v[50:51], v[46:47], v[46:47]
	v_add_f64_e64 v[32:33], v[46:47], -v[32:33]
	s_delay_alu instid0(VALU_DEP_3) | instskip(NEXT) | instid1(VALU_DEP_2)
	v_rcp_f64_e32 v[52:53], v[48:49]
	v_fmamk_f64 v[54:55], v[50:51], 0x3fc3ab76bf559e2b, v[38:39]
	v_mul_f64_e32 v[56:57], v[46:47], v[50:51]
	s_delay_alu instid0(VALU_DEP_3) | instskip(NEXT) | instid1(VALU_DEP_3)
	v_add_f64_e64 v[10:11], v[10:11], -v[32:33]
	v_fmaak_f64 v[54:55], v[50:51], v[54:55], 0x3fc7474dd7f4df2e
	s_delay_alu instid0(TRANS32_DEP_1) | instskip(NEXT) | instid1(VALU_DEP_2)
	v_fma_f64 v[58:59], -v[48:49], v[52:53], 1.0
	v_fmaak_f64 v[54:55], v[50:51], v[54:55], 0x3fcc71c016291751
	s_delay_alu instid0(VALU_DEP_1) | instskip(NEXT) | instid1(VALU_DEP_1)
	v_fmaak_f64 v[54:55], v[50:51], v[54:55], 0x3fd249249b27acf1
	v_fmaak_f64 v[54:55], v[50:51], v[54:55], 0x3fd99999998ef7b6
	v_ldexp_f64 v[10:11], v[10:11], 1
	s_delay_alu instid0(VALU_DEP_2) | instskip(SKIP_2) | instid1(VALU_DEP_3)
	v_fmaak_f64 v[50:51], v[50:51], v[54:55], 0x3fe5555555555780
	v_ldexp_f64 v[54:55], v[46:47], 1
	v_fmac_f64_e32 v[52:53], v[52:53], v[58:59]
	v_mul_f64_e32 v[50:51], v[56:57], v[50:51]
	v_cvt_f64_i32_e32 v[56:57], v1
	v_ashrrev_i32_e32 v1, 31, v3
	s_delay_alu instid0(VALU_DEP_1) | instskip(SKIP_4) | instid1(VALU_DEP_3)
	v_and_b32_e32 v12, 0x54442d18, v1
	v_and_b32_e32 v1, 0x400921fb, v1
	v_fma_f64 v[58:59], -v[48:49], v[52:53], 1.0
	v_add_f64_e32 v[46:47], v[54:55], v[50:51]
	v_mul_f64_e32 v[60:61], 0x3fe62e42fefa39ef, v[56:57]
	v_fmac_f64_e32 v[52:53], v[52:53], v[58:59]
	s_delay_alu instid0(VALU_DEP_3) | instskip(SKIP_1) | instid1(VALU_DEP_4)
	v_add_f64_e64 v[32:33], v[46:47], -v[54:55]
	v_div_scale_f64 v[54:55], vcc_lo, v[14:15], v[30:31], v[14:15]
	v_fma_f64 v[58:59], v[56:57], s[28:29], -v[60:61]
	s_delay_alu instid0(VALU_DEP_3) | instskip(NEXT) | instid1(VALU_DEP_3)
	v_add_f64_e64 v[32:33], v[50:51], -v[32:33]
	v_mul_f64_e32 v[50:51], v[54:55], v[52:53]
	s_delay_alu instid0(VALU_DEP_3) | instskip(NEXT) | instid1(VALU_DEP_3)
	v_fmac_f64_e32 v[58:59], 0x3c7abc9e3b39803f, v[56:57]
	v_add_f64_e32 v[10:11], v[10:11], v[32:33]
	s_delay_alu instid0(VALU_DEP_3) | instskip(NEXT) | instid1(VALU_DEP_3)
	v_fma_f64 v[32:33], -v[48:49], v[50:51], v[54:55]
	v_add_f64_e32 v[48:49], v[60:61], v[58:59]
	s_delay_alu instid0(VALU_DEP_3) | instskip(NEXT) | instid1(VALU_DEP_3)
	v_add_f64_e32 v[54:55], v[46:47], v[10:11]
	v_div_fmas_f64 v[32:33], v[32:33], v[52:53], v[50:51]
	v_cmp_class_f64_e64 vcc_lo, v[6:7], 0x204
	s_delay_alu instid0(VALU_DEP_4) | instskip(NEXT) | instid1(VALU_DEP_4)
	v_add_f64_e64 v[52:53], v[48:49], -v[60:61]
	v_add_f64_e32 v[50:51], v[48:49], v[54:55]
	s_delay_alu instid0(VALU_DEP_4) | instskip(SKIP_1) | instid1(VALU_DEP_4)
	v_div_fixup_f64 v[14:15], v[32:33], v[30:31], v[14:15]
	v_add_f64_e64 v[46:47], v[54:55], -v[46:47]
	v_add_f64_e64 v[52:53], v[58:59], -v[52:53]
	s_delay_alu instid0(VALU_DEP_4) | instskip(NEXT) | instid1(VALU_DEP_4)
	v_add_f64_e64 v[30:31], v[50:51], -v[48:49]
	v_mul_f64_e32 v[32:33], v[14:15], v[14:15]
	s_delay_alu instid0(VALU_DEP_4) | instskip(NEXT) | instid1(VALU_DEP_3)
	v_add_f64_e64 v[10:11], v[10:11], -v[46:47]
	v_add_f64_e64 v[56:57], v[50:51], -v[30:31]
	s_delay_alu instid0(VALU_DEP_3) | instskip(SKIP_1) | instid1(VALU_DEP_4)
	v_fmamk_f64 v[60:61], v[32:33], 0x3eeba404b5e68a13, v[40:41]
	v_add_f64_e64 v[30:31], v[54:55], -v[30:31]
	v_add_f64_e32 v[54:55], v[52:53], v[10:11]
	s_delay_alu instid0(VALU_DEP_3) | instskip(SKIP_1) | instid1(VALU_DEP_2)
	v_fmaak_f64 v[60:61], v[32:33], v[60:61], 0x3f4b2bb069efb384
	v_add_f64_e64 v[46:47], v[48:49], -v[56:57]
	v_fmaak_f64 v[48:49], v[32:33], v[60:61], 0xbf67952daf56de9b
	s_delay_alu instid0(VALU_DEP_1) | instskip(NEXT) | instid1(VALU_DEP_1)
	v_fmaak_f64 v[48:49], v[32:33], v[48:49], 0x3f7d6d43a595c56f
	v_fmaak_f64 v[48:49], v[32:33], v[48:49], 0xbf8c6ea4a57d9582
	s_delay_alu instid0(VALU_DEP_1) | instskip(SKIP_1) | instid1(VALU_DEP_2)
	v_fmaak_f64 v[48:49], v[32:33], v[48:49], 0x3f967e295f08b19f
	v_add_f64_e32 v[30:31], v[30:31], v[46:47]
	v_fmaak_f64 v[46:47], v[32:33], v[48:49], 0xbf9e9ae6fc27006a
	v_add_f64_e64 v[48:49], v[54:55], -v[52:53]
	s_delay_alu instid0(VALU_DEP_2) | instskip(NEXT) | instid1(VALU_DEP_1)
	v_fmaak_f64 v[46:47], v[32:33], v[46:47], 0x3fa2c15b5711927a
	v_fmaak_f64 v[46:47], v[32:33], v[46:47], 0xbfa59976e82d3ff0
	s_delay_alu instid0(VALU_DEP_1) | instskip(NEXT) | instid1(VALU_DEP_1)
	v_fmaak_f64 v[46:47], v[32:33], v[46:47], 0x3fa82d5d6ef28734
	v_fmaak_f64 v[46:47], v[32:33], v[46:47], 0xbfaae5ce6a214619
	v_add_f64_e32 v[30:31], v[54:55], v[30:31]
	v_add_f64_e64 v[54:55], v[54:55], -v[48:49]
	v_add_f64_e64 v[10:11], v[10:11], -v[48:49]
	s_delay_alu instid0(VALU_DEP_4) | instskip(NEXT) | instid1(VALU_DEP_1)
	v_fmaak_f64 v[46:47], v[32:33], v[46:47], 0x3fae1bb48427b883
	v_fmaak_f64 v[46:47], v[32:33], v[46:47], 0xbfb110e48b207f05
	s_delay_alu instid0(VALU_DEP_1) | instskip(NEXT) | instid1(VALU_DEP_1)
	v_fmaak_f64 v[46:47], v[32:33], v[46:47], 0x3fb3b13657b87036
	v_fmaak_f64 v[46:47], v[32:33], v[46:47], 0xbfb745d119378e4f
	s_delay_alu instid0(VALU_DEP_1) | instskip(SKIP_1) | instid1(VALU_DEP_2)
	v_fmaak_f64 v[46:47], v[32:33], v[46:47], 0x3fbc71c717e1913c
	v_add_f64_e32 v[56:57], v[50:51], v[30:31]
	v_fmaak_f64 v[46:47], v[32:33], v[46:47], 0xbfc2492492376b7d
	s_delay_alu instid0(VALU_DEP_1) | instskip(NEXT) | instid1(VALU_DEP_1)
	v_fmaak_f64 v[46:47], v[32:33], v[46:47], 0x3fc99999999952cc
	v_fmaak_f64 v[46:47], v[32:33], v[46:47], 0xbfd5555555555523
	s_delay_alu instid0(VALU_DEP_1) | instskip(SKIP_2) | instid1(VALU_DEP_3)
	v_mul_f64_e32 v[32:33], v[32:33], v[46:47]
	v_add_f64_e64 v[46:47], v[52:53], -v[54:55]
	v_add_f64_e64 v[48:49], v[56:57], -v[50:51]
	v_fmac_f64_e32 v[14:15], v[14:15], v[32:33]
	s_delay_alu instid0(VALU_DEP_3) | instskip(NEXT) | instid1(VALU_DEP_3)
	v_add_f64_e32 v[10:11], v[10:11], v[46:47]
	v_add_f64_e64 v[30:31], v[30:31], -v[48:49]
	s_delay_alu instid0(VALU_DEP_3) | instskip(NEXT) | instid1(VALU_DEP_2)
	v_add_f64_e64 v[32:33], -v[14:15], s[30:31]
	v_add_f64_e32 v[10:11], v[10:11], v[30:31]
	s_delay_alu instid0(VALU_DEP_2) | instskip(SKIP_1) | instid1(VALU_DEP_3)
	v_dual_cndmask_b32 v15, v15, v33, s2 :: v_dual_cndmask_b32 v14, v14, v32, s2
	v_cmp_gt_i32_e64 s2, 0, v3
	v_add_f64_e32 v[10:11], v[56:57], v[10:11]
	s_delay_alu instid0(VALU_DEP_3) | instskip(NEXT) | instid1(VALU_DEP_3)
	v_add_f64_e64 v[30:31], -v[14:15], s[34:35]
	v_cndmask_b32_e64 v8, 0x54442d18, v62, s2
	v_cndmask_b32_e64 v16, 0x3fe921fb, v63, s2
	s_delay_alu instid0(VALU_DEP_1) | instskip(SKIP_4) | instid1(VALU_DEP_2)
	v_bfi_b32 v16, 0x7fffffff, v16, v5
	v_dual_cndmask_b32 v11, v11, v7 :: v_dual_cndmask_b32 v10, v10, v6
	v_cmp_eq_f64_e32 vcc_lo, 0, v[4:5]
	v_dual_cndmask_b32 v14, v14, v30, s2 :: v_dual_cndmask_b32 v15, v15, v31, s2
	v_cmp_nge_f64_e64 s2, 0, v[6:7]
	v_dual_add_f64 v[10:11], 1.0, v[10:11] :: v_dual_cndmask_b32 v12, v14, v12, vcc_lo
	s_delay_alu instid0(VALU_DEP_3) | instskip(SKIP_1) | instid1(VALU_DEP_3)
	v_cndmask_b32_e32 v1, v15, v1, vcc_lo
	v_cmp_ngt_f64_e32 vcc_lo, 0, v[6:7]
	v_cndmask_b32_e64 v30, 0, v10, s2
	v_cmp_neq_f64_e64 s2, 0, v[6:7]
	v_cndmask_b32_e32 v11, 0x7ff80000, v11, vcc_lo
	s_and_b32 vcc_lo, s5, s3
	v_cndmask_b32_e32 v33, v1, v16, vcc_lo
	v_cndmask_b32_e32 v32, v12, v8, vcc_lo
	s_delay_alu instid0(VALU_DEP_3)
	v_cndmask_b32_e64 v31, 0xfff00000, v11, s2
.LBB167_134:                            ;   in Loop: Header=BB167_5 Depth=1
	s_or_b32 exec_lo, exec_lo, s4
.LBB167_135:                            ;   in Loop: Header=BB167_5 Depth=1
	s_and_not1_saveexec_b32 s2, s44
	s_cbranch_execz .LBB167_4
; %bb.136:                              ;   in Loop: Header=BB167_5 Depth=1
	v_cmp_ngt_f64_e64 s3, 0x20000000, |v[2:3]|
	v_cmp_ngt_f64_e64 s4, 0x20000000, |v[4:5]|
                                        ; implicit-def: $vgpr6_vgpr7
	s_or_b32 s3, s3, s4
	s_delay_alu instid0(SALU_CYCLE_1) | instskip(NEXT) | instid1(SALU_CYCLE_1)
	s_and_saveexec_b32 s4, s3
	s_xor_b32 s3, exec_lo, s4
	s_cbranch_execz .LBB167_138
; %bb.137:                              ;   in Loop: Header=BB167_5 Depth=1
	v_mul_f64_e32 v[6:7], v[4:5], v[4:5]
	s_delay_alu instid0(VALU_DEP_1)
	v_fmac_f64_e32 v[6:7], v[2:3], v[2:3]
.LBB167_138:                            ;   in Loop: Header=BB167_5 Depth=1
	s_and_not1_saveexec_b32 s3, s3
	s_cbranch_execz .LBB167_3
; %bb.139:                              ;   in Loop: Header=BB167_5 Depth=1
	v_mul_f64_e32 v[6:7], 4.0, v[4:5]
	v_mul_f64_e32 v[2:3], 4.0, v[2:3]
	s_delay_alu instid0(VALU_DEP_2) | instskip(NEXT) | instid1(VALU_DEP_1)
	v_mul_f64_e32 v[6:7], v[6:7], v[6:7]
	v_fmac_f64_e32 v[6:7], v[2:3], v[2:3]
	s_delay_alu instid0(VALU_DEP_1)
	v_ldexp_f64 v[6:7], v[6:7], -4
	s_branch .LBB167_3
.LBB167_140:
	s_or_b32 exec_lo, exec_lo, s13
	s_mov_b32 s2, 0
.LBB167_141:
	s_delay_alu instid0(SALU_CYCLE_1)
	s_and_not1_b32 vcc_lo, exec_lo, s2
	s_cbranch_vccnz .LBB167_297
; %bb.142:
	v_cmp_lt_i64_e64 s2, s[14:15], 1
	s_and_b32 vcc_lo, exec_lo, s2
	s_cbranch_vccnz .LBB167_297
; %bb.143:
	v_min_i64 v[34:35], 0x10000, s[14:15]
	v_min_u64 v[38:39], 0x10000, s[14:15]
	s_load_b32 s0, s[0:1], 0xc5c
	v_dual_mov_b32 v36, 0 :: v_dual_mov_b32 v69, 0x4002d97c
	v_mov_b64_e32 v[40:41], 0x3fc385386b47b09a
	v_mov_b64_e32 v[42:43], 0xbf23e260bd3237f4
	s_delay_alu instid0(VALU_DEP_3)
	v_dual_mov_b32 v68, 0x7f3321d2 :: v_dual_mov_b32 v1, v36
	s_mov_b32 s21, 0
	s_mov_b64 s[22:23], 0x7fd1ccf385ebc8a0
	s_mov_b64 s[24:25], 0x358dee7a4ad4b81f
	;; [unrolled: 1-line block ×5, first 2 shown]
	s_mov_b32 s35, s21
	s_mov_b32 s37, s21
	s_mov_b64 s[38:39], 0x3ff921fb54442d18
	s_mov_b64 s[40:41], 0x400921fb54442d18
	;; [unrolled: 1-line block ×5, first 2 shown]
	s_wait_kmcnt 0x0
	s_and_b32 s20, s0, 0xffff
	s_mov_b32 s49, s21
	s_lshl_b32 s34, s20, 1
	s_mul_i32 s36, s20, 3
	s_lshl_b32 s48, s20, 2
	s_mov_b64 s[50:51], 0
                                        ; implicit-def: $vgpr2_vgpr3
                                        ; implicit-def: $vgpr2_vgpr3
	;; [unrolled: 1-line block ×23, first 2 shown]
	s_branch .LBB167_145
.LBB167_144:                            ;   in Loop: Header=BB167_145 Depth=1
	s_wait_xcnt 0x0
	s_or_b32 exec_lo, exec_lo, s0
	s_add_nc_u64 s[50:51], s[50:51], s[48:49]
	s_delay_alu instid0(SALU_CYCLE_1)
	v_cmp_ge_i64_e32 vcc_lo, s[50:51], v[34:35]
	s_cbranch_vccnz .LBB167_297
.LBB167_145:                            ; =>This Loop Header: Depth=1
                                        ;     Child Loop BB167_164 Depth 2
                                        ;     Child Loop BB167_198 Depth 2
	;; [unrolled: 1-line block ×4, first 2 shown]
	v_add_nc_u64_e32 v[44:45], s[50:51], v[0:1]
	v_mov_b64_e32 v[4:5], 0
	v_mov_b64_e32 v[8:9], 0
	;; [unrolled: 1-line block ×3, first 2 shown]
	s_delay_alu instid0(VALU_DEP_4)
	v_cmp_lt_u64_e64 s0, v[44:45], v[38:39]
	s_and_saveexec_b32 s1, s0
	s_cbranch_execz .LBB167_147
; %bb.146:                              ;   in Loop: Header=BB167_145 Depth=1
	v_lshl_add_u64 v[2:3], v[44:45], 4, s[16:17]
	global_load_b128 v[6:9], v[2:3], off
.LBB167_147:                            ;   in Loop: Header=BB167_145 Depth=1
	s_wait_xcnt 0x0
	s_or_b32 exec_lo, exec_lo, s1
	v_add_nc_u64_e32 v[46:47], s[20:21], v[44:45]
	v_mov_b64_e32 v[2:3], 0
	s_delay_alu instid0(VALU_DEP_2)
	v_cmp_lt_u64_e64 s1, v[46:47], v[38:39]
	s_and_saveexec_b32 s2, s1
	s_cbranch_execz .LBB167_149
; %bb.148:                              ;   in Loop: Header=BB167_145 Depth=1
	v_lshl_add_u64 v[2:3], v[46:47], 4, s[16:17]
	global_load_b128 v[2:5], v[2:3], off
.LBB167_149:                            ;   in Loop: Header=BB167_145 Depth=1
	s_wait_xcnt 0x0
	s_or_b32 exec_lo, exec_lo, s2
	v_add_nc_u64_e32 v[48:49], s[34:35], v[44:45]
	v_mov_b64_e32 v[12:13], 0
	v_mov_b64_e32 v[16:17], 0
	;; [unrolled: 1-line block ×3, first 2 shown]
	s_delay_alu instid0(VALU_DEP_4)
	v_cmp_lt_u64_e64 s2, v[48:49], v[38:39]
	s_and_saveexec_b32 s3, s2
	s_cbranch_execz .LBB167_151
; %bb.150:                              ;   in Loop: Header=BB167_145 Depth=1
	v_lshl_add_u64 v[10:11], v[48:49], 4, s[16:17]
	global_load_b128 v[14:17], v[10:11], off
.LBB167_151:                            ;   in Loop: Header=BB167_145 Depth=1
	s_wait_xcnt 0x0
	s_or_b32 exec_lo, exec_lo, s3
	v_add_nc_u64_e32 v[50:51], s[36:37], v[44:45]
	v_mov_b64_e32 v[10:11], 0
	s_delay_alu instid0(VALU_DEP_2)
	v_cmp_lt_u64_e64 s3, v[50:51], v[38:39]
	s_and_saveexec_b32 s4, s3
	s_cbranch_execz .LBB167_153
; %bb.152:                              ;   in Loop: Header=BB167_145 Depth=1
	v_lshl_add_u64 v[10:11], v[50:51], 4, s[16:17]
	global_load_b128 v[10:13], v[10:11], off
.LBB167_153:                            ;   in Loop: Header=BB167_145 Depth=1
	s_wait_xcnt 0x0
	s_or_b32 exec_lo, exec_lo, s4
                                        ; implicit-def: $vgpr18_vgpr19
	s_delay_alu instid0(SALU_CYCLE_1)
	s_mov_b32 s4, exec_lo
	s_wait_loadcnt 0x0
	v_cmpx_o_f64_e32 v[6:7], v[8:9]
	s_xor_b32 s15, exec_lo, s4
	s_cbranch_execz .LBB167_181
; %bb.154:                              ;   in Loop: Header=BB167_145 Depth=1
	v_cmp_lt_f64_e64 s4, |v[6:7]|, |v[8:9]|
	v_and_b32_e32 v22, 0x7fffffff, v7
	v_and_b32_e32 v21, 0x7fffffff, v9
                                        ; implicit-def: $vgpr18_vgpr19
	s_mov_b32 s5, exec_lo
	s_delay_alu instid0(VALU_DEP_1) | instskip(SKIP_1) | instid1(VALU_DEP_1)
	v_dual_mov_b32 v20, v8 :: v_dual_cndmask_b32 v25, v21, v22, s4
	v_cndmask_b32_e64 v24, v8, v6, s4
	v_cmpx_nlt_f64_e32 s[22:23], v[24:25]
	s_xor_b32 s33, exec_lo, s5
	s_cbranch_execz .LBB167_178
; %bb.155:                              ;   in Loop: Header=BB167_145 Depth=1
	v_cndmask_b32_e64 v23, v22, v21, s4
	v_cndmask_b32_e64 v22, v6, v20, s4
                                        ; implicit-def: $vgpr18_vgpr19
	s_mov_b32 s5, exec_lo
	s_delay_alu instid0(VALU_DEP_1)
	v_cmpx_neq_f64_e32 1.0, v[22:23]
	s_xor_b32 s52, exec_lo, s5
	s_cbranch_execz .LBB167_171
; %bb.156:                              ;   in Loop: Header=BB167_145 Depth=1
	v_max_num_f64_e32 v[18:19], v[24:25], v[24:25]
	v_max_num_f64_e32 v[20:21], v[22:23], v[22:23]
	s_delay_alu instid0(VALU_DEP_1) | instskip(SKIP_1) | instid1(VALU_DEP_2)
	v_min_num_f64_e32 v[26:27], v[20:21], v[18:19]
	v_max_num_f64_e32 v[18:19], v[20:21], v[18:19]
	v_cmp_ngt_f64_e32 vcc_lo, s[24:25], v[26:27]
	s_delay_alu instid0(VALU_DEP_2) | instskip(SKIP_1) | instid1(SALU_CYCLE_1)
	v_cmp_nlt_f64_e64 s5, s[26:27], v[18:19]
                                        ; implicit-def: $vgpr18_vgpr19
	s_and_b32 s5, s5, vcc_lo
	s_and_saveexec_b32 s6, s5
	s_delay_alu instid0(SALU_CYCLE_1)
	s_xor_b32 s53, exec_lo, s6
	s_cbranch_execz .LBB167_168
; %bb.157:                              ;   in Loop: Header=BB167_145 Depth=1
                                        ; implicit-def: $vgpr18_vgpr19
	s_mov_b32 s5, exec_lo
	v_cmpx_le_f64_e32 1.0, v[22:23]
	s_xor_b32 s8, exec_lo, s5
	s_cbranch_execz .LBB167_159
; %bb.158:                              ;   in Loop: Header=BB167_145 Depth=1
	v_add_f64_e32 v[18:19], -1.0, v[22:23]
	v_add_f64_e32 v[20:21], 1.0, v[22:23]
	v_cmp_eq_f64_e64 s5, 0, v[8:9]
	v_cmp_class_f64_e64 s10, v[6:7], 0x204
	v_cmp_class_f64_e64 s9, v[8:9], 0x204
	s_delay_alu instid0(VALU_DEP_4) | instskip(NEXT) | instid1(VALU_DEP_1)
	v_mul_f64_e32 v[22:23], v[18:19], v[20:21]
	v_fmac_f64_e32 v[22:23], v[24:25], v[24:25]
	s_delay_alu instid0(VALU_DEP_1) | instskip(SKIP_2) | instid1(VALU_DEP_3)
	v_add_f64_e32 v[18:19], 1.0, v[22:23]
	v_cmp_nge_f64_e64 s6, -1.0, v[22:23]
	v_cmp_neq_f64_e64 s7, 0x7ff00000, v[22:23]
	v_frexp_mant_f64_e32 v[20:21], v[18:19]
	v_frexp_exp_i32_f64_e32 v26, v[18:19]
	v_add_f64_e32 v[24:25], -1.0, v[18:19]
	s_delay_alu instid0(VALU_DEP_3) | instskip(NEXT) | instid1(VALU_DEP_2)
	v_cmp_gt_f64_e32 vcc_lo, s[28:29], v[20:21]
	v_add_f64_e64 v[20:21], v[24:25], -v[18:19]
	v_add_f64_e64 v[24:25], v[22:23], -v[24:25]
	v_subrev_co_ci_u32_e64 v37, null, 0, v26, vcc_lo
	s_delay_alu instid0(VALU_DEP_3) | instskip(NEXT) | instid1(VALU_DEP_2)
	v_add_f64_e32 v[20:21], 1.0, v[20:21]
	v_sub_nc_u32_e32 v28, 0, v37
	s_delay_alu instid0(VALU_DEP_1) | instskip(NEXT) | instid1(VALU_DEP_3)
	v_ldexp_f64 v[18:19], v[18:19], v28
	v_add_f64_e32 v[20:21], v[24:25], v[20:21]
	s_delay_alu instid0(VALU_DEP_2) | instskip(SKIP_1) | instid1(VALU_DEP_3)
	v_add_f64_e32 v[26:27], 1.0, v[18:19]
	v_add_f64_e32 v[32:33], -1.0, v[18:19]
	v_ldexp_f64 v[20:21], v[20:21], v28
	s_delay_alu instid0(VALU_DEP_3) | instskip(NEXT) | instid1(VALU_DEP_3)
	v_add_f64_e32 v[24:25], -1.0, v[26:27]
	v_add_f64_e32 v[52:53], 1.0, v[32:33]
	s_delay_alu instid0(VALU_DEP_2) | instskip(NEXT) | instid1(VALU_DEP_2)
	v_add_f64_e64 v[24:25], v[18:19], -v[24:25]
	v_add_f64_e64 v[18:19], v[18:19], -v[52:53]
	s_delay_alu instid0(VALU_DEP_2) | instskip(NEXT) | instid1(VALU_DEP_2)
	v_add_f64_e32 v[24:25], v[20:21], v[24:25]
	v_add_f64_e32 v[18:19], v[20:21], v[18:19]
	s_delay_alu instid0(VALU_DEP_2) | instskip(NEXT) | instid1(VALU_DEP_2)
	v_add_f64_e32 v[28:29], v[26:27], v[24:25]
	v_add_f64_e32 v[52:53], v[32:33], v[18:19]
	s_delay_alu instid0(VALU_DEP_2) | instskip(SKIP_1) | instid1(VALU_DEP_2)
	v_rcp_f64_e32 v[30:31], v[28:29]
	v_add_f64_e64 v[26:27], v[28:29], -v[26:27]
	v_add_f64_e64 v[32:33], v[52:53], -v[32:33]
	s_delay_alu instid0(VALU_DEP_2) | instskip(NEXT) | instid1(VALU_DEP_2)
	v_add_f64_e64 v[24:25], v[24:25], -v[26:27]
	v_add_f64_e64 v[18:19], v[18:19], -v[32:33]
	s_delay_alu instid0(TRANS32_DEP_1) | instskip(NEXT) | instid1(VALU_DEP_1)
	v_fma_f64 v[54:55], -v[28:29], v[30:31], 1.0
	v_fmac_f64_e32 v[30:31], v[54:55], v[30:31]
	s_delay_alu instid0(VALU_DEP_1) | instskip(NEXT) | instid1(VALU_DEP_1)
	v_fma_f64 v[20:21], -v[28:29], v[30:31], 1.0
	v_fmac_f64_e32 v[30:31], v[20:21], v[30:31]
	s_delay_alu instid0(VALU_DEP_1) | instskip(NEXT) | instid1(VALU_DEP_1)
	v_mul_f64_e32 v[20:21], v[52:53], v[30:31]
	v_mul_f64_e32 v[54:55], v[28:29], v[20:21]
	s_delay_alu instid0(VALU_DEP_1) | instskip(NEXT) | instid1(VALU_DEP_1)
	v_fma_f64 v[26:27], v[20:21], v[28:29], -v[54:55]
	v_fmac_f64_e32 v[26:27], v[20:21], v[24:25]
	s_delay_alu instid0(VALU_DEP_1) | instskip(NEXT) | instid1(VALU_DEP_1)
	v_add_f64_e32 v[56:57], v[54:55], v[26:27]
	v_add_f64_e64 v[58:59], v[52:53], -v[56:57]
	v_add_f64_e64 v[32:33], v[56:57], -v[54:55]
	s_delay_alu instid0(VALU_DEP_2) | instskip(NEXT) | instid1(VALU_DEP_2)
	v_add_f64_e64 v[52:53], v[52:53], -v[58:59]
	v_add_f64_e64 v[26:27], v[32:33], -v[26:27]
	s_delay_alu instid0(VALU_DEP_2) | instskip(NEXT) | instid1(VALU_DEP_1)
	v_add_f64_e64 v[52:53], v[52:53], -v[56:57]
	v_add_f64_e32 v[18:19], v[18:19], v[52:53]
	s_delay_alu instid0(VALU_DEP_1) | instskip(NEXT) | instid1(VALU_DEP_1)
	v_add_f64_e32 v[18:19], v[26:27], v[18:19]
	v_add_f64_e32 v[26:27], v[58:59], v[18:19]
	s_delay_alu instid0(VALU_DEP_1) | instskip(SKIP_1) | instid1(VALU_DEP_2)
	v_mul_f64_e32 v[32:33], v[30:31], v[26:27]
	v_add_f64_e64 v[56:57], v[58:59], -v[26:27]
	v_mul_f64_e32 v[52:53], v[28:29], v[32:33]
	s_delay_alu instid0(VALU_DEP_2) | instskip(NEXT) | instid1(VALU_DEP_2)
	v_add_f64_e32 v[18:19], v[18:19], v[56:57]
	v_fma_f64 v[28:29], v[32:33], v[28:29], -v[52:53]
	s_delay_alu instid0(VALU_DEP_1) | instskip(NEXT) | instid1(VALU_DEP_1)
	v_fmac_f64_e32 v[28:29], v[32:33], v[24:25]
	v_add_f64_e32 v[24:25], v[52:53], v[28:29]
	s_delay_alu instid0(VALU_DEP_1) | instskip(SKIP_1) | instid1(VALU_DEP_2)
	v_add_f64_e64 v[54:55], v[26:27], -v[24:25]
	v_add_f64_e64 v[52:53], v[24:25], -v[52:53]
	;; [unrolled: 1-line block ×3, first 2 shown]
	s_delay_alu instid0(VALU_DEP_1) | instskip(NEXT) | instid1(VALU_DEP_3)
	v_add_f64_e64 v[24:25], v[26:27], -v[24:25]
	v_add_f64_e64 v[26:27], v[52:53], -v[28:29]
	v_max_num_f64_e64 v[28:29], |v[6:7]|, |v[6:7]|
	s_delay_alu instid0(VALU_DEP_3) | instskip(SKIP_1) | instid1(VALU_DEP_2)
	v_add_f64_e32 v[18:19], v[18:19], v[24:25]
	v_add_f64_e32 v[24:25], v[20:21], v[32:33]
	;; [unrolled: 1-line block ×3, first 2 shown]
	s_delay_alu instid0(VALU_DEP_2) | instskip(SKIP_1) | instid1(VALU_DEP_3)
	v_add_f64_e64 v[20:21], v[24:25], -v[20:21]
	v_max_num_f64_e64 v[26:27], |v[8:9]|, |v[8:9]|
	v_add_f64_e32 v[18:19], v[54:55], v[18:19]
	s_delay_alu instid0(VALU_DEP_3) | instskip(NEXT) | instid1(VALU_DEP_2)
	v_add_f64_e64 v[20:21], v[32:33], -v[20:21]
	v_mul_f64_e32 v[18:19], v[30:31], v[18:19]
	s_delay_alu instid0(VALU_DEP_1) | instskip(SKIP_2) | instid1(VALU_DEP_3)
	v_add_f64_e32 v[18:19], v[20:21], v[18:19]
	v_max_num_f64_e32 v[20:21], v[28:29], v[26:27]
	v_min_num_f64_e32 v[26:27], v[28:29], v[26:27]
	v_add_f64_e32 v[28:29], v[24:25], v[18:19]
	s_delay_alu instid0(VALU_DEP_2) | instskip(NEXT) | instid1(VALU_DEP_2)
	v_div_scale_f64 v[30:31], null, v[20:21], v[20:21], v[26:27]
	v_mul_f64_e32 v[32:33], v[28:29], v[28:29]
	v_add_f64_e64 v[24:25], v[28:29], -v[24:25]
	s_delay_alu instid0(VALU_DEP_3) | instskip(NEXT) | instid1(VALU_DEP_2)
	v_rcp_f64_e32 v[52:53], v[30:31]
	v_fmamk_f64 v[54:55], v[32:33], 0x3fc3ab76bf559e2b, v[40:41]
	v_mul_f64_e32 v[56:57], v[28:29], v[32:33]
	s_delay_alu instid0(VALU_DEP_3) | instskip(NEXT) | instid1(VALU_DEP_3)
	v_add_f64_e64 v[18:19], v[18:19], -v[24:25]
	v_fmaak_f64 v[54:55], v[32:33], v[54:55], 0x3fc7474dd7f4df2e
	s_delay_alu instid0(TRANS32_DEP_1) | instskip(NEXT) | instid1(VALU_DEP_2)
	v_fma_f64 v[58:59], -v[30:31], v[52:53], 1.0
	v_fmaak_f64 v[54:55], v[32:33], v[54:55], 0x3fcc71c016291751
	s_delay_alu instid0(VALU_DEP_1) | instskip(NEXT) | instid1(VALU_DEP_1)
	v_fmaak_f64 v[54:55], v[32:33], v[54:55], 0x3fd249249b27acf1
	v_fmaak_f64 v[54:55], v[32:33], v[54:55], 0x3fd99999998ef7b6
	v_ldexp_f64 v[18:19], v[18:19], 1
	s_delay_alu instid0(VALU_DEP_2) | instskip(SKIP_2) | instid1(VALU_DEP_3)
	v_fmaak_f64 v[32:33], v[32:33], v[54:55], 0x3fe5555555555780
	v_ldexp_f64 v[54:55], v[28:29], 1
	v_fmac_f64_e32 v[52:53], v[52:53], v[58:59]
	v_mul_f64_e32 v[32:33], v[56:57], v[32:33]
	v_cvt_f64_i32_e32 v[56:57], v37
	s_delay_alu instid0(VALU_DEP_3) | instskip(NEXT) | instid1(VALU_DEP_3)
	v_fma_f64 v[58:59], -v[30:31], v[52:53], 1.0
	v_add_f64_e32 v[28:29], v[54:55], v[32:33]
	s_delay_alu instid0(VALU_DEP_3) | instskip(NEXT) | instid1(VALU_DEP_3)
	v_mul_f64_e32 v[60:61], 0x3fe62e42fefa39ef, v[56:57]
	v_fmac_f64_e32 v[52:53], v[52:53], v[58:59]
	s_delay_alu instid0(VALU_DEP_3) | instskip(SKIP_1) | instid1(VALU_DEP_4)
	v_add_f64_e64 v[24:25], v[28:29], -v[54:55]
	v_div_scale_f64 v[54:55], vcc_lo, v[26:27], v[20:21], v[26:27]
	v_fma_f64 v[58:59], v[56:57], s[30:31], -v[60:61]
	s_delay_alu instid0(VALU_DEP_3) | instskip(NEXT) | instid1(VALU_DEP_3)
	v_add_f64_e64 v[24:25], v[32:33], -v[24:25]
	v_mul_f64_e32 v[32:33], v[54:55], v[52:53]
	s_delay_alu instid0(VALU_DEP_3) | instskip(NEXT) | instid1(VALU_DEP_3)
	v_fmac_f64_e32 v[58:59], 0x3c7abc9e3b39803f, v[56:57]
	v_add_f64_e32 v[18:19], v[18:19], v[24:25]
	s_delay_alu instid0(VALU_DEP_3) | instskip(NEXT) | instid1(VALU_DEP_3)
	v_fma_f64 v[24:25], -v[30:31], v[32:33], v[54:55]
	v_add_f64_e32 v[30:31], v[60:61], v[58:59]
	s_delay_alu instid0(VALU_DEP_3) | instskip(NEXT) | instid1(VALU_DEP_3)
	v_add_f64_e32 v[54:55], v[28:29], v[18:19]
	v_div_fmas_f64 v[24:25], v[24:25], v[52:53], v[32:33]
	v_cmp_gt_i32_e32 vcc_lo, 0, v7
	s_delay_alu instid0(VALU_DEP_4) | instskip(SKIP_1) | instid1(VALU_DEP_1)
	v_add_f64_e64 v[52:53], v[30:31], -v[60:61]
	v_cndmask_b32_e32 v6, 0x3fe921fb, v69, vcc_lo
	v_bfi_b32 v6, 0x7fffffff, v6, v9
	v_add_f64_e32 v[32:33], v[30:31], v[54:55]
	v_div_fixup_f64 v[20:21], v[24:25], v[20:21], v[26:27]
	v_add_f64_e64 v[28:29], v[54:55], -v[28:29]
	v_add_f64_e64 v[52:53], v[58:59], -v[52:53]
	s_delay_alu instid0(VALU_DEP_4) | instskip(NEXT) | instid1(VALU_DEP_4)
	v_add_f64_e64 v[24:25], v[32:33], -v[30:31]
	v_mul_f64_e32 v[26:27], v[20:21], v[20:21]
	s_delay_alu instid0(VALU_DEP_4) | instskip(NEXT) | instid1(VALU_DEP_3)
	v_add_f64_e64 v[18:19], v[18:19], -v[28:29]
	v_add_f64_e64 v[56:57], v[32:33], -v[24:25]
	s_delay_alu instid0(VALU_DEP_3) | instskip(SKIP_1) | instid1(VALU_DEP_4)
	v_fmamk_f64 v[60:61], v[26:27], 0x3eeba404b5e68a13, v[42:43]
	v_add_f64_e64 v[24:25], v[54:55], -v[24:25]
	v_add_f64_e32 v[54:55], v[52:53], v[18:19]
	s_delay_alu instid0(VALU_DEP_3) | instskip(SKIP_1) | instid1(VALU_DEP_2)
	v_fmaak_f64 v[60:61], v[26:27], v[60:61], 0x3f4b2bb069efb384
	v_add_f64_e64 v[28:29], v[30:31], -v[56:57]
	v_fmaak_f64 v[30:31], v[26:27], v[60:61], 0xbf67952daf56de9b
	s_delay_alu instid0(VALU_DEP_1) | instskip(NEXT) | instid1(VALU_DEP_1)
	v_fmaak_f64 v[30:31], v[26:27], v[30:31], 0x3f7d6d43a595c56f
	v_fmaak_f64 v[30:31], v[26:27], v[30:31], 0xbf8c6ea4a57d9582
	s_delay_alu instid0(VALU_DEP_1) | instskip(NEXT) | instid1(VALU_DEP_1)
	v_fmaak_f64 v[30:31], v[26:27], v[30:31], 0x3f967e295f08b19f
	v_fmaak_f64 v[30:31], v[26:27], v[30:31], 0xbf9e9ae6fc27006a
	v_add_f64_e32 v[24:25], v[24:25], v[28:29]
	s_delay_alu instid0(VALU_DEP_2) | instskip(SKIP_1) | instid1(VALU_DEP_2)
	v_fmaak_f64 v[28:29], v[26:27], v[30:31], 0x3fa2c15b5711927a
	v_add_f64_e64 v[30:31], v[54:55], -v[52:53]
	v_fmaak_f64 v[28:29], v[26:27], v[28:29], 0xbfa59976e82d3ff0
	s_delay_alu instid0(VALU_DEP_1) | instskip(NEXT) | instid1(VALU_DEP_1)
	v_fmaak_f64 v[28:29], v[26:27], v[28:29], 0x3fa82d5d6ef28734
	v_fmaak_f64 v[28:29], v[26:27], v[28:29], 0xbfaae5ce6a214619
	s_delay_alu instid0(VALU_DEP_1) | instskip(SKIP_3) | instid1(VALU_DEP_4)
	v_fmaak_f64 v[28:29], v[26:27], v[28:29], 0x3fae1bb48427b883
	v_add_f64_e32 v[24:25], v[54:55], v[24:25]
	v_add_f64_e64 v[54:55], v[54:55], -v[30:31]
	v_add_f64_e64 v[18:19], v[18:19], -v[30:31]
	v_fmaak_f64 v[28:29], v[26:27], v[28:29], 0xbfb110e48b207f05
	s_delay_alu instid0(VALU_DEP_1) | instskip(NEXT) | instid1(VALU_DEP_1)
	v_fmaak_f64 v[28:29], v[26:27], v[28:29], 0x3fb3b13657b87036
	v_fmaak_f64 v[28:29], v[26:27], v[28:29], 0xbfb745d119378e4f
	s_delay_alu instid0(VALU_DEP_1) | instskip(SKIP_1) | instid1(VALU_DEP_2)
	v_fmaak_f64 v[28:29], v[26:27], v[28:29], 0x3fbc71c717e1913c
	v_add_f64_e32 v[56:57], v[32:33], v[24:25]
	v_fmaak_f64 v[28:29], v[26:27], v[28:29], 0xbfc2492492376b7d
	s_delay_alu instid0(VALU_DEP_1) | instskip(NEXT) | instid1(VALU_DEP_1)
	v_fmaak_f64 v[28:29], v[26:27], v[28:29], 0x3fc99999999952cc
	v_fmaak_f64 v[28:29], v[26:27], v[28:29], 0xbfd5555555555523
	s_delay_alu instid0(VALU_DEP_1) | instskip(SKIP_2) | instid1(VALU_DEP_3)
	v_mul_f64_e32 v[26:27], v[26:27], v[28:29]
	v_add_f64_e64 v[28:29], v[52:53], -v[54:55]
	v_add_f64_e64 v[30:31], v[56:57], -v[32:33]
	v_fmac_f64_e32 v[20:21], v[20:21], v[26:27]
	s_delay_alu instid0(VALU_DEP_3) | instskip(NEXT) | instid1(VALU_DEP_3)
	v_add_f64_e32 v[18:19], v[18:19], v[28:29]
	v_add_f64_e64 v[24:25], v[24:25], -v[30:31]
	s_delay_alu instid0(VALU_DEP_3) | instskip(NEXT) | instid1(VALU_DEP_1)
	v_add_f64_e64 v[26:27], -v[20:21], s[38:39]
	v_dual_add_f64 v[18:19], v[18:19], v[24:25] :: v_dual_cndmask_b32 v21, v21, v27, s4
	s_delay_alu instid0(VALU_DEP_2) | instskip(SKIP_1) | instid1(VALU_DEP_2)
	v_dual_cndmask_b32 v20, v20, v26, s4 :: v_dual_ashrrev_i32 v26, 31, v7
	v_cndmask_b32_e32 v27, 0x54442d18, v68, vcc_lo
	v_add_f64_e64 v[24:25], -v[20:21], s[40:41]
	s_delay_alu instid0(VALU_DEP_3) | instskip(SKIP_2) | instid1(VALU_DEP_4)
	v_and_b32_e32 v28, 0x54442d18, v26
	v_and_b32_e32 v7, 0x400921fb, v26
	v_add_f64_e32 v[18:19], v[56:57], v[18:19]
	v_dual_cndmask_b32 v20, v20, v24 :: v_dual_cndmask_b32 v21, v21, v25
	v_cmp_ngt_f64_e32 vcc_lo, -1.0, v[22:23]
	s_delay_alu instid0(VALU_DEP_3) | instskip(NEXT) | instid1(VALU_DEP_3)
	v_mul_f64_e32 v[18:19], 0.5, v[18:19]
                                        ; implicit-def: $vgpr24_vgpr25
	v_dual_cndmask_b32 v20, v20, v28, s5 :: v_dual_cndmask_b32 v7, v21, v7, s5
	s_and_b32 s5, s6, s7
	s_delay_alu instid0(VALU_DEP_2) | instid1(SALU_CYCLE_1)
	v_cndmask_b32_e64 v18, 0, v18, s5
	v_cmp_neq_f64_e64 s5, -1.0, v[22:23]
	s_delay_alu instid0(VALU_DEP_4) | instskip(NEXT) | instid1(VALU_DEP_1)
	v_cndmask_b32_e64 v19, 0x7ff00000, v19, s7
                                        ; implicit-def: $vgpr22_vgpr23
	v_cndmask_b32_e32 v19, 0x7ff80000, v19, vcc_lo
	s_and_b32 vcc_lo, s9, s10
	v_dual_cndmask_b32 v21, v7, v6 :: v_dual_cndmask_b32 v20, v20, v27
	s_delay_alu instid0(VALU_DEP_2)
	v_cndmask_b32_e64 v19, 0xfff00000, v19, s5
.LBB167_159:                            ;   in Loop: Header=BB167_145 Depth=1
	s_and_not1_saveexec_b32 s54, s8
	s_cbranch_execz .LBB167_167
; %bb.160:                              ;   in Loop: Header=BB167_145 Depth=1
	v_mul_f64_e32 v[20:21], v[24:25], v[24:25]
                                        ; implicit-def: $vgpr18_vgpr19
	s_mov_b32 s5, exec_lo
	s_delay_alu instid0(VALU_DEP_1) | instskip(NEXT) | instid1(VALU_DEP_1)
	v_fmac_f64_e32 v[20:21], v[22:23], v[22:23]
	v_cmpx_ge_f64_e32 s[42:43], v[20:21]
	s_xor_b32 s7, exec_lo, s5
	s_cbranch_execz .LBB167_162
; %bb.161:                              ;   in Loop: Header=BB167_145 Depth=1
	v_frexp_mant_f64_e32 v[18:19], v[20:21]
	v_cmp_eq_f64_e64 s5, 0, v[8:9]
	v_frexp_exp_i32_f64_e32 v37, v[20:21]
	v_cmp_neq_f64_e64 s6, 0, v[20:21]
	v_cmp_class_f64_e64 s8, v[8:9], 0x204
	v_cmp_class_f64_e64 s9, v[6:7], 0x204
	v_cmp_gt_f64_e32 vcc_lo, s[28:29], v[18:19]
	v_cndmask_b32_e64 v22, 0, 1, vcc_lo
	v_subrev_co_ci_u32_e64 v37, null, 0, v37, vcc_lo
	s_delay_alu instid0(VALU_DEP_2) | instskip(NEXT) | instid1(VALU_DEP_1)
	v_ldexp_f64 v[18:19], v[18:19], v22
	v_add_f64_e32 v[22:23], 1.0, v[18:19]
	v_add_f64_e32 v[28:29], -1.0, v[18:19]
	s_delay_alu instid0(VALU_DEP_2) | instskip(SKIP_1) | instid1(VALU_DEP_1)
	v_rcp_f64_e32 v[24:25], v[22:23]
	v_add_f64_e32 v[30:31], -1.0, v[22:23]
	v_add_f64_e64 v[18:19], v[18:19], -v[30:31]
	s_delay_alu instid0(TRANS32_DEP_1) | instskip(NEXT) | instid1(VALU_DEP_1)
	v_fma_f64 v[26:27], -v[22:23], v[24:25], 1.0
	v_fmac_f64_e32 v[24:25], v[26:27], v[24:25]
	s_delay_alu instid0(VALU_DEP_1) | instskip(NEXT) | instid1(VALU_DEP_1)
	v_fma_f64 v[26:27], -v[22:23], v[24:25], 1.0
	v_fmac_f64_e32 v[24:25], v[26:27], v[24:25]
	s_delay_alu instid0(VALU_DEP_1) | instskip(NEXT) | instid1(VALU_DEP_1)
	v_mul_f64_e32 v[26:27], v[28:29], v[24:25]
	v_mul_f64_e32 v[32:33], v[22:23], v[26:27]
	s_delay_alu instid0(VALU_DEP_1) | instskip(NEXT) | instid1(VALU_DEP_1)
	v_fma_f64 v[22:23], v[26:27], v[22:23], -v[32:33]
	v_fmac_f64_e32 v[22:23], v[26:27], v[18:19]
	s_delay_alu instid0(VALU_DEP_1) | instskip(NEXT) | instid1(VALU_DEP_1)
	v_add_f64_e32 v[18:19], v[32:33], v[22:23]
	v_add_f64_e64 v[30:31], v[28:29], -v[18:19]
	v_add_f64_e64 v[32:33], v[18:19], -v[32:33]
	s_delay_alu instid0(VALU_DEP_2) | instskip(NEXT) | instid1(VALU_DEP_2)
	v_add_f64_e64 v[28:29], v[28:29], -v[30:31]
	v_add_f64_e64 v[22:23], v[32:33], -v[22:23]
	s_delay_alu instid0(VALU_DEP_2) | instskip(SKIP_1) | instid1(VALU_DEP_2)
	v_add_f64_e64 v[18:19], v[28:29], -v[18:19]
	v_max_num_f64_e64 v[28:29], |v[6:7]|, |v[6:7]|
	v_add_f64_e32 v[18:19], v[22:23], v[18:19]
	v_max_num_f64_e64 v[22:23], |v[8:9]|, |v[8:9]|
	s_delay_alu instid0(VALU_DEP_2) | instskip(NEXT) | instid1(VALU_DEP_1)
	v_add_f64_e32 v[18:19], v[30:31], v[18:19]
	v_mul_f64_e32 v[18:19], v[24:25], v[18:19]
	s_delay_alu instid0(VALU_DEP_3) | instskip(SKIP_1) | instid1(VALU_DEP_3)
	v_max_num_f64_e32 v[24:25], v[28:29], v[22:23]
	v_min_num_f64_e32 v[22:23], v[28:29], v[22:23]
	v_add_f64_e32 v[28:29], v[26:27], v[18:19]
	s_delay_alu instid0(VALU_DEP_2) | instskip(NEXT) | instid1(VALU_DEP_2)
	v_div_scale_f64 v[30:31], null, v[24:25], v[24:25], v[22:23]
	v_mul_f64_e32 v[32:33], v[28:29], v[28:29]
	v_add_f64_e64 v[26:27], v[28:29], -v[26:27]
	s_delay_alu instid0(VALU_DEP_3) | instskip(NEXT) | instid1(VALU_DEP_2)
	v_rcp_f64_e32 v[52:53], v[30:31]
	v_fmamk_f64 v[54:55], v[32:33], 0x3fc3ab76bf559e2b, v[40:41]
	v_mul_f64_e32 v[56:57], v[28:29], v[32:33]
	s_delay_alu instid0(VALU_DEP_3) | instskip(NEXT) | instid1(VALU_DEP_3)
	v_add_f64_e64 v[18:19], v[18:19], -v[26:27]
	v_fmaak_f64 v[54:55], v[32:33], v[54:55], 0x3fc7474dd7f4df2e
	s_delay_alu instid0(TRANS32_DEP_1) | instskip(NEXT) | instid1(VALU_DEP_2)
	v_fma_f64 v[58:59], -v[30:31], v[52:53], 1.0
	v_fmaak_f64 v[54:55], v[32:33], v[54:55], 0x3fcc71c016291751
	s_delay_alu instid0(VALU_DEP_1) | instskip(NEXT) | instid1(VALU_DEP_1)
	v_fmaak_f64 v[54:55], v[32:33], v[54:55], 0x3fd249249b27acf1
	v_fmaak_f64 v[54:55], v[32:33], v[54:55], 0x3fd99999998ef7b6
	v_ldexp_f64 v[18:19], v[18:19], 1
	s_delay_alu instid0(VALU_DEP_2) | instskip(SKIP_2) | instid1(VALU_DEP_3)
	v_fmaak_f64 v[32:33], v[32:33], v[54:55], 0x3fe5555555555780
	v_ldexp_f64 v[54:55], v[28:29], 1
	v_fmac_f64_e32 v[52:53], v[52:53], v[58:59]
	v_mul_f64_e32 v[32:33], v[56:57], v[32:33]
	v_cvt_f64_i32_e32 v[56:57], v37
	s_delay_alu instid0(VALU_DEP_3) | instskip(NEXT) | instid1(VALU_DEP_3)
	v_fma_f64 v[58:59], -v[30:31], v[52:53], 1.0
	v_add_f64_e32 v[28:29], v[54:55], v[32:33]
	s_delay_alu instid0(VALU_DEP_3) | instskip(NEXT) | instid1(VALU_DEP_3)
	v_mul_f64_e32 v[60:61], 0x3fe62e42fefa39ef, v[56:57]
	v_fmac_f64_e32 v[52:53], v[52:53], v[58:59]
	s_delay_alu instid0(VALU_DEP_3) | instskip(SKIP_1) | instid1(VALU_DEP_4)
	v_add_f64_e64 v[26:27], v[28:29], -v[54:55]
	v_div_scale_f64 v[54:55], vcc_lo, v[22:23], v[24:25], v[22:23]
	v_fma_f64 v[58:59], v[56:57], s[30:31], -v[60:61]
	s_delay_alu instid0(VALU_DEP_3) | instskip(NEXT) | instid1(VALU_DEP_3)
	v_add_f64_e64 v[26:27], v[32:33], -v[26:27]
	v_mul_f64_e32 v[32:33], v[54:55], v[52:53]
	s_delay_alu instid0(VALU_DEP_3) | instskip(NEXT) | instid1(VALU_DEP_3)
	v_fmac_f64_e32 v[58:59], 0x3c7abc9e3b39803f, v[56:57]
	v_add_f64_e32 v[18:19], v[18:19], v[26:27]
	s_delay_alu instid0(VALU_DEP_3) | instskip(NEXT) | instid1(VALU_DEP_3)
	v_fma_f64 v[26:27], -v[30:31], v[32:33], v[54:55]
	v_add_f64_e32 v[30:31], v[60:61], v[58:59]
	s_delay_alu instid0(VALU_DEP_3) | instskip(NEXT) | instid1(VALU_DEP_3)
	v_add_f64_e32 v[54:55], v[28:29], v[18:19]
	v_div_fmas_f64 v[26:27], v[26:27], v[52:53], v[32:33]
	v_cmp_gt_i32_e32 vcc_lo, 0, v7
	s_delay_alu instid0(VALU_DEP_4) | instskip(NEXT) | instid1(VALU_DEP_4)
	v_add_f64_e64 v[52:53], v[30:31], -v[60:61]
	v_add_f64_e32 v[32:33], v[30:31], v[54:55]
	s_delay_alu instid0(VALU_DEP_4) | instskip(SKIP_1) | instid1(VALU_DEP_4)
	v_div_fixup_f64 v[22:23], v[26:27], v[24:25], v[22:23]
	v_add_f64_e64 v[28:29], v[54:55], -v[28:29]
	v_add_f64_e64 v[52:53], v[58:59], -v[52:53]
	s_delay_alu instid0(VALU_DEP_4) | instskip(NEXT) | instid1(VALU_DEP_4)
	v_add_f64_e64 v[24:25], v[32:33], -v[30:31]
	v_mul_f64_e32 v[26:27], v[22:23], v[22:23]
	s_delay_alu instid0(VALU_DEP_4) | instskip(NEXT) | instid1(VALU_DEP_3)
	v_add_f64_e64 v[18:19], v[18:19], -v[28:29]
	v_add_f64_e64 v[56:57], v[32:33], -v[24:25]
	s_delay_alu instid0(VALU_DEP_3) | instskip(SKIP_1) | instid1(VALU_DEP_4)
	v_fmamk_f64 v[60:61], v[26:27], 0x3eeba404b5e68a13, v[42:43]
	v_add_f64_e64 v[24:25], v[54:55], -v[24:25]
	v_add_f64_e32 v[54:55], v[52:53], v[18:19]
	s_delay_alu instid0(VALU_DEP_3) | instskip(NEXT) | instid1(VALU_DEP_1)
	v_fmaak_f64 v[60:61], v[26:27], v[60:61], 0x3f4b2bb069efb384
	v_fmaak_f64 v[60:61], v[26:27], v[60:61], 0xbf67952daf56de9b
	v_add_f64_e64 v[28:29], v[30:31], -v[56:57]
	s_delay_alu instid0(VALU_DEP_2) | instskip(NEXT) | instid1(VALU_DEP_1)
	v_fmaak_f64 v[30:31], v[26:27], v[60:61], 0x3f7d6d43a595c56f
	v_fmaak_f64 v[30:31], v[26:27], v[30:31], 0xbf8c6ea4a57d9582
	s_delay_alu instid0(VALU_DEP_1) | instskip(NEXT) | instid1(VALU_DEP_1)
	v_fmaak_f64 v[30:31], v[26:27], v[30:31], 0x3f967e295f08b19f
	v_fmaak_f64 v[30:31], v[26:27], v[30:31], 0xbf9e9ae6fc27006a
	s_delay_alu instid0(VALU_DEP_1) | instskip(SKIP_1) | instid1(VALU_DEP_2)
	v_fmaak_f64 v[30:31], v[26:27], v[30:31], 0x3fa2c15b5711927a
	v_add_f64_e32 v[24:25], v[24:25], v[28:29]
	v_fmaak_f64 v[28:29], v[26:27], v[30:31], 0xbfa59976e82d3ff0
	v_add_f64_e64 v[30:31], v[54:55], -v[52:53]
	s_delay_alu instid0(VALU_DEP_2) | instskip(NEXT) | instid1(VALU_DEP_1)
	v_fmaak_f64 v[28:29], v[26:27], v[28:29], 0x3fa82d5d6ef28734
	v_fmaak_f64 v[28:29], v[26:27], v[28:29], 0xbfaae5ce6a214619
	s_delay_alu instid0(VALU_DEP_1) | instskip(NEXT) | instid1(VALU_DEP_1)
	v_fmaak_f64 v[28:29], v[26:27], v[28:29], 0x3fae1bb48427b883
	v_fmaak_f64 v[28:29], v[26:27], v[28:29], 0xbfb110e48b207f05
	v_add_f64_e32 v[24:25], v[54:55], v[24:25]
	v_add_f64_e64 v[54:55], v[54:55], -v[30:31]
	v_add_f64_e64 v[18:19], v[18:19], -v[30:31]
	s_delay_alu instid0(VALU_DEP_4) | instskip(NEXT) | instid1(VALU_DEP_1)
	v_fmaak_f64 v[28:29], v[26:27], v[28:29], 0x3fb3b13657b87036
	v_fmaak_f64 v[28:29], v[26:27], v[28:29], 0xbfb745d119378e4f
	s_delay_alu instid0(VALU_DEP_1) | instskip(NEXT) | instid1(VALU_DEP_1)
	v_fmaak_f64 v[28:29], v[26:27], v[28:29], 0x3fbc71c717e1913c
	v_fmaak_f64 v[28:29], v[26:27], v[28:29], 0xbfc2492492376b7d
	v_add_f64_e32 v[56:57], v[32:33], v[24:25]
	s_delay_alu instid0(VALU_DEP_2) | instskip(NEXT) | instid1(VALU_DEP_1)
	v_fmaak_f64 v[28:29], v[26:27], v[28:29], 0x3fc99999999952cc
	v_fmaak_f64 v[28:29], v[26:27], v[28:29], 0xbfd5555555555523
	s_delay_alu instid0(VALU_DEP_1) | instskip(SKIP_2) | instid1(VALU_DEP_3)
	v_mul_f64_e32 v[26:27], v[26:27], v[28:29]
	v_add_f64_e64 v[28:29], v[52:53], -v[54:55]
	v_add_f64_e64 v[30:31], v[56:57], -v[32:33]
	v_fmac_f64_e32 v[22:23], v[22:23], v[26:27]
	s_delay_alu instid0(VALU_DEP_3) | instskip(NEXT) | instid1(VALU_DEP_3)
	v_add_f64_e32 v[18:19], v[18:19], v[28:29]
	v_add_f64_e64 v[24:25], v[24:25], -v[30:31]
	s_delay_alu instid0(VALU_DEP_3) | instskip(NEXT) | instid1(VALU_DEP_2)
	v_add_f64_e64 v[26:27], -v[22:23], s[38:39]
	v_add_f64_e32 v[18:19], v[18:19], v[24:25]
	s_delay_alu instid0(VALU_DEP_2) | instskip(SKIP_1) | instid1(VALU_DEP_2)
	v_dual_cndmask_b32 v23, v23, v27, s4 :: v_dual_cndmask_b32 v22, v22, v26, s4
	v_dual_cndmask_b32 v27, 0x54442d18, v68 :: v_dual_ashrrev_i32 v26, 31, v7
	v_add_f64_e64 v[24:25], -v[22:23], s[40:41]
	s_delay_alu instid0(VALU_DEP_2) | instskip(NEXT) | instid1(VALU_DEP_2)
	v_and_b32_e32 v28, 0x54442d18, v26
	v_dual_add_f64 v[18:19], v[56:57], v[18:19] :: v_dual_cndmask_b32 v22, v22, v24, vcc_lo
	s_delay_alu instid0(VALU_DEP_3) | instskip(NEXT) | instid1(VALU_DEP_2)
	v_cndmask_b32_e32 v20, v23, v25, vcc_lo
                                        ; implicit-def: $vgpr24_vgpr25
	v_dual_mul_f64 v[6:7], 0.5, v[18:19] :: v_dual_cndmask_b32 v22, v22, v28, s5
	v_cndmask_b32_e32 v18, 0x3fe921fb, v69, vcc_lo
	v_and_b32_e32 v19, 0x400921fb, v26
	s_and_b32 vcc_lo, s8, s9
	s_delay_alu instid0(VALU_DEP_2) | instskip(NEXT) | instid1(VALU_DEP_2)
	v_bfi_b32 v18, 0x7fffffff, v18, v9
	v_cndmask_b32_e64 v19, v20, v19, s5
	v_cndmask_b32_e32 v20, v22, v27, vcc_lo
                                        ; implicit-def: $vgpr22_vgpr23
	s_delay_alu instid0(VALU_DEP_2)
	v_cndmask_b32_e32 v21, v19, v18, vcc_lo
	v_cndmask_b32_e64 v19, 0xfff00000, v7, s6
	v_cndmask_b32_e64 v18, 0, v6, s6
.LBB167_162:                            ;   in Loop: Header=BB167_145 Depth=1
	s_and_not1_saveexec_b32 s55, s7
	s_cbranch_execz .LBB167_166
; %bb.163:                              ;   in Loop: Header=BB167_145 Depth=1
	v_and_b32_e32 v37, 0x7ffffff8, v23
	v_and_b32_e32 v21, 0x7ffffff8, v25
	v_dual_mov_b32 v20, v36 :: v_dual_mov_b32 v26, v36
	s_delay_alu instid0(VALU_DEP_3) | instskip(SKIP_1) | instid1(VALU_DEP_2)
	v_dual_add_f64 v[18:19], v[22:23], -v[36:37] :: v_dual_mov_b32 v28, v36
	s_mov_b32 s56, 0
	v_add_f64_e64 v[22:23], v[24:25], -v[20:21]
	v_add_f64_e32 v[56:57], v[20:21], v[20:21]
	s_delay_alu instid0(VALU_DEP_3) | instskip(NEXT) | instid1(VALU_DEP_3)
	v_dual_mul_f64 v[24:25], v[20:21], v[20:21] :: v_dual_bitop2_b32 v27, -8, v19 bitop3:0x40
	v_dual_add_f64 v[30:31], v[36:37], v[36:37] :: v_dual_bitop2_b32 v29, -8, v23 bitop3:0x40
	s_delay_alu instid0(VALU_DEP_2) | instskip(SKIP_1) | instid1(VALU_DEP_3)
	v_add_f64_e64 v[58:59], v[18:19], -v[26:27]
	v_add_f64_e32 v[62:63], v[26:27], v[26:27]
	v_add_f64_e64 v[60:61], v[22:23], -v[28:29]
	v_add_f64_e32 v[64:65], v[28:29], v[28:29]
	v_mul_f64_e32 v[18:19], v[36:37], v[36:37]
	v_mul_f64_e32 v[22:23], v[56:57], v[28:29]
	v_mul_f64_e32 v[52:53], v[26:27], v[26:27]
	v_mul_f64_e32 v[20:21], v[28:29], v[28:29]
	v_mul_f64_e32 v[54:55], v[30:31], v[26:27]
	v_mul_f64_e32 v[32:33], v[30:31], v[58:59]
	v_mul_f64_e32 v[28:29], v[62:63], v[58:59]
	v_mul_f64_e32 v[30:31], v[56:57], v[60:61]
	v_mul_f64_e32 v[26:27], v[64:65], v[60:61]
	v_mul_f64_e32 v[56:57], v[58:59], v[58:59]
	v_mul_f64_e32 v[58:59], v[60:61], v[60:61]
.LBB167_164:                            ;   Parent Loop BB167_145 Depth=1
                                        ; =>  This Inner Loop Header: Depth=2
	v_cmp_nlt_f64_e32 vcc_lo, v[18:19], v[24:25]
	v_dual_cndmask_b32 v61, v19, v25 :: v_dual_cndmask_b32 v60, v18, v24
	v_dual_cndmask_b32 v19, v25, v19 :: v_dual_cndmask_b32 v18, v24, v18
	s_delay_alu instid0(VALU_DEP_2) | instskip(NEXT) | instid1(VALU_DEP_1)
	v_cmp_nlt_f64_e64 s5, v[60:61], v[54:55]
	v_dual_cndmask_b32 v63, v61, v55, s5 :: v_dual_cndmask_b32 v62, v60, v54, s5
	v_dual_cndmask_b32 v25, v55, v61, s5 :: v_dual_cndmask_b32 v24, v54, v60, s5
	s_and_b32 s5, vcc_lo, s5
	s_delay_alu instid0(VALU_DEP_2) | instskip(NEXT) | instid1(VALU_DEP_1)
	v_cmp_nlt_f64_e64 s6, v[62:63], v[22:23]
	v_dual_cndmask_b32 v65, v63, v23, s6 :: v_dual_cndmask_b32 v64, v62, v22, s6
	v_dual_cndmask_b32 v55, v23, v63, s6 :: v_dual_cndmask_b32 v54, v22, v62, s6
	s_delay_alu instid0(VALU_DEP_2) | instskip(NEXT) | instid1(VALU_DEP_1)
	v_cmp_nlt_f64_e64 s7, v[64:65], v[52:53]
	v_dual_cndmask_b32 v67, v65, v53, s7 :: v_dual_cndmask_b32 v66, v64, v52, s7
	v_dual_cndmask_b32 v23, v53, v65, s7 :: v_dual_cndmask_b32 v22, v52, v64, s7
	s_and_b32 s6, s6, s7
	s_delay_alu instid0(VALU_DEP_2) | instskip(NEXT) | instid1(VALU_DEP_1)
	v_cmp_nlt_f64_e64 s8, v[66:67], v[20:21]
	v_dual_cndmask_b32 v71, v67, v21, s8 :: v_dual_cndmask_b32 v70, v66, v20, s8
	v_dual_cndmask_b32 v53, v21, v67, s8 :: v_dual_cndmask_b32 v52, v20, v66, s8
	s_delay_alu instid0(VALU_DEP_2) | instskip(NEXT) | instid1(VALU_DEP_1)
	v_cmp_nlt_f64_e64 s9, v[70:71], v[32:33]
	v_dual_cndmask_b32 v73, v71, v33, s9 :: v_dual_cndmask_b32 v72, v70, v32, s9
	s_and_b32 s7, s8, s9
	v_dual_cndmask_b32 v21, v33, v71, s9 :: v_dual_cndmask_b32 v20, v32, v70, s9
	s_delay_alu instid0(VALU_DEP_2) | instskip(NEXT) | instid1(VALU_DEP_1)
	v_cmp_nlt_f64_e64 s10, v[72:73], v[30:31]
	v_dual_cndmask_b32 v75, v73, v31, s10 :: v_dual_cndmask_b32 v74, v72, v30, s10
	s_and_b32 s7, s7, s10
	;; [unrolled: 5-line block ×6, first 2 shown]
	v_dual_cndmask_b32 v57, v59, v81, s14 :: v_dual_cndmask_b32 v56, v58, v80, s14
	s_and_b32 s6, s7, s6
	s_delay_alu instid0(VALU_DEP_2) | instskip(SKIP_1) | instid1(SALU_CYCLE_1)
	v_mov_b64_e32 v[58:59], v[60:61]
	s_and_b32 s5, s6, s5
	s_and_b32 s5, exec_lo, s5
	s_delay_alu instid0(SALU_CYCLE_1) | instskip(NEXT) | instid1(SALU_CYCLE_1)
	s_or_b32 s56, s5, s56
	s_and_not1_b32 exec_lo, exec_lo, s56
	s_cbranch_execnz .LBB167_164
; %bb.165:                              ;   in Loop: Header=BB167_145 Depth=1
	s_or_b32 exec_lo, exec_lo, s56
	v_add_f64_e32 v[18:19], -1.0, v[18:19]
	v_cmp_eq_f64_e64 s5, 0, v[8:9]
	v_cmp_class_f64_e64 s9, v[6:7], 0x204
	v_cmp_class_f64_e64 s8, v[8:9], 0x204
	s_delay_alu instid0(VALU_DEP_4) | instskip(NEXT) | instid1(VALU_DEP_1)
	v_add_f64_e32 v[18:19], v[18:19], v[24:25]
	v_add_f64_e32 v[18:19], v[18:19], v[54:55]
	s_delay_alu instid0(VALU_DEP_1) | instskip(NEXT) | instid1(VALU_DEP_1)
	v_add_f64_e32 v[18:19], v[18:19], v[22:23]
	v_add_f64_e32 v[18:19], v[18:19], v[52:53]
	s_delay_alu instid0(VALU_DEP_1) | instskip(NEXT) | instid1(VALU_DEP_1)
	;; [unrolled: 3-line block ×5, first 2 shown]
	v_add_f64_e32 v[22:23], v[60:61], v[18:19]
	v_add_f64_e32 v[18:19], 1.0, v[22:23]
	v_cmp_nge_f64_e64 s6, -1.0, v[22:23]
	v_cmp_neq_f64_e64 s7, 0x7ff00000, v[22:23]
	s_delay_alu instid0(VALU_DEP_3) | instskip(SKIP_2) | instid1(VALU_DEP_3)
	v_frexp_mant_f64_e32 v[20:21], v[18:19]
	v_frexp_exp_i32_f64_e32 v26, v[18:19]
	v_add_f64_e32 v[24:25], -1.0, v[18:19]
	v_cmp_gt_f64_e32 vcc_lo, s[28:29], v[20:21]
	s_delay_alu instid0(VALU_DEP_2) | instskip(SKIP_2) | instid1(VALU_DEP_3)
	v_add_f64_e64 v[20:21], v[24:25], -v[18:19]
	v_add_f64_e64 v[24:25], v[22:23], -v[24:25]
	v_subrev_co_ci_u32_e64 v37, null, 0, v26, vcc_lo
	v_add_f64_e32 v[20:21], 1.0, v[20:21]
	s_delay_alu instid0(VALU_DEP_2) | instskip(NEXT) | instid1(VALU_DEP_1)
	v_sub_nc_u32_e32 v28, 0, v37
	v_ldexp_f64 v[18:19], v[18:19], v28
	s_delay_alu instid0(VALU_DEP_3) | instskip(NEXT) | instid1(VALU_DEP_2)
	v_add_f64_e32 v[20:21], v[24:25], v[20:21]
	v_add_f64_e32 v[26:27], 1.0, v[18:19]
	v_add_f64_e32 v[32:33], -1.0, v[18:19]
	s_delay_alu instid0(VALU_DEP_3) | instskip(NEXT) | instid1(VALU_DEP_3)
	v_ldexp_f64 v[20:21], v[20:21], v28
	v_add_f64_e32 v[24:25], -1.0, v[26:27]
	s_delay_alu instid0(VALU_DEP_3) | instskip(NEXT) | instid1(VALU_DEP_2)
	v_add_f64_e32 v[52:53], 1.0, v[32:33]
	v_add_f64_e64 v[24:25], v[18:19], -v[24:25]
	s_delay_alu instid0(VALU_DEP_2) | instskip(NEXT) | instid1(VALU_DEP_2)
	v_add_f64_e64 v[18:19], v[18:19], -v[52:53]
	v_add_f64_e32 v[24:25], v[20:21], v[24:25]
	s_delay_alu instid0(VALU_DEP_2) | instskip(NEXT) | instid1(VALU_DEP_2)
	v_add_f64_e32 v[18:19], v[20:21], v[18:19]
	v_add_f64_e32 v[28:29], v[26:27], v[24:25]
	s_delay_alu instid0(VALU_DEP_2) | instskip(NEXT) | instid1(VALU_DEP_2)
	v_add_f64_e32 v[52:53], v[32:33], v[18:19]
	v_rcp_f64_e32 v[30:31], v[28:29]
	v_add_f64_e64 v[26:27], v[28:29], -v[26:27]
	s_delay_alu instid0(VALU_DEP_2) | instskip(NEXT) | instid1(VALU_DEP_2)
	v_add_f64_e64 v[32:33], v[52:53], -v[32:33]
	v_add_f64_e64 v[24:25], v[24:25], -v[26:27]
	s_delay_alu instid0(VALU_DEP_2) | instskip(NEXT) | instid1(TRANS32_DEP_1)
	v_add_f64_e64 v[18:19], v[18:19], -v[32:33]
	v_fma_f64 v[54:55], -v[28:29], v[30:31], 1.0
	s_delay_alu instid0(VALU_DEP_1) | instskip(NEXT) | instid1(VALU_DEP_1)
	v_fmac_f64_e32 v[30:31], v[54:55], v[30:31]
	v_fma_f64 v[20:21], -v[28:29], v[30:31], 1.0
	s_delay_alu instid0(VALU_DEP_1) | instskip(NEXT) | instid1(VALU_DEP_1)
	v_fmac_f64_e32 v[30:31], v[20:21], v[30:31]
	v_mul_f64_e32 v[20:21], v[52:53], v[30:31]
	s_delay_alu instid0(VALU_DEP_1) | instskip(NEXT) | instid1(VALU_DEP_1)
	v_mul_f64_e32 v[54:55], v[28:29], v[20:21]
	v_fma_f64 v[26:27], v[20:21], v[28:29], -v[54:55]
	s_delay_alu instid0(VALU_DEP_1) | instskip(NEXT) | instid1(VALU_DEP_1)
	v_fmac_f64_e32 v[26:27], v[20:21], v[24:25]
	v_add_f64_e32 v[56:57], v[54:55], v[26:27]
	s_delay_alu instid0(VALU_DEP_1) | instskip(SKIP_1) | instid1(VALU_DEP_2)
	v_add_f64_e64 v[58:59], v[52:53], -v[56:57]
	v_add_f64_e64 v[32:33], v[56:57], -v[54:55]
	;; [unrolled: 1-line block ×3, first 2 shown]
	s_delay_alu instid0(VALU_DEP_2) | instskip(NEXT) | instid1(VALU_DEP_2)
	v_add_f64_e64 v[26:27], v[32:33], -v[26:27]
	v_add_f64_e64 v[52:53], v[52:53], -v[56:57]
	s_delay_alu instid0(VALU_DEP_1) | instskip(NEXT) | instid1(VALU_DEP_1)
	v_add_f64_e32 v[18:19], v[18:19], v[52:53]
	v_add_f64_e32 v[18:19], v[26:27], v[18:19]
	s_delay_alu instid0(VALU_DEP_1) | instskip(NEXT) | instid1(VALU_DEP_1)
	v_add_f64_e32 v[26:27], v[58:59], v[18:19]
	v_mul_f64_e32 v[32:33], v[30:31], v[26:27]
	v_add_f64_e64 v[56:57], v[58:59], -v[26:27]
	s_delay_alu instid0(VALU_DEP_2) | instskip(NEXT) | instid1(VALU_DEP_2)
	v_mul_f64_e32 v[52:53], v[28:29], v[32:33]
	v_add_f64_e32 v[18:19], v[18:19], v[56:57]
	s_delay_alu instid0(VALU_DEP_2) | instskip(NEXT) | instid1(VALU_DEP_1)
	v_fma_f64 v[28:29], v[32:33], v[28:29], -v[52:53]
	v_fmac_f64_e32 v[28:29], v[32:33], v[24:25]
	s_delay_alu instid0(VALU_DEP_1) | instskip(NEXT) | instid1(VALU_DEP_1)
	v_add_f64_e32 v[24:25], v[52:53], v[28:29]
	v_add_f64_e64 v[54:55], v[26:27], -v[24:25]
	v_add_f64_e64 v[52:53], v[24:25], -v[52:53]
	s_delay_alu instid0(VALU_DEP_2) | instskip(NEXT) | instid1(VALU_DEP_1)
	v_add_f64_e64 v[26:27], v[26:27], -v[54:55]
	v_add_f64_e64 v[24:25], v[26:27], -v[24:25]
	s_delay_alu instid0(VALU_DEP_3) | instskip(SKIP_1) | instid1(VALU_DEP_3)
	v_add_f64_e64 v[26:27], v[52:53], -v[28:29]
	v_max_num_f64_e64 v[28:29], |v[6:7]|, |v[6:7]|
	v_add_f64_e32 v[18:19], v[18:19], v[24:25]
	v_add_f64_e32 v[24:25], v[20:21], v[32:33]
	s_delay_alu instid0(VALU_DEP_2) | instskip(NEXT) | instid1(VALU_DEP_2)
	v_add_f64_e32 v[18:19], v[26:27], v[18:19]
	v_add_f64_e64 v[20:21], v[24:25], -v[20:21]
	v_max_num_f64_e64 v[26:27], |v[8:9]|, |v[8:9]|
	s_delay_alu instid0(VALU_DEP_3) | instskip(NEXT) | instid1(VALU_DEP_3)
	v_add_f64_e32 v[18:19], v[54:55], v[18:19]
	v_add_f64_e64 v[20:21], v[32:33], -v[20:21]
	s_delay_alu instid0(VALU_DEP_2) | instskip(NEXT) | instid1(VALU_DEP_1)
	v_mul_f64_e32 v[18:19], v[30:31], v[18:19]
	v_add_f64_e32 v[18:19], v[20:21], v[18:19]
	v_max_num_f64_e32 v[20:21], v[28:29], v[26:27]
	v_min_num_f64_e32 v[26:27], v[28:29], v[26:27]
	s_delay_alu instid0(VALU_DEP_3) | instskip(NEXT) | instid1(VALU_DEP_2)
	v_add_f64_e32 v[28:29], v[24:25], v[18:19]
	v_div_scale_f64 v[30:31], null, v[20:21], v[20:21], v[26:27]
	s_delay_alu instid0(VALU_DEP_2) | instskip(SKIP_1) | instid1(VALU_DEP_3)
	v_mul_f64_e32 v[32:33], v[28:29], v[28:29]
	v_add_f64_e64 v[24:25], v[28:29], -v[24:25]
	v_rcp_f64_e32 v[52:53], v[30:31]
	s_delay_alu instid0(VALU_DEP_2) | instskip(SKIP_1) | instid1(VALU_DEP_3)
	v_fmamk_f64 v[54:55], v[32:33], 0x3fc3ab76bf559e2b, v[40:41]
	v_mul_f64_e32 v[56:57], v[28:29], v[32:33]
	v_add_f64_e64 v[18:19], v[18:19], -v[24:25]
	s_delay_alu instid0(VALU_DEP_3) | instskip(NEXT) | instid1(TRANS32_DEP_1)
	v_fmaak_f64 v[54:55], v[32:33], v[54:55], 0x3fc7474dd7f4df2e
	v_fma_f64 v[58:59], -v[30:31], v[52:53], 1.0
	s_delay_alu instid0(VALU_DEP_2) | instskip(NEXT) | instid1(VALU_DEP_1)
	v_fmaak_f64 v[54:55], v[32:33], v[54:55], 0x3fcc71c016291751
	v_fmaak_f64 v[54:55], v[32:33], v[54:55], 0x3fd249249b27acf1
	s_delay_alu instid0(VALU_DEP_1) | instskip(SKIP_1) | instid1(VALU_DEP_2)
	v_fmaak_f64 v[54:55], v[32:33], v[54:55], 0x3fd99999998ef7b6
	v_ldexp_f64 v[18:19], v[18:19], 1
	v_fmaak_f64 v[32:33], v[32:33], v[54:55], 0x3fe5555555555780
	v_ldexp_f64 v[54:55], v[28:29], 1
	v_fmac_f64_e32 v[52:53], v[52:53], v[58:59]
	s_delay_alu instid0(VALU_DEP_3) | instskip(SKIP_1) | instid1(VALU_DEP_3)
	v_mul_f64_e32 v[32:33], v[56:57], v[32:33]
	v_cvt_f64_i32_e32 v[56:57], v37
	v_fma_f64 v[58:59], -v[30:31], v[52:53], 1.0
	s_delay_alu instid0(VALU_DEP_3) | instskip(NEXT) | instid1(VALU_DEP_3)
	v_add_f64_e32 v[28:29], v[54:55], v[32:33]
	v_mul_f64_e32 v[60:61], 0x3fe62e42fefa39ef, v[56:57]
	s_delay_alu instid0(VALU_DEP_3) | instskip(NEXT) | instid1(VALU_DEP_3)
	v_fmac_f64_e32 v[52:53], v[52:53], v[58:59]
	v_add_f64_e64 v[24:25], v[28:29], -v[54:55]
	v_div_scale_f64 v[54:55], vcc_lo, v[26:27], v[20:21], v[26:27]
	s_delay_alu instid0(VALU_DEP_4) | instskip(NEXT) | instid1(VALU_DEP_3)
	v_fma_f64 v[58:59], v[56:57], s[30:31], -v[60:61]
	v_add_f64_e64 v[24:25], v[32:33], -v[24:25]
	s_delay_alu instid0(VALU_DEP_3) | instskip(NEXT) | instid1(VALU_DEP_3)
	v_mul_f64_e32 v[32:33], v[54:55], v[52:53]
	v_fmac_f64_e32 v[58:59], 0x3c7abc9e3b39803f, v[56:57]
	s_delay_alu instid0(VALU_DEP_3) | instskip(NEXT) | instid1(VALU_DEP_3)
	v_add_f64_e32 v[18:19], v[18:19], v[24:25]
	v_fma_f64 v[24:25], -v[30:31], v[32:33], v[54:55]
	s_delay_alu instid0(VALU_DEP_3) | instskip(NEXT) | instid1(VALU_DEP_3)
	v_add_f64_e32 v[30:31], v[60:61], v[58:59]
	v_add_f64_e32 v[54:55], v[28:29], v[18:19]
	s_delay_alu instid0(VALU_DEP_3) | instskip(SKIP_1) | instid1(VALU_DEP_4)
	v_div_fmas_f64 v[24:25], v[24:25], v[52:53], v[32:33]
	v_cmp_gt_i32_e32 vcc_lo, 0, v7
	v_add_f64_e64 v[52:53], v[30:31], -v[60:61]
	v_cndmask_b32_e32 v6, 0x3fe921fb, v69, vcc_lo
	s_delay_alu instid0(VALU_DEP_1) | instskip(SKIP_4) | instid1(VALU_DEP_4)
	v_bfi_b32 v6, 0x7fffffff, v6, v9
	v_add_f64_e32 v[32:33], v[30:31], v[54:55]
	v_div_fixup_f64 v[20:21], v[24:25], v[20:21], v[26:27]
	v_add_f64_e64 v[28:29], v[54:55], -v[28:29]
	v_add_f64_e64 v[52:53], v[58:59], -v[52:53]
	;; [unrolled: 1-line block ×3, first 2 shown]
	s_delay_alu instid0(VALU_DEP_4) | instskip(NEXT) | instid1(VALU_DEP_4)
	v_mul_f64_e32 v[26:27], v[20:21], v[20:21]
	v_add_f64_e64 v[18:19], v[18:19], -v[28:29]
	s_delay_alu instid0(VALU_DEP_3) | instskip(NEXT) | instid1(VALU_DEP_3)
	v_add_f64_e64 v[56:57], v[32:33], -v[24:25]
	v_fmamk_f64 v[60:61], v[26:27], 0x3eeba404b5e68a13, v[42:43]
	v_add_f64_e64 v[24:25], v[54:55], -v[24:25]
	s_delay_alu instid0(VALU_DEP_4) | instskip(NEXT) | instid1(VALU_DEP_3)
	v_add_f64_e32 v[54:55], v[52:53], v[18:19]
	v_fmaak_f64 v[60:61], v[26:27], v[60:61], 0x3f4b2bb069efb384
	v_add_f64_e64 v[28:29], v[30:31], -v[56:57]
	s_delay_alu instid0(VALU_DEP_2) | instskip(NEXT) | instid1(VALU_DEP_1)
	v_fmaak_f64 v[30:31], v[26:27], v[60:61], 0xbf67952daf56de9b
	v_fmaak_f64 v[30:31], v[26:27], v[30:31], 0x3f7d6d43a595c56f
	s_delay_alu instid0(VALU_DEP_1) | instskip(NEXT) | instid1(VALU_DEP_1)
	v_fmaak_f64 v[30:31], v[26:27], v[30:31], 0xbf8c6ea4a57d9582
	v_fmaak_f64 v[30:31], v[26:27], v[30:31], 0x3f967e295f08b19f
	s_delay_alu instid0(VALU_DEP_1) | instskip(SKIP_1) | instid1(VALU_DEP_2)
	v_fmaak_f64 v[30:31], v[26:27], v[30:31], 0xbf9e9ae6fc27006a
	v_add_f64_e32 v[24:25], v[24:25], v[28:29]
	v_fmaak_f64 v[28:29], v[26:27], v[30:31], 0x3fa2c15b5711927a
	v_add_f64_e64 v[30:31], v[54:55], -v[52:53]
	s_delay_alu instid0(VALU_DEP_2) | instskip(NEXT) | instid1(VALU_DEP_1)
	v_fmaak_f64 v[28:29], v[26:27], v[28:29], 0xbfa59976e82d3ff0
	v_fmaak_f64 v[28:29], v[26:27], v[28:29], 0x3fa82d5d6ef28734
	s_delay_alu instid0(VALU_DEP_1) | instskip(NEXT) | instid1(VALU_DEP_1)
	v_fmaak_f64 v[28:29], v[26:27], v[28:29], 0xbfaae5ce6a214619
	v_fmaak_f64 v[28:29], v[26:27], v[28:29], 0x3fae1bb48427b883
	v_add_f64_e32 v[24:25], v[54:55], v[24:25]
	v_add_f64_e64 v[54:55], v[54:55], -v[30:31]
	v_add_f64_e64 v[18:19], v[18:19], -v[30:31]
	s_delay_alu instid0(VALU_DEP_4) | instskip(NEXT) | instid1(VALU_DEP_1)
	v_fmaak_f64 v[28:29], v[26:27], v[28:29], 0xbfb110e48b207f05
	v_fmaak_f64 v[28:29], v[26:27], v[28:29], 0x3fb3b13657b87036
	s_delay_alu instid0(VALU_DEP_1) | instskip(NEXT) | instid1(VALU_DEP_1)
	v_fmaak_f64 v[28:29], v[26:27], v[28:29], 0xbfb745d119378e4f
	v_fmaak_f64 v[28:29], v[26:27], v[28:29], 0x3fbc71c717e1913c
	v_add_f64_e32 v[56:57], v[32:33], v[24:25]
	s_delay_alu instid0(VALU_DEP_2) | instskip(NEXT) | instid1(VALU_DEP_1)
	v_fmaak_f64 v[28:29], v[26:27], v[28:29], 0xbfc2492492376b7d
	v_fmaak_f64 v[28:29], v[26:27], v[28:29], 0x3fc99999999952cc
	s_delay_alu instid0(VALU_DEP_1) | instskip(NEXT) | instid1(VALU_DEP_1)
	v_fmaak_f64 v[28:29], v[26:27], v[28:29], 0xbfd5555555555523
	v_mul_f64_e32 v[26:27], v[26:27], v[28:29]
	v_add_f64_e64 v[28:29], v[52:53], -v[54:55]
	v_add_f64_e64 v[30:31], v[56:57], -v[32:33]
	s_delay_alu instid0(VALU_DEP_3) | instskip(NEXT) | instid1(VALU_DEP_3)
	v_fmac_f64_e32 v[20:21], v[20:21], v[26:27]
	v_add_f64_e32 v[18:19], v[18:19], v[28:29]
	s_delay_alu instid0(VALU_DEP_3) | instskip(NEXT) | instid1(VALU_DEP_3)
	v_add_f64_e64 v[24:25], v[24:25], -v[30:31]
	v_add_f64_e64 v[26:27], -v[20:21], s[38:39]
	s_delay_alu instid0(VALU_DEP_1) | instskip(NEXT) | instid1(VALU_DEP_2)
	v_dual_add_f64 v[18:19], v[18:19], v[24:25] :: v_dual_cndmask_b32 v21, v21, v27, s4
	v_dual_cndmask_b32 v20, v20, v26, s4 :: v_dual_ashrrev_i32 v26, 31, v7
	v_cndmask_b32_e32 v27, 0x54442d18, v68, vcc_lo
	s_delay_alu instid0(VALU_DEP_2) | instskip(NEXT) | instid1(VALU_DEP_3)
	v_add_f64_e64 v[24:25], -v[20:21], s[40:41]
	v_and_b32_e32 v28, 0x54442d18, v26
	v_and_b32_e32 v7, 0x400921fb, v26
	v_add_f64_e32 v[18:19], v[56:57], v[18:19]
	s_delay_alu instid0(VALU_DEP_4) | instskip(SKIP_1) | instid1(VALU_DEP_2)
	v_dual_cndmask_b32 v20, v20, v24 :: v_dual_cndmask_b32 v21, v21, v25
	v_cmp_ngt_f64_e32 vcc_lo, -1.0, v[22:23]
	v_dual_mul_f64 v[18:19], 0.5, v[18:19] :: v_dual_cndmask_b32 v20, v20, v28, s5
	s_delay_alu instid0(VALU_DEP_3)
	v_cndmask_b32_e64 v7, v21, v7, s5
	s_and_b32 s5, s6, s7
	s_delay_alu instid0(VALU_DEP_2) | instid1(SALU_CYCLE_1)
	v_cndmask_b32_e64 v18, 0, v18, s5
	v_cmp_neq_f64_e64 s5, -1.0, v[22:23]
	s_delay_alu instid0(VALU_DEP_4) | instskip(NEXT) | instid1(VALU_DEP_1)
	v_cndmask_b32_e64 v19, 0x7ff00000, v19, s7
	v_cndmask_b32_e32 v19, 0x7ff80000, v19, vcc_lo
	s_and_b32 vcc_lo, s8, s9
	v_dual_cndmask_b32 v21, v7, v6 :: v_dual_cndmask_b32 v20, v20, v27
	s_delay_alu instid0(VALU_DEP_2)
	v_cndmask_b32_e64 v19, 0xfff00000, v19, s5
.LBB167_166:                            ;   in Loop: Header=BB167_145 Depth=1
	s_or_b32 exec_lo, exec_lo, s55
.LBB167_167:                            ;   in Loop: Header=BB167_145 Depth=1
	s_delay_alu instid0(SALU_CYCLE_1)
	s_or_b32 exec_lo, exec_lo, s54
.LBB167_168:                            ;   in Loop: Header=BB167_145 Depth=1
	s_and_not1_saveexec_b32 s7, s53
	s_cbranch_execz .LBB167_170
; %bb.169:                              ;   in Loop: Header=BB167_145 Depth=1
	v_max_num_f64_e64 v[18:19], |v[8:9]|, |v[8:9]|
	v_max_num_f64_e64 v[20:21], |v[6:7]|, |v[6:7]|
	v_cmp_class_f64_e64 s8, v[6:7], 0x204
	v_cmp_class_f64_e64 s9, v[8:9], 0x204
	v_cmp_eq_f64_e64 s6, 0, v[8:9]
	s_delay_alu instid0(VALU_DEP_4) | instskip(SKIP_2) | instid1(VALU_DEP_2)
	v_max_num_f64_e32 v[22:23], v[20:21], v[18:19]
	v_min_num_f64_e32 v[18:19], v[20:21], v[18:19]
	s_or_b32 s5, s9, s8
	v_frexp_exp_i32_f64_e32 v32, v[22:23]
	s_delay_alu instid0(VALU_DEP_1) | instskip(NEXT) | instid1(VALU_DEP_1)
	v_sub_nc_u32_e32 v26, 0, v32
	v_ldexp_f64 v[24:25], |v[8:9]|, v26
	v_ldexp_f64 v[26:27], |v[6:7]|, v26
	s_delay_alu instid0(VALU_DEP_2) | instskip(NEXT) | instid1(VALU_DEP_1)
	v_mul_f64_e32 v[24:25], v[24:25], v[24:25]
	v_fmac_f64_e32 v[24:25], v[26:27], v[26:27]
	s_delay_alu instid0(VALU_DEP_1) | instskip(SKIP_1) | instid1(TRANS32_DEP_1)
	v_rsq_f64_e32 v[26:27], v[24:25]
	v_cmp_eq_f64_e32 vcc_lo, 0, v[24:25]
	v_mul_f64_e32 v[28:29], v[24:25], v[26:27]
	v_mul_f64_e32 v[26:27], 0.5, v[26:27]
	s_delay_alu instid0(VALU_DEP_1) | instskip(NEXT) | instid1(VALU_DEP_1)
	v_fma_f64 v[30:31], -v[26:27], v[28:29], 0.5
	v_fmac_f64_e32 v[28:29], v[28:29], v[30:31]
	v_fmac_f64_e32 v[26:27], v[26:27], v[30:31]
	s_delay_alu instid0(VALU_DEP_2) | instskip(NEXT) | instid1(VALU_DEP_1)
	v_fma_f64 v[30:31], -v[28:29], v[28:29], v[24:25]
	v_fmac_f64_e32 v[28:29], v[30:31], v[26:27]
	s_delay_alu instid0(VALU_DEP_1) | instskip(NEXT) | instid1(VALU_DEP_1)
	v_dual_cndmask_b32 v25, v29, v25 :: v_dual_cndmask_b32 v24, v28, v24
	v_ldexp_f64 v[24:25], v[24:25], v32
	s_delay_alu instid0(VALU_DEP_1) | instskip(NEXT) | instid1(VALU_DEP_2)
	v_cndmask_b32_e64 v25, v25, 0x7ff00000, s5
	v_cndmask_b32_e64 v24, v24, 0, s5
	s_delay_alu instid0(VALU_DEP_1) | instskip(SKIP_1) | instid1(VALU_DEP_2)
	v_frexp_mant_f64_e32 v[26:27], v[24:25]
	v_cmp_class_f64_e64 s5, v[24:25], 0x204
	v_cmp_gt_f64_e32 vcc_lo, s[28:29], v[26:27]
	v_cndmask_b32_e64 v6, 0, 1, vcc_lo
	s_delay_alu instid0(VALU_DEP_1) | instskip(SKIP_1) | instid1(VALU_DEP_2)
	v_ldexp_f64 v[26:27], v[26:27], v6
	v_frexp_exp_i32_f64_e32 v6, v[24:25]
	v_add_f64_e32 v[28:29], 1.0, v[26:27]
	v_add_f64_e32 v[52:53], -1.0, v[26:27]
	s_delay_alu instid0(VALU_DEP_3) | instskip(SKIP_1) | instid1(VALU_DEP_4)
	v_subrev_co_ci_u32_e64 v6, null, 0, v6, vcc_lo
	v_div_scale_f64 v[60:61], vcc_lo, v[18:19], v[22:23], v[18:19]
	v_rcp_f64_e32 v[30:31], v[28:29]
	v_add_f64_e32 v[54:55], -1.0, v[28:29]
	s_delay_alu instid0(VALU_DEP_1) | instskip(NEXT) | instid1(TRANS32_DEP_1)
	v_add_f64_e64 v[26:27], v[26:27], -v[54:55]
	v_fma_f64 v[32:33], -v[28:29], v[30:31], 1.0
	s_delay_alu instid0(VALU_DEP_1) | instskip(NEXT) | instid1(VALU_DEP_1)
	v_fmac_f64_e32 v[30:31], v[32:33], v[30:31]
	v_fma_f64 v[32:33], -v[28:29], v[30:31], 1.0
	s_delay_alu instid0(VALU_DEP_1) | instskip(NEXT) | instid1(VALU_DEP_1)
	v_fmac_f64_e32 v[30:31], v[32:33], v[30:31]
	v_mul_f64_e32 v[32:33], v[52:53], v[30:31]
	s_delay_alu instid0(VALU_DEP_1) | instskip(NEXT) | instid1(VALU_DEP_1)
	v_mul_f64_e32 v[56:57], v[28:29], v[32:33]
	v_fma_f64 v[28:29], v[32:33], v[28:29], -v[56:57]
	s_delay_alu instid0(VALU_DEP_1) | instskip(NEXT) | instid1(VALU_DEP_1)
	v_fmac_f64_e32 v[28:29], v[32:33], v[26:27]
	v_add_f64_e32 v[26:27], v[56:57], v[28:29]
	s_delay_alu instid0(VALU_DEP_1) | instskip(SKIP_1) | instid1(VALU_DEP_2)
	v_add_f64_e64 v[54:55], v[52:53], -v[26:27]
	v_add_f64_e64 v[56:57], v[26:27], -v[56:57]
	;; [unrolled: 1-line block ×3, first 2 shown]
	s_delay_alu instid0(VALU_DEP_2) | instskip(NEXT) | instid1(VALU_DEP_2)
	v_add_f64_e64 v[28:29], v[56:57], -v[28:29]
	v_add_f64_e64 v[26:27], v[52:53], -v[26:27]
	s_delay_alu instid0(VALU_DEP_1) | instskip(NEXT) | instid1(VALU_DEP_1)
	v_add_f64_e32 v[26:27], v[28:29], v[26:27]
	v_add_f64_e32 v[26:27], v[54:55], v[26:27]
	s_delay_alu instid0(VALU_DEP_1) | instskip(SKIP_1) | instid1(VALU_DEP_2)
	v_mul_f64_e32 v[20:21], v[30:31], v[26:27]
	v_div_scale_f64 v[26:27], null, v[22:23], v[22:23], v[18:19]
	v_add_f64_e32 v[28:29], v[32:33], v[20:21]
	s_delay_alu instid0(VALU_DEP_2) | instskip(NEXT) | instid1(VALU_DEP_1)
	v_rcp_f64_e32 v[30:31], v[26:27]
	v_mul_f64_e32 v[52:53], v[28:29], v[28:29]
	s_delay_alu instid0(TRANS32_DEP_1) | instskip(NEXT) | instid1(VALU_DEP_2)
	v_fma_f64 v[56:57], -v[26:27], v[30:31], 1.0
	v_fmamk_f64 v[54:55], v[52:53], 0x3fc3ab76bf559e2b, v[40:41]
	v_mul_f64_e32 v[58:59], v[28:29], v[52:53]
	s_delay_alu instid0(VALU_DEP_3) | instskip(NEXT) | instid1(VALU_DEP_3)
	v_fmac_f64_e32 v[30:31], v[30:31], v[56:57]
	v_fmaak_f64 v[54:55], v[52:53], v[54:55], 0x3fc7474dd7f4df2e
	s_delay_alu instid0(VALU_DEP_1) | instskip(NEXT) | instid1(VALU_DEP_1)
	v_fmaak_f64 v[54:55], v[52:53], v[54:55], 0x3fcc71c016291751
	v_fmaak_f64 v[54:55], v[52:53], v[54:55], 0x3fd249249b27acf1
	s_delay_alu instid0(VALU_DEP_1) | instskip(NEXT) | instid1(VALU_DEP_1)
	v_fmaak_f64 v[54:55], v[52:53], v[54:55], 0x3fd99999998ef7b6
	v_fmaak_f64 v[52:53], v[52:53], v[54:55], 0x3fe5555555555780
	v_ldexp_f64 v[54:55], v[28:29], 1
	v_add_f64_e64 v[28:29], v[28:29], -v[32:33]
	v_fma_f64 v[56:57], -v[26:27], v[30:31], 1.0
	s_delay_alu instid0(VALU_DEP_4) | instskip(SKIP_1) | instid1(VALU_DEP_4)
	v_mul_f64_e32 v[52:53], v[58:59], v[52:53]
	v_cvt_f64_i32_e32 v[58:59], v6
	v_add_f64_e64 v[20:21], v[20:21], -v[28:29]
	s_delay_alu instid0(VALU_DEP_4) | instskip(NEXT) | instid1(VALU_DEP_4)
	v_fmac_f64_e32 v[30:31], v[30:31], v[56:57]
	v_add_f64_e32 v[32:33], v[54:55], v[52:53]
	s_delay_alu instid0(VALU_DEP_4) | instskip(NEXT) | instid1(VALU_DEP_4)
	v_mul_f64_e32 v[56:57], 0x3fe62e42fefa39ef, v[58:59]
	v_ldexp_f64 v[20:21], v[20:21], 1
	s_delay_alu instid0(VALU_DEP_3) | instskip(SKIP_1) | instid1(VALU_DEP_4)
	v_add_f64_e64 v[28:29], v[32:33], -v[54:55]
	v_mul_f64_e32 v[54:55], v[60:61], v[30:31]
	v_fma_f64 v[62:63], v[58:59], s[30:31], -v[56:57]
	s_delay_alu instid0(VALU_DEP_3) | instskip(NEXT) | instid1(VALU_DEP_3)
	v_add_f64_e64 v[28:29], v[52:53], -v[28:29]
	v_fma_f64 v[26:27], -v[26:27], v[54:55], v[60:61]
	s_delay_alu instid0(VALU_DEP_3) | instskip(NEXT) | instid1(VALU_DEP_3)
	v_fmac_f64_e32 v[62:63], 0x3c7abc9e3b39803f, v[58:59]
	v_add_f64_e32 v[20:21], v[20:21], v[28:29]
	s_delay_alu instid0(VALU_DEP_3) | instskip(NEXT) | instid1(VALU_DEP_3)
	v_div_fmas_f64 v[26:27], v[26:27], v[30:31], v[54:55]
	v_add_f64_e32 v[28:29], v[56:57], v[62:63]
	v_cmp_gt_i32_e32 vcc_lo, 0, v7
	s_delay_alu instid0(VALU_DEP_4) | instskip(NEXT) | instid1(VALU_DEP_4)
	v_add_f64_e32 v[30:31], v[32:33], v[20:21]
	v_div_fixup_f64 v[18:19], v[26:27], v[22:23], v[18:19]
	s_delay_alu instid0(VALU_DEP_4) | instskip(NEXT) | instid1(VALU_DEP_3)
	v_add_f64_e64 v[56:57], v[28:29], -v[56:57]
	v_add_f64_e32 v[22:23], v[28:29], v[30:31]
	s_delay_alu instid0(VALU_DEP_3) | instskip(SKIP_1) | instid1(VALU_DEP_4)
	v_mul_f64_e32 v[26:27], v[18:19], v[18:19]
	v_add_f64_e64 v[32:33], v[30:31], -v[32:33]
	v_add_f64_e64 v[56:57], v[62:63], -v[56:57]
	s_delay_alu instid0(VALU_DEP_4) | instskip(NEXT) | instid1(VALU_DEP_4)
	v_add_f64_e64 v[52:53], v[22:23], -v[28:29]
	v_fmamk_f64 v[54:55], v[26:27], 0x3eeba404b5e68a13, v[42:43]
	s_delay_alu instid0(VALU_DEP_4) | instskip(NEXT) | instid1(VALU_DEP_2)
	v_add_f64_e64 v[20:21], v[20:21], -v[32:33]
	v_fmaak_f64 v[54:55], v[26:27], v[54:55], 0x3f4b2bb069efb384
	s_delay_alu instid0(VALU_DEP_1) | instskip(NEXT) | instid1(VALU_DEP_1)
	v_fmaak_f64 v[54:55], v[26:27], v[54:55], 0xbf67952daf56de9b
	v_fmaak_f64 v[54:55], v[26:27], v[54:55], 0x3f7d6d43a595c56f
	s_delay_alu instid0(VALU_DEP_1) | instskip(SKIP_3) | instid1(VALU_DEP_4)
	v_fmaak_f64 v[54:55], v[26:27], v[54:55], 0xbf8c6ea4a57d9582
	v_add_f64_e64 v[58:59], v[22:23], -v[52:53]
	v_add_f64_e64 v[30:31], v[30:31], -v[52:53]
	v_add_f64_e32 v[52:53], v[56:57], v[20:21]
	v_fmaak_f64 v[54:55], v[26:27], v[54:55], 0x3f967e295f08b19f
	s_delay_alu instid0(VALU_DEP_1) | instskip(NEXT) | instid1(VALU_DEP_1)
	v_fmaak_f64 v[32:33], v[26:27], v[54:55], 0xbf9e9ae6fc27006a
	v_fmaak_f64 v[32:33], v[26:27], v[32:33], 0x3fa2c15b5711927a
	s_delay_alu instid0(VALU_DEP_1) | instskip(NEXT) | instid1(VALU_DEP_1)
	v_fmaak_f64 v[32:33], v[26:27], v[32:33], 0xbfa59976e82d3ff0
	v_fmaak_f64 v[32:33], v[26:27], v[32:33], 0x3fa82d5d6ef28734
	v_add_f64_e64 v[28:29], v[28:29], -v[58:59]
	s_delay_alu instid0(VALU_DEP_2) | instskip(NEXT) | instid1(VALU_DEP_2)
	v_fmaak_f64 v[32:33], v[26:27], v[32:33], 0xbfaae5ce6a214619
	v_add_f64_e32 v[28:29], v[30:31], v[28:29]
	s_delay_alu instid0(VALU_DEP_2) | instskip(SKIP_1) | instid1(VALU_DEP_2)
	v_fmaak_f64 v[30:31], v[26:27], v[32:33], 0x3fae1bb48427b883
	v_add_f64_e64 v[32:33], v[52:53], -v[56:57]
	v_fmaak_f64 v[30:31], v[26:27], v[30:31], 0xbfb110e48b207f05
	s_delay_alu instid0(VALU_DEP_1) | instskip(NEXT) | instid1(VALU_DEP_1)
	v_fmaak_f64 v[30:31], v[26:27], v[30:31], 0x3fb3b13657b87036
	v_fmaak_f64 v[30:31], v[26:27], v[30:31], 0xbfb745d119378e4f
	s_delay_alu instid0(VALU_DEP_1) | instskip(SKIP_2) | instid1(VALU_DEP_3)
	v_fmaak_f64 v[30:31], v[26:27], v[30:31], 0x3fbc71c717e1913c
	v_add_f64_e32 v[28:29], v[52:53], v[28:29]
	v_add_f64_e64 v[20:21], v[20:21], -v[32:33]
	v_fmaak_f64 v[30:31], v[26:27], v[30:31], 0xbfc2492492376b7d
	s_delay_alu instid0(VALU_DEP_1) | instskip(NEXT) | instid1(VALU_DEP_1)
	v_fmaak_f64 v[30:31], v[26:27], v[30:31], 0x3fc99999999952cc
	v_fmaak_f64 v[30:31], v[26:27], v[30:31], 0xbfd5555555555523
	s_delay_alu instid0(VALU_DEP_1) | instskip(SKIP_2) | instid1(VALU_DEP_3)
	v_mul_f64_e32 v[26:27], v[26:27], v[30:31]
	v_add_f64_e64 v[30:31], v[52:53], -v[32:33]
	v_add_f64_e32 v[52:53], v[22:23], v[28:29]
	v_fmac_f64_e32 v[18:19], v[18:19], v[26:27]
	s_delay_alu instid0(VALU_DEP_3) | instskip(NEXT) | instid1(VALU_DEP_3)
	v_add_f64_e64 v[26:27], v[56:57], -v[30:31]
	v_add_f64_e64 v[22:23], v[52:53], -v[22:23]
	s_delay_alu instid0(VALU_DEP_3) | instskip(NEXT) | instid1(VALU_DEP_3)
	v_add_f64_e64 v[30:31], -v[18:19], s[38:39]
	v_add_f64_e32 v[20:21], v[20:21], v[26:27]
	v_dual_cndmask_b32 v27, 0x54442d18, v68 :: v_dual_ashrrev_i32 v26, 31, v7
	s_delay_alu instid0(VALU_DEP_4) | instskip(NEXT) | instid1(VALU_DEP_2)
	v_add_f64_e64 v[22:23], v[28:29], -v[22:23]
	v_and_b32_e32 v28, 0x54442d18, v26
	v_dual_cndmask_b32 v19, v19, v31, s4 :: v_dual_cndmask_b32 v18, v18, v30, s4
	s_delay_alu instid0(VALU_DEP_3) | instskip(NEXT) | instid1(VALU_DEP_2)
	v_add_f64_e32 v[20:21], v[20:21], v[22:23]
	v_add_f64_e64 v[22:23], -v[18:19], s[40:41]
	s_delay_alu instid0(VALU_DEP_1) | instskip(SKIP_1) | instid1(VALU_DEP_3)
	v_dual_add_f64 v[6:7], v[52:53], v[20:21] :: v_dual_cndmask_b32 v18, v18, v22, vcc_lo
	v_cndmask_b32_e32 v20, 0x3fe921fb, v69, vcc_lo
	v_cndmask_b32_e32 v19, v19, v23, vcc_lo
	v_cmp_ngt_f64_e32 vcc_lo, 0, v[24:25]
	v_and_b32_e32 v21, 0x400921fb, v26
	v_cndmask_b32_e64 v22, v18, v28, s6
	v_bfi_b32 v20, 0x7fffffff, v20, v9
	s_delay_alu instid0(VALU_DEP_3) | instskip(SKIP_2) | instid1(VALU_DEP_2)
	v_dual_cndmask_b32 v18, v19, v21, s6 :: v_dual_cndmask_b32 v6, v6, v24, s5
	v_cndmask_b32_e64 v7, v7, v25, s5
	v_cmp_nge_f64_e64 s5, 0, v[24:25]
	v_cndmask_b32_e32 v7, 0x7ff80000, v7, vcc_lo
	s_and_b32 vcc_lo, s9, s8
	v_cndmask_b32_e32 v21, v18, v20, vcc_lo
	v_dual_cndmask_b32 v20, v22, v27, vcc_lo :: v_dual_cndmask_b32 v18, 0, v6, s5
	v_cmp_neq_f64_e64 s5, 0, v[24:25]
	s_delay_alu instid0(VALU_DEP_1)
	v_cndmask_b32_e64 v19, 0xfff00000, v7, s5
.LBB167_170:                            ;   in Loop: Header=BB167_145 Depth=1
	s_or_b32 exec_lo, exec_lo, s7
                                        ; implicit-def: $vgpr24_vgpr25
.LBB167_171:                            ;   in Loop: Header=BB167_145 Depth=1
	s_and_not1_saveexec_b32 s7, s52
	s_cbranch_execz .LBB167_177
; %bb.172:                              ;   in Loop: Header=BB167_145 Depth=1
                                        ; implicit-def: $vgpr18_vgpr19
	s_mov_b32 s5, exec_lo
	v_cmpx_ngt_f64_e32 s[44:45], v[24:25]
	s_xor_b32 s8, exec_lo, s5
	s_cbranch_execz .LBB167_174
; %bb.173:                              ;   in Loop: Header=BB167_145 Depth=1
	v_mul_f64_e32 v[18:19], v[24:25], v[24:25]
	v_cmp_eq_f64_e64 s5, 0, v[8:9]
	v_cmp_class_f64_e64 s9, v[8:9], 0x204
	v_cmp_class_f64_e64 s10, v[6:7], 0x204
	s_delay_alu instid0(VALU_DEP_4) | instskip(NEXT) | instid1(VALU_DEP_1)
	v_add_f64_e32 v[20:21], 1.0, v[18:19]
	v_frexp_mant_f64_e32 v[22:23], v[20:21]
	v_frexp_exp_i32_f64_e32 v26, v[20:21]
	s_delay_alu instid0(VALU_DEP_2) | instskip(NEXT) | instid1(VALU_DEP_2)
	v_cmp_gt_f64_e32 vcc_lo, s[28:29], v[22:23]
	v_subrev_co_ci_u32_e64 v37, null, 0, v26, vcc_lo
	s_delay_alu instid0(VALU_DEP_1) | instskip(SKIP_1) | instid1(VALU_DEP_1)
	v_sub_nc_u32_e32 v28, 0, v37
	v_add_f64_e32 v[24:25], -1.0, v[20:21]
	v_add_f64_e64 v[22:23], v[24:25], -v[20:21]
	s_delay_alu instid0(VALU_DEP_3) | instskip(SKIP_1) | instid1(VALU_DEP_3)
	v_ldexp_f64 v[20:21], v[20:21], v28
	v_add_f64_e64 v[24:25], v[18:19], -v[24:25]
	v_add_f64_e32 v[22:23], 1.0, v[22:23]
	s_delay_alu instid0(VALU_DEP_3) | instskip(SKIP_1) | instid1(VALU_DEP_3)
	v_add_f64_e32 v[26:27], 1.0, v[20:21]
	v_add_f64_e32 v[32:33], -1.0, v[20:21]
	v_add_f64_e32 v[22:23], v[24:25], v[22:23]
	s_delay_alu instid0(VALU_DEP_3) | instskip(NEXT) | instid1(VALU_DEP_3)
	v_add_f64_e32 v[24:25], -1.0, v[26:27]
	v_add_f64_e32 v[52:53], 1.0, v[32:33]
	s_delay_alu instid0(VALU_DEP_3) | instskip(NEXT) | instid1(VALU_DEP_3)
	v_ldexp_f64 v[22:23], v[22:23], v28
	v_add_f64_e64 v[24:25], v[20:21], -v[24:25]
	s_delay_alu instid0(VALU_DEP_3) | instskip(NEXT) | instid1(VALU_DEP_2)
	v_add_f64_e64 v[20:21], v[20:21], -v[52:53]
	v_add_f64_e32 v[24:25], v[22:23], v[24:25]
	s_delay_alu instid0(VALU_DEP_2) | instskip(NEXT) | instid1(VALU_DEP_2)
	v_add_f64_e32 v[20:21], v[22:23], v[20:21]
	v_add_f64_e32 v[28:29], v[26:27], v[24:25]
	s_delay_alu instid0(VALU_DEP_2) | instskip(NEXT) | instid1(VALU_DEP_2)
	v_add_f64_e32 v[52:53], v[32:33], v[20:21]
	v_rcp_f64_e32 v[30:31], v[28:29]
	v_add_f64_e64 v[26:27], v[26:27], -v[28:29]
	s_delay_alu instid0(VALU_DEP_2) | instskip(NEXT) | instid1(VALU_DEP_2)
	v_add_f64_e64 v[32:33], v[32:33], -v[52:53]
	v_add_f64_e32 v[24:25], v[24:25], v[26:27]
	s_delay_alu instid0(VALU_DEP_2) | instskip(NEXT) | instid1(TRANS32_DEP_1)
	v_add_f64_e32 v[20:21], v[20:21], v[32:33]
	v_fma_f64 v[54:55], -v[28:29], v[30:31], 1.0
	s_delay_alu instid0(VALU_DEP_1) | instskip(NEXT) | instid1(VALU_DEP_1)
	v_fmac_f64_e32 v[30:31], v[54:55], v[30:31]
	v_fma_f64 v[22:23], -v[28:29], v[30:31], 1.0
	s_delay_alu instid0(VALU_DEP_1) | instskip(NEXT) | instid1(VALU_DEP_1)
	v_fmac_f64_e32 v[30:31], v[22:23], v[30:31]
	v_mul_f64_e32 v[22:23], v[52:53], v[30:31]
	s_delay_alu instid0(VALU_DEP_1) | instskip(NEXT) | instid1(VALU_DEP_1)
	v_mul_f64_e32 v[54:55], v[28:29], v[22:23]
	v_fma_f64 v[26:27], v[22:23], v[28:29], -v[54:55]
	s_delay_alu instid0(VALU_DEP_1) | instskip(NEXT) | instid1(VALU_DEP_1)
	v_fmac_f64_e32 v[26:27], v[22:23], v[24:25]
	v_add_f64_e32 v[56:57], v[54:55], v[26:27]
	s_delay_alu instid0(VALU_DEP_1) | instskip(SKIP_1) | instid1(VALU_DEP_2)
	v_add_f64_e64 v[58:59], v[52:53], -v[56:57]
	v_add_f64_e64 v[32:33], v[56:57], -v[54:55]
	;; [unrolled: 1-line block ×3, first 2 shown]
	s_delay_alu instid0(VALU_DEP_2) | instskip(NEXT) | instid1(VALU_DEP_2)
	v_add_f64_e64 v[26:27], v[32:33], -v[26:27]
	v_add_f64_e64 v[52:53], v[52:53], -v[56:57]
	s_delay_alu instid0(VALU_DEP_1) | instskip(NEXT) | instid1(VALU_DEP_1)
	v_add_f64_e32 v[20:21], v[20:21], v[52:53]
	v_add_f64_e32 v[20:21], v[26:27], v[20:21]
	s_delay_alu instid0(VALU_DEP_1) | instskip(NEXT) | instid1(VALU_DEP_1)
	v_add_f64_e32 v[26:27], v[58:59], v[20:21]
	v_mul_f64_e32 v[32:33], v[30:31], v[26:27]
	v_add_f64_e64 v[56:57], v[58:59], -v[26:27]
	s_delay_alu instid0(VALU_DEP_2) | instskip(NEXT) | instid1(VALU_DEP_2)
	v_mul_f64_e32 v[52:53], v[28:29], v[32:33]
	v_add_f64_e32 v[20:21], v[20:21], v[56:57]
	s_delay_alu instid0(VALU_DEP_2) | instskip(NEXT) | instid1(VALU_DEP_1)
	v_fma_f64 v[28:29], v[32:33], v[28:29], -v[52:53]
	v_fmac_f64_e32 v[28:29], v[32:33], v[24:25]
	s_delay_alu instid0(VALU_DEP_1) | instskip(NEXT) | instid1(VALU_DEP_1)
	v_add_f64_e32 v[24:25], v[52:53], v[28:29]
	v_add_f64_e64 v[54:55], v[26:27], -v[24:25]
	v_add_f64_e64 v[52:53], v[24:25], -v[52:53]
	s_delay_alu instid0(VALU_DEP_2) | instskip(NEXT) | instid1(VALU_DEP_1)
	v_add_f64_e64 v[26:27], v[26:27], -v[54:55]
	v_add_f64_e64 v[24:25], v[26:27], -v[24:25]
	s_delay_alu instid0(VALU_DEP_3) | instskip(SKIP_1) | instid1(VALU_DEP_3)
	v_add_f64_e64 v[26:27], v[52:53], -v[28:29]
	v_max_num_f64_e64 v[28:29], |v[6:7]|, |v[6:7]|
	v_add_f64_e32 v[20:21], v[20:21], v[24:25]
	v_add_f64_e32 v[24:25], v[22:23], v[32:33]
	s_delay_alu instid0(VALU_DEP_2) | instskip(NEXT) | instid1(VALU_DEP_2)
	v_add_f64_e32 v[20:21], v[26:27], v[20:21]
	v_add_f64_e64 v[22:23], v[24:25], -v[22:23]
	v_max_num_f64_e64 v[26:27], |v[8:9]|, |v[8:9]|
	s_delay_alu instid0(VALU_DEP_3) | instskip(NEXT) | instid1(VALU_DEP_3)
	v_add_f64_e32 v[20:21], v[54:55], v[20:21]
	v_add_f64_e64 v[22:23], v[32:33], -v[22:23]
	s_delay_alu instid0(VALU_DEP_2) | instskip(NEXT) | instid1(VALU_DEP_1)
	v_mul_f64_e32 v[20:21], v[30:31], v[20:21]
	v_add_f64_e32 v[20:21], v[22:23], v[20:21]
	v_max_num_f64_e32 v[22:23], v[28:29], v[26:27]
	v_min_num_f64_e32 v[26:27], v[28:29], v[26:27]
	s_delay_alu instid0(VALU_DEP_3) | instskip(NEXT) | instid1(VALU_DEP_2)
	v_add_f64_e32 v[28:29], v[24:25], v[20:21]
	v_div_scale_f64 v[30:31], null, v[22:23], v[22:23], v[26:27]
	s_delay_alu instid0(VALU_DEP_2) | instskip(SKIP_1) | instid1(VALU_DEP_3)
	v_mul_f64_e32 v[32:33], v[28:29], v[28:29]
	v_add_f64_e64 v[24:25], v[28:29], -v[24:25]
	v_rcp_f64_e32 v[52:53], v[30:31]
	s_delay_alu instid0(VALU_DEP_2) | instskip(SKIP_1) | instid1(VALU_DEP_3)
	v_fmamk_f64 v[54:55], v[32:33], 0x3fc3ab76bf559e2b, v[40:41]
	v_mul_f64_e32 v[56:57], v[28:29], v[32:33]
	v_add_f64_e64 v[20:21], v[20:21], -v[24:25]
	s_delay_alu instid0(VALU_DEP_3) | instskip(NEXT) | instid1(TRANS32_DEP_1)
	v_fmaak_f64 v[54:55], v[32:33], v[54:55], 0x3fc7474dd7f4df2e
	v_fma_f64 v[58:59], -v[30:31], v[52:53], 1.0
	s_delay_alu instid0(VALU_DEP_2) | instskip(NEXT) | instid1(VALU_DEP_1)
	v_fmaak_f64 v[54:55], v[32:33], v[54:55], 0x3fcc71c016291751
	v_fmaak_f64 v[54:55], v[32:33], v[54:55], 0x3fd249249b27acf1
	s_delay_alu instid0(VALU_DEP_1) | instskip(SKIP_1) | instid1(VALU_DEP_2)
	v_fmaak_f64 v[54:55], v[32:33], v[54:55], 0x3fd99999998ef7b6
	v_ldexp_f64 v[20:21], v[20:21], 1
	v_fmaak_f64 v[32:33], v[32:33], v[54:55], 0x3fe5555555555780
	v_ldexp_f64 v[54:55], v[28:29], 1
	v_fmac_f64_e32 v[52:53], v[52:53], v[58:59]
	s_delay_alu instid0(VALU_DEP_3) | instskip(SKIP_1) | instid1(VALU_DEP_3)
	v_mul_f64_e32 v[32:33], v[56:57], v[32:33]
	v_cvt_f64_i32_e32 v[56:57], v37
	v_fma_f64 v[58:59], -v[30:31], v[52:53], 1.0
	s_delay_alu instid0(VALU_DEP_3) | instskip(NEXT) | instid1(VALU_DEP_3)
	v_add_f64_e32 v[28:29], v[54:55], v[32:33]
	v_mul_f64_e32 v[60:61], 0x3fe62e42fefa39ef, v[56:57]
	s_delay_alu instid0(VALU_DEP_3) | instskip(NEXT) | instid1(VALU_DEP_3)
	v_fmac_f64_e32 v[52:53], v[52:53], v[58:59]
	v_add_f64_e64 v[24:25], v[28:29], -v[54:55]
	v_div_scale_f64 v[54:55], vcc_lo, v[26:27], v[22:23], v[26:27]
	s_delay_alu instid0(VALU_DEP_4) | instskip(NEXT) | instid1(VALU_DEP_3)
	v_fma_f64 v[58:59], v[56:57], s[30:31], -v[60:61]
	v_add_f64_e64 v[24:25], v[32:33], -v[24:25]
	s_delay_alu instid0(VALU_DEP_3) | instskip(NEXT) | instid1(VALU_DEP_3)
	v_mul_f64_e32 v[32:33], v[54:55], v[52:53]
	v_fmac_f64_e32 v[58:59], 0x3c7abc9e3b39803f, v[56:57]
	s_delay_alu instid0(VALU_DEP_3) | instskip(NEXT) | instid1(VALU_DEP_3)
	v_add_f64_e32 v[20:21], v[20:21], v[24:25]
	v_fma_f64 v[24:25], -v[30:31], v[32:33], v[54:55]
	s_delay_alu instid0(VALU_DEP_3) | instskip(NEXT) | instid1(VALU_DEP_3)
	v_add_f64_e32 v[30:31], v[60:61], v[58:59]
	v_add_f64_e32 v[54:55], v[28:29], v[20:21]
	s_delay_alu instid0(VALU_DEP_3) | instskip(SKIP_1) | instid1(VALU_DEP_4)
	v_div_fmas_f64 v[24:25], v[24:25], v[52:53], v[32:33]
	v_cmp_gt_i32_e32 vcc_lo, 0, v7
	v_add_f64_e64 v[52:53], v[30:31], -v[60:61]
	s_delay_alu instid0(VALU_DEP_4) | instskip(NEXT) | instid1(VALU_DEP_4)
	v_add_f64_e32 v[32:33], v[30:31], v[54:55]
	v_div_fixup_f64 v[22:23], v[24:25], v[22:23], v[26:27]
	v_add_f64_e64 v[28:29], v[54:55], -v[28:29]
	s_delay_alu instid0(VALU_DEP_4) | instskip(NEXT) | instid1(VALU_DEP_4)
	v_add_f64_e64 v[52:53], v[58:59], -v[52:53]
	v_add_f64_e64 v[24:25], v[32:33], -v[30:31]
	s_delay_alu instid0(VALU_DEP_4) | instskip(NEXT) | instid1(VALU_DEP_4)
	v_mul_f64_e32 v[26:27], v[22:23], v[22:23]
	v_add_f64_e64 v[20:21], v[20:21], -v[28:29]
	s_delay_alu instid0(VALU_DEP_3) | instskip(NEXT) | instid1(VALU_DEP_3)
	v_add_f64_e64 v[56:57], v[32:33], -v[24:25]
	v_fmamk_f64 v[60:61], v[26:27], 0x3eeba404b5e68a13, v[42:43]
	v_add_f64_e64 v[24:25], v[54:55], -v[24:25]
	s_delay_alu instid0(VALU_DEP_4) | instskip(NEXT) | instid1(VALU_DEP_3)
	v_add_f64_e32 v[54:55], v[52:53], v[20:21]
	v_fmaak_f64 v[60:61], v[26:27], v[60:61], 0x3f4b2bb069efb384
	s_delay_alu instid0(VALU_DEP_1) | instskip(SKIP_1) | instid1(VALU_DEP_2)
	v_fmaak_f64 v[60:61], v[26:27], v[60:61], 0xbf67952daf56de9b
	v_add_f64_e64 v[28:29], v[30:31], -v[56:57]
	v_fmaak_f64 v[30:31], v[26:27], v[60:61], 0x3f7d6d43a595c56f
	s_delay_alu instid0(VALU_DEP_1) | instskip(NEXT) | instid1(VALU_DEP_1)
	v_fmaak_f64 v[30:31], v[26:27], v[30:31], 0xbf8c6ea4a57d9582
	v_fmaak_f64 v[30:31], v[26:27], v[30:31], 0x3f967e295f08b19f
	s_delay_alu instid0(VALU_DEP_1) | instskip(NEXT) | instid1(VALU_DEP_1)
	v_fmaak_f64 v[30:31], v[26:27], v[30:31], 0xbf9e9ae6fc27006a
	v_fmaak_f64 v[30:31], v[26:27], v[30:31], 0x3fa2c15b5711927a
	v_add_f64_e32 v[24:25], v[24:25], v[28:29]
	s_delay_alu instid0(VALU_DEP_2) | instskip(SKIP_1) | instid1(VALU_DEP_2)
	v_fmaak_f64 v[28:29], v[26:27], v[30:31], 0xbfa59976e82d3ff0
	v_add_f64_e64 v[30:31], v[54:55], -v[52:53]
	v_fmaak_f64 v[28:29], v[26:27], v[28:29], 0x3fa82d5d6ef28734
	s_delay_alu instid0(VALU_DEP_1) | instskip(NEXT) | instid1(VALU_DEP_1)
	v_fmaak_f64 v[28:29], v[26:27], v[28:29], 0xbfaae5ce6a214619
	v_fmaak_f64 v[28:29], v[26:27], v[28:29], 0x3fae1bb48427b883
	s_delay_alu instid0(VALU_DEP_1) | instskip(SKIP_3) | instid1(VALU_DEP_4)
	v_fmaak_f64 v[28:29], v[26:27], v[28:29], 0xbfb110e48b207f05
	v_add_f64_e32 v[24:25], v[54:55], v[24:25]
	v_add_f64_e64 v[54:55], v[54:55], -v[30:31]
	v_add_f64_e64 v[20:21], v[20:21], -v[30:31]
	v_fmaak_f64 v[28:29], v[26:27], v[28:29], 0x3fb3b13657b87036
	s_delay_alu instid0(VALU_DEP_1) | instskip(NEXT) | instid1(VALU_DEP_1)
	v_fmaak_f64 v[28:29], v[26:27], v[28:29], 0xbfb745d119378e4f
	v_fmaak_f64 v[28:29], v[26:27], v[28:29], 0x3fbc71c717e1913c
	s_delay_alu instid0(VALU_DEP_1) | instskip(SKIP_1) | instid1(VALU_DEP_2)
	v_fmaak_f64 v[28:29], v[26:27], v[28:29], 0xbfc2492492376b7d
	v_add_f64_e32 v[56:57], v[32:33], v[24:25]
	v_fmaak_f64 v[28:29], v[26:27], v[28:29], 0x3fc99999999952cc
	s_delay_alu instid0(VALU_DEP_1) | instskip(NEXT) | instid1(VALU_DEP_1)
	v_fmaak_f64 v[28:29], v[26:27], v[28:29], 0xbfd5555555555523
	v_mul_f64_e32 v[26:27], v[26:27], v[28:29]
	v_add_f64_e64 v[28:29], v[52:53], -v[54:55]
	v_add_f64_e64 v[30:31], v[56:57], -v[32:33]
	s_delay_alu instid0(VALU_DEP_3) | instskip(NEXT) | instid1(VALU_DEP_3)
	v_fmac_f64_e32 v[22:23], v[22:23], v[26:27]
	v_add_f64_e32 v[20:21], v[20:21], v[28:29]
	s_delay_alu instid0(VALU_DEP_3) | instskip(NEXT) | instid1(VALU_DEP_3)
	v_add_f64_e64 v[24:25], v[24:25], -v[30:31]
	v_add_f64_e64 v[26:27], -v[22:23], s[38:39]
	s_delay_alu instid0(VALU_DEP_1) | instskip(NEXT) | instid1(VALU_DEP_2)
	v_dual_add_f64 v[20:21], v[20:21], v[24:25] :: v_dual_cndmask_b32 v23, v23, v27, s4
	v_dual_cndmask_b32 v22, v22, v26, s4 :: v_dual_ashrrev_i32 v26, 31, v7
	v_cmp_neq_f64_e64 s6, 0x7ff00000, v[18:19]
	v_cndmask_b32_e32 v18, 0x3fe921fb, v69, vcc_lo
	v_cndmask_b32_e32 v27, 0x54442d18, v68, vcc_lo
	s_delay_alu instid0(VALU_DEP_4)
	v_add_f64_e64 v[24:25], -v[22:23], s[40:41]
	v_and_b32_e32 v28, 0x54442d18, v26
	v_and_b32_e32 v19, 0x400921fb, v26
	v_bfi_b32 v18, 0x7fffffff, v18, v9
	v_add_f64_e32 v[20:21], v[56:57], v[20:21]
	v_cndmask_b32_e32 v22, v22, v24, vcc_lo
	s_delay_alu instid0(VALU_DEP_1) | instskip(NEXT) | instid1(VALU_DEP_3)
	v_cndmask_b32_e64 v22, v22, v28, s5
	v_mul_f64_e32 v[6:7], 0.5, v[20:21]
	v_cndmask_b32_e32 v20, v23, v25, vcc_lo
	s_and_b32 vcc_lo, s9, s10
                                        ; implicit-def: $vgpr24_vgpr25
	s_delay_alu instid0(VALU_DEP_1) | instskip(NEXT) | instid1(VALU_DEP_1)
	v_cndmask_b32_e64 v19, v20, v19, s5
	v_dual_cndmask_b32 v20, v22, v27 :: v_dual_cndmask_b32 v21, v19, v18
	s_delay_alu instid0(VALU_DEP_4)
	v_cndmask_b32_e64 v19, 0x7ff00000, v7, s6
	v_cndmask_b32_e64 v18, 0, v6, s6
.LBB167_174:                            ;   in Loop: Header=BB167_145 Depth=1
	s_and_not1_saveexec_b32 s6, s8
	s_cbranch_execz .LBB167_176
; %bb.175:                              ;   in Loop: Header=BB167_145 Depth=1
	v_max_num_f64_e64 v[18:19], |v[8:9]|, |v[8:9]|
	v_max_num_f64_e64 v[20:21], |v[6:7]|, |v[6:7]|
	v_cmp_eq_f64_e64 s5, 0, v[8:9]
	v_cmp_class_f64_e64 s8, v[8:9], 0x204
	v_cmp_class_f64_e64 s9, v[6:7], 0x204
	s_delay_alu instid0(VALU_DEP_4) | instskip(SKIP_1) | instid1(VALU_DEP_1)
	v_max_num_f64_e32 v[22:23], v[20:21], v[18:19]
	v_min_num_f64_e32 v[18:19], v[20:21], v[18:19]
	v_div_scale_f64 v[20:21], null, v[22:23], v[22:23], v[18:19]
	v_div_scale_f64 v[30:31], vcc_lo, v[18:19], v[22:23], v[18:19]
	s_delay_alu instid0(VALU_DEP_2) | instskip(SKIP_1) | instid1(TRANS32_DEP_1)
	v_rcp_f64_e32 v[26:27], v[20:21]
	v_nop
	v_fma_f64 v[28:29], -v[20:21], v[26:27], 1.0
	s_delay_alu instid0(VALU_DEP_1) | instskip(NEXT) | instid1(VALU_DEP_1)
	v_fmac_f64_e32 v[26:27], v[26:27], v[28:29]
	v_fma_f64 v[28:29], -v[20:21], v[26:27], 1.0
	s_delay_alu instid0(VALU_DEP_1) | instskip(NEXT) | instid1(VALU_DEP_1)
	v_fmac_f64_e32 v[26:27], v[26:27], v[28:29]
	v_mul_f64_e32 v[28:29], v[30:31], v[26:27]
	s_delay_alu instid0(VALU_DEP_1) | instskip(NEXT) | instid1(VALU_DEP_1)
	v_fma_f64 v[20:21], -v[20:21], v[28:29], v[30:31]
	v_div_fmas_f64 v[20:21], v[20:21], v[26:27], v[28:29]
	v_cmp_gt_i32_e32 vcc_lo, 0, v7
	v_ashrrev_i32_e32 v26, 31, v7
	v_cndmask_b32_e32 v6, 0x3fe921fb, v69, vcc_lo
	s_delay_alu instid0(VALU_DEP_2) | instskip(SKIP_2) | instid1(VALU_DEP_4)
	v_and_b32_e32 v28, 0x54442d18, v26
	v_and_b32_e32 v7, 0x400921fb, v26
	v_cndmask_b32_e32 v27, 0x54442d18, v68, vcc_lo
	v_bfi_b32 v6, 0x7fffffff, v6, v9
	v_div_fixup_f64 v[18:19], v[20:21], v[22:23], v[18:19]
	s_delay_alu instid0(VALU_DEP_1) | instskip(NEXT) | instid1(VALU_DEP_1)
	v_mul_f64_e32 v[20:21], v[18:19], v[18:19]
	v_fmamk_f64 v[22:23], v[20:21], 0x3eeba404b5e68a13, v[42:43]
	s_delay_alu instid0(VALU_DEP_1) | instskip(NEXT) | instid1(VALU_DEP_1)
	v_fmaak_f64 v[22:23], v[20:21], v[22:23], 0x3f4b2bb069efb384
	v_fmaak_f64 v[22:23], v[20:21], v[22:23], 0xbf67952daf56de9b
	s_delay_alu instid0(VALU_DEP_1) | instskip(NEXT) | instid1(VALU_DEP_1)
	v_fmaak_f64 v[22:23], v[20:21], v[22:23], 0x3f7d6d43a595c56f
	v_fmaak_f64 v[22:23], v[20:21], v[22:23], 0xbf8c6ea4a57d9582
	;; [unrolled: 3-line block ×9, first 2 shown]
	s_delay_alu instid0(VALU_DEP_1) | instskip(NEXT) | instid1(VALU_DEP_1)
	v_mul_f64_e32 v[20:21], v[20:21], v[22:23]
	v_fmac_f64_e32 v[18:19], v[18:19], v[20:21]
	s_delay_alu instid0(VALU_DEP_1) | instskip(NEXT) | instid1(VALU_DEP_1)
	v_add_f64_e64 v[20:21], -v[18:19], s[38:39]
	v_dual_cndmask_b32 v21, v19, v21, s4 :: v_dual_cndmask_b32 v20, v18, v20, s4
	v_mul_f64_e32 v[18:19], 0.5, v[24:25]
	s_delay_alu instid0(VALU_DEP_1) | instskip(NEXT) | instid1(VALU_DEP_3)
	v_mul_f64_e32 v[18:19], v[24:25], v[18:19]
	v_add_f64_e64 v[22:23], -v[20:21], s[40:41]
	s_delay_alu instid0(VALU_DEP_1) | instskip(SKIP_1) | instid1(VALU_DEP_1)
	v_dual_cndmask_b32 v20, v20, v22 :: v_dual_cndmask_b32 v21, v21, v23
	s_and_b32 vcc_lo, s8, s9
	v_dual_cndmask_b32 v20, v20, v28, s5 :: v_dual_cndmask_b32 v7, v21, v7, s5
	s_delay_alu instid0(VALU_DEP_1)
	v_dual_cndmask_b32 v20, v20, v27 :: v_dual_cndmask_b32 v21, v7, v6
.LBB167_176:                            ;   in Loop: Header=BB167_145 Depth=1
	s_or_b32 exec_lo, exec_lo, s6
.LBB167_177:                            ;   in Loop: Header=BB167_145 Depth=1
	s_delay_alu instid0(SALU_CYCLE_1)
	s_or_b32 exec_lo, exec_lo, s7
.LBB167_178:                            ;   in Loop: Header=BB167_145 Depth=1
	s_and_not1_saveexec_b32 s6, s33
	s_cbranch_execz .LBB167_180
; %bb.179:                              ;   in Loop: Header=BB167_145 Depth=1
	v_div_scale_f64 v[18:19], null, s[46:47], s[46:47], v[6:7]
	v_div_scale_f64 v[20:21], null, s[46:47], s[46:47], v[8:9]
	v_div_scale_f64 v[30:31], vcc_lo, v[6:7], s[46:47], v[6:7]
	s_delay_alu instid0(VALU_DEP_3) | instskip(NEXT) | instid1(VALU_DEP_2)
	v_rcp_f64_e32 v[22:23], v[18:19]
	v_rcp_f64_e32 v[24:25], v[20:21]
	s_delay_alu instid0(TRANS32_DEP_2) | instskip(NEXT) | instid1(TRANS32_DEP_1)
	v_fma_f64 v[26:27], -v[18:19], v[22:23], 1.0
	v_fma_f64 v[28:29], -v[20:21], v[24:25], 1.0
	s_delay_alu instid0(VALU_DEP_2) | instskip(NEXT) | instid1(VALU_DEP_2)
	v_fmac_f64_e32 v[22:23], v[22:23], v[26:27]
	v_fmac_f64_e32 v[24:25], v[24:25], v[28:29]
	s_delay_alu instid0(VALU_DEP_2) | instskip(NEXT) | instid1(VALU_DEP_2)
	v_fma_f64 v[26:27], -v[18:19], v[22:23], 1.0
	v_fma_f64 v[28:29], -v[20:21], v[24:25], 1.0
	s_delay_alu instid0(VALU_DEP_2) | instskip(SKIP_1) | instid1(VALU_DEP_3)
	v_fmac_f64_e32 v[22:23], v[22:23], v[26:27]
	v_div_scale_f64 v[26:27], s5, v[8:9], s[46:47], v[8:9]
	v_fmac_f64_e32 v[24:25], v[24:25], v[28:29]
	s_delay_alu instid0(VALU_DEP_3) | instskip(NEXT) | instid1(VALU_DEP_2)
	v_mul_f64_e32 v[28:29], v[30:31], v[22:23]
	v_mul_f64_e32 v[32:33], v[26:27], v[24:25]
	s_delay_alu instid0(VALU_DEP_2) | instskip(NEXT) | instid1(VALU_DEP_2)
	v_fma_f64 v[18:19], -v[18:19], v[28:29], v[30:31]
	v_fma_f64 v[20:21], -v[20:21], v[32:33], v[26:27]
	s_delay_alu instid0(VALU_DEP_2) | instskip(SKIP_1) | instid1(VALU_DEP_2)
	v_div_fmas_f64 v[18:19], v[18:19], v[22:23], v[28:29]
	s_mov_b32 vcc_lo, s5
	v_div_fmas_f64 v[20:21], v[20:21], v[24:25], v[32:33]
	s_delay_alu instid0(VALU_DEP_2) | instskip(NEXT) | instid1(VALU_DEP_2)
	v_div_fixup_f64 v[18:19], v[18:19], s[46:47], v[6:7]
	v_div_fixup_f64 v[20:21], v[20:21], s[46:47], v[8:9]
	s_delay_alu instid0(VALU_DEP_2) | instskip(NEXT) | instid1(VALU_DEP_2)
	v_cmp_class_f64_e64 s5, v[18:19], 0x204
	v_max_num_f64_e64 v[22:23], |v[18:19]|, |v[20:21]|
	v_cmp_class_f64_e64 s7, v[20:21], 0x204
	s_delay_alu instid0(VALU_DEP_2) | instskip(SKIP_2) | instid1(VALU_DEP_2)
	v_frexp_exp_i32_f64_e32 v30, v[22:23]
	s_or_b32 s5, s7, s5
	v_cmp_class_f64_e64 s7, v[6:7], 0x204
	v_sub_nc_u32_e32 v24, 0, v30
	s_delay_alu instid0(VALU_DEP_1) | instskip(SKIP_1) | instid1(VALU_DEP_2)
	v_ldexp_f64 v[22:23], |v[20:21]|, v24
	v_ldexp_f64 v[24:25], |v[18:19]|, v24
	v_mul_f64_e32 v[22:23], v[22:23], v[22:23]
	s_delay_alu instid0(VALU_DEP_1) | instskip(NEXT) | instid1(VALU_DEP_1)
	v_fmac_f64_e32 v[22:23], v[24:25], v[24:25]
	v_rsq_f64_e32 v[24:25], v[22:23]
	v_cmp_eq_f64_e32 vcc_lo, 0, v[22:23]
	s_delay_alu instid0(TRANS32_DEP_1) | instskip(SKIP_1) | instid1(VALU_DEP_1)
	v_mul_f64_e32 v[26:27], v[22:23], v[24:25]
	v_mul_f64_e32 v[24:25], 0.5, v[24:25]
	v_fma_f64 v[28:29], -v[24:25], v[26:27], 0.5
	s_delay_alu instid0(VALU_DEP_1) | instskip(SKIP_1) | instid1(VALU_DEP_2)
	v_fmac_f64_e32 v[26:27], v[26:27], v[28:29]
	v_fmac_f64_e32 v[24:25], v[24:25], v[28:29]
	v_fma_f64 v[28:29], -v[26:27], v[26:27], v[22:23]
	s_delay_alu instid0(VALU_DEP_1) | instskip(NEXT) | instid1(VALU_DEP_1)
	v_fmac_f64_e32 v[26:27], v[28:29], v[24:25]
	v_dual_cndmask_b32 v23, v27, v23 :: v_dual_cndmask_b32 v22, v26, v22
	v_cmp_o_f64_e32 vcc_lo, v[18:19], v[20:21]
	s_delay_alu instid0(VALU_DEP_2) | instskip(NEXT) | instid1(VALU_DEP_1)
	v_ldexp_f64 v[22:23], v[22:23], v30
	v_cndmask_b32_e32 v18, 0, v22, vcc_lo
	s_delay_alu instid0(VALU_DEP_2) | instskip(NEXT) | instid1(VALU_DEP_2)
	v_cndmask_b32_e32 v19, 0x7ff80000, v23, vcc_lo
	v_cndmask_b32_e64 v22, v18, 0, s5
	s_delay_alu instid0(VALU_DEP_2) | instskip(SKIP_1) | instid1(VALU_DEP_2)
	v_cndmask_b32_e64 v23, v19, 0x7ff00000, s5
	v_cmp_class_f64_e64 s5, v[8:9], 0x204
	v_frexp_mant_f64_e32 v[18:19], v[22:23]
	v_frexp_exp_i32_f64_e32 v37, v[22:23]
	s_delay_alu instid0(VALU_DEP_2) | instskip(SKIP_1) | instid1(VALU_DEP_3)
	v_cmp_gt_f64_e32 vcc_lo, s[28:29], v[18:19]
	v_cndmask_b32_e64 v20, 0, 1, vcc_lo
	v_subrev_co_ci_u32_e64 v37, null, 0, v37, vcc_lo
	s_delay_alu instid0(VALU_DEP_2) | instskip(NEXT) | instid1(VALU_DEP_1)
	v_ldexp_f64 v[18:19], v[18:19], v20
	v_add_f64_e32 v[20:21], 1.0, v[18:19]
	v_add_f64_e32 v[28:29], -1.0, v[18:19]
	s_delay_alu instid0(VALU_DEP_2) | instskip(SKIP_1) | instid1(VALU_DEP_1)
	v_rcp_f64_e32 v[24:25], v[20:21]
	v_add_f64_e32 v[30:31], -1.0, v[20:21]
	v_add_f64_e64 v[18:19], v[18:19], -v[30:31]
	s_delay_alu instid0(TRANS32_DEP_1) | instskip(NEXT) | instid1(VALU_DEP_1)
	v_fma_f64 v[26:27], -v[20:21], v[24:25], 1.0
	v_fmac_f64_e32 v[24:25], v[26:27], v[24:25]
	s_delay_alu instid0(VALU_DEP_1) | instskip(NEXT) | instid1(VALU_DEP_1)
	v_fma_f64 v[26:27], -v[20:21], v[24:25], 1.0
	v_fmac_f64_e32 v[24:25], v[26:27], v[24:25]
	s_delay_alu instid0(VALU_DEP_1) | instskip(NEXT) | instid1(VALU_DEP_1)
	v_mul_f64_e32 v[26:27], v[28:29], v[24:25]
	v_mul_f64_e32 v[32:33], v[20:21], v[26:27]
	s_delay_alu instid0(VALU_DEP_1) | instskip(NEXT) | instid1(VALU_DEP_1)
	v_fma_f64 v[20:21], v[26:27], v[20:21], -v[32:33]
	v_fmac_f64_e32 v[20:21], v[26:27], v[18:19]
	s_delay_alu instid0(VALU_DEP_1) | instskip(NEXT) | instid1(VALU_DEP_1)
	v_add_f64_e32 v[18:19], v[32:33], v[20:21]
	v_add_f64_e64 v[30:31], v[28:29], -v[18:19]
	v_add_f64_e64 v[32:33], v[18:19], -v[32:33]
	s_delay_alu instid0(VALU_DEP_2) | instskip(NEXT) | instid1(VALU_DEP_2)
	v_add_f64_e64 v[28:29], v[28:29], -v[30:31]
	v_add_f64_e64 v[20:21], v[32:33], -v[20:21]
	s_delay_alu instid0(VALU_DEP_2) | instskip(SKIP_1) | instid1(VALU_DEP_2)
	v_add_f64_e64 v[18:19], v[28:29], -v[18:19]
	v_max_num_f64_e64 v[28:29], |v[6:7]|, |v[6:7]|
	v_add_f64_e32 v[18:19], v[20:21], v[18:19]
	v_max_num_f64_e64 v[20:21], |v[8:9]|, |v[8:9]|
	s_delay_alu instid0(VALU_DEP_2) | instskip(NEXT) | instid1(VALU_DEP_1)
	v_add_f64_e32 v[18:19], v[30:31], v[18:19]
	v_mul_f64_e32 v[18:19], v[24:25], v[18:19]
	s_delay_alu instid0(VALU_DEP_3) | instskip(SKIP_1) | instid1(VALU_DEP_3)
	v_max_num_f64_e32 v[24:25], v[28:29], v[20:21]
	v_min_num_f64_e32 v[20:21], v[28:29], v[20:21]
	v_add_f64_e32 v[28:29], v[26:27], v[18:19]
	s_delay_alu instid0(VALU_DEP_2) | instskip(NEXT) | instid1(VALU_DEP_2)
	v_div_scale_f64 v[30:31], null, v[24:25], v[24:25], v[20:21]
	v_mul_f64_e32 v[32:33], v[28:29], v[28:29]
	v_add_f64_e64 v[26:27], v[28:29], -v[26:27]
	s_delay_alu instid0(VALU_DEP_3) | instskip(NEXT) | instid1(VALU_DEP_2)
	v_rcp_f64_e32 v[52:53], v[30:31]
	v_fmamk_f64 v[54:55], v[32:33], 0x3fc3ab76bf559e2b, v[40:41]
	v_mul_f64_e32 v[56:57], v[28:29], v[32:33]
	s_delay_alu instid0(VALU_DEP_3) | instskip(NEXT) | instid1(VALU_DEP_3)
	v_add_f64_e64 v[18:19], v[18:19], -v[26:27]
	v_fmaak_f64 v[54:55], v[32:33], v[54:55], 0x3fc7474dd7f4df2e
	s_delay_alu instid0(TRANS32_DEP_1) | instskip(NEXT) | instid1(VALU_DEP_2)
	v_fma_f64 v[58:59], -v[30:31], v[52:53], 1.0
	v_fmaak_f64 v[54:55], v[32:33], v[54:55], 0x3fcc71c016291751
	s_delay_alu instid0(VALU_DEP_1) | instskip(NEXT) | instid1(VALU_DEP_1)
	v_fmaak_f64 v[54:55], v[32:33], v[54:55], 0x3fd249249b27acf1
	v_fmaak_f64 v[54:55], v[32:33], v[54:55], 0x3fd99999998ef7b6
	v_ldexp_f64 v[18:19], v[18:19], 1
	s_delay_alu instid0(VALU_DEP_2) | instskip(SKIP_2) | instid1(VALU_DEP_3)
	v_fmaak_f64 v[32:33], v[32:33], v[54:55], 0x3fe5555555555780
	v_ldexp_f64 v[54:55], v[28:29], 1
	v_fmac_f64_e32 v[52:53], v[52:53], v[58:59]
	v_mul_f64_e32 v[32:33], v[56:57], v[32:33]
	v_cvt_f64_i32_e32 v[56:57], v37
	s_delay_alu instid0(VALU_DEP_3) | instskip(NEXT) | instid1(VALU_DEP_3)
	v_fma_f64 v[58:59], -v[30:31], v[52:53], 1.0
	v_add_f64_e32 v[28:29], v[54:55], v[32:33]
	s_delay_alu instid0(VALU_DEP_3) | instskip(NEXT) | instid1(VALU_DEP_3)
	v_mul_f64_e32 v[60:61], 0x3fe62e42fefa39ef, v[56:57]
	v_fmac_f64_e32 v[52:53], v[52:53], v[58:59]
	s_delay_alu instid0(VALU_DEP_3) | instskip(SKIP_1) | instid1(VALU_DEP_4)
	v_add_f64_e64 v[26:27], v[28:29], -v[54:55]
	v_div_scale_f64 v[54:55], vcc_lo, v[20:21], v[24:25], v[20:21]
	v_fma_f64 v[58:59], v[56:57], s[30:31], -v[60:61]
	s_delay_alu instid0(VALU_DEP_3) | instskip(NEXT) | instid1(VALU_DEP_3)
	v_add_f64_e64 v[26:27], v[32:33], -v[26:27]
	v_mul_f64_e32 v[32:33], v[54:55], v[52:53]
	s_delay_alu instid0(VALU_DEP_3) | instskip(NEXT) | instid1(VALU_DEP_3)
	v_fmac_f64_e32 v[58:59], 0x3c7abc9e3b39803f, v[56:57]
	v_add_f64_e32 v[18:19], v[18:19], v[26:27]
	s_delay_alu instid0(VALU_DEP_3) | instskip(NEXT) | instid1(VALU_DEP_3)
	v_fma_f64 v[26:27], -v[30:31], v[32:33], v[54:55]
	v_add_f64_e32 v[30:31], v[60:61], v[58:59]
	s_delay_alu instid0(VALU_DEP_3) | instskip(NEXT) | instid1(VALU_DEP_3)
	v_add_f64_e32 v[54:55], v[28:29], v[18:19]
	v_div_fmas_f64 v[26:27], v[26:27], v[52:53], v[32:33]
	v_cmp_class_f64_e64 vcc_lo, v[22:23], 0x204
	s_delay_alu instid0(VALU_DEP_4) | instskip(NEXT) | instid1(VALU_DEP_4)
	v_add_f64_e64 v[52:53], v[30:31], -v[60:61]
	v_add_f64_e32 v[32:33], v[30:31], v[54:55]
	s_delay_alu instid0(VALU_DEP_4) | instskip(SKIP_1) | instid1(VALU_DEP_4)
	v_div_fixup_f64 v[20:21], v[26:27], v[24:25], v[20:21]
	v_add_f64_e64 v[28:29], v[54:55], -v[28:29]
	v_add_f64_e64 v[52:53], v[58:59], -v[52:53]
	s_delay_alu instid0(VALU_DEP_4) | instskip(NEXT) | instid1(VALU_DEP_4)
	v_add_f64_e64 v[24:25], v[32:33], -v[30:31]
	v_mul_f64_e32 v[26:27], v[20:21], v[20:21]
	s_delay_alu instid0(VALU_DEP_4) | instskip(NEXT) | instid1(VALU_DEP_3)
	v_add_f64_e64 v[18:19], v[18:19], -v[28:29]
	v_add_f64_e64 v[56:57], v[32:33], -v[24:25]
	s_delay_alu instid0(VALU_DEP_3) | instskip(SKIP_1) | instid1(VALU_DEP_4)
	v_fmamk_f64 v[60:61], v[26:27], 0x3eeba404b5e68a13, v[42:43]
	v_add_f64_e64 v[24:25], v[54:55], -v[24:25]
	v_add_f64_e32 v[54:55], v[52:53], v[18:19]
	s_delay_alu instid0(VALU_DEP_3) | instskip(SKIP_1) | instid1(VALU_DEP_2)
	v_fmaak_f64 v[60:61], v[26:27], v[60:61], 0x3f4b2bb069efb384
	v_add_f64_e64 v[28:29], v[30:31], -v[56:57]
	v_fmaak_f64 v[30:31], v[26:27], v[60:61], 0xbf67952daf56de9b
	s_delay_alu instid0(VALU_DEP_1) | instskip(NEXT) | instid1(VALU_DEP_1)
	v_fmaak_f64 v[30:31], v[26:27], v[30:31], 0x3f7d6d43a595c56f
	v_fmaak_f64 v[30:31], v[26:27], v[30:31], 0xbf8c6ea4a57d9582
	s_delay_alu instid0(VALU_DEP_1) | instskip(SKIP_1) | instid1(VALU_DEP_2)
	v_fmaak_f64 v[30:31], v[26:27], v[30:31], 0x3f967e295f08b19f
	v_add_f64_e32 v[24:25], v[24:25], v[28:29]
	v_fmaak_f64 v[28:29], v[26:27], v[30:31], 0xbf9e9ae6fc27006a
	v_add_f64_e64 v[30:31], v[54:55], -v[52:53]
	s_delay_alu instid0(VALU_DEP_2) | instskip(NEXT) | instid1(VALU_DEP_1)
	v_fmaak_f64 v[28:29], v[26:27], v[28:29], 0x3fa2c15b5711927a
	v_fmaak_f64 v[28:29], v[26:27], v[28:29], 0xbfa59976e82d3ff0
	s_delay_alu instid0(VALU_DEP_1) | instskip(NEXT) | instid1(VALU_DEP_1)
	v_fmaak_f64 v[28:29], v[26:27], v[28:29], 0x3fa82d5d6ef28734
	v_fmaak_f64 v[28:29], v[26:27], v[28:29], 0xbfaae5ce6a214619
	v_add_f64_e32 v[24:25], v[54:55], v[24:25]
	v_add_f64_e64 v[54:55], v[54:55], -v[30:31]
	v_add_f64_e64 v[18:19], v[18:19], -v[30:31]
	s_delay_alu instid0(VALU_DEP_4) | instskip(NEXT) | instid1(VALU_DEP_1)
	v_fmaak_f64 v[28:29], v[26:27], v[28:29], 0x3fae1bb48427b883
	v_fmaak_f64 v[28:29], v[26:27], v[28:29], 0xbfb110e48b207f05
	s_delay_alu instid0(VALU_DEP_1) | instskip(NEXT) | instid1(VALU_DEP_1)
	v_fmaak_f64 v[28:29], v[26:27], v[28:29], 0x3fb3b13657b87036
	v_fmaak_f64 v[28:29], v[26:27], v[28:29], 0xbfb745d119378e4f
	s_delay_alu instid0(VALU_DEP_1) | instskip(SKIP_1) | instid1(VALU_DEP_2)
	v_fmaak_f64 v[28:29], v[26:27], v[28:29], 0x3fbc71c717e1913c
	v_add_f64_e32 v[56:57], v[32:33], v[24:25]
	v_fmaak_f64 v[28:29], v[26:27], v[28:29], 0xbfc2492492376b7d
	s_delay_alu instid0(VALU_DEP_1) | instskip(NEXT) | instid1(VALU_DEP_1)
	v_fmaak_f64 v[28:29], v[26:27], v[28:29], 0x3fc99999999952cc
	v_fmaak_f64 v[28:29], v[26:27], v[28:29], 0xbfd5555555555523
	s_delay_alu instid0(VALU_DEP_1) | instskip(SKIP_2) | instid1(VALU_DEP_3)
	v_mul_f64_e32 v[26:27], v[26:27], v[28:29]
	v_add_f64_e64 v[28:29], v[52:53], -v[54:55]
	v_add_f64_e64 v[30:31], v[56:57], -v[32:33]
	v_fmac_f64_e32 v[20:21], v[20:21], v[26:27]
	s_delay_alu instid0(VALU_DEP_3) | instskip(NEXT) | instid1(VALU_DEP_3)
	v_add_f64_e32 v[18:19], v[18:19], v[28:29]
	v_add_f64_e64 v[24:25], v[24:25], -v[30:31]
	s_delay_alu instid0(VALU_DEP_3) | instskip(NEXT) | instid1(VALU_DEP_1)
	v_add_f64_e64 v[26:27], -v[20:21], s[38:39]
	v_dual_add_f64 v[18:19], v[18:19], v[24:25] :: v_dual_cndmask_b32 v21, v21, v27, s4
	s_delay_alu instid0(VALU_DEP_2) | instskip(SKIP_2) | instid1(VALU_DEP_4)
	v_cndmask_b32_e64 v20, v20, v26, s4
	v_cmp_gt_i32_e64 s4, 0, v7
	v_ashrrev_i32_e32 v26, 31, v7
	v_add_f64_e32 v[18:19], v[56:57], v[18:19]
	s_delay_alu instid0(VALU_DEP_4) | instskip(NEXT) | instid1(VALU_DEP_4)
	v_add_f64_e64 v[24:25], -v[20:21], s[40:41]
	v_cndmask_b32_e64 v27, 0x54442d18, v68, s4
	v_cndmask_b32_e64 v6, 0x3fe921fb, v69, s4
	v_and_b32_e32 v28, 0x54442d18, v26
	v_and_b32_e32 v7, 0x400921fb, v26
	s_delay_alu instid0(VALU_DEP_3) | instskip(SKIP_4) | instid1(VALU_DEP_2)
	v_bfi_b32 v6, 0x7fffffff, v6, v9
	v_dual_cndmask_b32 v19, v19, v23 :: v_dual_cndmask_b32 v18, v18, v22
	v_cmp_eq_f64_e32 vcc_lo, 0, v[8:9]
	v_dual_cndmask_b32 v20, v20, v24, s4 :: v_dual_cndmask_b32 v21, v21, v25, s4
	v_cmp_nge_f64_e64 s4, 0, v[22:23]
	v_dual_add_f64 v[18:19], 1.0, v[18:19] :: v_dual_cndmask_b32 v20, v20, v28, vcc_lo
	s_delay_alu instid0(VALU_DEP_3) | instskip(SKIP_1) | instid1(VALU_DEP_3)
	v_cndmask_b32_e32 v7, v21, v7, vcc_lo
	v_cmp_ngt_f64_e32 vcc_lo, 0, v[22:23]
	v_cndmask_b32_e64 v18, 0, v18, s4
	v_cmp_neq_f64_e64 s4, 0, v[22:23]
	v_cndmask_b32_e32 v19, 0x7ff80000, v19, vcc_lo
	s_and_b32 vcc_lo, s5, s7
	v_dual_cndmask_b32 v21, v7, v6 :: v_dual_cndmask_b32 v20, v20, v27
	s_delay_alu instid0(VALU_DEP_2)
	v_cndmask_b32_e64 v19, 0xfff00000, v19, s4
.LBB167_180:                            ;   in Loop: Header=BB167_145 Depth=1
	s_or_b32 exec_lo, exec_lo, s6
.LBB167_181:                            ;   in Loop: Header=BB167_145 Depth=1
	s_and_not1_saveexec_b32 s4, s15
	s_cbranch_execz .LBB167_187
; %bb.182:                              ;   in Loop: Header=BB167_145 Depth=1
	v_cmp_ngt_f64_e64 s5, 0x20000000, |v[6:7]|
	v_cmp_ngt_f64_e64 s6, 0x20000000, |v[8:9]|
                                        ; implicit-def: $vgpr22_vgpr23
	s_or_b32 s5, s6, s5
	s_delay_alu instid0(SALU_CYCLE_1) | instskip(NEXT) | instid1(SALU_CYCLE_1)
	s_and_saveexec_b32 s6, s5
	s_xor_b32 s5, exec_lo, s6
	s_cbranch_execz .LBB167_184
; %bb.183:                              ;   in Loop: Header=BB167_145 Depth=1
	v_mul_f64_e32 v[22:23], v[6:7], v[6:7]
	s_delay_alu instid0(VALU_DEP_1)
	v_fmac_f64_e32 v[22:23], v[8:9], v[8:9]
.LBB167_184:                            ;   in Loop: Header=BB167_145 Depth=1
	s_and_not1_saveexec_b32 s5, s5
	s_cbranch_execz .LBB167_186
; %bb.185:                              ;   in Loop: Header=BB167_145 Depth=1
	v_mul_f64_e32 v[6:7], 4.0, v[6:7]
	v_mul_f64_e32 v[18:19], 4.0, v[8:9]
	s_delay_alu instid0(VALU_DEP_2) | instskip(NEXT) | instid1(VALU_DEP_1)
	v_mul_f64_e32 v[6:7], v[6:7], v[6:7]
	v_fmac_f64_e32 v[6:7], v[18:19], v[18:19]
	s_delay_alu instid0(VALU_DEP_1)
	v_ldexp_f64 v[22:23], v[6:7], -4
.LBB167_186:                            ;   in Loop: Header=BB167_145 Depth=1
	s_or_b32 exec_lo, exec_lo, s5
	s_delay_alu instid0(VALU_DEP_1) | instskip(NEXT) | instid1(VALU_DEP_1)
	v_frexp_mant_f64_e32 v[6:7], v[22:23]
	v_cmp_gt_f64_e32 vcc_lo, s[28:29], v[6:7]
	v_cndmask_b32_e64 v8, 0, 1, vcc_lo
	s_delay_alu instid0(VALU_DEP_1) | instskip(SKIP_1) | instid1(VALU_DEP_2)
	v_ldexp_f64 v[6:7], v[6:7], v8
	v_frexp_exp_i32_f64_e32 v8, v[22:23]
	v_add_f64_e32 v[18:19], 1.0, v[6:7]
	v_add_f64_e32 v[26:27], -1.0, v[6:7]
	s_delay_alu instid0(VALU_DEP_3) | instskip(SKIP_1) | instid1(VALU_DEP_4)
	v_subrev_co_ci_u32_e64 v8, null, 0, v8, vcc_lo
	v_cmp_class_f64_e64 vcc_lo, v[22:23], 0x204
	v_rcp_f64_e32 v[20:21], v[18:19]
	v_add_f64_e32 v[28:29], -1.0, v[18:19]
	s_delay_alu instid0(VALU_DEP_1) | instskip(NEXT) | instid1(TRANS32_DEP_1)
	v_add_f64_e64 v[6:7], v[6:7], -v[28:29]
	v_fma_f64 v[24:25], -v[18:19], v[20:21], 1.0
	s_delay_alu instid0(VALU_DEP_1) | instskip(NEXT) | instid1(VALU_DEP_1)
	v_fmac_f64_e32 v[20:21], v[24:25], v[20:21]
	v_fma_f64 v[24:25], -v[18:19], v[20:21], 1.0
	s_delay_alu instid0(VALU_DEP_1) | instskip(NEXT) | instid1(VALU_DEP_1)
	v_fmac_f64_e32 v[20:21], v[24:25], v[20:21]
	v_mul_f64_e32 v[24:25], v[26:27], v[20:21]
	s_delay_alu instid0(VALU_DEP_1) | instskip(NEXT) | instid1(VALU_DEP_1)
	v_mul_f64_e32 v[30:31], v[18:19], v[24:25]
	v_fma_f64 v[18:19], v[24:25], v[18:19], -v[30:31]
	s_delay_alu instid0(VALU_DEP_1) | instskip(NEXT) | instid1(VALU_DEP_1)
	v_fmac_f64_e32 v[18:19], v[24:25], v[6:7]
	v_add_f64_e32 v[6:7], v[30:31], v[18:19]
	s_delay_alu instid0(VALU_DEP_1) | instskip(SKIP_1) | instid1(VALU_DEP_2)
	v_add_f64_e64 v[28:29], v[26:27], -v[6:7]
	v_add_f64_e64 v[30:31], v[6:7], -v[30:31]
	;; [unrolled: 1-line block ×3, first 2 shown]
	s_delay_alu instid0(VALU_DEP_2) | instskip(NEXT) | instid1(VALU_DEP_2)
	v_add_f64_e64 v[18:19], v[30:31], -v[18:19]
	v_add_f64_e64 v[6:7], v[26:27], -v[6:7]
	s_delay_alu instid0(VALU_DEP_1) | instskip(NEXT) | instid1(VALU_DEP_1)
	v_add_f64_e32 v[6:7], v[18:19], v[6:7]
	v_add_f64_e32 v[6:7], v[28:29], v[6:7]
	s_delay_alu instid0(VALU_DEP_1) | instskip(NEXT) | instid1(VALU_DEP_1)
	v_mul_f64_e32 v[6:7], v[20:21], v[6:7]
	v_add_f64_e32 v[18:19], v[24:25], v[6:7]
	s_delay_alu instid0(VALU_DEP_1) | instskip(NEXT) | instid1(VALU_DEP_1)
	v_mul_f64_e32 v[20:21], v[18:19], v[18:19]
	v_fmamk_f64 v[26:27], v[20:21], 0x3fc3ab76bf559e2b, v[40:41]
	v_mul_f64_e32 v[28:29], v[18:19], v[20:21]
	s_delay_alu instid0(VALU_DEP_2) | instskip(NEXT) | instid1(VALU_DEP_1)
	v_fmaak_f64 v[26:27], v[20:21], v[26:27], 0x3fc7474dd7f4df2e
	v_fmaak_f64 v[26:27], v[20:21], v[26:27], 0x3fcc71c016291751
	s_delay_alu instid0(VALU_DEP_1) | instskip(NEXT) | instid1(VALU_DEP_1)
	v_fmaak_f64 v[26:27], v[20:21], v[26:27], 0x3fd249249b27acf1
	v_fmaak_f64 v[26:27], v[20:21], v[26:27], 0x3fd99999998ef7b6
	s_delay_alu instid0(VALU_DEP_1) | instskip(SKIP_2) | instid1(VALU_DEP_3)
	v_fmaak_f64 v[20:21], v[20:21], v[26:27], 0x3fe5555555555780
	v_ldexp_f64 v[26:27], v[18:19], 1
	v_add_f64_e64 v[18:19], v[18:19], -v[24:25]
	v_mul_f64_e32 v[20:21], v[28:29], v[20:21]
	v_cvt_f64_i32_e32 v[28:29], v8
	s_delay_alu instid0(VALU_DEP_3) | instskip(NEXT) | instid1(VALU_DEP_3)
	v_add_f64_e64 v[6:7], v[6:7], -v[18:19]
	v_add_f64_e32 v[24:25], v[26:27], v[20:21]
	s_delay_alu instid0(VALU_DEP_3) | instskip(NEXT) | instid1(VALU_DEP_3)
	v_mul_f64_e32 v[30:31], 0x3fe62e42fefa39ef, v[28:29]
	v_ldexp_f64 v[6:7], v[6:7], 1
	s_delay_alu instid0(VALU_DEP_3) | instskip(NEXT) | instid1(VALU_DEP_3)
	v_add_f64_e64 v[18:19], v[24:25], -v[26:27]
	v_fma_f64 v[26:27], v[28:29], s[30:31], -v[30:31]
	s_delay_alu instid0(VALU_DEP_2) | instskip(NEXT) | instid1(VALU_DEP_2)
	v_add_f64_e64 v[18:19], v[20:21], -v[18:19]
	v_fmac_f64_e32 v[26:27], 0x3c7abc9e3b39803f, v[28:29]
	s_delay_alu instid0(VALU_DEP_2) | instskip(NEXT) | instid1(VALU_DEP_2)
	v_add_f64_e32 v[6:7], v[6:7], v[18:19]
	v_add_f64_e32 v[18:19], v[30:31], v[26:27]
	s_delay_alu instid0(VALU_DEP_2) | instskip(NEXT) | instid1(VALU_DEP_2)
	v_add_f64_e32 v[20:21], v[24:25], v[6:7]
	v_add_f64_e64 v[30:31], v[18:19], -v[30:31]
	s_delay_alu instid0(VALU_DEP_2) | instskip(SKIP_1) | instid1(VALU_DEP_3)
	v_add_f64_e32 v[28:29], v[18:19], v[20:21]
	v_add_f64_e64 v[24:25], v[20:21], -v[24:25]
	v_add_f64_e64 v[26:27], v[26:27], -v[30:31]
	s_delay_alu instid0(VALU_DEP_3) | instskip(NEXT) | instid1(VALU_DEP_3)
	v_add_f64_e64 v[32:33], v[28:29], -v[18:19]
	v_add_f64_e64 v[6:7], v[6:7], -v[24:25]
	s_delay_alu instid0(VALU_DEP_2) | instskip(SKIP_1) | instid1(VALU_DEP_3)
	v_add_f64_e64 v[52:53], v[28:29], -v[32:33]
	v_add_f64_e64 v[20:21], v[20:21], -v[32:33]
	v_add_f64_e32 v[24:25], v[26:27], v[6:7]
	s_delay_alu instid0(VALU_DEP_3) | instskip(NEXT) | instid1(VALU_DEP_1)
	v_add_f64_e64 v[18:19], v[18:19], -v[52:53]
	v_add_f64_e32 v[18:19], v[20:21], v[18:19]
	s_delay_alu instid0(VALU_DEP_3) | instskip(NEXT) | instid1(VALU_DEP_2)
	v_add_f64_e64 v[20:21], v[24:25], -v[26:27]
	v_add_f64_e32 v[18:19], v[24:25], v[18:19]
	s_delay_alu instid0(VALU_DEP_2) | instskip(SKIP_1) | instid1(VALU_DEP_3)
	v_add_f64_e64 v[24:25], v[24:25], -v[20:21]
	v_add_f64_e64 v[6:7], v[6:7], -v[20:21]
	v_add_f64_e32 v[30:31], v[28:29], v[18:19]
	s_delay_alu instid0(VALU_DEP_3) | instskip(NEXT) | instid1(VALU_DEP_2)
	v_add_f64_e64 v[20:21], v[26:27], -v[24:25]
	v_add_f64_e64 v[24:25], v[30:31], -v[28:29]
	s_delay_alu instid0(VALU_DEP_2) | instskip(SKIP_1) | instid1(VALU_DEP_3)
	v_add_f64_e32 v[6:7], v[6:7], v[20:21]
	v_mov_b64_e32 v[20:21], 0x7ff8000000000000
	v_add_f64_e64 v[18:19], v[18:19], -v[24:25]
	s_delay_alu instid0(VALU_DEP_1) | instskip(NEXT) | instid1(VALU_DEP_1)
	v_add_f64_e32 v[6:7], v[6:7], v[18:19]
	v_add_f64_e32 v[6:7], v[30:31], v[6:7]
	s_delay_alu instid0(VALU_DEP_1) | instskip(SKIP_1) | instid1(VALU_DEP_2)
	v_dual_cndmask_b32 v6, v6, v22 :: v_dual_cndmask_b32 v7, v7, v23
	v_cmp_ngt_f64_e32 vcc_lo, 0, v[22:23]
	v_cndmask_b32_e32 v7, 0x7ff80000, v7, vcc_lo
	v_cmp_nge_f64_e32 vcc_lo, 0, v[22:23]
	s_delay_alu instid0(VALU_DEP_4) | instskip(SKIP_1) | instid1(VALU_DEP_4)
	v_cndmask_b32_e32 v18, 0, v6, vcc_lo
	v_cmp_neq_f64_e32 vcc_lo, 0, v[22:23]
	v_cndmask_b32_e32 v19, 0xfff00000, v7, vcc_lo
.LBB167_187:                            ;   in Loop: Header=BB167_145 Depth=1
	s_or_b32 exec_lo, exec_lo, s4
                                        ; implicit-def: $vgpr22_vgpr23
	s_delay_alu instid0(SALU_CYCLE_1)
	s_mov_b32 s4, exec_lo
	v_cmpx_o_f64_e32 v[2:3], v[4:5]
	s_xor_b32 s15, exec_lo, s4
	s_cbranch_execz .LBB167_215
; %bb.188:                              ;   in Loop: Header=BB167_145 Depth=1
	v_cmp_lt_f64_e64 s4, |v[2:3]|, |v[4:5]|
	v_and_b32_e32 v8, 0x7fffffff, v3
	v_and_b32_e32 v7, 0x7fffffff, v5
	v_mov_b32_e32 v6, v4
                                        ; implicit-def: $vgpr22_vgpr23
	s_mov_b32 s5, exec_lo
	s_delay_alu instid0(VALU_DEP_2) | instskip(NEXT) | instid1(VALU_DEP_1)
	v_dual_cndmask_b32 v27, v7, v8, s4 :: v_dual_cndmask_b32 v26, v4, v2, s4
	v_cmpx_nlt_f64_e32 s[22:23], v[26:27]
	s_xor_b32 s33, exec_lo, s5
	s_cbranch_execz .LBB167_212
; %bb.189:                              ;   in Loop: Header=BB167_145 Depth=1
	v_dual_cndmask_b32 v29, v8, v7, s4 :: v_dual_cndmask_b32 v28, v2, v6, s4
                                        ; implicit-def: $vgpr22_vgpr23
	s_mov_b32 s5, exec_lo
	s_delay_alu instid0(VALU_DEP_1)
	v_cmpx_neq_f64_e32 1.0, v[28:29]
	s_xor_b32 s52, exec_lo, s5
	s_cbranch_execz .LBB167_205
; %bb.190:                              ;   in Loop: Header=BB167_145 Depth=1
	v_max_num_f64_e32 v[6:7], v[26:27], v[26:27]
	v_max_num_f64_e32 v[22:23], v[28:29], v[28:29]
	s_delay_alu instid0(VALU_DEP_1) | instskip(SKIP_1) | instid1(VALU_DEP_2)
	v_min_num_f64_e32 v[24:25], v[22:23], v[6:7]
	v_max_num_f64_e32 v[6:7], v[22:23], v[6:7]
	v_cmp_ngt_f64_e32 vcc_lo, s[24:25], v[24:25]
	s_delay_alu instid0(VALU_DEP_2) | instskip(SKIP_1) | instid1(SALU_CYCLE_1)
	v_cmp_nlt_f64_e64 s5, s[26:27], v[6:7]
                                        ; implicit-def: $vgpr22_vgpr23
	s_and_b32 s5, s5, vcc_lo
	s_and_saveexec_b32 s6, s5
	s_delay_alu instid0(SALU_CYCLE_1)
	s_xor_b32 s53, exec_lo, s6
	s_cbranch_execz .LBB167_202
; %bb.191:                              ;   in Loop: Header=BB167_145 Depth=1
                                        ; implicit-def: $vgpr22_vgpr23
	s_mov_b32 s5, exec_lo
	v_cmpx_le_f64_e32 1.0, v[28:29]
	s_xor_b32 s8, exec_lo, s5
	s_cbranch_execz .LBB167_193
; %bb.192:                              ;   in Loop: Header=BB167_145 Depth=1
	v_add_f64_e32 v[6:7], -1.0, v[28:29]
	v_add_f64_e32 v[22:23], 1.0, v[28:29]
	v_cmp_eq_f64_e64 s5, 0, v[4:5]
	v_cmp_class_f64_e64 s10, v[2:3], 0x204
	v_cmp_class_f64_e64 s9, v[4:5], 0x204
	s_delay_alu instid0(VALU_DEP_4) | instskip(NEXT) | instid1(VALU_DEP_1)
	v_mul_f64_e32 v[6:7], v[6:7], v[22:23]
	v_fmac_f64_e32 v[6:7], v[26:27], v[26:27]
	s_delay_alu instid0(VALU_DEP_1) | instskip(SKIP_2) | instid1(VALU_DEP_3)
	v_add_f64_e32 v[22:23], 1.0, v[6:7]
	v_cmp_nge_f64_e64 s6, -1.0, v[6:7]
	v_cmp_neq_f64_e64 s7, 0x7ff00000, v[6:7]
	v_frexp_mant_f64_e32 v[24:25], v[22:23]
	v_frexp_exp_i32_f64_e32 v8, v[22:23]
	v_add_f64_e32 v[26:27], -1.0, v[22:23]
	s_delay_alu instid0(VALU_DEP_3) | instskip(NEXT) | instid1(VALU_DEP_2)
	v_cmp_gt_f64_e32 vcc_lo, s[28:29], v[24:25]
	v_add_f64_e64 v[24:25], v[26:27], -v[22:23]
	v_add_f64_e64 v[26:27], v[6:7], -v[26:27]
	v_subrev_co_ci_u32_e64 v8, null, 0, v8, vcc_lo
	s_delay_alu instid0(VALU_DEP_3) | instskip(NEXT) | instid1(VALU_DEP_2)
	v_add_f64_e32 v[24:25], 1.0, v[24:25]
	v_sub_nc_u32_e32 v30, 0, v8
	s_delay_alu instid0(VALU_DEP_1) | instskip(NEXT) | instid1(VALU_DEP_3)
	v_ldexp_f64 v[22:23], v[22:23], v30
	v_add_f64_e32 v[24:25], v[26:27], v[24:25]
	s_delay_alu instid0(VALU_DEP_2) | instskip(SKIP_1) | instid1(VALU_DEP_3)
	v_add_f64_e32 v[28:29], 1.0, v[22:23]
	v_add_f64_e32 v[52:53], -1.0, v[22:23]
	v_ldexp_f64 v[24:25], v[24:25], v30
	s_delay_alu instid0(VALU_DEP_3) | instskip(NEXT) | instid1(VALU_DEP_3)
	v_add_f64_e32 v[26:27], -1.0, v[28:29]
	v_add_f64_e32 v[54:55], 1.0, v[52:53]
	s_delay_alu instid0(VALU_DEP_2) | instskip(NEXT) | instid1(VALU_DEP_2)
	v_add_f64_e64 v[26:27], v[22:23], -v[26:27]
	v_add_f64_e64 v[22:23], v[22:23], -v[54:55]
	s_delay_alu instid0(VALU_DEP_2) | instskip(NEXT) | instid1(VALU_DEP_2)
	v_add_f64_e32 v[26:27], v[24:25], v[26:27]
	v_add_f64_e32 v[22:23], v[24:25], v[22:23]
	s_delay_alu instid0(VALU_DEP_2) | instskip(NEXT) | instid1(VALU_DEP_2)
	v_add_f64_e32 v[30:31], v[28:29], v[26:27]
	v_add_f64_e32 v[54:55], v[52:53], v[22:23]
	s_delay_alu instid0(VALU_DEP_2) | instskip(SKIP_1) | instid1(VALU_DEP_2)
	v_rcp_f64_e32 v[32:33], v[30:31]
	v_add_f64_e64 v[28:29], v[30:31], -v[28:29]
	v_add_f64_e64 v[52:53], v[54:55], -v[52:53]
	s_delay_alu instid0(VALU_DEP_2) | instskip(NEXT) | instid1(VALU_DEP_2)
	v_add_f64_e64 v[26:27], v[26:27], -v[28:29]
	v_add_f64_e64 v[22:23], v[22:23], -v[52:53]
	s_delay_alu instid0(TRANS32_DEP_1) | instskip(NEXT) | instid1(VALU_DEP_1)
	v_fma_f64 v[56:57], -v[30:31], v[32:33], 1.0
	v_fmac_f64_e32 v[32:33], v[56:57], v[32:33]
	s_delay_alu instid0(VALU_DEP_1) | instskip(NEXT) | instid1(VALU_DEP_1)
	v_fma_f64 v[24:25], -v[30:31], v[32:33], 1.0
	v_fmac_f64_e32 v[32:33], v[24:25], v[32:33]
	s_delay_alu instid0(VALU_DEP_1) | instskip(NEXT) | instid1(VALU_DEP_1)
	v_mul_f64_e32 v[24:25], v[54:55], v[32:33]
	v_mul_f64_e32 v[56:57], v[30:31], v[24:25]
	s_delay_alu instid0(VALU_DEP_1) | instskip(NEXT) | instid1(VALU_DEP_1)
	v_fma_f64 v[28:29], v[24:25], v[30:31], -v[56:57]
	v_fmac_f64_e32 v[28:29], v[24:25], v[26:27]
	s_delay_alu instid0(VALU_DEP_1) | instskip(NEXT) | instid1(VALU_DEP_1)
	v_add_f64_e32 v[58:59], v[56:57], v[28:29]
	v_add_f64_e64 v[60:61], v[54:55], -v[58:59]
	v_add_f64_e64 v[52:53], v[58:59], -v[56:57]
	s_delay_alu instid0(VALU_DEP_2) | instskip(NEXT) | instid1(VALU_DEP_2)
	v_add_f64_e64 v[54:55], v[54:55], -v[60:61]
	v_add_f64_e64 v[28:29], v[52:53], -v[28:29]
	s_delay_alu instid0(VALU_DEP_2) | instskip(NEXT) | instid1(VALU_DEP_1)
	v_add_f64_e64 v[54:55], v[54:55], -v[58:59]
	v_add_f64_e32 v[22:23], v[22:23], v[54:55]
	s_delay_alu instid0(VALU_DEP_1) | instskip(NEXT) | instid1(VALU_DEP_1)
	v_add_f64_e32 v[22:23], v[28:29], v[22:23]
	v_add_f64_e32 v[28:29], v[60:61], v[22:23]
	s_delay_alu instid0(VALU_DEP_1) | instskip(SKIP_1) | instid1(VALU_DEP_2)
	v_mul_f64_e32 v[52:53], v[32:33], v[28:29]
	v_add_f64_e64 v[58:59], v[60:61], -v[28:29]
	v_mul_f64_e32 v[54:55], v[30:31], v[52:53]
	s_delay_alu instid0(VALU_DEP_2) | instskip(NEXT) | instid1(VALU_DEP_2)
	v_add_f64_e32 v[22:23], v[22:23], v[58:59]
	v_fma_f64 v[30:31], v[52:53], v[30:31], -v[54:55]
	s_delay_alu instid0(VALU_DEP_1) | instskip(NEXT) | instid1(VALU_DEP_1)
	v_fmac_f64_e32 v[30:31], v[52:53], v[26:27]
	v_add_f64_e32 v[26:27], v[54:55], v[30:31]
	s_delay_alu instid0(VALU_DEP_1) | instskip(SKIP_1) | instid1(VALU_DEP_2)
	v_add_f64_e64 v[56:57], v[28:29], -v[26:27]
	v_add_f64_e64 v[54:55], v[26:27], -v[54:55]
	;; [unrolled: 1-line block ×3, first 2 shown]
	s_delay_alu instid0(VALU_DEP_1) | instskip(NEXT) | instid1(VALU_DEP_3)
	v_add_f64_e64 v[26:27], v[28:29], -v[26:27]
	v_add_f64_e64 v[28:29], v[54:55], -v[30:31]
	v_max_num_f64_e64 v[30:31], |v[2:3]|, |v[2:3]|
	s_delay_alu instid0(VALU_DEP_3) | instskip(SKIP_1) | instid1(VALU_DEP_2)
	v_add_f64_e32 v[22:23], v[22:23], v[26:27]
	v_add_f64_e32 v[26:27], v[24:25], v[52:53]
	v_add_f64_e32 v[22:23], v[28:29], v[22:23]
	s_delay_alu instid0(VALU_DEP_2) | instskip(SKIP_1) | instid1(VALU_DEP_3)
	v_add_f64_e64 v[24:25], v[26:27], -v[24:25]
	v_max_num_f64_e64 v[28:29], |v[4:5]|, |v[4:5]|
	v_add_f64_e32 v[22:23], v[56:57], v[22:23]
	s_delay_alu instid0(VALU_DEP_3) | instskip(NEXT) | instid1(VALU_DEP_2)
	v_add_f64_e64 v[24:25], v[52:53], -v[24:25]
	v_mul_f64_e32 v[22:23], v[32:33], v[22:23]
	s_delay_alu instid0(VALU_DEP_1) | instskip(SKIP_2) | instid1(VALU_DEP_3)
	v_add_f64_e32 v[22:23], v[24:25], v[22:23]
	v_max_num_f64_e32 v[24:25], v[30:31], v[28:29]
	v_min_num_f64_e32 v[28:29], v[30:31], v[28:29]
	v_add_f64_e32 v[30:31], v[26:27], v[22:23]
	s_delay_alu instid0(VALU_DEP_2) | instskip(NEXT) | instid1(VALU_DEP_2)
	v_div_scale_f64 v[32:33], null, v[24:25], v[24:25], v[28:29]
	v_mul_f64_e32 v[52:53], v[30:31], v[30:31]
	v_add_f64_e64 v[26:27], v[30:31], -v[26:27]
	s_delay_alu instid0(VALU_DEP_3) | instskip(NEXT) | instid1(VALU_DEP_2)
	v_rcp_f64_e32 v[54:55], v[32:33]
	v_fmamk_f64 v[56:57], v[52:53], 0x3fc3ab76bf559e2b, v[40:41]
	v_mul_f64_e32 v[58:59], v[30:31], v[52:53]
	s_delay_alu instid0(VALU_DEP_3) | instskip(NEXT) | instid1(VALU_DEP_3)
	v_add_f64_e64 v[22:23], v[22:23], -v[26:27]
	v_fmaak_f64 v[56:57], v[52:53], v[56:57], 0x3fc7474dd7f4df2e
	s_delay_alu instid0(TRANS32_DEP_1) | instskip(NEXT) | instid1(VALU_DEP_2)
	v_fma_f64 v[60:61], -v[32:33], v[54:55], 1.0
	v_fmaak_f64 v[56:57], v[52:53], v[56:57], 0x3fcc71c016291751
	s_delay_alu instid0(VALU_DEP_1) | instskip(NEXT) | instid1(VALU_DEP_1)
	v_fmaak_f64 v[56:57], v[52:53], v[56:57], 0x3fd249249b27acf1
	v_fmaak_f64 v[56:57], v[52:53], v[56:57], 0x3fd99999998ef7b6
	v_ldexp_f64 v[22:23], v[22:23], 1
	s_delay_alu instid0(VALU_DEP_2) | instskip(SKIP_2) | instid1(VALU_DEP_3)
	v_fmaak_f64 v[52:53], v[52:53], v[56:57], 0x3fe5555555555780
	v_ldexp_f64 v[56:57], v[30:31], 1
	v_fmac_f64_e32 v[54:55], v[54:55], v[60:61]
	v_mul_f64_e32 v[52:53], v[58:59], v[52:53]
	v_cvt_f64_i32_e32 v[58:59], v8
	v_ashrrev_i32_e32 v8, 31, v3
	s_delay_alu instid0(VALU_DEP_4) | instskip(NEXT) | instid1(VALU_DEP_4)
	v_fma_f64 v[60:61], -v[32:33], v[54:55], 1.0
	v_add_f64_e32 v[30:31], v[56:57], v[52:53]
	s_delay_alu instid0(VALU_DEP_4) | instskip(NEXT) | instid1(VALU_DEP_3)
	v_mul_f64_e32 v[62:63], 0x3fe62e42fefa39ef, v[58:59]
	v_fmac_f64_e32 v[54:55], v[54:55], v[60:61]
	s_delay_alu instid0(VALU_DEP_3) | instskip(SKIP_1) | instid1(VALU_DEP_4)
	v_add_f64_e64 v[26:27], v[30:31], -v[56:57]
	v_div_scale_f64 v[56:57], vcc_lo, v[28:29], v[24:25], v[28:29]
	v_fma_f64 v[60:61], v[58:59], s[30:31], -v[62:63]
	s_delay_alu instid0(VALU_DEP_3) | instskip(NEXT) | instid1(VALU_DEP_3)
	v_add_f64_e64 v[26:27], v[52:53], -v[26:27]
	v_mul_f64_e32 v[52:53], v[56:57], v[54:55]
	s_delay_alu instid0(VALU_DEP_3) | instskip(NEXT) | instid1(VALU_DEP_3)
	v_fmac_f64_e32 v[60:61], 0x3c7abc9e3b39803f, v[58:59]
	v_add_f64_e32 v[22:23], v[22:23], v[26:27]
	s_delay_alu instid0(VALU_DEP_3) | instskip(NEXT) | instid1(VALU_DEP_3)
	v_fma_f64 v[26:27], -v[32:33], v[52:53], v[56:57]
	v_add_f64_e32 v[32:33], v[62:63], v[60:61]
	s_delay_alu instid0(VALU_DEP_3) | instskip(NEXT) | instid1(VALU_DEP_3)
	v_add_f64_e32 v[56:57], v[30:31], v[22:23]
	v_div_fmas_f64 v[26:27], v[26:27], v[54:55], v[52:53]
	v_cmp_gt_i32_e32 vcc_lo, 0, v3
	s_delay_alu instid0(VALU_DEP_4) | instskip(SKIP_2) | instid1(VALU_DEP_1)
	v_add_f64_e64 v[54:55], v[32:33], -v[62:63]
	v_and_b32_e32 v3, 0x400921fb, v8
	v_cndmask_b32_e32 v2, 0x3fe921fb, v69, vcc_lo
	v_bfi_b32 v2, 0x7fffffff, v2, v5
	v_add_f64_e32 v[52:53], v[32:33], v[56:57]
	v_div_fixup_f64 v[24:25], v[26:27], v[24:25], v[28:29]
	v_add_f64_e64 v[30:31], v[56:57], -v[30:31]
	v_add_f64_e64 v[54:55], v[60:61], -v[54:55]
	s_delay_alu instid0(VALU_DEP_4) | instskip(NEXT) | instid1(VALU_DEP_4)
	v_add_f64_e64 v[26:27], v[52:53], -v[32:33]
	v_mul_f64_e32 v[28:29], v[24:25], v[24:25]
	s_delay_alu instid0(VALU_DEP_4) | instskip(NEXT) | instid1(VALU_DEP_3)
	v_add_f64_e64 v[22:23], v[22:23], -v[30:31]
	v_add_f64_e64 v[58:59], v[52:53], -v[26:27]
	s_delay_alu instid0(VALU_DEP_3) | instskip(SKIP_1) | instid1(VALU_DEP_4)
	v_fmamk_f64 v[62:63], v[28:29], 0x3eeba404b5e68a13, v[42:43]
	v_add_f64_e64 v[26:27], v[56:57], -v[26:27]
	v_add_f64_e32 v[56:57], v[54:55], v[22:23]
	s_delay_alu instid0(VALU_DEP_3) | instskip(SKIP_1) | instid1(VALU_DEP_2)
	v_fmaak_f64 v[62:63], v[28:29], v[62:63], 0x3f4b2bb069efb384
	v_add_f64_e64 v[30:31], v[32:33], -v[58:59]
	v_fmaak_f64 v[32:33], v[28:29], v[62:63], 0xbf67952daf56de9b
	s_delay_alu instid0(VALU_DEP_1) | instskip(NEXT) | instid1(VALU_DEP_1)
	v_fmaak_f64 v[32:33], v[28:29], v[32:33], 0x3f7d6d43a595c56f
	v_fmaak_f64 v[32:33], v[28:29], v[32:33], 0xbf8c6ea4a57d9582
	s_delay_alu instid0(VALU_DEP_1) | instskip(NEXT) | instid1(VALU_DEP_1)
	v_fmaak_f64 v[32:33], v[28:29], v[32:33], 0x3f967e295f08b19f
	v_fmaak_f64 v[32:33], v[28:29], v[32:33], 0xbf9e9ae6fc27006a
	v_add_f64_e32 v[26:27], v[26:27], v[30:31]
	s_delay_alu instid0(VALU_DEP_2) | instskip(SKIP_1) | instid1(VALU_DEP_2)
	v_fmaak_f64 v[30:31], v[28:29], v[32:33], 0x3fa2c15b5711927a
	v_add_f64_e64 v[32:33], v[56:57], -v[54:55]
	v_fmaak_f64 v[30:31], v[28:29], v[30:31], 0xbfa59976e82d3ff0
	s_delay_alu instid0(VALU_DEP_1) | instskip(NEXT) | instid1(VALU_DEP_1)
	v_fmaak_f64 v[30:31], v[28:29], v[30:31], 0x3fa82d5d6ef28734
	v_fmaak_f64 v[30:31], v[28:29], v[30:31], 0xbfaae5ce6a214619
	s_delay_alu instid0(VALU_DEP_1) | instskip(SKIP_3) | instid1(VALU_DEP_4)
	v_fmaak_f64 v[30:31], v[28:29], v[30:31], 0x3fae1bb48427b883
	v_add_f64_e32 v[26:27], v[56:57], v[26:27]
	v_add_f64_e64 v[56:57], v[56:57], -v[32:33]
	v_add_f64_e64 v[22:23], v[22:23], -v[32:33]
	v_fmaak_f64 v[30:31], v[28:29], v[30:31], 0xbfb110e48b207f05
	s_delay_alu instid0(VALU_DEP_1) | instskip(NEXT) | instid1(VALU_DEP_1)
	v_fmaak_f64 v[30:31], v[28:29], v[30:31], 0x3fb3b13657b87036
	v_fmaak_f64 v[30:31], v[28:29], v[30:31], 0xbfb745d119378e4f
	s_delay_alu instid0(VALU_DEP_1) | instskip(SKIP_1) | instid1(VALU_DEP_2)
	v_fmaak_f64 v[30:31], v[28:29], v[30:31], 0x3fbc71c717e1913c
	v_add_f64_e32 v[58:59], v[52:53], v[26:27]
	v_fmaak_f64 v[30:31], v[28:29], v[30:31], 0xbfc2492492376b7d
	s_delay_alu instid0(VALU_DEP_1) | instskip(NEXT) | instid1(VALU_DEP_1)
	v_fmaak_f64 v[30:31], v[28:29], v[30:31], 0x3fc99999999952cc
	v_fmaak_f64 v[30:31], v[28:29], v[30:31], 0xbfd5555555555523
	s_delay_alu instid0(VALU_DEP_1) | instskip(SKIP_2) | instid1(VALU_DEP_3)
	v_mul_f64_e32 v[28:29], v[28:29], v[30:31]
	v_add_f64_e64 v[30:31], v[54:55], -v[56:57]
	v_add_f64_e64 v[32:33], v[58:59], -v[52:53]
	v_fmac_f64_e32 v[24:25], v[24:25], v[28:29]
	s_delay_alu instid0(VALU_DEP_3) | instskip(NEXT) | instid1(VALU_DEP_3)
	v_add_f64_e32 v[22:23], v[22:23], v[30:31]
	v_add_f64_e64 v[26:27], v[26:27], -v[32:33]
	s_delay_alu instid0(VALU_DEP_3) | instskip(NEXT) | instid1(VALU_DEP_1)
	v_add_f64_e64 v[28:29], -v[24:25], s[38:39]
	v_dual_add_f64 v[22:23], v[22:23], v[26:27] :: v_dual_cndmask_b32 v25, v25, v29, s4
	s_delay_alu instid0(VALU_DEP_2) | instskip(SKIP_2) | instid1(VALU_DEP_3)
	v_cndmask_b32_e64 v24, v24, v28, s4
	v_and_b32_e32 v29, 0x54442d18, v8
	v_cndmask_b32_e32 v28, 0x54442d18, v68, vcc_lo
	v_add_f64_e64 v[26:27], -v[24:25], s[40:41]
	v_add_f64_e32 v[22:23], v[58:59], v[22:23]
	s_delay_alu instid0(VALU_DEP_2) | instskip(SKIP_1) | instid1(VALU_DEP_3)
	v_dual_cndmask_b32 v24, v24, v26, vcc_lo :: v_dual_cndmask_b32 v8, v25, v27, vcc_lo
	v_cmp_ngt_f64_e32 vcc_lo, -1.0, v[6:7]
	v_mul_f64_e32 v[22:23], 0.5, v[22:23]
                                        ; implicit-def: $vgpr26_vgpr27
	s_delay_alu instid0(VALU_DEP_3) | instskip(NEXT) | instid1(VALU_DEP_4)
	v_cndmask_b32_e64 v24, v24, v29, s5
	v_cndmask_b32_e64 v3, v8, v3, s5
	s_and_b32 s5, s6, s7
	s_delay_alu instid0(VALU_DEP_3) | instid1(SALU_CYCLE_1)
	v_cndmask_b32_e64 v22, 0, v22, s5
	v_cmp_neq_f64_e64 s5, -1.0, v[6:7]
	v_cndmask_b32_e64 v23, 0x7ff00000, v23, s7
	s_delay_alu instid0(VALU_DEP_1) | instskip(SKIP_2) | instid1(VALU_DEP_2)
	v_cndmask_b32_e32 v8, 0x7ff80000, v23, vcc_lo
	s_and_b32 vcc_lo, s9, s10
	v_dual_cndmask_b32 v25, v3, v2 :: v_dual_cndmask_b32 v24, v24, v28
                                        ; implicit-def: $vgpr28_vgpr29
	v_cndmask_b32_e64 v23, 0xfff00000, v8, s5
.LBB167_193:                            ;   in Loop: Header=BB167_145 Depth=1
	s_and_not1_saveexec_b32 s54, s8
	s_cbranch_execz .LBB167_201
; %bb.194:                              ;   in Loop: Header=BB167_145 Depth=1
	v_mul_f64_e32 v[6:7], v[26:27], v[26:27]
                                        ; implicit-def: $vgpr22_vgpr23
	s_mov_b32 s5, exec_lo
	s_delay_alu instid0(VALU_DEP_1) | instskip(NEXT) | instid1(VALU_DEP_1)
	v_fmac_f64_e32 v[6:7], v[28:29], v[28:29]
	v_cmpx_ge_f64_e32 s[42:43], v[6:7]
	s_xor_b32 s7, exec_lo, s5
	s_cbranch_execz .LBB167_196
; %bb.195:                              ;   in Loop: Header=BB167_145 Depth=1
	v_frexp_mant_f64_e32 v[22:23], v[6:7]
	v_cmp_neq_f64_e64 s6, 0, v[6:7]
	v_cmp_eq_f64_e64 s5, 0, v[4:5]
	v_cmp_class_f64_e64 s8, v[4:5], 0x204
	v_cmp_class_f64_e64 s9, v[2:3], 0x204
	v_cmp_gt_f64_e32 vcc_lo, s[28:29], v[22:23]
	v_cndmask_b32_e64 v8, 0, 1, vcc_lo
	s_delay_alu instid0(VALU_DEP_1) | instskip(SKIP_1) | instid1(VALU_DEP_2)
	v_ldexp_f64 v[22:23], v[22:23], v8
	v_frexp_exp_i32_f64_e32 v8, v[6:7]
	v_add_f64_e32 v[24:25], 1.0, v[22:23]
	v_add_f64_e32 v[30:31], -1.0, v[22:23]
	s_delay_alu instid0(VALU_DEP_3) | instskip(NEXT) | instid1(VALU_DEP_3)
	v_subrev_co_ci_u32_e64 v8, null, 0, v8, vcc_lo
	v_rcp_f64_e32 v[26:27], v[24:25]
	v_add_f64_e32 v[32:33], -1.0, v[24:25]
	s_delay_alu instid0(VALU_DEP_1) | instskip(NEXT) | instid1(TRANS32_DEP_1)
	v_add_f64_e64 v[22:23], v[22:23], -v[32:33]
	v_fma_f64 v[28:29], -v[24:25], v[26:27], 1.0
	s_delay_alu instid0(VALU_DEP_1) | instskip(NEXT) | instid1(VALU_DEP_1)
	v_fmac_f64_e32 v[26:27], v[28:29], v[26:27]
	v_fma_f64 v[28:29], -v[24:25], v[26:27], 1.0
	s_delay_alu instid0(VALU_DEP_1) | instskip(NEXT) | instid1(VALU_DEP_1)
	v_fmac_f64_e32 v[26:27], v[28:29], v[26:27]
	v_mul_f64_e32 v[28:29], v[30:31], v[26:27]
	s_delay_alu instid0(VALU_DEP_1) | instskip(NEXT) | instid1(VALU_DEP_1)
	v_mul_f64_e32 v[52:53], v[24:25], v[28:29]
	v_fma_f64 v[24:25], v[28:29], v[24:25], -v[52:53]
	s_delay_alu instid0(VALU_DEP_1) | instskip(NEXT) | instid1(VALU_DEP_1)
	v_fmac_f64_e32 v[24:25], v[28:29], v[22:23]
	v_add_f64_e32 v[22:23], v[52:53], v[24:25]
	s_delay_alu instid0(VALU_DEP_1) | instskip(SKIP_1) | instid1(VALU_DEP_2)
	v_add_f64_e64 v[32:33], v[30:31], -v[22:23]
	v_add_f64_e64 v[52:53], v[22:23], -v[52:53]
	v_add_f64_e64 v[30:31], v[30:31], -v[32:33]
	s_delay_alu instid0(VALU_DEP_2) | instskip(NEXT) | instid1(VALU_DEP_2)
	v_add_f64_e64 v[24:25], v[52:53], -v[24:25]
	v_add_f64_e64 v[22:23], v[30:31], -v[22:23]
	v_max_num_f64_e64 v[30:31], |v[2:3]|, |v[2:3]|
	s_delay_alu instid0(VALU_DEP_2) | instskip(SKIP_1) | instid1(VALU_DEP_2)
	v_add_f64_e32 v[22:23], v[24:25], v[22:23]
	v_max_num_f64_e64 v[24:25], |v[4:5]|, |v[4:5]|
	v_add_f64_e32 v[22:23], v[32:33], v[22:23]
	s_delay_alu instid0(VALU_DEP_1) | instskip(NEXT) | instid1(VALU_DEP_3)
	v_mul_f64_e32 v[22:23], v[26:27], v[22:23]
	v_max_num_f64_e32 v[26:27], v[30:31], v[24:25]
	v_min_num_f64_e32 v[24:25], v[30:31], v[24:25]
	s_delay_alu instid0(VALU_DEP_3) | instskip(NEXT) | instid1(VALU_DEP_2)
	v_add_f64_e32 v[30:31], v[28:29], v[22:23]
	v_div_scale_f64 v[32:33], null, v[26:27], v[26:27], v[24:25]
	s_delay_alu instid0(VALU_DEP_2) | instskip(SKIP_1) | instid1(VALU_DEP_3)
	v_mul_f64_e32 v[52:53], v[30:31], v[30:31]
	v_add_f64_e64 v[28:29], v[30:31], -v[28:29]
	v_rcp_f64_e32 v[54:55], v[32:33]
	s_delay_alu instid0(VALU_DEP_2) | instskip(SKIP_1) | instid1(VALU_DEP_3)
	v_fmamk_f64 v[56:57], v[52:53], 0x3fc3ab76bf559e2b, v[40:41]
	v_mul_f64_e32 v[58:59], v[30:31], v[52:53]
	v_add_f64_e64 v[22:23], v[22:23], -v[28:29]
	s_delay_alu instid0(VALU_DEP_3) | instskip(NEXT) | instid1(TRANS32_DEP_1)
	v_fmaak_f64 v[56:57], v[52:53], v[56:57], 0x3fc7474dd7f4df2e
	v_fma_f64 v[60:61], -v[32:33], v[54:55], 1.0
	s_delay_alu instid0(VALU_DEP_2) | instskip(NEXT) | instid1(VALU_DEP_1)
	v_fmaak_f64 v[56:57], v[52:53], v[56:57], 0x3fcc71c016291751
	v_fmaak_f64 v[56:57], v[52:53], v[56:57], 0x3fd249249b27acf1
	s_delay_alu instid0(VALU_DEP_1) | instskip(SKIP_1) | instid1(VALU_DEP_2)
	v_fmaak_f64 v[56:57], v[52:53], v[56:57], 0x3fd99999998ef7b6
	v_ldexp_f64 v[22:23], v[22:23], 1
	v_fmaak_f64 v[52:53], v[52:53], v[56:57], 0x3fe5555555555780
	v_ldexp_f64 v[56:57], v[30:31], 1
	v_fmac_f64_e32 v[54:55], v[54:55], v[60:61]
	s_delay_alu instid0(VALU_DEP_3) | instskip(SKIP_2) | instid1(VALU_DEP_1)
	v_mul_f64_e32 v[52:53], v[58:59], v[52:53]
	v_cvt_f64_i32_e32 v[58:59], v8
	v_ashrrev_i32_e32 v8, 31, v3
	v_and_b32_e32 v7, 0x400921fb, v8
	v_fma_f64 v[60:61], -v[32:33], v[54:55], 1.0
	v_add_f64_e32 v[30:31], v[56:57], v[52:53]
	v_mul_f64_e32 v[62:63], 0x3fe62e42fefa39ef, v[58:59]
	s_delay_alu instid0(VALU_DEP_3) | instskip(NEXT) | instid1(VALU_DEP_3)
	v_fmac_f64_e32 v[54:55], v[54:55], v[60:61]
	v_add_f64_e64 v[28:29], v[30:31], -v[56:57]
	v_div_scale_f64 v[56:57], vcc_lo, v[24:25], v[26:27], v[24:25]
	s_delay_alu instid0(VALU_DEP_4) | instskip(NEXT) | instid1(VALU_DEP_3)
	v_fma_f64 v[60:61], v[58:59], s[30:31], -v[62:63]
	v_add_f64_e64 v[28:29], v[52:53], -v[28:29]
	s_delay_alu instid0(VALU_DEP_3) | instskip(NEXT) | instid1(VALU_DEP_3)
	v_mul_f64_e32 v[52:53], v[56:57], v[54:55]
	v_fmac_f64_e32 v[60:61], 0x3c7abc9e3b39803f, v[58:59]
	s_delay_alu instid0(VALU_DEP_3) | instskip(NEXT) | instid1(VALU_DEP_3)
	v_add_f64_e32 v[22:23], v[22:23], v[28:29]
	v_fma_f64 v[28:29], -v[32:33], v[52:53], v[56:57]
	s_delay_alu instid0(VALU_DEP_3) | instskip(NEXT) | instid1(VALU_DEP_3)
	v_add_f64_e32 v[32:33], v[62:63], v[60:61]
	v_add_f64_e32 v[56:57], v[30:31], v[22:23]
	s_delay_alu instid0(VALU_DEP_3) | instskip(SKIP_1) | instid1(VALU_DEP_4)
	v_div_fmas_f64 v[28:29], v[28:29], v[54:55], v[52:53]
	v_cmp_gt_i32_e32 vcc_lo, 0, v3
	v_add_f64_e64 v[54:55], v[32:33], -v[62:63]
	v_cndmask_b32_e32 v6, 0x3fe921fb, v69, vcc_lo
	s_delay_alu instid0(VALU_DEP_1) | instskip(SKIP_4) | instid1(VALU_DEP_4)
	v_bfi_b32 v6, 0x7fffffff, v6, v5
	v_add_f64_e32 v[52:53], v[32:33], v[56:57]
	v_div_fixup_f64 v[24:25], v[28:29], v[26:27], v[24:25]
	v_add_f64_e64 v[30:31], v[56:57], -v[30:31]
	v_add_f64_e64 v[54:55], v[60:61], -v[54:55]
	;; [unrolled: 1-line block ×3, first 2 shown]
	s_delay_alu instid0(VALU_DEP_4) | instskip(NEXT) | instid1(VALU_DEP_4)
	v_mul_f64_e32 v[28:29], v[24:25], v[24:25]
	v_add_f64_e64 v[22:23], v[22:23], -v[30:31]
	s_delay_alu instid0(VALU_DEP_3) | instskip(NEXT) | instid1(VALU_DEP_3)
	v_add_f64_e64 v[58:59], v[52:53], -v[26:27]
	v_fmamk_f64 v[62:63], v[28:29], 0x3eeba404b5e68a13, v[42:43]
	v_add_f64_e64 v[26:27], v[56:57], -v[26:27]
	s_delay_alu instid0(VALU_DEP_4) | instskip(NEXT) | instid1(VALU_DEP_3)
	v_add_f64_e32 v[56:57], v[54:55], v[22:23]
	v_fmaak_f64 v[62:63], v[28:29], v[62:63], 0x3f4b2bb069efb384
	s_delay_alu instid0(VALU_DEP_1) | instskip(SKIP_1) | instid1(VALU_DEP_2)
	v_fmaak_f64 v[62:63], v[28:29], v[62:63], 0xbf67952daf56de9b
	v_add_f64_e64 v[30:31], v[32:33], -v[58:59]
	v_fmaak_f64 v[32:33], v[28:29], v[62:63], 0x3f7d6d43a595c56f
	s_delay_alu instid0(VALU_DEP_1) | instskip(NEXT) | instid1(VALU_DEP_1)
	v_fmaak_f64 v[32:33], v[28:29], v[32:33], 0xbf8c6ea4a57d9582
	v_fmaak_f64 v[32:33], v[28:29], v[32:33], 0x3f967e295f08b19f
	s_delay_alu instid0(VALU_DEP_1) | instskip(NEXT) | instid1(VALU_DEP_1)
	v_fmaak_f64 v[32:33], v[28:29], v[32:33], 0xbf9e9ae6fc27006a
	v_fmaak_f64 v[32:33], v[28:29], v[32:33], 0x3fa2c15b5711927a
	v_add_f64_e32 v[26:27], v[26:27], v[30:31]
	s_delay_alu instid0(VALU_DEP_2) | instskip(SKIP_1) | instid1(VALU_DEP_2)
	v_fmaak_f64 v[30:31], v[28:29], v[32:33], 0xbfa59976e82d3ff0
	v_add_f64_e64 v[32:33], v[56:57], -v[54:55]
	v_fmaak_f64 v[30:31], v[28:29], v[30:31], 0x3fa82d5d6ef28734
	s_delay_alu instid0(VALU_DEP_1) | instskip(NEXT) | instid1(VALU_DEP_1)
	v_fmaak_f64 v[30:31], v[28:29], v[30:31], 0xbfaae5ce6a214619
	v_fmaak_f64 v[30:31], v[28:29], v[30:31], 0x3fae1bb48427b883
	s_delay_alu instid0(VALU_DEP_1) | instskip(SKIP_3) | instid1(VALU_DEP_4)
	v_fmaak_f64 v[30:31], v[28:29], v[30:31], 0xbfb110e48b207f05
	v_add_f64_e32 v[26:27], v[56:57], v[26:27]
	v_add_f64_e64 v[56:57], v[56:57], -v[32:33]
	v_add_f64_e64 v[22:23], v[22:23], -v[32:33]
	v_fmaak_f64 v[30:31], v[28:29], v[30:31], 0x3fb3b13657b87036
	s_delay_alu instid0(VALU_DEP_1) | instskip(NEXT) | instid1(VALU_DEP_1)
	v_fmaak_f64 v[30:31], v[28:29], v[30:31], 0xbfb745d119378e4f
	v_fmaak_f64 v[30:31], v[28:29], v[30:31], 0x3fbc71c717e1913c
	s_delay_alu instid0(VALU_DEP_1) | instskip(SKIP_1) | instid1(VALU_DEP_2)
	v_fmaak_f64 v[30:31], v[28:29], v[30:31], 0xbfc2492492376b7d
	v_add_f64_e32 v[58:59], v[52:53], v[26:27]
	v_fmaak_f64 v[30:31], v[28:29], v[30:31], 0x3fc99999999952cc
	s_delay_alu instid0(VALU_DEP_1) | instskip(NEXT) | instid1(VALU_DEP_1)
	v_fmaak_f64 v[30:31], v[28:29], v[30:31], 0xbfd5555555555523
	v_mul_f64_e32 v[28:29], v[28:29], v[30:31]
	v_add_f64_e64 v[30:31], v[54:55], -v[56:57]
	v_add_f64_e64 v[32:33], v[58:59], -v[52:53]
	s_delay_alu instid0(VALU_DEP_3) | instskip(NEXT) | instid1(VALU_DEP_3)
	v_fmac_f64_e32 v[24:25], v[24:25], v[28:29]
	v_add_f64_e32 v[22:23], v[22:23], v[30:31]
	s_delay_alu instid0(VALU_DEP_3) | instskip(NEXT) | instid1(VALU_DEP_3)
	v_add_f64_e64 v[26:27], v[26:27], -v[32:33]
	v_add_f64_e64 v[28:29], -v[24:25], s[38:39]
	s_delay_alu instid0(VALU_DEP_1) | instskip(NEXT) | instid1(VALU_DEP_2)
	v_dual_add_f64 v[22:23], v[22:23], v[26:27] :: v_dual_cndmask_b32 v25, v25, v29, s4
	v_cndmask_b32_e64 v24, v24, v28, s4
	v_and_b32_e32 v29, 0x54442d18, v8
	v_cndmask_b32_e32 v28, 0x54442d18, v68, vcc_lo
	s_delay_alu instid0(VALU_DEP_3) | instskip(SKIP_1) | instid1(VALU_DEP_2)
	v_add_f64_e64 v[26:27], -v[24:25], s[40:41]
	v_add_f64_e32 v[22:23], v[58:59], v[22:23]
	v_dual_cndmask_b32 v24, v24, v26, vcc_lo :: v_dual_cndmask_b32 v8, v25, v27, vcc_lo
	s_and_b32 vcc_lo, s8, s9
                                        ; implicit-def: $vgpr26_vgpr27
	s_delay_alu instid0(VALU_DEP_1) | instskip(NEXT) | instid1(VALU_DEP_2)
	v_cndmask_b32_e64 v24, v24, v29, s5
	v_cndmask_b32_e64 v7, v8, v7, s5
	s_delay_alu instid0(VALU_DEP_2) | instskip(NEXT) | instid1(VALU_DEP_2)
	v_dual_mul_f64 v[2:3], 0.5, v[22:23] :: v_dual_cndmask_b32 v24, v24, v28, vcc_lo
	v_cndmask_b32_e32 v25, v7, v6, vcc_lo
                                        ; implicit-def: $vgpr28_vgpr29
	s_delay_alu instid0(VALU_DEP_2) | instskip(NEXT) | instid1(VALU_DEP_3)
	v_cndmask_b32_e64 v23, 0xfff00000, v3, s6
	v_cndmask_b32_e64 v22, 0, v2, s6
.LBB167_196:                            ;   in Loop: Header=BB167_145 Depth=1
	s_and_not1_saveexec_b32 s55, s7
	s_cbranch_execz .LBB167_200
; %bb.197:                              ;   in Loop: Header=BB167_145 Depth=1
	v_and_b32_e32 v37, 0x7ffffff8, v29
	v_and_b32_e32 v23, 0x7ffffff8, v27
	v_mov_b32_e32 v22, v36
	s_mov_b32 s56, 0
	v_mov_b32_e32 v30, v36
	v_add_f64_e64 v[6:7], v[28:29], -v[36:37]
	s_delay_alu instid0(VALU_DEP_3)
	v_dual_add_f64 v[24:25], v[26:27], -v[22:23] :: v_dual_mov_b32 v28, v36
	v_add_f64_e32 v[32:33], v[36:37], v[36:37]
	v_mul_f64_e32 v[26:27], v[22:23], v[22:23]
	v_add_f64_e32 v[58:59], v[22:23], v[22:23]
	v_and_b32_e32 v29, -8, v7
	v_and_b32_e32 v31, -8, v25
	s_delay_alu instid0(VALU_DEP_2) | instskip(SKIP_1) | instid1(VALU_DEP_3)
	v_add_f64_e64 v[60:61], v[6:7], -v[28:29]
	v_add_f64_e32 v[64:65], v[28:29], v[28:29]
	v_add_f64_e64 v[62:63], v[24:25], -v[30:31]
	v_add_f64_e32 v[66:67], v[30:31], v[30:31]
	v_mul_f64_e32 v[6:7], v[36:37], v[36:37]
	v_mul_f64_e32 v[56:57], v[32:33], v[28:29]
	;; [unrolled: 1-line block ×11, first 2 shown]
.LBB167_198:                            ;   Parent Loop BB167_145 Depth=1
                                        ; =>  This Inner Loop Header: Depth=2
	v_cmp_nlt_f64_e32 vcc_lo, v[6:7], v[26:27]
	v_dual_cndmask_b32 v63, v7, v27 :: v_dual_cndmask_b32 v62, v6, v26
	v_dual_cndmask_b32 v7, v27, v7 :: v_dual_cndmask_b32 v6, v26, v6
	s_delay_alu instid0(VALU_DEP_2) | instskip(NEXT) | instid1(VALU_DEP_1)
	v_cmp_nlt_f64_e64 s5, v[62:63], v[56:57]
	v_dual_cndmask_b32 v65, v63, v57, s5 :: v_dual_cndmask_b32 v64, v62, v56, s5
	v_dual_cndmask_b32 v27, v57, v63, s5 :: v_dual_cndmask_b32 v26, v56, v62, s5
	s_and_b32 s5, vcc_lo, s5
	s_delay_alu instid0(VALU_DEP_2) | instskip(NEXT) | instid1(VALU_DEP_1)
	v_cmp_nlt_f64_e64 s6, v[64:65], v[24:25]
	v_dual_cndmask_b32 v67, v65, v25, s6 :: v_dual_cndmask_b32 v66, v64, v24, s6
	v_dual_cndmask_b32 v57, v25, v65, s6 :: v_dual_cndmask_b32 v56, v24, v64, s6
	s_delay_alu instid0(VALU_DEP_2) | instskip(NEXT) | instid1(VALU_DEP_1)
	v_cmp_nlt_f64_e64 s7, v[66:67], v[54:55]
	v_dual_cndmask_b32 v71, v67, v55, s7 :: v_dual_cndmask_b32 v70, v66, v54, s7
	v_dual_cndmask_b32 v25, v55, v67, s7 :: v_dual_cndmask_b32 v24, v54, v66, s7
	s_and_b32 s6, s6, s7
	s_delay_alu instid0(VALU_DEP_2) | instskip(NEXT) | instid1(VALU_DEP_1)
	v_cmp_nlt_f64_e64 s8, v[70:71], v[22:23]
	v_dual_cndmask_b32 v73, v71, v23, s8 :: v_dual_cndmask_b32 v72, v70, v22, s8
	v_dual_cndmask_b32 v55, v23, v71, s8 :: v_dual_cndmask_b32 v54, v22, v70, s8
	s_delay_alu instid0(VALU_DEP_2) | instskip(NEXT) | instid1(VALU_DEP_1)
	v_cmp_nlt_f64_e64 s9, v[72:73], v[52:53]
	v_dual_cndmask_b32 v75, v73, v53, s9 :: v_dual_cndmask_b32 v74, v72, v52, s9
	s_and_b32 s7, s8, s9
	v_dual_cndmask_b32 v23, v53, v73, s9 :: v_dual_cndmask_b32 v22, v52, v72, s9
	s_delay_alu instid0(VALU_DEP_2) | instskip(NEXT) | instid1(VALU_DEP_1)
	v_cmp_nlt_f64_e64 s10, v[74:75], v[32:33]
	v_dual_cndmask_b32 v77, v75, v33, s10 :: v_dual_cndmask_b32 v76, v74, v32, s10
	s_and_b32 s7, s7, s10
	;; [unrolled: 5-line block ×6, first 2 shown]
	v_dual_cndmask_b32 v59, v61, v83, s14 :: v_dual_cndmask_b32 v58, v60, v82, s14
	s_and_b32 s6, s7, s6
	s_delay_alu instid0(VALU_DEP_2) | instskip(SKIP_1) | instid1(SALU_CYCLE_1)
	v_mov_b64_e32 v[60:61], v[62:63]
	s_and_b32 s5, s6, s5
	s_and_b32 s5, exec_lo, s5
	s_delay_alu instid0(SALU_CYCLE_1) | instskip(NEXT) | instid1(SALU_CYCLE_1)
	s_or_b32 s56, s5, s56
	s_and_not1_b32 exec_lo, exec_lo, s56
	s_cbranch_execnz .LBB167_198
; %bb.199:                              ;   in Loop: Header=BB167_145 Depth=1
	s_or_b32 exec_lo, exec_lo, s56
	v_add_f64_e32 v[6:7], -1.0, v[6:7]
	v_cmp_eq_f64_e64 s5, 0, v[4:5]
	v_cmp_class_f64_e64 s9, v[2:3], 0x204
	v_cmp_class_f64_e64 s8, v[4:5], 0x204
	s_delay_alu instid0(VALU_DEP_4) | instskip(NEXT) | instid1(VALU_DEP_1)
	v_add_f64_e32 v[6:7], v[6:7], v[26:27]
	v_add_f64_e32 v[6:7], v[6:7], v[56:57]
	s_delay_alu instid0(VALU_DEP_1) | instskip(NEXT) | instid1(VALU_DEP_1)
	v_add_f64_e32 v[6:7], v[6:7], v[24:25]
	v_add_f64_e32 v[6:7], v[6:7], v[54:55]
	s_delay_alu instid0(VALU_DEP_1) | instskip(NEXT) | instid1(VALU_DEP_1)
	;; [unrolled: 3-line block ×5, first 2 shown]
	v_add_f64_e32 v[6:7], v[62:63], v[6:7]
	v_add_f64_e32 v[22:23], 1.0, v[6:7]
	v_cmp_nge_f64_e64 s6, -1.0, v[6:7]
	v_cmp_neq_f64_e64 s7, 0x7ff00000, v[6:7]
	s_delay_alu instid0(VALU_DEP_3) | instskip(SKIP_2) | instid1(VALU_DEP_3)
	v_frexp_mant_f64_e32 v[24:25], v[22:23]
	v_frexp_exp_i32_f64_e32 v8, v[22:23]
	v_add_f64_e32 v[26:27], -1.0, v[22:23]
	v_cmp_gt_f64_e32 vcc_lo, s[28:29], v[24:25]
	s_delay_alu instid0(VALU_DEP_2) | instskip(SKIP_2) | instid1(VALU_DEP_3)
	v_add_f64_e64 v[24:25], v[26:27], -v[22:23]
	v_add_f64_e64 v[26:27], v[6:7], -v[26:27]
	v_subrev_co_ci_u32_e64 v8, null, 0, v8, vcc_lo
	v_add_f64_e32 v[24:25], 1.0, v[24:25]
	s_delay_alu instid0(VALU_DEP_2) | instskip(NEXT) | instid1(VALU_DEP_1)
	v_sub_nc_u32_e32 v30, 0, v8
	v_ldexp_f64 v[22:23], v[22:23], v30
	s_delay_alu instid0(VALU_DEP_3) | instskip(NEXT) | instid1(VALU_DEP_2)
	v_add_f64_e32 v[24:25], v[26:27], v[24:25]
	v_add_f64_e32 v[28:29], 1.0, v[22:23]
	v_add_f64_e32 v[52:53], -1.0, v[22:23]
	s_delay_alu instid0(VALU_DEP_3) | instskip(NEXT) | instid1(VALU_DEP_3)
	v_ldexp_f64 v[24:25], v[24:25], v30
	v_add_f64_e32 v[26:27], -1.0, v[28:29]
	s_delay_alu instid0(VALU_DEP_3) | instskip(NEXT) | instid1(VALU_DEP_2)
	v_add_f64_e32 v[54:55], 1.0, v[52:53]
	v_add_f64_e64 v[26:27], v[22:23], -v[26:27]
	s_delay_alu instid0(VALU_DEP_2) | instskip(NEXT) | instid1(VALU_DEP_2)
	v_add_f64_e64 v[22:23], v[22:23], -v[54:55]
	v_add_f64_e32 v[26:27], v[24:25], v[26:27]
	s_delay_alu instid0(VALU_DEP_2) | instskip(NEXT) | instid1(VALU_DEP_2)
	v_add_f64_e32 v[22:23], v[24:25], v[22:23]
	v_add_f64_e32 v[30:31], v[28:29], v[26:27]
	s_delay_alu instid0(VALU_DEP_2) | instskip(NEXT) | instid1(VALU_DEP_2)
	v_add_f64_e32 v[54:55], v[52:53], v[22:23]
	v_rcp_f64_e32 v[32:33], v[30:31]
	v_add_f64_e64 v[28:29], v[30:31], -v[28:29]
	s_delay_alu instid0(VALU_DEP_2) | instskip(NEXT) | instid1(VALU_DEP_2)
	v_add_f64_e64 v[52:53], v[54:55], -v[52:53]
	v_add_f64_e64 v[26:27], v[26:27], -v[28:29]
	s_delay_alu instid0(VALU_DEP_2) | instskip(NEXT) | instid1(TRANS32_DEP_1)
	v_add_f64_e64 v[22:23], v[22:23], -v[52:53]
	v_fma_f64 v[56:57], -v[30:31], v[32:33], 1.0
	s_delay_alu instid0(VALU_DEP_1) | instskip(NEXT) | instid1(VALU_DEP_1)
	v_fmac_f64_e32 v[32:33], v[56:57], v[32:33]
	v_fma_f64 v[24:25], -v[30:31], v[32:33], 1.0
	s_delay_alu instid0(VALU_DEP_1) | instskip(NEXT) | instid1(VALU_DEP_1)
	v_fmac_f64_e32 v[32:33], v[24:25], v[32:33]
	v_mul_f64_e32 v[24:25], v[54:55], v[32:33]
	s_delay_alu instid0(VALU_DEP_1) | instskip(NEXT) | instid1(VALU_DEP_1)
	v_mul_f64_e32 v[56:57], v[30:31], v[24:25]
	v_fma_f64 v[28:29], v[24:25], v[30:31], -v[56:57]
	s_delay_alu instid0(VALU_DEP_1) | instskip(NEXT) | instid1(VALU_DEP_1)
	v_fmac_f64_e32 v[28:29], v[24:25], v[26:27]
	v_add_f64_e32 v[58:59], v[56:57], v[28:29]
	s_delay_alu instid0(VALU_DEP_1) | instskip(SKIP_1) | instid1(VALU_DEP_2)
	v_add_f64_e64 v[60:61], v[54:55], -v[58:59]
	v_add_f64_e64 v[52:53], v[58:59], -v[56:57]
	;; [unrolled: 1-line block ×3, first 2 shown]
	s_delay_alu instid0(VALU_DEP_2) | instskip(NEXT) | instid1(VALU_DEP_2)
	v_add_f64_e64 v[28:29], v[52:53], -v[28:29]
	v_add_f64_e64 v[54:55], v[54:55], -v[58:59]
	s_delay_alu instid0(VALU_DEP_1) | instskip(NEXT) | instid1(VALU_DEP_1)
	v_add_f64_e32 v[22:23], v[22:23], v[54:55]
	v_add_f64_e32 v[22:23], v[28:29], v[22:23]
	s_delay_alu instid0(VALU_DEP_1) | instskip(NEXT) | instid1(VALU_DEP_1)
	v_add_f64_e32 v[28:29], v[60:61], v[22:23]
	v_mul_f64_e32 v[52:53], v[32:33], v[28:29]
	v_add_f64_e64 v[58:59], v[60:61], -v[28:29]
	s_delay_alu instid0(VALU_DEP_2) | instskip(NEXT) | instid1(VALU_DEP_2)
	v_mul_f64_e32 v[54:55], v[30:31], v[52:53]
	v_add_f64_e32 v[22:23], v[22:23], v[58:59]
	s_delay_alu instid0(VALU_DEP_2) | instskip(NEXT) | instid1(VALU_DEP_1)
	v_fma_f64 v[30:31], v[52:53], v[30:31], -v[54:55]
	v_fmac_f64_e32 v[30:31], v[52:53], v[26:27]
	s_delay_alu instid0(VALU_DEP_1) | instskip(NEXT) | instid1(VALU_DEP_1)
	v_add_f64_e32 v[26:27], v[54:55], v[30:31]
	v_add_f64_e64 v[56:57], v[28:29], -v[26:27]
	v_add_f64_e64 v[54:55], v[26:27], -v[54:55]
	s_delay_alu instid0(VALU_DEP_2) | instskip(NEXT) | instid1(VALU_DEP_1)
	v_add_f64_e64 v[28:29], v[28:29], -v[56:57]
	v_add_f64_e64 v[26:27], v[28:29], -v[26:27]
	s_delay_alu instid0(VALU_DEP_3) | instskip(SKIP_1) | instid1(VALU_DEP_3)
	v_add_f64_e64 v[28:29], v[54:55], -v[30:31]
	v_max_num_f64_e64 v[30:31], |v[2:3]|, |v[2:3]|
	v_add_f64_e32 v[22:23], v[22:23], v[26:27]
	v_add_f64_e32 v[26:27], v[24:25], v[52:53]
	s_delay_alu instid0(VALU_DEP_2) | instskip(NEXT) | instid1(VALU_DEP_2)
	v_add_f64_e32 v[22:23], v[28:29], v[22:23]
	v_add_f64_e64 v[24:25], v[26:27], -v[24:25]
	v_max_num_f64_e64 v[28:29], |v[4:5]|, |v[4:5]|
	s_delay_alu instid0(VALU_DEP_3) | instskip(NEXT) | instid1(VALU_DEP_3)
	v_add_f64_e32 v[22:23], v[56:57], v[22:23]
	v_add_f64_e64 v[24:25], v[52:53], -v[24:25]
	s_delay_alu instid0(VALU_DEP_2) | instskip(NEXT) | instid1(VALU_DEP_1)
	v_mul_f64_e32 v[22:23], v[32:33], v[22:23]
	v_add_f64_e32 v[22:23], v[24:25], v[22:23]
	v_max_num_f64_e32 v[24:25], v[30:31], v[28:29]
	v_min_num_f64_e32 v[28:29], v[30:31], v[28:29]
	s_delay_alu instid0(VALU_DEP_3) | instskip(NEXT) | instid1(VALU_DEP_2)
	v_add_f64_e32 v[30:31], v[26:27], v[22:23]
	v_div_scale_f64 v[32:33], null, v[24:25], v[24:25], v[28:29]
	s_delay_alu instid0(VALU_DEP_2) | instskip(SKIP_1) | instid1(VALU_DEP_3)
	v_mul_f64_e32 v[52:53], v[30:31], v[30:31]
	v_add_f64_e64 v[26:27], v[30:31], -v[26:27]
	v_rcp_f64_e32 v[54:55], v[32:33]
	s_delay_alu instid0(VALU_DEP_2) | instskip(SKIP_1) | instid1(VALU_DEP_3)
	v_fmamk_f64 v[56:57], v[52:53], 0x3fc3ab76bf559e2b, v[40:41]
	v_mul_f64_e32 v[58:59], v[30:31], v[52:53]
	v_add_f64_e64 v[22:23], v[22:23], -v[26:27]
	s_delay_alu instid0(VALU_DEP_3) | instskip(NEXT) | instid1(TRANS32_DEP_1)
	v_fmaak_f64 v[56:57], v[52:53], v[56:57], 0x3fc7474dd7f4df2e
	v_fma_f64 v[60:61], -v[32:33], v[54:55], 1.0
	s_delay_alu instid0(VALU_DEP_2) | instskip(NEXT) | instid1(VALU_DEP_1)
	v_fmaak_f64 v[56:57], v[52:53], v[56:57], 0x3fcc71c016291751
	v_fmaak_f64 v[56:57], v[52:53], v[56:57], 0x3fd249249b27acf1
	s_delay_alu instid0(VALU_DEP_1) | instskip(SKIP_1) | instid1(VALU_DEP_2)
	v_fmaak_f64 v[56:57], v[52:53], v[56:57], 0x3fd99999998ef7b6
	v_ldexp_f64 v[22:23], v[22:23], 1
	v_fmaak_f64 v[52:53], v[52:53], v[56:57], 0x3fe5555555555780
	v_ldexp_f64 v[56:57], v[30:31], 1
	v_fmac_f64_e32 v[54:55], v[54:55], v[60:61]
	s_delay_alu instid0(VALU_DEP_3) | instskip(SKIP_2) | instid1(VALU_DEP_4)
	v_mul_f64_e32 v[52:53], v[58:59], v[52:53]
	v_cvt_f64_i32_e32 v[58:59], v8
	v_ashrrev_i32_e32 v8, 31, v3
	v_fma_f64 v[60:61], -v[32:33], v[54:55], 1.0
	s_delay_alu instid0(VALU_DEP_4) | instskip(NEXT) | instid1(VALU_DEP_4)
	v_add_f64_e32 v[30:31], v[56:57], v[52:53]
	v_mul_f64_e32 v[62:63], 0x3fe62e42fefa39ef, v[58:59]
	s_delay_alu instid0(VALU_DEP_3) | instskip(NEXT) | instid1(VALU_DEP_3)
	v_fmac_f64_e32 v[54:55], v[54:55], v[60:61]
	v_add_f64_e64 v[26:27], v[30:31], -v[56:57]
	v_div_scale_f64 v[56:57], vcc_lo, v[28:29], v[24:25], v[28:29]
	s_delay_alu instid0(VALU_DEP_4) | instskip(NEXT) | instid1(VALU_DEP_3)
	v_fma_f64 v[60:61], v[58:59], s[30:31], -v[62:63]
	v_add_f64_e64 v[26:27], v[52:53], -v[26:27]
	s_delay_alu instid0(VALU_DEP_3) | instskip(NEXT) | instid1(VALU_DEP_3)
	v_mul_f64_e32 v[52:53], v[56:57], v[54:55]
	v_fmac_f64_e32 v[60:61], 0x3c7abc9e3b39803f, v[58:59]
	s_delay_alu instid0(VALU_DEP_3) | instskip(NEXT) | instid1(VALU_DEP_3)
	v_add_f64_e32 v[22:23], v[22:23], v[26:27]
	v_fma_f64 v[26:27], -v[32:33], v[52:53], v[56:57]
	s_delay_alu instid0(VALU_DEP_3) | instskip(NEXT) | instid1(VALU_DEP_3)
	v_add_f64_e32 v[32:33], v[62:63], v[60:61]
	v_add_f64_e32 v[56:57], v[30:31], v[22:23]
	s_delay_alu instid0(VALU_DEP_3) | instskip(SKIP_1) | instid1(VALU_DEP_4)
	v_div_fmas_f64 v[26:27], v[26:27], v[54:55], v[52:53]
	v_cmp_gt_i32_e32 vcc_lo, 0, v3
	v_add_f64_e64 v[54:55], v[32:33], -v[62:63]
	v_and_b32_e32 v3, 0x400921fb, v8
	v_cndmask_b32_e32 v2, 0x3fe921fb, v69, vcc_lo
	s_delay_alu instid0(VALU_DEP_1) | instskip(SKIP_4) | instid1(VALU_DEP_4)
	v_bfi_b32 v2, 0x7fffffff, v2, v5
	v_add_f64_e32 v[52:53], v[32:33], v[56:57]
	v_div_fixup_f64 v[24:25], v[26:27], v[24:25], v[28:29]
	v_add_f64_e64 v[30:31], v[56:57], -v[30:31]
	v_add_f64_e64 v[54:55], v[60:61], -v[54:55]
	;; [unrolled: 1-line block ×3, first 2 shown]
	s_delay_alu instid0(VALU_DEP_4) | instskip(NEXT) | instid1(VALU_DEP_4)
	v_mul_f64_e32 v[28:29], v[24:25], v[24:25]
	v_add_f64_e64 v[22:23], v[22:23], -v[30:31]
	s_delay_alu instid0(VALU_DEP_3) | instskip(NEXT) | instid1(VALU_DEP_3)
	v_add_f64_e64 v[58:59], v[52:53], -v[26:27]
	v_fmamk_f64 v[62:63], v[28:29], 0x3eeba404b5e68a13, v[42:43]
	v_add_f64_e64 v[26:27], v[56:57], -v[26:27]
	s_delay_alu instid0(VALU_DEP_4) | instskip(NEXT) | instid1(VALU_DEP_3)
	v_add_f64_e32 v[56:57], v[54:55], v[22:23]
	v_fmaak_f64 v[62:63], v[28:29], v[62:63], 0x3f4b2bb069efb384
	v_add_f64_e64 v[30:31], v[32:33], -v[58:59]
	s_delay_alu instid0(VALU_DEP_2) | instskip(NEXT) | instid1(VALU_DEP_1)
	v_fmaak_f64 v[32:33], v[28:29], v[62:63], 0xbf67952daf56de9b
	v_fmaak_f64 v[32:33], v[28:29], v[32:33], 0x3f7d6d43a595c56f
	s_delay_alu instid0(VALU_DEP_1) | instskip(NEXT) | instid1(VALU_DEP_1)
	v_fmaak_f64 v[32:33], v[28:29], v[32:33], 0xbf8c6ea4a57d9582
	v_fmaak_f64 v[32:33], v[28:29], v[32:33], 0x3f967e295f08b19f
	s_delay_alu instid0(VALU_DEP_1) | instskip(SKIP_1) | instid1(VALU_DEP_2)
	v_fmaak_f64 v[32:33], v[28:29], v[32:33], 0xbf9e9ae6fc27006a
	v_add_f64_e32 v[26:27], v[26:27], v[30:31]
	v_fmaak_f64 v[30:31], v[28:29], v[32:33], 0x3fa2c15b5711927a
	v_add_f64_e64 v[32:33], v[56:57], -v[54:55]
	s_delay_alu instid0(VALU_DEP_2) | instskip(NEXT) | instid1(VALU_DEP_1)
	v_fmaak_f64 v[30:31], v[28:29], v[30:31], 0xbfa59976e82d3ff0
	v_fmaak_f64 v[30:31], v[28:29], v[30:31], 0x3fa82d5d6ef28734
	s_delay_alu instid0(VALU_DEP_1) | instskip(NEXT) | instid1(VALU_DEP_1)
	v_fmaak_f64 v[30:31], v[28:29], v[30:31], 0xbfaae5ce6a214619
	v_fmaak_f64 v[30:31], v[28:29], v[30:31], 0x3fae1bb48427b883
	v_add_f64_e32 v[26:27], v[56:57], v[26:27]
	v_add_f64_e64 v[56:57], v[56:57], -v[32:33]
	v_add_f64_e64 v[22:23], v[22:23], -v[32:33]
	s_delay_alu instid0(VALU_DEP_4) | instskip(NEXT) | instid1(VALU_DEP_1)
	v_fmaak_f64 v[30:31], v[28:29], v[30:31], 0xbfb110e48b207f05
	v_fmaak_f64 v[30:31], v[28:29], v[30:31], 0x3fb3b13657b87036
	s_delay_alu instid0(VALU_DEP_1) | instskip(NEXT) | instid1(VALU_DEP_1)
	v_fmaak_f64 v[30:31], v[28:29], v[30:31], 0xbfb745d119378e4f
	v_fmaak_f64 v[30:31], v[28:29], v[30:31], 0x3fbc71c717e1913c
	v_add_f64_e32 v[58:59], v[52:53], v[26:27]
	s_delay_alu instid0(VALU_DEP_2) | instskip(NEXT) | instid1(VALU_DEP_1)
	v_fmaak_f64 v[30:31], v[28:29], v[30:31], 0xbfc2492492376b7d
	v_fmaak_f64 v[30:31], v[28:29], v[30:31], 0x3fc99999999952cc
	s_delay_alu instid0(VALU_DEP_1) | instskip(NEXT) | instid1(VALU_DEP_1)
	v_fmaak_f64 v[30:31], v[28:29], v[30:31], 0xbfd5555555555523
	v_mul_f64_e32 v[28:29], v[28:29], v[30:31]
	v_add_f64_e64 v[30:31], v[54:55], -v[56:57]
	v_add_f64_e64 v[32:33], v[58:59], -v[52:53]
	s_delay_alu instid0(VALU_DEP_3) | instskip(NEXT) | instid1(VALU_DEP_3)
	v_fmac_f64_e32 v[24:25], v[24:25], v[28:29]
	v_add_f64_e32 v[22:23], v[22:23], v[30:31]
	s_delay_alu instid0(VALU_DEP_3) | instskip(NEXT) | instid1(VALU_DEP_3)
	v_add_f64_e64 v[26:27], v[26:27], -v[32:33]
	v_add_f64_e64 v[28:29], -v[24:25], s[38:39]
	s_delay_alu instid0(VALU_DEP_1) | instskip(NEXT) | instid1(VALU_DEP_2)
	v_dual_add_f64 v[22:23], v[22:23], v[26:27] :: v_dual_cndmask_b32 v25, v25, v29, s4
	v_cndmask_b32_e64 v24, v24, v28, s4
	v_and_b32_e32 v29, 0x54442d18, v8
	v_cndmask_b32_e32 v28, 0x54442d18, v68, vcc_lo
	s_delay_alu instid0(VALU_DEP_3) | instskip(SKIP_1) | instid1(VALU_DEP_2)
	v_add_f64_e64 v[26:27], -v[24:25], s[40:41]
	v_add_f64_e32 v[22:23], v[58:59], v[22:23]
	v_dual_cndmask_b32 v24, v24, v26, vcc_lo :: v_dual_cndmask_b32 v8, v25, v27, vcc_lo
	v_cmp_ngt_f64_e32 vcc_lo, -1.0, v[6:7]
	s_delay_alu instid0(VALU_DEP_2) | instskip(NEXT) | instid1(VALU_DEP_3)
	v_dual_mul_f64 v[22:23], 0.5, v[22:23] :: v_dual_cndmask_b32 v24, v24, v29, s5
	v_cndmask_b32_e64 v3, v8, v3, s5
	s_and_b32 s5, s6, s7
	s_delay_alu instid0(VALU_DEP_2) | instid1(SALU_CYCLE_1)
	v_cndmask_b32_e64 v22, 0, v22, s5
	v_cmp_neq_f64_e64 s5, -1.0, v[6:7]
	s_delay_alu instid0(VALU_DEP_4) | instskip(NEXT) | instid1(VALU_DEP_1)
	v_cndmask_b32_e64 v23, 0x7ff00000, v23, s7
	v_cndmask_b32_e32 v8, 0x7ff80000, v23, vcc_lo
	s_and_b32 vcc_lo, s8, s9
	v_dual_cndmask_b32 v25, v3, v2 :: v_dual_cndmask_b32 v24, v24, v28
	s_delay_alu instid0(VALU_DEP_2)
	v_cndmask_b32_e64 v23, 0xfff00000, v8, s5
.LBB167_200:                            ;   in Loop: Header=BB167_145 Depth=1
	s_or_b32 exec_lo, exec_lo, s55
.LBB167_201:                            ;   in Loop: Header=BB167_145 Depth=1
	s_delay_alu instid0(SALU_CYCLE_1)
	s_or_b32 exec_lo, exec_lo, s54
.LBB167_202:                            ;   in Loop: Header=BB167_145 Depth=1
	s_and_not1_saveexec_b32 s7, s53
	s_cbranch_execz .LBB167_204
; %bb.203:                              ;   in Loop: Header=BB167_145 Depth=1
	v_max_num_f64_e64 v[6:7], |v[4:5]|, |v[4:5]|
	v_max_num_f64_e64 v[22:23], |v[2:3]|, |v[2:3]|
	v_cmp_class_f64_e64 s8, v[2:3], 0x204
	v_cmp_class_f64_e64 s9, v[4:5], 0x204
	v_cmp_eq_f64_e64 s6, 0, v[4:5]
	s_delay_alu instid0(VALU_DEP_4) | instskip(SKIP_2) | instid1(VALU_DEP_2)
	v_max_num_f64_e32 v[24:25], v[22:23], v[6:7]
	v_min_num_f64_e32 v[6:7], v[22:23], v[6:7]
	s_or_b32 s5, s9, s8
	v_frexp_exp_i32_f64_e32 v8, v[24:25]
	s_delay_alu instid0(VALU_DEP_1) | instskip(NEXT) | instid1(VALU_DEP_1)
	v_sub_nc_u32_e32 v28, 0, v8
	v_ldexp_f64 v[26:27], |v[4:5]|, v28
	v_ldexp_f64 v[28:29], |v[2:3]|, v28
	s_delay_alu instid0(VALU_DEP_2) | instskip(NEXT) | instid1(VALU_DEP_1)
	v_mul_f64_e32 v[26:27], v[26:27], v[26:27]
	v_fmac_f64_e32 v[26:27], v[28:29], v[28:29]
	s_delay_alu instid0(VALU_DEP_1) | instskip(SKIP_1) | instid1(TRANS32_DEP_1)
	v_rsq_f64_e32 v[28:29], v[26:27]
	v_cmp_eq_f64_e32 vcc_lo, 0, v[26:27]
	v_mul_f64_e32 v[30:31], v[26:27], v[28:29]
	v_mul_f64_e32 v[28:29], 0.5, v[28:29]
	s_delay_alu instid0(VALU_DEP_1) | instskip(NEXT) | instid1(VALU_DEP_1)
	v_fma_f64 v[32:33], -v[28:29], v[30:31], 0.5
	v_fmac_f64_e32 v[30:31], v[30:31], v[32:33]
	v_fmac_f64_e32 v[28:29], v[28:29], v[32:33]
	s_delay_alu instid0(VALU_DEP_2) | instskip(NEXT) | instid1(VALU_DEP_1)
	v_fma_f64 v[32:33], -v[30:31], v[30:31], v[26:27]
	v_fmac_f64_e32 v[30:31], v[32:33], v[28:29]
	s_delay_alu instid0(VALU_DEP_1) | instskip(NEXT) | instid1(VALU_DEP_1)
	v_dual_cndmask_b32 v27, v31, v27 :: v_dual_cndmask_b32 v26, v30, v26
	v_ldexp_f64 v[26:27], v[26:27], v8
	v_ashrrev_i32_e32 v8, 31, v3
	s_delay_alu instid0(VALU_DEP_2) | instskip(NEXT) | instid1(VALU_DEP_3)
	v_cndmask_b32_e64 v27, v27, 0x7ff00000, s5
	v_cndmask_b32_e64 v26, v26, 0, s5
	s_delay_alu instid0(VALU_DEP_1) | instskip(SKIP_1) | instid1(VALU_DEP_2)
	v_frexp_mant_f64_e32 v[28:29], v[26:27]
	v_cmp_class_f64_e64 s5, v[26:27], 0x204
	v_cmp_gt_f64_e32 vcc_lo, s[28:29], v[28:29]
	v_cndmask_b32_e64 v2, 0, 1, vcc_lo
	s_delay_alu instid0(VALU_DEP_1) | instskip(SKIP_1) | instid1(VALU_DEP_2)
	v_ldexp_f64 v[28:29], v[28:29], v2
	v_frexp_exp_i32_f64_e32 v2, v[26:27]
	v_add_f64_e32 v[30:31], 1.0, v[28:29]
	v_add_f64_e32 v[54:55], -1.0, v[28:29]
	s_delay_alu instid0(VALU_DEP_3) | instskip(SKIP_1) | instid1(VALU_DEP_4)
	v_subrev_co_ci_u32_e64 v2, null, 0, v2, vcc_lo
	v_div_scale_f64 v[62:63], vcc_lo, v[6:7], v[24:25], v[6:7]
	v_rcp_f64_e32 v[32:33], v[30:31]
	v_add_f64_e32 v[56:57], -1.0, v[30:31]
	s_delay_alu instid0(VALU_DEP_1) | instskip(NEXT) | instid1(TRANS32_DEP_1)
	v_add_f64_e64 v[28:29], v[28:29], -v[56:57]
	v_fma_f64 v[52:53], -v[30:31], v[32:33], 1.0
	s_delay_alu instid0(VALU_DEP_1) | instskip(NEXT) | instid1(VALU_DEP_1)
	v_fmac_f64_e32 v[32:33], v[52:53], v[32:33]
	v_fma_f64 v[52:53], -v[30:31], v[32:33], 1.0
	s_delay_alu instid0(VALU_DEP_1) | instskip(NEXT) | instid1(VALU_DEP_1)
	v_fmac_f64_e32 v[32:33], v[52:53], v[32:33]
	v_mul_f64_e32 v[52:53], v[54:55], v[32:33]
	s_delay_alu instid0(VALU_DEP_1) | instskip(NEXT) | instid1(VALU_DEP_1)
	v_mul_f64_e32 v[58:59], v[30:31], v[52:53]
	v_fma_f64 v[30:31], v[52:53], v[30:31], -v[58:59]
	s_delay_alu instid0(VALU_DEP_1) | instskip(NEXT) | instid1(VALU_DEP_1)
	v_fmac_f64_e32 v[30:31], v[52:53], v[28:29]
	v_add_f64_e32 v[28:29], v[58:59], v[30:31]
	s_delay_alu instid0(VALU_DEP_1) | instskip(SKIP_1) | instid1(VALU_DEP_2)
	v_add_f64_e64 v[56:57], v[54:55], -v[28:29]
	v_add_f64_e64 v[58:59], v[28:29], -v[58:59]
	;; [unrolled: 1-line block ×3, first 2 shown]
	s_delay_alu instid0(VALU_DEP_2) | instskip(NEXT) | instid1(VALU_DEP_2)
	v_add_f64_e64 v[30:31], v[58:59], -v[30:31]
	v_add_f64_e64 v[28:29], v[54:55], -v[28:29]
	s_delay_alu instid0(VALU_DEP_1) | instskip(NEXT) | instid1(VALU_DEP_1)
	v_add_f64_e32 v[28:29], v[30:31], v[28:29]
	v_add_f64_e32 v[28:29], v[56:57], v[28:29]
	s_delay_alu instid0(VALU_DEP_1) | instskip(SKIP_1) | instid1(VALU_DEP_2)
	v_mul_f64_e32 v[22:23], v[32:33], v[28:29]
	v_div_scale_f64 v[28:29], null, v[24:25], v[24:25], v[6:7]
	v_add_f64_e32 v[30:31], v[52:53], v[22:23]
	s_delay_alu instid0(VALU_DEP_2) | instskip(NEXT) | instid1(VALU_DEP_1)
	v_rcp_f64_e32 v[32:33], v[28:29]
	v_mul_f64_e32 v[54:55], v[30:31], v[30:31]
	s_delay_alu instid0(TRANS32_DEP_1) | instskip(NEXT) | instid1(VALU_DEP_2)
	v_fma_f64 v[58:59], -v[28:29], v[32:33], 1.0
	v_fmamk_f64 v[56:57], v[54:55], 0x3fc3ab76bf559e2b, v[40:41]
	v_mul_f64_e32 v[60:61], v[30:31], v[54:55]
	s_delay_alu instid0(VALU_DEP_3) | instskip(NEXT) | instid1(VALU_DEP_3)
	v_fmac_f64_e32 v[32:33], v[32:33], v[58:59]
	v_fmaak_f64 v[56:57], v[54:55], v[56:57], 0x3fc7474dd7f4df2e
	s_delay_alu instid0(VALU_DEP_1) | instskip(NEXT) | instid1(VALU_DEP_1)
	v_fmaak_f64 v[56:57], v[54:55], v[56:57], 0x3fcc71c016291751
	v_fmaak_f64 v[56:57], v[54:55], v[56:57], 0x3fd249249b27acf1
	s_delay_alu instid0(VALU_DEP_1) | instskip(NEXT) | instid1(VALU_DEP_1)
	v_fmaak_f64 v[56:57], v[54:55], v[56:57], 0x3fd99999998ef7b6
	v_fmaak_f64 v[54:55], v[54:55], v[56:57], 0x3fe5555555555780
	v_ldexp_f64 v[56:57], v[30:31], 1
	v_add_f64_e64 v[30:31], v[30:31], -v[52:53]
	v_fma_f64 v[58:59], -v[28:29], v[32:33], 1.0
	s_delay_alu instid0(VALU_DEP_4) | instskip(SKIP_1) | instid1(VALU_DEP_4)
	v_mul_f64_e32 v[54:55], v[60:61], v[54:55]
	v_cvt_f64_i32_e32 v[60:61], v2
	v_add_f64_e64 v[22:23], v[22:23], -v[30:31]
	s_delay_alu instid0(VALU_DEP_4) | instskip(NEXT) | instid1(VALU_DEP_4)
	v_fmac_f64_e32 v[32:33], v[32:33], v[58:59]
	v_add_f64_e32 v[52:53], v[56:57], v[54:55]
	s_delay_alu instid0(VALU_DEP_4) | instskip(NEXT) | instid1(VALU_DEP_4)
	v_mul_f64_e32 v[58:59], 0x3fe62e42fefa39ef, v[60:61]
	v_ldexp_f64 v[22:23], v[22:23], 1
	s_delay_alu instid0(VALU_DEP_3) | instskip(SKIP_1) | instid1(VALU_DEP_4)
	v_add_f64_e64 v[30:31], v[52:53], -v[56:57]
	v_mul_f64_e32 v[56:57], v[62:63], v[32:33]
	v_fma_f64 v[64:65], v[60:61], s[30:31], -v[58:59]
	s_delay_alu instid0(VALU_DEP_3) | instskip(NEXT) | instid1(VALU_DEP_3)
	v_add_f64_e64 v[30:31], v[54:55], -v[30:31]
	v_fma_f64 v[28:29], -v[28:29], v[56:57], v[62:63]
	s_delay_alu instid0(VALU_DEP_3) | instskip(NEXT) | instid1(VALU_DEP_3)
	v_fmac_f64_e32 v[64:65], 0x3c7abc9e3b39803f, v[60:61]
	v_add_f64_e32 v[22:23], v[22:23], v[30:31]
	s_delay_alu instid0(VALU_DEP_3) | instskip(NEXT) | instid1(VALU_DEP_3)
	v_div_fmas_f64 v[28:29], v[28:29], v[32:33], v[56:57]
	v_add_f64_e32 v[30:31], v[58:59], v[64:65]
	v_cmp_gt_i32_e32 vcc_lo, 0, v3
	s_delay_alu instid0(VALU_DEP_4) | instskip(NEXT) | instid1(VALU_DEP_4)
	v_add_f64_e32 v[32:33], v[52:53], v[22:23]
	v_div_fixup_f64 v[6:7], v[28:29], v[24:25], v[6:7]
	s_delay_alu instid0(VALU_DEP_4) | instskip(NEXT) | instid1(VALU_DEP_3)
	v_add_f64_e64 v[58:59], v[30:31], -v[58:59]
	v_add_f64_e32 v[24:25], v[30:31], v[32:33]
	s_delay_alu instid0(VALU_DEP_3) | instskip(SKIP_1) | instid1(VALU_DEP_4)
	v_mul_f64_e32 v[28:29], v[6:7], v[6:7]
	v_add_f64_e64 v[52:53], v[32:33], -v[52:53]
	v_add_f64_e64 v[58:59], v[64:65], -v[58:59]
	s_delay_alu instid0(VALU_DEP_4) | instskip(NEXT) | instid1(VALU_DEP_4)
	v_add_f64_e64 v[54:55], v[24:25], -v[30:31]
	v_fmamk_f64 v[56:57], v[28:29], 0x3eeba404b5e68a13, v[42:43]
	s_delay_alu instid0(VALU_DEP_4) | instskip(NEXT) | instid1(VALU_DEP_2)
	v_add_f64_e64 v[22:23], v[22:23], -v[52:53]
	v_fmaak_f64 v[56:57], v[28:29], v[56:57], 0x3f4b2bb069efb384
	s_delay_alu instid0(VALU_DEP_1) | instskip(NEXT) | instid1(VALU_DEP_1)
	v_fmaak_f64 v[56:57], v[28:29], v[56:57], 0xbf67952daf56de9b
	v_fmaak_f64 v[56:57], v[28:29], v[56:57], 0x3f7d6d43a595c56f
	s_delay_alu instid0(VALU_DEP_1) | instskip(SKIP_3) | instid1(VALU_DEP_4)
	v_fmaak_f64 v[56:57], v[28:29], v[56:57], 0xbf8c6ea4a57d9582
	v_add_f64_e64 v[60:61], v[24:25], -v[54:55]
	v_add_f64_e64 v[32:33], v[32:33], -v[54:55]
	v_add_f64_e32 v[54:55], v[58:59], v[22:23]
	v_fmaak_f64 v[56:57], v[28:29], v[56:57], 0x3f967e295f08b19f
	s_delay_alu instid0(VALU_DEP_1) | instskip(NEXT) | instid1(VALU_DEP_1)
	v_fmaak_f64 v[52:53], v[28:29], v[56:57], 0xbf9e9ae6fc27006a
	v_fmaak_f64 v[52:53], v[28:29], v[52:53], 0x3fa2c15b5711927a
	s_delay_alu instid0(VALU_DEP_1) | instskip(NEXT) | instid1(VALU_DEP_1)
	v_fmaak_f64 v[52:53], v[28:29], v[52:53], 0xbfa59976e82d3ff0
	v_fmaak_f64 v[52:53], v[28:29], v[52:53], 0x3fa82d5d6ef28734
	v_add_f64_e64 v[30:31], v[30:31], -v[60:61]
	s_delay_alu instid0(VALU_DEP_2) | instskip(NEXT) | instid1(VALU_DEP_2)
	v_fmaak_f64 v[52:53], v[28:29], v[52:53], 0xbfaae5ce6a214619
	v_add_f64_e32 v[30:31], v[32:33], v[30:31]
	s_delay_alu instid0(VALU_DEP_2) | instskip(SKIP_1) | instid1(VALU_DEP_2)
	v_fmaak_f64 v[32:33], v[28:29], v[52:53], 0x3fae1bb48427b883
	v_add_f64_e64 v[52:53], v[54:55], -v[58:59]
	v_fmaak_f64 v[32:33], v[28:29], v[32:33], 0xbfb110e48b207f05
	s_delay_alu instid0(VALU_DEP_1) | instskip(NEXT) | instid1(VALU_DEP_1)
	v_fmaak_f64 v[32:33], v[28:29], v[32:33], 0x3fb3b13657b87036
	v_fmaak_f64 v[32:33], v[28:29], v[32:33], 0xbfb745d119378e4f
	s_delay_alu instid0(VALU_DEP_1) | instskip(SKIP_2) | instid1(VALU_DEP_3)
	v_fmaak_f64 v[32:33], v[28:29], v[32:33], 0x3fbc71c717e1913c
	v_add_f64_e32 v[30:31], v[54:55], v[30:31]
	v_add_f64_e64 v[22:23], v[22:23], -v[52:53]
	v_fmaak_f64 v[32:33], v[28:29], v[32:33], 0xbfc2492492376b7d
	s_delay_alu instid0(VALU_DEP_1) | instskip(NEXT) | instid1(VALU_DEP_1)
	v_fmaak_f64 v[32:33], v[28:29], v[32:33], 0x3fc99999999952cc
	v_fmaak_f64 v[32:33], v[28:29], v[32:33], 0xbfd5555555555523
	s_delay_alu instid0(VALU_DEP_1) | instskip(SKIP_2) | instid1(VALU_DEP_3)
	v_mul_f64_e32 v[28:29], v[28:29], v[32:33]
	v_add_f64_e64 v[32:33], v[54:55], -v[52:53]
	v_add_f64_e32 v[54:55], v[24:25], v[30:31]
	v_fmac_f64_e32 v[6:7], v[6:7], v[28:29]
	s_delay_alu instid0(VALU_DEP_3) | instskip(NEXT) | instid1(VALU_DEP_3)
	v_add_f64_e64 v[28:29], v[58:59], -v[32:33]
	v_add_f64_e64 v[24:25], v[54:55], -v[24:25]
	s_delay_alu instid0(VALU_DEP_3) | instskip(NEXT) | instid1(VALU_DEP_3)
	v_add_f64_e64 v[32:33], -v[6:7], s[38:39]
	v_add_f64_e32 v[22:23], v[22:23], v[28:29]
	v_cndmask_b32_e32 v28, 0x54442d18, v68, vcc_lo
	v_and_b32_e32 v29, 0x54442d18, v8
	v_and_b32_e32 v8, 0x400921fb, v8
	v_add_f64_e64 v[24:25], v[30:31], -v[24:25]
	v_dual_cndmask_b32 v7, v7, v33, s4 :: v_dual_cndmask_b32 v6, v6, v32, s4
	s_delay_alu instid0(VALU_DEP_2) | instskip(NEXT) | instid1(VALU_DEP_2)
	v_add_f64_e32 v[22:23], v[22:23], v[24:25]
	v_add_f64_e64 v[24:25], -v[6:7], s[40:41]
	s_delay_alu instid0(VALU_DEP_2) | instskip(NEXT) | instid1(VALU_DEP_2)
	v_add_f64_e32 v[2:3], v[54:55], v[22:23]
	v_cndmask_b32_e32 v6, v6, v24, vcc_lo
	v_cndmask_b32_e32 v22, 0x3fe921fb, v69, vcc_lo
	s_delay_alu instid0(VALU_DEP_4) | instskip(SKIP_1) | instid1(VALU_DEP_4)
	v_cndmask_b32_e32 v7, v7, v25, vcc_lo
	v_cmp_ngt_f64_e32 vcc_lo, 0, v[26:27]
	v_cndmask_b32_e64 v6, v6, v29, s6
	s_delay_alu instid0(VALU_DEP_4) | instskip(NEXT) | instid1(VALU_DEP_4)
	v_bfi_b32 v22, 0x7fffffff, v22, v5
	v_dual_cndmask_b32 v7, v7, v8, s6 :: v_dual_cndmask_b32 v2, v2, v26, s5
	v_cndmask_b32_e64 v3, v3, v27, s5
	v_cmp_nge_f64_e64 s5, 0, v[26:27]
	s_delay_alu instid0(VALU_DEP_2) | instskip(SKIP_4) | instid1(VALU_DEP_1)
	v_cndmask_b32_e32 v3, 0x7ff80000, v3, vcc_lo
	s_and_b32 vcc_lo, s9, s8
	v_dual_cndmask_b32 v25, v7, v22 :: v_dual_cndmask_b32 v24, v6, v28
	v_cndmask_b32_e64 v22, 0, v2, s5
	v_cmp_neq_f64_e64 s5, 0, v[26:27]
	v_cndmask_b32_e64 v23, 0xfff00000, v3, s5
.LBB167_204:                            ;   in Loop: Header=BB167_145 Depth=1
	s_or_b32 exec_lo, exec_lo, s7
                                        ; implicit-def: $vgpr26_vgpr27
.LBB167_205:                            ;   in Loop: Header=BB167_145 Depth=1
	s_and_not1_saveexec_b32 s7, s52
	s_cbranch_execz .LBB167_211
; %bb.206:                              ;   in Loop: Header=BB167_145 Depth=1
                                        ; implicit-def: $vgpr22_vgpr23
	s_mov_b32 s5, exec_lo
	v_cmpx_ngt_f64_e32 s[44:45], v[26:27]
	s_xor_b32 s8, exec_lo, s5
	s_cbranch_execz .LBB167_208
; %bb.207:                              ;   in Loop: Header=BB167_145 Depth=1
	v_mul_f64_e32 v[6:7], v[26:27], v[26:27]
	v_cmp_eq_f64_e64 s5, 0, v[4:5]
	v_cmp_class_f64_e64 s9, v[4:5], 0x204
	v_cmp_class_f64_e64 s10, v[2:3], 0x204
	s_delay_alu instid0(VALU_DEP_4) | instskip(NEXT) | instid1(VALU_DEP_1)
	v_add_f64_e32 v[22:23], 1.0, v[6:7]
	v_frexp_mant_f64_e32 v[24:25], v[22:23]
	v_frexp_exp_i32_f64_e32 v8, v[22:23]
	v_add_f64_e32 v[26:27], -1.0, v[22:23]
	s_delay_alu instid0(VALU_DEP_3) | instskip(NEXT) | instid1(VALU_DEP_2)
	v_cmp_gt_f64_e32 vcc_lo, s[28:29], v[24:25]
	v_add_f64_e64 v[24:25], v[26:27], -v[22:23]
	s_delay_alu instid0(VALU_DEP_4) | instskip(NEXT) | instid1(VALU_DEP_2)
	v_subrev_co_ci_u32_e64 v8, null, 0, v8, vcc_lo
	v_add_f64_e32 v[24:25], 1.0, v[24:25]
	s_delay_alu instid0(VALU_DEP_2) | instskip(SKIP_1) | instid1(VALU_DEP_2)
	v_dual_add_f64 v[26:27], v[6:7], -v[26:27] :: v_dual_sub_nc_u32 v30, 0, v8
	v_cmp_neq_f64_e64 s6, 0x7ff00000, v[6:7]
	v_ldexp_f64 v[22:23], v[22:23], v30
	s_delay_alu instid0(VALU_DEP_3) | instskip(NEXT) | instid1(VALU_DEP_2)
	v_add_f64_e32 v[24:25], v[26:27], v[24:25]
	v_add_f64_e32 v[28:29], 1.0, v[22:23]
	v_add_f64_e32 v[52:53], -1.0, v[22:23]
	s_delay_alu instid0(VALU_DEP_3) | instskip(NEXT) | instid1(VALU_DEP_3)
	v_ldexp_f64 v[24:25], v[24:25], v30
	v_add_f64_e32 v[26:27], -1.0, v[28:29]
	s_delay_alu instid0(VALU_DEP_3) | instskip(NEXT) | instid1(VALU_DEP_2)
	v_add_f64_e32 v[54:55], 1.0, v[52:53]
	v_add_f64_e64 v[26:27], v[22:23], -v[26:27]
	s_delay_alu instid0(VALU_DEP_2) | instskip(NEXT) | instid1(VALU_DEP_2)
	v_add_f64_e64 v[22:23], v[22:23], -v[54:55]
	v_add_f64_e32 v[26:27], v[24:25], v[26:27]
	s_delay_alu instid0(VALU_DEP_2) | instskip(NEXT) | instid1(VALU_DEP_2)
	v_add_f64_e32 v[22:23], v[24:25], v[22:23]
	v_add_f64_e32 v[30:31], v[28:29], v[26:27]
	s_delay_alu instid0(VALU_DEP_2) | instskip(NEXT) | instid1(VALU_DEP_2)
	v_add_f64_e32 v[54:55], v[52:53], v[22:23]
	v_rcp_f64_e32 v[32:33], v[30:31]
	v_add_f64_e64 v[28:29], v[28:29], -v[30:31]
	s_delay_alu instid0(VALU_DEP_2) | instskip(NEXT) | instid1(VALU_DEP_2)
	v_add_f64_e64 v[52:53], v[52:53], -v[54:55]
	v_add_f64_e32 v[26:27], v[26:27], v[28:29]
	s_delay_alu instid0(VALU_DEP_2) | instskip(NEXT) | instid1(TRANS32_DEP_1)
	v_add_f64_e32 v[22:23], v[22:23], v[52:53]
	v_fma_f64 v[56:57], -v[30:31], v[32:33], 1.0
	s_delay_alu instid0(VALU_DEP_1) | instskip(NEXT) | instid1(VALU_DEP_1)
	v_fmac_f64_e32 v[32:33], v[56:57], v[32:33]
	v_fma_f64 v[24:25], -v[30:31], v[32:33], 1.0
	s_delay_alu instid0(VALU_DEP_1) | instskip(NEXT) | instid1(VALU_DEP_1)
	v_fmac_f64_e32 v[32:33], v[24:25], v[32:33]
	v_mul_f64_e32 v[24:25], v[54:55], v[32:33]
	s_delay_alu instid0(VALU_DEP_1) | instskip(NEXT) | instid1(VALU_DEP_1)
	v_mul_f64_e32 v[56:57], v[30:31], v[24:25]
	v_fma_f64 v[28:29], v[24:25], v[30:31], -v[56:57]
	s_delay_alu instid0(VALU_DEP_1) | instskip(NEXT) | instid1(VALU_DEP_1)
	v_fmac_f64_e32 v[28:29], v[24:25], v[26:27]
	v_add_f64_e32 v[58:59], v[56:57], v[28:29]
	s_delay_alu instid0(VALU_DEP_1) | instskip(SKIP_1) | instid1(VALU_DEP_2)
	v_add_f64_e64 v[60:61], v[54:55], -v[58:59]
	v_add_f64_e64 v[52:53], v[58:59], -v[56:57]
	;; [unrolled: 1-line block ×3, first 2 shown]
	s_delay_alu instid0(VALU_DEP_2) | instskip(NEXT) | instid1(VALU_DEP_2)
	v_add_f64_e64 v[28:29], v[52:53], -v[28:29]
	v_add_f64_e64 v[54:55], v[54:55], -v[58:59]
	s_delay_alu instid0(VALU_DEP_1) | instskip(NEXT) | instid1(VALU_DEP_1)
	v_add_f64_e32 v[22:23], v[22:23], v[54:55]
	v_add_f64_e32 v[22:23], v[28:29], v[22:23]
	s_delay_alu instid0(VALU_DEP_1) | instskip(NEXT) | instid1(VALU_DEP_1)
	v_add_f64_e32 v[28:29], v[60:61], v[22:23]
	v_mul_f64_e32 v[52:53], v[32:33], v[28:29]
	v_add_f64_e64 v[58:59], v[60:61], -v[28:29]
	s_delay_alu instid0(VALU_DEP_2) | instskip(NEXT) | instid1(VALU_DEP_2)
	v_mul_f64_e32 v[54:55], v[30:31], v[52:53]
	v_add_f64_e32 v[22:23], v[22:23], v[58:59]
	s_delay_alu instid0(VALU_DEP_2) | instskip(NEXT) | instid1(VALU_DEP_1)
	v_fma_f64 v[30:31], v[52:53], v[30:31], -v[54:55]
	v_fmac_f64_e32 v[30:31], v[52:53], v[26:27]
	s_delay_alu instid0(VALU_DEP_1) | instskip(NEXT) | instid1(VALU_DEP_1)
	v_add_f64_e32 v[26:27], v[54:55], v[30:31]
	v_add_f64_e64 v[56:57], v[28:29], -v[26:27]
	v_add_f64_e64 v[54:55], v[26:27], -v[54:55]
	s_delay_alu instid0(VALU_DEP_2) | instskip(NEXT) | instid1(VALU_DEP_1)
	v_add_f64_e64 v[28:29], v[28:29], -v[56:57]
	v_add_f64_e64 v[26:27], v[28:29], -v[26:27]
	s_delay_alu instid0(VALU_DEP_3) | instskip(SKIP_1) | instid1(VALU_DEP_3)
	v_add_f64_e64 v[28:29], v[54:55], -v[30:31]
	v_max_num_f64_e64 v[30:31], |v[2:3]|, |v[2:3]|
	v_add_f64_e32 v[22:23], v[22:23], v[26:27]
	v_add_f64_e32 v[26:27], v[24:25], v[52:53]
	s_delay_alu instid0(VALU_DEP_2) | instskip(NEXT) | instid1(VALU_DEP_2)
	v_add_f64_e32 v[22:23], v[28:29], v[22:23]
	v_add_f64_e64 v[24:25], v[26:27], -v[24:25]
	v_max_num_f64_e64 v[28:29], |v[4:5]|, |v[4:5]|
	s_delay_alu instid0(VALU_DEP_3) | instskip(NEXT) | instid1(VALU_DEP_3)
	v_add_f64_e32 v[22:23], v[56:57], v[22:23]
	v_add_f64_e64 v[24:25], v[52:53], -v[24:25]
	s_delay_alu instid0(VALU_DEP_2) | instskip(NEXT) | instid1(VALU_DEP_1)
	v_mul_f64_e32 v[22:23], v[32:33], v[22:23]
	v_add_f64_e32 v[22:23], v[24:25], v[22:23]
	v_max_num_f64_e32 v[24:25], v[30:31], v[28:29]
	v_min_num_f64_e32 v[28:29], v[30:31], v[28:29]
	s_delay_alu instid0(VALU_DEP_3) | instskip(NEXT) | instid1(VALU_DEP_2)
	v_add_f64_e32 v[30:31], v[26:27], v[22:23]
	v_div_scale_f64 v[32:33], null, v[24:25], v[24:25], v[28:29]
	s_delay_alu instid0(VALU_DEP_2) | instskip(SKIP_1) | instid1(VALU_DEP_3)
	v_mul_f64_e32 v[52:53], v[30:31], v[30:31]
	v_add_f64_e64 v[26:27], v[30:31], -v[26:27]
	v_rcp_f64_e32 v[54:55], v[32:33]
	s_delay_alu instid0(VALU_DEP_2) | instskip(SKIP_1) | instid1(VALU_DEP_3)
	v_fmamk_f64 v[56:57], v[52:53], 0x3fc3ab76bf559e2b, v[40:41]
	v_mul_f64_e32 v[58:59], v[30:31], v[52:53]
	v_add_f64_e64 v[22:23], v[22:23], -v[26:27]
	s_delay_alu instid0(VALU_DEP_3) | instskip(NEXT) | instid1(TRANS32_DEP_1)
	v_fmaak_f64 v[56:57], v[52:53], v[56:57], 0x3fc7474dd7f4df2e
	v_fma_f64 v[60:61], -v[32:33], v[54:55], 1.0
	s_delay_alu instid0(VALU_DEP_2) | instskip(NEXT) | instid1(VALU_DEP_1)
	v_fmaak_f64 v[56:57], v[52:53], v[56:57], 0x3fcc71c016291751
	v_fmaak_f64 v[56:57], v[52:53], v[56:57], 0x3fd249249b27acf1
	s_delay_alu instid0(VALU_DEP_1) | instskip(SKIP_1) | instid1(VALU_DEP_2)
	v_fmaak_f64 v[56:57], v[52:53], v[56:57], 0x3fd99999998ef7b6
	v_ldexp_f64 v[22:23], v[22:23], 1
	v_fmaak_f64 v[52:53], v[52:53], v[56:57], 0x3fe5555555555780
	v_ldexp_f64 v[56:57], v[30:31], 1
	v_fmac_f64_e32 v[54:55], v[54:55], v[60:61]
	s_delay_alu instid0(VALU_DEP_3) | instskip(SKIP_2) | instid1(VALU_DEP_1)
	v_mul_f64_e32 v[52:53], v[58:59], v[52:53]
	v_cvt_f64_i32_e32 v[58:59], v8
	v_ashrrev_i32_e32 v8, 31, v3
	v_and_b32_e32 v7, 0x400921fb, v8
	v_fma_f64 v[60:61], -v[32:33], v[54:55], 1.0
	v_add_f64_e32 v[30:31], v[56:57], v[52:53]
	v_mul_f64_e32 v[62:63], 0x3fe62e42fefa39ef, v[58:59]
	s_delay_alu instid0(VALU_DEP_3) | instskip(NEXT) | instid1(VALU_DEP_3)
	v_fmac_f64_e32 v[54:55], v[54:55], v[60:61]
	v_add_f64_e64 v[26:27], v[30:31], -v[56:57]
	v_div_scale_f64 v[56:57], vcc_lo, v[28:29], v[24:25], v[28:29]
	s_delay_alu instid0(VALU_DEP_4) | instskip(NEXT) | instid1(VALU_DEP_3)
	v_fma_f64 v[60:61], v[58:59], s[30:31], -v[62:63]
	v_add_f64_e64 v[26:27], v[52:53], -v[26:27]
	s_delay_alu instid0(VALU_DEP_3) | instskip(NEXT) | instid1(VALU_DEP_3)
	v_mul_f64_e32 v[52:53], v[56:57], v[54:55]
	v_fmac_f64_e32 v[60:61], 0x3c7abc9e3b39803f, v[58:59]
	s_delay_alu instid0(VALU_DEP_3) | instskip(NEXT) | instid1(VALU_DEP_3)
	v_add_f64_e32 v[22:23], v[22:23], v[26:27]
	v_fma_f64 v[26:27], -v[32:33], v[52:53], v[56:57]
	s_delay_alu instid0(VALU_DEP_3) | instskip(NEXT) | instid1(VALU_DEP_3)
	v_add_f64_e32 v[32:33], v[62:63], v[60:61]
	v_add_f64_e32 v[56:57], v[30:31], v[22:23]
	s_delay_alu instid0(VALU_DEP_3) | instskip(SKIP_1) | instid1(VALU_DEP_4)
	v_div_fmas_f64 v[26:27], v[26:27], v[54:55], v[52:53]
	v_cmp_gt_i32_e32 vcc_lo, 0, v3
	v_add_f64_e64 v[54:55], v[32:33], -v[62:63]
	v_cndmask_b32_e32 v6, 0x3fe921fb, v69, vcc_lo
	s_delay_alu instid0(VALU_DEP_1) | instskip(SKIP_4) | instid1(VALU_DEP_4)
	v_bfi_b32 v6, 0x7fffffff, v6, v5
	v_add_f64_e32 v[52:53], v[32:33], v[56:57]
	v_div_fixup_f64 v[24:25], v[26:27], v[24:25], v[28:29]
	v_add_f64_e64 v[30:31], v[56:57], -v[30:31]
	v_add_f64_e64 v[54:55], v[60:61], -v[54:55]
	;; [unrolled: 1-line block ×3, first 2 shown]
	s_delay_alu instid0(VALU_DEP_4) | instskip(NEXT) | instid1(VALU_DEP_4)
	v_mul_f64_e32 v[28:29], v[24:25], v[24:25]
	v_add_f64_e64 v[22:23], v[22:23], -v[30:31]
	s_delay_alu instid0(VALU_DEP_3) | instskip(NEXT) | instid1(VALU_DEP_3)
	v_add_f64_e64 v[58:59], v[52:53], -v[26:27]
	v_fmamk_f64 v[62:63], v[28:29], 0x3eeba404b5e68a13, v[42:43]
	v_add_f64_e64 v[26:27], v[56:57], -v[26:27]
	s_delay_alu instid0(VALU_DEP_4) | instskip(NEXT) | instid1(VALU_DEP_3)
	v_add_f64_e32 v[56:57], v[54:55], v[22:23]
	v_fmaak_f64 v[62:63], v[28:29], v[62:63], 0x3f4b2bb069efb384
	s_delay_alu instid0(VALU_DEP_1) | instskip(SKIP_1) | instid1(VALU_DEP_2)
	v_fmaak_f64 v[62:63], v[28:29], v[62:63], 0xbf67952daf56de9b
	v_add_f64_e64 v[30:31], v[32:33], -v[58:59]
	v_fmaak_f64 v[32:33], v[28:29], v[62:63], 0x3f7d6d43a595c56f
	s_delay_alu instid0(VALU_DEP_1) | instskip(NEXT) | instid1(VALU_DEP_1)
	v_fmaak_f64 v[32:33], v[28:29], v[32:33], 0xbf8c6ea4a57d9582
	v_fmaak_f64 v[32:33], v[28:29], v[32:33], 0x3f967e295f08b19f
	s_delay_alu instid0(VALU_DEP_1) | instskip(NEXT) | instid1(VALU_DEP_1)
	v_fmaak_f64 v[32:33], v[28:29], v[32:33], 0xbf9e9ae6fc27006a
	v_fmaak_f64 v[32:33], v[28:29], v[32:33], 0x3fa2c15b5711927a
	v_add_f64_e32 v[26:27], v[26:27], v[30:31]
	s_delay_alu instid0(VALU_DEP_2) | instskip(SKIP_1) | instid1(VALU_DEP_2)
	v_fmaak_f64 v[30:31], v[28:29], v[32:33], 0xbfa59976e82d3ff0
	v_add_f64_e64 v[32:33], v[56:57], -v[54:55]
	v_fmaak_f64 v[30:31], v[28:29], v[30:31], 0x3fa82d5d6ef28734
	s_delay_alu instid0(VALU_DEP_1) | instskip(NEXT) | instid1(VALU_DEP_1)
	v_fmaak_f64 v[30:31], v[28:29], v[30:31], 0xbfaae5ce6a214619
	v_fmaak_f64 v[30:31], v[28:29], v[30:31], 0x3fae1bb48427b883
	s_delay_alu instid0(VALU_DEP_1) | instskip(SKIP_3) | instid1(VALU_DEP_4)
	v_fmaak_f64 v[30:31], v[28:29], v[30:31], 0xbfb110e48b207f05
	v_add_f64_e32 v[26:27], v[56:57], v[26:27]
	v_add_f64_e64 v[56:57], v[56:57], -v[32:33]
	v_add_f64_e64 v[22:23], v[22:23], -v[32:33]
	v_fmaak_f64 v[30:31], v[28:29], v[30:31], 0x3fb3b13657b87036
	s_delay_alu instid0(VALU_DEP_1) | instskip(NEXT) | instid1(VALU_DEP_1)
	v_fmaak_f64 v[30:31], v[28:29], v[30:31], 0xbfb745d119378e4f
	v_fmaak_f64 v[30:31], v[28:29], v[30:31], 0x3fbc71c717e1913c
	s_delay_alu instid0(VALU_DEP_1) | instskip(SKIP_1) | instid1(VALU_DEP_2)
	v_fmaak_f64 v[30:31], v[28:29], v[30:31], 0xbfc2492492376b7d
	v_add_f64_e32 v[58:59], v[52:53], v[26:27]
	v_fmaak_f64 v[30:31], v[28:29], v[30:31], 0x3fc99999999952cc
	s_delay_alu instid0(VALU_DEP_1) | instskip(NEXT) | instid1(VALU_DEP_1)
	v_fmaak_f64 v[30:31], v[28:29], v[30:31], 0xbfd5555555555523
	v_mul_f64_e32 v[28:29], v[28:29], v[30:31]
	v_add_f64_e64 v[30:31], v[54:55], -v[56:57]
	v_add_f64_e64 v[32:33], v[58:59], -v[52:53]
	s_delay_alu instid0(VALU_DEP_3) | instskip(NEXT) | instid1(VALU_DEP_3)
	v_fmac_f64_e32 v[24:25], v[24:25], v[28:29]
	v_add_f64_e32 v[22:23], v[22:23], v[30:31]
	s_delay_alu instid0(VALU_DEP_3) | instskip(NEXT) | instid1(VALU_DEP_3)
	v_add_f64_e64 v[26:27], v[26:27], -v[32:33]
	v_add_f64_e64 v[28:29], -v[24:25], s[38:39]
	s_delay_alu instid0(VALU_DEP_1) | instskip(NEXT) | instid1(VALU_DEP_2)
	v_dual_add_f64 v[22:23], v[22:23], v[26:27] :: v_dual_cndmask_b32 v25, v25, v29, s4
	v_cndmask_b32_e64 v24, v24, v28, s4
	v_and_b32_e32 v29, 0x54442d18, v8
	v_cndmask_b32_e32 v28, 0x54442d18, v68, vcc_lo
	s_delay_alu instid0(VALU_DEP_3) | instskip(SKIP_1) | instid1(VALU_DEP_2)
	v_add_f64_e64 v[26:27], -v[24:25], s[40:41]
	v_add_f64_e32 v[22:23], v[58:59], v[22:23]
	v_dual_cndmask_b32 v24, v24, v26, vcc_lo :: v_dual_cndmask_b32 v8, v25, v27, vcc_lo
	s_and_b32 vcc_lo, s9, s10
                                        ; implicit-def: $vgpr26_vgpr27
	s_delay_alu instid0(VALU_DEP_1) | instskip(NEXT) | instid1(VALU_DEP_2)
	v_cndmask_b32_e64 v24, v24, v29, s5
	v_cndmask_b32_e64 v7, v8, v7, s5
	s_delay_alu instid0(VALU_DEP_2) | instskip(NEXT) | instid1(VALU_DEP_2)
	v_dual_mul_f64 v[2:3], 0.5, v[22:23] :: v_dual_cndmask_b32 v24, v24, v28, vcc_lo
	v_cndmask_b32_e32 v25, v7, v6, vcc_lo
	s_delay_alu instid0(VALU_DEP_2) | instskip(NEXT) | instid1(VALU_DEP_3)
	v_cndmask_b32_e64 v23, 0x7ff00000, v3, s6
	v_cndmask_b32_e64 v22, 0, v2, s6
.LBB167_208:                            ;   in Loop: Header=BB167_145 Depth=1
	s_and_not1_saveexec_b32 s6, s8
	s_cbranch_execz .LBB167_210
; %bb.209:                              ;   in Loop: Header=BB167_145 Depth=1
	v_max_num_f64_e64 v[6:7], |v[4:5]|, |v[4:5]|
	v_max_num_f64_e64 v[22:23], |v[2:3]|, |v[2:3]|
	v_cmp_eq_f64_e64 s5, 0, v[4:5]
	v_cmp_class_f64_e64 s8, v[4:5], 0x204
	v_cmp_class_f64_e64 s9, v[2:3], 0x204
	v_ashrrev_i32_e32 v8, 31, v3
	v_max_num_f64_e32 v[24:25], v[22:23], v[6:7]
	v_min_num_f64_e32 v[6:7], v[22:23], v[6:7]
	s_delay_alu instid0(VALU_DEP_1) | instskip(SKIP_1) | instid1(VALU_DEP_2)
	v_div_scale_f64 v[22:23], null, v[24:25], v[24:25], v[6:7]
	v_div_scale_f64 v[32:33], vcc_lo, v[6:7], v[24:25], v[6:7]
	v_rcp_f64_e32 v[28:29], v[22:23]
	v_nop
	s_delay_alu instid0(TRANS32_DEP_1) | instskip(NEXT) | instid1(VALU_DEP_1)
	v_fma_f64 v[30:31], -v[22:23], v[28:29], 1.0
	v_fmac_f64_e32 v[28:29], v[28:29], v[30:31]
	s_delay_alu instid0(VALU_DEP_1) | instskip(NEXT) | instid1(VALU_DEP_1)
	v_fma_f64 v[30:31], -v[22:23], v[28:29], 1.0
	v_fmac_f64_e32 v[28:29], v[28:29], v[30:31]
	s_delay_alu instid0(VALU_DEP_1) | instskip(NEXT) | instid1(VALU_DEP_1)
	v_mul_f64_e32 v[30:31], v[32:33], v[28:29]
	v_fma_f64 v[22:23], -v[22:23], v[30:31], v[32:33]
	s_delay_alu instid0(VALU_DEP_1)
	v_div_fmas_f64 v[22:23], v[22:23], v[28:29], v[30:31]
	v_cmp_gt_i32_e32 vcc_lo, 0, v3
	v_and_b32_e32 v29, 0x54442d18, v8
	v_and_b32_e32 v3, 0x400921fb, v8
	v_cndmask_b32_e32 v2, 0x3fe921fb, v69, vcc_lo
	v_cndmask_b32_e32 v28, 0x54442d18, v68, vcc_lo
	s_delay_alu instid0(VALU_DEP_2) | instskip(SKIP_1) | instid1(VALU_DEP_1)
	v_bfi_b32 v2, 0x7fffffff, v2, v5
	v_div_fixup_f64 v[6:7], v[22:23], v[24:25], v[6:7]
	v_mul_f64_e32 v[22:23], v[6:7], v[6:7]
	s_delay_alu instid0(VALU_DEP_1) | instskip(NEXT) | instid1(VALU_DEP_1)
	v_fmamk_f64 v[24:25], v[22:23], 0x3eeba404b5e68a13, v[42:43]
	v_fmaak_f64 v[24:25], v[22:23], v[24:25], 0x3f4b2bb069efb384
	s_delay_alu instid0(VALU_DEP_1) | instskip(NEXT) | instid1(VALU_DEP_1)
	v_fmaak_f64 v[24:25], v[22:23], v[24:25], 0xbf67952daf56de9b
	v_fmaak_f64 v[24:25], v[22:23], v[24:25], 0x3f7d6d43a595c56f
	s_delay_alu instid0(VALU_DEP_1) | instskip(NEXT) | instid1(VALU_DEP_1)
	v_fmaak_f64 v[24:25], v[22:23], v[24:25], 0xbf8c6ea4a57d9582
	;; [unrolled: 3-line block ×9, first 2 shown]
	v_mul_f64_e32 v[22:23], v[22:23], v[24:25]
	s_delay_alu instid0(VALU_DEP_1) | instskip(NEXT) | instid1(VALU_DEP_1)
	v_fmac_f64_e32 v[6:7], v[6:7], v[22:23]
	v_add_f64_e64 v[22:23], -v[6:7], s[38:39]
	s_delay_alu instid0(VALU_DEP_1) | instskip(NEXT) | instid1(VALU_DEP_1)
	v_dual_cndmask_b32 v7, v7, v23, s4 :: v_dual_cndmask_b32 v6, v6, v22, s4
	v_add_f64_e64 v[24:25], -v[6:7], s[40:41]
	s_delay_alu instid0(VALU_DEP_1) | instskip(NEXT) | instid1(VALU_DEP_2)
	v_dual_mul_f64 v[22:23], 0.5, v[26:27] :: v_dual_cndmask_b32 v7, v7, v25, vcc_lo
	v_cndmask_b32_e32 v6, v6, v24, vcc_lo
	s_and_b32 vcc_lo, s8, s9
	s_delay_alu instid0(VALU_DEP_1) | instskip(NEXT) | instid1(VALU_DEP_1)
	v_dual_cndmask_b32 v3, v7, v3, s5 :: v_dual_cndmask_b32 v6, v6, v29, s5
	v_dual_cndmask_b32 v25, v3, v2 :: v_dual_cndmask_b32 v24, v6, v28
	s_delay_alu instid0(VALU_DEP_4)
	v_mul_f64_e32 v[22:23], v[26:27], v[22:23]
.LBB167_210:                            ;   in Loop: Header=BB167_145 Depth=1
	s_or_b32 exec_lo, exec_lo, s6
.LBB167_211:                            ;   in Loop: Header=BB167_145 Depth=1
	s_delay_alu instid0(SALU_CYCLE_1)
	s_or_b32 exec_lo, exec_lo, s7
.LBB167_212:                            ;   in Loop: Header=BB167_145 Depth=1
	s_and_not1_saveexec_b32 s6, s33
	s_cbranch_execz .LBB167_214
; %bb.213:                              ;   in Loop: Header=BB167_145 Depth=1
	v_div_scale_f64 v[6:7], null, s[46:47], s[46:47], v[2:3]
	v_div_scale_f64 v[22:23], null, s[46:47], s[46:47], v[4:5]
	v_div_scale_f64 v[32:33], vcc_lo, v[2:3], s[46:47], v[2:3]
	s_delay_alu instid0(VALU_DEP_3) | instskip(NEXT) | instid1(VALU_DEP_2)
	v_rcp_f64_e32 v[24:25], v[6:7]
	v_rcp_f64_e32 v[26:27], v[22:23]
	s_delay_alu instid0(TRANS32_DEP_2) | instskip(NEXT) | instid1(TRANS32_DEP_1)
	v_fma_f64 v[28:29], -v[6:7], v[24:25], 1.0
	v_fma_f64 v[30:31], -v[22:23], v[26:27], 1.0
	s_delay_alu instid0(VALU_DEP_2) | instskip(NEXT) | instid1(VALU_DEP_2)
	v_fmac_f64_e32 v[24:25], v[24:25], v[28:29]
	v_fmac_f64_e32 v[26:27], v[26:27], v[30:31]
	s_delay_alu instid0(VALU_DEP_2) | instskip(NEXT) | instid1(VALU_DEP_2)
	v_fma_f64 v[28:29], -v[6:7], v[24:25], 1.0
	v_fma_f64 v[30:31], -v[22:23], v[26:27], 1.0
	s_delay_alu instid0(VALU_DEP_2) | instskip(SKIP_1) | instid1(VALU_DEP_3)
	v_fmac_f64_e32 v[24:25], v[24:25], v[28:29]
	v_div_scale_f64 v[28:29], s5, v[4:5], s[46:47], v[4:5]
	v_fmac_f64_e32 v[26:27], v[26:27], v[30:31]
	s_delay_alu instid0(VALU_DEP_3) | instskip(NEXT) | instid1(VALU_DEP_2)
	v_mul_f64_e32 v[30:31], v[32:33], v[24:25]
	v_mul_f64_e32 v[52:53], v[28:29], v[26:27]
	s_delay_alu instid0(VALU_DEP_2) | instskip(NEXT) | instid1(VALU_DEP_2)
	v_fma_f64 v[6:7], -v[6:7], v[30:31], v[32:33]
	v_fma_f64 v[22:23], -v[22:23], v[52:53], v[28:29]
	s_delay_alu instid0(VALU_DEP_2) | instskip(SKIP_1) | instid1(VALU_DEP_2)
	v_div_fmas_f64 v[6:7], v[6:7], v[24:25], v[30:31]
	s_mov_b32 vcc_lo, s5
	v_div_fmas_f64 v[22:23], v[22:23], v[26:27], v[52:53]
	s_delay_alu instid0(VALU_DEP_2) | instskip(NEXT) | instid1(VALU_DEP_2)
	v_div_fixup_f64 v[6:7], v[6:7], s[46:47], v[2:3]
	v_div_fixup_f64 v[22:23], v[22:23], s[46:47], v[4:5]
	s_delay_alu instid0(VALU_DEP_2) | instskip(NEXT) | instid1(VALU_DEP_2)
	v_cmp_class_f64_e64 s5, v[6:7], 0x204
	v_max_num_f64_e64 v[24:25], |v[6:7]|, |v[22:23]|
	v_cmp_class_f64_e64 s7, v[22:23], 0x204
	s_delay_alu instid0(VALU_DEP_2) | instskip(SKIP_2) | instid1(VALU_DEP_2)
	v_frexp_exp_i32_f64_e32 v8, v[24:25]
	s_or_b32 s5, s7, s5
	v_cmp_class_f64_e64 s7, v[2:3], 0x204
	v_sub_nc_u32_e32 v26, 0, v8
	s_delay_alu instid0(VALU_DEP_1) | instskip(SKIP_1) | instid1(VALU_DEP_2)
	v_ldexp_f64 v[24:25], |v[22:23]|, v26
	v_ldexp_f64 v[26:27], |v[6:7]|, v26
	v_mul_f64_e32 v[24:25], v[24:25], v[24:25]
	s_delay_alu instid0(VALU_DEP_1) | instskip(NEXT) | instid1(VALU_DEP_1)
	v_fmac_f64_e32 v[24:25], v[26:27], v[26:27]
	v_rsq_f64_e32 v[26:27], v[24:25]
	v_cmp_eq_f64_e32 vcc_lo, 0, v[24:25]
	s_delay_alu instid0(TRANS32_DEP_1) | instskip(SKIP_1) | instid1(VALU_DEP_1)
	v_mul_f64_e32 v[28:29], v[24:25], v[26:27]
	v_mul_f64_e32 v[26:27], 0.5, v[26:27]
	v_fma_f64 v[30:31], -v[26:27], v[28:29], 0.5
	s_delay_alu instid0(VALU_DEP_1) | instskip(SKIP_1) | instid1(VALU_DEP_2)
	v_fmac_f64_e32 v[28:29], v[28:29], v[30:31]
	v_fmac_f64_e32 v[26:27], v[26:27], v[30:31]
	v_fma_f64 v[30:31], -v[28:29], v[28:29], v[24:25]
	s_delay_alu instid0(VALU_DEP_1) | instskip(NEXT) | instid1(VALU_DEP_1)
	v_fmac_f64_e32 v[28:29], v[30:31], v[26:27]
	v_dual_cndmask_b32 v25, v29, v25 :: v_dual_cndmask_b32 v24, v28, v24
	v_cmp_o_f64_e32 vcc_lo, v[6:7], v[22:23]
	s_delay_alu instid0(VALU_DEP_2) | instskip(NEXT) | instid1(VALU_DEP_1)
	v_ldexp_f64 v[24:25], v[24:25], v8
	v_cndmask_b32_e32 v6, 0, v24, vcc_lo
	s_delay_alu instid0(VALU_DEP_2) | instskip(NEXT) | instid1(VALU_DEP_2)
	v_cndmask_b32_e32 v7, 0x7ff80000, v25, vcc_lo
	v_cndmask_b32_e64 v6, v6, 0, s5
	s_delay_alu instid0(VALU_DEP_2) | instskip(SKIP_1) | instid1(VALU_DEP_2)
	v_cndmask_b32_e64 v7, v7, 0x7ff00000, s5
	v_cmp_class_f64_e64 s5, v[4:5], 0x204
	v_frexp_mant_f64_e32 v[22:23], v[6:7]
	s_delay_alu instid0(VALU_DEP_1) | instskip(SKIP_1) | instid1(VALU_DEP_1)
	v_cmp_gt_f64_e32 vcc_lo, s[28:29], v[22:23]
	v_cndmask_b32_e64 v8, 0, 1, vcc_lo
	v_ldexp_f64 v[22:23], v[22:23], v8
	v_frexp_exp_i32_f64_e32 v8, v[6:7]
	s_delay_alu instid0(VALU_DEP_2) | instskip(SKIP_1) | instid1(VALU_DEP_3)
	v_add_f64_e32 v[24:25], 1.0, v[22:23]
	v_add_f64_e32 v[30:31], -1.0, v[22:23]
	v_subrev_co_ci_u32_e64 v8, null, 0, v8, vcc_lo
	s_delay_alu instid0(VALU_DEP_3) | instskip(SKIP_1) | instid1(VALU_DEP_1)
	v_rcp_f64_e32 v[26:27], v[24:25]
	v_add_f64_e32 v[32:33], -1.0, v[24:25]
	v_add_f64_e64 v[22:23], v[22:23], -v[32:33]
	s_delay_alu instid0(TRANS32_DEP_1) | instskip(NEXT) | instid1(VALU_DEP_1)
	v_fma_f64 v[28:29], -v[24:25], v[26:27], 1.0
	v_fmac_f64_e32 v[26:27], v[28:29], v[26:27]
	s_delay_alu instid0(VALU_DEP_1) | instskip(NEXT) | instid1(VALU_DEP_1)
	v_fma_f64 v[28:29], -v[24:25], v[26:27], 1.0
	v_fmac_f64_e32 v[26:27], v[28:29], v[26:27]
	s_delay_alu instid0(VALU_DEP_1) | instskip(NEXT) | instid1(VALU_DEP_1)
	v_mul_f64_e32 v[28:29], v[30:31], v[26:27]
	v_mul_f64_e32 v[52:53], v[24:25], v[28:29]
	s_delay_alu instid0(VALU_DEP_1) | instskip(NEXT) | instid1(VALU_DEP_1)
	v_fma_f64 v[24:25], v[28:29], v[24:25], -v[52:53]
	v_fmac_f64_e32 v[24:25], v[28:29], v[22:23]
	s_delay_alu instid0(VALU_DEP_1) | instskip(NEXT) | instid1(VALU_DEP_1)
	v_add_f64_e32 v[22:23], v[52:53], v[24:25]
	v_add_f64_e64 v[32:33], v[30:31], -v[22:23]
	v_add_f64_e64 v[52:53], v[22:23], -v[52:53]
	s_delay_alu instid0(VALU_DEP_2) | instskip(NEXT) | instid1(VALU_DEP_2)
	v_add_f64_e64 v[30:31], v[30:31], -v[32:33]
	v_add_f64_e64 v[24:25], v[52:53], -v[24:25]
	s_delay_alu instid0(VALU_DEP_2) | instskip(SKIP_1) | instid1(VALU_DEP_2)
	v_add_f64_e64 v[22:23], v[30:31], -v[22:23]
	v_max_num_f64_e64 v[30:31], |v[2:3]|, |v[2:3]|
	v_add_f64_e32 v[22:23], v[24:25], v[22:23]
	v_max_num_f64_e64 v[24:25], |v[4:5]|, |v[4:5]|
	s_delay_alu instid0(VALU_DEP_2) | instskip(NEXT) | instid1(VALU_DEP_1)
	v_add_f64_e32 v[22:23], v[32:33], v[22:23]
	v_mul_f64_e32 v[22:23], v[26:27], v[22:23]
	s_delay_alu instid0(VALU_DEP_3) | instskip(SKIP_1) | instid1(VALU_DEP_3)
	v_max_num_f64_e32 v[26:27], v[30:31], v[24:25]
	v_min_num_f64_e32 v[24:25], v[30:31], v[24:25]
	v_add_f64_e32 v[30:31], v[28:29], v[22:23]
	s_delay_alu instid0(VALU_DEP_2) | instskip(NEXT) | instid1(VALU_DEP_2)
	v_div_scale_f64 v[32:33], null, v[26:27], v[26:27], v[24:25]
	v_mul_f64_e32 v[52:53], v[30:31], v[30:31]
	v_add_f64_e64 v[28:29], v[30:31], -v[28:29]
	s_delay_alu instid0(VALU_DEP_3) | instskip(NEXT) | instid1(VALU_DEP_2)
	v_rcp_f64_e32 v[54:55], v[32:33]
	v_fmamk_f64 v[56:57], v[52:53], 0x3fc3ab76bf559e2b, v[40:41]
	v_mul_f64_e32 v[58:59], v[30:31], v[52:53]
	s_delay_alu instid0(VALU_DEP_3) | instskip(NEXT) | instid1(VALU_DEP_3)
	v_add_f64_e64 v[22:23], v[22:23], -v[28:29]
	v_fmaak_f64 v[56:57], v[52:53], v[56:57], 0x3fc7474dd7f4df2e
	s_delay_alu instid0(TRANS32_DEP_1) | instskip(NEXT) | instid1(VALU_DEP_2)
	v_fma_f64 v[60:61], -v[32:33], v[54:55], 1.0
	v_fmaak_f64 v[56:57], v[52:53], v[56:57], 0x3fcc71c016291751
	s_delay_alu instid0(VALU_DEP_1) | instskip(NEXT) | instid1(VALU_DEP_1)
	v_fmaak_f64 v[56:57], v[52:53], v[56:57], 0x3fd249249b27acf1
	v_fmaak_f64 v[56:57], v[52:53], v[56:57], 0x3fd99999998ef7b6
	v_ldexp_f64 v[22:23], v[22:23], 1
	s_delay_alu instid0(VALU_DEP_2) | instskip(SKIP_2) | instid1(VALU_DEP_3)
	v_fmaak_f64 v[52:53], v[52:53], v[56:57], 0x3fe5555555555780
	v_ldexp_f64 v[56:57], v[30:31], 1
	v_fmac_f64_e32 v[54:55], v[54:55], v[60:61]
	v_mul_f64_e32 v[52:53], v[58:59], v[52:53]
	v_cvt_f64_i32_e32 v[58:59], v8
	v_ashrrev_i32_e32 v8, 31, v3
	s_delay_alu instid0(VALU_DEP_4) | instskip(NEXT) | instid1(VALU_DEP_4)
	v_fma_f64 v[60:61], -v[32:33], v[54:55], 1.0
	v_add_f64_e32 v[30:31], v[56:57], v[52:53]
	s_delay_alu instid0(VALU_DEP_4) | instskip(NEXT) | instid1(VALU_DEP_3)
	v_mul_f64_e32 v[62:63], 0x3fe62e42fefa39ef, v[58:59]
	v_fmac_f64_e32 v[54:55], v[54:55], v[60:61]
	s_delay_alu instid0(VALU_DEP_3) | instskip(SKIP_1) | instid1(VALU_DEP_4)
	v_add_f64_e64 v[28:29], v[30:31], -v[56:57]
	v_div_scale_f64 v[56:57], vcc_lo, v[24:25], v[26:27], v[24:25]
	v_fma_f64 v[60:61], v[58:59], s[30:31], -v[62:63]
	s_delay_alu instid0(VALU_DEP_3) | instskip(NEXT) | instid1(VALU_DEP_3)
	v_add_f64_e64 v[28:29], v[52:53], -v[28:29]
	v_mul_f64_e32 v[52:53], v[56:57], v[54:55]
	s_delay_alu instid0(VALU_DEP_3) | instskip(NEXT) | instid1(VALU_DEP_3)
	v_fmac_f64_e32 v[60:61], 0x3c7abc9e3b39803f, v[58:59]
	v_add_f64_e32 v[22:23], v[22:23], v[28:29]
	s_delay_alu instid0(VALU_DEP_3) | instskip(NEXT) | instid1(VALU_DEP_3)
	v_fma_f64 v[28:29], -v[32:33], v[52:53], v[56:57]
	v_add_f64_e32 v[32:33], v[62:63], v[60:61]
	s_delay_alu instid0(VALU_DEP_3) | instskip(NEXT) | instid1(VALU_DEP_3)
	v_add_f64_e32 v[56:57], v[30:31], v[22:23]
	v_div_fmas_f64 v[28:29], v[28:29], v[54:55], v[52:53]
	v_cmp_class_f64_e64 vcc_lo, v[6:7], 0x204
	s_delay_alu instid0(VALU_DEP_4) | instskip(NEXT) | instid1(VALU_DEP_4)
	v_add_f64_e64 v[54:55], v[32:33], -v[62:63]
	v_add_f64_e32 v[52:53], v[32:33], v[56:57]
	s_delay_alu instid0(VALU_DEP_4) | instskip(SKIP_1) | instid1(VALU_DEP_4)
	v_div_fixup_f64 v[24:25], v[28:29], v[26:27], v[24:25]
	v_add_f64_e64 v[30:31], v[56:57], -v[30:31]
	v_add_f64_e64 v[54:55], v[60:61], -v[54:55]
	s_delay_alu instid0(VALU_DEP_4) | instskip(NEXT) | instid1(VALU_DEP_4)
	v_add_f64_e64 v[26:27], v[52:53], -v[32:33]
	v_mul_f64_e32 v[28:29], v[24:25], v[24:25]
	s_delay_alu instid0(VALU_DEP_4) | instskip(NEXT) | instid1(VALU_DEP_3)
	v_add_f64_e64 v[22:23], v[22:23], -v[30:31]
	v_add_f64_e64 v[58:59], v[52:53], -v[26:27]
	s_delay_alu instid0(VALU_DEP_3) | instskip(SKIP_1) | instid1(VALU_DEP_4)
	v_fmamk_f64 v[62:63], v[28:29], 0x3eeba404b5e68a13, v[42:43]
	v_add_f64_e64 v[26:27], v[56:57], -v[26:27]
	v_add_f64_e32 v[56:57], v[54:55], v[22:23]
	s_delay_alu instid0(VALU_DEP_3) | instskip(SKIP_1) | instid1(VALU_DEP_2)
	v_fmaak_f64 v[62:63], v[28:29], v[62:63], 0x3f4b2bb069efb384
	v_add_f64_e64 v[30:31], v[32:33], -v[58:59]
	v_fmaak_f64 v[32:33], v[28:29], v[62:63], 0xbf67952daf56de9b
	s_delay_alu instid0(VALU_DEP_1) | instskip(NEXT) | instid1(VALU_DEP_1)
	v_fmaak_f64 v[32:33], v[28:29], v[32:33], 0x3f7d6d43a595c56f
	v_fmaak_f64 v[32:33], v[28:29], v[32:33], 0xbf8c6ea4a57d9582
	s_delay_alu instid0(VALU_DEP_1) | instskip(SKIP_1) | instid1(VALU_DEP_2)
	v_fmaak_f64 v[32:33], v[28:29], v[32:33], 0x3f967e295f08b19f
	v_add_f64_e32 v[26:27], v[26:27], v[30:31]
	v_fmaak_f64 v[30:31], v[28:29], v[32:33], 0xbf9e9ae6fc27006a
	v_add_f64_e64 v[32:33], v[56:57], -v[54:55]
	s_delay_alu instid0(VALU_DEP_2) | instskip(NEXT) | instid1(VALU_DEP_1)
	v_fmaak_f64 v[30:31], v[28:29], v[30:31], 0x3fa2c15b5711927a
	v_fmaak_f64 v[30:31], v[28:29], v[30:31], 0xbfa59976e82d3ff0
	s_delay_alu instid0(VALU_DEP_1) | instskip(NEXT) | instid1(VALU_DEP_1)
	v_fmaak_f64 v[30:31], v[28:29], v[30:31], 0x3fa82d5d6ef28734
	v_fmaak_f64 v[30:31], v[28:29], v[30:31], 0xbfaae5ce6a214619
	v_add_f64_e32 v[26:27], v[56:57], v[26:27]
	v_add_f64_e64 v[56:57], v[56:57], -v[32:33]
	v_add_f64_e64 v[22:23], v[22:23], -v[32:33]
	s_delay_alu instid0(VALU_DEP_4) | instskip(NEXT) | instid1(VALU_DEP_1)
	v_fmaak_f64 v[30:31], v[28:29], v[30:31], 0x3fae1bb48427b883
	v_fmaak_f64 v[30:31], v[28:29], v[30:31], 0xbfb110e48b207f05
	s_delay_alu instid0(VALU_DEP_1) | instskip(NEXT) | instid1(VALU_DEP_1)
	v_fmaak_f64 v[30:31], v[28:29], v[30:31], 0x3fb3b13657b87036
	v_fmaak_f64 v[30:31], v[28:29], v[30:31], 0xbfb745d119378e4f
	s_delay_alu instid0(VALU_DEP_1) | instskip(SKIP_1) | instid1(VALU_DEP_2)
	v_fmaak_f64 v[30:31], v[28:29], v[30:31], 0x3fbc71c717e1913c
	v_add_f64_e32 v[58:59], v[52:53], v[26:27]
	v_fmaak_f64 v[30:31], v[28:29], v[30:31], 0xbfc2492492376b7d
	s_delay_alu instid0(VALU_DEP_1) | instskip(NEXT) | instid1(VALU_DEP_1)
	v_fmaak_f64 v[30:31], v[28:29], v[30:31], 0x3fc99999999952cc
	v_fmaak_f64 v[30:31], v[28:29], v[30:31], 0xbfd5555555555523
	s_delay_alu instid0(VALU_DEP_1) | instskip(SKIP_2) | instid1(VALU_DEP_3)
	v_mul_f64_e32 v[28:29], v[28:29], v[30:31]
	v_add_f64_e64 v[30:31], v[54:55], -v[56:57]
	v_add_f64_e64 v[32:33], v[58:59], -v[52:53]
	v_fmac_f64_e32 v[24:25], v[24:25], v[28:29]
	s_delay_alu instid0(VALU_DEP_3) | instskip(NEXT) | instid1(VALU_DEP_3)
	v_add_f64_e32 v[22:23], v[22:23], v[30:31]
	v_add_f64_e64 v[26:27], v[26:27], -v[32:33]
	s_delay_alu instid0(VALU_DEP_3) | instskip(NEXT) | instid1(VALU_DEP_1)
	v_add_f64_e64 v[28:29], -v[24:25], s[38:39]
	v_dual_add_f64 v[22:23], v[22:23], v[26:27] :: v_dual_cndmask_b32 v25, v25, v29, s4
	s_delay_alu instid0(VALU_DEP_2)
	v_cndmask_b32_e64 v24, v24, v28, s4
	v_cmp_gt_i32_e64 s4, 0, v3
	v_and_b32_e32 v29, 0x54442d18, v8
	v_and_b32_e32 v3, 0x400921fb, v8
	v_add_f64_e32 v[22:23], v[58:59], v[22:23]
	v_add_f64_e64 v[26:27], -v[24:25], s[40:41]
	v_cndmask_b32_e64 v28, 0x54442d18, v68, s4
	v_cndmask_b32_e64 v2, 0x3fe921fb, v69, s4
	s_delay_alu instid0(VALU_DEP_1) | instskip(SKIP_4) | instid1(VALU_DEP_2)
	v_bfi_b32 v2, 0x7fffffff, v2, v5
	v_dual_cndmask_b32 v23, v23, v7 :: v_dual_cndmask_b32 v22, v22, v6
	v_cmp_eq_f64_e32 vcc_lo, 0, v[4:5]
	v_dual_cndmask_b32 v24, v24, v26, s4 :: v_dual_cndmask_b32 v8, v25, v27, s4
	v_cmp_nge_f64_e64 s4, 0, v[6:7]
	v_dual_add_f64 v[22:23], 1.0, v[22:23] :: v_dual_cndmask_b32 v24, v24, v29, vcc_lo
	s_delay_alu instid0(VALU_DEP_3) | instskip(SKIP_1) | instid1(VALU_DEP_3)
	v_cndmask_b32_e32 v3, v8, v3, vcc_lo
	v_cmp_ngt_f64_e32 vcc_lo, 0, v[6:7]
	v_cndmask_b32_e64 v22, 0, v22, s4
	v_cmp_neq_f64_e64 s4, 0, v[6:7]
	v_cndmask_b32_e32 v8, 0x7ff80000, v23, vcc_lo
	s_and_b32 vcc_lo, s5, s7
	v_dual_cndmask_b32 v25, v3, v2 :: v_dual_cndmask_b32 v24, v24, v28
	s_delay_alu instid0(VALU_DEP_2)
	v_cndmask_b32_e64 v23, 0xfff00000, v8, s4
.LBB167_214:                            ;   in Loop: Header=BB167_145 Depth=1
	s_or_b32 exec_lo, exec_lo, s6
.LBB167_215:                            ;   in Loop: Header=BB167_145 Depth=1
	s_and_not1_saveexec_b32 s4, s15
	s_cbranch_execz .LBB167_221
; %bb.216:                              ;   in Loop: Header=BB167_145 Depth=1
	v_cmp_ngt_f64_e64 s5, 0x20000000, |v[2:3]|
	v_cmp_ngt_f64_e64 s6, 0x20000000, |v[4:5]|
                                        ; implicit-def: $vgpr6_vgpr7
	s_or_b32 s5, s6, s5
	s_delay_alu instid0(SALU_CYCLE_1) | instskip(NEXT) | instid1(SALU_CYCLE_1)
	s_and_saveexec_b32 s6, s5
	s_xor_b32 s5, exec_lo, s6
	s_cbranch_execz .LBB167_218
; %bb.217:                              ;   in Loop: Header=BB167_145 Depth=1
	v_mul_f64_e32 v[6:7], v[2:3], v[2:3]
	s_delay_alu instid0(VALU_DEP_1)
	v_fmac_f64_e32 v[6:7], v[4:5], v[4:5]
.LBB167_218:                            ;   in Loop: Header=BB167_145 Depth=1
	s_and_not1_saveexec_b32 s5, s5
	s_cbranch_execz .LBB167_220
; %bb.219:                              ;   in Loop: Header=BB167_145 Depth=1
	v_mul_f64_e32 v[2:3], 4.0, v[2:3]
	v_mul_f64_e32 v[6:7], 4.0, v[4:5]
	s_delay_alu instid0(VALU_DEP_2) | instskip(NEXT) | instid1(VALU_DEP_1)
	v_mul_f64_e32 v[2:3], v[2:3], v[2:3]
	v_fmac_f64_e32 v[2:3], v[6:7], v[6:7]
	s_delay_alu instid0(VALU_DEP_1)
	v_ldexp_f64 v[6:7], v[2:3], -4
.LBB167_220:                            ;   in Loop: Header=BB167_145 Depth=1
	s_or_b32 exec_lo, exec_lo, s5
	s_delay_alu instid0(VALU_DEP_1) | instskip(NEXT) | instid1(VALU_DEP_1)
	v_frexp_mant_f64_e32 v[2:3], v[6:7]
	v_cmp_gt_f64_e32 vcc_lo, s[28:29], v[2:3]
	v_cndmask_b32_e64 v4, 0, 1, vcc_lo
	s_delay_alu instid0(VALU_DEP_1) | instskip(SKIP_1) | instid1(VALU_DEP_2)
	v_ldexp_f64 v[2:3], v[2:3], v4
	v_frexp_exp_i32_f64_e32 v4, v[6:7]
	v_add_f64_e32 v[22:23], 1.0, v[2:3]
	v_add_f64_e32 v[28:29], -1.0, v[2:3]
	s_delay_alu instid0(VALU_DEP_3) | instskip(SKIP_1) | instid1(VALU_DEP_4)
	v_subrev_co_ci_u32_e64 v4, null, 0, v4, vcc_lo
	v_cmp_class_f64_e64 vcc_lo, v[6:7], 0x204
	v_rcp_f64_e32 v[24:25], v[22:23]
	v_add_f64_e32 v[30:31], -1.0, v[22:23]
	s_delay_alu instid0(VALU_DEP_1) | instskip(NEXT) | instid1(TRANS32_DEP_1)
	v_add_f64_e64 v[2:3], v[2:3], -v[30:31]
	v_fma_f64 v[26:27], -v[22:23], v[24:25], 1.0
	s_delay_alu instid0(VALU_DEP_1) | instskip(NEXT) | instid1(VALU_DEP_1)
	v_fmac_f64_e32 v[24:25], v[26:27], v[24:25]
	v_fma_f64 v[26:27], -v[22:23], v[24:25], 1.0
	s_delay_alu instid0(VALU_DEP_1) | instskip(NEXT) | instid1(VALU_DEP_1)
	v_fmac_f64_e32 v[24:25], v[26:27], v[24:25]
	v_mul_f64_e32 v[26:27], v[28:29], v[24:25]
	s_delay_alu instid0(VALU_DEP_1) | instskip(NEXT) | instid1(VALU_DEP_1)
	v_mul_f64_e32 v[32:33], v[22:23], v[26:27]
	v_fma_f64 v[22:23], v[26:27], v[22:23], -v[32:33]
	s_delay_alu instid0(VALU_DEP_1) | instskip(NEXT) | instid1(VALU_DEP_1)
	v_fmac_f64_e32 v[22:23], v[26:27], v[2:3]
	v_add_f64_e32 v[2:3], v[32:33], v[22:23]
	s_delay_alu instid0(VALU_DEP_1) | instskip(SKIP_1) | instid1(VALU_DEP_2)
	v_add_f64_e64 v[30:31], v[28:29], -v[2:3]
	v_add_f64_e64 v[32:33], v[2:3], -v[32:33]
	;; [unrolled: 1-line block ×3, first 2 shown]
	s_delay_alu instid0(VALU_DEP_2) | instskip(NEXT) | instid1(VALU_DEP_2)
	v_add_f64_e64 v[22:23], v[32:33], -v[22:23]
	v_add_f64_e64 v[2:3], v[28:29], -v[2:3]
	s_delay_alu instid0(VALU_DEP_1) | instskip(NEXT) | instid1(VALU_DEP_1)
	v_add_f64_e32 v[2:3], v[22:23], v[2:3]
	v_add_f64_e32 v[2:3], v[30:31], v[2:3]
	s_delay_alu instid0(VALU_DEP_1) | instskip(NEXT) | instid1(VALU_DEP_1)
	v_mul_f64_e32 v[2:3], v[24:25], v[2:3]
	v_add_f64_e32 v[22:23], v[26:27], v[2:3]
	s_delay_alu instid0(VALU_DEP_1) | instskip(NEXT) | instid1(VALU_DEP_1)
	v_mul_f64_e32 v[24:25], v[22:23], v[22:23]
	v_fmamk_f64 v[28:29], v[24:25], 0x3fc3ab76bf559e2b, v[40:41]
	v_mul_f64_e32 v[30:31], v[22:23], v[24:25]
	s_delay_alu instid0(VALU_DEP_2) | instskip(NEXT) | instid1(VALU_DEP_1)
	v_fmaak_f64 v[28:29], v[24:25], v[28:29], 0x3fc7474dd7f4df2e
	v_fmaak_f64 v[28:29], v[24:25], v[28:29], 0x3fcc71c016291751
	s_delay_alu instid0(VALU_DEP_1) | instskip(NEXT) | instid1(VALU_DEP_1)
	v_fmaak_f64 v[28:29], v[24:25], v[28:29], 0x3fd249249b27acf1
	v_fmaak_f64 v[28:29], v[24:25], v[28:29], 0x3fd99999998ef7b6
	s_delay_alu instid0(VALU_DEP_1) | instskip(SKIP_2) | instid1(VALU_DEP_3)
	v_fmaak_f64 v[24:25], v[24:25], v[28:29], 0x3fe5555555555780
	v_ldexp_f64 v[28:29], v[22:23], 1
	v_add_f64_e64 v[22:23], v[22:23], -v[26:27]
	v_mul_f64_e32 v[24:25], v[30:31], v[24:25]
	v_cvt_f64_i32_e32 v[30:31], v4
	s_delay_alu instid0(VALU_DEP_3) | instskip(NEXT) | instid1(VALU_DEP_3)
	v_add_f64_e64 v[2:3], v[2:3], -v[22:23]
	v_add_f64_e32 v[26:27], v[28:29], v[24:25]
	s_delay_alu instid0(VALU_DEP_3) | instskip(NEXT) | instid1(VALU_DEP_3)
	v_mul_f64_e32 v[32:33], 0x3fe62e42fefa39ef, v[30:31]
	v_ldexp_f64 v[2:3], v[2:3], 1
	s_delay_alu instid0(VALU_DEP_3) | instskip(NEXT) | instid1(VALU_DEP_3)
	v_add_f64_e64 v[22:23], v[26:27], -v[28:29]
	v_fma_f64 v[28:29], v[30:31], s[30:31], -v[32:33]
	s_delay_alu instid0(VALU_DEP_2) | instskip(NEXT) | instid1(VALU_DEP_2)
	v_add_f64_e64 v[22:23], v[24:25], -v[22:23]
	v_fmac_f64_e32 v[28:29], 0x3c7abc9e3b39803f, v[30:31]
	s_delay_alu instid0(VALU_DEP_2) | instskip(NEXT) | instid1(VALU_DEP_2)
	v_add_f64_e32 v[2:3], v[2:3], v[22:23]
	v_add_f64_e32 v[22:23], v[32:33], v[28:29]
	s_delay_alu instid0(VALU_DEP_2) | instskip(NEXT) | instid1(VALU_DEP_2)
	v_add_f64_e32 v[24:25], v[26:27], v[2:3]
	v_add_f64_e64 v[32:33], v[22:23], -v[32:33]
	s_delay_alu instid0(VALU_DEP_2) | instskip(SKIP_1) | instid1(VALU_DEP_3)
	v_add_f64_e32 v[30:31], v[22:23], v[24:25]
	v_add_f64_e64 v[26:27], v[24:25], -v[26:27]
	v_add_f64_e64 v[28:29], v[28:29], -v[32:33]
	s_delay_alu instid0(VALU_DEP_3) | instskip(NEXT) | instid1(VALU_DEP_3)
	v_add_f64_e64 v[52:53], v[30:31], -v[22:23]
	v_add_f64_e64 v[2:3], v[2:3], -v[26:27]
	s_delay_alu instid0(VALU_DEP_2) | instskip(SKIP_1) | instid1(VALU_DEP_3)
	v_add_f64_e64 v[54:55], v[30:31], -v[52:53]
	v_add_f64_e64 v[24:25], v[24:25], -v[52:53]
	v_add_f64_e32 v[26:27], v[28:29], v[2:3]
	s_delay_alu instid0(VALU_DEP_3) | instskip(NEXT) | instid1(VALU_DEP_1)
	v_add_f64_e64 v[22:23], v[22:23], -v[54:55]
	v_add_f64_e32 v[22:23], v[24:25], v[22:23]
	s_delay_alu instid0(VALU_DEP_3) | instskip(NEXT) | instid1(VALU_DEP_2)
	v_add_f64_e64 v[24:25], v[26:27], -v[28:29]
	v_add_f64_e32 v[22:23], v[26:27], v[22:23]
	s_delay_alu instid0(VALU_DEP_2) | instskip(SKIP_1) | instid1(VALU_DEP_3)
	v_add_f64_e64 v[26:27], v[26:27], -v[24:25]
	v_add_f64_e64 v[2:3], v[2:3], -v[24:25]
	v_add_f64_e32 v[32:33], v[30:31], v[22:23]
	s_delay_alu instid0(VALU_DEP_3) | instskip(NEXT) | instid1(VALU_DEP_2)
	v_add_f64_e64 v[24:25], v[28:29], -v[26:27]
	v_add_f64_e64 v[26:27], v[32:33], -v[30:31]
	s_delay_alu instid0(VALU_DEP_2) | instskip(SKIP_1) | instid1(VALU_DEP_3)
	v_add_f64_e32 v[2:3], v[2:3], v[24:25]
	v_mov_b64_e32 v[24:25], 0x7ff8000000000000
	v_add_f64_e64 v[22:23], v[22:23], -v[26:27]
	s_delay_alu instid0(VALU_DEP_1) | instskip(NEXT) | instid1(VALU_DEP_1)
	v_add_f64_e32 v[2:3], v[2:3], v[22:23]
	v_add_f64_e32 v[2:3], v[32:33], v[2:3]
	s_delay_alu instid0(VALU_DEP_1) | instskip(SKIP_1) | instid1(VALU_DEP_2)
	v_dual_cndmask_b32 v2, v2, v6 :: v_dual_cndmask_b32 v3, v3, v7
	v_cmp_ngt_f64_e32 vcc_lo, 0, v[6:7]
	v_cndmask_b32_e32 v3, 0x7ff80000, v3, vcc_lo
	v_cmp_nge_f64_e32 vcc_lo, 0, v[6:7]
	s_delay_alu instid0(VALU_DEP_4) | instskip(SKIP_1) | instid1(VALU_DEP_4)
	v_cndmask_b32_e32 v22, 0, v2, vcc_lo
	v_cmp_neq_f64_e32 vcc_lo, 0, v[6:7]
	v_cndmask_b32_e32 v23, 0xfff00000, v3, vcc_lo
.LBB167_221:                            ;   in Loop: Header=BB167_145 Depth=1
	s_or_b32 exec_lo, exec_lo, s4
                                        ; implicit-def: $vgpr26_vgpr27
	s_delay_alu instid0(SALU_CYCLE_1)
	s_mov_b32 s4, exec_lo
	v_cmpx_o_f64_e32 v[14:15], v[16:17]
	s_xor_b32 s15, exec_lo, s4
	s_cbranch_execz .LBB167_249
; %bb.222:                              ;   in Loop: Header=BB167_145 Depth=1
	v_cmp_lt_f64_e64 s4, |v[14:15]|, |v[16:17]|
	v_and_b32_e32 v4, 0x7fffffff, v15
	v_and_b32_e32 v3, 0x7fffffff, v17
	v_mov_b32_e32 v2, v16
                                        ; implicit-def: $vgpr26_vgpr27
	s_mov_b32 s5, exec_lo
	s_delay_alu instid0(VALU_DEP_2) | instskip(NEXT) | instid1(VALU_DEP_1)
	v_dual_cndmask_b32 v7, v3, v4, s4 :: v_dual_cndmask_b32 v6, v16, v14, s4
	v_cmpx_nlt_f64_e32 s[22:23], v[6:7]
	s_xor_b32 s33, exec_lo, s5
	s_cbranch_execz .LBB167_246
; %bb.223:                              ;   in Loop: Header=BB167_145 Depth=1
	v_dual_cndmask_b32 v31, v4, v3, s4 :: v_dual_cndmask_b32 v30, v14, v2, s4
                                        ; implicit-def: $vgpr26_vgpr27
	s_mov_b32 s5, exec_lo
	s_delay_alu instid0(VALU_DEP_1)
	v_cmpx_neq_f64_e32 1.0, v[30:31]
	s_xor_b32 s52, exec_lo, s5
	s_cbranch_execz .LBB167_239
; %bb.224:                              ;   in Loop: Header=BB167_145 Depth=1
	v_max_num_f64_e32 v[2:3], v[6:7], v[6:7]
	v_max_num_f64_e32 v[26:27], v[30:31], v[30:31]
	s_delay_alu instid0(VALU_DEP_1) | instskip(SKIP_1) | instid1(VALU_DEP_2)
	v_min_num_f64_e32 v[28:29], v[26:27], v[2:3]
	v_max_num_f64_e32 v[2:3], v[26:27], v[2:3]
	v_cmp_ngt_f64_e32 vcc_lo, s[24:25], v[28:29]
	s_delay_alu instid0(VALU_DEP_2) | instskip(SKIP_1) | instid1(SALU_CYCLE_1)
	v_cmp_nlt_f64_e64 s5, s[26:27], v[2:3]
                                        ; implicit-def: $vgpr26_vgpr27
	s_and_b32 s5, s5, vcc_lo
	s_and_saveexec_b32 s6, s5
	s_delay_alu instid0(SALU_CYCLE_1)
	s_xor_b32 s53, exec_lo, s6
	s_cbranch_execz .LBB167_236
; %bb.225:                              ;   in Loop: Header=BB167_145 Depth=1
                                        ; implicit-def: $vgpr26_vgpr27
	s_mov_b32 s5, exec_lo
	v_cmpx_le_f64_e32 1.0, v[30:31]
	s_xor_b32 s8, exec_lo, s5
	s_cbranch_execz .LBB167_227
; %bb.226:                              ;   in Loop: Header=BB167_145 Depth=1
	v_add_f64_e32 v[2:3], -1.0, v[30:31]
	v_cmp_eq_f64_e64 s5, 0, v[16:17]
	v_add_f64_e32 v[26:27], 1.0, v[30:31]
	v_cmp_class_f64_e64 s10, v[14:15], 0x204
	v_cmp_class_f64_e64 s9, v[16:17], 0x204
	s_delay_alu instid0(VALU_DEP_3) | instskip(NEXT) | instid1(VALU_DEP_1)
	v_mul_f64_e32 v[2:3], v[2:3], v[26:27]
	v_fmac_f64_e32 v[2:3], v[6:7], v[6:7]
	s_delay_alu instid0(VALU_DEP_1) | instskip(SKIP_2) | instid1(VALU_DEP_3)
	v_add_f64_e32 v[6:7], 1.0, v[2:3]
	v_cmp_nge_f64_e64 s6, -1.0, v[2:3]
	v_cmp_neq_f64_e64 s7, 0x7ff00000, v[2:3]
	v_frexp_mant_f64_e32 v[26:27], v[6:7]
	v_frexp_exp_i32_f64_e32 v4, v[6:7]
	v_add_f64_e32 v[28:29], -1.0, v[6:7]
	s_delay_alu instid0(VALU_DEP_3) | instskip(NEXT) | instid1(VALU_DEP_2)
	v_cmp_gt_f64_e32 vcc_lo, s[28:29], v[26:27]
	v_add_f64_e64 v[26:27], v[28:29], -v[6:7]
	v_add_f64_e64 v[28:29], v[2:3], -v[28:29]
	v_subrev_co_ci_u32_e64 v4, null, 0, v4, vcc_lo
	s_delay_alu instid0(VALU_DEP_1) | instskip(NEXT) | instid1(VALU_DEP_1)
	v_dual_add_f64 v[26:27], 1.0, v[26:27] :: v_dual_sub_nc_u32 v8, 0, v4
	v_ldexp_f64 v[6:7], v[6:7], v8
	s_delay_alu instid0(VALU_DEP_2) | instskip(NEXT) | instid1(VALU_DEP_2)
	v_add_f64_e32 v[26:27], v[28:29], v[26:27]
	v_add_f64_e32 v[30:31], 1.0, v[6:7]
	v_add_f64_e32 v[54:55], -1.0, v[6:7]
	s_delay_alu instid0(VALU_DEP_3) | instskip(NEXT) | instid1(VALU_DEP_3)
	v_ldexp_f64 v[26:27], v[26:27], v8
	v_add_f64_e32 v[28:29], -1.0, v[30:31]
	s_delay_alu instid0(VALU_DEP_3) | instskip(NEXT) | instid1(VALU_DEP_2)
	v_add_f64_e32 v[56:57], 1.0, v[54:55]
	v_add_f64_e64 v[28:29], v[6:7], -v[28:29]
	s_delay_alu instid0(VALU_DEP_2) | instskip(NEXT) | instid1(VALU_DEP_2)
	v_add_f64_e64 v[6:7], v[6:7], -v[56:57]
	v_add_f64_e32 v[28:29], v[26:27], v[28:29]
	s_delay_alu instid0(VALU_DEP_2) | instskip(NEXT) | instid1(VALU_DEP_2)
	v_add_f64_e32 v[6:7], v[26:27], v[6:7]
	v_add_f64_e32 v[32:33], v[30:31], v[28:29]
	s_delay_alu instid0(VALU_DEP_2) | instskip(NEXT) | instid1(VALU_DEP_2)
	v_add_f64_e32 v[56:57], v[54:55], v[6:7]
	v_rcp_f64_e32 v[52:53], v[32:33]
	v_add_f64_e64 v[30:31], v[32:33], -v[30:31]
	s_delay_alu instid0(VALU_DEP_2) | instskip(NEXT) | instid1(VALU_DEP_2)
	v_add_f64_e64 v[54:55], v[56:57], -v[54:55]
	v_add_f64_e64 v[28:29], v[28:29], -v[30:31]
	s_delay_alu instid0(VALU_DEP_2) | instskip(NEXT) | instid1(TRANS32_DEP_1)
	v_add_f64_e64 v[6:7], v[6:7], -v[54:55]
	v_fma_f64 v[58:59], -v[32:33], v[52:53], 1.0
	s_delay_alu instid0(VALU_DEP_1) | instskip(NEXT) | instid1(VALU_DEP_1)
	v_fmac_f64_e32 v[52:53], v[58:59], v[52:53]
	v_fma_f64 v[26:27], -v[32:33], v[52:53], 1.0
	s_delay_alu instid0(VALU_DEP_1) | instskip(NEXT) | instid1(VALU_DEP_1)
	v_fmac_f64_e32 v[52:53], v[26:27], v[52:53]
	v_mul_f64_e32 v[26:27], v[56:57], v[52:53]
	s_delay_alu instid0(VALU_DEP_1) | instskip(NEXT) | instid1(VALU_DEP_1)
	v_mul_f64_e32 v[58:59], v[32:33], v[26:27]
	v_fma_f64 v[30:31], v[26:27], v[32:33], -v[58:59]
	s_delay_alu instid0(VALU_DEP_1) | instskip(NEXT) | instid1(VALU_DEP_1)
	v_fmac_f64_e32 v[30:31], v[26:27], v[28:29]
	v_add_f64_e32 v[60:61], v[58:59], v[30:31]
	s_delay_alu instid0(VALU_DEP_1) | instskip(SKIP_1) | instid1(VALU_DEP_2)
	v_add_f64_e64 v[62:63], v[56:57], -v[60:61]
	v_add_f64_e64 v[54:55], v[60:61], -v[58:59]
	;; [unrolled: 1-line block ×3, first 2 shown]
	s_delay_alu instid0(VALU_DEP_2) | instskip(NEXT) | instid1(VALU_DEP_2)
	v_add_f64_e64 v[30:31], v[54:55], -v[30:31]
	v_add_f64_e64 v[56:57], v[56:57], -v[60:61]
	s_delay_alu instid0(VALU_DEP_1) | instskip(NEXT) | instid1(VALU_DEP_1)
	v_add_f64_e32 v[6:7], v[6:7], v[56:57]
	v_add_f64_e32 v[6:7], v[30:31], v[6:7]
	s_delay_alu instid0(VALU_DEP_1) | instskip(NEXT) | instid1(VALU_DEP_1)
	v_add_f64_e32 v[30:31], v[62:63], v[6:7]
	v_mul_f64_e32 v[54:55], v[52:53], v[30:31]
	v_add_f64_e64 v[60:61], v[62:63], -v[30:31]
	s_delay_alu instid0(VALU_DEP_2) | instskip(NEXT) | instid1(VALU_DEP_2)
	v_mul_f64_e32 v[56:57], v[32:33], v[54:55]
	v_add_f64_e32 v[6:7], v[6:7], v[60:61]
	s_delay_alu instid0(VALU_DEP_2) | instskip(NEXT) | instid1(VALU_DEP_1)
	v_fma_f64 v[32:33], v[54:55], v[32:33], -v[56:57]
	v_fmac_f64_e32 v[32:33], v[54:55], v[28:29]
	s_delay_alu instid0(VALU_DEP_1) | instskip(NEXT) | instid1(VALU_DEP_1)
	v_add_f64_e32 v[28:29], v[56:57], v[32:33]
	v_add_f64_e64 v[58:59], v[30:31], -v[28:29]
	v_add_f64_e64 v[56:57], v[28:29], -v[56:57]
	s_delay_alu instid0(VALU_DEP_2) | instskip(NEXT) | instid1(VALU_DEP_1)
	v_add_f64_e64 v[30:31], v[30:31], -v[58:59]
	v_add_f64_e64 v[28:29], v[30:31], -v[28:29]
	s_delay_alu instid0(VALU_DEP_3) | instskip(SKIP_1) | instid1(VALU_DEP_3)
	v_add_f64_e64 v[30:31], v[56:57], -v[32:33]
	v_max_num_f64_e64 v[32:33], |v[14:15]|, |v[14:15]|
	v_add_f64_e32 v[6:7], v[6:7], v[28:29]
	v_add_f64_e32 v[28:29], v[26:27], v[54:55]
	s_delay_alu instid0(VALU_DEP_2) | instskip(NEXT) | instid1(VALU_DEP_2)
	v_add_f64_e32 v[6:7], v[30:31], v[6:7]
	v_add_f64_e64 v[26:27], v[28:29], -v[26:27]
	v_max_num_f64_e64 v[30:31], |v[16:17]|, |v[16:17]|
	s_delay_alu instid0(VALU_DEP_3) | instskip(NEXT) | instid1(VALU_DEP_3)
	v_add_f64_e32 v[6:7], v[58:59], v[6:7]
	v_add_f64_e64 v[26:27], v[54:55], -v[26:27]
	s_delay_alu instid0(VALU_DEP_2) | instskip(NEXT) | instid1(VALU_DEP_1)
	v_mul_f64_e32 v[6:7], v[52:53], v[6:7]
	v_add_f64_e32 v[6:7], v[26:27], v[6:7]
	v_max_num_f64_e32 v[26:27], v[32:33], v[30:31]
	v_min_num_f64_e32 v[30:31], v[32:33], v[30:31]
	s_delay_alu instid0(VALU_DEP_3) | instskip(NEXT) | instid1(VALU_DEP_2)
	v_add_f64_e32 v[32:33], v[28:29], v[6:7]
	v_div_scale_f64 v[52:53], null, v[26:27], v[26:27], v[30:31]
	s_delay_alu instid0(VALU_DEP_2) | instskip(SKIP_1) | instid1(VALU_DEP_3)
	v_mul_f64_e32 v[54:55], v[32:33], v[32:33]
	v_add_f64_e64 v[28:29], v[32:33], -v[28:29]
	v_rcp_f64_e32 v[56:57], v[52:53]
	s_delay_alu instid0(VALU_DEP_2) | instskip(SKIP_1) | instid1(VALU_DEP_3)
	v_fmamk_f64 v[58:59], v[54:55], 0x3fc3ab76bf559e2b, v[40:41]
	v_mul_f64_e32 v[60:61], v[32:33], v[54:55]
	v_add_f64_e64 v[6:7], v[6:7], -v[28:29]
	s_delay_alu instid0(VALU_DEP_3) | instskip(NEXT) | instid1(TRANS32_DEP_1)
	v_fmaak_f64 v[58:59], v[54:55], v[58:59], 0x3fc7474dd7f4df2e
	v_fma_f64 v[62:63], -v[52:53], v[56:57], 1.0
	s_delay_alu instid0(VALU_DEP_2) | instskip(NEXT) | instid1(VALU_DEP_1)
	v_fmaak_f64 v[58:59], v[54:55], v[58:59], 0x3fcc71c016291751
	v_fmaak_f64 v[58:59], v[54:55], v[58:59], 0x3fd249249b27acf1
	s_delay_alu instid0(VALU_DEP_1) | instskip(SKIP_1) | instid1(VALU_DEP_2)
	v_fmaak_f64 v[58:59], v[54:55], v[58:59], 0x3fd99999998ef7b6
	v_ldexp_f64 v[6:7], v[6:7], 1
	v_fmaak_f64 v[54:55], v[54:55], v[58:59], 0x3fe5555555555780
	v_ldexp_f64 v[58:59], v[32:33], 1
	v_fmac_f64_e32 v[56:57], v[56:57], v[62:63]
	s_delay_alu instid0(VALU_DEP_3) | instskip(SKIP_2) | instid1(VALU_DEP_4)
	v_mul_f64_e32 v[54:55], v[60:61], v[54:55]
	v_cvt_f64_i32_e32 v[60:61], v4
	v_ashrrev_i32_e32 v4, 31, v15
	v_fma_f64 v[62:63], -v[52:53], v[56:57], 1.0
	s_delay_alu instid0(VALU_DEP_4) | instskip(NEXT) | instid1(VALU_DEP_4)
	v_add_f64_e32 v[32:33], v[58:59], v[54:55]
	v_mul_f64_e32 v[64:65], 0x3fe62e42fefa39ef, v[60:61]
	s_delay_alu instid0(VALU_DEP_3) | instskip(NEXT) | instid1(VALU_DEP_3)
	v_fmac_f64_e32 v[56:57], v[56:57], v[62:63]
	v_add_f64_e64 v[28:29], v[32:33], -v[58:59]
	v_div_scale_f64 v[58:59], vcc_lo, v[30:31], v[26:27], v[30:31]
	s_delay_alu instid0(VALU_DEP_4) | instskip(NEXT) | instid1(VALU_DEP_3)
	v_fma_f64 v[62:63], v[60:61], s[30:31], -v[64:65]
	v_add_f64_e64 v[28:29], v[54:55], -v[28:29]
	s_delay_alu instid0(VALU_DEP_3) | instskip(NEXT) | instid1(VALU_DEP_3)
	v_mul_f64_e32 v[54:55], v[58:59], v[56:57]
	v_fmac_f64_e32 v[62:63], 0x3c7abc9e3b39803f, v[60:61]
	s_delay_alu instid0(VALU_DEP_3) | instskip(NEXT) | instid1(VALU_DEP_3)
	v_add_f64_e32 v[6:7], v[6:7], v[28:29]
	v_fma_f64 v[28:29], -v[52:53], v[54:55], v[58:59]
	s_delay_alu instid0(VALU_DEP_3) | instskip(NEXT) | instid1(VALU_DEP_3)
	v_add_f64_e32 v[52:53], v[64:65], v[62:63]
	v_add_f64_e32 v[58:59], v[32:33], v[6:7]
	s_delay_alu instid0(VALU_DEP_3) | instskip(SKIP_1) | instid1(VALU_DEP_4)
	v_div_fmas_f64 v[28:29], v[28:29], v[56:57], v[54:55]
	v_cmp_gt_i32_e32 vcc_lo, 0, v15
	v_add_f64_e64 v[56:57], v[52:53], -v[64:65]
	v_cndmask_b32_e32 v8, 0x54442d18, v68, vcc_lo
	v_cndmask_b32_e32 v14, 0x3fe921fb, v69, vcc_lo
	s_delay_alu instid0(VALU_DEP_1) | instskip(SKIP_4) | instid1(VALU_DEP_4)
	v_bfi_b32 v14, 0x7fffffff, v14, v17
	v_add_f64_e32 v[54:55], v[52:53], v[58:59]
	v_div_fixup_f64 v[26:27], v[28:29], v[26:27], v[30:31]
	v_add_f64_e64 v[32:33], v[58:59], -v[32:33]
	v_add_f64_e64 v[56:57], v[62:63], -v[56:57]
	;; [unrolled: 1-line block ×3, first 2 shown]
	s_delay_alu instid0(VALU_DEP_4) | instskip(NEXT) | instid1(VALU_DEP_4)
	v_mul_f64_e32 v[30:31], v[26:27], v[26:27]
	v_add_f64_e64 v[6:7], v[6:7], -v[32:33]
	s_delay_alu instid0(VALU_DEP_3) | instskip(NEXT) | instid1(VALU_DEP_3)
	v_add_f64_e64 v[60:61], v[54:55], -v[28:29]
	v_fmamk_f64 v[64:65], v[30:31], 0x3eeba404b5e68a13, v[42:43]
	v_add_f64_e64 v[28:29], v[58:59], -v[28:29]
	s_delay_alu instid0(VALU_DEP_4) | instskip(NEXT) | instid1(VALU_DEP_3)
	v_add_f64_e32 v[58:59], v[56:57], v[6:7]
	v_fmaak_f64 v[64:65], v[30:31], v[64:65], 0x3f4b2bb069efb384
	v_add_f64_e64 v[32:33], v[52:53], -v[60:61]
	s_delay_alu instid0(VALU_DEP_2) | instskip(NEXT) | instid1(VALU_DEP_1)
	v_fmaak_f64 v[52:53], v[30:31], v[64:65], 0xbf67952daf56de9b
	v_fmaak_f64 v[52:53], v[30:31], v[52:53], 0x3f7d6d43a595c56f
	s_delay_alu instid0(VALU_DEP_1) | instskip(NEXT) | instid1(VALU_DEP_1)
	v_fmaak_f64 v[52:53], v[30:31], v[52:53], 0xbf8c6ea4a57d9582
	v_fmaak_f64 v[52:53], v[30:31], v[52:53], 0x3f967e295f08b19f
	s_delay_alu instid0(VALU_DEP_1) | instskip(SKIP_1) | instid1(VALU_DEP_2)
	v_fmaak_f64 v[52:53], v[30:31], v[52:53], 0xbf9e9ae6fc27006a
	v_add_f64_e32 v[28:29], v[28:29], v[32:33]
	v_fmaak_f64 v[32:33], v[30:31], v[52:53], 0x3fa2c15b5711927a
	v_add_f64_e64 v[52:53], v[58:59], -v[56:57]
	s_delay_alu instid0(VALU_DEP_2) | instskip(NEXT) | instid1(VALU_DEP_1)
	v_fmaak_f64 v[32:33], v[30:31], v[32:33], 0xbfa59976e82d3ff0
	v_fmaak_f64 v[32:33], v[30:31], v[32:33], 0x3fa82d5d6ef28734
	s_delay_alu instid0(VALU_DEP_1) | instskip(NEXT) | instid1(VALU_DEP_1)
	v_fmaak_f64 v[32:33], v[30:31], v[32:33], 0xbfaae5ce6a214619
	v_fmaak_f64 v[32:33], v[30:31], v[32:33], 0x3fae1bb48427b883
	v_add_f64_e32 v[28:29], v[58:59], v[28:29]
	v_add_f64_e64 v[58:59], v[58:59], -v[52:53]
	v_add_f64_e64 v[6:7], v[6:7], -v[52:53]
	s_delay_alu instid0(VALU_DEP_4) | instskip(NEXT) | instid1(VALU_DEP_1)
	v_fmaak_f64 v[32:33], v[30:31], v[32:33], 0xbfb110e48b207f05
	v_fmaak_f64 v[32:33], v[30:31], v[32:33], 0x3fb3b13657b87036
	s_delay_alu instid0(VALU_DEP_1) | instskip(NEXT) | instid1(VALU_DEP_1)
	v_fmaak_f64 v[32:33], v[30:31], v[32:33], 0xbfb745d119378e4f
	v_fmaak_f64 v[32:33], v[30:31], v[32:33], 0x3fbc71c717e1913c
	v_add_f64_e32 v[60:61], v[54:55], v[28:29]
	s_delay_alu instid0(VALU_DEP_2) | instskip(NEXT) | instid1(VALU_DEP_1)
	v_fmaak_f64 v[32:33], v[30:31], v[32:33], 0xbfc2492492376b7d
	v_fmaak_f64 v[32:33], v[30:31], v[32:33], 0x3fc99999999952cc
	s_delay_alu instid0(VALU_DEP_1) | instskip(NEXT) | instid1(VALU_DEP_1)
	v_fmaak_f64 v[32:33], v[30:31], v[32:33], 0xbfd5555555555523
	v_mul_f64_e32 v[30:31], v[30:31], v[32:33]
	v_add_f64_e64 v[32:33], v[56:57], -v[58:59]
	v_add_f64_e64 v[52:53], v[60:61], -v[54:55]
	s_delay_alu instid0(VALU_DEP_3) | instskip(NEXT) | instid1(VALU_DEP_3)
	v_fmac_f64_e32 v[26:27], v[26:27], v[30:31]
	v_add_f64_e32 v[6:7], v[6:7], v[32:33]
	s_delay_alu instid0(VALU_DEP_3) | instskip(NEXT) | instid1(VALU_DEP_3)
	v_add_f64_e64 v[28:29], v[28:29], -v[52:53]
	v_add_f64_e64 v[30:31], -v[26:27], s[38:39]
	s_delay_alu instid0(VALU_DEP_2) | instskip(NEXT) | instid1(VALU_DEP_2)
	v_add_f64_e32 v[6:7], v[6:7], v[28:29]
	v_dual_cndmask_b32 v27, v27, v31, s4 :: v_dual_cndmask_b32 v26, v26, v30, s4
	v_and_b32_e32 v30, 0x54442d18, v4
	v_and_b32_e32 v4, 0x400921fb, v4
	s_delay_alu instid0(VALU_DEP_3) | instskip(NEXT) | instid1(VALU_DEP_1)
	v_add_f64_e64 v[28:29], -v[26:27], s[40:41]
	v_dual_add_f64 v[6:7], v[60:61], v[6:7] :: v_dual_cndmask_b32 v26, v26, v28, vcc_lo
	s_delay_alu instid0(VALU_DEP_2) | instskip(SKIP_1) | instid1(VALU_DEP_3)
	v_cndmask_b32_e32 v15, v27, v29, vcc_lo
	v_cmp_ngt_f64_e32 vcc_lo, -1.0, v[2:3]
	v_mul_f64_e32 v[6:7], 0.5, v[6:7]
	s_delay_alu instid0(VALU_DEP_3)
	v_dual_cndmask_b32 v28, v26, v30, s5 :: v_dual_cndmask_b32 v4, v15, v4, s5
	s_and_b32 s5, s6, s7
                                        ; implicit-def: $vgpr30_vgpr31
	s_delay_alu instid0(VALU_DEP_2) | instid1(SALU_CYCLE_1)
	v_cndmask_b32_e64 v26, 0, v6, s5
	v_cmp_neq_f64_e64 s5, -1.0, v[2:3]
	s_delay_alu instid0(VALU_DEP_4) | instskip(NEXT) | instid1(VALU_DEP_1)
	v_cndmask_b32_e64 v7, 0x7ff00000, v7, s7
	v_cndmask_b32_e32 v7, 0x7ff80000, v7, vcc_lo
	s_and_b32 vcc_lo, s9, s10
	v_cndmask_b32_e32 v29, v4, v14, vcc_lo
	v_cndmask_b32_e32 v28, v28, v8, vcc_lo
	s_delay_alu instid0(VALU_DEP_3)
	v_cndmask_b32_e64 v27, 0xfff00000, v7, s5
                                        ; implicit-def: $vgpr6_vgpr7
.LBB167_227:                            ;   in Loop: Header=BB167_145 Depth=1
	s_and_not1_saveexec_b32 s54, s8
	s_cbranch_execz .LBB167_235
; %bb.228:                              ;   in Loop: Header=BB167_145 Depth=1
	v_mul_f64_e32 v[2:3], v[6:7], v[6:7]
                                        ; implicit-def: $vgpr26_vgpr27
	s_mov_b32 s5, exec_lo
	s_delay_alu instid0(VALU_DEP_1) | instskip(NEXT) | instid1(VALU_DEP_1)
	v_fmac_f64_e32 v[2:3], v[30:31], v[30:31]
	v_cmpx_ge_f64_e32 s[42:43], v[2:3]
	s_xor_b32 s7, exec_lo, s5
	s_cbranch_execz .LBB167_230
; %bb.229:                              ;   in Loop: Header=BB167_145 Depth=1
	v_frexp_mant_f64_e32 v[6:7], v[2:3]
	v_cmp_eq_f64_e64 s5, 0, v[16:17]
	v_cmp_neq_f64_e64 s6, 0, v[2:3]
	v_cmp_class_f64_e64 s8, v[16:17], 0x204
	v_cmp_class_f64_e64 s9, v[14:15], 0x204
	v_cmp_gt_f64_e32 vcc_lo, s[28:29], v[6:7]
	v_cndmask_b32_e64 v4, 0, 1, vcc_lo
	s_delay_alu instid0(VALU_DEP_1) | instskip(SKIP_1) | instid1(VALU_DEP_2)
	v_ldexp_f64 v[6:7], v[6:7], v4
	v_frexp_exp_i32_f64_e32 v4, v[2:3]
	v_add_f64_e32 v[26:27], 1.0, v[6:7]
	v_add_f64_e32 v[32:33], -1.0, v[6:7]
	s_delay_alu instid0(VALU_DEP_3) | instskip(NEXT) | instid1(VALU_DEP_3)
	v_subrev_co_ci_u32_e64 v4, null, 0, v4, vcc_lo
	v_rcp_f64_e32 v[28:29], v[26:27]
	v_add_f64_e32 v[52:53], -1.0, v[26:27]
	s_delay_alu instid0(VALU_DEP_1) | instskip(NEXT) | instid1(TRANS32_DEP_1)
	v_add_f64_e64 v[6:7], v[6:7], -v[52:53]
	v_fma_f64 v[30:31], -v[26:27], v[28:29], 1.0
	s_delay_alu instid0(VALU_DEP_1) | instskip(NEXT) | instid1(VALU_DEP_1)
	v_fmac_f64_e32 v[28:29], v[30:31], v[28:29]
	v_fma_f64 v[30:31], -v[26:27], v[28:29], 1.0
	s_delay_alu instid0(VALU_DEP_1) | instskip(NEXT) | instid1(VALU_DEP_1)
	v_fmac_f64_e32 v[28:29], v[30:31], v[28:29]
	v_mul_f64_e32 v[30:31], v[32:33], v[28:29]
	s_delay_alu instid0(VALU_DEP_1) | instskip(NEXT) | instid1(VALU_DEP_1)
	v_mul_f64_e32 v[54:55], v[26:27], v[30:31]
	v_fma_f64 v[26:27], v[30:31], v[26:27], -v[54:55]
	s_delay_alu instid0(VALU_DEP_1) | instskip(NEXT) | instid1(VALU_DEP_1)
	v_fmac_f64_e32 v[26:27], v[30:31], v[6:7]
	v_add_f64_e32 v[6:7], v[54:55], v[26:27]
	s_delay_alu instid0(VALU_DEP_1) | instskip(SKIP_1) | instid1(VALU_DEP_2)
	v_add_f64_e64 v[52:53], v[32:33], -v[6:7]
	v_add_f64_e64 v[54:55], v[6:7], -v[54:55]
	;; [unrolled: 1-line block ×3, first 2 shown]
	s_delay_alu instid0(VALU_DEP_2) | instskip(NEXT) | instid1(VALU_DEP_2)
	v_add_f64_e64 v[26:27], v[54:55], -v[26:27]
	v_add_f64_e64 v[6:7], v[32:33], -v[6:7]
	v_max_num_f64_e64 v[32:33], |v[14:15]|, |v[14:15]|
	s_delay_alu instid0(VALU_DEP_2) | instskip(SKIP_1) | instid1(VALU_DEP_2)
	v_add_f64_e32 v[6:7], v[26:27], v[6:7]
	v_max_num_f64_e64 v[26:27], |v[16:17]|, |v[16:17]|
	v_add_f64_e32 v[6:7], v[52:53], v[6:7]
	s_delay_alu instid0(VALU_DEP_1) | instskip(NEXT) | instid1(VALU_DEP_3)
	v_mul_f64_e32 v[6:7], v[28:29], v[6:7]
	v_max_num_f64_e32 v[28:29], v[32:33], v[26:27]
	v_min_num_f64_e32 v[26:27], v[32:33], v[26:27]
	s_delay_alu instid0(VALU_DEP_3) | instskip(NEXT) | instid1(VALU_DEP_2)
	v_add_f64_e32 v[32:33], v[30:31], v[6:7]
	v_div_scale_f64 v[52:53], null, v[28:29], v[28:29], v[26:27]
	s_delay_alu instid0(VALU_DEP_2) | instskip(NEXT) | instid1(VALU_DEP_2)
	v_mul_f64_e32 v[54:55], v[32:33], v[32:33]
	v_rcp_f64_e32 v[56:57], v[52:53]
	s_delay_alu instid0(VALU_DEP_1) | instskip(SKIP_1) | instid1(VALU_DEP_2)
	v_fmamk_f64 v[58:59], v[54:55], 0x3fc3ab76bf559e2b, v[40:41]
	v_mul_f64_e32 v[60:61], v[32:33], v[54:55]
	v_fmaak_f64 v[58:59], v[54:55], v[58:59], 0x3fc7474dd7f4df2e
	s_delay_alu instid0(TRANS32_DEP_1) | instskip(NEXT) | instid1(VALU_DEP_2)
	v_fma_f64 v[62:63], -v[52:53], v[56:57], 1.0
	v_fmaak_f64 v[58:59], v[54:55], v[58:59], 0x3fcc71c016291751
	s_delay_alu instid0(VALU_DEP_1) | instskip(NEXT) | instid1(VALU_DEP_1)
	v_fmaak_f64 v[58:59], v[54:55], v[58:59], 0x3fd249249b27acf1
	v_fmaak_f64 v[58:59], v[54:55], v[58:59], 0x3fd99999998ef7b6
	s_delay_alu instid0(VALU_DEP_1) | instskip(SKIP_2) | instid1(VALU_DEP_3)
	v_fmaak_f64 v[54:55], v[54:55], v[58:59], 0x3fe5555555555780
	v_ldexp_f64 v[58:59], v[32:33], 1
	v_fmac_f64_e32 v[56:57], v[56:57], v[62:63]
	v_mul_f64_e32 v[54:55], v[60:61], v[54:55]
	v_cvt_f64_i32_e32 v[60:61], v4
	v_ashrrev_i32_e32 v4, 31, v15
	v_add_f64_e64 v[30:31], v[32:33], -v[30:31]
	s_delay_alu instid0(VALU_DEP_2) | instskip(SKIP_4) | instid1(VALU_DEP_4)
	v_and_b32_e32 v3, 0x400921fb, v4
	v_fma_f64 v[62:63], -v[52:53], v[56:57], 1.0
	v_add_f64_e32 v[32:33], v[58:59], v[54:55]
	v_mul_f64_e32 v[64:65], 0x3fe62e42fefa39ef, v[60:61]
	v_add_f64_e64 v[6:7], v[6:7], -v[30:31]
	v_fmac_f64_e32 v[56:57], v[56:57], v[62:63]
	s_delay_alu instid0(VALU_DEP_4) | instskip(SKIP_3) | instid1(VALU_DEP_4)
	v_add_f64_e64 v[30:31], v[32:33], -v[58:59]
	v_div_scale_f64 v[58:59], vcc_lo, v[26:27], v[28:29], v[26:27]
	v_fma_f64 v[62:63], v[60:61], s[30:31], -v[64:65]
	v_ldexp_f64 v[6:7], v[6:7], 1
	v_add_f64_e64 v[30:31], v[54:55], -v[30:31]
	s_delay_alu instid0(VALU_DEP_4) | instskip(NEXT) | instid1(VALU_DEP_4)
	v_mul_f64_e32 v[54:55], v[58:59], v[56:57]
	v_fmac_f64_e32 v[62:63], 0x3c7abc9e3b39803f, v[60:61]
	s_delay_alu instid0(VALU_DEP_3) | instskip(NEXT) | instid1(VALU_DEP_3)
	v_add_f64_e32 v[6:7], v[6:7], v[30:31]
	v_fma_f64 v[30:31], -v[52:53], v[54:55], v[58:59]
	s_delay_alu instid0(VALU_DEP_3) | instskip(NEXT) | instid1(VALU_DEP_3)
	v_add_f64_e32 v[52:53], v[64:65], v[62:63]
	v_add_f64_e32 v[58:59], v[32:33], v[6:7]
	s_delay_alu instid0(VALU_DEP_3) | instskip(SKIP_1) | instid1(VALU_DEP_4)
	v_div_fmas_f64 v[30:31], v[30:31], v[56:57], v[54:55]
	v_cmp_gt_i32_e32 vcc_lo, 0, v15
	v_add_f64_e64 v[56:57], v[52:53], -v[64:65]
	v_cndmask_b32_e32 v2, 0x3fe921fb, v69, vcc_lo
	v_cndmask_b32_e32 v8, 0x54442d18, v68, vcc_lo
	s_delay_alu instid0(VALU_DEP_2) | instskip(SKIP_4) | instid1(VALU_DEP_4)
	v_bfi_b32 v2, 0x7fffffff, v2, v17
	v_add_f64_e32 v[54:55], v[52:53], v[58:59]
	v_div_fixup_f64 v[26:27], v[30:31], v[28:29], v[26:27]
	v_add_f64_e64 v[32:33], v[58:59], -v[32:33]
	v_add_f64_e64 v[56:57], v[62:63], -v[56:57]
	;; [unrolled: 1-line block ×3, first 2 shown]
	s_delay_alu instid0(VALU_DEP_4) | instskip(NEXT) | instid1(VALU_DEP_4)
	v_mul_f64_e32 v[30:31], v[26:27], v[26:27]
	v_add_f64_e64 v[6:7], v[6:7], -v[32:33]
	s_delay_alu instid0(VALU_DEP_3) | instskip(NEXT) | instid1(VALU_DEP_3)
	v_add_f64_e64 v[60:61], v[54:55], -v[28:29]
	v_fmamk_f64 v[64:65], v[30:31], 0x3eeba404b5e68a13, v[42:43]
	v_add_f64_e64 v[28:29], v[58:59], -v[28:29]
	s_delay_alu instid0(VALU_DEP_4) | instskip(NEXT) | instid1(VALU_DEP_3)
	v_add_f64_e32 v[58:59], v[56:57], v[6:7]
	v_fmaak_f64 v[64:65], v[30:31], v[64:65], 0x3f4b2bb069efb384
	s_delay_alu instid0(VALU_DEP_1) | instskip(SKIP_1) | instid1(VALU_DEP_2)
	v_fmaak_f64 v[64:65], v[30:31], v[64:65], 0xbf67952daf56de9b
	v_add_f64_e64 v[32:33], v[52:53], -v[60:61]
	v_fmaak_f64 v[52:53], v[30:31], v[64:65], 0x3f7d6d43a595c56f
	s_delay_alu instid0(VALU_DEP_1) | instskip(NEXT) | instid1(VALU_DEP_1)
	v_fmaak_f64 v[52:53], v[30:31], v[52:53], 0xbf8c6ea4a57d9582
	v_fmaak_f64 v[52:53], v[30:31], v[52:53], 0x3f967e295f08b19f
	s_delay_alu instid0(VALU_DEP_1) | instskip(NEXT) | instid1(VALU_DEP_1)
	v_fmaak_f64 v[52:53], v[30:31], v[52:53], 0xbf9e9ae6fc27006a
	v_fmaak_f64 v[52:53], v[30:31], v[52:53], 0x3fa2c15b5711927a
	v_add_f64_e32 v[28:29], v[28:29], v[32:33]
	s_delay_alu instid0(VALU_DEP_2) | instskip(SKIP_1) | instid1(VALU_DEP_2)
	v_fmaak_f64 v[32:33], v[30:31], v[52:53], 0xbfa59976e82d3ff0
	v_add_f64_e64 v[52:53], v[58:59], -v[56:57]
	v_fmaak_f64 v[32:33], v[30:31], v[32:33], 0x3fa82d5d6ef28734
	s_delay_alu instid0(VALU_DEP_1) | instskip(NEXT) | instid1(VALU_DEP_1)
	v_fmaak_f64 v[32:33], v[30:31], v[32:33], 0xbfaae5ce6a214619
	v_fmaak_f64 v[32:33], v[30:31], v[32:33], 0x3fae1bb48427b883
	s_delay_alu instid0(VALU_DEP_1) | instskip(SKIP_3) | instid1(VALU_DEP_4)
	v_fmaak_f64 v[32:33], v[30:31], v[32:33], 0xbfb110e48b207f05
	v_add_f64_e32 v[28:29], v[58:59], v[28:29]
	v_add_f64_e64 v[58:59], v[58:59], -v[52:53]
	v_add_f64_e64 v[6:7], v[6:7], -v[52:53]
	v_fmaak_f64 v[32:33], v[30:31], v[32:33], 0x3fb3b13657b87036
	s_delay_alu instid0(VALU_DEP_1) | instskip(NEXT) | instid1(VALU_DEP_1)
	v_fmaak_f64 v[32:33], v[30:31], v[32:33], 0xbfb745d119378e4f
	v_fmaak_f64 v[32:33], v[30:31], v[32:33], 0x3fbc71c717e1913c
	s_delay_alu instid0(VALU_DEP_1) | instskip(SKIP_1) | instid1(VALU_DEP_2)
	v_fmaak_f64 v[32:33], v[30:31], v[32:33], 0xbfc2492492376b7d
	v_add_f64_e32 v[60:61], v[54:55], v[28:29]
	v_fmaak_f64 v[32:33], v[30:31], v[32:33], 0x3fc99999999952cc
	s_delay_alu instid0(VALU_DEP_1) | instskip(NEXT) | instid1(VALU_DEP_1)
	v_fmaak_f64 v[32:33], v[30:31], v[32:33], 0xbfd5555555555523
	v_mul_f64_e32 v[30:31], v[30:31], v[32:33]
	v_add_f64_e64 v[32:33], v[56:57], -v[58:59]
	v_add_f64_e64 v[52:53], v[60:61], -v[54:55]
	s_delay_alu instid0(VALU_DEP_3) | instskip(NEXT) | instid1(VALU_DEP_3)
	v_fmac_f64_e32 v[26:27], v[26:27], v[30:31]
	v_add_f64_e32 v[6:7], v[6:7], v[32:33]
	s_delay_alu instid0(VALU_DEP_3) | instskip(NEXT) | instid1(VALU_DEP_3)
	v_add_f64_e64 v[28:29], v[28:29], -v[52:53]
	v_add_f64_e64 v[30:31], -v[26:27], s[38:39]
	s_delay_alu instid0(VALU_DEP_2) | instskip(NEXT) | instid1(VALU_DEP_2)
	v_add_f64_e32 v[6:7], v[6:7], v[28:29]
	v_dual_cndmask_b32 v27, v27, v31, s4 :: v_dual_cndmask_b32 v26, v26, v30, s4
	v_and_b32_e32 v30, 0x54442d18, v4
	s_delay_alu instid0(VALU_DEP_2) | instskip(NEXT) | instid1(VALU_DEP_1)
	v_add_f64_e64 v[28:29], -v[26:27], s[40:41]
	v_dual_add_f64 v[6:7], v[60:61], v[6:7] :: v_dual_cndmask_b32 v26, v26, v28, vcc_lo
	s_delay_alu instid0(VALU_DEP_2) | instskip(SKIP_1) | instid1(VALU_DEP_1)
	v_cndmask_b32_e32 v4, v27, v29, vcc_lo
	s_and_b32 vcc_lo, s8, s9
	v_dual_cndmask_b32 v14, v26, v30, s5 :: v_dual_cndmask_b32 v3, v4, v3, s5
                                        ; implicit-def: $vgpr30_vgpr31
	s_delay_alu instid0(VALU_DEP_1) | instskip(NEXT) | instid1(VALU_DEP_2)
	v_dual_mul_f64 v[6:7], 0.5, v[6:7] :: v_dual_cndmask_b32 v28, v14, v8, vcc_lo
	v_cndmask_b32_e32 v29, v3, v2, vcc_lo
	s_delay_alu instid0(VALU_DEP_2) | instskip(NEXT) | instid1(VALU_DEP_3)
	v_cndmask_b32_e64 v27, 0xfff00000, v7, s6
	v_cndmask_b32_e64 v26, 0, v6, s6
                                        ; implicit-def: $vgpr6_vgpr7
.LBB167_230:                            ;   in Loop: Header=BB167_145 Depth=1
	s_and_not1_saveexec_b32 s55, s7
	s_cbranch_execz .LBB167_234
; %bb.231:                              ;   in Loop: Header=BB167_145 Depth=1
	v_and_b32_e32 v37, 0x7ffffff8, v31
	v_and_b32_e32 v27, 0x7ffffff8, v7
	v_mov_b32_e32 v26, v36
	s_mov_b32 s56, 0
	s_delay_alu instid0(VALU_DEP_3) | instskip(NEXT) | instid1(VALU_DEP_2)
	v_dual_add_f64 v[2:3], v[30:31], -v[36:37] :: v_dual_mov_b32 v30, v36
	v_dual_add_f64 v[6:7], v[6:7], -v[26:27] :: v_dual_mov_b32 v32, v36
	v_add_f64_e32 v[52:53], v[36:37], v[36:37]
	v_add_f64_e32 v[60:61], v[26:27], v[26:27]
	v_mul_f64_e32 v[28:29], v[26:27], v[26:27]
	v_and_b32_e32 v31, -8, v3
	v_and_b32_e32 v33, -8, v7
	s_delay_alu instid0(VALU_DEP_2) | instskip(SKIP_1) | instid1(VALU_DEP_3)
	v_add_f64_e64 v[62:63], v[2:3], -v[30:31]
	v_add_f64_e32 v[66:67], v[30:31], v[30:31]
	v_add_f64_e64 v[64:65], v[6:7], -v[32:33]
	v_add_f64_e32 v[70:71], v[32:33], v[32:33]
	v_mul_f64_e32 v[2:3], v[36:37], v[36:37]
	v_mul_f64_e32 v[58:59], v[52:53], v[30:31]
	;; [unrolled: 1-line block ×11, first 2 shown]
.LBB167_232:                            ;   Parent Loop BB167_145 Depth=1
                                        ; =>  This Inner Loop Header: Depth=2
	v_cmp_nlt_f64_e32 vcc_lo, v[2:3], v[28:29]
	v_dual_cndmask_b32 v65, v3, v29 :: v_dual_cndmask_b32 v64, v2, v28
	v_dual_cndmask_b32 v3, v29, v3 :: v_dual_cndmask_b32 v2, v28, v2
	s_delay_alu instid0(VALU_DEP_2) | instskip(NEXT) | instid1(VALU_DEP_1)
	v_cmp_nlt_f64_e64 s5, v[64:65], v[58:59]
	v_dual_cndmask_b32 v67, v65, v59, s5 :: v_dual_cndmask_b32 v66, v64, v58, s5
	v_dual_cndmask_b32 v29, v59, v65, s5 :: v_dual_cndmask_b32 v28, v58, v64, s5
	s_and_b32 s5, vcc_lo, s5
	s_delay_alu instid0(VALU_DEP_2) | instskip(NEXT) | instid1(VALU_DEP_1)
	v_cmp_nlt_f64_e64 s6, v[66:67], v[26:27]
	v_dual_cndmask_b32 v71, v67, v27, s6 :: v_dual_cndmask_b32 v70, v66, v26, s6
	v_dual_cndmask_b32 v59, v27, v67, s6 :: v_dual_cndmask_b32 v58, v26, v66, s6
	s_delay_alu instid0(VALU_DEP_2) | instskip(NEXT) | instid1(VALU_DEP_1)
	v_cmp_nlt_f64_e64 s7, v[70:71], v[56:57]
	v_dual_cndmask_b32 v73, v71, v57, s7 :: v_dual_cndmask_b32 v72, v70, v56, s7
	v_dual_cndmask_b32 v27, v57, v71, s7 :: v_dual_cndmask_b32 v26, v56, v70, s7
	s_and_b32 s6, s6, s7
	s_delay_alu instid0(VALU_DEP_2) | instskip(NEXT) | instid1(VALU_DEP_1)
	v_cmp_nlt_f64_e64 s8, v[72:73], v[6:7]
	v_dual_cndmask_b32 v75, v73, v7, s8 :: v_dual_cndmask_b32 v74, v72, v6, s8
	v_dual_cndmask_b32 v57, v7, v73, s8 :: v_dual_cndmask_b32 v56, v6, v72, s8
	s_delay_alu instid0(VALU_DEP_2) | instskip(NEXT) | instid1(VALU_DEP_1)
	v_cmp_nlt_f64_e64 s9, v[74:75], v[54:55]
	v_dual_cndmask_b32 v77, v75, v55, s9 :: v_dual_cndmask_b32 v76, v74, v54, s9
	s_and_b32 s7, s8, s9
	v_dual_cndmask_b32 v7, v55, v75, s9 :: v_dual_cndmask_b32 v6, v54, v74, s9
	s_delay_alu instid0(VALU_DEP_2) | instskip(NEXT) | instid1(VALU_DEP_1)
	v_cmp_nlt_f64_e64 s10, v[76:77], v[52:53]
	v_dual_cndmask_b32 v79, v77, v53, s10 :: v_dual_cndmask_b32 v78, v76, v52, s10
	s_and_b32 s7, s7, s10
	;; [unrolled: 5-line block ×6, first 2 shown]
	v_dual_cndmask_b32 v61, v63, v85, s14 :: v_dual_cndmask_b32 v60, v62, v84, s14
	s_and_b32 s6, s7, s6
	s_delay_alu instid0(VALU_DEP_2) | instskip(SKIP_1) | instid1(SALU_CYCLE_1)
	v_mov_b64_e32 v[62:63], v[64:65]
	s_and_b32 s5, s6, s5
	s_and_b32 s5, exec_lo, s5
	s_delay_alu instid0(SALU_CYCLE_1) | instskip(NEXT) | instid1(SALU_CYCLE_1)
	s_or_b32 s56, s5, s56
	s_and_not1_b32 exec_lo, exec_lo, s56
	s_cbranch_execnz .LBB167_232
; %bb.233:                              ;   in Loop: Header=BB167_145 Depth=1
	s_or_b32 exec_lo, exec_lo, s56
	v_add_f64_e32 v[2:3], -1.0, v[2:3]
	v_cmp_eq_f64_e64 s5, 0, v[16:17]
	v_cmp_class_f64_e64 s9, v[14:15], 0x204
	v_cmp_class_f64_e64 s8, v[16:17], 0x204
	s_delay_alu instid0(VALU_DEP_4) | instskip(NEXT) | instid1(VALU_DEP_1)
	v_add_f64_e32 v[2:3], v[2:3], v[28:29]
	v_add_f64_e32 v[2:3], v[2:3], v[58:59]
	s_delay_alu instid0(VALU_DEP_1) | instskip(NEXT) | instid1(VALU_DEP_1)
	v_add_f64_e32 v[2:3], v[2:3], v[26:27]
	v_add_f64_e32 v[2:3], v[2:3], v[56:57]
	s_delay_alu instid0(VALU_DEP_1) | instskip(NEXT) | instid1(VALU_DEP_1)
	;; [unrolled: 3-line block ×5, first 2 shown]
	v_add_f64_e32 v[2:3], v[64:65], v[2:3]
	v_add_f64_e32 v[6:7], 1.0, v[2:3]
	s_delay_alu instid0(VALU_DEP_1) | instskip(SKIP_2) | instid1(VALU_DEP_3)
	v_frexp_mant_f64_e32 v[26:27], v[6:7]
	v_frexp_exp_i32_f64_e32 v4, v[6:7]
	v_add_f64_e32 v[28:29], -1.0, v[6:7]
	v_cmp_gt_f64_e32 vcc_lo, s[28:29], v[26:27]
	s_delay_alu instid0(VALU_DEP_2) | instskip(SKIP_2) | instid1(VALU_DEP_1)
	v_add_f64_e64 v[26:27], v[28:29], -v[6:7]
	v_add_f64_e64 v[28:29], v[2:3], -v[28:29]
	v_subrev_co_ci_u32_e64 v4, null, 0, v4, vcc_lo
	v_dual_add_f64 v[26:27], 1.0, v[26:27] :: v_dual_sub_nc_u32 v8, 0, v4
	s_delay_alu instid0(VALU_DEP_1) | instskip(NEXT) | instid1(VALU_DEP_2)
	v_ldexp_f64 v[6:7], v[6:7], v8
	v_add_f64_e32 v[26:27], v[28:29], v[26:27]
	s_delay_alu instid0(VALU_DEP_2) | instskip(SKIP_1) | instid1(VALU_DEP_3)
	v_add_f64_e32 v[30:31], 1.0, v[6:7]
	v_add_f64_e32 v[54:55], -1.0, v[6:7]
	v_ldexp_f64 v[26:27], v[26:27], v8
	s_delay_alu instid0(VALU_DEP_3) | instskip(NEXT) | instid1(VALU_DEP_3)
	v_add_f64_e32 v[28:29], -1.0, v[30:31]
	v_add_f64_e32 v[56:57], 1.0, v[54:55]
	s_delay_alu instid0(VALU_DEP_2) | instskip(NEXT) | instid1(VALU_DEP_2)
	v_add_f64_e64 v[28:29], v[6:7], -v[28:29]
	v_add_f64_e64 v[6:7], v[6:7], -v[56:57]
	s_delay_alu instid0(VALU_DEP_2) | instskip(NEXT) | instid1(VALU_DEP_2)
	v_add_f64_e32 v[28:29], v[26:27], v[28:29]
	v_add_f64_e32 v[6:7], v[26:27], v[6:7]
	s_delay_alu instid0(VALU_DEP_2) | instskip(NEXT) | instid1(VALU_DEP_2)
	v_add_f64_e32 v[32:33], v[30:31], v[28:29]
	v_add_f64_e32 v[56:57], v[54:55], v[6:7]
	s_delay_alu instid0(VALU_DEP_2) | instskip(SKIP_1) | instid1(VALU_DEP_2)
	v_rcp_f64_e32 v[52:53], v[32:33]
	v_add_f64_e64 v[30:31], v[32:33], -v[30:31]
	v_add_f64_e64 v[54:55], v[56:57], -v[54:55]
	s_delay_alu instid0(VALU_DEP_2) | instskip(NEXT) | instid1(VALU_DEP_2)
	v_add_f64_e64 v[28:29], v[28:29], -v[30:31]
	v_add_f64_e64 v[6:7], v[6:7], -v[54:55]
	s_delay_alu instid0(TRANS32_DEP_1) | instskip(NEXT) | instid1(VALU_DEP_1)
	v_fma_f64 v[58:59], -v[32:33], v[52:53], 1.0
	v_fmac_f64_e32 v[52:53], v[58:59], v[52:53]
	s_delay_alu instid0(VALU_DEP_1) | instskip(NEXT) | instid1(VALU_DEP_1)
	v_fma_f64 v[26:27], -v[32:33], v[52:53], 1.0
	v_fmac_f64_e32 v[52:53], v[26:27], v[52:53]
	s_delay_alu instid0(VALU_DEP_1) | instskip(NEXT) | instid1(VALU_DEP_1)
	v_mul_f64_e32 v[26:27], v[56:57], v[52:53]
	v_mul_f64_e32 v[58:59], v[32:33], v[26:27]
	s_delay_alu instid0(VALU_DEP_1) | instskip(NEXT) | instid1(VALU_DEP_1)
	v_fma_f64 v[30:31], v[26:27], v[32:33], -v[58:59]
	v_fmac_f64_e32 v[30:31], v[26:27], v[28:29]
	s_delay_alu instid0(VALU_DEP_1) | instskip(NEXT) | instid1(VALU_DEP_1)
	v_add_f64_e32 v[60:61], v[58:59], v[30:31]
	v_add_f64_e64 v[62:63], v[56:57], -v[60:61]
	v_add_f64_e64 v[54:55], v[60:61], -v[58:59]
	s_delay_alu instid0(VALU_DEP_2) | instskip(NEXT) | instid1(VALU_DEP_2)
	v_add_f64_e64 v[56:57], v[56:57], -v[62:63]
	v_add_f64_e64 v[30:31], v[54:55], -v[30:31]
	s_delay_alu instid0(VALU_DEP_2) | instskip(NEXT) | instid1(VALU_DEP_1)
	v_add_f64_e64 v[56:57], v[56:57], -v[60:61]
	v_add_f64_e32 v[6:7], v[6:7], v[56:57]
	s_delay_alu instid0(VALU_DEP_1) | instskip(NEXT) | instid1(VALU_DEP_1)
	v_add_f64_e32 v[6:7], v[30:31], v[6:7]
	v_add_f64_e32 v[30:31], v[62:63], v[6:7]
	s_delay_alu instid0(VALU_DEP_1) | instskip(SKIP_1) | instid1(VALU_DEP_2)
	v_mul_f64_e32 v[54:55], v[52:53], v[30:31]
	v_add_f64_e64 v[60:61], v[62:63], -v[30:31]
	v_mul_f64_e32 v[56:57], v[32:33], v[54:55]
	s_delay_alu instid0(VALU_DEP_2) | instskip(NEXT) | instid1(VALU_DEP_2)
	v_add_f64_e32 v[6:7], v[6:7], v[60:61]
	v_fma_f64 v[32:33], v[54:55], v[32:33], -v[56:57]
	s_delay_alu instid0(VALU_DEP_1) | instskip(NEXT) | instid1(VALU_DEP_1)
	v_fmac_f64_e32 v[32:33], v[54:55], v[28:29]
	v_add_f64_e32 v[28:29], v[56:57], v[32:33]
	s_delay_alu instid0(VALU_DEP_1) | instskip(SKIP_1) | instid1(VALU_DEP_2)
	v_add_f64_e64 v[58:59], v[30:31], -v[28:29]
	v_add_f64_e64 v[56:57], v[28:29], -v[56:57]
	;; [unrolled: 1-line block ×3, first 2 shown]
	s_delay_alu instid0(VALU_DEP_1) | instskip(NEXT) | instid1(VALU_DEP_3)
	v_add_f64_e64 v[28:29], v[30:31], -v[28:29]
	v_add_f64_e64 v[30:31], v[56:57], -v[32:33]
	v_max_num_f64_e64 v[32:33], |v[14:15]|, |v[14:15]|
	s_delay_alu instid0(VALU_DEP_3) | instskip(SKIP_1) | instid1(VALU_DEP_2)
	v_add_f64_e32 v[6:7], v[6:7], v[28:29]
	v_add_f64_e32 v[28:29], v[26:27], v[54:55]
	;; [unrolled: 1-line block ×3, first 2 shown]
	s_delay_alu instid0(VALU_DEP_2) | instskip(SKIP_1) | instid1(VALU_DEP_3)
	v_add_f64_e64 v[26:27], v[28:29], -v[26:27]
	v_max_num_f64_e64 v[30:31], |v[16:17]|, |v[16:17]|
	v_add_f64_e32 v[6:7], v[58:59], v[6:7]
	s_delay_alu instid0(VALU_DEP_3) | instskip(NEXT) | instid1(VALU_DEP_2)
	v_add_f64_e64 v[26:27], v[54:55], -v[26:27]
	v_mul_f64_e32 v[6:7], v[52:53], v[6:7]
	s_delay_alu instid0(VALU_DEP_1) | instskip(SKIP_2) | instid1(VALU_DEP_3)
	v_add_f64_e32 v[6:7], v[26:27], v[6:7]
	v_max_num_f64_e32 v[26:27], v[32:33], v[30:31]
	v_min_num_f64_e32 v[30:31], v[32:33], v[30:31]
	v_add_f64_e32 v[32:33], v[28:29], v[6:7]
	s_delay_alu instid0(VALU_DEP_2) | instskip(NEXT) | instid1(VALU_DEP_2)
	v_div_scale_f64 v[52:53], null, v[26:27], v[26:27], v[30:31]
	v_mul_f64_e32 v[54:55], v[32:33], v[32:33]
	v_add_f64_e64 v[28:29], v[32:33], -v[28:29]
	s_delay_alu instid0(VALU_DEP_3) | instskip(NEXT) | instid1(VALU_DEP_2)
	v_rcp_f64_e32 v[56:57], v[52:53]
	v_fmamk_f64 v[58:59], v[54:55], 0x3fc3ab76bf559e2b, v[40:41]
	v_mul_f64_e32 v[60:61], v[32:33], v[54:55]
	s_delay_alu instid0(VALU_DEP_3) | instskip(NEXT) | instid1(VALU_DEP_3)
	v_add_f64_e64 v[6:7], v[6:7], -v[28:29]
	v_fmaak_f64 v[58:59], v[54:55], v[58:59], 0x3fc7474dd7f4df2e
	s_delay_alu instid0(TRANS32_DEP_1) | instskip(NEXT) | instid1(VALU_DEP_2)
	v_fma_f64 v[62:63], -v[52:53], v[56:57], 1.0
	v_fmaak_f64 v[58:59], v[54:55], v[58:59], 0x3fcc71c016291751
	s_delay_alu instid0(VALU_DEP_1) | instskip(NEXT) | instid1(VALU_DEP_1)
	v_fmaak_f64 v[58:59], v[54:55], v[58:59], 0x3fd249249b27acf1
	v_fmaak_f64 v[58:59], v[54:55], v[58:59], 0x3fd99999998ef7b6
	v_ldexp_f64 v[6:7], v[6:7], 1
	s_delay_alu instid0(VALU_DEP_2) | instskip(SKIP_2) | instid1(VALU_DEP_3)
	v_fmaak_f64 v[54:55], v[54:55], v[58:59], 0x3fe5555555555780
	v_ldexp_f64 v[58:59], v[32:33], 1
	v_fmac_f64_e32 v[56:57], v[56:57], v[62:63]
	v_mul_f64_e32 v[54:55], v[60:61], v[54:55]
	v_cvt_f64_i32_e32 v[60:61], v4
	v_ashrrev_i32_e32 v4, 31, v15
	s_delay_alu instid0(VALU_DEP_4) | instskip(NEXT) | instid1(VALU_DEP_4)
	v_fma_f64 v[62:63], -v[52:53], v[56:57], 1.0
	v_add_f64_e32 v[32:33], v[58:59], v[54:55]
	s_delay_alu instid0(VALU_DEP_4) | instskip(NEXT) | instid1(VALU_DEP_3)
	v_mul_f64_e32 v[64:65], 0x3fe62e42fefa39ef, v[60:61]
	v_fmac_f64_e32 v[56:57], v[56:57], v[62:63]
	s_delay_alu instid0(VALU_DEP_3) | instskip(SKIP_1) | instid1(VALU_DEP_4)
	v_add_f64_e64 v[28:29], v[32:33], -v[58:59]
	v_div_scale_f64 v[58:59], vcc_lo, v[30:31], v[26:27], v[30:31]
	v_fma_f64 v[62:63], v[60:61], s[30:31], -v[64:65]
	s_delay_alu instid0(VALU_DEP_3) | instskip(NEXT) | instid1(VALU_DEP_3)
	v_add_f64_e64 v[28:29], v[54:55], -v[28:29]
	v_mul_f64_e32 v[54:55], v[58:59], v[56:57]
	s_delay_alu instid0(VALU_DEP_3) | instskip(NEXT) | instid1(VALU_DEP_3)
	v_fmac_f64_e32 v[62:63], 0x3c7abc9e3b39803f, v[60:61]
	v_add_f64_e32 v[6:7], v[6:7], v[28:29]
	s_delay_alu instid0(VALU_DEP_3) | instskip(NEXT) | instid1(VALU_DEP_3)
	v_fma_f64 v[28:29], -v[52:53], v[54:55], v[58:59]
	v_add_f64_e32 v[52:53], v[64:65], v[62:63]
	s_delay_alu instid0(VALU_DEP_3) | instskip(NEXT) | instid1(VALU_DEP_3)
	v_add_f64_e32 v[58:59], v[32:33], v[6:7]
	v_div_fmas_f64 v[28:29], v[28:29], v[56:57], v[54:55]
	v_cmp_gt_i32_e32 vcc_lo, 0, v15
	s_delay_alu instid0(VALU_DEP_4) | instskip(SKIP_2) | instid1(VALU_DEP_1)
	v_add_f64_e64 v[56:57], v[52:53], -v[64:65]
	v_cndmask_b32_e32 v8, 0x54442d18, v68, vcc_lo
	v_cndmask_b32_e32 v14, 0x3fe921fb, v69, vcc_lo
	v_bfi_b32 v14, 0x7fffffff, v14, v17
	v_add_f64_e32 v[54:55], v[52:53], v[58:59]
	v_div_fixup_f64 v[26:27], v[28:29], v[26:27], v[30:31]
	v_add_f64_e64 v[32:33], v[58:59], -v[32:33]
	v_add_f64_e64 v[56:57], v[62:63], -v[56:57]
	s_delay_alu instid0(VALU_DEP_4) | instskip(NEXT) | instid1(VALU_DEP_4)
	v_add_f64_e64 v[28:29], v[54:55], -v[52:53]
	v_mul_f64_e32 v[30:31], v[26:27], v[26:27]
	s_delay_alu instid0(VALU_DEP_4) | instskip(NEXT) | instid1(VALU_DEP_3)
	v_add_f64_e64 v[6:7], v[6:7], -v[32:33]
	v_add_f64_e64 v[60:61], v[54:55], -v[28:29]
	s_delay_alu instid0(VALU_DEP_3) | instskip(SKIP_1) | instid1(VALU_DEP_4)
	v_fmamk_f64 v[64:65], v[30:31], 0x3eeba404b5e68a13, v[42:43]
	v_add_f64_e64 v[28:29], v[58:59], -v[28:29]
	v_add_f64_e32 v[58:59], v[56:57], v[6:7]
	s_delay_alu instid0(VALU_DEP_3) | instskip(SKIP_1) | instid1(VALU_DEP_2)
	v_fmaak_f64 v[64:65], v[30:31], v[64:65], 0x3f4b2bb069efb384
	v_add_f64_e64 v[32:33], v[52:53], -v[60:61]
	v_fmaak_f64 v[52:53], v[30:31], v[64:65], 0xbf67952daf56de9b
	s_delay_alu instid0(VALU_DEP_1) | instskip(NEXT) | instid1(VALU_DEP_1)
	v_fmaak_f64 v[52:53], v[30:31], v[52:53], 0x3f7d6d43a595c56f
	v_fmaak_f64 v[52:53], v[30:31], v[52:53], 0xbf8c6ea4a57d9582
	s_delay_alu instid0(VALU_DEP_1) | instskip(NEXT) | instid1(VALU_DEP_1)
	v_fmaak_f64 v[52:53], v[30:31], v[52:53], 0x3f967e295f08b19f
	v_fmaak_f64 v[52:53], v[30:31], v[52:53], 0xbf9e9ae6fc27006a
	v_add_f64_e32 v[28:29], v[28:29], v[32:33]
	s_delay_alu instid0(VALU_DEP_2) | instskip(SKIP_1) | instid1(VALU_DEP_2)
	v_fmaak_f64 v[32:33], v[30:31], v[52:53], 0x3fa2c15b5711927a
	v_add_f64_e64 v[52:53], v[58:59], -v[56:57]
	v_fmaak_f64 v[32:33], v[30:31], v[32:33], 0xbfa59976e82d3ff0
	s_delay_alu instid0(VALU_DEP_1) | instskip(NEXT) | instid1(VALU_DEP_1)
	v_fmaak_f64 v[32:33], v[30:31], v[32:33], 0x3fa82d5d6ef28734
	v_fmaak_f64 v[32:33], v[30:31], v[32:33], 0xbfaae5ce6a214619
	s_delay_alu instid0(VALU_DEP_1) | instskip(SKIP_3) | instid1(VALU_DEP_4)
	v_fmaak_f64 v[32:33], v[30:31], v[32:33], 0x3fae1bb48427b883
	v_add_f64_e32 v[28:29], v[58:59], v[28:29]
	v_add_f64_e64 v[58:59], v[58:59], -v[52:53]
	v_add_f64_e64 v[6:7], v[6:7], -v[52:53]
	v_fmaak_f64 v[32:33], v[30:31], v[32:33], 0xbfb110e48b207f05
	s_delay_alu instid0(VALU_DEP_1) | instskip(NEXT) | instid1(VALU_DEP_1)
	v_fmaak_f64 v[32:33], v[30:31], v[32:33], 0x3fb3b13657b87036
	v_fmaak_f64 v[32:33], v[30:31], v[32:33], 0xbfb745d119378e4f
	s_delay_alu instid0(VALU_DEP_1) | instskip(SKIP_1) | instid1(VALU_DEP_2)
	v_fmaak_f64 v[32:33], v[30:31], v[32:33], 0x3fbc71c717e1913c
	v_add_f64_e32 v[60:61], v[54:55], v[28:29]
	v_fmaak_f64 v[32:33], v[30:31], v[32:33], 0xbfc2492492376b7d
	s_delay_alu instid0(VALU_DEP_1) | instskip(NEXT) | instid1(VALU_DEP_1)
	v_fmaak_f64 v[32:33], v[30:31], v[32:33], 0x3fc99999999952cc
	v_fmaak_f64 v[32:33], v[30:31], v[32:33], 0xbfd5555555555523
	s_delay_alu instid0(VALU_DEP_1) | instskip(SKIP_2) | instid1(VALU_DEP_3)
	v_mul_f64_e32 v[30:31], v[30:31], v[32:33]
	v_add_f64_e64 v[32:33], v[56:57], -v[58:59]
	v_add_f64_e64 v[52:53], v[60:61], -v[54:55]
	v_fmac_f64_e32 v[26:27], v[26:27], v[30:31]
	s_delay_alu instid0(VALU_DEP_3) | instskip(NEXT) | instid1(VALU_DEP_3)
	v_add_f64_e32 v[6:7], v[6:7], v[32:33]
	v_add_f64_e64 v[28:29], v[28:29], -v[52:53]
	s_delay_alu instid0(VALU_DEP_3) | instskip(NEXT) | instid1(VALU_DEP_2)
	v_add_f64_e64 v[30:31], -v[26:27], s[38:39]
	v_add_f64_e32 v[6:7], v[6:7], v[28:29]
	s_delay_alu instid0(VALU_DEP_2) | instskip(SKIP_2) | instid1(VALU_DEP_3)
	v_dual_cndmask_b32 v27, v27, v31, s4 :: v_dual_cndmask_b32 v26, v26, v30, s4
	v_and_b32_e32 v30, 0x54442d18, v4
	v_and_b32_e32 v4, 0x400921fb, v4
	v_add_f64_e64 v[28:29], -v[26:27], s[40:41]
	s_delay_alu instid0(VALU_DEP_1) | instskip(SKIP_2) | instid1(VALU_DEP_3)
	v_dual_add_f64 v[6:7], v[60:61], v[6:7] :: v_dual_cndmask_b32 v26, v26, v28, vcc_lo
	v_cmp_nge_f64_e64 s6, -1.0, v[2:3]
	v_cmp_neq_f64_e64 s7, 0x7ff00000, v[2:3]
	v_dual_mul_f64 v[6:7], 0.5, v[6:7] :: v_dual_cndmask_b32 v15, v27, v29, vcc_lo
	v_cmp_ngt_f64_e32 vcc_lo, -1.0, v[2:3]
	s_delay_alu instid0(VALU_DEP_2) | instskip(SKIP_1) | instid1(VALU_DEP_3)
	v_dual_cndmask_b32 v28, v26, v30, s5 :: v_dual_cndmask_b32 v4, v15, v4, s5
	s_and_b32 s5, s6, s7
	v_cndmask_b32_e64 v7, 0x7ff00000, v7, s7
	s_delay_alu instid0(VALU_DEP_4) | instskip(SKIP_1) | instid1(VALU_DEP_3)
	v_cndmask_b32_e64 v26, 0, v6, s5
	v_cmp_neq_f64_e64 s5, -1.0, v[2:3]
	v_cndmask_b32_e32 v7, 0x7ff80000, v7, vcc_lo
	s_and_b32 vcc_lo, s8, s9
	v_cndmask_b32_e32 v29, v4, v14, vcc_lo
	v_cndmask_b32_e32 v28, v28, v8, vcc_lo
	s_delay_alu instid0(VALU_DEP_3)
	v_cndmask_b32_e64 v27, 0xfff00000, v7, s5
.LBB167_234:                            ;   in Loop: Header=BB167_145 Depth=1
	s_or_b32 exec_lo, exec_lo, s55
.LBB167_235:                            ;   in Loop: Header=BB167_145 Depth=1
	s_delay_alu instid0(SALU_CYCLE_1)
	s_or_b32 exec_lo, exec_lo, s54
.LBB167_236:                            ;   in Loop: Header=BB167_145 Depth=1
	s_and_not1_saveexec_b32 s7, s53
	s_cbranch_execz .LBB167_238
; %bb.237:                              ;   in Loop: Header=BB167_145 Depth=1
	v_max_num_f64_e64 v[2:3], |v[16:17]|, |v[16:17]|
	v_max_num_f64_e64 v[6:7], |v[14:15]|, |v[14:15]|
	v_cmp_class_f64_e64 s8, v[14:15], 0x204
	v_cmp_class_f64_e64 s9, v[16:17], 0x204
	v_cmp_eq_f64_e64 s6, 0, v[16:17]
	s_delay_alu instid0(VALU_DEP_4) | instskip(SKIP_2) | instid1(VALU_DEP_2)
	v_max_num_f64_e32 v[26:27], v[6:7], v[2:3]
	v_min_num_f64_e32 v[2:3], v[6:7], v[2:3]
	s_or_b32 s5, s9, s8
	v_frexp_exp_i32_f64_e32 v4, v[26:27]
	s_delay_alu instid0(VALU_DEP_1) | instskip(NEXT) | instid1(VALU_DEP_1)
	v_sub_nc_u32_e32 v8, 0, v4
	v_ldexp_f64 v[28:29], |v[16:17]|, v8
	v_ldexp_f64 v[30:31], |v[14:15]|, v8
	s_delay_alu instid0(VALU_DEP_2) | instskip(NEXT) | instid1(VALU_DEP_1)
	v_mul_f64_e32 v[28:29], v[28:29], v[28:29]
	v_fmac_f64_e32 v[28:29], v[30:31], v[30:31]
	s_delay_alu instid0(VALU_DEP_1) | instskip(SKIP_1) | instid1(TRANS32_DEP_1)
	v_rsq_f64_e32 v[30:31], v[28:29]
	v_cmp_eq_f64_e32 vcc_lo, 0, v[28:29]
	v_mul_f64_e32 v[32:33], v[28:29], v[30:31]
	v_mul_f64_e32 v[30:31], 0.5, v[30:31]
	s_delay_alu instid0(VALU_DEP_1) | instskip(NEXT) | instid1(VALU_DEP_1)
	v_fma_f64 v[52:53], -v[30:31], v[32:33], 0.5
	v_fmac_f64_e32 v[32:33], v[32:33], v[52:53]
	v_fmac_f64_e32 v[30:31], v[30:31], v[52:53]
	s_delay_alu instid0(VALU_DEP_2) | instskip(NEXT) | instid1(VALU_DEP_1)
	v_fma_f64 v[52:53], -v[32:33], v[32:33], v[28:29]
	v_fmac_f64_e32 v[32:33], v[52:53], v[30:31]
	s_delay_alu instid0(VALU_DEP_1) | instskip(NEXT) | instid1(VALU_DEP_1)
	v_dual_cndmask_b32 v29, v33, v29 :: v_dual_cndmask_b32 v28, v32, v28
	v_ldexp_f64 v[28:29], v[28:29], v4
	s_delay_alu instid0(VALU_DEP_1) | instskip(NEXT) | instid1(VALU_DEP_2)
	v_cndmask_b32_e64 v31, v29, 0x7ff00000, s5
	v_cndmask_b32_e64 v30, v28, 0, s5
	s_delay_alu instid0(VALU_DEP_1) | instskip(SKIP_1) | instid1(VALU_DEP_2)
	v_frexp_mant_f64_e32 v[28:29], v[30:31]
	v_cmp_class_f64_e64 s5, v[30:31], 0x204
	v_cmp_gt_f64_e32 vcc_lo, s[28:29], v[28:29]
	v_cndmask_b32_e64 v4, 0, 1, vcc_lo
	s_delay_alu instid0(VALU_DEP_1) | instskip(SKIP_1) | instid1(VALU_DEP_2)
	v_ldexp_f64 v[28:29], v[28:29], v4
	v_frexp_exp_i32_f64_e32 v4, v[30:31]
	v_add_f64_e32 v[32:33], 1.0, v[28:29]
	v_add_f64_e32 v[56:57], -1.0, v[28:29]
	s_delay_alu instid0(VALU_DEP_3) | instskip(SKIP_1) | instid1(VALU_DEP_4)
	v_subrev_co_ci_u32_e64 v4, null, 0, v4, vcc_lo
	v_div_scale_f64 v[64:65], vcc_lo, v[2:3], v[26:27], v[2:3]
	v_rcp_f64_e32 v[52:53], v[32:33]
	v_add_f64_e32 v[58:59], -1.0, v[32:33]
	s_delay_alu instid0(VALU_DEP_1) | instskip(NEXT) | instid1(TRANS32_DEP_1)
	v_add_f64_e64 v[28:29], v[28:29], -v[58:59]
	v_fma_f64 v[54:55], -v[32:33], v[52:53], 1.0
	s_delay_alu instid0(VALU_DEP_1) | instskip(NEXT) | instid1(VALU_DEP_1)
	v_fmac_f64_e32 v[52:53], v[54:55], v[52:53]
	v_fma_f64 v[54:55], -v[32:33], v[52:53], 1.0
	s_delay_alu instid0(VALU_DEP_1) | instskip(NEXT) | instid1(VALU_DEP_1)
	v_fmac_f64_e32 v[52:53], v[54:55], v[52:53]
	v_mul_f64_e32 v[54:55], v[56:57], v[52:53]
	s_delay_alu instid0(VALU_DEP_1) | instskip(NEXT) | instid1(VALU_DEP_1)
	v_mul_f64_e32 v[60:61], v[32:33], v[54:55]
	v_fma_f64 v[32:33], v[54:55], v[32:33], -v[60:61]
	s_delay_alu instid0(VALU_DEP_1) | instskip(NEXT) | instid1(VALU_DEP_1)
	v_fmac_f64_e32 v[32:33], v[54:55], v[28:29]
	v_add_f64_e32 v[28:29], v[60:61], v[32:33]
	s_delay_alu instid0(VALU_DEP_1) | instskip(SKIP_1) | instid1(VALU_DEP_2)
	v_add_f64_e64 v[58:59], v[56:57], -v[28:29]
	v_add_f64_e64 v[60:61], v[28:29], -v[60:61]
	;; [unrolled: 1-line block ×3, first 2 shown]
	s_delay_alu instid0(VALU_DEP_2) | instskip(NEXT) | instid1(VALU_DEP_2)
	v_add_f64_e64 v[32:33], v[60:61], -v[32:33]
	v_add_f64_e64 v[28:29], v[56:57], -v[28:29]
	s_delay_alu instid0(VALU_DEP_1) | instskip(NEXT) | instid1(VALU_DEP_1)
	v_add_f64_e32 v[28:29], v[32:33], v[28:29]
	v_add_f64_e32 v[28:29], v[58:59], v[28:29]
	s_delay_alu instid0(VALU_DEP_1) | instskip(SKIP_1) | instid1(VALU_DEP_2)
	v_mul_f64_e32 v[6:7], v[52:53], v[28:29]
	v_div_scale_f64 v[28:29], null, v[26:27], v[26:27], v[2:3]
	v_add_f64_e32 v[32:33], v[54:55], v[6:7]
	s_delay_alu instid0(VALU_DEP_2) | instskip(NEXT) | instid1(VALU_DEP_1)
	v_rcp_f64_e32 v[52:53], v[28:29]
	v_mul_f64_e32 v[56:57], v[32:33], v[32:33]
	s_delay_alu instid0(TRANS32_DEP_1) | instskip(NEXT) | instid1(VALU_DEP_2)
	v_fma_f64 v[60:61], -v[28:29], v[52:53], 1.0
	v_fmamk_f64 v[58:59], v[56:57], 0x3fc3ab76bf559e2b, v[40:41]
	v_mul_f64_e32 v[62:63], v[32:33], v[56:57]
	s_delay_alu instid0(VALU_DEP_3) | instskip(NEXT) | instid1(VALU_DEP_3)
	v_fmac_f64_e32 v[52:53], v[52:53], v[60:61]
	v_fmaak_f64 v[58:59], v[56:57], v[58:59], 0x3fc7474dd7f4df2e
	s_delay_alu instid0(VALU_DEP_1) | instskip(NEXT) | instid1(VALU_DEP_1)
	v_fmaak_f64 v[58:59], v[56:57], v[58:59], 0x3fcc71c016291751
	v_fmaak_f64 v[58:59], v[56:57], v[58:59], 0x3fd249249b27acf1
	s_delay_alu instid0(VALU_DEP_1) | instskip(NEXT) | instid1(VALU_DEP_1)
	v_fmaak_f64 v[58:59], v[56:57], v[58:59], 0x3fd99999998ef7b6
	v_fmaak_f64 v[56:57], v[56:57], v[58:59], 0x3fe5555555555780
	v_ldexp_f64 v[58:59], v[32:33], 1
	v_add_f64_e64 v[32:33], v[32:33], -v[54:55]
	v_fma_f64 v[60:61], -v[28:29], v[52:53], 1.0
	s_delay_alu instid0(VALU_DEP_4) | instskip(SKIP_2) | instid1(VALU_DEP_1)
	v_mul_f64_e32 v[56:57], v[62:63], v[56:57]
	v_cvt_f64_i32_e32 v[62:63], v4
	v_ashrrev_i32_e32 v4, 31, v15
	v_and_b32_e32 v14, 0x54442d18, v4
	v_and_b32_e32 v4, 0x400921fb, v4
	v_add_f64_e64 v[6:7], v[6:7], -v[32:33]
	v_fmac_f64_e32 v[52:53], v[52:53], v[60:61]
	v_add_f64_e32 v[54:55], v[58:59], v[56:57]
	v_mul_f64_e32 v[60:61], 0x3fe62e42fefa39ef, v[62:63]
	s_delay_alu instid0(VALU_DEP_4) | instskip(NEXT) | instid1(VALU_DEP_3)
	v_ldexp_f64 v[6:7], v[6:7], 1
	v_add_f64_e64 v[32:33], v[54:55], -v[58:59]
	v_mul_f64_e32 v[58:59], v[64:65], v[52:53]
	s_delay_alu instid0(VALU_DEP_4) | instskip(NEXT) | instid1(VALU_DEP_3)
	v_fma_f64 v[66:67], v[62:63], s[30:31], -v[60:61]
	v_add_f64_e64 v[32:33], v[56:57], -v[32:33]
	s_delay_alu instid0(VALU_DEP_3) | instskip(NEXT) | instid1(VALU_DEP_3)
	v_fma_f64 v[28:29], -v[28:29], v[58:59], v[64:65]
	v_fmac_f64_e32 v[66:67], 0x3c7abc9e3b39803f, v[62:63]
	s_delay_alu instid0(VALU_DEP_3) | instskip(NEXT) | instid1(VALU_DEP_3)
	v_add_f64_e32 v[6:7], v[6:7], v[32:33]
	v_div_fmas_f64 v[28:29], v[28:29], v[52:53], v[58:59]
	s_delay_alu instid0(VALU_DEP_3) | instskip(SKIP_3) | instid1(VALU_DEP_1)
	v_add_f64_e32 v[32:33], v[60:61], v[66:67]
	v_cmp_gt_i32_e32 vcc_lo, 0, v15
	v_cndmask_b32_e32 v8, 0x54442d18, v68, vcc_lo
	v_cndmask_b32_e32 v15, 0x3fe921fb, v69, vcc_lo
	v_bfi_b32 v15, 0x7fffffff, v15, v17
	v_add_f64_e32 v[52:53], v[54:55], v[6:7]
	v_div_fixup_f64 v[2:3], v[28:29], v[26:27], v[2:3]
	v_add_f64_e64 v[60:61], v[32:33], -v[60:61]
	s_delay_alu instid0(VALU_DEP_3) | instskip(NEXT) | instid1(VALU_DEP_3)
	v_add_f64_e32 v[26:27], v[32:33], v[52:53]
	v_mul_f64_e32 v[28:29], v[2:3], v[2:3]
	v_add_f64_e64 v[54:55], v[52:53], -v[54:55]
	s_delay_alu instid0(VALU_DEP_4) | instskip(NEXT) | instid1(VALU_DEP_4)
	v_add_f64_e64 v[60:61], v[66:67], -v[60:61]
	v_add_f64_e64 v[56:57], v[26:27], -v[32:33]
	s_delay_alu instid0(VALU_DEP_4) | instskip(NEXT) | instid1(VALU_DEP_4)
	v_fmamk_f64 v[58:59], v[28:29], 0x3eeba404b5e68a13, v[42:43]
	v_add_f64_e64 v[6:7], v[6:7], -v[54:55]
	s_delay_alu instid0(VALU_DEP_2) | instskip(NEXT) | instid1(VALU_DEP_1)
	v_fmaak_f64 v[58:59], v[28:29], v[58:59], 0x3f4b2bb069efb384
	v_fmaak_f64 v[58:59], v[28:29], v[58:59], 0xbf67952daf56de9b
	s_delay_alu instid0(VALU_DEP_1) | instskip(NEXT) | instid1(VALU_DEP_1)
	v_fmaak_f64 v[58:59], v[28:29], v[58:59], 0x3f7d6d43a595c56f
	v_fmaak_f64 v[58:59], v[28:29], v[58:59], 0xbf8c6ea4a57d9582
	v_add_f64_e64 v[62:63], v[26:27], -v[56:57]
	v_add_f64_e64 v[52:53], v[52:53], -v[56:57]
	v_add_f64_e32 v[56:57], v[60:61], v[6:7]
	s_delay_alu instid0(VALU_DEP_4) | instskip(NEXT) | instid1(VALU_DEP_1)
	v_fmaak_f64 v[58:59], v[28:29], v[58:59], 0x3f967e295f08b19f
	v_fmaak_f64 v[54:55], v[28:29], v[58:59], 0xbf9e9ae6fc27006a
	s_delay_alu instid0(VALU_DEP_1) | instskip(NEXT) | instid1(VALU_DEP_1)
	v_fmaak_f64 v[54:55], v[28:29], v[54:55], 0x3fa2c15b5711927a
	v_fmaak_f64 v[54:55], v[28:29], v[54:55], 0xbfa59976e82d3ff0
	s_delay_alu instid0(VALU_DEP_1) | instskip(SKIP_1) | instid1(VALU_DEP_2)
	v_fmaak_f64 v[54:55], v[28:29], v[54:55], 0x3fa82d5d6ef28734
	v_add_f64_e64 v[32:33], v[32:33], -v[62:63]
	v_fmaak_f64 v[54:55], v[28:29], v[54:55], 0xbfaae5ce6a214619
	s_delay_alu instid0(VALU_DEP_2) | instskip(NEXT) | instid1(VALU_DEP_2)
	v_add_f64_e32 v[32:33], v[52:53], v[32:33]
	v_fmaak_f64 v[52:53], v[28:29], v[54:55], 0x3fae1bb48427b883
	v_add_f64_e64 v[54:55], v[56:57], -v[60:61]
	s_delay_alu instid0(VALU_DEP_2) | instskip(NEXT) | instid1(VALU_DEP_1)
	v_fmaak_f64 v[52:53], v[28:29], v[52:53], 0xbfb110e48b207f05
	v_fmaak_f64 v[52:53], v[28:29], v[52:53], 0x3fb3b13657b87036
	s_delay_alu instid0(VALU_DEP_1) | instskip(NEXT) | instid1(VALU_DEP_1)
	v_fmaak_f64 v[52:53], v[28:29], v[52:53], 0xbfb745d119378e4f
	v_fmaak_f64 v[52:53], v[28:29], v[52:53], 0x3fbc71c717e1913c
	v_add_f64_e32 v[32:33], v[56:57], v[32:33]
	v_add_f64_e64 v[6:7], v[6:7], -v[54:55]
	s_delay_alu instid0(VALU_DEP_3) | instskip(NEXT) | instid1(VALU_DEP_1)
	v_fmaak_f64 v[52:53], v[28:29], v[52:53], 0xbfc2492492376b7d
	v_fmaak_f64 v[52:53], v[28:29], v[52:53], 0x3fc99999999952cc
	s_delay_alu instid0(VALU_DEP_1) | instskip(NEXT) | instid1(VALU_DEP_1)
	v_fmaak_f64 v[52:53], v[28:29], v[52:53], 0xbfd5555555555523
	v_mul_f64_e32 v[28:29], v[28:29], v[52:53]
	v_add_f64_e64 v[52:53], v[56:57], -v[54:55]
	v_add_f64_e32 v[56:57], v[26:27], v[32:33]
	s_delay_alu instid0(VALU_DEP_3) | instskip(NEXT) | instid1(VALU_DEP_3)
	v_fmac_f64_e32 v[2:3], v[2:3], v[28:29]
	v_add_f64_e64 v[28:29], v[60:61], -v[52:53]
	s_delay_alu instid0(VALU_DEP_3) | instskip(NEXT) | instid1(VALU_DEP_3)
	v_add_f64_e64 v[26:27], v[56:57], -v[26:27]
	v_add_f64_e64 v[52:53], -v[2:3], s[38:39]
	s_delay_alu instid0(VALU_DEP_3) | instskip(NEXT) | instid1(VALU_DEP_2)
	v_add_f64_e32 v[6:7], v[6:7], v[28:29]
	v_dual_add_f64 v[26:27], v[32:33], -v[26:27] :: v_dual_cndmask_b32 v3, v3, v53, s4
	s_delay_alu instid0(VALU_DEP_3) | instskip(NEXT) | instid1(VALU_DEP_2)
	v_cndmask_b32_e64 v2, v2, v52, s4
	v_add_f64_e32 v[6:7], v[6:7], v[26:27]
	s_delay_alu instid0(VALU_DEP_2) | instskip(NEXT) | instid1(VALU_DEP_2)
	v_add_f64_e64 v[26:27], -v[2:3], s[40:41]
	v_add_f64_e32 v[6:7], v[56:57], v[6:7]
	s_delay_alu instid0(VALU_DEP_2) | instskip(SKIP_1) | instid1(VALU_DEP_2)
	v_dual_cndmask_b32 v2, v2, v26 :: v_dual_cndmask_b32 v3, v3, v27
	v_cmp_ngt_f64_e32 vcc_lo, 0, v[30:31]
	v_dual_cndmask_b32 v2, v2, v14, s6 :: v_dual_cndmask_b32 v3, v3, v4, s6
	s_delay_alu instid0(VALU_DEP_4) | instskip(SKIP_1) | instid1(VALU_DEP_2)
	v_dual_cndmask_b32 v6, v6, v30, s5 :: v_dual_cndmask_b32 v7, v7, v31, s5
	v_cmp_nge_f64_e64 s5, 0, v[30:31]
	v_cndmask_b32_e32 v4, 0x7ff80000, v7, vcc_lo
	s_and_b32 vcc_lo, s9, s8
	v_dual_cndmask_b32 v29, v3, v15 :: v_dual_cndmask_b32 v28, v2, v8
	v_cndmask_b32_e64 v26, 0, v6, s5
	v_cmp_neq_f64_e64 s5, 0, v[30:31]
	s_delay_alu instid0(VALU_DEP_1)
	v_cndmask_b32_e64 v27, 0xfff00000, v4, s5
.LBB167_238:                            ;   in Loop: Header=BB167_145 Depth=1
	s_or_b32 exec_lo, exec_lo, s7
                                        ; implicit-def: $vgpr6_vgpr7
.LBB167_239:                            ;   in Loop: Header=BB167_145 Depth=1
	s_and_not1_saveexec_b32 s7, s52
	s_cbranch_execz .LBB167_245
; %bb.240:                              ;   in Loop: Header=BB167_145 Depth=1
                                        ; implicit-def: $vgpr26_vgpr27
	s_mov_b32 s5, exec_lo
	v_cmpx_ngt_f64_e32 s[44:45], v[6:7]
	s_xor_b32 s8, exec_lo, s5
	s_cbranch_execz .LBB167_242
; %bb.241:                              ;   in Loop: Header=BB167_145 Depth=1
	v_mul_f64_e32 v[2:3], v[6:7], v[6:7]
	v_cmp_eq_f64_e64 s5, 0, v[16:17]
	v_cmp_class_f64_e64 s9, v[16:17], 0x204
	v_cmp_class_f64_e64 s10, v[14:15], 0x204
	s_delay_alu instid0(VALU_DEP_4) | instskip(NEXT) | instid1(VALU_DEP_1)
	v_add_f64_e32 v[6:7], 1.0, v[2:3]
	v_frexp_mant_f64_e32 v[26:27], v[6:7]
	v_frexp_exp_i32_f64_e32 v4, v[6:7]
	v_add_f64_e32 v[28:29], -1.0, v[6:7]
	s_delay_alu instid0(VALU_DEP_3) | instskip(NEXT) | instid1(VALU_DEP_2)
	v_cmp_gt_f64_e32 vcc_lo, s[28:29], v[26:27]
	v_add_f64_e64 v[26:27], v[28:29], -v[6:7]
	s_delay_alu instid0(VALU_DEP_4) | instskip(NEXT) | instid1(VALU_DEP_1)
	v_subrev_co_ci_u32_e64 v4, null, 0, v4, vcc_lo
	v_dual_add_f64 v[26:27], 1.0, v[26:27] :: v_dual_sub_nc_u32 v8, 0, v4
	v_add_f64_e64 v[28:29], v[2:3], -v[28:29]
	v_cmp_neq_f64_e64 s6, 0x7ff00000, v[2:3]
	s_delay_alu instid0(VALU_DEP_3) | instskip(NEXT) | instid1(VALU_DEP_3)
	v_ldexp_f64 v[6:7], v[6:7], v8
	v_add_f64_e32 v[26:27], v[28:29], v[26:27]
	s_delay_alu instid0(VALU_DEP_2) | instskip(SKIP_1) | instid1(VALU_DEP_3)
	v_add_f64_e32 v[30:31], 1.0, v[6:7]
	v_add_f64_e32 v[54:55], -1.0, v[6:7]
	v_ldexp_f64 v[26:27], v[26:27], v8
	s_delay_alu instid0(VALU_DEP_3) | instskip(NEXT) | instid1(VALU_DEP_3)
	v_add_f64_e32 v[28:29], -1.0, v[30:31]
	v_add_f64_e32 v[56:57], 1.0, v[54:55]
	s_delay_alu instid0(VALU_DEP_2) | instskip(NEXT) | instid1(VALU_DEP_2)
	v_add_f64_e64 v[28:29], v[6:7], -v[28:29]
	v_add_f64_e64 v[6:7], v[6:7], -v[56:57]
	s_delay_alu instid0(VALU_DEP_2) | instskip(NEXT) | instid1(VALU_DEP_2)
	v_add_f64_e32 v[28:29], v[26:27], v[28:29]
	v_add_f64_e32 v[6:7], v[26:27], v[6:7]
	s_delay_alu instid0(VALU_DEP_2) | instskip(NEXT) | instid1(VALU_DEP_2)
	v_add_f64_e32 v[32:33], v[30:31], v[28:29]
	v_add_f64_e32 v[56:57], v[54:55], v[6:7]
	s_delay_alu instid0(VALU_DEP_2) | instskip(SKIP_1) | instid1(VALU_DEP_2)
	v_rcp_f64_e32 v[52:53], v[32:33]
	v_add_f64_e64 v[30:31], v[30:31], -v[32:33]
	v_add_f64_e64 v[54:55], v[54:55], -v[56:57]
	s_delay_alu instid0(VALU_DEP_2) | instskip(NEXT) | instid1(VALU_DEP_2)
	v_add_f64_e32 v[28:29], v[28:29], v[30:31]
	v_add_f64_e32 v[6:7], v[6:7], v[54:55]
	s_delay_alu instid0(TRANS32_DEP_1) | instskip(NEXT) | instid1(VALU_DEP_1)
	v_fma_f64 v[58:59], -v[32:33], v[52:53], 1.0
	v_fmac_f64_e32 v[52:53], v[58:59], v[52:53]
	s_delay_alu instid0(VALU_DEP_1) | instskip(NEXT) | instid1(VALU_DEP_1)
	v_fma_f64 v[26:27], -v[32:33], v[52:53], 1.0
	v_fmac_f64_e32 v[52:53], v[26:27], v[52:53]
	s_delay_alu instid0(VALU_DEP_1) | instskip(NEXT) | instid1(VALU_DEP_1)
	v_mul_f64_e32 v[26:27], v[56:57], v[52:53]
	v_mul_f64_e32 v[58:59], v[32:33], v[26:27]
	s_delay_alu instid0(VALU_DEP_1) | instskip(NEXT) | instid1(VALU_DEP_1)
	v_fma_f64 v[30:31], v[26:27], v[32:33], -v[58:59]
	v_fmac_f64_e32 v[30:31], v[26:27], v[28:29]
	s_delay_alu instid0(VALU_DEP_1) | instskip(NEXT) | instid1(VALU_DEP_1)
	v_add_f64_e32 v[60:61], v[58:59], v[30:31]
	v_add_f64_e64 v[62:63], v[56:57], -v[60:61]
	v_add_f64_e64 v[54:55], v[60:61], -v[58:59]
	s_delay_alu instid0(VALU_DEP_2) | instskip(NEXT) | instid1(VALU_DEP_2)
	v_add_f64_e64 v[56:57], v[56:57], -v[62:63]
	v_add_f64_e64 v[30:31], v[54:55], -v[30:31]
	s_delay_alu instid0(VALU_DEP_2) | instskip(NEXT) | instid1(VALU_DEP_1)
	v_add_f64_e64 v[56:57], v[56:57], -v[60:61]
	v_add_f64_e32 v[6:7], v[6:7], v[56:57]
	s_delay_alu instid0(VALU_DEP_1) | instskip(NEXT) | instid1(VALU_DEP_1)
	v_add_f64_e32 v[6:7], v[30:31], v[6:7]
	v_add_f64_e32 v[30:31], v[62:63], v[6:7]
	s_delay_alu instid0(VALU_DEP_1) | instskip(SKIP_1) | instid1(VALU_DEP_2)
	v_mul_f64_e32 v[54:55], v[52:53], v[30:31]
	v_add_f64_e64 v[60:61], v[62:63], -v[30:31]
	v_mul_f64_e32 v[56:57], v[32:33], v[54:55]
	s_delay_alu instid0(VALU_DEP_2) | instskip(NEXT) | instid1(VALU_DEP_2)
	v_add_f64_e32 v[6:7], v[6:7], v[60:61]
	v_fma_f64 v[32:33], v[54:55], v[32:33], -v[56:57]
	s_delay_alu instid0(VALU_DEP_1) | instskip(NEXT) | instid1(VALU_DEP_1)
	v_fmac_f64_e32 v[32:33], v[54:55], v[28:29]
	v_add_f64_e32 v[28:29], v[56:57], v[32:33]
	s_delay_alu instid0(VALU_DEP_1) | instskip(SKIP_1) | instid1(VALU_DEP_2)
	v_add_f64_e64 v[58:59], v[30:31], -v[28:29]
	v_add_f64_e64 v[56:57], v[28:29], -v[56:57]
	v_add_f64_e64 v[30:31], v[30:31], -v[58:59]
	s_delay_alu instid0(VALU_DEP_1) | instskip(NEXT) | instid1(VALU_DEP_3)
	v_add_f64_e64 v[28:29], v[30:31], -v[28:29]
	v_add_f64_e64 v[30:31], v[56:57], -v[32:33]
	v_max_num_f64_e64 v[32:33], |v[14:15]|, |v[14:15]|
	s_delay_alu instid0(VALU_DEP_3) | instskip(SKIP_1) | instid1(VALU_DEP_2)
	v_add_f64_e32 v[6:7], v[6:7], v[28:29]
	v_add_f64_e32 v[28:29], v[26:27], v[54:55]
	;; [unrolled: 1-line block ×3, first 2 shown]
	s_delay_alu instid0(VALU_DEP_2) | instskip(SKIP_1) | instid1(VALU_DEP_3)
	v_add_f64_e64 v[26:27], v[28:29], -v[26:27]
	v_max_num_f64_e64 v[30:31], |v[16:17]|, |v[16:17]|
	v_add_f64_e32 v[6:7], v[58:59], v[6:7]
	s_delay_alu instid0(VALU_DEP_3) | instskip(NEXT) | instid1(VALU_DEP_2)
	v_add_f64_e64 v[26:27], v[54:55], -v[26:27]
	v_mul_f64_e32 v[6:7], v[52:53], v[6:7]
	s_delay_alu instid0(VALU_DEP_1) | instskip(SKIP_2) | instid1(VALU_DEP_3)
	v_add_f64_e32 v[6:7], v[26:27], v[6:7]
	v_max_num_f64_e32 v[26:27], v[32:33], v[30:31]
	v_min_num_f64_e32 v[30:31], v[32:33], v[30:31]
	v_add_f64_e32 v[32:33], v[28:29], v[6:7]
	s_delay_alu instid0(VALU_DEP_2) | instskip(NEXT) | instid1(VALU_DEP_2)
	v_div_scale_f64 v[52:53], null, v[26:27], v[26:27], v[30:31]
	v_mul_f64_e32 v[54:55], v[32:33], v[32:33]
	v_add_f64_e64 v[28:29], v[32:33], -v[28:29]
	s_delay_alu instid0(VALU_DEP_3) | instskip(NEXT) | instid1(VALU_DEP_2)
	v_rcp_f64_e32 v[56:57], v[52:53]
	v_fmamk_f64 v[58:59], v[54:55], 0x3fc3ab76bf559e2b, v[40:41]
	v_mul_f64_e32 v[60:61], v[32:33], v[54:55]
	s_delay_alu instid0(VALU_DEP_3) | instskip(NEXT) | instid1(VALU_DEP_3)
	v_add_f64_e64 v[6:7], v[6:7], -v[28:29]
	v_fmaak_f64 v[58:59], v[54:55], v[58:59], 0x3fc7474dd7f4df2e
	s_delay_alu instid0(TRANS32_DEP_1) | instskip(NEXT) | instid1(VALU_DEP_2)
	v_fma_f64 v[62:63], -v[52:53], v[56:57], 1.0
	v_fmaak_f64 v[58:59], v[54:55], v[58:59], 0x3fcc71c016291751
	s_delay_alu instid0(VALU_DEP_1) | instskip(NEXT) | instid1(VALU_DEP_1)
	v_fmaak_f64 v[58:59], v[54:55], v[58:59], 0x3fd249249b27acf1
	v_fmaak_f64 v[58:59], v[54:55], v[58:59], 0x3fd99999998ef7b6
	v_ldexp_f64 v[6:7], v[6:7], 1
	s_delay_alu instid0(VALU_DEP_2) | instskip(SKIP_2) | instid1(VALU_DEP_3)
	v_fmaak_f64 v[54:55], v[54:55], v[58:59], 0x3fe5555555555780
	v_ldexp_f64 v[58:59], v[32:33], 1
	v_fmac_f64_e32 v[56:57], v[56:57], v[62:63]
	v_mul_f64_e32 v[54:55], v[60:61], v[54:55]
	v_cvt_f64_i32_e32 v[60:61], v4
	v_ashrrev_i32_e32 v4, 31, v15
	s_delay_alu instid0(VALU_DEP_1) | instskip(SKIP_3) | instid1(VALU_DEP_3)
	v_and_b32_e32 v3, 0x400921fb, v4
	v_fma_f64 v[62:63], -v[52:53], v[56:57], 1.0
	v_add_f64_e32 v[32:33], v[58:59], v[54:55]
	v_mul_f64_e32 v[64:65], 0x3fe62e42fefa39ef, v[60:61]
	v_fmac_f64_e32 v[56:57], v[56:57], v[62:63]
	s_delay_alu instid0(VALU_DEP_3) | instskip(SKIP_1) | instid1(VALU_DEP_4)
	v_add_f64_e64 v[28:29], v[32:33], -v[58:59]
	v_div_scale_f64 v[58:59], vcc_lo, v[30:31], v[26:27], v[30:31]
	v_fma_f64 v[62:63], v[60:61], s[30:31], -v[64:65]
	s_delay_alu instid0(VALU_DEP_3) | instskip(NEXT) | instid1(VALU_DEP_3)
	v_add_f64_e64 v[28:29], v[54:55], -v[28:29]
	v_mul_f64_e32 v[54:55], v[58:59], v[56:57]
	s_delay_alu instid0(VALU_DEP_3) | instskip(NEXT) | instid1(VALU_DEP_3)
	v_fmac_f64_e32 v[62:63], 0x3c7abc9e3b39803f, v[60:61]
	v_add_f64_e32 v[6:7], v[6:7], v[28:29]
	s_delay_alu instid0(VALU_DEP_3) | instskip(NEXT) | instid1(VALU_DEP_3)
	v_fma_f64 v[28:29], -v[52:53], v[54:55], v[58:59]
	v_add_f64_e32 v[52:53], v[64:65], v[62:63]
	s_delay_alu instid0(VALU_DEP_3) | instskip(NEXT) | instid1(VALU_DEP_3)
	v_add_f64_e32 v[58:59], v[32:33], v[6:7]
	v_div_fmas_f64 v[28:29], v[28:29], v[56:57], v[54:55]
	v_cmp_gt_i32_e32 vcc_lo, 0, v15
	s_delay_alu instid0(VALU_DEP_4) | instskip(SKIP_2) | instid1(VALU_DEP_2)
	v_add_f64_e64 v[56:57], v[52:53], -v[64:65]
	v_cndmask_b32_e32 v2, 0x3fe921fb, v69, vcc_lo
	v_cndmask_b32_e32 v8, 0x54442d18, v68, vcc_lo
	v_bfi_b32 v2, 0x7fffffff, v2, v17
	v_add_f64_e32 v[54:55], v[52:53], v[58:59]
	v_div_fixup_f64 v[26:27], v[28:29], v[26:27], v[30:31]
	v_add_f64_e64 v[32:33], v[58:59], -v[32:33]
	v_add_f64_e64 v[56:57], v[62:63], -v[56:57]
	s_delay_alu instid0(VALU_DEP_4) | instskip(NEXT) | instid1(VALU_DEP_4)
	v_add_f64_e64 v[28:29], v[54:55], -v[52:53]
	v_mul_f64_e32 v[30:31], v[26:27], v[26:27]
	s_delay_alu instid0(VALU_DEP_4) | instskip(NEXT) | instid1(VALU_DEP_3)
	v_add_f64_e64 v[6:7], v[6:7], -v[32:33]
	v_add_f64_e64 v[60:61], v[54:55], -v[28:29]
	s_delay_alu instid0(VALU_DEP_3) | instskip(SKIP_1) | instid1(VALU_DEP_4)
	v_fmamk_f64 v[64:65], v[30:31], 0x3eeba404b5e68a13, v[42:43]
	v_add_f64_e64 v[28:29], v[58:59], -v[28:29]
	v_add_f64_e32 v[58:59], v[56:57], v[6:7]
	s_delay_alu instid0(VALU_DEP_3) | instskip(NEXT) | instid1(VALU_DEP_1)
	v_fmaak_f64 v[64:65], v[30:31], v[64:65], 0x3f4b2bb069efb384
	v_fmaak_f64 v[64:65], v[30:31], v[64:65], 0xbf67952daf56de9b
	v_add_f64_e64 v[32:33], v[52:53], -v[60:61]
	s_delay_alu instid0(VALU_DEP_2) | instskip(NEXT) | instid1(VALU_DEP_1)
	v_fmaak_f64 v[52:53], v[30:31], v[64:65], 0x3f7d6d43a595c56f
	v_fmaak_f64 v[52:53], v[30:31], v[52:53], 0xbf8c6ea4a57d9582
	s_delay_alu instid0(VALU_DEP_1) | instskip(NEXT) | instid1(VALU_DEP_1)
	v_fmaak_f64 v[52:53], v[30:31], v[52:53], 0x3f967e295f08b19f
	v_fmaak_f64 v[52:53], v[30:31], v[52:53], 0xbf9e9ae6fc27006a
	s_delay_alu instid0(VALU_DEP_1) | instskip(SKIP_1) | instid1(VALU_DEP_2)
	v_fmaak_f64 v[52:53], v[30:31], v[52:53], 0x3fa2c15b5711927a
	v_add_f64_e32 v[28:29], v[28:29], v[32:33]
	v_fmaak_f64 v[32:33], v[30:31], v[52:53], 0xbfa59976e82d3ff0
	v_add_f64_e64 v[52:53], v[58:59], -v[56:57]
	s_delay_alu instid0(VALU_DEP_2) | instskip(NEXT) | instid1(VALU_DEP_1)
	v_fmaak_f64 v[32:33], v[30:31], v[32:33], 0x3fa82d5d6ef28734
	v_fmaak_f64 v[32:33], v[30:31], v[32:33], 0xbfaae5ce6a214619
	s_delay_alu instid0(VALU_DEP_1) | instskip(NEXT) | instid1(VALU_DEP_1)
	v_fmaak_f64 v[32:33], v[30:31], v[32:33], 0x3fae1bb48427b883
	v_fmaak_f64 v[32:33], v[30:31], v[32:33], 0xbfb110e48b207f05
	v_add_f64_e32 v[28:29], v[58:59], v[28:29]
	v_add_f64_e64 v[58:59], v[58:59], -v[52:53]
	v_add_f64_e64 v[6:7], v[6:7], -v[52:53]
	s_delay_alu instid0(VALU_DEP_4) | instskip(NEXT) | instid1(VALU_DEP_1)
	v_fmaak_f64 v[32:33], v[30:31], v[32:33], 0x3fb3b13657b87036
	v_fmaak_f64 v[32:33], v[30:31], v[32:33], 0xbfb745d119378e4f
	s_delay_alu instid0(VALU_DEP_1) | instskip(NEXT) | instid1(VALU_DEP_1)
	v_fmaak_f64 v[32:33], v[30:31], v[32:33], 0x3fbc71c717e1913c
	v_fmaak_f64 v[32:33], v[30:31], v[32:33], 0xbfc2492492376b7d
	v_add_f64_e32 v[60:61], v[54:55], v[28:29]
	s_delay_alu instid0(VALU_DEP_2) | instskip(NEXT) | instid1(VALU_DEP_1)
	v_fmaak_f64 v[32:33], v[30:31], v[32:33], 0x3fc99999999952cc
	v_fmaak_f64 v[32:33], v[30:31], v[32:33], 0xbfd5555555555523
	s_delay_alu instid0(VALU_DEP_1) | instskip(SKIP_2) | instid1(VALU_DEP_3)
	v_mul_f64_e32 v[30:31], v[30:31], v[32:33]
	v_add_f64_e64 v[32:33], v[56:57], -v[58:59]
	v_add_f64_e64 v[52:53], v[60:61], -v[54:55]
	v_fmac_f64_e32 v[26:27], v[26:27], v[30:31]
	s_delay_alu instid0(VALU_DEP_3) | instskip(NEXT) | instid1(VALU_DEP_3)
	v_add_f64_e32 v[6:7], v[6:7], v[32:33]
	v_add_f64_e64 v[28:29], v[28:29], -v[52:53]
	s_delay_alu instid0(VALU_DEP_3) | instskip(NEXT) | instid1(VALU_DEP_2)
	v_add_f64_e64 v[30:31], -v[26:27], s[38:39]
	v_add_f64_e32 v[6:7], v[6:7], v[28:29]
	s_delay_alu instid0(VALU_DEP_2) | instskip(SKIP_1) | instid1(VALU_DEP_2)
	v_dual_cndmask_b32 v27, v27, v31, s4 :: v_dual_cndmask_b32 v26, v26, v30, s4
	v_and_b32_e32 v30, 0x54442d18, v4
	v_add_f64_e64 v[28:29], -v[26:27], s[40:41]
	s_delay_alu instid0(VALU_DEP_1) | instskip(NEXT) | instid1(VALU_DEP_2)
	v_dual_add_f64 v[6:7], v[60:61], v[6:7] :: v_dual_cndmask_b32 v26, v26, v28, vcc_lo
	v_cndmask_b32_e32 v4, v27, v29, vcc_lo
	s_and_b32 vcc_lo, s9, s10
	s_delay_alu instid0(VALU_DEP_1) | instskip(NEXT) | instid1(VALU_DEP_1)
	v_dual_cndmask_b32 v14, v26, v30, s5 :: v_dual_cndmask_b32 v3, v4, v3, s5
	v_dual_mul_f64 v[6:7], 0.5, v[6:7] :: v_dual_cndmask_b32 v28, v14, v8, vcc_lo
	s_delay_alu instid0(VALU_DEP_2) | instskip(NEXT) | instid1(VALU_DEP_2)
	v_cndmask_b32_e32 v29, v3, v2, vcc_lo
	v_cndmask_b32_e64 v27, 0x7ff00000, v7, s6
	s_delay_alu instid0(VALU_DEP_3)
	v_cndmask_b32_e64 v26, 0, v6, s6
                                        ; implicit-def: $vgpr6_vgpr7
.LBB167_242:                            ;   in Loop: Header=BB167_145 Depth=1
	s_and_not1_saveexec_b32 s6, s8
	s_cbranch_execz .LBB167_244
; %bb.243:                              ;   in Loop: Header=BB167_145 Depth=1
	v_max_num_f64_e64 v[2:3], |v[16:17]|, |v[16:17]|
	v_max_num_f64_e64 v[26:27], |v[14:15]|, |v[14:15]|
	v_cmp_eq_f64_e64 s5, 0, v[16:17]
	v_cmp_class_f64_e64 s8, v[16:17], 0x204
	v_cmp_class_f64_e64 s9, v[14:15], 0x204
	v_ashrrev_i32_e32 v4, 31, v15
	v_max_num_f64_e32 v[28:29], v[26:27], v[2:3]
	v_min_num_f64_e32 v[2:3], v[26:27], v[2:3]
	s_delay_alu instid0(VALU_DEP_1) | instskip(SKIP_1) | instid1(VALU_DEP_2)
	v_div_scale_f64 v[26:27], null, v[28:29], v[28:29], v[2:3]
	v_div_scale_f64 v[52:53], vcc_lo, v[2:3], v[28:29], v[2:3]
	v_rcp_f64_e32 v[30:31], v[26:27]
	v_nop
	s_delay_alu instid0(TRANS32_DEP_1) | instskip(NEXT) | instid1(VALU_DEP_1)
	v_fma_f64 v[32:33], -v[26:27], v[30:31], 1.0
	v_fmac_f64_e32 v[30:31], v[30:31], v[32:33]
	s_delay_alu instid0(VALU_DEP_1) | instskip(NEXT) | instid1(VALU_DEP_1)
	v_fma_f64 v[32:33], -v[26:27], v[30:31], 1.0
	v_fmac_f64_e32 v[30:31], v[30:31], v[32:33]
	s_delay_alu instid0(VALU_DEP_1) | instskip(NEXT) | instid1(VALU_DEP_1)
	v_mul_f64_e32 v[32:33], v[52:53], v[30:31]
	v_fma_f64 v[26:27], -v[26:27], v[32:33], v[52:53]
	s_delay_alu instid0(VALU_DEP_1)
	v_div_fmas_f64 v[26:27], v[26:27], v[30:31], v[32:33]
	v_cmp_gt_i32_e32 vcc_lo, 0, v15
	v_and_b32_e32 v30, 0x54442d18, v4
	v_and_b32_e32 v4, 0x400921fb, v4
	v_cndmask_b32_e32 v8, 0x54442d18, v68, vcc_lo
	v_div_fixup_f64 v[2:3], v[26:27], v[28:29], v[2:3]
	s_delay_alu instid0(VALU_DEP_1) | instskip(NEXT) | instid1(VALU_DEP_1)
	v_mul_f64_e32 v[26:27], v[2:3], v[2:3]
	v_fmamk_f64 v[28:29], v[26:27], 0x3eeba404b5e68a13, v[42:43]
	s_delay_alu instid0(VALU_DEP_1) | instskip(NEXT) | instid1(VALU_DEP_1)
	v_fmaak_f64 v[28:29], v[26:27], v[28:29], 0x3f4b2bb069efb384
	v_fmaak_f64 v[28:29], v[26:27], v[28:29], 0xbf67952daf56de9b
	s_delay_alu instid0(VALU_DEP_1) | instskip(NEXT) | instid1(VALU_DEP_1)
	v_fmaak_f64 v[28:29], v[26:27], v[28:29], 0x3f7d6d43a595c56f
	v_fmaak_f64 v[28:29], v[26:27], v[28:29], 0xbf8c6ea4a57d9582
	s_delay_alu instid0(VALU_DEP_1) | instskip(NEXT) | instid1(VALU_DEP_1)
	v_fmaak_f64 v[28:29], v[26:27], v[28:29], 0x3f967e295f08b19f
	v_fmaak_f64 v[28:29], v[26:27], v[28:29], 0xbf9e9ae6fc27006a
	s_delay_alu instid0(VALU_DEP_1) | instskip(NEXT) | instid1(VALU_DEP_1)
	v_fmaak_f64 v[28:29], v[26:27], v[28:29], 0x3fa2c15b5711927a
	v_fmaak_f64 v[28:29], v[26:27], v[28:29], 0xbfa59976e82d3ff0
	s_delay_alu instid0(VALU_DEP_1) | instskip(NEXT) | instid1(VALU_DEP_1)
	v_fmaak_f64 v[28:29], v[26:27], v[28:29], 0x3fa82d5d6ef28734
	v_fmaak_f64 v[28:29], v[26:27], v[28:29], 0xbfaae5ce6a214619
	s_delay_alu instid0(VALU_DEP_1) | instskip(NEXT) | instid1(VALU_DEP_1)
	v_fmaak_f64 v[28:29], v[26:27], v[28:29], 0x3fae1bb48427b883
	v_fmaak_f64 v[28:29], v[26:27], v[28:29], 0xbfb110e48b207f05
	s_delay_alu instid0(VALU_DEP_1) | instskip(NEXT) | instid1(VALU_DEP_1)
	v_fmaak_f64 v[28:29], v[26:27], v[28:29], 0x3fb3b13657b87036
	v_fmaak_f64 v[28:29], v[26:27], v[28:29], 0xbfb745d119378e4f
	s_delay_alu instid0(VALU_DEP_1) | instskip(NEXT) | instid1(VALU_DEP_1)
	v_fmaak_f64 v[28:29], v[26:27], v[28:29], 0x3fbc71c717e1913c
	v_fmaak_f64 v[28:29], v[26:27], v[28:29], 0xbfc2492492376b7d
	s_delay_alu instid0(VALU_DEP_1) | instskip(NEXT) | instid1(VALU_DEP_1)
	v_fmaak_f64 v[28:29], v[26:27], v[28:29], 0x3fc99999999952cc
	v_fmaak_f64 v[28:29], v[26:27], v[28:29], 0xbfd5555555555523
	s_delay_alu instid0(VALU_DEP_1) | instskip(NEXT) | instid1(VALU_DEP_1)
	v_mul_f64_e32 v[26:27], v[26:27], v[28:29]
	v_fmac_f64_e32 v[2:3], v[2:3], v[26:27]
	s_delay_alu instid0(VALU_DEP_1) | instskip(NEXT) | instid1(VALU_DEP_1)
	v_add_f64_e64 v[26:27], -v[2:3], s[38:39]
	v_dual_cndmask_b32 v3, v3, v27, s4 :: v_dual_cndmask_b32 v2, v2, v26, s4
	s_delay_alu instid0(VALU_DEP_1) | instskip(NEXT) | instid1(VALU_DEP_1)
	v_add_f64_e64 v[28:29], -v[2:3], s[40:41]
	v_dual_mul_f64 v[26:27], 0.5, v[6:7] :: v_dual_cndmask_b32 v3, v3, v29, vcc_lo
	s_delay_alu instid0(VALU_DEP_1) | instskip(NEXT) | instid1(VALU_DEP_3)
	v_mul_f64_e32 v[26:27], v[6:7], v[26:27]
	v_cndmask_b32_e32 v2, v2, v28, vcc_lo
	v_cndmask_b32_e32 v6, 0x3fe921fb, v69, vcc_lo
	s_and_b32 vcc_lo, s8, s9
	s_delay_alu instid0(VALU_DEP_2) | instskip(NEXT) | instid1(VALU_DEP_2)
	v_dual_cndmask_b32 v3, v3, v4, s5 :: v_dual_cndmask_b32 v2, v2, v30, s5
	v_bfi_b32 v6, 0x7fffffff, v6, v17
	s_delay_alu instid0(VALU_DEP_1)
	v_dual_cndmask_b32 v28, v2, v8 :: v_dual_cndmask_b32 v29, v3, v6
.LBB167_244:                            ;   in Loop: Header=BB167_145 Depth=1
	s_or_b32 exec_lo, exec_lo, s6
.LBB167_245:                            ;   in Loop: Header=BB167_145 Depth=1
	s_delay_alu instid0(SALU_CYCLE_1)
	s_or_b32 exec_lo, exec_lo, s7
.LBB167_246:                            ;   in Loop: Header=BB167_145 Depth=1
	s_and_not1_saveexec_b32 s6, s33
	s_cbranch_execz .LBB167_248
; %bb.247:                              ;   in Loop: Header=BB167_145 Depth=1
	v_div_scale_f64 v[2:3], null, s[46:47], s[46:47], v[14:15]
	v_div_scale_f64 v[6:7], null, s[46:47], s[46:47], v[16:17]
	v_div_scale_f64 v[52:53], vcc_lo, v[14:15], s[46:47], v[14:15]
	s_delay_alu instid0(VALU_DEP_3) | instskip(NEXT) | instid1(VALU_DEP_2)
	v_rcp_f64_e32 v[26:27], v[2:3]
	v_rcp_f64_e32 v[28:29], v[6:7]
	s_delay_alu instid0(TRANS32_DEP_2) | instskip(NEXT) | instid1(TRANS32_DEP_1)
	v_fma_f64 v[30:31], -v[2:3], v[26:27], 1.0
	v_fma_f64 v[32:33], -v[6:7], v[28:29], 1.0
	s_delay_alu instid0(VALU_DEP_2) | instskip(NEXT) | instid1(VALU_DEP_2)
	v_fmac_f64_e32 v[26:27], v[26:27], v[30:31]
	v_fmac_f64_e32 v[28:29], v[28:29], v[32:33]
	s_delay_alu instid0(VALU_DEP_2) | instskip(NEXT) | instid1(VALU_DEP_2)
	v_fma_f64 v[30:31], -v[2:3], v[26:27], 1.0
	v_fma_f64 v[32:33], -v[6:7], v[28:29], 1.0
	s_delay_alu instid0(VALU_DEP_2) | instskip(SKIP_1) | instid1(VALU_DEP_3)
	v_fmac_f64_e32 v[26:27], v[26:27], v[30:31]
	v_div_scale_f64 v[30:31], s5, v[16:17], s[46:47], v[16:17]
	v_fmac_f64_e32 v[28:29], v[28:29], v[32:33]
	s_delay_alu instid0(VALU_DEP_3) | instskip(NEXT) | instid1(VALU_DEP_2)
	v_mul_f64_e32 v[32:33], v[52:53], v[26:27]
	v_mul_f64_e32 v[54:55], v[30:31], v[28:29]
	s_delay_alu instid0(VALU_DEP_2) | instskip(NEXT) | instid1(VALU_DEP_2)
	v_fma_f64 v[2:3], -v[2:3], v[32:33], v[52:53]
	v_fma_f64 v[6:7], -v[6:7], v[54:55], v[30:31]
	s_delay_alu instid0(VALU_DEP_2) | instskip(SKIP_1) | instid1(VALU_DEP_2)
	v_div_fmas_f64 v[2:3], v[2:3], v[26:27], v[32:33]
	s_mov_b32 vcc_lo, s5
	v_div_fmas_f64 v[6:7], v[6:7], v[28:29], v[54:55]
	s_delay_alu instid0(VALU_DEP_2) | instskip(NEXT) | instid1(VALU_DEP_2)
	v_div_fixup_f64 v[2:3], v[2:3], s[46:47], v[14:15]
	v_div_fixup_f64 v[6:7], v[6:7], s[46:47], v[16:17]
	s_delay_alu instid0(VALU_DEP_2) | instskip(NEXT) | instid1(VALU_DEP_2)
	v_cmp_class_f64_e64 s5, v[2:3], 0x204
	v_max_num_f64_e64 v[26:27], |v[2:3]|, |v[6:7]|
	v_cmp_class_f64_e64 s7, v[6:7], 0x204
	s_delay_alu instid0(VALU_DEP_2) | instskip(SKIP_2) | instid1(VALU_DEP_2)
	v_frexp_exp_i32_f64_e32 v4, v[26:27]
	s_or_b32 s5, s7, s5
	v_cmp_class_f64_e64 s7, v[14:15], 0x204
	v_sub_nc_u32_e32 v8, 0, v4
	s_delay_alu instid0(VALU_DEP_1) | instskip(SKIP_1) | instid1(VALU_DEP_2)
	v_ldexp_f64 v[26:27], |v[6:7]|, v8
	v_ldexp_f64 v[28:29], |v[2:3]|, v8
	v_mul_f64_e32 v[26:27], v[26:27], v[26:27]
	s_delay_alu instid0(VALU_DEP_1) | instskip(NEXT) | instid1(VALU_DEP_1)
	v_fmac_f64_e32 v[26:27], v[28:29], v[28:29]
	v_rsq_f64_e32 v[28:29], v[26:27]
	v_cmp_eq_f64_e32 vcc_lo, 0, v[26:27]
	s_delay_alu instid0(TRANS32_DEP_1) | instskip(SKIP_1) | instid1(VALU_DEP_1)
	v_mul_f64_e32 v[30:31], v[26:27], v[28:29]
	v_mul_f64_e32 v[28:29], 0.5, v[28:29]
	v_fma_f64 v[32:33], -v[28:29], v[30:31], 0.5
	s_delay_alu instid0(VALU_DEP_1) | instskip(SKIP_1) | instid1(VALU_DEP_2)
	v_fmac_f64_e32 v[30:31], v[30:31], v[32:33]
	v_fmac_f64_e32 v[28:29], v[28:29], v[32:33]
	v_fma_f64 v[32:33], -v[30:31], v[30:31], v[26:27]
	s_delay_alu instid0(VALU_DEP_1) | instskip(NEXT) | instid1(VALU_DEP_1)
	v_fmac_f64_e32 v[30:31], v[32:33], v[28:29]
	v_dual_cndmask_b32 v27, v31, v27 :: v_dual_cndmask_b32 v26, v30, v26
	v_cmp_o_f64_e32 vcc_lo, v[2:3], v[6:7]
	s_delay_alu instid0(VALU_DEP_2) | instskip(NEXT) | instid1(VALU_DEP_1)
	v_ldexp_f64 v[26:27], v[26:27], v4
	v_cndmask_b32_e32 v2, 0, v26, vcc_lo
	s_delay_alu instid0(VALU_DEP_2) | instskip(NEXT) | instid1(VALU_DEP_2)
	v_cndmask_b32_e32 v3, 0x7ff80000, v27, vcc_lo
	v_cndmask_b32_e64 v2, v2, 0, s5
	s_delay_alu instid0(VALU_DEP_2) | instskip(SKIP_1) | instid1(VALU_DEP_2)
	v_cndmask_b32_e64 v3, v3, 0x7ff00000, s5
	v_cmp_class_f64_e64 s5, v[16:17], 0x204
	v_frexp_mant_f64_e32 v[6:7], v[2:3]
	s_delay_alu instid0(VALU_DEP_1) | instskip(SKIP_1) | instid1(VALU_DEP_1)
	v_cmp_gt_f64_e32 vcc_lo, s[28:29], v[6:7]
	v_cndmask_b32_e64 v4, 0, 1, vcc_lo
	v_ldexp_f64 v[6:7], v[6:7], v4
	v_frexp_exp_i32_f64_e32 v4, v[2:3]
	s_delay_alu instid0(VALU_DEP_2) | instskip(SKIP_1) | instid1(VALU_DEP_3)
	v_add_f64_e32 v[26:27], 1.0, v[6:7]
	v_add_f64_e32 v[32:33], -1.0, v[6:7]
	v_subrev_co_ci_u32_e64 v4, null, 0, v4, vcc_lo
	s_delay_alu instid0(VALU_DEP_3) | instskip(SKIP_1) | instid1(VALU_DEP_1)
	v_rcp_f64_e32 v[28:29], v[26:27]
	v_add_f64_e32 v[52:53], -1.0, v[26:27]
	v_add_f64_e64 v[6:7], v[6:7], -v[52:53]
	s_delay_alu instid0(TRANS32_DEP_1) | instskip(NEXT) | instid1(VALU_DEP_1)
	v_fma_f64 v[30:31], -v[26:27], v[28:29], 1.0
	v_fmac_f64_e32 v[28:29], v[30:31], v[28:29]
	s_delay_alu instid0(VALU_DEP_1) | instskip(NEXT) | instid1(VALU_DEP_1)
	v_fma_f64 v[30:31], -v[26:27], v[28:29], 1.0
	v_fmac_f64_e32 v[28:29], v[30:31], v[28:29]
	s_delay_alu instid0(VALU_DEP_1) | instskip(NEXT) | instid1(VALU_DEP_1)
	v_mul_f64_e32 v[30:31], v[32:33], v[28:29]
	v_mul_f64_e32 v[54:55], v[26:27], v[30:31]
	s_delay_alu instid0(VALU_DEP_1) | instskip(NEXT) | instid1(VALU_DEP_1)
	v_fma_f64 v[26:27], v[30:31], v[26:27], -v[54:55]
	v_fmac_f64_e32 v[26:27], v[30:31], v[6:7]
	s_delay_alu instid0(VALU_DEP_1) | instskip(NEXT) | instid1(VALU_DEP_1)
	v_add_f64_e32 v[6:7], v[54:55], v[26:27]
	v_add_f64_e64 v[52:53], v[32:33], -v[6:7]
	v_add_f64_e64 v[54:55], v[6:7], -v[54:55]
	s_delay_alu instid0(VALU_DEP_2) | instskip(NEXT) | instid1(VALU_DEP_2)
	v_add_f64_e64 v[32:33], v[32:33], -v[52:53]
	v_add_f64_e64 v[26:27], v[54:55], -v[26:27]
	s_delay_alu instid0(VALU_DEP_2) | instskip(SKIP_1) | instid1(VALU_DEP_2)
	v_add_f64_e64 v[6:7], v[32:33], -v[6:7]
	v_max_num_f64_e64 v[32:33], |v[14:15]|, |v[14:15]|
	v_add_f64_e32 v[6:7], v[26:27], v[6:7]
	v_max_num_f64_e64 v[26:27], |v[16:17]|, |v[16:17]|
	s_delay_alu instid0(VALU_DEP_2) | instskip(NEXT) | instid1(VALU_DEP_1)
	v_add_f64_e32 v[6:7], v[52:53], v[6:7]
	v_mul_f64_e32 v[6:7], v[28:29], v[6:7]
	s_delay_alu instid0(VALU_DEP_3) | instskip(SKIP_1) | instid1(VALU_DEP_3)
	v_max_num_f64_e32 v[28:29], v[32:33], v[26:27]
	v_min_num_f64_e32 v[26:27], v[32:33], v[26:27]
	v_add_f64_e32 v[32:33], v[30:31], v[6:7]
	s_delay_alu instid0(VALU_DEP_2) | instskip(NEXT) | instid1(VALU_DEP_2)
	v_div_scale_f64 v[52:53], null, v[28:29], v[28:29], v[26:27]
	v_mul_f64_e32 v[54:55], v[32:33], v[32:33]
	v_add_f64_e64 v[30:31], v[32:33], -v[30:31]
	s_delay_alu instid0(VALU_DEP_3) | instskip(NEXT) | instid1(VALU_DEP_2)
	v_rcp_f64_e32 v[56:57], v[52:53]
	v_fmamk_f64 v[58:59], v[54:55], 0x3fc3ab76bf559e2b, v[40:41]
	v_mul_f64_e32 v[60:61], v[32:33], v[54:55]
	s_delay_alu instid0(VALU_DEP_3) | instskip(NEXT) | instid1(VALU_DEP_3)
	v_add_f64_e64 v[6:7], v[6:7], -v[30:31]
	v_fmaak_f64 v[58:59], v[54:55], v[58:59], 0x3fc7474dd7f4df2e
	s_delay_alu instid0(TRANS32_DEP_1) | instskip(NEXT) | instid1(VALU_DEP_2)
	v_fma_f64 v[62:63], -v[52:53], v[56:57], 1.0
	v_fmaak_f64 v[58:59], v[54:55], v[58:59], 0x3fcc71c016291751
	s_delay_alu instid0(VALU_DEP_1) | instskip(NEXT) | instid1(VALU_DEP_1)
	v_fmaak_f64 v[58:59], v[54:55], v[58:59], 0x3fd249249b27acf1
	v_fmaak_f64 v[58:59], v[54:55], v[58:59], 0x3fd99999998ef7b6
	v_ldexp_f64 v[6:7], v[6:7], 1
	s_delay_alu instid0(VALU_DEP_2) | instskip(SKIP_2) | instid1(VALU_DEP_3)
	v_fmaak_f64 v[54:55], v[54:55], v[58:59], 0x3fe5555555555780
	v_ldexp_f64 v[58:59], v[32:33], 1
	v_fmac_f64_e32 v[56:57], v[56:57], v[62:63]
	v_mul_f64_e32 v[54:55], v[60:61], v[54:55]
	v_cvt_f64_i32_e32 v[60:61], v4
	v_ashrrev_i32_e32 v4, 31, v15
	s_delay_alu instid0(VALU_DEP_4) | instskip(NEXT) | instid1(VALU_DEP_4)
	v_fma_f64 v[62:63], -v[52:53], v[56:57], 1.0
	v_add_f64_e32 v[32:33], v[58:59], v[54:55]
	s_delay_alu instid0(VALU_DEP_4) | instskip(NEXT) | instid1(VALU_DEP_3)
	v_mul_f64_e32 v[64:65], 0x3fe62e42fefa39ef, v[60:61]
	v_fmac_f64_e32 v[56:57], v[56:57], v[62:63]
	s_delay_alu instid0(VALU_DEP_3) | instskip(SKIP_1) | instid1(VALU_DEP_4)
	v_add_f64_e64 v[30:31], v[32:33], -v[58:59]
	v_div_scale_f64 v[58:59], vcc_lo, v[26:27], v[28:29], v[26:27]
	v_fma_f64 v[62:63], v[60:61], s[30:31], -v[64:65]
	s_delay_alu instid0(VALU_DEP_3) | instskip(NEXT) | instid1(VALU_DEP_3)
	v_add_f64_e64 v[30:31], v[54:55], -v[30:31]
	v_mul_f64_e32 v[54:55], v[58:59], v[56:57]
	s_delay_alu instid0(VALU_DEP_3) | instskip(NEXT) | instid1(VALU_DEP_3)
	v_fmac_f64_e32 v[62:63], 0x3c7abc9e3b39803f, v[60:61]
	v_add_f64_e32 v[6:7], v[6:7], v[30:31]
	s_delay_alu instid0(VALU_DEP_3) | instskip(NEXT) | instid1(VALU_DEP_3)
	v_fma_f64 v[30:31], -v[52:53], v[54:55], v[58:59]
	v_add_f64_e32 v[52:53], v[64:65], v[62:63]
	s_delay_alu instid0(VALU_DEP_3) | instskip(NEXT) | instid1(VALU_DEP_3)
	v_add_f64_e32 v[58:59], v[32:33], v[6:7]
	v_div_fmas_f64 v[30:31], v[30:31], v[56:57], v[54:55]
	v_cmp_class_f64_e64 vcc_lo, v[2:3], 0x204
	s_delay_alu instid0(VALU_DEP_4) | instskip(NEXT) | instid1(VALU_DEP_4)
	v_add_f64_e64 v[56:57], v[52:53], -v[64:65]
	v_add_f64_e32 v[54:55], v[52:53], v[58:59]
	s_delay_alu instid0(VALU_DEP_4) | instskip(SKIP_1) | instid1(VALU_DEP_4)
	v_div_fixup_f64 v[26:27], v[30:31], v[28:29], v[26:27]
	v_add_f64_e64 v[32:33], v[58:59], -v[32:33]
	v_add_f64_e64 v[56:57], v[62:63], -v[56:57]
	s_delay_alu instid0(VALU_DEP_4) | instskip(NEXT) | instid1(VALU_DEP_4)
	v_add_f64_e64 v[28:29], v[54:55], -v[52:53]
	v_mul_f64_e32 v[30:31], v[26:27], v[26:27]
	s_delay_alu instid0(VALU_DEP_4) | instskip(NEXT) | instid1(VALU_DEP_3)
	v_add_f64_e64 v[6:7], v[6:7], -v[32:33]
	v_add_f64_e64 v[60:61], v[54:55], -v[28:29]
	s_delay_alu instid0(VALU_DEP_3) | instskip(SKIP_1) | instid1(VALU_DEP_4)
	v_fmamk_f64 v[64:65], v[30:31], 0x3eeba404b5e68a13, v[42:43]
	v_add_f64_e64 v[28:29], v[58:59], -v[28:29]
	v_add_f64_e32 v[58:59], v[56:57], v[6:7]
	s_delay_alu instid0(VALU_DEP_3) | instskip(SKIP_1) | instid1(VALU_DEP_2)
	v_fmaak_f64 v[64:65], v[30:31], v[64:65], 0x3f4b2bb069efb384
	v_add_f64_e64 v[32:33], v[52:53], -v[60:61]
	v_fmaak_f64 v[52:53], v[30:31], v[64:65], 0xbf67952daf56de9b
	s_delay_alu instid0(VALU_DEP_1) | instskip(NEXT) | instid1(VALU_DEP_1)
	v_fmaak_f64 v[52:53], v[30:31], v[52:53], 0x3f7d6d43a595c56f
	v_fmaak_f64 v[52:53], v[30:31], v[52:53], 0xbf8c6ea4a57d9582
	s_delay_alu instid0(VALU_DEP_1) | instskip(SKIP_1) | instid1(VALU_DEP_2)
	v_fmaak_f64 v[52:53], v[30:31], v[52:53], 0x3f967e295f08b19f
	v_add_f64_e32 v[28:29], v[28:29], v[32:33]
	v_fmaak_f64 v[32:33], v[30:31], v[52:53], 0xbf9e9ae6fc27006a
	v_add_f64_e64 v[52:53], v[58:59], -v[56:57]
	s_delay_alu instid0(VALU_DEP_2) | instskip(NEXT) | instid1(VALU_DEP_1)
	v_fmaak_f64 v[32:33], v[30:31], v[32:33], 0x3fa2c15b5711927a
	v_fmaak_f64 v[32:33], v[30:31], v[32:33], 0xbfa59976e82d3ff0
	s_delay_alu instid0(VALU_DEP_1) | instskip(NEXT) | instid1(VALU_DEP_1)
	v_fmaak_f64 v[32:33], v[30:31], v[32:33], 0x3fa82d5d6ef28734
	v_fmaak_f64 v[32:33], v[30:31], v[32:33], 0xbfaae5ce6a214619
	v_add_f64_e32 v[28:29], v[58:59], v[28:29]
	v_add_f64_e64 v[58:59], v[58:59], -v[52:53]
	v_add_f64_e64 v[6:7], v[6:7], -v[52:53]
	s_delay_alu instid0(VALU_DEP_4) | instskip(NEXT) | instid1(VALU_DEP_1)
	v_fmaak_f64 v[32:33], v[30:31], v[32:33], 0x3fae1bb48427b883
	v_fmaak_f64 v[32:33], v[30:31], v[32:33], 0xbfb110e48b207f05
	s_delay_alu instid0(VALU_DEP_1) | instskip(NEXT) | instid1(VALU_DEP_1)
	v_fmaak_f64 v[32:33], v[30:31], v[32:33], 0x3fb3b13657b87036
	v_fmaak_f64 v[32:33], v[30:31], v[32:33], 0xbfb745d119378e4f
	s_delay_alu instid0(VALU_DEP_1) | instskip(SKIP_1) | instid1(VALU_DEP_2)
	v_fmaak_f64 v[32:33], v[30:31], v[32:33], 0x3fbc71c717e1913c
	v_add_f64_e32 v[60:61], v[54:55], v[28:29]
	v_fmaak_f64 v[32:33], v[30:31], v[32:33], 0xbfc2492492376b7d
	s_delay_alu instid0(VALU_DEP_1) | instskip(NEXT) | instid1(VALU_DEP_1)
	v_fmaak_f64 v[32:33], v[30:31], v[32:33], 0x3fc99999999952cc
	v_fmaak_f64 v[32:33], v[30:31], v[32:33], 0xbfd5555555555523
	s_delay_alu instid0(VALU_DEP_1) | instskip(SKIP_2) | instid1(VALU_DEP_3)
	v_mul_f64_e32 v[30:31], v[30:31], v[32:33]
	v_add_f64_e64 v[32:33], v[56:57], -v[58:59]
	v_add_f64_e64 v[52:53], v[60:61], -v[54:55]
	v_fmac_f64_e32 v[26:27], v[26:27], v[30:31]
	s_delay_alu instid0(VALU_DEP_3) | instskip(NEXT) | instid1(VALU_DEP_3)
	v_add_f64_e32 v[6:7], v[6:7], v[32:33]
	v_add_f64_e64 v[28:29], v[28:29], -v[52:53]
	s_delay_alu instid0(VALU_DEP_3) | instskip(NEXT) | instid1(VALU_DEP_2)
	v_add_f64_e64 v[30:31], -v[26:27], s[38:39]
	v_add_f64_e32 v[6:7], v[6:7], v[28:29]
	s_delay_alu instid0(VALU_DEP_2)
	v_dual_cndmask_b32 v27, v27, v31, s4 :: v_dual_cndmask_b32 v26, v26, v30, s4
	v_cmp_gt_i32_e64 s4, 0, v15
	v_and_b32_e32 v30, 0x54442d18, v4
	v_and_b32_e32 v4, 0x400921fb, v4
	v_add_f64_e32 v[6:7], v[60:61], v[6:7]
	v_add_f64_e64 v[28:29], -v[26:27], s[40:41]
	v_cndmask_b32_e64 v8, 0x54442d18, v68, s4
	v_cndmask_b32_e64 v14, 0x3fe921fb, v69, s4
	s_delay_alu instid0(VALU_DEP_1) | instskip(SKIP_4) | instid1(VALU_DEP_4)
	v_bfi_b32 v14, 0x7fffffff, v14, v17
	v_dual_cndmask_b32 v7, v7, v3 :: v_dual_cndmask_b32 v6, v6, v2
	v_cmp_eq_f64_e32 vcc_lo, 0, v[16:17]
	v_dual_cndmask_b32 v26, v26, v28, s4 :: v_dual_cndmask_b32 v15, v27, v29, s4
	v_cmp_nge_f64_e64 s4, 0, v[2:3]
	v_add_f64_e32 v[6:7], 1.0, v[6:7]
	s_delay_alu instid0(VALU_DEP_3) | instskip(SKIP_1) | instid1(VALU_DEP_3)
	v_dual_cndmask_b32 v28, v26, v30, vcc_lo :: v_dual_cndmask_b32 v4, v15, v4, vcc_lo
	v_cmp_ngt_f64_e32 vcc_lo, 0, v[2:3]
	v_cndmask_b32_e64 v26, 0, v6, s4
	v_cmp_neq_f64_e64 s4, 0, v[2:3]
	v_cndmask_b32_e32 v7, 0x7ff80000, v7, vcc_lo
	s_and_b32 vcc_lo, s5, s7
	v_cndmask_b32_e32 v29, v4, v14, vcc_lo
	v_cndmask_b32_e32 v28, v28, v8, vcc_lo
	s_delay_alu instid0(VALU_DEP_3)
	v_cndmask_b32_e64 v27, 0xfff00000, v7, s4
.LBB167_248:                            ;   in Loop: Header=BB167_145 Depth=1
	s_or_b32 exec_lo, exec_lo, s6
.LBB167_249:                            ;   in Loop: Header=BB167_145 Depth=1
	s_and_not1_saveexec_b32 s4, s15
	s_cbranch_execz .LBB167_255
; %bb.250:                              ;   in Loop: Header=BB167_145 Depth=1
	v_cmp_ngt_f64_e64 s5, 0x20000000, |v[14:15]|
	v_cmp_ngt_f64_e64 s6, 0x20000000, |v[16:17]|
                                        ; implicit-def: $vgpr2_vgpr3
	s_or_b32 s5, s6, s5
	s_delay_alu instid0(SALU_CYCLE_1) | instskip(NEXT) | instid1(SALU_CYCLE_1)
	s_and_saveexec_b32 s6, s5
	s_xor_b32 s5, exec_lo, s6
	s_cbranch_execz .LBB167_252
; %bb.251:                              ;   in Loop: Header=BB167_145 Depth=1
	v_mul_f64_e32 v[2:3], v[14:15], v[14:15]
	s_delay_alu instid0(VALU_DEP_1)
	v_fmac_f64_e32 v[2:3], v[16:17], v[16:17]
.LBB167_252:                            ;   in Loop: Header=BB167_145 Depth=1
	s_and_not1_saveexec_b32 s5, s5
	s_cbranch_execz .LBB167_254
; %bb.253:                              ;   in Loop: Header=BB167_145 Depth=1
	v_mul_f64_e32 v[2:3], 4.0, v[14:15]
	v_mul_f64_e32 v[6:7], 4.0, v[16:17]
	s_delay_alu instid0(VALU_DEP_2) | instskip(NEXT) | instid1(VALU_DEP_1)
	v_mul_f64_e32 v[2:3], v[2:3], v[2:3]
	v_fmac_f64_e32 v[2:3], v[6:7], v[6:7]
	s_delay_alu instid0(VALU_DEP_1)
	v_ldexp_f64 v[2:3], v[2:3], -4
.LBB167_254:                            ;   in Loop: Header=BB167_145 Depth=1
	s_or_b32 exec_lo, exec_lo, s5
	s_delay_alu instid0(VALU_DEP_1) | instskip(NEXT) | instid1(VALU_DEP_1)
	v_frexp_mant_f64_e32 v[6:7], v[2:3]
	v_cmp_gt_f64_e32 vcc_lo, s[28:29], v[6:7]
	v_cndmask_b32_e64 v4, 0, 1, vcc_lo
	s_delay_alu instid0(VALU_DEP_1) | instskip(SKIP_1) | instid1(VALU_DEP_2)
	v_ldexp_f64 v[6:7], v[6:7], v4
	v_frexp_exp_i32_f64_e32 v4, v[2:3]
	v_add_f64_e32 v[14:15], 1.0, v[6:7]
	v_add_f64_e32 v[30:31], -1.0, v[6:7]
	s_delay_alu instid0(VALU_DEP_3) | instskip(SKIP_1) | instid1(VALU_DEP_4)
	v_subrev_co_ci_u32_e64 v4, null, 0, v4, vcc_lo
	v_cmp_class_f64_e64 vcc_lo, v[2:3], 0x204
	v_rcp_f64_e32 v[26:27], v[14:15]
	v_add_f64_e32 v[32:33], -1.0, v[14:15]
	s_delay_alu instid0(VALU_DEP_1) | instskip(NEXT) | instid1(TRANS32_DEP_1)
	v_add_f64_e64 v[6:7], v[6:7], -v[32:33]
	v_fma_f64 v[28:29], -v[14:15], v[26:27], 1.0
	s_delay_alu instid0(VALU_DEP_1) | instskip(NEXT) | instid1(VALU_DEP_1)
	v_fmac_f64_e32 v[26:27], v[28:29], v[26:27]
	v_fma_f64 v[28:29], -v[14:15], v[26:27], 1.0
	s_delay_alu instid0(VALU_DEP_1) | instskip(NEXT) | instid1(VALU_DEP_1)
	v_fmac_f64_e32 v[26:27], v[28:29], v[26:27]
	v_mul_f64_e32 v[28:29], v[30:31], v[26:27]
	s_delay_alu instid0(VALU_DEP_1) | instskip(NEXT) | instid1(VALU_DEP_1)
	v_mul_f64_e32 v[52:53], v[14:15], v[28:29]
	v_fma_f64 v[14:15], v[28:29], v[14:15], -v[52:53]
	s_delay_alu instid0(VALU_DEP_1) | instskip(NEXT) | instid1(VALU_DEP_1)
	v_fmac_f64_e32 v[14:15], v[28:29], v[6:7]
	v_add_f64_e32 v[6:7], v[52:53], v[14:15]
	s_delay_alu instid0(VALU_DEP_1) | instskip(SKIP_1) | instid1(VALU_DEP_2)
	v_add_f64_e64 v[32:33], v[30:31], -v[6:7]
	v_add_f64_e64 v[52:53], v[6:7], -v[52:53]
	;; [unrolled: 1-line block ×3, first 2 shown]
	s_delay_alu instid0(VALU_DEP_2) | instskip(NEXT) | instid1(VALU_DEP_2)
	v_add_f64_e64 v[14:15], v[52:53], -v[14:15]
	v_add_f64_e64 v[6:7], v[30:31], -v[6:7]
	s_delay_alu instid0(VALU_DEP_1) | instskip(NEXT) | instid1(VALU_DEP_1)
	v_add_f64_e32 v[6:7], v[14:15], v[6:7]
	v_add_f64_e32 v[6:7], v[32:33], v[6:7]
	s_delay_alu instid0(VALU_DEP_1) | instskip(NEXT) | instid1(VALU_DEP_1)
	v_mul_f64_e32 v[6:7], v[26:27], v[6:7]
	v_add_f64_e32 v[14:15], v[28:29], v[6:7]
	s_delay_alu instid0(VALU_DEP_1) | instskip(NEXT) | instid1(VALU_DEP_1)
	v_mul_f64_e32 v[26:27], v[14:15], v[14:15]
	v_fmamk_f64 v[30:31], v[26:27], 0x3fc3ab76bf559e2b, v[40:41]
	v_mul_f64_e32 v[32:33], v[14:15], v[26:27]
	s_delay_alu instid0(VALU_DEP_2) | instskip(NEXT) | instid1(VALU_DEP_1)
	v_fmaak_f64 v[30:31], v[26:27], v[30:31], 0x3fc7474dd7f4df2e
	v_fmaak_f64 v[30:31], v[26:27], v[30:31], 0x3fcc71c016291751
	s_delay_alu instid0(VALU_DEP_1) | instskip(NEXT) | instid1(VALU_DEP_1)
	v_fmaak_f64 v[30:31], v[26:27], v[30:31], 0x3fd249249b27acf1
	v_fmaak_f64 v[30:31], v[26:27], v[30:31], 0x3fd99999998ef7b6
	s_delay_alu instid0(VALU_DEP_1) | instskip(SKIP_2) | instid1(VALU_DEP_3)
	v_fmaak_f64 v[26:27], v[26:27], v[30:31], 0x3fe5555555555780
	v_ldexp_f64 v[30:31], v[14:15], 1
	v_add_f64_e64 v[14:15], v[14:15], -v[28:29]
	v_mul_f64_e32 v[26:27], v[32:33], v[26:27]
	v_cvt_f64_i32_e32 v[32:33], v4
	s_delay_alu instid0(VALU_DEP_3) | instskip(NEXT) | instid1(VALU_DEP_3)
	v_add_f64_e64 v[6:7], v[6:7], -v[14:15]
	v_add_f64_e32 v[28:29], v[30:31], v[26:27]
	s_delay_alu instid0(VALU_DEP_3) | instskip(NEXT) | instid1(VALU_DEP_3)
	v_mul_f64_e32 v[52:53], 0x3fe62e42fefa39ef, v[32:33]
	v_ldexp_f64 v[6:7], v[6:7], 1
	s_delay_alu instid0(VALU_DEP_3) | instskip(NEXT) | instid1(VALU_DEP_3)
	v_add_f64_e64 v[14:15], v[28:29], -v[30:31]
	v_fma_f64 v[30:31], v[32:33], s[30:31], -v[52:53]
	s_delay_alu instid0(VALU_DEP_2) | instskip(NEXT) | instid1(VALU_DEP_2)
	v_add_f64_e64 v[14:15], v[26:27], -v[14:15]
	v_fmac_f64_e32 v[30:31], 0x3c7abc9e3b39803f, v[32:33]
	s_delay_alu instid0(VALU_DEP_2) | instskip(NEXT) | instid1(VALU_DEP_2)
	v_add_f64_e32 v[6:7], v[6:7], v[14:15]
	v_add_f64_e32 v[14:15], v[52:53], v[30:31]
	s_delay_alu instid0(VALU_DEP_2) | instskip(NEXT) | instid1(VALU_DEP_2)
	v_add_f64_e32 v[26:27], v[28:29], v[6:7]
	v_add_f64_e64 v[52:53], v[14:15], -v[52:53]
	s_delay_alu instid0(VALU_DEP_2) | instskip(SKIP_1) | instid1(VALU_DEP_3)
	v_add_f64_e32 v[32:33], v[14:15], v[26:27]
	v_add_f64_e64 v[28:29], v[26:27], -v[28:29]
	v_add_f64_e64 v[30:31], v[30:31], -v[52:53]
	s_delay_alu instid0(VALU_DEP_3) | instskip(NEXT) | instid1(VALU_DEP_3)
	v_add_f64_e64 v[54:55], v[32:33], -v[14:15]
	v_add_f64_e64 v[6:7], v[6:7], -v[28:29]
	s_delay_alu instid0(VALU_DEP_2) | instskip(SKIP_1) | instid1(VALU_DEP_3)
	v_add_f64_e64 v[56:57], v[32:33], -v[54:55]
	v_add_f64_e64 v[26:27], v[26:27], -v[54:55]
	v_add_f64_e32 v[28:29], v[30:31], v[6:7]
	s_delay_alu instid0(VALU_DEP_3) | instskip(NEXT) | instid1(VALU_DEP_1)
	v_add_f64_e64 v[14:15], v[14:15], -v[56:57]
	v_add_f64_e32 v[14:15], v[26:27], v[14:15]
	s_delay_alu instid0(VALU_DEP_3) | instskip(NEXT) | instid1(VALU_DEP_2)
	v_add_f64_e64 v[26:27], v[28:29], -v[30:31]
	v_add_f64_e32 v[14:15], v[28:29], v[14:15]
	s_delay_alu instid0(VALU_DEP_2) | instskip(SKIP_1) | instid1(VALU_DEP_3)
	v_add_f64_e64 v[28:29], v[28:29], -v[26:27]
	v_add_f64_e64 v[6:7], v[6:7], -v[26:27]
	v_add_f64_e32 v[52:53], v[32:33], v[14:15]
	s_delay_alu instid0(VALU_DEP_3) | instskip(NEXT) | instid1(VALU_DEP_2)
	v_add_f64_e64 v[26:27], v[30:31], -v[28:29]
	v_add_f64_e64 v[28:29], v[52:53], -v[32:33]
	s_delay_alu instid0(VALU_DEP_2) | instskip(NEXT) | instid1(VALU_DEP_2)
	v_add_f64_e32 v[6:7], v[6:7], v[26:27]
	v_add_f64_e64 v[14:15], v[14:15], -v[28:29]
	v_mov_b64_e32 v[28:29], 0x7ff8000000000000
	s_delay_alu instid0(VALU_DEP_2) | instskip(NEXT) | instid1(VALU_DEP_1)
	v_add_f64_e32 v[6:7], v[6:7], v[14:15]
	v_add_f64_e32 v[6:7], v[52:53], v[6:7]
	s_delay_alu instid0(VALU_DEP_1) | instskip(SKIP_1) | instid1(VALU_DEP_2)
	v_dual_cndmask_b32 v4, v6, v2, vcc_lo :: v_dual_cndmask_b32 v6, v7, v3, vcc_lo
	v_cmp_ngt_f64_e32 vcc_lo, 0, v[2:3]
	v_cndmask_b32_e32 v6, 0x7ff80000, v6, vcc_lo
	v_cmp_nge_f64_e32 vcc_lo, 0, v[2:3]
	s_delay_alu instid0(VALU_DEP_4) | instskip(SKIP_1) | instid1(VALU_DEP_4)
	v_cndmask_b32_e32 v26, 0, v4, vcc_lo
	v_cmp_neq_f64_e32 vcc_lo, 0, v[2:3]
	v_cndmask_b32_e32 v27, 0xfff00000, v6, vcc_lo
.LBB167_255:                            ;   in Loop: Header=BB167_145 Depth=1
	s_or_b32 exec_lo, exec_lo, s4
                                        ; implicit-def: $vgpr30_vgpr31
	s_delay_alu instid0(SALU_CYCLE_1)
	s_mov_b32 s4, exec_lo
	v_cmpx_o_f64_e32 v[10:11], v[12:13]
	s_xor_b32 s15, exec_lo, s4
	s_cbranch_execnz .LBB167_261
; %bb.256:                              ;   in Loop: Header=BB167_145 Depth=1
	s_and_not1_saveexec_b32 s4, s15
	s_cbranch_execnz .LBB167_288
.LBB167_257:                            ;   in Loop: Header=BB167_145 Depth=1
	s_or_b32 exec_lo, exec_lo, s4
	s_and_saveexec_b32 s4, s0
	s_delay_alu instid0(SALU_CYCLE_1)
	s_xor_b32 s0, exec_lo, s4
	s_cbranch_execnz .LBB167_293
.LBB167_258:                            ;   in Loop: Header=BB167_145 Depth=1
	s_or_b32 exec_lo, exec_lo, s0
	s_and_saveexec_b32 s0, s1
	s_cbranch_execnz .LBB167_294
.LBB167_259:                            ;   in Loop: Header=BB167_145 Depth=1
	s_or_b32 exec_lo, exec_lo, s0
	s_and_saveexec_b32 s0, s2
	s_cbranch_execnz .LBB167_295
.LBB167_260:                            ;   in Loop: Header=BB167_145 Depth=1
	s_or_b32 exec_lo, exec_lo, s0
	s_and_saveexec_b32 s0, s3
	s_cbranch_execz .LBB167_144
	s_branch .LBB167_296
.LBB167_261:                            ;   in Loop: Header=BB167_145 Depth=1
	v_cmp_lt_f64_e64 s4, |v[10:11]|, |v[12:13]|
	v_and_b32_e32 v4, 0x7fffffff, v11
	v_and_b32_e32 v3, 0x7fffffff, v13
	v_mov_b32_e32 v2, v12
                                        ; implicit-def: $vgpr30_vgpr31
	s_mov_b32 s5, exec_lo
	s_delay_alu instid0(VALU_DEP_2) | instskip(NEXT) | instid1(VALU_DEP_1)
	v_dual_cndmask_b32 v7, v3, v4, s4 :: v_dual_cndmask_b32 v6, v12, v10, s4
	v_cmpx_nlt_f64_e32 s[22:23], v[6:7]
	s_xor_b32 s33, exec_lo, s5
	s_cbranch_execz .LBB167_285
; %bb.262:                              ;   in Loop: Header=BB167_145 Depth=1
	v_dual_cndmask_b32 v15, v4, v3, s4 :: v_dual_cndmask_b32 v14, v10, v2, s4
                                        ; implicit-def: $vgpr30_vgpr31
	s_mov_b32 s5, exec_lo
	s_delay_alu instid0(VALU_DEP_1)
	v_cmpx_neq_f64_e32 1.0, v[14:15]
	s_xor_b32 s52, exec_lo, s5
	s_cbranch_execz .LBB167_278
; %bb.263:                              ;   in Loop: Header=BB167_145 Depth=1
	v_max_num_f64_e32 v[2:3], v[6:7], v[6:7]
	v_max_num_f64_e32 v[30:31], v[14:15], v[14:15]
	s_delay_alu instid0(VALU_DEP_1) | instskip(SKIP_1) | instid1(VALU_DEP_2)
	v_min_num_f64_e32 v[32:33], v[30:31], v[2:3]
	v_max_num_f64_e32 v[2:3], v[30:31], v[2:3]
	v_cmp_ngt_f64_e32 vcc_lo, s[24:25], v[32:33]
	s_delay_alu instid0(VALU_DEP_2) | instskip(SKIP_1) | instid1(SALU_CYCLE_1)
	v_cmp_nlt_f64_e64 s5, s[26:27], v[2:3]
                                        ; implicit-def: $vgpr30_vgpr31
	s_and_b32 s5, s5, vcc_lo
	s_and_saveexec_b32 s6, s5
	s_delay_alu instid0(SALU_CYCLE_1)
	s_xor_b32 s53, exec_lo, s6
	s_cbranch_execz .LBB167_275
; %bb.264:                              ;   in Loop: Header=BB167_145 Depth=1
                                        ; implicit-def: $vgpr30_vgpr31
	s_mov_b32 s5, exec_lo
	v_cmpx_le_f64_e32 1.0, v[14:15]
	s_xor_b32 s8, exec_lo, s5
	s_cbranch_execz .LBB167_266
; %bb.265:                              ;   in Loop: Header=BB167_145 Depth=1
	v_add_f64_e32 v[2:3], -1.0, v[14:15]
	v_cmp_eq_f64_e64 s5, 0, v[12:13]
	v_add_f64_e32 v[14:15], 1.0, v[14:15]
	v_cmp_class_f64_e64 s10, v[10:11], 0x204
	v_cmp_class_f64_e64 s9, v[12:13], 0x204
	s_delay_alu instid0(VALU_DEP_3) | instskip(NEXT) | instid1(VALU_DEP_1)
	v_mul_f64_e32 v[2:3], v[2:3], v[14:15]
	v_fmac_f64_e32 v[2:3], v[6:7], v[6:7]
	s_delay_alu instid0(VALU_DEP_1) | instskip(SKIP_2) | instid1(VALU_DEP_3)
	v_add_f64_e32 v[6:7], 1.0, v[2:3]
	v_cmp_nge_f64_e64 s6, -1.0, v[2:3]
	v_cmp_neq_f64_e64 s7, 0x7ff00000, v[2:3]
	v_frexp_mant_f64_e32 v[14:15], v[6:7]
	v_frexp_exp_i32_f64_e32 v4, v[6:7]
	v_add_f64_e32 v[30:31], -1.0, v[6:7]
	s_delay_alu instid0(VALU_DEP_3) | instskip(NEXT) | instid1(VALU_DEP_2)
	v_cmp_gt_f64_e32 vcc_lo, s[28:29], v[14:15]
	v_add_f64_e64 v[14:15], v[30:31], -v[6:7]
	v_add_f64_e64 v[30:31], v[2:3], -v[30:31]
	v_subrev_co_ci_u32_e64 v4, null, 0, v4, vcc_lo
	s_delay_alu instid0(VALU_DEP_1) | instskip(NEXT) | instid1(VALU_DEP_1)
	v_dual_add_f64 v[14:15], 1.0, v[14:15] :: v_dual_sub_nc_u32 v8, 0, v4
	v_ldexp_f64 v[6:7], v[6:7], v8
	s_delay_alu instid0(VALU_DEP_2) | instskip(NEXT) | instid1(VALU_DEP_2)
	v_add_f64_e32 v[14:15], v[30:31], v[14:15]
	v_add_f64_e32 v[32:33], 1.0, v[6:7]
	v_add_f64_e32 v[56:57], -1.0, v[6:7]
	s_delay_alu instid0(VALU_DEP_3) | instskip(NEXT) | instid1(VALU_DEP_3)
	v_ldexp_f64 v[14:15], v[14:15], v8
	v_add_f64_e32 v[30:31], -1.0, v[32:33]
	s_delay_alu instid0(VALU_DEP_3) | instskip(NEXT) | instid1(VALU_DEP_2)
	v_add_f64_e32 v[58:59], 1.0, v[56:57]
	v_add_f64_e64 v[30:31], v[6:7], -v[30:31]
	s_delay_alu instid0(VALU_DEP_2) | instskip(NEXT) | instid1(VALU_DEP_2)
	v_add_f64_e64 v[6:7], v[6:7], -v[58:59]
	v_add_f64_e32 v[30:31], v[14:15], v[30:31]
	s_delay_alu instid0(VALU_DEP_2) | instskip(NEXT) | instid1(VALU_DEP_2)
	v_add_f64_e32 v[6:7], v[14:15], v[6:7]
	v_add_f64_e32 v[52:53], v[32:33], v[30:31]
	s_delay_alu instid0(VALU_DEP_2) | instskip(NEXT) | instid1(VALU_DEP_2)
	v_add_f64_e32 v[58:59], v[56:57], v[6:7]
	v_rcp_f64_e32 v[54:55], v[52:53]
	v_add_f64_e64 v[32:33], v[52:53], -v[32:33]
	s_delay_alu instid0(VALU_DEP_2) | instskip(NEXT) | instid1(VALU_DEP_2)
	v_add_f64_e64 v[56:57], v[58:59], -v[56:57]
	v_add_f64_e64 v[30:31], v[30:31], -v[32:33]
	s_delay_alu instid0(VALU_DEP_2) | instskip(NEXT) | instid1(TRANS32_DEP_1)
	v_add_f64_e64 v[6:7], v[6:7], -v[56:57]
	v_fma_f64 v[60:61], -v[52:53], v[54:55], 1.0
	s_delay_alu instid0(VALU_DEP_1) | instskip(NEXT) | instid1(VALU_DEP_1)
	v_fmac_f64_e32 v[54:55], v[60:61], v[54:55]
	v_fma_f64 v[14:15], -v[52:53], v[54:55], 1.0
	s_delay_alu instid0(VALU_DEP_1) | instskip(NEXT) | instid1(VALU_DEP_1)
	v_fmac_f64_e32 v[54:55], v[14:15], v[54:55]
	v_mul_f64_e32 v[14:15], v[58:59], v[54:55]
	s_delay_alu instid0(VALU_DEP_1) | instskip(NEXT) | instid1(VALU_DEP_1)
	v_mul_f64_e32 v[60:61], v[52:53], v[14:15]
	v_fma_f64 v[32:33], v[14:15], v[52:53], -v[60:61]
	s_delay_alu instid0(VALU_DEP_1) | instskip(NEXT) | instid1(VALU_DEP_1)
	v_fmac_f64_e32 v[32:33], v[14:15], v[30:31]
	v_add_f64_e32 v[62:63], v[60:61], v[32:33]
	s_delay_alu instid0(VALU_DEP_1) | instskip(SKIP_1) | instid1(VALU_DEP_2)
	v_add_f64_e64 v[64:65], v[58:59], -v[62:63]
	v_add_f64_e64 v[56:57], v[62:63], -v[60:61]
	;; [unrolled: 1-line block ×3, first 2 shown]
	s_delay_alu instid0(VALU_DEP_2) | instskip(NEXT) | instid1(VALU_DEP_2)
	v_add_f64_e64 v[32:33], v[56:57], -v[32:33]
	v_add_f64_e64 v[58:59], v[58:59], -v[62:63]
	s_delay_alu instid0(VALU_DEP_1) | instskip(NEXT) | instid1(VALU_DEP_1)
	v_add_f64_e32 v[6:7], v[6:7], v[58:59]
	v_add_f64_e32 v[6:7], v[32:33], v[6:7]
	s_delay_alu instid0(VALU_DEP_1) | instskip(NEXT) | instid1(VALU_DEP_1)
	v_add_f64_e32 v[32:33], v[64:65], v[6:7]
	v_mul_f64_e32 v[56:57], v[54:55], v[32:33]
	v_add_f64_e64 v[62:63], v[64:65], -v[32:33]
	s_delay_alu instid0(VALU_DEP_2) | instskip(NEXT) | instid1(VALU_DEP_2)
	v_mul_f64_e32 v[58:59], v[52:53], v[56:57]
	v_add_f64_e32 v[6:7], v[6:7], v[62:63]
	s_delay_alu instid0(VALU_DEP_2) | instskip(NEXT) | instid1(VALU_DEP_1)
	v_fma_f64 v[52:53], v[56:57], v[52:53], -v[58:59]
	v_fmac_f64_e32 v[52:53], v[56:57], v[30:31]
	s_delay_alu instid0(VALU_DEP_1) | instskip(NEXT) | instid1(VALU_DEP_1)
	v_add_f64_e32 v[30:31], v[58:59], v[52:53]
	v_add_f64_e64 v[60:61], v[32:33], -v[30:31]
	v_add_f64_e64 v[58:59], v[30:31], -v[58:59]
	s_delay_alu instid0(VALU_DEP_2) | instskip(NEXT) | instid1(VALU_DEP_1)
	v_add_f64_e64 v[32:33], v[32:33], -v[60:61]
	v_add_f64_e64 v[30:31], v[32:33], -v[30:31]
	s_delay_alu instid0(VALU_DEP_3) | instskip(SKIP_1) | instid1(VALU_DEP_3)
	v_add_f64_e64 v[32:33], v[58:59], -v[52:53]
	v_max_num_f64_e64 v[52:53], |v[10:11]|, |v[10:11]|
	v_add_f64_e32 v[6:7], v[6:7], v[30:31]
	v_add_f64_e32 v[30:31], v[14:15], v[56:57]
	s_delay_alu instid0(VALU_DEP_2) | instskip(NEXT) | instid1(VALU_DEP_2)
	v_add_f64_e32 v[6:7], v[32:33], v[6:7]
	v_add_f64_e64 v[14:15], v[30:31], -v[14:15]
	v_max_num_f64_e64 v[32:33], |v[12:13]|, |v[12:13]|
	s_delay_alu instid0(VALU_DEP_3) | instskip(NEXT) | instid1(VALU_DEP_3)
	v_add_f64_e32 v[6:7], v[60:61], v[6:7]
	v_add_f64_e64 v[14:15], v[56:57], -v[14:15]
	s_delay_alu instid0(VALU_DEP_2) | instskip(NEXT) | instid1(VALU_DEP_1)
	v_mul_f64_e32 v[6:7], v[54:55], v[6:7]
	v_add_f64_e32 v[6:7], v[14:15], v[6:7]
	v_max_num_f64_e32 v[14:15], v[52:53], v[32:33]
	v_min_num_f64_e32 v[32:33], v[52:53], v[32:33]
	s_delay_alu instid0(VALU_DEP_3) | instskip(NEXT) | instid1(VALU_DEP_2)
	v_add_f64_e32 v[52:53], v[30:31], v[6:7]
	v_div_scale_f64 v[54:55], null, v[14:15], v[14:15], v[32:33]
	s_delay_alu instid0(VALU_DEP_2) | instskip(SKIP_1) | instid1(VALU_DEP_3)
	v_mul_f64_e32 v[56:57], v[52:53], v[52:53]
	v_add_f64_e64 v[30:31], v[52:53], -v[30:31]
	v_rcp_f64_e32 v[58:59], v[54:55]
	s_delay_alu instid0(VALU_DEP_2) | instskip(SKIP_1) | instid1(VALU_DEP_3)
	v_fmamk_f64 v[60:61], v[56:57], 0x3fc3ab76bf559e2b, v[40:41]
	v_mul_f64_e32 v[62:63], v[52:53], v[56:57]
	v_add_f64_e64 v[6:7], v[6:7], -v[30:31]
	s_delay_alu instid0(VALU_DEP_3) | instskip(NEXT) | instid1(TRANS32_DEP_1)
	v_fmaak_f64 v[60:61], v[56:57], v[60:61], 0x3fc7474dd7f4df2e
	v_fma_f64 v[64:65], -v[54:55], v[58:59], 1.0
	s_delay_alu instid0(VALU_DEP_2) | instskip(NEXT) | instid1(VALU_DEP_1)
	v_fmaak_f64 v[60:61], v[56:57], v[60:61], 0x3fcc71c016291751
	v_fmaak_f64 v[60:61], v[56:57], v[60:61], 0x3fd249249b27acf1
	s_delay_alu instid0(VALU_DEP_1) | instskip(SKIP_1) | instid1(VALU_DEP_2)
	v_fmaak_f64 v[60:61], v[56:57], v[60:61], 0x3fd99999998ef7b6
	v_ldexp_f64 v[6:7], v[6:7], 1
	v_fmaak_f64 v[56:57], v[56:57], v[60:61], 0x3fe5555555555780
	v_ldexp_f64 v[60:61], v[52:53], 1
	v_fmac_f64_e32 v[58:59], v[58:59], v[64:65]
	s_delay_alu instid0(VALU_DEP_3) | instskip(SKIP_2) | instid1(VALU_DEP_1)
	v_mul_f64_e32 v[56:57], v[62:63], v[56:57]
	v_cvt_f64_i32_e32 v[62:63], v4
	v_ashrrev_i32_e32 v4, 31, v11
	v_and_b32_e32 v16, 0x54442d18, v4
	v_and_b32_e32 v4, 0x400921fb, v4
	v_fma_f64 v[64:65], -v[54:55], v[58:59], 1.0
	v_add_f64_e32 v[52:53], v[60:61], v[56:57]
	v_mul_f64_e32 v[66:67], 0x3fe62e42fefa39ef, v[62:63]
	s_delay_alu instid0(VALU_DEP_3) | instskip(NEXT) | instid1(VALU_DEP_3)
	v_fmac_f64_e32 v[58:59], v[58:59], v[64:65]
	v_add_f64_e64 v[30:31], v[52:53], -v[60:61]
	v_div_scale_f64 v[60:61], vcc_lo, v[32:33], v[14:15], v[32:33]
	s_delay_alu instid0(VALU_DEP_4) | instskip(NEXT) | instid1(VALU_DEP_3)
	v_fma_f64 v[64:65], v[62:63], s[30:31], -v[66:67]
	v_add_f64_e64 v[30:31], v[56:57], -v[30:31]
	s_delay_alu instid0(VALU_DEP_3) | instskip(NEXT) | instid1(VALU_DEP_3)
	v_mul_f64_e32 v[56:57], v[60:61], v[58:59]
	v_fmac_f64_e32 v[64:65], 0x3c7abc9e3b39803f, v[62:63]
	s_delay_alu instid0(VALU_DEP_3) | instskip(NEXT) | instid1(VALU_DEP_3)
	v_add_f64_e32 v[6:7], v[6:7], v[30:31]
	v_fma_f64 v[30:31], -v[54:55], v[56:57], v[60:61]
	s_delay_alu instid0(VALU_DEP_3) | instskip(NEXT) | instid1(VALU_DEP_3)
	v_add_f64_e32 v[54:55], v[66:67], v[64:65]
	v_add_f64_e32 v[60:61], v[52:53], v[6:7]
	s_delay_alu instid0(VALU_DEP_3) | instskip(SKIP_1) | instid1(VALU_DEP_4)
	v_div_fmas_f64 v[30:31], v[30:31], v[58:59], v[56:57]
	v_cmp_gt_i32_e32 vcc_lo, 0, v11
	v_add_f64_e64 v[58:59], v[54:55], -v[66:67]
	v_cndmask_b32_e32 v8, 0x54442d18, v68, vcc_lo
	v_cndmask_b32_e32 v10, 0x3fe921fb, v69, vcc_lo
	s_delay_alu instid0(VALU_DEP_1) | instskip(SKIP_4) | instid1(VALU_DEP_4)
	v_bfi_b32 v10, 0x7fffffff, v10, v13
	v_add_f64_e32 v[56:57], v[54:55], v[60:61]
	v_div_fixup_f64 v[14:15], v[30:31], v[14:15], v[32:33]
	v_add_f64_e64 v[52:53], v[60:61], -v[52:53]
	v_add_f64_e64 v[58:59], v[64:65], -v[58:59]
	;; [unrolled: 1-line block ×3, first 2 shown]
	s_delay_alu instid0(VALU_DEP_4) | instskip(NEXT) | instid1(VALU_DEP_4)
	v_mul_f64_e32 v[32:33], v[14:15], v[14:15]
	v_add_f64_e64 v[6:7], v[6:7], -v[52:53]
	s_delay_alu instid0(VALU_DEP_3) | instskip(NEXT) | instid1(VALU_DEP_3)
	v_add_f64_e64 v[62:63], v[56:57], -v[30:31]
	v_fmamk_f64 v[66:67], v[32:33], 0x3eeba404b5e68a13, v[42:43]
	v_add_f64_e64 v[30:31], v[60:61], -v[30:31]
	s_delay_alu instid0(VALU_DEP_4) | instskip(NEXT) | instid1(VALU_DEP_3)
	v_add_f64_e32 v[60:61], v[58:59], v[6:7]
	v_fmaak_f64 v[66:67], v[32:33], v[66:67], 0x3f4b2bb069efb384
	v_add_f64_e64 v[52:53], v[54:55], -v[62:63]
	s_delay_alu instid0(VALU_DEP_2) | instskip(NEXT) | instid1(VALU_DEP_1)
	v_fmaak_f64 v[54:55], v[32:33], v[66:67], 0xbf67952daf56de9b
	v_fmaak_f64 v[54:55], v[32:33], v[54:55], 0x3f7d6d43a595c56f
	s_delay_alu instid0(VALU_DEP_1) | instskip(NEXT) | instid1(VALU_DEP_1)
	v_fmaak_f64 v[54:55], v[32:33], v[54:55], 0xbf8c6ea4a57d9582
	v_fmaak_f64 v[54:55], v[32:33], v[54:55], 0x3f967e295f08b19f
	s_delay_alu instid0(VALU_DEP_1) | instskip(SKIP_1) | instid1(VALU_DEP_2)
	v_fmaak_f64 v[54:55], v[32:33], v[54:55], 0xbf9e9ae6fc27006a
	v_add_f64_e32 v[30:31], v[30:31], v[52:53]
	v_fmaak_f64 v[52:53], v[32:33], v[54:55], 0x3fa2c15b5711927a
	v_add_f64_e64 v[54:55], v[60:61], -v[58:59]
	s_delay_alu instid0(VALU_DEP_2) | instskip(NEXT) | instid1(VALU_DEP_1)
	v_fmaak_f64 v[52:53], v[32:33], v[52:53], 0xbfa59976e82d3ff0
	v_fmaak_f64 v[52:53], v[32:33], v[52:53], 0x3fa82d5d6ef28734
	s_delay_alu instid0(VALU_DEP_1) | instskip(NEXT) | instid1(VALU_DEP_1)
	v_fmaak_f64 v[52:53], v[32:33], v[52:53], 0xbfaae5ce6a214619
	v_fmaak_f64 v[52:53], v[32:33], v[52:53], 0x3fae1bb48427b883
	v_add_f64_e32 v[30:31], v[60:61], v[30:31]
	v_add_f64_e64 v[60:61], v[60:61], -v[54:55]
	v_add_f64_e64 v[6:7], v[6:7], -v[54:55]
	s_delay_alu instid0(VALU_DEP_4) | instskip(NEXT) | instid1(VALU_DEP_1)
	v_fmaak_f64 v[52:53], v[32:33], v[52:53], 0xbfb110e48b207f05
	v_fmaak_f64 v[52:53], v[32:33], v[52:53], 0x3fb3b13657b87036
	s_delay_alu instid0(VALU_DEP_1) | instskip(NEXT) | instid1(VALU_DEP_1)
	v_fmaak_f64 v[52:53], v[32:33], v[52:53], 0xbfb745d119378e4f
	v_fmaak_f64 v[52:53], v[32:33], v[52:53], 0x3fbc71c717e1913c
	v_add_f64_e32 v[62:63], v[56:57], v[30:31]
	s_delay_alu instid0(VALU_DEP_2) | instskip(NEXT) | instid1(VALU_DEP_1)
	v_fmaak_f64 v[52:53], v[32:33], v[52:53], 0xbfc2492492376b7d
	v_fmaak_f64 v[52:53], v[32:33], v[52:53], 0x3fc99999999952cc
	s_delay_alu instid0(VALU_DEP_1) | instskip(NEXT) | instid1(VALU_DEP_1)
	v_fmaak_f64 v[52:53], v[32:33], v[52:53], 0xbfd5555555555523
	v_mul_f64_e32 v[32:33], v[32:33], v[52:53]
	v_add_f64_e64 v[52:53], v[58:59], -v[60:61]
	v_add_f64_e64 v[54:55], v[62:63], -v[56:57]
	s_delay_alu instid0(VALU_DEP_3) | instskip(NEXT) | instid1(VALU_DEP_3)
	v_fmac_f64_e32 v[14:15], v[14:15], v[32:33]
	v_add_f64_e32 v[6:7], v[6:7], v[52:53]
	s_delay_alu instid0(VALU_DEP_3) | instskip(NEXT) | instid1(VALU_DEP_3)
	v_add_f64_e64 v[30:31], v[30:31], -v[54:55]
	v_add_f64_e64 v[32:33], -v[14:15], s[38:39]
	s_delay_alu instid0(VALU_DEP_2) | instskip(NEXT) | instid1(VALU_DEP_2)
	v_add_f64_e32 v[6:7], v[6:7], v[30:31]
	v_dual_cndmask_b32 v15, v15, v33, s4 :: v_dual_cndmask_b32 v14, v14, v32, s4
	s_delay_alu instid0(VALU_DEP_1) | instskip(NEXT) | instid1(VALU_DEP_3)
	v_add_f64_e64 v[30:31], -v[14:15], s[40:41]
	v_add_f64_e32 v[6:7], v[62:63], v[6:7]
	s_delay_alu instid0(VALU_DEP_2) | instskip(SKIP_1) | instid1(VALU_DEP_2)
	v_dual_cndmask_b32 v14, v14, v30 :: v_dual_cndmask_b32 v11, v15, v31
	v_cmp_ngt_f64_e32 vcc_lo, -1.0, v[2:3]
	v_dual_mul_f64 v[6:7], 0.5, v[6:7] :: v_dual_cndmask_b32 v14, v14, v16, s5
	s_delay_alu instid0(VALU_DEP_3)
	v_cndmask_b32_e64 v4, v11, v4, s5
	s_and_b32 s5, s6, s7
	s_delay_alu instid0(VALU_DEP_2) | instid1(SALU_CYCLE_1)
	v_cndmask_b32_e64 v30, 0, v6, s5
	v_cmp_neq_f64_e64 s5, -1.0, v[2:3]
	s_delay_alu instid0(VALU_DEP_4) | instskip(NEXT) | instid1(VALU_DEP_1)
	v_cndmask_b32_e64 v7, 0x7ff00000, v7, s7
	v_cndmask_b32_e32 v7, 0x7ff80000, v7, vcc_lo
	s_and_b32 vcc_lo, s9, s10
	v_dual_cndmask_b32 v33, v4, v10 :: v_dual_cndmask_b32 v32, v14, v8
                                        ; implicit-def: $vgpr14_vgpr15
	s_delay_alu instid0(VALU_DEP_2)
	v_cndmask_b32_e64 v31, 0xfff00000, v7, s5
                                        ; implicit-def: $vgpr6_vgpr7
.LBB167_266:                            ;   in Loop: Header=BB167_145 Depth=1
	s_and_not1_saveexec_b32 s54, s8
	s_cbranch_execz .LBB167_274
; %bb.267:                              ;   in Loop: Header=BB167_145 Depth=1
	v_mul_f64_e32 v[2:3], v[6:7], v[6:7]
                                        ; implicit-def: $vgpr30_vgpr31
	s_mov_b32 s5, exec_lo
	s_delay_alu instid0(VALU_DEP_1) | instskip(NEXT) | instid1(VALU_DEP_1)
	v_fmac_f64_e32 v[2:3], v[14:15], v[14:15]
	v_cmpx_ge_f64_e32 s[42:43], v[2:3]
	s_xor_b32 s7, exec_lo, s5
	s_cbranch_execz .LBB167_269
; %bb.268:                              ;   in Loop: Header=BB167_145 Depth=1
	v_frexp_mant_f64_e32 v[6:7], v[2:3]
	v_cmp_eq_f64_e64 s5, 0, v[12:13]
	v_cmp_neq_f64_e64 s6, 0, v[2:3]
	v_cmp_class_f64_e64 s8, v[12:13], 0x204
	v_cmp_class_f64_e64 s9, v[10:11], 0x204
	v_cmp_gt_f64_e32 vcc_lo, s[28:29], v[6:7]
	v_cndmask_b32_e64 v4, 0, 1, vcc_lo
	s_delay_alu instid0(VALU_DEP_1) | instskip(SKIP_1) | instid1(VALU_DEP_2)
	v_ldexp_f64 v[6:7], v[6:7], v4
	v_frexp_exp_i32_f64_e32 v4, v[2:3]
	v_add_f64_e32 v[14:15], 1.0, v[6:7]
	v_add_f64_e32 v[52:53], -1.0, v[6:7]
	s_delay_alu instid0(VALU_DEP_3) | instskip(NEXT) | instid1(VALU_DEP_3)
	v_subrev_co_ci_u32_e64 v4, null, 0, v4, vcc_lo
	v_rcp_f64_e32 v[30:31], v[14:15]
	v_add_f64_e32 v[54:55], -1.0, v[14:15]
	s_delay_alu instid0(VALU_DEP_1) | instskip(NEXT) | instid1(TRANS32_DEP_1)
	v_add_f64_e64 v[6:7], v[6:7], -v[54:55]
	v_fma_f64 v[32:33], -v[14:15], v[30:31], 1.0
	s_delay_alu instid0(VALU_DEP_1) | instskip(NEXT) | instid1(VALU_DEP_1)
	v_fmac_f64_e32 v[30:31], v[32:33], v[30:31]
	v_fma_f64 v[32:33], -v[14:15], v[30:31], 1.0
	s_delay_alu instid0(VALU_DEP_1) | instskip(NEXT) | instid1(VALU_DEP_1)
	v_fmac_f64_e32 v[30:31], v[32:33], v[30:31]
	v_mul_f64_e32 v[32:33], v[52:53], v[30:31]
	s_delay_alu instid0(VALU_DEP_1) | instskip(NEXT) | instid1(VALU_DEP_1)
	v_mul_f64_e32 v[56:57], v[14:15], v[32:33]
	v_fma_f64 v[14:15], v[32:33], v[14:15], -v[56:57]
	s_delay_alu instid0(VALU_DEP_1) | instskip(NEXT) | instid1(VALU_DEP_1)
	v_fmac_f64_e32 v[14:15], v[32:33], v[6:7]
	v_add_f64_e32 v[6:7], v[56:57], v[14:15]
	s_delay_alu instid0(VALU_DEP_1) | instskip(SKIP_1) | instid1(VALU_DEP_2)
	v_add_f64_e64 v[54:55], v[52:53], -v[6:7]
	v_add_f64_e64 v[56:57], v[6:7], -v[56:57]
	;; [unrolled: 1-line block ×3, first 2 shown]
	s_delay_alu instid0(VALU_DEP_2) | instskip(NEXT) | instid1(VALU_DEP_2)
	v_add_f64_e64 v[14:15], v[56:57], -v[14:15]
	v_add_f64_e64 v[6:7], v[52:53], -v[6:7]
	v_max_num_f64_e64 v[52:53], |v[10:11]|, |v[10:11]|
	s_delay_alu instid0(VALU_DEP_2) | instskip(SKIP_1) | instid1(VALU_DEP_2)
	v_add_f64_e32 v[6:7], v[14:15], v[6:7]
	v_max_num_f64_e64 v[14:15], |v[12:13]|, |v[12:13]|
	v_add_f64_e32 v[6:7], v[54:55], v[6:7]
	s_delay_alu instid0(VALU_DEP_1) | instskip(NEXT) | instid1(VALU_DEP_3)
	v_mul_f64_e32 v[6:7], v[30:31], v[6:7]
	v_max_num_f64_e32 v[30:31], v[52:53], v[14:15]
	v_min_num_f64_e32 v[14:15], v[52:53], v[14:15]
	s_delay_alu instid0(VALU_DEP_3) | instskip(NEXT) | instid1(VALU_DEP_2)
	v_add_f64_e32 v[52:53], v[32:33], v[6:7]
	v_div_scale_f64 v[54:55], null, v[30:31], v[30:31], v[14:15]
	s_delay_alu instid0(VALU_DEP_2) | instskip(SKIP_1) | instid1(VALU_DEP_3)
	v_mul_f64_e32 v[56:57], v[52:53], v[52:53]
	v_add_f64_e64 v[32:33], v[52:53], -v[32:33]
	v_rcp_f64_e32 v[58:59], v[54:55]
	s_delay_alu instid0(VALU_DEP_2) | instskip(SKIP_1) | instid1(VALU_DEP_3)
	v_fmamk_f64 v[60:61], v[56:57], 0x3fc3ab76bf559e2b, v[40:41]
	v_mul_f64_e32 v[62:63], v[52:53], v[56:57]
	v_add_f64_e64 v[6:7], v[6:7], -v[32:33]
	s_delay_alu instid0(VALU_DEP_3) | instskip(NEXT) | instid1(TRANS32_DEP_1)
	v_fmaak_f64 v[60:61], v[56:57], v[60:61], 0x3fc7474dd7f4df2e
	v_fma_f64 v[64:65], -v[54:55], v[58:59], 1.0
	s_delay_alu instid0(VALU_DEP_2) | instskip(NEXT) | instid1(VALU_DEP_1)
	v_fmaak_f64 v[60:61], v[56:57], v[60:61], 0x3fcc71c016291751
	v_fmaak_f64 v[60:61], v[56:57], v[60:61], 0x3fd249249b27acf1
	s_delay_alu instid0(VALU_DEP_1) | instskip(SKIP_1) | instid1(VALU_DEP_2)
	v_fmaak_f64 v[60:61], v[56:57], v[60:61], 0x3fd99999998ef7b6
	v_ldexp_f64 v[6:7], v[6:7], 1
	v_fmaak_f64 v[56:57], v[56:57], v[60:61], 0x3fe5555555555780
	v_ldexp_f64 v[60:61], v[52:53], 1
	v_fmac_f64_e32 v[58:59], v[58:59], v[64:65]
	s_delay_alu instid0(VALU_DEP_3) | instskip(SKIP_2) | instid1(VALU_DEP_1)
	v_mul_f64_e32 v[56:57], v[62:63], v[56:57]
	v_cvt_f64_i32_e32 v[62:63], v4
	v_ashrrev_i32_e32 v4, 31, v11
	v_and_b32_e32 v16, 0x54442d18, v4
	v_and_b32_e32 v3, 0x400921fb, v4
	v_fma_f64 v[64:65], -v[54:55], v[58:59], 1.0
	v_add_f64_e32 v[52:53], v[60:61], v[56:57]
	v_mul_f64_e32 v[66:67], 0x3fe62e42fefa39ef, v[62:63]
	s_delay_alu instid0(VALU_DEP_3) | instskip(NEXT) | instid1(VALU_DEP_3)
	v_fmac_f64_e32 v[58:59], v[58:59], v[64:65]
	v_add_f64_e64 v[32:33], v[52:53], -v[60:61]
	v_div_scale_f64 v[60:61], vcc_lo, v[14:15], v[30:31], v[14:15]
	s_delay_alu instid0(VALU_DEP_4) | instskip(NEXT) | instid1(VALU_DEP_3)
	v_fma_f64 v[64:65], v[62:63], s[30:31], -v[66:67]
	v_add_f64_e64 v[32:33], v[56:57], -v[32:33]
	s_delay_alu instid0(VALU_DEP_3) | instskip(NEXT) | instid1(VALU_DEP_3)
	v_mul_f64_e32 v[56:57], v[60:61], v[58:59]
	v_fmac_f64_e32 v[64:65], 0x3c7abc9e3b39803f, v[62:63]
	s_delay_alu instid0(VALU_DEP_3) | instskip(NEXT) | instid1(VALU_DEP_3)
	v_add_f64_e32 v[6:7], v[6:7], v[32:33]
	v_fma_f64 v[32:33], -v[54:55], v[56:57], v[60:61]
	s_delay_alu instid0(VALU_DEP_3) | instskip(NEXT) | instid1(VALU_DEP_3)
	v_add_f64_e32 v[54:55], v[66:67], v[64:65]
	v_add_f64_e32 v[60:61], v[52:53], v[6:7]
	s_delay_alu instid0(VALU_DEP_3) | instskip(SKIP_1) | instid1(VALU_DEP_4)
	v_div_fmas_f64 v[32:33], v[32:33], v[58:59], v[56:57]
	v_cmp_gt_i32_e32 vcc_lo, 0, v11
	v_add_f64_e64 v[58:59], v[54:55], -v[66:67]
	v_cndmask_b32_e32 v2, 0x3fe921fb, v69, vcc_lo
	v_cndmask_b32_e32 v8, 0x54442d18, v68, vcc_lo
	s_delay_alu instid0(VALU_DEP_2) | instskip(SKIP_4) | instid1(VALU_DEP_4)
	v_bfi_b32 v2, 0x7fffffff, v2, v13
	v_add_f64_e32 v[56:57], v[54:55], v[60:61]
	v_div_fixup_f64 v[14:15], v[32:33], v[30:31], v[14:15]
	v_add_f64_e64 v[52:53], v[60:61], -v[52:53]
	v_add_f64_e64 v[58:59], v[64:65], -v[58:59]
	;; [unrolled: 1-line block ×3, first 2 shown]
	s_delay_alu instid0(VALU_DEP_4) | instskip(NEXT) | instid1(VALU_DEP_4)
	v_mul_f64_e32 v[32:33], v[14:15], v[14:15]
	v_add_f64_e64 v[6:7], v[6:7], -v[52:53]
	s_delay_alu instid0(VALU_DEP_3) | instskip(NEXT) | instid1(VALU_DEP_3)
	v_add_f64_e64 v[62:63], v[56:57], -v[30:31]
	v_fmamk_f64 v[66:67], v[32:33], 0x3eeba404b5e68a13, v[42:43]
	v_add_f64_e64 v[30:31], v[60:61], -v[30:31]
	s_delay_alu instid0(VALU_DEP_4) | instskip(NEXT) | instid1(VALU_DEP_3)
	v_add_f64_e32 v[60:61], v[58:59], v[6:7]
	v_fmaak_f64 v[66:67], v[32:33], v[66:67], 0x3f4b2bb069efb384
	s_delay_alu instid0(VALU_DEP_1) | instskip(SKIP_1) | instid1(VALU_DEP_2)
	v_fmaak_f64 v[66:67], v[32:33], v[66:67], 0xbf67952daf56de9b
	v_add_f64_e64 v[52:53], v[54:55], -v[62:63]
	v_fmaak_f64 v[54:55], v[32:33], v[66:67], 0x3f7d6d43a595c56f
	s_delay_alu instid0(VALU_DEP_1) | instskip(NEXT) | instid1(VALU_DEP_1)
	v_fmaak_f64 v[54:55], v[32:33], v[54:55], 0xbf8c6ea4a57d9582
	v_fmaak_f64 v[54:55], v[32:33], v[54:55], 0x3f967e295f08b19f
	s_delay_alu instid0(VALU_DEP_1) | instskip(NEXT) | instid1(VALU_DEP_1)
	v_fmaak_f64 v[54:55], v[32:33], v[54:55], 0xbf9e9ae6fc27006a
	v_fmaak_f64 v[54:55], v[32:33], v[54:55], 0x3fa2c15b5711927a
	v_add_f64_e32 v[30:31], v[30:31], v[52:53]
	s_delay_alu instid0(VALU_DEP_2) | instskip(SKIP_1) | instid1(VALU_DEP_2)
	v_fmaak_f64 v[52:53], v[32:33], v[54:55], 0xbfa59976e82d3ff0
	v_add_f64_e64 v[54:55], v[60:61], -v[58:59]
	v_fmaak_f64 v[52:53], v[32:33], v[52:53], 0x3fa82d5d6ef28734
	s_delay_alu instid0(VALU_DEP_1) | instskip(NEXT) | instid1(VALU_DEP_1)
	v_fmaak_f64 v[52:53], v[32:33], v[52:53], 0xbfaae5ce6a214619
	v_fmaak_f64 v[52:53], v[32:33], v[52:53], 0x3fae1bb48427b883
	s_delay_alu instid0(VALU_DEP_1) | instskip(SKIP_3) | instid1(VALU_DEP_4)
	v_fmaak_f64 v[52:53], v[32:33], v[52:53], 0xbfb110e48b207f05
	v_add_f64_e32 v[30:31], v[60:61], v[30:31]
	v_add_f64_e64 v[60:61], v[60:61], -v[54:55]
	v_add_f64_e64 v[6:7], v[6:7], -v[54:55]
	v_fmaak_f64 v[52:53], v[32:33], v[52:53], 0x3fb3b13657b87036
	s_delay_alu instid0(VALU_DEP_1) | instskip(NEXT) | instid1(VALU_DEP_1)
	v_fmaak_f64 v[52:53], v[32:33], v[52:53], 0xbfb745d119378e4f
	v_fmaak_f64 v[52:53], v[32:33], v[52:53], 0x3fbc71c717e1913c
	s_delay_alu instid0(VALU_DEP_1) | instskip(SKIP_1) | instid1(VALU_DEP_2)
	v_fmaak_f64 v[52:53], v[32:33], v[52:53], 0xbfc2492492376b7d
	v_add_f64_e32 v[62:63], v[56:57], v[30:31]
	v_fmaak_f64 v[52:53], v[32:33], v[52:53], 0x3fc99999999952cc
	s_delay_alu instid0(VALU_DEP_1) | instskip(NEXT) | instid1(VALU_DEP_1)
	v_fmaak_f64 v[52:53], v[32:33], v[52:53], 0xbfd5555555555523
	v_mul_f64_e32 v[32:33], v[32:33], v[52:53]
	v_add_f64_e64 v[52:53], v[58:59], -v[60:61]
	v_add_f64_e64 v[54:55], v[62:63], -v[56:57]
	s_delay_alu instid0(VALU_DEP_3) | instskip(NEXT) | instid1(VALU_DEP_3)
	v_fmac_f64_e32 v[14:15], v[14:15], v[32:33]
	v_add_f64_e32 v[6:7], v[6:7], v[52:53]
	s_delay_alu instid0(VALU_DEP_3) | instskip(NEXT) | instid1(VALU_DEP_3)
	v_add_f64_e64 v[30:31], v[30:31], -v[54:55]
	v_add_f64_e64 v[32:33], -v[14:15], s[38:39]
	s_delay_alu instid0(VALU_DEP_2) | instskip(NEXT) | instid1(VALU_DEP_2)
	v_add_f64_e32 v[6:7], v[6:7], v[30:31]
	v_dual_cndmask_b32 v15, v15, v33, s4 :: v_dual_cndmask_b32 v14, v14, v32, s4
	s_delay_alu instid0(VALU_DEP_1) | instskip(NEXT) | instid1(VALU_DEP_3)
	v_add_f64_e64 v[30:31], -v[14:15], s[40:41]
	v_add_f64_e32 v[6:7], v[62:63], v[6:7]
	s_delay_alu instid0(VALU_DEP_2) | instskip(SKIP_1) | instid1(VALU_DEP_1)
	v_dual_cndmask_b32 v14, v14, v30, vcc_lo :: v_dual_cndmask_b32 v4, v15, v31, vcc_lo
	s_and_b32 vcc_lo, s8, s9
	v_dual_cndmask_b32 v10, v14, v16, s5 :: v_dual_cndmask_b32 v3, v4, v3, s5
                                        ; implicit-def: $vgpr14_vgpr15
	s_delay_alu instid0(VALU_DEP_1) | instskip(NEXT) | instid1(VALU_DEP_2)
	v_dual_mul_f64 v[6:7], 0.5, v[6:7] :: v_dual_cndmask_b32 v32, v10, v8, vcc_lo
	v_cndmask_b32_e32 v33, v3, v2, vcc_lo
	s_delay_alu instid0(VALU_DEP_2) | instskip(NEXT) | instid1(VALU_DEP_3)
	v_cndmask_b32_e64 v31, 0xfff00000, v7, s6
	v_cndmask_b32_e64 v30, 0, v6, s6
                                        ; implicit-def: $vgpr6_vgpr7
.LBB167_269:                            ;   in Loop: Header=BB167_145 Depth=1
	s_and_not1_saveexec_b32 s55, s7
	s_cbranch_execz .LBB167_273
; %bb.270:                              ;   in Loop: Header=BB167_145 Depth=1
	v_and_b32_e32 v37, 0x7ffffff8, v15
	v_and_b32_e32 v31, 0x7ffffff8, v7
	v_mov_b32_e32 v30, v36
	s_mov_b32 s56, 0
	s_delay_alu instid0(VALU_DEP_3) | instskip(NEXT) | instid1(VALU_DEP_2)
	v_dual_add_f64 v[2:3], v[14:15], -v[36:37] :: v_dual_mov_b32 v32, v36
	v_dual_add_f64 v[6:7], v[6:7], -v[30:31] :: v_dual_mov_b32 v52, v36
	v_add_f64_e32 v[54:55], v[36:37], v[36:37]
	v_add_f64_e32 v[62:63], v[30:31], v[30:31]
	v_mul_f64_e32 v[30:31], v[30:31], v[30:31]
	v_and_b32_e32 v33, -8, v3
	s_delay_alu instid0(VALU_DEP_1) | instskip(SKIP_1) | instid1(VALU_DEP_2)
	v_dual_add_f64 v[64:65], v[2:3], -v[32:33] :: v_dual_bitop2_b32 v53, -8, v7 bitop3:0x40
	v_add_f64_e32 v[70:71], v[32:33], v[32:33]
	v_add_f64_e64 v[66:67], v[6:7], -v[52:53]
	v_add_f64_e32 v[72:73], v[52:53], v[52:53]
	v_mul_f64_e32 v[2:3], v[36:37], v[36:37]
	v_mul_f64_e32 v[60:61], v[54:55], v[32:33]
	;; [unrolled: 1-line block ×11, first 2 shown]
.LBB167_271:                            ;   Parent Loop BB167_145 Depth=1
                                        ; =>  This Inner Loop Header: Depth=2
	v_cmp_nlt_f64_e32 vcc_lo, v[2:3], v[30:31]
	v_dual_cndmask_b32 v67, v3, v31 :: v_dual_cndmask_b32 v66, v2, v30
	v_dual_cndmask_b32 v3, v31, v3 :: v_dual_cndmask_b32 v2, v30, v2
	s_delay_alu instid0(VALU_DEP_2) | instskip(NEXT) | instid1(VALU_DEP_1)
	v_cmp_nlt_f64_e64 s5, v[66:67], v[60:61]
	v_dual_cndmask_b32 v71, v67, v61, s5 :: v_dual_cndmask_b32 v70, v66, v60, s5
	v_dual_cndmask_b32 v31, v61, v67, s5 :: v_dual_cndmask_b32 v30, v60, v66, s5
	s_and_b32 s5, vcc_lo, s5
	s_delay_alu instid0(VALU_DEP_2) | instskip(NEXT) | instid1(VALU_DEP_1)
	v_cmp_nlt_f64_e64 s6, v[70:71], v[14:15]
	v_dual_cndmask_b32 v73, v71, v15, s6 :: v_dual_cndmask_b32 v72, v70, v14, s6
	v_dual_cndmask_b32 v61, v15, v71, s6 :: v_dual_cndmask_b32 v60, v14, v70, s6
	s_delay_alu instid0(VALU_DEP_2) | instskip(NEXT) | instid1(VALU_DEP_1)
	v_cmp_nlt_f64_e64 s7, v[72:73], v[58:59]
	v_dual_cndmask_b32 v75, v73, v59, s7 :: v_dual_cndmask_b32 v74, v72, v58, s7
	v_dual_cndmask_b32 v15, v59, v73, s7 :: v_dual_cndmask_b32 v14, v58, v72, s7
	s_and_b32 s6, s6, s7
	s_delay_alu instid0(VALU_DEP_2) | instskip(NEXT) | instid1(VALU_DEP_1)
	v_cmp_nlt_f64_e64 s8, v[74:75], v[6:7]
	v_dual_cndmask_b32 v77, v75, v7, s8 :: v_dual_cndmask_b32 v76, v74, v6, s8
	v_dual_cndmask_b32 v59, v7, v75, s8 :: v_dual_cndmask_b32 v58, v6, v74, s8
	s_delay_alu instid0(VALU_DEP_2) | instskip(NEXT) | instid1(VALU_DEP_1)
	v_cmp_nlt_f64_e64 s9, v[76:77], v[56:57]
	v_dual_cndmask_b32 v79, v77, v57, s9 :: v_dual_cndmask_b32 v78, v76, v56, s9
	s_and_b32 s7, s8, s9
	v_dual_cndmask_b32 v7, v57, v77, s9 :: v_dual_cndmask_b32 v6, v56, v76, s9
	s_delay_alu instid0(VALU_DEP_2) | instskip(NEXT) | instid1(VALU_DEP_1)
	v_cmp_nlt_f64_e64 s10, v[78:79], v[54:55]
	v_dual_cndmask_b32 v81, v79, v55, s10 :: v_dual_cndmask_b32 v80, v78, v54, s10
	s_and_b32 s7, s7, s10
	;; [unrolled: 5-line block ×6, first 2 shown]
	v_dual_cndmask_b32 v63, v65, v87, s14 :: v_dual_cndmask_b32 v62, v64, v86, s14
	s_and_b32 s6, s7, s6
	s_delay_alu instid0(VALU_DEP_2) | instskip(SKIP_1) | instid1(SALU_CYCLE_1)
	v_mov_b64_e32 v[64:65], v[66:67]
	s_and_b32 s5, s6, s5
	s_and_b32 s5, exec_lo, s5
	s_delay_alu instid0(SALU_CYCLE_1) | instskip(NEXT) | instid1(SALU_CYCLE_1)
	s_or_b32 s56, s5, s56
	s_and_not1_b32 exec_lo, exec_lo, s56
	s_cbranch_execnz .LBB167_271
; %bb.272:                              ;   in Loop: Header=BB167_145 Depth=1
	s_or_b32 exec_lo, exec_lo, s56
	v_add_f64_e32 v[2:3], -1.0, v[2:3]
	v_cmp_eq_f64_e64 s5, 0, v[12:13]
	v_cmp_class_f64_e64 s9, v[10:11], 0x204
	v_cmp_class_f64_e64 s8, v[12:13], 0x204
	s_delay_alu instid0(VALU_DEP_4) | instskip(NEXT) | instid1(VALU_DEP_1)
	v_add_f64_e32 v[2:3], v[2:3], v[30:31]
	v_add_f64_e32 v[2:3], v[2:3], v[60:61]
	s_delay_alu instid0(VALU_DEP_1) | instskip(NEXT) | instid1(VALU_DEP_1)
	v_add_f64_e32 v[2:3], v[2:3], v[14:15]
	v_add_f64_e32 v[2:3], v[2:3], v[58:59]
	s_delay_alu instid0(VALU_DEP_1) | instskip(NEXT) | instid1(VALU_DEP_1)
	;; [unrolled: 3-line block ×5, first 2 shown]
	v_add_f64_e32 v[2:3], v[66:67], v[2:3]
	v_add_f64_e32 v[6:7], 1.0, v[2:3]
	v_cmp_nge_f64_e64 s6, -1.0, v[2:3]
	v_cmp_neq_f64_e64 s7, 0x7ff00000, v[2:3]
	s_delay_alu instid0(VALU_DEP_3) | instskip(SKIP_2) | instid1(VALU_DEP_3)
	v_frexp_mant_f64_e32 v[14:15], v[6:7]
	v_frexp_exp_i32_f64_e32 v4, v[6:7]
	v_add_f64_e32 v[30:31], -1.0, v[6:7]
	v_cmp_gt_f64_e32 vcc_lo, s[28:29], v[14:15]
	s_delay_alu instid0(VALU_DEP_2) | instskip(SKIP_2) | instid1(VALU_DEP_1)
	v_add_f64_e64 v[14:15], v[30:31], -v[6:7]
	v_add_f64_e64 v[30:31], v[2:3], -v[30:31]
	v_subrev_co_ci_u32_e64 v4, null, 0, v4, vcc_lo
	v_dual_add_f64 v[14:15], 1.0, v[14:15] :: v_dual_sub_nc_u32 v8, 0, v4
	s_delay_alu instid0(VALU_DEP_1) | instskip(NEXT) | instid1(VALU_DEP_2)
	v_ldexp_f64 v[6:7], v[6:7], v8
	v_add_f64_e32 v[14:15], v[30:31], v[14:15]
	s_delay_alu instid0(VALU_DEP_2) | instskip(SKIP_1) | instid1(VALU_DEP_3)
	v_add_f64_e32 v[32:33], 1.0, v[6:7]
	v_add_f64_e32 v[56:57], -1.0, v[6:7]
	v_ldexp_f64 v[14:15], v[14:15], v8
	s_delay_alu instid0(VALU_DEP_3) | instskip(NEXT) | instid1(VALU_DEP_3)
	v_add_f64_e32 v[30:31], -1.0, v[32:33]
	v_add_f64_e32 v[58:59], 1.0, v[56:57]
	s_delay_alu instid0(VALU_DEP_2) | instskip(NEXT) | instid1(VALU_DEP_2)
	v_add_f64_e64 v[30:31], v[6:7], -v[30:31]
	v_add_f64_e64 v[6:7], v[6:7], -v[58:59]
	s_delay_alu instid0(VALU_DEP_2) | instskip(NEXT) | instid1(VALU_DEP_2)
	v_add_f64_e32 v[30:31], v[14:15], v[30:31]
	v_add_f64_e32 v[6:7], v[14:15], v[6:7]
	s_delay_alu instid0(VALU_DEP_2) | instskip(NEXT) | instid1(VALU_DEP_2)
	v_add_f64_e32 v[52:53], v[32:33], v[30:31]
	v_add_f64_e32 v[58:59], v[56:57], v[6:7]
	s_delay_alu instid0(VALU_DEP_2) | instskip(SKIP_1) | instid1(VALU_DEP_2)
	v_rcp_f64_e32 v[54:55], v[52:53]
	v_add_f64_e64 v[32:33], v[52:53], -v[32:33]
	v_add_f64_e64 v[56:57], v[58:59], -v[56:57]
	s_delay_alu instid0(VALU_DEP_2) | instskip(NEXT) | instid1(VALU_DEP_2)
	v_add_f64_e64 v[30:31], v[30:31], -v[32:33]
	v_add_f64_e64 v[6:7], v[6:7], -v[56:57]
	s_delay_alu instid0(TRANS32_DEP_1) | instskip(NEXT) | instid1(VALU_DEP_1)
	v_fma_f64 v[60:61], -v[52:53], v[54:55], 1.0
	v_fmac_f64_e32 v[54:55], v[60:61], v[54:55]
	s_delay_alu instid0(VALU_DEP_1) | instskip(NEXT) | instid1(VALU_DEP_1)
	v_fma_f64 v[14:15], -v[52:53], v[54:55], 1.0
	v_fmac_f64_e32 v[54:55], v[14:15], v[54:55]
	s_delay_alu instid0(VALU_DEP_1) | instskip(NEXT) | instid1(VALU_DEP_1)
	v_mul_f64_e32 v[14:15], v[58:59], v[54:55]
	v_mul_f64_e32 v[60:61], v[52:53], v[14:15]
	s_delay_alu instid0(VALU_DEP_1) | instskip(NEXT) | instid1(VALU_DEP_1)
	v_fma_f64 v[32:33], v[14:15], v[52:53], -v[60:61]
	v_fmac_f64_e32 v[32:33], v[14:15], v[30:31]
	s_delay_alu instid0(VALU_DEP_1) | instskip(NEXT) | instid1(VALU_DEP_1)
	v_add_f64_e32 v[62:63], v[60:61], v[32:33]
	v_add_f64_e64 v[64:65], v[58:59], -v[62:63]
	v_add_f64_e64 v[56:57], v[62:63], -v[60:61]
	s_delay_alu instid0(VALU_DEP_2) | instskip(NEXT) | instid1(VALU_DEP_2)
	v_add_f64_e64 v[58:59], v[58:59], -v[64:65]
	v_add_f64_e64 v[32:33], v[56:57], -v[32:33]
	s_delay_alu instid0(VALU_DEP_2) | instskip(NEXT) | instid1(VALU_DEP_1)
	v_add_f64_e64 v[58:59], v[58:59], -v[62:63]
	v_add_f64_e32 v[6:7], v[6:7], v[58:59]
	s_delay_alu instid0(VALU_DEP_1) | instskip(NEXT) | instid1(VALU_DEP_1)
	v_add_f64_e32 v[6:7], v[32:33], v[6:7]
	v_add_f64_e32 v[32:33], v[64:65], v[6:7]
	s_delay_alu instid0(VALU_DEP_1) | instskip(SKIP_1) | instid1(VALU_DEP_2)
	v_mul_f64_e32 v[56:57], v[54:55], v[32:33]
	v_add_f64_e64 v[62:63], v[64:65], -v[32:33]
	v_mul_f64_e32 v[58:59], v[52:53], v[56:57]
	s_delay_alu instid0(VALU_DEP_2) | instskip(NEXT) | instid1(VALU_DEP_2)
	v_add_f64_e32 v[6:7], v[6:7], v[62:63]
	v_fma_f64 v[52:53], v[56:57], v[52:53], -v[58:59]
	s_delay_alu instid0(VALU_DEP_1) | instskip(NEXT) | instid1(VALU_DEP_1)
	v_fmac_f64_e32 v[52:53], v[56:57], v[30:31]
	v_add_f64_e32 v[30:31], v[58:59], v[52:53]
	s_delay_alu instid0(VALU_DEP_1) | instskip(SKIP_1) | instid1(VALU_DEP_2)
	v_add_f64_e64 v[60:61], v[32:33], -v[30:31]
	v_add_f64_e64 v[58:59], v[30:31], -v[58:59]
	;; [unrolled: 1-line block ×3, first 2 shown]
	s_delay_alu instid0(VALU_DEP_1) | instskip(NEXT) | instid1(VALU_DEP_3)
	v_add_f64_e64 v[30:31], v[32:33], -v[30:31]
	v_add_f64_e64 v[32:33], v[58:59], -v[52:53]
	v_max_num_f64_e64 v[52:53], |v[10:11]|, |v[10:11]|
	s_delay_alu instid0(VALU_DEP_3) | instskip(SKIP_1) | instid1(VALU_DEP_2)
	v_add_f64_e32 v[6:7], v[6:7], v[30:31]
	v_add_f64_e32 v[30:31], v[14:15], v[56:57]
	;; [unrolled: 1-line block ×3, first 2 shown]
	s_delay_alu instid0(VALU_DEP_2) | instskip(SKIP_1) | instid1(VALU_DEP_3)
	v_add_f64_e64 v[14:15], v[30:31], -v[14:15]
	v_max_num_f64_e64 v[32:33], |v[12:13]|, |v[12:13]|
	v_add_f64_e32 v[6:7], v[60:61], v[6:7]
	s_delay_alu instid0(VALU_DEP_3) | instskip(NEXT) | instid1(VALU_DEP_2)
	v_add_f64_e64 v[14:15], v[56:57], -v[14:15]
	v_mul_f64_e32 v[6:7], v[54:55], v[6:7]
	s_delay_alu instid0(VALU_DEP_1) | instskip(SKIP_2) | instid1(VALU_DEP_3)
	v_add_f64_e32 v[6:7], v[14:15], v[6:7]
	v_max_num_f64_e32 v[14:15], v[52:53], v[32:33]
	v_min_num_f64_e32 v[32:33], v[52:53], v[32:33]
	v_add_f64_e32 v[52:53], v[30:31], v[6:7]
	s_delay_alu instid0(VALU_DEP_2) | instskip(NEXT) | instid1(VALU_DEP_2)
	v_div_scale_f64 v[54:55], null, v[14:15], v[14:15], v[32:33]
	v_mul_f64_e32 v[56:57], v[52:53], v[52:53]
	v_add_f64_e64 v[30:31], v[52:53], -v[30:31]
	s_delay_alu instid0(VALU_DEP_3) | instskip(NEXT) | instid1(VALU_DEP_2)
	v_rcp_f64_e32 v[58:59], v[54:55]
	v_fmamk_f64 v[60:61], v[56:57], 0x3fc3ab76bf559e2b, v[40:41]
	v_mul_f64_e32 v[62:63], v[52:53], v[56:57]
	s_delay_alu instid0(VALU_DEP_3) | instskip(NEXT) | instid1(VALU_DEP_3)
	v_add_f64_e64 v[6:7], v[6:7], -v[30:31]
	v_fmaak_f64 v[60:61], v[56:57], v[60:61], 0x3fc7474dd7f4df2e
	s_delay_alu instid0(TRANS32_DEP_1) | instskip(NEXT) | instid1(VALU_DEP_2)
	v_fma_f64 v[64:65], -v[54:55], v[58:59], 1.0
	v_fmaak_f64 v[60:61], v[56:57], v[60:61], 0x3fcc71c016291751
	s_delay_alu instid0(VALU_DEP_1) | instskip(NEXT) | instid1(VALU_DEP_1)
	v_fmaak_f64 v[60:61], v[56:57], v[60:61], 0x3fd249249b27acf1
	v_fmaak_f64 v[60:61], v[56:57], v[60:61], 0x3fd99999998ef7b6
	v_ldexp_f64 v[6:7], v[6:7], 1
	s_delay_alu instid0(VALU_DEP_2) | instskip(SKIP_2) | instid1(VALU_DEP_3)
	v_fmaak_f64 v[56:57], v[56:57], v[60:61], 0x3fe5555555555780
	v_ldexp_f64 v[60:61], v[52:53], 1
	v_fmac_f64_e32 v[58:59], v[58:59], v[64:65]
	v_mul_f64_e32 v[56:57], v[62:63], v[56:57]
	v_cvt_f64_i32_e32 v[62:63], v4
	v_ashrrev_i32_e32 v4, 31, v11
	s_delay_alu instid0(VALU_DEP_1) | instskip(SKIP_4) | instid1(VALU_DEP_3)
	v_and_b32_e32 v16, 0x54442d18, v4
	v_and_b32_e32 v4, 0x400921fb, v4
	v_fma_f64 v[64:65], -v[54:55], v[58:59], 1.0
	v_add_f64_e32 v[52:53], v[60:61], v[56:57]
	v_mul_f64_e32 v[66:67], 0x3fe62e42fefa39ef, v[62:63]
	v_fmac_f64_e32 v[58:59], v[58:59], v[64:65]
	s_delay_alu instid0(VALU_DEP_3) | instskip(SKIP_1) | instid1(VALU_DEP_4)
	v_add_f64_e64 v[30:31], v[52:53], -v[60:61]
	v_div_scale_f64 v[60:61], vcc_lo, v[32:33], v[14:15], v[32:33]
	v_fma_f64 v[64:65], v[62:63], s[30:31], -v[66:67]
	s_delay_alu instid0(VALU_DEP_3) | instskip(NEXT) | instid1(VALU_DEP_3)
	v_add_f64_e64 v[30:31], v[56:57], -v[30:31]
	v_mul_f64_e32 v[56:57], v[60:61], v[58:59]
	s_delay_alu instid0(VALU_DEP_3) | instskip(NEXT) | instid1(VALU_DEP_3)
	v_fmac_f64_e32 v[64:65], 0x3c7abc9e3b39803f, v[62:63]
	v_add_f64_e32 v[6:7], v[6:7], v[30:31]
	s_delay_alu instid0(VALU_DEP_3) | instskip(NEXT) | instid1(VALU_DEP_3)
	v_fma_f64 v[30:31], -v[54:55], v[56:57], v[60:61]
	v_add_f64_e32 v[54:55], v[66:67], v[64:65]
	s_delay_alu instid0(VALU_DEP_3) | instskip(NEXT) | instid1(VALU_DEP_3)
	v_add_f64_e32 v[60:61], v[52:53], v[6:7]
	v_div_fmas_f64 v[30:31], v[30:31], v[58:59], v[56:57]
	v_cmp_gt_i32_e32 vcc_lo, 0, v11
	s_delay_alu instid0(VALU_DEP_4) | instskip(SKIP_2) | instid1(VALU_DEP_1)
	v_add_f64_e64 v[58:59], v[54:55], -v[66:67]
	v_cndmask_b32_e32 v8, 0x54442d18, v68, vcc_lo
	v_cndmask_b32_e32 v10, 0x3fe921fb, v69, vcc_lo
	v_bfi_b32 v10, 0x7fffffff, v10, v13
	v_add_f64_e32 v[56:57], v[54:55], v[60:61]
	v_div_fixup_f64 v[14:15], v[30:31], v[14:15], v[32:33]
	v_add_f64_e64 v[52:53], v[60:61], -v[52:53]
	v_add_f64_e64 v[58:59], v[64:65], -v[58:59]
	s_delay_alu instid0(VALU_DEP_4) | instskip(NEXT) | instid1(VALU_DEP_4)
	v_add_f64_e64 v[30:31], v[56:57], -v[54:55]
	v_mul_f64_e32 v[32:33], v[14:15], v[14:15]
	s_delay_alu instid0(VALU_DEP_4) | instskip(NEXT) | instid1(VALU_DEP_3)
	v_add_f64_e64 v[6:7], v[6:7], -v[52:53]
	v_add_f64_e64 v[62:63], v[56:57], -v[30:31]
	s_delay_alu instid0(VALU_DEP_3) | instskip(SKIP_1) | instid1(VALU_DEP_4)
	v_fmamk_f64 v[66:67], v[32:33], 0x3eeba404b5e68a13, v[42:43]
	v_add_f64_e64 v[30:31], v[60:61], -v[30:31]
	v_add_f64_e32 v[60:61], v[58:59], v[6:7]
	s_delay_alu instid0(VALU_DEP_3) | instskip(SKIP_1) | instid1(VALU_DEP_2)
	v_fmaak_f64 v[66:67], v[32:33], v[66:67], 0x3f4b2bb069efb384
	v_add_f64_e64 v[52:53], v[54:55], -v[62:63]
	v_fmaak_f64 v[54:55], v[32:33], v[66:67], 0xbf67952daf56de9b
	s_delay_alu instid0(VALU_DEP_1) | instskip(NEXT) | instid1(VALU_DEP_1)
	v_fmaak_f64 v[54:55], v[32:33], v[54:55], 0x3f7d6d43a595c56f
	v_fmaak_f64 v[54:55], v[32:33], v[54:55], 0xbf8c6ea4a57d9582
	s_delay_alu instid0(VALU_DEP_1) | instskip(NEXT) | instid1(VALU_DEP_1)
	v_fmaak_f64 v[54:55], v[32:33], v[54:55], 0x3f967e295f08b19f
	v_fmaak_f64 v[54:55], v[32:33], v[54:55], 0xbf9e9ae6fc27006a
	v_add_f64_e32 v[30:31], v[30:31], v[52:53]
	s_delay_alu instid0(VALU_DEP_2) | instskip(SKIP_1) | instid1(VALU_DEP_2)
	v_fmaak_f64 v[52:53], v[32:33], v[54:55], 0x3fa2c15b5711927a
	v_add_f64_e64 v[54:55], v[60:61], -v[58:59]
	v_fmaak_f64 v[52:53], v[32:33], v[52:53], 0xbfa59976e82d3ff0
	s_delay_alu instid0(VALU_DEP_1) | instskip(NEXT) | instid1(VALU_DEP_1)
	v_fmaak_f64 v[52:53], v[32:33], v[52:53], 0x3fa82d5d6ef28734
	v_fmaak_f64 v[52:53], v[32:33], v[52:53], 0xbfaae5ce6a214619
	s_delay_alu instid0(VALU_DEP_1) | instskip(SKIP_3) | instid1(VALU_DEP_4)
	v_fmaak_f64 v[52:53], v[32:33], v[52:53], 0x3fae1bb48427b883
	v_add_f64_e32 v[30:31], v[60:61], v[30:31]
	v_add_f64_e64 v[60:61], v[60:61], -v[54:55]
	v_add_f64_e64 v[6:7], v[6:7], -v[54:55]
	v_fmaak_f64 v[52:53], v[32:33], v[52:53], 0xbfb110e48b207f05
	s_delay_alu instid0(VALU_DEP_1) | instskip(NEXT) | instid1(VALU_DEP_1)
	v_fmaak_f64 v[52:53], v[32:33], v[52:53], 0x3fb3b13657b87036
	v_fmaak_f64 v[52:53], v[32:33], v[52:53], 0xbfb745d119378e4f
	s_delay_alu instid0(VALU_DEP_1) | instskip(SKIP_1) | instid1(VALU_DEP_2)
	v_fmaak_f64 v[52:53], v[32:33], v[52:53], 0x3fbc71c717e1913c
	v_add_f64_e32 v[62:63], v[56:57], v[30:31]
	v_fmaak_f64 v[52:53], v[32:33], v[52:53], 0xbfc2492492376b7d
	s_delay_alu instid0(VALU_DEP_1) | instskip(NEXT) | instid1(VALU_DEP_1)
	v_fmaak_f64 v[52:53], v[32:33], v[52:53], 0x3fc99999999952cc
	v_fmaak_f64 v[52:53], v[32:33], v[52:53], 0xbfd5555555555523
	s_delay_alu instid0(VALU_DEP_1) | instskip(SKIP_2) | instid1(VALU_DEP_3)
	v_mul_f64_e32 v[32:33], v[32:33], v[52:53]
	v_add_f64_e64 v[52:53], v[58:59], -v[60:61]
	v_add_f64_e64 v[54:55], v[62:63], -v[56:57]
	v_fmac_f64_e32 v[14:15], v[14:15], v[32:33]
	s_delay_alu instid0(VALU_DEP_3) | instskip(NEXT) | instid1(VALU_DEP_3)
	v_add_f64_e32 v[6:7], v[6:7], v[52:53]
	v_add_f64_e64 v[30:31], v[30:31], -v[54:55]
	s_delay_alu instid0(VALU_DEP_3) | instskip(NEXT) | instid1(VALU_DEP_2)
	v_add_f64_e64 v[32:33], -v[14:15], s[38:39]
	v_add_f64_e32 v[6:7], v[6:7], v[30:31]
	s_delay_alu instid0(VALU_DEP_2) | instskip(NEXT) | instid1(VALU_DEP_1)
	v_dual_cndmask_b32 v15, v15, v33, s4 :: v_dual_cndmask_b32 v14, v14, v32, s4
	v_add_f64_e64 v[30:31], -v[14:15], s[40:41]
	s_delay_alu instid0(VALU_DEP_3) | instskip(NEXT) | instid1(VALU_DEP_2)
	v_add_f64_e32 v[6:7], v[62:63], v[6:7]
	v_dual_cndmask_b32 v14, v14, v30 :: v_dual_cndmask_b32 v11, v15, v31
	v_cmp_ngt_f64_e32 vcc_lo, -1.0, v[2:3]
	s_delay_alu instid0(VALU_DEP_2) | instskip(NEXT) | instid1(VALU_DEP_3)
	v_dual_mul_f64 v[6:7], 0.5, v[6:7] :: v_dual_cndmask_b32 v14, v14, v16, s5
	v_cndmask_b32_e64 v4, v11, v4, s5
	s_and_b32 s5, s6, s7
	s_delay_alu instid0(VALU_DEP_2) | instid1(SALU_CYCLE_1)
	v_cndmask_b32_e64 v30, 0, v6, s5
	v_cmp_neq_f64_e64 s5, -1.0, v[2:3]
	s_delay_alu instid0(VALU_DEP_4) | instskip(NEXT) | instid1(VALU_DEP_1)
	v_cndmask_b32_e64 v7, 0x7ff00000, v7, s7
	v_cndmask_b32_e32 v7, 0x7ff80000, v7, vcc_lo
	s_and_b32 vcc_lo, s8, s9
	v_dual_cndmask_b32 v33, v4, v10 :: v_dual_cndmask_b32 v32, v14, v8
	s_delay_alu instid0(VALU_DEP_2)
	v_cndmask_b32_e64 v31, 0xfff00000, v7, s5
.LBB167_273:                            ;   in Loop: Header=BB167_145 Depth=1
	s_or_b32 exec_lo, exec_lo, s55
.LBB167_274:                            ;   in Loop: Header=BB167_145 Depth=1
	s_delay_alu instid0(SALU_CYCLE_1)
	s_or_b32 exec_lo, exec_lo, s54
.LBB167_275:                            ;   in Loop: Header=BB167_145 Depth=1
	s_and_not1_saveexec_b32 s7, s53
	s_cbranch_execz .LBB167_277
; %bb.276:                              ;   in Loop: Header=BB167_145 Depth=1
	v_max_num_f64_e64 v[2:3], |v[12:13]|, |v[12:13]|
	v_max_num_f64_e64 v[6:7], |v[10:11]|, |v[10:11]|
	v_cmp_class_f64_e64 s8, v[10:11], 0x204
	v_cmp_class_f64_e64 s9, v[12:13], 0x204
	v_cmp_eq_f64_e64 s6, 0, v[12:13]
	s_delay_alu instid0(VALU_DEP_4) | instskip(SKIP_2) | instid1(VALU_DEP_2)
	v_max_num_f64_e32 v[14:15], v[6:7], v[2:3]
	v_min_num_f64_e32 v[2:3], v[6:7], v[2:3]
	s_or_b32 s5, s9, s8
	v_frexp_exp_i32_f64_e32 v4, v[14:15]
	s_delay_alu instid0(VALU_DEP_1) | instskip(NEXT) | instid1(VALU_DEP_1)
	v_sub_nc_u32_e32 v8, 0, v4
	v_ldexp_f64 v[30:31], |v[12:13]|, v8
	v_ldexp_f64 v[32:33], |v[10:11]|, v8
	s_delay_alu instid0(VALU_DEP_2) | instskip(NEXT) | instid1(VALU_DEP_1)
	v_mul_f64_e32 v[30:31], v[30:31], v[30:31]
	v_fmac_f64_e32 v[30:31], v[32:33], v[32:33]
	s_delay_alu instid0(VALU_DEP_1) | instskip(SKIP_1) | instid1(TRANS32_DEP_1)
	v_rsq_f64_e32 v[32:33], v[30:31]
	v_cmp_eq_f64_e32 vcc_lo, 0, v[30:31]
	v_mul_f64_e32 v[52:53], v[30:31], v[32:33]
	v_mul_f64_e32 v[32:33], 0.5, v[32:33]
	s_delay_alu instid0(VALU_DEP_1) | instskip(NEXT) | instid1(VALU_DEP_1)
	v_fma_f64 v[54:55], -v[32:33], v[52:53], 0.5
	v_fmac_f64_e32 v[52:53], v[52:53], v[54:55]
	v_fmac_f64_e32 v[32:33], v[32:33], v[54:55]
	s_delay_alu instid0(VALU_DEP_2) | instskip(NEXT) | instid1(VALU_DEP_1)
	v_fma_f64 v[54:55], -v[52:53], v[52:53], v[30:31]
	v_fmac_f64_e32 v[52:53], v[54:55], v[32:33]
	s_delay_alu instid0(VALU_DEP_1) | instskip(NEXT) | instid1(VALU_DEP_1)
	v_dual_cndmask_b32 v31, v53, v31 :: v_dual_cndmask_b32 v30, v52, v30
	v_ldexp_f64 v[30:31], v[30:31], v4
	s_delay_alu instid0(VALU_DEP_1) | instskip(NEXT) | instid1(VALU_DEP_2)
	v_cndmask_b32_e64 v53, v31, 0x7ff00000, s5
	v_cndmask_b32_e64 v52, v30, 0, s5
	s_delay_alu instid0(VALU_DEP_1) | instskip(SKIP_1) | instid1(VALU_DEP_2)
	v_frexp_mant_f64_e32 v[30:31], v[52:53]
	v_cmp_class_f64_e64 s5, v[52:53], 0x204
	v_cmp_gt_f64_e32 vcc_lo, s[28:29], v[30:31]
	v_cndmask_b32_e64 v4, 0, 1, vcc_lo
	s_delay_alu instid0(VALU_DEP_1) | instskip(SKIP_1) | instid1(VALU_DEP_2)
	v_ldexp_f64 v[30:31], v[30:31], v4
	v_frexp_exp_i32_f64_e32 v4, v[52:53]
	v_add_f64_e32 v[32:33], 1.0, v[30:31]
	v_add_f64_e32 v[58:59], -1.0, v[30:31]
	s_delay_alu instid0(VALU_DEP_3) | instskip(SKIP_1) | instid1(VALU_DEP_4)
	v_subrev_co_ci_u32_e64 v4, null, 0, v4, vcc_lo
	v_div_scale_f64 v[66:67], vcc_lo, v[2:3], v[14:15], v[2:3]
	v_rcp_f64_e32 v[54:55], v[32:33]
	v_add_f64_e32 v[60:61], -1.0, v[32:33]
	s_delay_alu instid0(VALU_DEP_1) | instskip(NEXT) | instid1(TRANS32_DEP_1)
	v_add_f64_e64 v[30:31], v[30:31], -v[60:61]
	v_fma_f64 v[56:57], -v[32:33], v[54:55], 1.0
	s_delay_alu instid0(VALU_DEP_1) | instskip(NEXT) | instid1(VALU_DEP_1)
	v_fmac_f64_e32 v[54:55], v[56:57], v[54:55]
	v_fma_f64 v[56:57], -v[32:33], v[54:55], 1.0
	s_delay_alu instid0(VALU_DEP_1) | instskip(NEXT) | instid1(VALU_DEP_1)
	v_fmac_f64_e32 v[54:55], v[56:57], v[54:55]
	v_mul_f64_e32 v[56:57], v[58:59], v[54:55]
	s_delay_alu instid0(VALU_DEP_1) | instskip(NEXT) | instid1(VALU_DEP_1)
	v_mul_f64_e32 v[62:63], v[32:33], v[56:57]
	v_fma_f64 v[32:33], v[56:57], v[32:33], -v[62:63]
	s_delay_alu instid0(VALU_DEP_1) | instskip(NEXT) | instid1(VALU_DEP_1)
	v_fmac_f64_e32 v[32:33], v[56:57], v[30:31]
	v_add_f64_e32 v[30:31], v[62:63], v[32:33]
	s_delay_alu instid0(VALU_DEP_1) | instskip(SKIP_1) | instid1(VALU_DEP_2)
	v_add_f64_e64 v[60:61], v[58:59], -v[30:31]
	v_add_f64_e64 v[62:63], v[30:31], -v[62:63]
	;; [unrolled: 1-line block ×3, first 2 shown]
	s_delay_alu instid0(VALU_DEP_2) | instskip(NEXT) | instid1(VALU_DEP_2)
	v_add_f64_e64 v[32:33], v[62:63], -v[32:33]
	v_add_f64_e64 v[30:31], v[58:59], -v[30:31]
	s_delay_alu instid0(VALU_DEP_1) | instskip(NEXT) | instid1(VALU_DEP_1)
	v_add_f64_e32 v[30:31], v[32:33], v[30:31]
	v_add_f64_e32 v[30:31], v[60:61], v[30:31]
	s_delay_alu instid0(VALU_DEP_1) | instskip(SKIP_1) | instid1(VALU_DEP_2)
	v_mul_f64_e32 v[6:7], v[54:55], v[30:31]
	v_div_scale_f64 v[30:31], null, v[14:15], v[14:15], v[2:3]
	v_add_f64_e32 v[32:33], v[56:57], v[6:7]
	s_delay_alu instid0(VALU_DEP_2) | instskip(NEXT) | instid1(VALU_DEP_1)
	v_rcp_f64_e32 v[54:55], v[30:31]
	v_mul_f64_e32 v[58:59], v[32:33], v[32:33]
	s_delay_alu instid0(TRANS32_DEP_1) | instskip(NEXT) | instid1(VALU_DEP_2)
	v_fma_f64 v[62:63], -v[30:31], v[54:55], 1.0
	v_fmamk_f64 v[60:61], v[58:59], 0x3fc3ab76bf559e2b, v[40:41]
	v_mul_f64_e32 v[64:65], v[32:33], v[58:59]
	s_delay_alu instid0(VALU_DEP_3) | instskip(NEXT) | instid1(VALU_DEP_3)
	v_fmac_f64_e32 v[54:55], v[54:55], v[62:63]
	v_fmaak_f64 v[60:61], v[58:59], v[60:61], 0x3fc7474dd7f4df2e
	s_delay_alu instid0(VALU_DEP_1) | instskip(NEXT) | instid1(VALU_DEP_1)
	v_fmaak_f64 v[60:61], v[58:59], v[60:61], 0x3fcc71c016291751
	v_fmaak_f64 v[60:61], v[58:59], v[60:61], 0x3fd249249b27acf1
	s_delay_alu instid0(VALU_DEP_1) | instskip(NEXT) | instid1(VALU_DEP_1)
	v_fmaak_f64 v[60:61], v[58:59], v[60:61], 0x3fd99999998ef7b6
	v_fmaak_f64 v[58:59], v[58:59], v[60:61], 0x3fe5555555555780
	v_ldexp_f64 v[60:61], v[32:33], 1
	v_fma_f64 v[62:63], -v[30:31], v[54:55], 1.0
	s_delay_alu instid0(VALU_DEP_3) | instskip(SKIP_2) | instid1(VALU_DEP_1)
	v_mul_f64_e32 v[58:59], v[64:65], v[58:59]
	v_cvt_f64_i32_e32 v[64:65], v4
	v_ashrrev_i32_e32 v4, 31, v11
	v_and_b32_e32 v10, 0x54442d18, v4
	v_add_f64_e64 v[32:33], v[32:33], -v[56:57]
	v_and_b32_e32 v4, 0x400921fb, v4
	v_fmac_f64_e32 v[54:55], v[54:55], v[62:63]
	v_add_f64_e32 v[56:57], v[60:61], v[58:59]
	v_mul_f64_e32 v[62:63], 0x3fe62e42fefa39ef, v[64:65]
	v_add_f64_e64 v[6:7], v[6:7], -v[32:33]
	s_delay_alu instid0(VALU_DEP_3) | instskip(SKIP_1) | instid1(VALU_DEP_4)
	v_add_f64_e64 v[32:33], v[56:57], -v[60:61]
	v_mul_f64_e32 v[60:61], v[66:67], v[54:55]
	v_fma_f64 v[70:71], v[64:65], s[30:31], -v[62:63]
	s_delay_alu instid0(VALU_DEP_4) | instskip(NEXT) | instid1(VALU_DEP_4)
	v_ldexp_f64 v[6:7], v[6:7], 1
	v_add_f64_e64 v[32:33], v[58:59], -v[32:33]
	s_delay_alu instid0(VALU_DEP_4) | instskip(NEXT) | instid1(VALU_DEP_4)
	v_fma_f64 v[30:31], -v[30:31], v[60:61], v[66:67]
	v_fmac_f64_e32 v[70:71], 0x3c7abc9e3b39803f, v[64:65]
	s_delay_alu instid0(VALU_DEP_3) | instskip(NEXT) | instid1(VALU_DEP_3)
	v_add_f64_e32 v[6:7], v[6:7], v[32:33]
	v_div_fmas_f64 v[30:31], v[30:31], v[54:55], v[60:61]
	s_delay_alu instid0(VALU_DEP_3) | instskip(SKIP_3) | instid1(VALU_DEP_1)
	v_add_f64_e32 v[32:33], v[62:63], v[70:71]
	v_cmp_gt_i32_e32 vcc_lo, 0, v11
	v_cndmask_b32_e32 v8, 0x54442d18, v68, vcc_lo
	v_cndmask_b32_e32 v11, 0x3fe921fb, v69, vcc_lo
	v_bfi_b32 v11, 0x7fffffff, v11, v13
	v_add_f64_e32 v[54:55], v[56:57], v[6:7]
	v_div_fixup_f64 v[2:3], v[30:31], v[14:15], v[2:3]
	v_add_f64_e64 v[62:63], v[32:33], -v[62:63]
	s_delay_alu instid0(VALU_DEP_3) | instskip(NEXT) | instid1(VALU_DEP_3)
	v_add_f64_e32 v[14:15], v[32:33], v[54:55]
	v_mul_f64_e32 v[30:31], v[2:3], v[2:3]
	v_add_f64_e64 v[56:57], v[54:55], -v[56:57]
	s_delay_alu instid0(VALU_DEP_4) | instskip(NEXT) | instid1(VALU_DEP_4)
	v_add_f64_e64 v[62:63], v[70:71], -v[62:63]
	v_add_f64_e64 v[58:59], v[14:15], -v[32:33]
	s_delay_alu instid0(VALU_DEP_4) | instskip(NEXT) | instid1(VALU_DEP_4)
	v_fmamk_f64 v[60:61], v[30:31], 0x3eeba404b5e68a13, v[42:43]
	v_add_f64_e64 v[6:7], v[6:7], -v[56:57]
	s_delay_alu instid0(VALU_DEP_2) | instskip(NEXT) | instid1(VALU_DEP_1)
	v_fmaak_f64 v[60:61], v[30:31], v[60:61], 0x3f4b2bb069efb384
	v_fmaak_f64 v[60:61], v[30:31], v[60:61], 0xbf67952daf56de9b
	s_delay_alu instid0(VALU_DEP_1) | instskip(NEXT) | instid1(VALU_DEP_1)
	v_fmaak_f64 v[60:61], v[30:31], v[60:61], 0x3f7d6d43a595c56f
	v_fmaak_f64 v[60:61], v[30:31], v[60:61], 0xbf8c6ea4a57d9582
	v_add_f64_e64 v[64:65], v[14:15], -v[58:59]
	v_add_f64_e64 v[54:55], v[54:55], -v[58:59]
	v_add_f64_e32 v[58:59], v[62:63], v[6:7]
	s_delay_alu instid0(VALU_DEP_4) | instskip(NEXT) | instid1(VALU_DEP_1)
	v_fmaak_f64 v[60:61], v[30:31], v[60:61], 0x3f967e295f08b19f
	v_fmaak_f64 v[56:57], v[30:31], v[60:61], 0xbf9e9ae6fc27006a
	s_delay_alu instid0(VALU_DEP_1) | instskip(NEXT) | instid1(VALU_DEP_1)
	v_fmaak_f64 v[56:57], v[30:31], v[56:57], 0x3fa2c15b5711927a
	v_fmaak_f64 v[56:57], v[30:31], v[56:57], 0xbfa59976e82d3ff0
	s_delay_alu instid0(VALU_DEP_1) | instskip(SKIP_1) | instid1(VALU_DEP_2)
	v_fmaak_f64 v[56:57], v[30:31], v[56:57], 0x3fa82d5d6ef28734
	v_add_f64_e64 v[32:33], v[32:33], -v[64:65]
	v_fmaak_f64 v[56:57], v[30:31], v[56:57], 0xbfaae5ce6a214619
	s_delay_alu instid0(VALU_DEP_2) | instskip(NEXT) | instid1(VALU_DEP_2)
	v_add_f64_e32 v[32:33], v[54:55], v[32:33]
	v_fmaak_f64 v[54:55], v[30:31], v[56:57], 0x3fae1bb48427b883
	v_add_f64_e64 v[56:57], v[58:59], -v[62:63]
	s_delay_alu instid0(VALU_DEP_2) | instskip(NEXT) | instid1(VALU_DEP_1)
	v_fmaak_f64 v[54:55], v[30:31], v[54:55], 0xbfb110e48b207f05
	v_fmaak_f64 v[54:55], v[30:31], v[54:55], 0x3fb3b13657b87036
	s_delay_alu instid0(VALU_DEP_1) | instskip(NEXT) | instid1(VALU_DEP_1)
	v_fmaak_f64 v[54:55], v[30:31], v[54:55], 0xbfb745d119378e4f
	v_fmaak_f64 v[54:55], v[30:31], v[54:55], 0x3fbc71c717e1913c
	v_add_f64_e32 v[32:33], v[58:59], v[32:33]
	v_add_f64_e64 v[6:7], v[6:7], -v[56:57]
	s_delay_alu instid0(VALU_DEP_3) | instskip(NEXT) | instid1(VALU_DEP_1)
	v_fmaak_f64 v[54:55], v[30:31], v[54:55], 0xbfc2492492376b7d
	v_fmaak_f64 v[54:55], v[30:31], v[54:55], 0x3fc99999999952cc
	s_delay_alu instid0(VALU_DEP_1) | instskip(NEXT) | instid1(VALU_DEP_1)
	v_fmaak_f64 v[54:55], v[30:31], v[54:55], 0xbfd5555555555523
	v_mul_f64_e32 v[30:31], v[30:31], v[54:55]
	v_add_f64_e64 v[54:55], v[58:59], -v[56:57]
	v_add_f64_e32 v[58:59], v[14:15], v[32:33]
	s_delay_alu instid0(VALU_DEP_3) | instskip(NEXT) | instid1(VALU_DEP_3)
	v_fmac_f64_e32 v[2:3], v[2:3], v[30:31]
	v_add_f64_e64 v[30:31], v[62:63], -v[54:55]
	s_delay_alu instid0(VALU_DEP_3) | instskip(NEXT) | instid1(VALU_DEP_3)
	v_add_f64_e64 v[14:15], v[58:59], -v[14:15]
	v_add_f64_e64 v[54:55], -v[2:3], s[38:39]
	s_delay_alu instid0(VALU_DEP_3) | instskip(NEXT) | instid1(VALU_DEP_3)
	v_add_f64_e32 v[6:7], v[6:7], v[30:31]
	v_add_f64_e64 v[14:15], v[32:33], -v[14:15]
	s_delay_alu instid0(VALU_DEP_3) | instskip(NEXT) | instid1(VALU_DEP_2)
	v_dual_cndmask_b32 v3, v3, v55, s4 :: v_dual_cndmask_b32 v2, v2, v54, s4
	v_add_f64_e32 v[6:7], v[6:7], v[14:15]
	s_delay_alu instid0(VALU_DEP_2) | instskip(NEXT) | instid1(VALU_DEP_2)
	v_add_f64_e64 v[14:15], -v[2:3], s[40:41]
	v_add_f64_e32 v[6:7], v[58:59], v[6:7]
	s_delay_alu instid0(VALU_DEP_2) | instskip(SKIP_1) | instid1(VALU_DEP_2)
	v_dual_cndmask_b32 v2, v2, v14 :: v_dual_cndmask_b32 v3, v3, v15
	v_cmp_ngt_f64_e32 vcc_lo, 0, v[52:53]
	v_dual_cndmask_b32 v2, v2, v10, s6 :: v_dual_cndmask_b32 v3, v3, v4, s6
	s_delay_alu instid0(VALU_DEP_4) | instskip(SKIP_1) | instid1(VALU_DEP_2)
	v_dual_cndmask_b32 v6, v6, v52, s5 :: v_dual_cndmask_b32 v7, v7, v53, s5
	v_cmp_nge_f64_e64 s5, 0, v[52:53]
	v_cndmask_b32_e32 v4, 0x7ff80000, v7, vcc_lo
	s_and_b32 vcc_lo, s9, s8
	v_dual_cndmask_b32 v33, v3, v11 :: v_dual_cndmask_b32 v32, v2, v8
	v_cndmask_b32_e64 v30, 0, v6, s5
	v_cmp_neq_f64_e64 s5, 0, v[52:53]
	s_delay_alu instid0(VALU_DEP_1)
	v_cndmask_b32_e64 v31, 0xfff00000, v4, s5
.LBB167_277:                            ;   in Loop: Header=BB167_145 Depth=1
	s_or_b32 exec_lo, exec_lo, s7
                                        ; implicit-def: $vgpr6_vgpr7
.LBB167_278:                            ;   in Loop: Header=BB167_145 Depth=1
	s_and_not1_saveexec_b32 s7, s52
	s_cbranch_execz .LBB167_284
; %bb.279:                              ;   in Loop: Header=BB167_145 Depth=1
                                        ; implicit-def: $vgpr30_vgpr31
	s_mov_b32 s5, exec_lo
	v_cmpx_ngt_f64_e32 s[44:45], v[6:7]
	s_xor_b32 s8, exec_lo, s5
	s_cbranch_execz .LBB167_281
; %bb.280:                              ;   in Loop: Header=BB167_145 Depth=1
	v_mul_f64_e32 v[2:3], v[6:7], v[6:7]
	v_cmp_eq_f64_e64 s5, 0, v[12:13]
	v_cmp_class_f64_e64 s9, v[12:13], 0x204
	v_cmp_class_f64_e64 s10, v[10:11], 0x204
	s_delay_alu instid0(VALU_DEP_4) | instskip(NEXT) | instid1(VALU_DEP_1)
	v_add_f64_e32 v[6:7], 1.0, v[2:3]
	v_frexp_mant_f64_e32 v[14:15], v[6:7]
	v_frexp_exp_i32_f64_e32 v4, v[6:7]
	v_add_f64_e32 v[30:31], -1.0, v[6:7]
	s_delay_alu instid0(VALU_DEP_3) | instskip(NEXT) | instid1(VALU_DEP_2)
	v_cmp_gt_f64_e32 vcc_lo, s[28:29], v[14:15]
	v_add_f64_e64 v[14:15], v[30:31], -v[6:7]
	s_delay_alu instid0(VALU_DEP_4) | instskip(NEXT) | instid1(VALU_DEP_1)
	v_subrev_co_ci_u32_e64 v4, null, 0, v4, vcc_lo
	v_dual_add_f64 v[14:15], 1.0, v[14:15] :: v_dual_sub_nc_u32 v8, 0, v4
	v_add_f64_e64 v[30:31], v[2:3], -v[30:31]
	v_cmp_neq_f64_e64 s6, 0x7ff00000, v[2:3]
	s_delay_alu instid0(VALU_DEP_3) | instskip(NEXT) | instid1(VALU_DEP_3)
	v_ldexp_f64 v[6:7], v[6:7], v8
	v_add_f64_e32 v[14:15], v[30:31], v[14:15]
	s_delay_alu instid0(VALU_DEP_2) | instskip(SKIP_1) | instid1(VALU_DEP_3)
	v_add_f64_e32 v[32:33], 1.0, v[6:7]
	v_add_f64_e32 v[56:57], -1.0, v[6:7]
	v_ldexp_f64 v[14:15], v[14:15], v8
	s_delay_alu instid0(VALU_DEP_3) | instskip(NEXT) | instid1(VALU_DEP_3)
	v_add_f64_e32 v[30:31], -1.0, v[32:33]
	v_add_f64_e32 v[58:59], 1.0, v[56:57]
	s_delay_alu instid0(VALU_DEP_2) | instskip(NEXT) | instid1(VALU_DEP_2)
	v_add_f64_e64 v[30:31], v[6:7], -v[30:31]
	v_add_f64_e64 v[6:7], v[6:7], -v[58:59]
	s_delay_alu instid0(VALU_DEP_2) | instskip(NEXT) | instid1(VALU_DEP_2)
	v_add_f64_e32 v[30:31], v[14:15], v[30:31]
	v_add_f64_e32 v[6:7], v[14:15], v[6:7]
	s_delay_alu instid0(VALU_DEP_2) | instskip(NEXT) | instid1(VALU_DEP_2)
	v_add_f64_e32 v[52:53], v[32:33], v[30:31]
	v_add_f64_e32 v[58:59], v[56:57], v[6:7]
	s_delay_alu instid0(VALU_DEP_2) | instskip(SKIP_1) | instid1(VALU_DEP_2)
	v_rcp_f64_e32 v[54:55], v[52:53]
	v_add_f64_e64 v[32:33], v[32:33], -v[52:53]
	v_add_f64_e64 v[56:57], v[56:57], -v[58:59]
	s_delay_alu instid0(VALU_DEP_2) | instskip(NEXT) | instid1(VALU_DEP_2)
	v_add_f64_e32 v[30:31], v[30:31], v[32:33]
	v_add_f64_e32 v[6:7], v[6:7], v[56:57]
	s_delay_alu instid0(TRANS32_DEP_1) | instskip(NEXT) | instid1(VALU_DEP_1)
	v_fma_f64 v[60:61], -v[52:53], v[54:55], 1.0
	v_fmac_f64_e32 v[54:55], v[60:61], v[54:55]
	s_delay_alu instid0(VALU_DEP_1) | instskip(NEXT) | instid1(VALU_DEP_1)
	v_fma_f64 v[14:15], -v[52:53], v[54:55], 1.0
	v_fmac_f64_e32 v[54:55], v[14:15], v[54:55]
	s_delay_alu instid0(VALU_DEP_1) | instskip(NEXT) | instid1(VALU_DEP_1)
	v_mul_f64_e32 v[14:15], v[58:59], v[54:55]
	v_mul_f64_e32 v[60:61], v[52:53], v[14:15]
	s_delay_alu instid0(VALU_DEP_1) | instskip(NEXT) | instid1(VALU_DEP_1)
	v_fma_f64 v[32:33], v[14:15], v[52:53], -v[60:61]
	v_fmac_f64_e32 v[32:33], v[14:15], v[30:31]
	s_delay_alu instid0(VALU_DEP_1) | instskip(NEXT) | instid1(VALU_DEP_1)
	v_add_f64_e32 v[62:63], v[60:61], v[32:33]
	v_add_f64_e64 v[64:65], v[58:59], -v[62:63]
	v_add_f64_e64 v[56:57], v[62:63], -v[60:61]
	s_delay_alu instid0(VALU_DEP_2) | instskip(NEXT) | instid1(VALU_DEP_2)
	v_add_f64_e64 v[58:59], v[58:59], -v[64:65]
	v_add_f64_e64 v[32:33], v[56:57], -v[32:33]
	s_delay_alu instid0(VALU_DEP_2) | instskip(NEXT) | instid1(VALU_DEP_1)
	v_add_f64_e64 v[58:59], v[58:59], -v[62:63]
	v_add_f64_e32 v[6:7], v[6:7], v[58:59]
	s_delay_alu instid0(VALU_DEP_1) | instskip(NEXT) | instid1(VALU_DEP_1)
	v_add_f64_e32 v[6:7], v[32:33], v[6:7]
	v_add_f64_e32 v[32:33], v[64:65], v[6:7]
	s_delay_alu instid0(VALU_DEP_1) | instskip(SKIP_1) | instid1(VALU_DEP_2)
	v_mul_f64_e32 v[56:57], v[54:55], v[32:33]
	v_add_f64_e64 v[62:63], v[64:65], -v[32:33]
	v_mul_f64_e32 v[58:59], v[52:53], v[56:57]
	s_delay_alu instid0(VALU_DEP_2) | instskip(NEXT) | instid1(VALU_DEP_2)
	v_add_f64_e32 v[6:7], v[6:7], v[62:63]
	v_fma_f64 v[52:53], v[56:57], v[52:53], -v[58:59]
	s_delay_alu instid0(VALU_DEP_1) | instskip(NEXT) | instid1(VALU_DEP_1)
	v_fmac_f64_e32 v[52:53], v[56:57], v[30:31]
	v_add_f64_e32 v[30:31], v[58:59], v[52:53]
	s_delay_alu instid0(VALU_DEP_1) | instskip(SKIP_1) | instid1(VALU_DEP_2)
	v_add_f64_e64 v[60:61], v[32:33], -v[30:31]
	v_add_f64_e64 v[58:59], v[30:31], -v[58:59]
	;; [unrolled: 1-line block ×3, first 2 shown]
	s_delay_alu instid0(VALU_DEP_1) | instskip(NEXT) | instid1(VALU_DEP_3)
	v_add_f64_e64 v[30:31], v[32:33], -v[30:31]
	v_add_f64_e64 v[32:33], v[58:59], -v[52:53]
	v_max_num_f64_e64 v[52:53], |v[10:11]|, |v[10:11]|
	s_delay_alu instid0(VALU_DEP_3) | instskip(SKIP_1) | instid1(VALU_DEP_2)
	v_add_f64_e32 v[6:7], v[6:7], v[30:31]
	v_add_f64_e32 v[30:31], v[14:15], v[56:57]
	;; [unrolled: 1-line block ×3, first 2 shown]
	s_delay_alu instid0(VALU_DEP_2) | instskip(SKIP_1) | instid1(VALU_DEP_3)
	v_add_f64_e64 v[14:15], v[30:31], -v[14:15]
	v_max_num_f64_e64 v[32:33], |v[12:13]|, |v[12:13]|
	v_add_f64_e32 v[6:7], v[60:61], v[6:7]
	s_delay_alu instid0(VALU_DEP_3) | instskip(NEXT) | instid1(VALU_DEP_2)
	v_add_f64_e64 v[14:15], v[56:57], -v[14:15]
	v_mul_f64_e32 v[6:7], v[54:55], v[6:7]
	s_delay_alu instid0(VALU_DEP_1) | instskip(SKIP_2) | instid1(VALU_DEP_3)
	v_add_f64_e32 v[6:7], v[14:15], v[6:7]
	v_max_num_f64_e32 v[14:15], v[52:53], v[32:33]
	v_min_num_f64_e32 v[32:33], v[52:53], v[32:33]
	v_add_f64_e32 v[52:53], v[30:31], v[6:7]
	s_delay_alu instid0(VALU_DEP_2) | instskip(NEXT) | instid1(VALU_DEP_2)
	v_div_scale_f64 v[54:55], null, v[14:15], v[14:15], v[32:33]
	v_mul_f64_e32 v[56:57], v[52:53], v[52:53]
	v_add_f64_e64 v[30:31], v[52:53], -v[30:31]
	s_delay_alu instid0(VALU_DEP_3) | instskip(NEXT) | instid1(VALU_DEP_2)
	v_rcp_f64_e32 v[58:59], v[54:55]
	v_fmamk_f64 v[60:61], v[56:57], 0x3fc3ab76bf559e2b, v[40:41]
	v_mul_f64_e32 v[62:63], v[52:53], v[56:57]
	s_delay_alu instid0(VALU_DEP_3) | instskip(NEXT) | instid1(VALU_DEP_3)
	v_add_f64_e64 v[6:7], v[6:7], -v[30:31]
	v_fmaak_f64 v[60:61], v[56:57], v[60:61], 0x3fc7474dd7f4df2e
	s_delay_alu instid0(TRANS32_DEP_1) | instskip(NEXT) | instid1(VALU_DEP_2)
	v_fma_f64 v[64:65], -v[54:55], v[58:59], 1.0
	v_fmaak_f64 v[60:61], v[56:57], v[60:61], 0x3fcc71c016291751
	s_delay_alu instid0(VALU_DEP_1) | instskip(NEXT) | instid1(VALU_DEP_1)
	v_fmaak_f64 v[60:61], v[56:57], v[60:61], 0x3fd249249b27acf1
	v_fmaak_f64 v[60:61], v[56:57], v[60:61], 0x3fd99999998ef7b6
	v_ldexp_f64 v[6:7], v[6:7], 1
	s_delay_alu instid0(VALU_DEP_2) | instskip(SKIP_2) | instid1(VALU_DEP_3)
	v_fmaak_f64 v[56:57], v[56:57], v[60:61], 0x3fe5555555555780
	v_ldexp_f64 v[60:61], v[52:53], 1
	v_fmac_f64_e32 v[58:59], v[58:59], v[64:65]
	v_mul_f64_e32 v[56:57], v[62:63], v[56:57]
	v_cvt_f64_i32_e32 v[62:63], v4
	v_ashrrev_i32_e32 v4, 31, v11
	s_delay_alu instid0(VALU_DEP_1) | instskip(SKIP_4) | instid1(VALU_DEP_3)
	v_and_b32_e32 v16, 0x54442d18, v4
	v_and_b32_e32 v3, 0x400921fb, v4
	v_fma_f64 v[64:65], -v[54:55], v[58:59], 1.0
	v_add_f64_e32 v[52:53], v[60:61], v[56:57]
	v_mul_f64_e32 v[66:67], 0x3fe62e42fefa39ef, v[62:63]
	v_fmac_f64_e32 v[58:59], v[58:59], v[64:65]
	s_delay_alu instid0(VALU_DEP_3) | instskip(SKIP_1) | instid1(VALU_DEP_4)
	v_add_f64_e64 v[30:31], v[52:53], -v[60:61]
	v_div_scale_f64 v[60:61], vcc_lo, v[32:33], v[14:15], v[32:33]
	v_fma_f64 v[64:65], v[62:63], s[30:31], -v[66:67]
	s_delay_alu instid0(VALU_DEP_3) | instskip(NEXT) | instid1(VALU_DEP_3)
	v_add_f64_e64 v[30:31], v[56:57], -v[30:31]
	v_mul_f64_e32 v[56:57], v[60:61], v[58:59]
	s_delay_alu instid0(VALU_DEP_3) | instskip(NEXT) | instid1(VALU_DEP_3)
	v_fmac_f64_e32 v[64:65], 0x3c7abc9e3b39803f, v[62:63]
	v_add_f64_e32 v[6:7], v[6:7], v[30:31]
	s_delay_alu instid0(VALU_DEP_3) | instskip(NEXT) | instid1(VALU_DEP_3)
	v_fma_f64 v[30:31], -v[54:55], v[56:57], v[60:61]
	v_add_f64_e32 v[54:55], v[66:67], v[64:65]
	s_delay_alu instid0(VALU_DEP_3) | instskip(NEXT) | instid1(VALU_DEP_3)
	v_add_f64_e32 v[60:61], v[52:53], v[6:7]
	v_div_fmas_f64 v[30:31], v[30:31], v[58:59], v[56:57]
	v_cmp_gt_i32_e32 vcc_lo, 0, v11
	s_delay_alu instid0(VALU_DEP_4) | instskip(SKIP_2) | instid1(VALU_DEP_2)
	v_add_f64_e64 v[58:59], v[54:55], -v[66:67]
	v_cndmask_b32_e32 v2, 0x3fe921fb, v69, vcc_lo
	v_cndmask_b32_e32 v8, 0x54442d18, v68, vcc_lo
	v_bfi_b32 v2, 0x7fffffff, v2, v13
	v_add_f64_e32 v[56:57], v[54:55], v[60:61]
	v_div_fixup_f64 v[14:15], v[30:31], v[14:15], v[32:33]
	v_add_f64_e64 v[52:53], v[60:61], -v[52:53]
	v_add_f64_e64 v[58:59], v[64:65], -v[58:59]
	s_delay_alu instid0(VALU_DEP_4) | instskip(NEXT) | instid1(VALU_DEP_4)
	v_add_f64_e64 v[30:31], v[56:57], -v[54:55]
	v_mul_f64_e32 v[32:33], v[14:15], v[14:15]
	s_delay_alu instid0(VALU_DEP_4) | instskip(NEXT) | instid1(VALU_DEP_3)
	v_add_f64_e64 v[6:7], v[6:7], -v[52:53]
	v_add_f64_e64 v[62:63], v[56:57], -v[30:31]
	s_delay_alu instid0(VALU_DEP_3) | instskip(SKIP_1) | instid1(VALU_DEP_4)
	v_fmamk_f64 v[66:67], v[32:33], 0x3eeba404b5e68a13, v[42:43]
	v_add_f64_e64 v[30:31], v[60:61], -v[30:31]
	v_add_f64_e32 v[60:61], v[58:59], v[6:7]
	s_delay_alu instid0(VALU_DEP_3) | instskip(NEXT) | instid1(VALU_DEP_1)
	v_fmaak_f64 v[66:67], v[32:33], v[66:67], 0x3f4b2bb069efb384
	v_fmaak_f64 v[66:67], v[32:33], v[66:67], 0xbf67952daf56de9b
	v_add_f64_e64 v[52:53], v[54:55], -v[62:63]
	s_delay_alu instid0(VALU_DEP_2) | instskip(NEXT) | instid1(VALU_DEP_1)
	v_fmaak_f64 v[54:55], v[32:33], v[66:67], 0x3f7d6d43a595c56f
	v_fmaak_f64 v[54:55], v[32:33], v[54:55], 0xbf8c6ea4a57d9582
	s_delay_alu instid0(VALU_DEP_1) | instskip(NEXT) | instid1(VALU_DEP_1)
	v_fmaak_f64 v[54:55], v[32:33], v[54:55], 0x3f967e295f08b19f
	v_fmaak_f64 v[54:55], v[32:33], v[54:55], 0xbf9e9ae6fc27006a
	s_delay_alu instid0(VALU_DEP_1) | instskip(SKIP_1) | instid1(VALU_DEP_2)
	v_fmaak_f64 v[54:55], v[32:33], v[54:55], 0x3fa2c15b5711927a
	v_add_f64_e32 v[30:31], v[30:31], v[52:53]
	v_fmaak_f64 v[52:53], v[32:33], v[54:55], 0xbfa59976e82d3ff0
	v_add_f64_e64 v[54:55], v[60:61], -v[58:59]
	s_delay_alu instid0(VALU_DEP_2) | instskip(NEXT) | instid1(VALU_DEP_1)
	v_fmaak_f64 v[52:53], v[32:33], v[52:53], 0x3fa82d5d6ef28734
	v_fmaak_f64 v[52:53], v[32:33], v[52:53], 0xbfaae5ce6a214619
	s_delay_alu instid0(VALU_DEP_1) | instskip(NEXT) | instid1(VALU_DEP_1)
	v_fmaak_f64 v[52:53], v[32:33], v[52:53], 0x3fae1bb48427b883
	v_fmaak_f64 v[52:53], v[32:33], v[52:53], 0xbfb110e48b207f05
	v_add_f64_e32 v[30:31], v[60:61], v[30:31]
	v_add_f64_e64 v[60:61], v[60:61], -v[54:55]
	v_add_f64_e64 v[6:7], v[6:7], -v[54:55]
	s_delay_alu instid0(VALU_DEP_4) | instskip(NEXT) | instid1(VALU_DEP_1)
	v_fmaak_f64 v[52:53], v[32:33], v[52:53], 0x3fb3b13657b87036
	v_fmaak_f64 v[52:53], v[32:33], v[52:53], 0xbfb745d119378e4f
	s_delay_alu instid0(VALU_DEP_1) | instskip(NEXT) | instid1(VALU_DEP_1)
	v_fmaak_f64 v[52:53], v[32:33], v[52:53], 0x3fbc71c717e1913c
	v_fmaak_f64 v[52:53], v[32:33], v[52:53], 0xbfc2492492376b7d
	v_add_f64_e32 v[62:63], v[56:57], v[30:31]
	s_delay_alu instid0(VALU_DEP_2) | instskip(NEXT) | instid1(VALU_DEP_1)
	v_fmaak_f64 v[52:53], v[32:33], v[52:53], 0x3fc99999999952cc
	v_fmaak_f64 v[52:53], v[32:33], v[52:53], 0xbfd5555555555523
	s_delay_alu instid0(VALU_DEP_1) | instskip(SKIP_2) | instid1(VALU_DEP_3)
	v_mul_f64_e32 v[32:33], v[32:33], v[52:53]
	v_add_f64_e64 v[52:53], v[58:59], -v[60:61]
	v_add_f64_e64 v[54:55], v[62:63], -v[56:57]
	v_fmac_f64_e32 v[14:15], v[14:15], v[32:33]
	s_delay_alu instid0(VALU_DEP_3) | instskip(NEXT) | instid1(VALU_DEP_3)
	v_add_f64_e32 v[6:7], v[6:7], v[52:53]
	v_add_f64_e64 v[30:31], v[30:31], -v[54:55]
	s_delay_alu instid0(VALU_DEP_3) | instskip(NEXT) | instid1(VALU_DEP_2)
	v_add_f64_e64 v[32:33], -v[14:15], s[38:39]
	v_add_f64_e32 v[6:7], v[6:7], v[30:31]
	s_delay_alu instid0(VALU_DEP_2) | instskip(NEXT) | instid1(VALU_DEP_1)
	v_dual_cndmask_b32 v15, v15, v33, s4 :: v_dual_cndmask_b32 v14, v14, v32, s4
	v_add_f64_e64 v[30:31], -v[14:15], s[40:41]
	s_delay_alu instid0(VALU_DEP_3) | instskip(NEXT) | instid1(VALU_DEP_2)
	v_add_f64_e32 v[6:7], v[62:63], v[6:7]
	v_dual_cndmask_b32 v14, v14, v30, vcc_lo :: v_dual_cndmask_b32 v4, v15, v31, vcc_lo
	s_and_b32 vcc_lo, s9, s10
	s_delay_alu instid0(VALU_DEP_1) | instskip(NEXT) | instid1(VALU_DEP_1)
	v_dual_cndmask_b32 v10, v14, v16, s5 :: v_dual_cndmask_b32 v3, v4, v3, s5
	v_dual_mul_f64 v[6:7], 0.5, v[6:7] :: v_dual_cndmask_b32 v32, v10, v8, vcc_lo
	s_delay_alu instid0(VALU_DEP_2) | instskip(NEXT) | instid1(VALU_DEP_2)
	v_cndmask_b32_e32 v33, v3, v2, vcc_lo
	v_cndmask_b32_e64 v31, 0x7ff00000, v7, s6
	s_delay_alu instid0(VALU_DEP_3)
	v_cndmask_b32_e64 v30, 0, v6, s6
                                        ; implicit-def: $vgpr6_vgpr7
.LBB167_281:                            ;   in Loop: Header=BB167_145 Depth=1
	s_and_not1_saveexec_b32 s6, s8
	s_cbranch_execz .LBB167_283
; %bb.282:                              ;   in Loop: Header=BB167_145 Depth=1
	v_max_num_f64_e64 v[2:3], |v[12:13]|, |v[12:13]|
	v_max_num_f64_e64 v[14:15], |v[10:11]|, |v[10:11]|
	v_cmp_eq_f64_e64 s5, 0, v[12:13]
	v_cmp_class_f64_e64 s8, v[12:13], 0x204
	v_cmp_class_f64_e64 s9, v[10:11], 0x204
	v_ashrrev_i32_e32 v4, 31, v11
	s_delay_alu instid0(VALU_DEP_1) | instskip(SKIP_3) | instid1(VALU_DEP_1)
	v_and_b32_e32 v16, 0x54442d18, v4
	v_and_b32_e32 v4, 0x400921fb, v4
	v_max_num_f64_e32 v[30:31], v[14:15], v[2:3]
	v_min_num_f64_e32 v[2:3], v[14:15], v[2:3]
	v_div_scale_f64 v[14:15], null, v[30:31], v[30:31], v[2:3]
	v_div_scale_f64 v[54:55], vcc_lo, v[2:3], v[30:31], v[2:3]
	s_delay_alu instid0(VALU_DEP_2) | instskip(SKIP_1) | instid1(TRANS32_DEP_1)
	v_rcp_f64_e32 v[32:33], v[14:15]
	v_nop
	v_fma_f64 v[52:53], -v[14:15], v[32:33], 1.0
	s_delay_alu instid0(VALU_DEP_1) | instskip(NEXT) | instid1(VALU_DEP_1)
	v_fmac_f64_e32 v[32:33], v[32:33], v[52:53]
	v_fma_f64 v[52:53], -v[14:15], v[32:33], 1.0
	s_delay_alu instid0(VALU_DEP_1) | instskip(NEXT) | instid1(VALU_DEP_1)
	v_fmac_f64_e32 v[32:33], v[32:33], v[52:53]
	v_mul_f64_e32 v[52:53], v[54:55], v[32:33]
	s_delay_alu instid0(VALU_DEP_1) | instskip(NEXT) | instid1(VALU_DEP_1)
	v_fma_f64 v[14:15], -v[14:15], v[52:53], v[54:55]
	v_div_fmas_f64 v[14:15], v[14:15], v[32:33], v[52:53]
	v_cmp_gt_i32_e32 vcc_lo, 0, v11
	v_cndmask_b32_e32 v8, 0x54442d18, v68, vcc_lo
	s_delay_alu instid0(VALU_DEP_3) | instskip(NEXT) | instid1(VALU_DEP_1)
	v_div_fixup_f64 v[2:3], v[14:15], v[30:31], v[2:3]
	v_mul_f64_e32 v[14:15], v[2:3], v[2:3]
	s_delay_alu instid0(VALU_DEP_1) | instskip(NEXT) | instid1(VALU_DEP_1)
	v_fmamk_f64 v[30:31], v[14:15], 0x3eeba404b5e68a13, v[42:43]
	v_fmaak_f64 v[30:31], v[14:15], v[30:31], 0x3f4b2bb069efb384
	s_delay_alu instid0(VALU_DEP_1) | instskip(NEXT) | instid1(VALU_DEP_1)
	v_fmaak_f64 v[30:31], v[14:15], v[30:31], 0xbf67952daf56de9b
	v_fmaak_f64 v[30:31], v[14:15], v[30:31], 0x3f7d6d43a595c56f
	s_delay_alu instid0(VALU_DEP_1) | instskip(NEXT) | instid1(VALU_DEP_1)
	v_fmaak_f64 v[30:31], v[14:15], v[30:31], 0xbf8c6ea4a57d9582
	;; [unrolled: 3-line block ×9, first 2 shown]
	v_mul_f64_e32 v[14:15], v[14:15], v[30:31]
	s_delay_alu instid0(VALU_DEP_1) | instskip(NEXT) | instid1(VALU_DEP_1)
	v_fmac_f64_e32 v[2:3], v[2:3], v[14:15]
	v_add_f64_e64 v[14:15], -v[2:3], s[38:39]
	s_delay_alu instid0(VALU_DEP_1) | instskip(NEXT) | instid1(VALU_DEP_1)
	v_dual_cndmask_b32 v3, v3, v15, s4 :: v_dual_cndmask_b32 v2, v2, v14, s4
	v_add_f64_e64 v[14:15], -v[2:3], s[40:41]
	s_delay_alu instid0(VALU_DEP_1) | instskip(NEXT) | instid1(VALU_DEP_1)
	v_dual_cndmask_b32 v2, v2, v14 :: v_dual_cndmask_b32 v3, v3, v15
	v_dual_mul_f64 v[30:31], 0.5, v[6:7] :: v_dual_cndmask_b32 v2, v2, v16, s5
	s_delay_alu instid0(VALU_DEP_2) | instskip(NEXT) | instid1(VALU_DEP_2)
	v_cndmask_b32_e64 v3, v3, v4, s5
	v_mul_f64_e32 v[30:31], v[6:7], v[30:31]
	v_cndmask_b32_e32 v6, 0x3fe921fb, v69, vcc_lo
	s_and_b32 vcc_lo, s8, s9
	v_cndmask_b32_e32 v32, v2, v8, vcc_lo
	s_delay_alu instid0(VALU_DEP_2) | instskip(NEXT) | instid1(VALU_DEP_1)
	v_bfi_b32 v6, 0x7fffffff, v6, v13
	v_cndmask_b32_e32 v33, v3, v6, vcc_lo
.LBB167_283:                            ;   in Loop: Header=BB167_145 Depth=1
	s_or_b32 exec_lo, exec_lo, s6
.LBB167_284:                            ;   in Loop: Header=BB167_145 Depth=1
	s_delay_alu instid0(SALU_CYCLE_1)
	s_or_b32 exec_lo, exec_lo, s7
.LBB167_285:                            ;   in Loop: Header=BB167_145 Depth=1
	s_and_not1_saveexec_b32 s6, s33
	s_cbranch_execz .LBB167_287
; %bb.286:                              ;   in Loop: Header=BB167_145 Depth=1
	v_div_scale_f64 v[2:3], null, s[46:47], s[46:47], v[10:11]
	v_div_scale_f64 v[6:7], null, s[46:47], s[46:47], v[12:13]
	v_div_scale_f64 v[54:55], vcc_lo, v[10:11], s[46:47], v[10:11]
	s_delay_alu instid0(VALU_DEP_3) | instskip(NEXT) | instid1(VALU_DEP_2)
	v_rcp_f64_e32 v[14:15], v[2:3]
	v_rcp_f64_e32 v[30:31], v[6:7]
	s_delay_alu instid0(TRANS32_DEP_2) | instskip(NEXT) | instid1(TRANS32_DEP_1)
	v_fma_f64 v[32:33], -v[2:3], v[14:15], 1.0
	v_fma_f64 v[52:53], -v[6:7], v[30:31], 1.0
	s_delay_alu instid0(VALU_DEP_2) | instskip(NEXT) | instid1(VALU_DEP_2)
	v_fmac_f64_e32 v[14:15], v[14:15], v[32:33]
	v_fmac_f64_e32 v[30:31], v[30:31], v[52:53]
	s_delay_alu instid0(VALU_DEP_2) | instskip(NEXT) | instid1(VALU_DEP_2)
	v_fma_f64 v[32:33], -v[2:3], v[14:15], 1.0
	v_fma_f64 v[52:53], -v[6:7], v[30:31], 1.0
	s_delay_alu instid0(VALU_DEP_2) | instskip(SKIP_1) | instid1(VALU_DEP_3)
	v_fmac_f64_e32 v[14:15], v[14:15], v[32:33]
	v_div_scale_f64 v[32:33], s5, v[12:13], s[46:47], v[12:13]
	v_fmac_f64_e32 v[30:31], v[30:31], v[52:53]
	s_delay_alu instid0(VALU_DEP_3) | instskip(NEXT) | instid1(VALU_DEP_2)
	v_mul_f64_e32 v[52:53], v[54:55], v[14:15]
	v_mul_f64_e32 v[56:57], v[32:33], v[30:31]
	s_delay_alu instid0(VALU_DEP_2) | instskip(NEXT) | instid1(VALU_DEP_2)
	v_fma_f64 v[2:3], -v[2:3], v[52:53], v[54:55]
	v_fma_f64 v[6:7], -v[6:7], v[56:57], v[32:33]
	s_delay_alu instid0(VALU_DEP_2) | instskip(SKIP_1) | instid1(VALU_DEP_2)
	v_div_fmas_f64 v[2:3], v[2:3], v[14:15], v[52:53]
	s_mov_b32 vcc_lo, s5
	v_div_fmas_f64 v[6:7], v[6:7], v[30:31], v[56:57]
	s_delay_alu instid0(VALU_DEP_2) | instskip(NEXT) | instid1(VALU_DEP_2)
	v_div_fixup_f64 v[2:3], v[2:3], s[46:47], v[10:11]
	v_div_fixup_f64 v[6:7], v[6:7], s[46:47], v[12:13]
	s_delay_alu instid0(VALU_DEP_2) | instskip(NEXT) | instid1(VALU_DEP_2)
	v_cmp_class_f64_e64 s5, v[2:3], 0x204
	v_max_num_f64_e64 v[14:15], |v[2:3]|, |v[6:7]|
	v_cmp_class_f64_e64 s7, v[6:7], 0x204
	s_delay_alu instid0(VALU_DEP_2) | instskip(SKIP_2) | instid1(VALU_DEP_2)
	v_frexp_exp_i32_f64_e32 v4, v[14:15]
	s_or_b32 s5, s7, s5
	v_cmp_class_f64_e64 s7, v[10:11], 0x204
	v_sub_nc_u32_e32 v8, 0, v4
	s_delay_alu instid0(VALU_DEP_1) | instskip(SKIP_1) | instid1(VALU_DEP_2)
	v_ldexp_f64 v[14:15], |v[6:7]|, v8
	v_ldexp_f64 v[30:31], |v[2:3]|, v8
	v_mul_f64_e32 v[14:15], v[14:15], v[14:15]
	s_delay_alu instid0(VALU_DEP_1) | instskip(NEXT) | instid1(VALU_DEP_1)
	v_fmac_f64_e32 v[14:15], v[30:31], v[30:31]
	v_rsq_f64_e32 v[30:31], v[14:15]
	v_cmp_eq_f64_e32 vcc_lo, 0, v[14:15]
	s_delay_alu instid0(TRANS32_DEP_1) | instskip(SKIP_1) | instid1(VALU_DEP_1)
	v_mul_f64_e32 v[32:33], v[14:15], v[30:31]
	v_mul_f64_e32 v[30:31], 0.5, v[30:31]
	v_fma_f64 v[52:53], -v[30:31], v[32:33], 0.5
	s_delay_alu instid0(VALU_DEP_1) | instskip(SKIP_1) | instid1(VALU_DEP_2)
	v_fmac_f64_e32 v[32:33], v[32:33], v[52:53]
	v_fmac_f64_e32 v[30:31], v[30:31], v[52:53]
	v_fma_f64 v[52:53], -v[32:33], v[32:33], v[14:15]
	s_delay_alu instid0(VALU_DEP_1) | instskip(NEXT) | instid1(VALU_DEP_1)
	v_fmac_f64_e32 v[32:33], v[52:53], v[30:31]
	v_dual_cndmask_b32 v15, v33, v15 :: v_dual_cndmask_b32 v14, v32, v14
	v_cmp_o_f64_e32 vcc_lo, v[2:3], v[6:7]
	s_delay_alu instid0(VALU_DEP_2) | instskip(NEXT) | instid1(VALU_DEP_1)
	v_ldexp_f64 v[14:15], v[14:15], v4
	v_cndmask_b32_e32 v2, 0, v14, vcc_lo
	s_delay_alu instid0(VALU_DEP_2) | instskip(NEXT) | instid1(VALU_DEP_2)
	v_cndmask_b32_e32 v3, 0x7ff80000, v15, vcc_lo
	v_cndmask_b32_e64 v2, v2, 0, s5
	s_delay_alu instid0(VALU_DEP_2) | instskip(SKIP_1) | instid1(VALU_DEP_2)
	v_cndmask_b32_e64 v3, v3, 0x7ff00000, s5
	v_cmp_class_f64_e64 s5, v[12:13], 0x204
	v_frexp_mant_f64_e32 v[6:7], v[2:3]
	s_delay_alu instid0(VALU_DEP_1) | instskip(SKIP_1) | instid1(VALU_DEP_1)
	v_cmp_gt_f64_e32 vcc_lo, s[28:29], v[6:7]
	v_cndmask_b32_e64 v4, 0, 1, vcc_lo
	v_ldexp_f64 v[6:7], v[6:7], v4
	v_frexp_exp_i32_f64_e32 v4, v[2:3]
	s_delay_alu instid0(VALU_DEP_2) | instskip(SKIP_1) | instid1(VALU_DEP_3)
	v_add_f64_e32 v[14:15], 1.0, v[6:7]
	v_add_f64_e32 v[52:53], -1.0, v[6:7]
	v_subrev_co_ci_u32_e64 v4, null, 0, v4, vcc_lo
	s_delay_alu instid0(VALU_DEP_3) | instskip(SKIP_1) | instid1(VALU_DEP_1)
	v_rcp_f64_e32 v[30:31], v[14:15]
	v_add_f64_e32 v[54:55], -1.0, v[14:15]
	v_add_f64_e64 v[6:7], v[6:7], -v[54:55]
	s_delay_alu instid0(TRANS32_DEP_1) | instskip(NEXT) | instid1(VALU_DEP_1)
	v_fma_f64 v[32:33], -v[14:15], v[30:31], 1.0
	v_fmac_f64_e32 v[30:31], v[32:33], v[30:31]
	s_delay_alu instid0(VALU_DEP_1) | instskip(NEXT) | instid1(VALU_DEP_1)
	v_fma_f64 v[32:33], -v[14:15], v[30:31], 1.0
	v_fmac_f64_e32 v[30:31], v[32:33], v[30:31]
	s_delay_alu instid0(VALU_DEP_1) | instskip(NEXT) | instid1(VALU_DEP_1)
	v_mul_f64_e32 v[32:33], v[52:53], v[30:31]
	v_mul_f64_e32 v[56:57], v[14:15], v[32:33]
	s_delay_alu instid0(VALU_DEP_1) | instskip(NEXT) | instid1(VALU_DEP_1)
	v_fma_f64 v[14:15], v[32:33], v[14:15], -v[56:57]
	v_fmac_f64_e32 v[14:15], v[32:33], v[6:7]
	s_delay_alu instid0(VALU_DEP_1) | instskip(NEXT) | instid1(VALU_DEP_1)
	v_add_f64_e32 v[6:7], v[56:57], v[14:15]
	v_add_f64_e64 v[54:55], v[52:53], -v[6:7]
	v_add_f64_e64 v[56:57], v[6:7], -v[56:57]
	s_delay_alu instid0(VALU_DEP_2) | instskip(NEXT) | instid1(VALU_DEP_2)
	v_add_f64_e64 v[52:53], v[52:53], -v[54:55]
	v_add_f64_e64 v[14:15], v[56:57], -v[14:15]
	s_delay_alu instid0(VALU_DEP_2) | instskip(SKIP_1) | instid1(VALU_DEP_2)
	v_add_f64_e64 v[6:7], v[52:53], -v[6:7]
	v_max_num_f64_e64 v[52:53], |v[10:11]|, |v[10:11]|
	v_add_f64_e32 v[6:7], v[14:15], v[6:7]
	v_max_num_f64_e64 v[14:15], |v[12:13]|, |v[12:13]|
	s_delay_alu instid0(VALU_DEP_2) | instskip(NEXT) | instid1(VALU_DEP_1)
	v_add_f64_e32 v[6:7], v[54:55], v[6:7]
	v_mul_f64_e32 v[6:7], v[30:31], v[6:7]
	s_delay_alu instid0(VALU_DEP_3) | instskip(SKIP_1) | instid1(VALU_DEP_3)
	v_max_num_f64_e32 v[30:31], v[52:53], v[14:15]
	v_min_num_f64_e32 v[14:15], v[52:53], v[14:15]
	v_add_f64_e32 v[52:53], v[32:33], v[6:7]
	s_delay_alu instid0(VALU_DEP_2) | instskip(NEXT) | instid1(VALU_DEP_2)
	v_div_scale_f64 v[54:55], null, v[30:31], v[30:31], v[14:15]
	v_mul_f64_e32 v[56:57], v[52:53], v[52:53]
	v_add_f64_e64 v[32:33], v[52:53], -v[32:33]
	s_delay_alu instid0(VALU_DEP_3) | instskip(NEXT) | instid1(VALU_DEP_2)
	v_rcp_f64_e32 v[58:59], v[54:55]
	v_fmamk_f64 v[60:61], v[56:57], 0x3fc3ab76bf559e2b, v[40:41]
	v_mul_f64_e32 v[62:63], v[52:53], v[56:57]
	s_delay_alu instid0(VALU_DEP_3) | instskip(NEXT) | instid1(VALU_DEP_3)
	v_add_f64_e64 v[6:7], v[6:7], -v[32:33]
	v_fmaak_f64 v[60:61], v[56:57], v[60:61], 0x3fc7474dd7f4df2e
	s_delay_alu instid0(TRANS32_DEP_1) | instskip(NEXT) | instid1(VALU_DEP_2)
	v_fma_f64 v[64:65], -v[54:55], v[58:59], 1.0
	v_fmaak_f64 v[60:61], v[56:57], v[60:61], 0x3fcc71c016291751
	s_delay_alu instid0(VALU_DEP_1) | instskip(NEXT) | instid1(VALU_DEP_1)
	v_fmaak_f64 v[60:61], v[56:57], v[60:61], 0x3fd249249b27acf1
	v_fmaak_f64 v[60:61], v[56:57], v[60:61], 0x3fd99999998ef7b6
	v_ldexp_f64 v[6:7], v[6:7], 1
	s_delay_alu instid0(VALU_DEP_2) | instskip(SKIP_2) | instid1(VALU_DEP_3)
	v_fmaak_f64 v[56:57], v[56:57], v[60:61], 0x3fe5555555555780
	v_ldexp_f64 v[60:61], v[52:53], 1
	v_fmac_f64_e32 v[58:59], v[58:59], v[64:65]
	v_mul_f64_e32 v[56:57], v[62:63], v[56:57]
	v_cvt_f64_i32_e32 v[62:63], v4
	v_ashrrev_i32_e32 v4, 31, v11
	s_delay_alu instid0(VALU_DEP_1) | instskip(SKIP_4) | instid1(VALU_DEP_3)
	v_and_b32_e32 v16, 0x54442d18, v4
	v_and_b32_e32 v4, 0x400921fb, v4
	v_fma_f64 v[64:65], -v[54:55], v[58:59], 1.0
	v_add_f64_e32 v[52:53], v[60:61], v[56:57]
	v_mul_f64_e32 v[66:67], 0x3fe62e42fefa39ef, v[62:63]
	v_fmac_f64_e32 v[58:59], v[58:59], v[64:65]
	s_delay_alu instid0(VALU_DEP_3) | instskip(SKIP_1) | instid1(VALU_DEP_4)
	v_add_f64_e64 v[32:33], v[52:53], -v[60:61]
	v_div_scale_f64 v[60:61], vcc_lo, v[14:15], v[30:31], v[14:15]
	v_fma_f64 v[64:65], v[62:63], s[30:31], -v[66:67]
	s_delay_alu instid0(VALU_DEP_3) | instskip(NEXT) | instid1(VALU_DEP_3)
	v_add_f64_e64 v[32:33], v[56:57], -v[32:33]
	v_mul_f64_e32 v[56:57], v[60:61], v[58:59]
	s_delay_alu instid0(VALU_DEP_3) | instskip(NEXT) | instid1(VALU_DEP_3)
	v_fmac_f64_e32 v[64:65], 0x3c7abc9e3b39803f, v[62:63]
	v_add_f64_e32 v[6:7], v[6:7], v[32:33]
	s_delay_alu instid0(VALU_DEP_3) | instskip(NEXT) | instid1(VALU_DEP_3)
	v_fma_f64 v[32:33], -v[54:55], v[56:57], v[60:61]
	v_add_f64_e32 v[54:55], v[66:67], v[64:65]
	s_delay_alu instid0(VALU_DEP_3) | instskip(NEXT) | instid1(VALU_DEP_3)
	v_add_f64_e32 v[60:61], v[52:53], v[6:7]
	v_div_fmas_f64 v[32:33], v[32:33], v[58:59], v[56:57]
	v_cmp_class_f64_e64 vcc_lo, v[2:3], 0x204
	s_delay_alu instid0(VALU_DEP_4) | instskip(NEXT) | instid1(VALU_DEP_4)
	v_add_f64_e64 v[58:59], v[54:55], -v[66:67]
	v_add_f64_e32 v[56:57], v[54:55], v[60:61]
	s_delay_alu instid0(VALU_DEP_4) | instskip(SKIP_1) | instid1(VALU_DEP_4)
	v_div_fixup_f64 v[14:15], v[32:33], v[30:31], v[14:15]
	v_add_f64_e64 v[52:53], v[60:61], -v[52:53]
	v_add_f64_e64 v[58:59], v[64:65], -v[58:59]
	s_delay_alu instid0(VALU_DEP_4) | instskip(NEXT) | instid1(VALU_DEP_4)
	v_add_f64_e64 v[30:31], v[56:57], -v[54:55]
	v_mul_f64_e32 v[32:33], v[14:15], v[14:15]
	s_delay_alu instid0(VALU_DEP_4) | instskip(NEXT) | instid1(VALU_DEP_3)
	v_add_f64_e64 v[6:7], v[6:7], -v[52:53]
	v_add_f64_e64 v[62:63], v[56:57], -v[30:31]
	s_delay_alu instid0(VALU_DEP_3) | instskip(SKIP_1) | instid1(VALU_DEP_4)
	v_fmamk_f64 v[66:67], v[32:33], 0x3eeba404b5e68a13, v[42:43]
	v_add_f64_e64 v[30:31], v[60:61], -v[30:31]
	v_add_f64_e32 v[60:61], v[58:59], v[6:7]
	s_delay_alu instid0(VALU_DEP_3) | instskip(SKIP_1) | instid1(VALU_DEP_2)
	v_fmaak_f64 v[66:67], v[32:33], v[66:67], 0x3f4b2bb069efb384
	v_add_f64_e64 v[52:53], v[54:55], -v[62:63]
	v_fmaak_f64 v[54:55], v[32:33], v[66:67], 0xbf67952daf56de9b
	s_delay_alu instid0(VALU_DEP_1) | instskip(NEXT) | instid1(VALU_DEP_1)
	v_fmaak_f64 v[54:55], v[32:33], v[54:55], 0x3f7d6d43a595c56f
	v_fmaak_f64 v[54:55], v[32:33], v[54:55], 0xbf8c6ea4a57d9582
	s_delay_alu instid0(VALU_DEP_1) | instskip(SKIP_1) | instid1(VALU_DEP_2)
	v_fmaak_f64 v[54:55], v[32:33], v[54:55], 0x3f967e295f08b19f
	v_add_f64_e32 v[30:31], v[30:31], v[52:53]
	v_fmaak_f64 v[52:53], v[32:33], v[54:55], 0xbf9e9ae6fc27006a
	v_add_f64_e64 v[54:55], v[60:61], -v[58:59]
	s_delay_alu instid0(VALU_DEP_2) | instskip(NEXT) | instid1(VALU_DEP_1)
	v_fmaak_f64 v[52:53], v[32:33], v[52:53], 0x3fa2c15b5711927a
	v_fmaak_f64 v[52:53], v[32:33], v[52:53], 0xbfa59976e82d3ff0
	s_delay_alu instid0(VALU_DEP_1) | instskip(NEXT) | instid1(VALU_DEP_1)
	v_fmaak_f64 v[52:53], v[32:33], v[52:53], 0x3fa82d5d6ef28734
	v_fmaak_f64 v[52:53], v[32:33], v[52:53], 0xbfaae5ce6a214619
	v_add_f64_e32 v[30:31], v[60:61], v[30:31]
	v_add_f64_e64 v[60:61], v[60:61], -v[54:55]
	v_add_f64_e64 v[6:7], v[6:7], -v[54:55]
	s_delay_alu instid0(VALU_DEP_4) | instskip(NEXT) | instid1(VALU_DEP_1)
	v_fmaak_f64 v[52:53], v[32:33], v[52:53], 0x3fae1bb48427b883
	v_fmaak_f64 v[52:53], v[32:33], v[52:53], 0xbfb110e48b207f05
	s_delay_alu instid0(VALU_DEP_1) | instskip(NEXT) | instid1(VALU_DEP_1)
	v_fmaak_f64 v[52:53], v[32:33], v[52:53], 0x3fb3b13657b87036
	v_fmaak_f64 v[52:53], v[32:33], v[52:53], 0xbfb745d119378e4f
	s_delay_alu instid0(VALU_DEP_1) | instskip(SKIP_1) | instid1(VALU_DEP_2)
	v_fmaak_f64 v[52:53], v[32:33], v[52:53], 0x3fbc71c717e1913c
	v_add_f64_e32 v[62:63], v[56:57], v[30:31]
	v_fmaak_f64 v[52:53], v[32:33], v[52:53], 0xbfc2492492376b7d
	s_delay_alu instid0(VALU_DEP_1) | instskip(NEXT) | instid1(VALU_DEP_1)
	v_fmaak_f64 v[52:53], v[32:33], v[52:53], 0x3fc99999999952cc
	v_fmaak_f64 v[52:53], v[32:33], v[52:53], 0xbfd5555555555523
	s_delay_alu instid0(VALU_DEP_1) | instskip(SKIP_2) | instid1(VALU_DEP_3)
	v_mul_f64_e32 v[32:33], v[32:33], v[52:53]
	v_add_f64_e64 v[52:53], v[58:59], -v[60:61]
	v_add_f64_e64 v[54:55], v[62:63], -v[56:57]
	v_fmac_f64_e32 v[14:15], v[14:15], v[32:33]
	s_delay_alu instid0(VALU_DEP_3) | instskip(NEXT) | instid1(VALU_DEP_3)
	v_add_f64_e32 v[6:7], v[6:7], v[52:53]
	v_add_f64_e64 v[30:31], v[30:31], -v[54:55]
	s_delay_alu instid0(VALU_DEP_3) | instskip(NEXT) | instid1(VALU_DEP_2)
	v_add_f64_e64 v[32:33], -v[14:15], s[38:39]
	v_add_f64_e32 v[6:7], v[6:7], v[30:31]
	s_delay_alu instid0(VALU_DEP_2) | instskip(SKIP_1) | instid1(VALU_DEP_3)
	v_dual_cndmask_b32 v15, v15, v33, s4 :: v_dual_cndmask_b32 v14, v14, v32, s4
	v_cmp_gt_i32_e64 s4, 0, v11
	v_add_f64_e32 v[6:7], v[62:63], v[6:7]
	s_delay_alu instid0(VALU_DEP_3) | instskip(NEXT) | instid1(VALU_DEP_3)
	v_add_f64_e64 v[30:31], -v[14:15], s[40:41]
	v_cndmask_b32_e64 v8, 0x54442d18, v68, s4
	v_cndmask_b32_e64 v10, 0x3fe921fb, v69, s4
	s_delay_alu instid0(VALU_DEP_1) | instskip(SKIP_4) | instid1(VALU_DEP_2)
	v_bfi_b32 v10, 0x7fffffff, v10, v13
	v_dual_cndmask_b32 v7, v7, v3 :: v_dual_cndmask_b32 v6, v6, v2
	v_cmp_eq_f64_e32 vcc_lo, 0, v[12:13]
	v_dual_cndmask_b32 v14, v14, v30, s4 :: v_dual_cndmask_b32 v11, v15, v31, s4
	v_cmp_nge_f64_e64 s4, 0, v[2:3]
	v_dual_add_f64 v[6:7], 1.0, v[6:7] :: v_dual_cndmask_b32 v14, v14, v16, vcc_lo
	s_delay_alu instid0(VALU_DEP_3) | instskip(SKIP_1) | instid1(VALU_DEP_3)
	v_cndmask_b32_e32 v4, v11, v4, vcc_lo
	v_cmp_ngt_f64_e32 vcc_lo, 0, v[2:3]
	v_cndmask_b32_e64 v30, 0, v6, s4
	v_cmp_neq_f64_e64 s4, 0, v[2:3]
	v_cndmask_b32_e32 v7, 0x7ff80000, v7, vcc_lo
	s_and_b32 vcc_lo, s5, s7
	v_dual_cndmask_b32 v33, v4, v10 :: v_dual_cndmask_b32 v32, v14, v8
	s_delay_alu instid0(VALU_DEP_2)
	v_cndmask_b32_e64 v31, 0xfff00000, v7, s4
.LBB167_287:                            ;   in Loop: Header=BB167_145 Depth=1
	s_or_b32 exec_lo, exec_lo, s6
	s_and_not1_saveexec_b32 s4, s15
	s_cbranch_execz .LBB167_257
.LBB167_288:                            ;   in Loop: Header=BB167_145 Depth=1
	v_cmp_ngt_f64_e64 s5, 0x20000000, |v[10:11]|
	v_cmp_ngt_f64_e64 s6, 0x20000000, |v[12:13]|
                                        ; implicit-def: $vgpr2_vgpr3
	s_or_b32 s5, s6, s5
	s_delay_alu instid0(SALU_CYCLE_1) | instskip(NEXT) | instid1(SALU_CYCLE_1)
	s_and_saveexec_b32 s6, s5
	s_xor_b32 s5, exec_lo, s6
	s_cbranch_execz .LBB167_290
; %bb.289:                              ;   in Loop: Header=BB167_145 Depth=1
	v_mul_f64_e32 v[2:3], v[10:11], v[10:11]
	s_delay_alu instid0(VALU_DEP_1)
	v_fmac_f64_e32 v[2:3], v[12:13], v[12:13]
.LBB167_290:                            ;   in Loop: Header=BB167_145 Depth=1
	s_and_not1_saveexec_b32 s5, s5
	s_cbranch_execz .LBB167_292
; %bb.291:                              ;   in Loop: Header=BB167_145 Depth=1
	v_mul_f64_e32 v[2:3], 4.0, v[10:11]
	v_mul_f64_e32 v[6:7], 4.0, v[12:13]
	s_delay_alu instid0(VALU_DEP_2) | instskip(NEXT) | instid1(VALU_DEP_1)
	v_mul_f64_e32 v[2:3], v[2:3], v[2:3]
	v_fmac_f64_e32 v[2:3], v[6:7], v[6:7]
	s_delay_alu instid0(VALU_DEP_1)
	v_ldexp_f64 v[2:3], v[2:3], -4
.LBB167_292:                            ;   in Loop: Header=BB167_145 Depth=1
	s_or_b32 exec_lo, exec_lo, s5
	s_delay_alu instid0(VALU_DEP_1) | instskip(NEXT) | instid1(VALU_DEP_1)
	v_frexp_mant_f64_e32 v[6:7], v[2:3]
	v_cmp_gt_f64_e32 vcc_lo, s[28:29], v[6:7]
	v_cndmask_b32_e64 v4, 0, 1, vcc_lo
	s_delay_alu instid0(VALU_DEP_1) | instskip(SKIP_1) | instid1(VALU_DEP_2)
	v_ldexp_f64 v[6:7], v[6:7], v4
	v_frexp_exp_i32_f64_e32 v4, v[2:3]
	v_add_f64_e32 v[10:11], 1.0, v[6:7]
	v_add_f64_e32 v[32:33], -1.0, v[6:7]
	s_delay_alu instid0(VALU_DEP_3) | instskip(SKIP_1) | instid1(VALU_DEP_4)
	v_subrev_co_ci_u32_e64 v4, null, 0, v4, vcc_lo
	v_cmp_class_f64_e64 vcc_lo, v[2:3], 0x204
	v_rcp_f64_e32 v[14:15], v[10:11]
	v_add_f64_e32 v[52:53], -1.0, v[10:11]
	s_delay_alu instid0(VALU_DEP_1) | instskip(NEXT) | instid1(TRANS32_DEP_1)
	v_add_f64_e64 v[6:7], v[6:7], -v[52:53]
	v_fma_f64 v[30:31], -v[10:11], v[14:15], 1.0
	s_delay_alu instid0(VALU_DEP_1) | instskip(NEXT) | instid1(VALU_DEP_1)
	v_fmac_f64_e32 v[14:15], v[30:31], v[14:15]
	v_fma_f64 v[30:31], -v[10:11], v[14:15], 1.0
	s_delay_alu instid0(VALU_DEP_1) | instskip(NEXT) | instid1(VALU_DEP_1)
	v_fmac_f64_e32 v[14:15], v[30:31], v[14:15]
	v_mul_f64_e32 v[30:31], v[32:33], v[14:15]
	s_delay_alu instid0(VALU_DEP_1) | instskip(NEXT) | instid1(VALU_DEP_1)
	v_mul_f64_e32 v[54:55], v[10:11], v[30:31]
	v_fma_f64 v[10:11], v[30:31], v[10:11], -v[54:55]
	s_delay_alu instid0(VALU_DEP_1) | instskip(NEXT) | instid1(VALU_DEP_1)
	v_fmac_f64_e32 v[10:11], v[30:31], v[6:7]
	v_add_f64_e32 v[6:7], v[54:55], v[10:11]
	s_delay_alu instid0(VALU_DEP_1) | instskip(SKIP_1) | instid1(VALU_DEP_2)
	v_add_f64_e64 v[52:53], v[32:33], -v[6:7]
	v_add_f64_e64 v[54:55], v[6:7], -v[54:55]
	;; [unrolled: 1-line block ×3, first 2 shown]
	s_delay_alu instid0(VALU_DEP_2) | instskip(NEXT) | instid1(VALU_DEP_2)
	v_add_f64_e64 v[10:11], v[54:55], -v[10:11]
	v_add_f64_e64 v[6:7], v[32:33], -v[6:7]
	s_delay_alu instid0(VALU_DEP_1) | instskip(NEXT) | instid1(VALU_DEP_1)
	v_add_f64_e32 v[6:7], v[10:11], v[6:7]
	v_add_f64_e32 v[6:7], v[52:53], v[6:7]
	s_delay_alu instid0(VALU_DEP_1) | instskip(NEXT) | instid1(VALU_DEP_1)
	v_mul_f64_e32 v[6:7], v[14:15], v[6:7]
	v_add_f64_e32 v[10:11], v[30:31], v[6:7]
	s_delay_alu instid0(VALU_DEP_1) | instskip(NEXT) | instid1(VALU_DEP_1)
	v_mul_f64_e32 v[14:15], v[10:11], v[10:11]
	v_fmamk_f64 v[32:33], v[14:15], 0x3fc3ab76bf559e2b, v[40:41]
	v_mul_f64_e32 v[52:53], v[10:11], v[14:15]
	s_delay_alu instid0(VALU_DEP_2) | instskip(NEXT) | instid1(VALU_DEP_1)
	v_fmaak_f64 v[32:33], v[14:15], v[32:33], 0x3fc7474dd7f4df2e
	v_fmaak_f64 v[32:33], v[14:15], v[32:33], 0x3fcc71c016291751
	s_delay_alu instid0(VALU_DEP_1) | instskip(NEXT) | instid1(VALU_DEP_1)
	v_fmaak_f64 v[32:33], v[14:15], v[32:33], 0x3fd249249b27acf1
	v_fmaak_f64 v[32:33], v[14:15], v[32:33], 0x3fd99999998ef7b6
	s_delay_alu instid0(VALU_DEP_1) | instskip(SKIP_2) | instid1(VALU_DEP_3)
	v_fmaak_f64 v[14:15], v[14:15], v[32:33], 0x3fe5555555555780
	v_ldexp_f64 v[32:33], v[10:11], 1
	v_add_f64_e64 v[10:11], v[10:11], -v[30:31]
	v_mul_f64_e32 v[14:15], v[52:53], v[14:15]
	v_cvt_f64_i32_e32 v[52:53], v4
	s_delay_alu instid0(VALU_DEP_3) | instskip(NEXT) | instid1(VALU_DEP_3)
	v_add_f64_e64 v[6:7], v[6:7], -v[10:11]
	v_add_f64_e32 v[30:31], v[32:33], v[14:15]
	s_delay_alu instid0(VALU_DEP_3) | instskip(NEXT) | instid1(VALU_DEP_3)
	v_mul_f64_e32 v[54:55], 0x3fe62e42fefa39ef, v[52:53]
	v_ldexp_f64 v[6:7], v[6:7], 1
	s_delay_alu instid0(VALU_DEP_3) | instskip(NEXT) | instid1(VALU_DEP_3)
	v_add_f64_e64 v[10:11], v[30:31], -v[32:33]
	v_fma_f64 v[32:33], v[52:53], s[30:31], -v[54:55]
	s_delay_alu instid0(VALU_DEP_2) | instskip(NEXT) | instid1(VALU_DEP_2)
	v_add_f64_e64 v[10:11], v[14:15], -v[10:11]
	v_fmac_f64_e32 v[32:33], 0x3c7abc9e3b39803f, v[52:53]
	s_delay_alu instid0(VALU_DEP_2) | instskip(NEXT) | instid1(VALU_DEP_2)
	v_add_f64_e32 v[6:7], v[6:7], v[10:11]
	v_add_f64_e32 v[10:11], v[54:55], v[32:33]
	s_delay_alu instid0(VALU_DEP_2) | instskip(NEXT) | instid1(VALU_DEP_2)
	v_add_f64_e32 v[14:15], v[30:31], v[6:7]
	v_add_f64_e64 v[54:55], v[10:11], -v[54:55]
	s_delay_alu instid0(VALU_DEP_2) | instskip(SKIP_1) | instid1(VALU_DEP_3)
	v_add_f64_e32 v[52:53], v[10:11], v[14:15]
	v_add_f64_e64 v[30:31], v[14:15], -v[30:31]
	v_add_f64_e64 v[32:33], v[32:33], -v[54:55]
	s_delay_alu instid0(VALU_DEP_3) | instskip(NEXT) | instid1(VALU_DEP_3)
	v_add_f64_e64 v[56:57], v[52:53], -v[10:11]
	v_add_f64_e64 v[6:7], v[6:7], -v[30:31]
	s_delay_alu instid0(VALU_DEP_2) | instskip(SKIP_1) | instid1(VALU_DEP_3)
	v_add_f64_e64 v[58:59], v[52:53], -v[56:57]
	v_add_f64_e64 v[14:15], v[14:15], -v[56:57]
	v_add_f64_e32 v[30:31], v[32:33], v[6:7]
	s_delay_alu instid0(VALU_DEP_3) | instskip(NEXT) | instid1(VALU_DEP_1)
	v_add_f64_e64 v[10:11], v[10:11], -v[58:59]
	v_add_f64_e32 v[10:11], v[14:15], v[10:11]
	s_delay_alu instid0(VALU_DEP_3) | instskip(NEXT) | instid1(VALU_DEP_2)
	v_add_f64_e64 v[14:15], v[30:31], -v[32:33]
	v_add_f64_e32 v[10:11], v[30:31], v[10:11]
	s_delay_alu instid0(VALU_DEP_2) | instskip(SKIP_1) | instid1(VALU_DEP_3)
	v_add_f64_e64 v[30:31], v[30:31], -v[14:15]
	v_add_f64_e64 v[6:7], v[6:7], -v[14:15]
	v_add_f64_e32 v[54:55], v[52:53], v[10:11]
	s_delay_alu instid0(VALU_DEP_3) | instskip(SKIP_1) | instid1(VALU_DEP_3)
	v_add_f64_e64 v[14:15], v[32:33], -v[30:31]
	v_mov_b64_e32 v[32:33], 0x7ff8000000000000
	v_add_f64_e64 v[30:31], v[54:55], -v[52:53]
	s_delay_alu instid0(VALU_DEP_3) | instskip(NEXT) | instid1(VALU_DEP_2)
	v_add_f64_e32 v[6:7], v[6:7], v[14:15]
	v_add_f64_e64 v[10:11], v[10:11], -v[30:31]
	s_delay_alu instid0(VALU_DEP_1) | instskip(NEXT) | instid1(VALU_DEP_1)
	v_add_f64_e32 v[6:7], v[6:7], v[10:11]
	v_add_f64_e32 v[6:7], v[54:55], v[6:7]
	s_delay_alu instid0(VALU_DEP_1) | instskip(SKIP_1) | instid1(VALU_DEP_2)
	v_dual_cndmask_b32 v4, v6, v2, vcc_lo :: v_dual_cndmask_b32 v6, v7, v3, vcc_lo
	v_cmp_ngt_f64_e32 vcc_lo, 0, v[2:3]
	v_cndmask_b32_e32 v6, 0x7ff80000, v6, vcc_lo
	v_cmp_nge_f64_e32 vcc_lo, 0, v[2:3]
	s_delay_alu instid0(VALU_DEP_4) | instskip(SKIP_1) | instid1(VALU_DEP_4)
	v_cndmask_b32_e32 v30, 0, v4, vcc_lo
	v_cmp_neq_f64_e32 vcc_lo, 0, v[2:3]
	v_cndmask_b32_e32 v31, 0xfff00000, v6, vcc_lo
	s_or_b32 exec_lo, exec_lo, s4
	s_and_saveexec_b32 s4, s0
	s_delay_alu instid0(SALU_CYCLE_1)
	s_xor_b32 s0, exec_lo, s4
	s_cbranch_execz .LBB167_258
.LBB167_293:                            ;   in Loop: Header=BB167_145 Depth=1
	v_bfi_b32 v21, 0x7fffffff, v21, v9
	v_lshl_add_u64 v[2:3], v[44:45], 4, s[18:19]
	global_store_b128 v[2:3], v[18:21], off
	s_wait_xcnt 0x0
	s_or_b32 exec_lo, exec_lo, s0
	s_and_saveexec_b32 s0, s1
	s_cbranch_execz .LBB167_259
.LBB167_294:                            ;   in Loop: Header=BB167_145 Depth=1
	v_bfi_b32 v25, 0x7fffffff, v25, v5
	v_lshl_add_u64 v[2:3], v[46:47], 4, s[18:19]
	global_store_b128 v[2:3], v[22:25], off
	s_wait_xcnt 0x0
	s_or_b32 exec_lo, exec_lo, s0
	s_and_saveexec_b32 s0, s2
	s_cbranch_execz .LBB167_260
.LBB167_295:                            ;   in Loop: Header=BB167_145 Depth=1
	v_bfi_b32 v29, 0x7fffffff, v29, v17
	v_lshl_add_u64 v[2:3], v[48:49], 4, s[18:19]
	global_store_b128 v[2:3], v[26:29], off
	s_wait_xcnt 0x0
	s_or_b32 exec_lo, exec_lo, s0
	s_and_saveexec_b32 s0, s3
	s_cbranch_execz .LBB167_144
.LBB167_296:                            ;   in Loop: Header=BB167_145 Depth=1
	v_bfi_b32 v33, 0x7fffffff, v33, v13
	v_lshl_add_u64 v[2:3], v[50:51], 4, s[18:19]
	global_store_b128 v[2:3], v[30:33], off
	s_branch .LBB167_144
.LBB167_297:
	s_sendmsg sendmsg(MSG_DEALLOC_VGPRS)
	s_endpgm
	.section	.rodata,"a",@progbits
	.p2align	6, 0x0
	.amdhsa_kernel _ZN2at6native12_GLOBAL__N_125multi_tensor_apply_kernelINS1_18TensorListMetadataILi2EEENS1_14UnaryOpFunctorIN3c107complexIdEELi2ELi1ELi1EEEJNS0_3LogIS8_EEEEEvT_T0_DpT1_
		.amdhsa_group_segment_fixed_size 0
		.amdhsa_private_segment_fixed_size 0
		.amdhsa_kernarg_size 3408
		.amdhsa_user_sgpr_count 2
		.amdhsa_user_sgpr_dispatch_ptr 0
		.amdhsa_user_sgpr_queue_ptr 0
		.amdhsa_user_sgpr_kernarg_segment_ptr 1
		.amdhsa_user_sgpr_dispatch_id 0
		.amdhsa_user_sgpr_kernarg_preload_length 0
		.amdhsa_user_sgpr_kernarg_preload_offset 0
		.amdhsa_user_sgpr_private_segment_size 0
		.amdhsa_wavefront_size32 1
		.amdhsa_uses_dynamic_stack 0
		.amdhsa_enable_private_segment 0
		.amdhsa_system_sgpr_workgroup_id_x 1
		.amdhsa_system_sgpr_workgroup_id_y 0
		.amdhsa_system_sgpr_workgroup_id_z 0
		.amdhsa_system_sgpr_workgroup_info 0
		.amdhsa_system_vgpr_workitem_id 0
		.amdhsa_next_free_vgpr 88
		.amdhsa_next_free_sgpr 57
		.amdhsa_named_barrier_count 0
		.amdhsa_reserve_vcc 1
		.amdhsa_float_round_mode_32 0
		.amdhsa_float_round_mode_16_64 0
		.amdhsa_float_denorm_mode_32 3
		.amdhsa_float_denorm_mode_16_64 3
		.amdhsa_fp16_overflow 0
		.amdhsa_memory_ordered 1
		.amdhsa_forward_progress 1
		.amdhsa_inst_pref_size 255
		.amdhsa_round_robin_scheduling 0
		.amdhsa_exception_fp_ieee_invalid_op 0
		.amdhsa_exception_fp_denorm_src 0
		.amdhsa_exception_fp_ieee_div_zero 0
		.amdhsa_exception_fp_ieee_overflow 0
		.amdhsa_exception_fp_ieee_underflow 0
		.amdhsa_exception_fp_ieee_inexact 0
		.amdhsa_exception_int_div_zero 0
	.end_amdhsa_kernel
	.section	.text._ZN2at6native12_GLOBAL__N_125multi_tensor_apply_kernelINS1_18TensorListMetadataILi2EEENS1_14UnaryOpFunctorIN3c107complexIdEELi2ELi1ELi1EEEJNS0_3LogIS8_EEEEEvT_T0_DpT1_,"axG",@progbits,_ZN2at6native12_GLOBAL__N_125multi_tensor_apply_kernelINS1_18TensorListMetadataILi2EEENS1_14UnaryOpFunctorIN3c107complexIdEELi2ELi1ELi1EEEJNS0_3LogIS8_EEEEEvT_T0_DpT1_,comdat
.Lfunc_end167:
	.size	_ZN2at6native12_GLOBAL__N_125multi_tensor_apply_kernelINS1_18TensorListMetadataILi2EEENS1_14UnaryOpFunctorIN3c107complexIdEELi2ELi1ELi1EEEJNS0_3LogIS8_EEEEEvT_T0_DpT1_, .Lfunc_end167-_ZN2at6native12_GLOBAL__N_125multi_tensor_apply_kernelINS1_18TensorListMetadataILi2EEENS1_14UnaryOpFunctorIN3c107complexIdEELi2ELi1ELi1EEEJNS0_3LogIS8_EEEEEvT_T0_DpT1_
                                        ; -- End function
	.set _ZN2at6native12_GLOBAL__N_125multi_tensor_apply_kernelINS1_18TensorListMetadataILi2EEENS1_14UnaryOpFunctorIN3c107complexIdEELi2ELi1ELi1EEEJNS0_3LogIS8_EEEEEvT_T0_DpT1_.num_vgpr, 88
	.set _ZN2at6native12_GLOBAL__N_125multi_tensor_apply_kernelINS1_18TensorListMetadataILi2EEENS1_14UnaryOpFunctorIN3c107complexIdEELi2ELi1ELi1EEEJNS0_3LogIS8_EEEEEvT_T0_DpT1_.num_agpr, 0
	.set _ZN2at6native12_GLOBAL__N_125multi_tensor_apply_kernelINS1_18TensorListMetadataILi2EEENS1_14UnaryOpFunctorIN3c107complexIdEELi2ELi1ELi1EEEJNS0_3LogIS8_EEEEEvT_T0_DpT1_.numbered_sgpr, 57
	.set _ZN2at6native12_GLOBAL__N_125multi_tensor_apply_kernelINS1_18TensorListMetadataILi2EEENS1_14UnaryOpFunctorIN3c107complexIdEELi2ELi1ELi1EEEJNS0_3LogIS8_EEEEEvT_T0_DpT1_.num_named_barrier, 0
	.set _ZN2at6native12_GLOBAL__N_125multi_tensor_apply_kernelINS1_18TensorListMetadataILi2EEENS1_14UnaryOpFunctorIN3c107complexIdEELi2ELi1ELi1EEEJNS0_3LogIS8_EEEEEvT_T0_DpT1_.private_seg_size, 0
	.set _ZN2at6native12_GLOBAL__N_125multi_tensor_apply_kernelINS1_18TensorListMetadataILi2EEENS1_14UnaryOpFunctorIN3c107complexIdEELi2ELi1ELi1EEEJNS0_3LogIS8_EEEEEvT_T0_DpT1_.uses_vcc, 1
	.set _ZN2at6native12_GLOBAL__N_125multi_tensor_apply_kernelINS1_18TensorListMetadataILi2EEENS1_14UnaryOpFunctorIN3c107complexIdEELi2ELi1ELi1EEEJNS0_3LogIS8_EEEEEvT_T0_DpT1_.uses_flat_scratch, 0
	.set _ZN2at6native12_GLOBAL__N_125multi_tensor_apply_kernelINS1_18TensorListMetadataILi2EEENS1_14UnaryOpFunctorIN3c107complexIdEELi2ELi1ELi1EEEJNS0_3LogIS8_EEEEEvT_T0_DpT1_.has_dyn_sized_stack, 0
	.set _ZN2at6native12_GLOBAL__N_125multi_tensor_apply_kernelINS1_18TensorListMetadataILi2EEENS1_14UnaryOpFunctorIN3c107complexIdEELi2ELi1ELi1EEEJNS0_3LogIS8_EEEEEvT_T0_DpT1_.has_recursion, 0
	.set _ZN2at6native12_GLOBAL__N_125multi_tensor_apply_kernelINS1_18TensorListMetadataILi2EEENS1_14UnaryOpFunctorIN3c107complexIdEELi2ELi1ELi1EEEJNS0_3LogIS8_EEEEEvT_T0_DpT1_.has_indirect_call, 0
	.section	.AMDGPU.csdata,"",@progbits
; Kernel info:
; codeLenInByte = 90172
; TotalNumSgprs: 59
; NumVgprs: 88
; ScratchSize: 0
; MemoryBound: 1
; FloatMode: 240
; IeeeMode: 1
; LDSByteSize: 0 bytes/workgroup (compile time only)
; SGPRBlocks: 0
; VGPRBlocks: 5
; NumSGPRsForWavesPerEU: 59
; NumVGPRsForWavesPerEU: 88
; NamedBarCnt: 0
; Occupancy: 10
; WaveLimiterHint : 0
; COMPUTE_PGM_RSRC2:SCRATCH_EN: 0
; COMPUTE_PGM_RSRC2:USER_SGPR: 2
; COMPUTE_PGM_RSRC2:TRAP_HANDLER: 0
; COMPUTE_PGM_RSRC2:TGID_X_EN: 1
; COMPUTE_PGM_RSRC2:TGID_Y_EN: 0
; COMPUTE_PGM_RSRC2:TGID_Z_EN: 0
; COMPUTE_PGM_RSRC2:TIDIG_COMP_CNT: 0
	.section	.text._ZN2at6native12_GLOBAL__N_125multi_tensor_apply_kernelINS1_18TensorListMetadataILi2EEENS1_14UnaryOpFunctorIN3c107complexIfEELi2ELi1ELi1EEEJNS0_3LogIS8_EEEEEvT_T0_DpT1_,"axG",@progbits,_ZN2at6native12_GLOBAL__N_125multi_tensor_apply_kernelINS1_18TensorListMetadataILi2EEENS1_14UnaryOpFunctorIN3c107complexIfEELi2ELi1ELi1EEEJNS0_3LogIS8_EEEEEvT_T0_DpT1_,comdat
	.globl	_ZN2at6native12_GLOBAL__N_125multi_tensor_apply_kernelINS1_18TensorListMetadataILi2EEENS1_14UnaryOpFunctorIN3c107complexIfEELi2ELi1ELi1EEEJNS0_3LogIS8_EEEEEvT_T0_DpT1_ ; -- Begin function _ZN2at6native12_GLOBAL__N_125multi_tensor_apply_kernelINS1_18TensorListMetadataILi2EEENS1_14UnaryOpFunctorIN3c107complexIfEELi2ELi1ELi1EEEJNS0_3LogIS8_EEEEEvT_T0_DpT1_
	.p2align	8
	.type	_ZN2at6native12_GLOBAL__N_125multi_tensor_apply_kernelINS1_18TensorListMetadataILi2EEENS1_14UnaryOpFunctorIN3c107complexIfEELi2ELi1ELi1EEEJNS0_3LogIS8_EEEEEvT_T0_DpT1_,@function
_ZN2at6native12_GLOBAL__N_125multi_tensor_apply_kernelINS1_18TensorListMetadataILi2EEENS1_14UnaryOpFunctorIN3c107complexIfEELi2ELi1ELi1EEEJNS0_3LogIS8_EEEEEvT_T0_DpT1_: ; @_ZN2at6native12_GLOBAL__N_125multi_tensor_apply_kernelINS1_18TensorListMetadataILi2EEENS1_14UnaryOpFunctorIN3c107complexIfEELi2ELi1ELi1EEEJNS0_3LogIS8_EEEEEvT_T0_DpT1_
; %bb.0:
	s_bfe_u32 s2, ttmp6, 0x4000c
	s_and_b32 s3, ttmp6, 15
	s_add_co_i32 s2, s2, 1
	s_getreg_b32 s4, hwreg(HW_REG_IB_STS2, 6, 4)
	s_mul_i32 s2, ttmp9, s2
	s_delay_alu instid0(SALU_CYCLE_1)
	s_add_co_i32 s3, s3, s2
	s_cmp_eq_u32 s4, 0
	s_cselect_b32 s2, ttmp9, s3
	s_mov_b32 s3, 0
	s_load_u8 s12, s[0:1], s2 offset:0x600
	s_add_nc_u64 s[4:5], s[0:1], s[2:3]
	s_mul_u64 s[6:7], s[2:3], 3
	s_delay_alu instid0(SALU_CYCLE_1)
	s_add_nc_u64 s[4:5], s[4:5], s[6:7]
	s_load_b32 s6, s[4:5], 0x740
	s_wait_kmcnt 0x0
	s_clause 0x2
	s_load_b64 s[8:9], s[0:1], s12 offset:0x0 scale_offset
	s_load_b64 s[10:11], s[0:1], s12 offset:0x200 scale_offset
	;; [unrolled: 1-line block ×3, first 2 shown]
	s_ashr_i32 s7, s6, 31
	s_delay_alu instid0(SALU_CYCLE_1)
	s_lshl_b64 s[4:5], s[6:7], 19
	s_lshl_b64 s[6:7], s[6:7], 16
	s_wait_kmcnt 0x0
	s_add_nc_u64 s[14:15], s[10:11], s[4:5]
	s_add_nc_u64 s[12:13], s[8:9], s[4:5]
	s_and_b32 s4, s16, 3
	s_and_b64 s[8:9], s[14:15], 31
	s_mov_b32 s5, s3
	s_and_b32 s2, s12, 31
	s_or_b64 s[4:5], s[8:9], s[4:5]
	s_sub_nc_u64 s[10:11], s[16:17], s[6:7]
	s_or_b64 s[2:3], s[4:5], s[2:3]
	s_delay_alu instid0(SALU_CYCLE_1)
	s_cmp_eq_u64 s[2:3], 0
	s_mov_b32 s2, -1
	s_cbranch_scc0 .LBB168_141
; %bb.1:
	v_min_i64 v[18:19], 0x10000, s[10:11]
	v_dual_mov_b32 v3, 0 :: v_dual_lshlrev_b32 v2, 2, v0
	s_mov_b32 s18, exec_lo
	s_delay_alu instid0(VALU_DEP_1)
	v_cmpx_lt_i64_e64 v[2:3], v[18:19]
	s_cbranch_execz .LBB168_140
; %bb.2:
	s_load_b32 s2, s[0:1], 0xc5c
	v_dual_mov_b32 v1, v3 :: v_dual_mov_b32 v22, 0x3f317218
	v_mov_b64_e32 v[20:21], 0x3f800000bf800000
	v_mov_b32_e32 v32, 0x4016cbe4
	s_mov_b32 s17, 0
	s_delay_alu instid0(VALU_DEP_3)
	v_mov_b64_e32 v[24:25], v[0:1]
	s_mov_b32 s19, 0x3e9b6dac
	s_mov_b32 s20, 0x3b2d2a58
	;; [unrolled: 1-line block ×3, first 2 shown]
	s_wait_kmcnt 0x0
	s_and_b32 s16, s2, 0xffff
	s_branch .LBB168_5
.LBB168_3:                              ;   in Loop: Header=BB168_5 Depth=1
	s_or_b32 exec_lo, exec_lo, s3
	s_delay_alu instid0(VALU_DEP_1) | instskip(SKIP_2) | instid1(VALU_DEP_2)
	v_cmp_gt_f32_e32 vcc_lo, 0x800000, v2
	v_cndmask_b32_e64 v4, 0, 32, vcc_lo
	v_cndmask_b32_e64 v11, 0, 0x41b17218, vcc_lo
	v_ldexp_f32 v2, v2, v4
	s_delay_alu instid0(VALU_DEP_1) | instskip(SKIP_1) | instid1(TRANS32_DEP_1)
	v_log_f32_e32 v2, v2
	v_nop
	v_mul_f32_e32 v4, 0x3f317217, v2
	v_cmp_gt_f32_e64 vcc_lo, 0x7f800000, |v2|
	s_delay_alu instid0(VALU_DEP_2) | instskip(NEXT) | instid1(VALU_DEP_1)
	v_fma_f32 v4, 0x3f317217, v2, -v4
	v_fmac_f32_e32 v4, 0x3377d1cf, v2
	s_delay_alu instid0(VALU_DEP_1) | instskip(NEXT) | instid1(VALU_DEP_1)
	v_fmac_f32_e32 v4, 0x3f317217, v2
	v_cndmask_b32_e32 v2, v2, v4, vcc_lo
	s_delay_alu instid0(VALU_DEP_1)
	v_sub_f32_e32 v16, v2, v11
	v_mov_b32_e32 v2, 0x7fc00000
.LBB168_4:                              ;   in Loop: Header=BB168_5 Depth=1
	s_or_b32 exec_lo, exec_lo, s2
	v_add_nc_u64_e32 v[24:25], s[16:17], v[24:25]
	v_add_nc_u64_e32 v[26:27], s[14:15], v[26:27]
	v_bfi_b32 v13, 0x7fffffff, v6, v9
	v_bfi_b32 v11, 0x7fffffff, v1, v7
	;; [unrolled: 1-line block ×4, first 2 shown]
	s_clause 0x1
	global_store_b128 v[26:27], v[10:13], off
	global_store_b128 v[26:27], v[14:17], off offset:16
	v_lshlrev_b64_e32 v[28:29], 2, v[24:25]
	s_delay_alu instid0(VALU_DEP_1)
	v_cmp_ge_i64_e32 vcc_lo, v[28:29], v[18:19]
	s_or_b32 s21, vcc_lo, s21
	s_wait_xcnt 0x0
	s_and_not1_b32 exec_lo, exec_lo, s21
	s_cbranch_execz .LBB168_140
.LBB168_5:                              ; =>This Loop Header: Depth=1
                                        ;     Child Loop BB168_16 Depth 2
                                        ;     Child Loop BB168_50 Depth 2
	;; [unrolled: 1-line block ×4, first 2 shown]
	v_lshlrev_b64_e32 v[26:27], 5, v[24:25]
                                        ; implicit-def: $vgpr1
	s_mov_b32 s2, exec_lo
	s_delay_alu instid0(VALU_DEP_1)
	v_add_nc_u64_e32 v[10:11], s[12:13], v[26:27]
	s_clause 0x1
	global_load_b128 v[6:9], v[10:11], off
	global_load_b128 v[2:5], v[10:11], off offset:16
                                        ; implicit-def: $vgpr10
	s_wait_loadcnt 0x1
	s_wait_xcnt 0x0
	v_cmpx_o_f32_e32 v7, v6
	s_xor_b32 s22, exec_lo, s2
	s_cbranch_execz .LBB168_33
; %bb.6:                                ;   in Loop: Header=BB168_5 Depth=1
	v_cmp_lt_f32_e64 s2, |v6|, |v7|
                                        ; implicit-def: $vgpr10
                                        ; implicit-def: $vgpr1
	s_mov_b32 s4, exec_lo
	v_cndmask_b32_e64 v11, v7, v6, s2
	s_delay_alu instid0(VALU_DEP_1)
	v_cmpx_nlt_f32_e64 0x77f684df, |v11|
	s_xor_b32 s23, exec_lo, s4
	s_cbranch_execz .LBB168_30
; %bb.7:                                ;   in Loop: Header=BB168_5 Depth=1
	v_cndmask_b32_e64 v1, v6, v7, s2
	v_and_b32_e32 v12, 0x7fffffff, v11
                                        ; implicit-def: $vgpr10
	s_mov_b32 s3, exec_lo
	s_delay_alu instid0(VALU_DEP_2) | instskip(NEXT) | instid1(VALU_DEP_1)
	v_and_b32_e32 v13, 0x7fffffff, v1
                                        ; implicit-def: $vgpr1
	v_cmpx_neq_f32_e32 1.0, v13
	s_xor_b32 s24, exec_lo, s3
	s_cbranch_execz .LBB168_23
; %bb.8:                                ;   in Loop: Header=BB168_5 Depth=1
	v_dual_max_num_f32 v1, v12, v12 :: v_dual_max_num_f32 v10, v13, v13
	s_delay_alu instid0(VALU_DEP_1) | instskip(NEXT) | instid1(VALU_DEP_1)
	v_dual_min_num_f32 v11, v10, v1 :: v_dual_max_num_f32 v1, v10, v1
                                        ; implicit-def: $vgpr10
	v_cmp_ngt_f32_e32 vcc_lo, 0x358637bd, v11
	s_delay_alu instid0(VALU_DEP_2) | instskip(SKIP_1) | instid1(SALU_CYCLE_1)
	v_cmp_nlt_f32_e64 s3, 0x49742400, v1
                                        ; implicit-def: $vgpr1
	s_and_b32 s3, s3, vcc_lo
	s_and_saveexec_b32 s4, s3
	s_delay_alu instid0(SALU_CYCLE_1)
	s_xor_b32 s25, exec_lo, s4
	s_cbranch_execz .LBB168_20
; %bb.9:                                ;   in Loop: Header=BB168_5 Depth=1
                                        ; implicit-def: $vgpr10
                                        ; implicit-def: $vgpr1
	s_mov_b32 s3, exec_lo
	v_cmpx_le_f32_e32 1.0, v13
	s_xor_b32 s4, exec_lo, s3
	s_cbranch_execz .LBB168_11
; %bb.10:                               ;   in Loop: Header=BB168_5 Depth=1
	v_pk_add_f32 v[10:11], v[12:13], v[20:21] op_sel:[1,0]
	v_mov_b32_e32 v14, v12
	v_cmp_class_f32_e64 s5, v6, 0x204
	s_delay_alu instid0(VALU_DEP_3) | instskip(SKIP_1) | instid1(VALU_DEP_1)
	v_dual_mov_b32 v13, v10 :: v_dual_mov_b32 v15, v11
	v_mul_f32_e32 v10, v10, v11
	v_pk_fma_f32 v[10:11], v[12:13], v[14:15], v[10:11] op_sel_hi:[1,1,0]
	s_delay_alu instid0(VALU_DEP_1) | instskip(SKIP_1) | instid1(VALU_DEP_2)
	v_add_f32_e32 v13, 1.0, v10
	v_cmp_neq_f32_e64 s3, -1.0, v10
	v_frexp_mant_f32_e32 v12, v13
	v_add_f32_e32 v11, -1.0, v13
	s_delay_alu instid0(VALU_DEP_2) | instskip(NEXT) | instid1(VALU_DEP_2)
	v_cmp_gt_f32_e32 vcc_lo, 0x3f2aaaab, v12
	v_mov_b32_e32 v12, v11
	v_cvt_f64_f32_e32 v[14:15], v13
	s_delay_alu instid0(VALU_DEP_1) | instskip(NEXT) | instid1(VALU_DEP_3)
	v_frexp_exp_i32_f64_e32 v1, v[14:15]
	v_pk_add_f32 v[14:15], v[10:11], v[12:13] neg_lo:[0,1] neg_hi:[0,1]
	s_delay_alu instid0(VALU_DEP_1) | instskip(NEXT) | instid1(VALU_DEP_3)
	v_add_f32_e32 v12, 1.0, v15
	v_subrev_co_ci_u32_e64 v1, null, 0, v1, vcc_lo
	v_cmp_neq_f32_e32 vcc_lo, 0x7f800000, v10
	s_delay_alu instid0(VALU_DEP_2) | instskip(NEXT) | instid1(VALU_DEP_1)
	v_sub_nc_u32_e32 v16, 0, v1
	v_ldexp_f32 v11, v13, v16
	s_delay_alu instid0(VALU_DEP_1) | instskip(NEXT) | instid1(VALU_DEP_1)
	v_dual_add_f32 v15, 1.0, v11 :: v_dual_add_f32 v12, v14, v12
	v_add_f32_e32 v13, -1.0, v15
	v_add_f32_e32 v17, -1.0, v11
	s_delay_alu instid0(VALU_DEP_3) | instskip(NEXT) | instid1(VALU_DEP_3)
	v_ldexp_f32 v12, v12, v16
	v_sub_f32_e32 v13, v11, v13
	s_delay_alu instid0(VALU_DEP_1) | instskip(NEXT) | instid1(VALU_DEP_1)
	v_add_f32_e32 v16, v12, v13
	v_dual_add_f32 v14, 1.0, v17 :: v_dual_add_f32 v23, v15, v16
	s_delay_alu instid0(VALU_DEP_1) | instskip(NEXT) | instid1(VALU_DEP_2)
	v_sub_f32_e32 v11, v11, v14
	v_rcp_f32_e32 v28, v23
	s_delay_alu instid0(VALU_DEP_1) | instskip(NEXT) | instid1(VALU_DEP_1)
	v_add_f32_e32 v11, v12, v11
	v_add_f32_e32 v13, v17, v11
	s_delay_alu instid0(TRANS32_DEP_1) | instid1(VALU_DEP_1)
	v_dual_mul_f32 v29, v13, v28 :: v_dual_sub_f32 v12, v23, v15
	s_delay_alu instid0(VALU_DEP_1) | instskip(SKIP_1) | instid1(VALU_DEP_2)
	v_dual_mul_f32 v14, v23, v29 :: v_dual_sub_f32 v30, v16, v12
	v_sub_f32_e32 v31, v13, v17
	v_fma_f32 v16, v29, v23, -v14
	s_delay_alu instid0(VALU_DEP_1) | instskip(NEXT) | instid1(VALU_DEP_1)
	v_dual_sub_f32 v11, v11, v31 :: v_dual_fmac_f32 v16, v29, v30
	v_add_f32_e32 v12, v14, v16
	s_delay_alu instid0(VALU_DEP_1) | instskip(NEXT) | instid1(VALU_DEP_1)
	v_dual_sub_f32 v15, v13, v12 :: v_dual_mov_b32 v17, v12
	v_pk_add_f32 v[12:13], v[12:13], v[14:15] neg_lo:[0,1] neg_hi:[0,1]
	s_delay_alu instid0(VALU_DEP_1) | instskip(NEXT) | instid1(VALU_DEP_1)
	v_pk_add_f32 v[12:13], v[12:13], v[16:17] neg_lo:[0,1] neg_hi:[0,1]
	v_add_f32_e32 v11, v11, v13
	s_delay_alu instid0(VALU_DEP_1) | instskip(NEXT) | instid1(VALU_DEP_1)
	v_add_f32_e32 v11, v12, v11
	v_add_f32_e32 v13, v15, v11
	s_delay_alu instid0(VALU_DEP_1) | instskip(NEXT) | instid1(VALU_DEP_1)
	v_mul_f32_e32 v31, v28, v13
	v_mul_f32_e32 v16, v23, v31
	s_delay_alu instid0(VALU_DEP_1) | instskip(SKIP_1) | instid1(VALU_DEP_2)
	v_fma_f32 v14, v31, v23, -v16
	v_sub_f32_e32 v23, v15, v13
	v_dual_fmac_f32 v14, v31, v30 :: v_dual_add_f32 v30, v29, v31
	s_delay_alu instid0(VALU_DEP_1) | instskip(NEXT) | instid1(VALU_DEP_1)
	v_dual_add_f32 v11, v11, v23 :: v_dual_add_f32 v12, v16, v14
	v_dual_mov_b32 v15, v12 :: v_dual_sub_f32 v17, v13, v12
	s_delay_alu instid0(VALU_DEP_1) | instskip(NEXT) | instid1(VALU_DEP_1)
	v_pk_add_f32 v[12:13], v[12:13], v[16:17] neg_lo:[0,1] neg_hi:[0,1]
	v_pk_add_f32 v[12:13], v[12:13], v[14:15] neg_lo:[0,1] neg_hi:[0,1]
	s_delay_alu instid0(VALU_DEP_1) | instskip(NEXT) | instid1(VALU_DEP_1)
	v_add_f32_e32 v11, v11, v13
	v_dual_add_f32 v11, v12, v11 :: v_dual_sub_f32 v12, v30, v29
	s_delay_alu instid0(VALU_DEP_1) | instskip(NEXT) | instid1(VALU_DEP_1)
	v_dual_sub_f32 v12, v31, v12 :: v_dual_add_f32 v11, v17, v11
	v_mul_f32_e32 v11, v28, v11
	s_delay_alu instid0(VALU_DEP_1) | instskip(SKIP_1) | instid1(VALU_DEP_2)
	v_add_f32_e32 v11, v12, v11
	v_cvt_f32_i32_e32 v12, v1
	v_add_f32_e32 v28, v30, v11
	s_delay_alu instid0(VALU_DEP_1) | instskip(NEXT) | instid1(VALU_DEP_1)
	v_mul_f32_e32 v14, v28, v28
	v_fmaak_f32 v15, s19, v14, 0x3ecc95a3
	v_mul_f32_e32 v13, v28, v14
	v_ldexp_f32 v17, v28, 1
	v_sub_f32_e32 v1, v28, v30
	s_delay_alu instid0(VALU_DEP_4) | instskip(NEXT) | instid1(VALU_DEP_1)
	v_fmaak_f32 v23, v14, v15, 0x3f2aaada
	v_pk_mul_f32 v[14:15], v[12:13], v[22:23]
	s_delay_alu instid0(VALU_DEP_1) | instskip(SKIP_1) | instid1(VALU_DEP_2)
	v_fma_f32 v16, 0x3f317218, v12, -v14
	v_mov_b32_e32 v28, v14
	v_fmac_f32_e32 v16, 0xb102e308, v12
	s_delay_alu instid0(VALU_DEP_1) | instskip(SKIP_1) | instid1(VALU_DEP_2)
	v_pk_add_f32 v[12:13], v[14:15], v[16:17]
	v_sub_f32_e32 v1, v11, v1
	v_dual_sub_f32 v11, v13, v17 :: v_dual_mov_b32 v17, v12
	s_delay_alu instid0(VALU_DEP_2) | instskip(NEXT) | instid1(VALU_DEP_2)
	v_ldexp_f32 v1, v1, 1
	v_dual_mov_b32 v38, v13 :: v_dual_sub_f32 v11, v15, v11
	v_pk_add_f32 v[14:15], v[12:13], v[14:15] neg_lo:[0,1] neg_hi:[0,1]
	s_delay_alu instid0(VALU_DEP_2) | instskip(SKIP_2) | instid1(VALU_DEP_1)
	v_add_f32_e32 v29, v1, v11
	v_max_num_f32_e64 v1, |v7|, |v7|
	v_max_num_f32_e64 v11, |v6|, |v6|
	v_max_num_f32_e32 v23, v11, v1
	s_delay_alu instid0(VALU_DEP_4) | instskip(SKIP_1) | instid1(VALU_DEP_3)
	v_pk_add_f32 v[30:31], v[12:13], v[28:29]
	v_min_num_f32_e32 v1, v11, v1
	v_frexp_exp_i32_f32_e32 v11, v23
	s_delay_alu instid0(VALU_DEP_3) | instskip(SKIP_1) | instid1(VALU_DEP_4)
	v_mov_b32_e32 v15, v31
	v_frexp_mant_f32_e32 v23, v23
	v_frexp_exp_i32_f32_e32 v33, v1
	s_delay_alu instid0(VALU_DEP_3) | instskip(NEXT) | instid1(VALU_DEP_3)
	v_pk_add_f32 v[34:35], v[16:17], v[14:15]
	v_rcp_f32_e32 v23, v23
	s_delay_alu instid0(VALU_DEP_2)
	v_sub_nc_u32_e32 v11, v33, v11
	v_frexp_mant_f32_e32 v40, v1
	v_pk_add_f32 v[14:15], v[16:17], v[14:15] neg_lo:[0,1] neg_hi:[0,1]
	s_delay_alu instid0(TRANS32_DEP_1) | instid1(VALU_DEP_2)
	v_dual_mov_b32 v28, v35 :: v_dual_mul_f32 v15, v40, v23
	s_delay_alu instid0(VALU_DEP_1) | instskip(SKIP_1) | instid1(VALU_DEP_2)
	v_pk_add_f32 v[36:37], v[28:29], v[12:13] neg_lo:[0,1] neg_hi:[0,1]
	v_dual_mov_b32 v34, v31 :: v_dual_mov_b32 v13, v12
	v_dual_mov_b32 v12, v29 :: v_dual_mov_b32 v39, v36
	v_mov_b32_e32 v1, v36
	s_delay_alu instid0(VALU_DEP_2) | instskip(NEXT) | instid1(VALU_DEP_2)
	v_pk_add_f32 v[16:17], v[34:35], v[38:39] neg_lo:[0,1] neg_hi:[0,1]
	v_pk_add_f32 v[30:31], v[30:31], v[0:1] neg_lo:[0,1] neg_hi:[0,1]
	v_mov_b32_e32 v30, v14
	v_ldexp_f32 v1, v15, v11
	s_delay_alu instid0(VALU_DEP_4) | instskip(NEXT) | instid1(VALU_DEP_2)
	v_pk_add_f32 v[12:13], v[12:13], v[16:17] neg_lo:[0,1] neg_hi:[0,1]
	v_mul_f32_e32 v11, v1, v1
	s_delay_alu instid0(VALU_DEP_2) | instskip(NEXT) | instid1(VALU_DEP_1)
	v_pk_add_f32 v[16:17], v[30:31], v[12:13]
	v_dual_fmaak_f32 v13, s20, v11, 0xbc7a590c :: v_dual_mov_b32 v30, v17
	s_delay_alu instid0(VALU_DEP_1) | instskip(NEXT) | instid1(VALU_DEP_1)
	v_pk_add_f32 v[30:31], v[16:17], v[30:31]
	v_pk_add_f32 v[28:29], v[28:29], v[30:31]
	s_delay_alu instid0(VALU_DEP_1) | instskip(NEXT) | instid1(VALU_DEP_1)
	v_dual_mov_b32 v15, v35 :: v_dual_mov_b32 v17, v28
	v_pk_add_f32 v[34:35], v[16:17], v[14:15] neg_lo:[0,1] neg_hi:[0,1]
	s_delay_alu instid0(VALU_DEP_1) | instskip(NEXT) | instid1(VALU_DEP_1)
	v_dual_fmaak_f32 v13, v11, v13, 0x3d29fb3f :: v_dual_sub_f32 v16, v16, v34
	v_dual_fmaak_f32 v13, v11, v13, 0xbd97d4d7 :: v_dual_sub_f32 v14, v14, v16
	s_delay_alu instid0(VALU_DEP_1) | instskip(NEXT) | instid1(VALU_DEP_1)
	v_fmaak_f32 v13, v11, v13, 0x3dd931b2
	v_fmaak_f32 v15, v11, v13, 0xbe1160e6
	v_mov_b32_e32 v13, v30
	s_delay_alu instid0(VALU_DEP_1) | instskip(NEXT) | instid1(VALU_DEP_1)
	v_pk_add_f32 v[12:13], v[12:13], v[34:35] neg_lo:[0,1] neg_hi:[0,1]
	v_add_f32_e32 v12, v12, v14
	s_delay_alu instid0(VALU_DEP_1) | instskip(NEXT) | instid1(VALU_DEP_1)
	v_dual_add_f32 v12, v12, v13 :: v_dual_fmaak_f32 v15, v11, v15, 0x3e4cb8bf
	v_fmaak_f32 v15, v11, v15, 0xbeaaaa62
	s_delay_alu instid0(VALU_DEP_1) | instskip(NEXT) | instid1(VALU_DEP_1)
	v_mul_f32_e32 v11, v11, v15
	v_dual_fmac_f32 v1, v1, v11 :: v_dual_add_f32 v11, v28, v12
	s_delay_alu instid0(VALU_DEP_1) | instskip(NEXT) | instid1(VALU_DEP_2)
	v_sub_f32_e32 v12, 0x3fc90fdb, v1
	v_cndmask_b32_e32 v11, 0x7f800000, v11, vcc_lo
	v_cmp_gt_i32_e32 vcc_lo, 0, v6
	s_delay_alu instid0(VALU_DEP_3) | instskip(SKIP_2) | instid1(VALU_DEP_3)
	v_cndmask_b32_e64 v1, v1, v12, s2
	v_cndmask_b32_e64 v12, 0, 0x40490fdb, vcc_lo
	v_cmp_ngt_f32_e32 vcc_lo, -1.0, v10
	v_sub_f32_e32 v13, 0x40490fdb, v1
	v_cndmask_b32_e32 v11, 0x7fc00000, v11, vcc_lo
	v_cmp_gt_f32_e32 vcc_lo, 0, v6
	s_delay_alu instid0(VALU_DEP_2) | instskip(NEXT) | instid1(VALU_DEP_4)
	v_cndmask_b32_e64 v11, 0xff800000, v11, s3
	v_cndmask_b32_e32 v1, v1, v13, vcc_lo
	v_cndmask_b32_e32 v13, 0x3f490fdb, v32, vcc_lo
	v_cmp_gt_f32_e64 vcc_lo, 0x33800000, |v10|
	v_cmp_class_f32_e64 s3, v7, 0x204
	v_cndmask_b32_e32 v10, v11, v10, vcc_lo
	v_cmp_eq_f32_e32 vcc_lo, 0, v7
	s_delay_alu instid0(VALU_DEP_2) | instskip(SKIP_1) | instid1(VALU_DEP_1)
	v_dual_mul_f32 v10, 0.5, v10 :: v_dual_cndmask_b32 v1, v1, v12
	s_and_b32 vcc_lo, s5, s3
	v_cndmask_b32_e32 v1, v1, v13, vcc_lo
                                        ; implicit-def: $vgpr12_vgpr13
.LBB168_11:                             ;   in Loop: Header=BB168_5 Depth=1
	s_and_not1_saveexec_b32 s26, s4
	s_cbranch_execz .LBB168_19
; %bb.12:                               ;   in Loop: Header=BB168_5 Depth=1
	v_pk_mul_f32 v[10:11], v[12:13], v[12:13]
                                        ; implicit-def: $vgpr1
	s_mov_b32 s3, exec_lo
	s_delay_alu instid0(VALU_DEP_1) | instskip(NEXT) | instid1(VALU_DEP_1)
	v_add_f32_e32 v11, v11, v10
                                        ; implicit-def: $vgpr10
	v_cmpx_ge_f32_e32 0x3f333333, v11
	s_xor_b32 s4, exec_lo, s3
	s_cbranch_execz .LBB168_14
; %bb.13:                               ;   in Loop: Header=BB168_5 Depth=1
	v_max_num_f32_e64 v1, |v7|, |v7|
	v_max_num_f32_e64 v10, |v6|, |v6|
	v_cmp_gt_f32_e32 vcc_lo, 0x800000, v11
	v_cmp_gt_i32_e64 s3, 0, v6
	v_cmp_class_f32_e64 s5, v6, 0x204
	v_cmp_class_f32_e64 s6, v7, 0x204
	v_dual_max_num_f32 v12, v10, v1 :: v_dual_min_num_f32 v1, v10, v1
	v_cndmask_b32_e64 v14, 0, 0x41b17218, vcc_lo
	s_delay_alu instid0(VALU_DEP_2) | instskip(SKIP_1) | instid1(VALU_DEP_2)
	v_frexp_mant_f32_e32 v13, v12
	v_frexp_exp_i32_f32_e32 v10, v12
	v_rcp_f32_e32 v12, v13
	v_nop
	v_frexp_exp_i32_f32_e32 v13, v1
	v_frexp_mant_f32_e32 v1, v1
	s_delay_alu instid0(VALU_DEP_2)
	v_sub_nc_u32_e32 v10, v13, v10
	s_delay_alu instid0(TRANS32_DEP_1) | instid1(VALU_DEP_2)
	v_mul_f32_e32 v1, v1, v12
	v_cndmask_b32_e64 v13, 0, 32, vcc_lo
	s_delay_alu instid0(VALU_DEP_2) | instskip(NEXT) | instid1(VALU_DEP_2)
	v_ldexp_f32 v1, v1, v10
	v_ldexp_f32 v11, v11, v13
	s_delay_alu instid0(VALU_DEP_2) | instskip(NEXT) | instid1(VALU_DEP_2)
	v_mul_f32_e32 v10, v1, v1
	v_log_f32_e32 v11, v11
	s_delay_alu instid0(VALU_DEP_1) | instskip(NEXT) | instid1(TRANS32_DEP_1)
	v_fmaak_f32 v12, s20, v10, 0xbc7a590c
	v_cmp_gt_f32_e64 vcc_lo, 0x7f800000, |v11|
	s_delay_alu instid0(VALU_DEP_2) | instskip(NEXT) | instid1(VALU_DEP_1)
	v_fmaak_f32 v12, v10, v12, 0x3d29fb3f
	v_fmaak_f32 v12, v10, v12, 0xbd97d4d7
	s_delay_alu instid0(VALU_DEP_1) | instskip(NEXT) | instid1(VALU_DEP_1)
	v_fmaak_f32 v12, v10, v12, 0x3dd931b2
	v_fmaak_f32 v12, v10, v12, 0xbe1160e6
	s_delay_alu instid0(VALU_DEP_1) | instskip(NEXT) | instid1(VALU_DEP_1)
	;; [unrolled: 3-line block ×3, first 2 shown]
	v_mul_f32_e32 v10, v10, v12
	v_dual_mul_f32 v12, 0x3f317217, v11 :: v_dual_fmac_f32 v1, v1, v10
	s_delay_alu instid0(VALU_DEP_1) | instskip(NEXT) | instid1(VALU_DEP_2)
	v_fma_f32 v10, 0x3f317217, v11, -v12
	v_sub_f32_e32 v12, 0x3fc90fdb, v1
	s_delay_alu instid0(VALU_DEP_2) | instskip(NEXT) | instid1(VALU_DEP_2)
	v_fmac_f32_e32 v10, 0x3377d1cf, v11
	v_cndmask_b32_e64 v1, v1, v12, s2
	s_delay_alu instid0(VALU_DEP_2) | instskip(SKIP_2) | instid1(VALU_DEP_3)
	v_fmac_f32_e32 v10, 0x3f317217, v11
	v_cndmask_b32_e64 v12, 0, 0x40490fdb, s3
	v_cmp_eq_f32_e64 s3, 0, v7
	v_dual_sub_f32 v13, 0x40490fdb, v1 :: v_dual_cndmask_b32 v10, v11, v10
	v_cmp_gt_f32_e32 vcc_lo, 0, v6
	s_delay_alu instid0(VALU_DEP_2) | instskip(NEXT) | instid1(VALU_DEP_3)
	v_dual_sub_f32 v10, v10, v14 :: v_dual_cndmask_b32 v11, 0x3f490fdb, v32
	v_cndmask_b32_e32 v1, v1, v13, vcc_lo
	s_and_b32 vcc_lo, s5, s6
	s_delay_alu instid0(VALU_DEP_1) | instskip(NEXT) | instid1(VALU_DEP_1)
	v_dual_mul_f32 v10, 0.5, v10 :: v_dual_cndmask_b32 v1, v1, v12, s3
                                        ; implicit-def: $vgpr12
	v_cndmask_b32_e32 v1, v1, v11, vcc_lo
.LBB168_14:                             ;   in Loop: Header=BB168_5 Depth=1
	s_and_not1_saveexec_b32 s27, s4
	s_cbranch_execz .LBB168_18
; %bb.15:                               ;   in Loop: Header=BB168_5 Depth=1
	v_and_b32_e32 v11, 0x7fff0000, v12
	v_and_b32_e32 v10, 0x7fff0000, v13
	s_mov_b32 s28, 0
	s_delay_alu instid0(VALU_DEP_1) | instskip(SKIP_2) | instid1(VALU_DEP_2)
	v_dual_add_f32 v28, v11, v11 :: v_dual_add_f32 v16, v10, v10
	v_pk_add_f32 v[12:13], v[12:13], v[10:11] op_sel:[1,0] op_sel_hi:[0,1] neg_lo:[0,1] neg_hi:[0,1]
	v_pk_mul_f32 v[10:11], v[10:11], v[10:11]
	v_and_b32_e32 v15, 0xffff0000, v13
	s_delay_alu instid0(VALU_DEP_3) | instskip(NEXT) | instid1(VALU_DEP_2)
	v_and_b32_e32 v14, 0xffff0000, v12
	v_dual_mul_f32 v23, v28, v15 :: v_dual_add_f32 v31, v15, v15
	s_delay_alu instid0(VALU_DEP_2) | instskip(SKIP_2) | instid1(VALU_DEP_3)
	v_pk_add_f32 v[12:13], v[12:13], v[14:15] neg_lo:[0,1] neg_hi:[0,1]
	v_dual_mul_f32 v1, v16, v14 :: v_dual_add_f32 v30, v14, v14
	v_pk_mul_f32 v[14:15], v[14:15], v[14:15]
	v_mul_f32_e32 v17, v16, v12
	s_delay_alu instid0(VALU_DEP_4) | instskip(NEXT) | instid1(VALU_DEP_4)
	v_dual_mul_f32 v29, v28, v13 :: v_dual_mul_f32 v28, v31, v13
	v_mul_f32_e32 v16, v30, v12
	v_pk_mul_f32 v[12:13], v[12:13], v[12:13]
.LBB168_16:                             ;   Parent Loop BB168_5 Depth=1
                                        ; =>  This Inner Loop Header: Depth=2
	v_cmp_nlt_f32_e32 vcc_lo, v10, v11
	v_dual_cndmask_b32 v30, v10, v11, vcc_lo :: v_dual_cndmask_b32 v10, v11, v10, vcc_lo
	s_delay_alu instid0(VALU_DEP_1) | instskip(NEXT) | instid1(VALU_DEP_1)
	v_cmp_nlt_f32_e64 s3, v30, v1
	v_dual_cndmask_b32 v31, v30, v1, s3 :: v_dual_cndmask_b32 v11, v1, v30, s3
	s_and_b32 s3, vcc_lo, s3
	s_delay_alu instid0(VALU_DEP_1) | instskip(NEXT) | instid1(VALU_DEP_1)
	v_cmp_nlt_f32_e64 s4, v31, v23
	v_cndmask_b32_e64 v33, v31, v23, s4
	v_cndmask_b32_e64 v1, v23, v31, s4
	s_delay_alu instid0(VALU_DEP_2) | instskip(NEXT) | instid1(VALU_DEP_1)
	v_cmp_nlt_f32_e64 s5, v33, v14
	v_cndmask_b32_e64 v30, v33, v14, s5
	s_and_b32 s29, s4, s5
	s_delay_alu instid0(VALU_DEP_1) | instskip(NEXT) | instid1(VALU_DEP_1)
	v_cmp_nlt_f32_e64 s6, v30, v15
	v_cndmask_b32_e64 v31, v30, v15, s6
	s_delay_alu instid0(VALU_DEP_1) | instskip(NEXT) | instid1(VALU_DEP_1)
	v_cmp_nlt_f32_e64 s7, v31, v17
	v_cndmask_b32_e64 v34, v31, v17, s7
	v_dual_cndmask_b32 v23, v14, v33, s5 :: v_dual_cndmask_b32 v14, v15, v30, s6
	s_and_b32 s6, s6, s7
	s_delay_alu instid0(VALU_DEP_2) | instskip(NEXT) | instid1(VALU_DEP_1)
	v_cmp_nlt_f32_e64 s8, v34, v29
	v_cndmask_b32_e64 v35, v34, v29, s8
	s_and_b32 s6, s6, s8
	s_delay_alu instid0(VALU_DEP_1) | instskip(NEXT) | instid1(VALU_DEP_1)
	v_cmp_nlt_f32_e64 s9, v35, v16
	v_cndmask_b32_e64 v33, v35, v16, s9
	s_delay_alu instid0(VALU_DEP_1) | instskip(NEXT) | instid1(VALU_DEP_1)
	v_cmp_nlt_f32_e64 s4, v33, v28
	v_cndmask_b32_e64 v30, v33, v28, s4
	s_delay_alu instid0(VALU_DEP_1) | instskip(SKIP_4) | instid1(VALU_DEP_1)
	v_cmp_nlt_f32_e64 s5, v30, v12
	v_cndmask_b32_e64 v15, v17, v31, s7
	s_and_b32 s7, s6, s9
	v_dual_cndmask_b32 v17, v29, v34, s8 :: v_dual_cndmask_b32 v29, v16, v35, s9
	v_cndmask_b32_e64 v31, v30, v12, s5
	v_cmp_nlt_f32_e64 s6, v31, v13
	v_cndmask_b32_e64 v16, v28, v33, s4
	s_and_b32 s4, s7, s4
	v_cndmask_b32_e64 v28, v12, v30, s5
	s_and_b32 s4, s4, s5
	;; [unrolled: 2-line block ×4, first 2 shown]
	s_delay_alu instid0(SALU_CYCLE_1) | instskip(NEXT) | instid1(SALU_CYCLE_1)
	s_and_b32 s3, s4, s3
	s_and_b32 s3, exec_lo, s3
	s_delay_alu instid0(SALU_CYCLE_1) | instskip(NEXT) | instid1(SALU_CYCLE_1)
	s_or_b32 s28, s3, s28
	s_and_not1_b32 exec_lo, exec_lo, s28
	s_cbranch_execnz .LBB168_16
; %bb.17:                               ;   in Loop: Header=BB168_5 Depth=1
	s_or_b32 exec_lo, exec_lo, s28
	v_add_f32_e32 v10, -1.0, v10
	v_cmp_class_f32_e64 s4, v6, 0x204
	s_delay_alu instid0(VALU_DEP_2) | instskip(NEXT) | instid1(VALU_DEP_1)
	v_add_f32_e32 v10, v10, v11
	v_add_f32_e32 v1, v10, v1
	s_delay_alu instid0(VALU_DEP_1) | instskip(NEXT) | instid1(VALU_DEP_1)
	v_add_f32_e32 v1, v1, v23
	v_add_f32_e32 v1, v1, v14
	s_delay_alu instid0(VALU_DEP_1) | instskip(NEXT) | instid1(VALU_DEP_1)
	v_add_f32_e32 v1, v1, v15
	v_add_f32_e32 v1, v1, v17
	s_delay_alu instid0(VALU_DEP_1) | instskip(NEXT) | instid1(VALU_DEP_1)
	v_add_f32_e32 v1, v1, v29
	v_add_f32_e32 v1, v1, v16
	s_delay_alu instid0(VALU_DEP_1) | instskip(NEXT) | instid1(VALU_DEP_1)
	v_add_f32_e32 v1, v1, v28
	v_add_f32_e32 v1, v1, v12
	s_delay_alu instid0(VALU_DEP_1) | instskip(NEXT) | instid1(VALU_DEP_1)
	v_add_f32_e32 v10, v13, v1
	v_add_f32_e32 v13, 1.0, v10
	s_delay_alu instid0(VALU_DEP_1) | instskip(SKIP_2) | instid1(VALU_DEP_2)
	v_cvt_f64_f32_e32 v[14:15], v13
	v_frexp_mant_f32_e32 v12, v13
	v_add_f32_e32 v11, -1.0, v13
	v_cmp_gt_f32_e32 vcc_lo, 0x3f2aaaab, v12
	s_delay_alu instid0(VALU_DEP_2) | instskip(SKIP_1) | instid1(VALU_DEP_1)
	v_mov_b32_e32 v12, v11
	v_frexp_exp_i32_f64_e32 v1, v[14:15]
	v_subrev_co_ci_u32_e64 v1, null, 0, v1, vcc_lo
	s_delay_alu instid0(VALU_DEP_1) | instskip(NEXT) | instid1(VALU_DEP_4)
	v_sub_nc_u32_e32 v16, 0, v1
	v_pk_add_f32 v[14:15], v[10:11], v[12:13] neg_lo:[0,1] neg_hi:[0,1]
	v_cmp_neq_f32_e32 vcc_lo, 0x7f800000, v10
	v_cmp_neq_f32_e64 s3, -1.0, v10
	s_delay_alu instid0(VALU_DEP_4) | instskip(NEXT) | instid1(VALU_DEP_4)
	v_ldexp_f32 v11, v13, v16
	v_add_f32_e32 v12, 1.0, v15
	s_delay_alu instid0(VALU_DEP_1) | instskip(NEXT) | instid1(VALU_DEP_1)
	v_dual_add_f32 v15, 1.0, v11 :: v_dual_add_f32 v12, v14, v12
	v_add_f32_e32 v13, -1.0, v15
	v_add_f32_e32 v17, -1.0, v11
	s_delay_alu instid0(VALU_DEP_3) | instskip(NEXT) | instid1(VALU_DEP_3)
	v_ldexp_f32 v12, v12, v16
	v_sub_f32_e32 v13, v11, v13
	s_delay_alu instid0(VALU_DEP_1) | instskip(NEXT) | instid1(VALU_DEP_1)
	v_add_f32_e32 v16, v12, v13
	v_dual_add_f32 v14, 1.0, v17 :: v_dual_add_f32 v23, v15, v16
	s_delay_alu instid0(VALU_DEP_1) | instskip(NEXT) | instid1(VALU_DEP_2)
	v_sub_f32_e32 v11, v11, v14
	v_rcp_f32_e32 v28, v23
	s_delay_alu instid0(VALU_DEP_1) | instskip(NEXT) | instid1(VALU_DEP_1)
	v_add_f32_e32 v11, v12, v11
	v_add_f32_e32 v13, v17, v11
	s_delay_alu instid0(TRANS32_DEP_1) | instid1(VALU_DEP_1)
	v_dual_mul_f32 v29, v13, v28 :: v_dual_sub_f32 v12, v23, v15
	s_delay_alu instid0(VALU_DEP_1) | instskip(SKIP_1) | instid1(VALU_DEP_2)
	v_dual_mul_f32 v14, v23, v29 :: v_dual_sub_f32 v30, v16, v12
	v_sub_f32_e32 v31, v13, v17
	v_fma_f32 v16, v29, v23, -v14
	s_delay_alu instid0(VALU_DEP_1) | instskip(NEXT) | instid1(VALU_DEP_1)
	v_dual_sub_f32 v11, v11, v31 :: v_dual_fmac_f32 v16, v29, v30
	v_add_f32_e32 v12, v14, v16
	s_delay_alu instid0(VALU_DEP_1) | instskip(NEXT) | instid1(VALU_DEP_1)
	v_dual_sub_f32 v15, v13, v12 :: v_dual_mov_b32 v17, v12
	v_pk_add_f32 v[12:13], v[12:13], v[14:15] neg_lo:[0,1] neg_hi:[0,1]
	s_delay_alu instid0(VALU_DEP_1) | instskip(NEXT) | instid1(VALU_DEP_1)
	v_pk_add_f32 v[12:13], v[12:13], v[16:17] neg_lo:[0,1] neg_hi:[0,1]
	v_add_f32_e32 v11, v11, v13
	s_delay_alu instid0(VALU_DEP_1) | instskip(NEXT) | instid1(VALU_DEP_1)
	v_add_f32_e32 v11, v12, v11
	v_add_f32_e32 v13, v15, v11
	s_delay_alu instid0(VALU_DEP_1) | instskip(NEXT) | instid1(VALU_DEP_1)
	v_mul_f32_e32 v31, v28, v13
	v_mul_f32_e32 v16, v23, v31
	s_delay_alu instid0(VALU_DEP_1) | instskip(SKIP_1) | instid1(VALU_DEP_2)
	v_fma_f32 v14, v31, v23, -v16
	v_sub_f32_e32 v23, v15, v13
	v_dual_fmac_f32 v14, v31, v30 :: v_dual_add_f32 v30, v29, v31
	s_delay_alu instid0(VALU_DEP_1) | instskip(NEXT) | instid1(VALU_DEP_1)
	v_dual_add_f32 v11, v11, v23 :: v_dual_add_f32 v12, v16, v14
	v_dual_mov_b32 v15, v12 :: v_dual_sub_f32 v17, v13, v12
	s_delay_alu instid0(VALU_DEP_1) | instskip(NEXT) | instid1(VALU_DEP_1)
	v_pk_add_f32 v[12:13], v[12:13], v[16:17] neg_lo:[0,1] neg_hi:[0,1]
	v_pk_add_f32 v[12:13], v[12:13], v[14:15] neg_lo:[0,1] neg_hi:[0,1]
	s_delay_alu instid0(VALU_DEP_1) | instskip(NEXT) | instid1(VALU_DEP_1)
	v_add_f32_e32 v11, v11, v13
	v_dual_add_f32 v11, v12, v11 :: v_dual_sub_f32 v12, v30, v29
	s_delay_alu instid0(VALU_DEP_1) | instskip(NEXT) | instid1(VALU_DEP_1)
	v_dual_sub_f32 v12, v31, v12 :: v_dual_add_f32 v11, v17, v11
	v_mul_f32_e32 v11, v28, v11
	s_delay_alu instid0(VALU_DEP_1) | instskip(SKIP_1) | instid1(VALU_DEP_2)
	v_add_f32_e32 v11, v12, v11
	v_cvt_f32_i32_e32 v12, v1
	v_add_f32_e32 v28, v30, v11
	s_delay_alu instid0(VALU_DEP_1) | instskip(NEXT) | instid1(VALU_DEP_1)
	v_mul_f32_e32 v14, v28, v28
	v_fmaak_f32 v15, s19, v14, 0x3ecc95a3
	v_mul_f32_e32 v13, v28, v14
	v_ldexp_f32 v17, v28, 1
	v_sub_f32_e32 v1, v28, v30
	s_delay_alu instid0(VALU_DEP_4) | instskip(NEXT) | instid1(VALU_DEP_1)
	v_fmaak_f32 v23, v14, v15, 0x3f2aaada
	v_pk_mul_f32 v[14:15], v[12:13], v[22:23]
	s_delay_alu instid0(VALU_DEP_1) | instskip(SKIP_1) | instid1(VALU_DEP_2)
	v_fma_f32 v16, 0x3f317218, v12, -v14
	v_mov_b32_e32 v28, v14
	v_fmac_f32_e32 v16, 0xb102e308, v12
	s_delay_alu instid0(VALU_DEP_1) | instskip(SKIP_1) | instid1(VALU_DEP_2)
	v_pk_add_f32 v[12:13], v[14:15], v[16:17]
	v_sub_f32_e32 v1, v11, v1
	v_dual_sub_f32 v11, v13, v17 :: v_dual_mov_b32 v17, v12
	s_delay_alu instid0(VALU_DEP_2) | instskip(NEXT) | instid1(VALU_DEP_2)
	v_ldexp_f32 v1, v1, 1
	v_dual_mov_b32 v38, v13 :: v_dual_sub_f32 v11, v15, v11
	v_pk_add_f32 v[14:15], v[12:13], v[14:15] neg_lo:[0,1] neg_hi:[0,1]
	s_delay_alu instid0(VALU_DEP_2) | instskip(SKIP_2) | instid1(VALU_DEP_1)
	v_add_f32_e32 v29, v1, v11
	v_max_num_f32_e64 v1, |v7|, |v7|
	v_max_num_f32_e64 v11, |v6|, |v6|
	v_max_num_f32_e32 v23, v11, v1
	s_delay_alu instid0(VALU_DEP_4) | instskip(SKIP_1) | instid1(VALU_DEP_3)
	v_pk_add_f32 v[30:31], v[12:13], v[28:29]
	v_min_num_f32_e32 v1, v11, v1
	v_frexp_exp_i32_f32_e32 v11, v23
	s_delay_alu instid0(VALU_DEP_3) | instskip(SKIP_1) | instid1(VALU_DEP_4)
	v_mov_b32_e32 v15, v31
	v_frexp_mant_f32_e32 v23, v23
	v_frexp_exp_i32_f32_e32 v33, v1
	s_delay_alu instid0(VALU_DEP_3) | instskip(NEXT) | instid1(VALU_DEP_3)
	v_pk_add_f32 v[34:35], v[16:17], v[14:15]
	v_rcp_f32_e32 v23, v23
	s_delay_alu instid0(VALU_DEP_2)
	v_sub_nc_u32_e32 v11, v33, v11
	v_frexp_mant_f32_e32 v40, v1
	v_pk_add_f32 v[14:15], v[16:17], v[14:15] neg_lo:[0,1] neg_hi:[0,1]
	s_delay_alu instid0(TRANS32_DEP_1) | instid1(VALU_DEP_2)
	v_dual_mov_b32 v28, v35 :: v_dual_mul_f32 v15, v40, v23
	s_delay_alu instid0(VALU_DEP_1) | instskip(SKIP_1) | instid1(VALU_DEP_2)
	v_pk_add_f32 v[36:37], v[28:29], v[12:13] neg_lo:[0,1] neg_hi:[0,1]
	v_dual_mov_b32 v34, v31 :: v_dual_mov_b32 v13, v12
	v_dual_mov_b32 v12, v29 :: v_dual_mov_b32 v39, v36
	v_mov_b32_e32 v1, v36
	s_delay_alu instid0(VALU_DEP_2) | instskip(NEXT) | instid1(VALU_DEP_2)
	v_pk_add_f32 v[16:17], v[34:35], v[38:39] neg_lo:[0,1] neg_hi:[0,1]
	v_pk_add_f32 v[30:31], v[30:31], v[0:1] neg_lo:[0,1] neg_hi:[0,1]
	v_mov_b32_e32 v30, v14
	v_ldexp_f32 v1, v15, v11
	s_delay_alu instid0(VALU_DEP_4) | instskip(NEXT) | instid1(VALU_DEP_2)
	v_pk_add_f32 v[12:13], v[12:13], v[16:17] neg_lo:[0,1] neg_hi:[0,1]
	v_mul_f32_e32 v11, v1, v1
	s_delay_alu instid0(VALU_DEP_2) | instskip(NEXT) | instid1(VALU_DEP_1)
	v_pk_add_f32 v[16:17], v[30:31], v[12:13]
	v_dual_fmaak_f32 v13, s20, v11, 0xbc7a590c :: v_dual_mov_b32 v30, v17
	s_delay_alu instid0(VALU_DEP_1) | instskip(NEXT) | instid1(VALU_DEP_1)
	v_pk_add_f32 v[30:31], v[16:17], v[30:31]
	v_pk_add_f32 v[28:29], v[28:29], v[30:31]
	s_delay_alu instid0(VALU_DEP_1) | instskip(NEXT) | instid1(VALU_DEP_1)
	v_dual_mov_b32 v15, v35 :: v_dual_mov_b32 v17, v28
	v_pk_add_f32 v[34:35], v[16:17], v[14:15] neg_lo:[0,1] neg_hi:[0,1]
	s_delay_alu instid0(VALU_DEP_1) | instskip(NEXT) | instid1(VALU_DEP_1)
	v_dual_fmaak_f32 v13, v11, v13, 0x3d29fb3f :: v_dual_sub_f32 v16, v16, v34
	v_dual_fmaak_f32 v13, v11, v13, 0xbd97d4d7 :: v_dual_sub_f32 v14, v14, v16
	s_delay_alu instid0(VALU_DEP_1) | instskip(NEXT) | instid1(VALU_DEP_1)
	v_fmaak_f32 v13, v11, v13, 0x3dd931b2
	v_fmaak_f32 v15, v11, v13, 0xbe1160e6
	v_mov_b32_e32 v13, v30
	s_delay_alu instid0(VALU_DEP_1) | instskip(NEXT) | instid1(VALU_DEP_1)
	v_pk_add_f32 v[12:13], v[12:13], v[34:35] neg_lo:[0,1] neg_hi:[0,1]
	v_add_f32_e32 v12, v12, v14
	s_delay_alu instid0(VALU_DEP_1) | instskip(NEXT) | instid1(VALU_DEP_1)
	v_dual_add_f32 v12, v12, v13 :: v_dual_fmaak_f32 v15, v11, v15, 0x3e4cb8bf
	v_fmaak_f32 v15, v11, v15, 0xbeaaaa62
	s_delay_alu instid0(VALU_DEP_1) | instskip(NEXT) | instid1(VALU_DEP_1)
	v_mul_f32_e32 v11, v11, v15
	v_dual_fmac_f32 v1, v1, v11 :: v_dual_add_f32 v11, v28, v12
	s_delay_alu instid0(VALU_DEP_1) | instskip(NEXT) | instid1(VALU_DEP_2)
	v_sub_f32_e32 v12, 0x3fc90fdb, v1
	v_cndmask_b32_e32 v11, 0x7f800000, v11, vcc_lo
	v_cmp_gt_i32_e32 vcc_lo, 0, v6
	s_delay_alu instid0(VALU_DEP_3) | instskip(SKIP_2) | instid1(VALU_DEP_3)
	v_cndmask_b32_e64 v1, v1, v12, s2
	v_cndmask_b32_e64 v12, 0, 0x40490fdb, vcc_lo
	v_cmp_ngt_f32_e32 vcc_lo, -1.0, v10
	v_sub_f32_e32 v13, 0x40490fdb, v1
	v_cndmask_b32_e32 v11, 0x7fc00000, v11, vcc_lo
	v_cmp_gt_f32_e32 vcc_lo, 0, v6
	s_delay_alu instid0(VALU_DEP_2) | instskip(NEXT) | instid1(VALU_DEP_4)
	v_cndmask_b32_e64 v11, 0xff800000, v11, s3
	v_cndmask_b32_e32 v1, v1, v13, vcc_lo
	v_cndmask_b32_e32 v13, 0x3f490fdb, v32, vcc_lo
	v_cmp_gt_f32_e64 vcc_lo, 0x33800000, |v10|
	v_cmp_class_f32_e64 s3, v7, 0x204
	v_cndmask_b32_e32 v10, v11, v10, vcc_lo
	v_cmp_eq_f32_e32 vcc_lo, 0, v7
	s_delay_alu instid0(VALU_DEP_2) | instskip(SKIP_1) | instid1(VALU_DEP_1)
	v_dual_mul_f32 v10, 0.5, v10 :: v_dual_cndmask_b32 v1, v1, v12
	s_and_b32 vcc_lo, s4, s3
	v_cndmask_b32_e32 v1, v1, v13, vcc_lo
.LBB168_18:                             ;   in Loop: Header=BB168_5 Depth=1
	s_or_b32 exec_lo, exec_lo, s27
.LBB168_19:                             ;   in Loop: Header=BB168_5 Depth=1
	s_delay_alu instid0(SALU_CYCLE_1)
	s_or_b32 exec_lo, exec_lo, s26
.LBB168_20:                             ;   in Loop: Header=BB168_5 Depth=1
	s_and_not1_saveexec_b32 s4, s25
	s_cbranch_execz .LBB168_22
; %bb.21:                               ;   in Loop: Header=BB168_5 Depth=1
	v_max_num_f32_e64 v1, |v7|, |v7|
	v_max_num_f32_e64 v12, |v6|, |v6|
	v_cmp_gt_i32_e64 s3, 0, v6
	v_cmp_class_f32_e64 s5, v6, 0x204
	v_cmp_class_f32_e64 s6, v7, 0x204
	s_delay_alu instid0(VALU_DEP_4) | instskip(NEXT) | instid1(VALU_DEP_1)
	v_dual_max_num_f32 v13, v12, v1 :: v_dual_min_num_f32 v1, v12, v1
	v_cvt_f64_f32_e32 v[10:11], v13
	v_frexp_exp_i32_f32_e32 v12, v13
	s_delay_alu instid0(VALU_DEP_3) | instskip(SKIP_4) | instid1(VALU_DEP_1)
	v_frexp_exp_i32_f32_e32 v14, v1
	v_frexp_mant_f32_e32 v1, v1
	v_cmp_neq_f32_e32 vcc_lo, 0x7f800000, v13
	v_frexp_exp_i32_f64_e32 v10, v[10:11]
	v_frexp_mant_f32_e32 v11, v13
	v_rcp_f32_e32 v11, v11
	v_nop
	s_delay_alu instid0(TRANS32_DEP_1) | instskip(NEXT) | instid1(VALU_DEP_1)
	v_dual_mul_f32 v1, v1, v11 :: v_dual_sub_nc_u32 v12, v14, v12
	v_ldexp_f32 v1, v1, v12
	s_delay_alu instid0(VALU_DEP_1) | instskip(NEXT) | instid1(VALU_DEP_1)
	v_dual_mul_f32 v12, v1, v1 :: v_dual_sub_nc_u32 v11, 0, v10
	v_ldexp_f32 v14, |v7|, v11
	s_delay_alu instid0(VALU_DEP_2) | instskip(SKIP_1) | instid1(VALU_DEP_3)
	v_fmaak_f32 v15, s20, v12, 0xbc7a590c
	v_ldexp_f32 v11, |v6|, v11
	v_mul_f32_e32 v14, v14, v14
	s_delay_alu instid0(VALU_DEP_1) | instskip(NEXT) | instid1(VALU_DEP_1)
	v_fmac_f32_e32 v14, v11, v11
	v_sqrt_f32_e32 v14, v14
	v_nop
	s_delay_alu instid0(TRANS32_DEP_1) | instskip(NEXT) | instid1(VALU_DEP_1)
	v_ldexp_f32 v10, v14, v10
	v_cndmask_b32_e32 v10, 0x7f800000, v10, vcc_lo
	s_delay_alu instid0(VALU_DEP_1) | instskip(SKIP_3) | instid1(VALU_DEP_2)
	v_cmp_gt_f32_e32 vcc_lo, 0x800000, v10
	v_cndmask_b32_e64 v14, 0, 0x41b17218, vcc_lo
	v_fmaak_f32 v15, v12, v15, 0x3d29fb3f
	v_cndmask_b32_e64 v13, 0, 32, vcc_lo
	v_fmaak_f32 v11, v12, v15, 0xbd97d4d7
	s_delay_alu instid0(VALU_DEP_1) | instskip(NEXT) | instid1(VALU_DEP_1)
	v_fmaak_f32 v11, v12, v11, 0x3dd931b2
	v_fmaak_f32 v11, v12, v11, 0xbe1160e6
	s_delay_alu instid0(VALU_DEP_1) | instskip(NEXT) | instid1(VALU_DEP_1)
	v_fmaak_f32 v11, v12, v11, 0x3e4cb8bf
	v_fmaak_f32 v11, v12, v11, 0xbeaaaa62
	s_delay_alu instid0(VALU_DEP_1) | instskip(SKIP_1) | instid1(VALU_DEP_1)
	v_mul_f32_e32 v11, v12, v11
	v_ldexp_f32 v10, v10, v13
	v_log_f32_e32 v10, v10
	v_nop
	s_delay_alu instid0(TRANS32_DEP_1) | instskip(SKIP_2) | instid1(VALU_DEP_1)
	v_cmp_gt_f32_e64 vcc_lo, 0x7f800000, |v10|
	v_fmac_f32_e32 v1, v1, v11
	v_mul_f32_e32 v11, 0x3f317217, v10
	v_fma_f32 v11, 0x3f317217, v10, -v11
	s_delay_alu instid0(VALU_DEP_1) | instskip(NEXT) | instid1(VALU_DEP_1)
	v_fmac_f32_e32 v11, 0x3377d1cf, v10
	v_fmac_f32_e32 v11, 0x3f317217, v10
	s_delay_alu instid0(VALU_DEP_1) | instskip(SKIP_2) | instid1(VALU_DEP_2)
	v_cndmask_b32_e32 v10, v10, v11, vcc_lo
	v_sub_f32_e32 v12, 0x3fc90fdb, v1
	v_cmp_eq_f32_e32 vcc_lo, 0, v7
	v_dual_sub_f32 v10, v10, v14 :: v_dual_cndmask_b32 v1, v1, v12, s2
	v_cndmask_b32_e64 v12, 0, 0x40490fdb, s3
	v_cmp_gt_f32_e64 s3, 0, v6
	s_delay_alu instid0(VALU_DEP_3) | instskip(NEXT) | instid1(VALU_DEP_1)
	v_sub_f32_e32 v13, 0x40490fdb, v1
	v_cndmask_b32_e64 v1, v1, v13, s3
	v_cndmask_b32_e64 v13, 0x3f490fdb, v32, s3
	s_delay_alu instid0(VALU_DEP_2) | instskip(SKIP_1) | instid1(VALU_DEP_1)
	v_cndmask_b32_e32 v1, v1, v12, vcc_lo
	s_and_b32 vcc_lo, s5, s6
	v_cndmask_b32_e32 v1, v1, v13, vcc_lo
.LBB168_22:                             ;   in Loop: Header=BB168_5 Depth=1
	s_or_b32 exec_lo, exec_lo, s4
                                        ; implicit-def: $vgpr12
.LBB168_23:                             ;   in Loop: Header=BB168_5 Depth=1
	s_and_not1_saveexec_b32 s4, s24
	s_cbranch_execz .LBB168_29
; %bb.24:                               ;   in Loop: Header=BB168_5 Depth=1
                                        ; implicit-def: $vgpr10
                                        ; implicit-def: $vgpr1
	s_mov_b32 s3, exec_lo
	v_cmpx_ngt_f32_e32 0x1fec1e4a, v12
	s_xor_b32 s5, exec_lo, s3
	s_cbranch_execz .LBB168_26
; %bb.25:                               ;   in Loop: Header=BB168_5 Depth=1
	v_pk_mul_f32 v[10:11], v[12:13], v[12:13]
	v_max_num_f32_e64 v33, |v6|, |v6|
	v_cmp_class_f32_e64 s6, v6, 0x204
	s_delay_alu instid0(VALU_DEP_3) | instskip(SKIP_1) | instid1(VALU_DEP_2)
	v_add_f32_e32 v13, 1.0, v10
	v_cmp_neq_f32_e64 s3, 0x7f800000, v10
	v_frexp_mant_f32_e32 v12, v13
	v_add_f32_e32 v11, -1.0, v13
	s_delay_alu instid0(VALU_DEP_2) | instskip(NEXT) | instid1(VALU_DEP_2)
	v_cmp_gt_f32_e32 vcc_lo, 0x3f2aaaab, v12
	v_mov_b32_e32 v12, v11
	v_cvt_f64_f32_e32 v[14:15], v13
	s_delay_alu instid0(VALU_DEP_1) | instskip(NEXT) | instid1(VALU_DEP_3)
	v_frexp_exp_i32_f64_e32 v1, v[14:15]
	v_pk_add_f32 v[14:15], v[10:11], v[12:13] neg_lo:[0,1] neg_hi:[0,1]
	s_delay_alu instid0(VALU_DEP_1) | instskip(NEXT) | instid1(VALU_DEP_3)
	v_add_f32_e32 v12, 1.0, v15
	v_subrev_co_ci_u32_e64 v1, null, 0, v1, vcc_lo
	v_cmp_gt_i32_e32 vcc_lo, 0, v6
	s_delay_alu instid0(VALU_DEP_2) | instskip(NEXT) | instid1(VALU_DEP_1)
	v_sub_nc_u32_e32 v16, 0, v1
	v_ldexp_f32 v11, v13, v16
	s_delay_alu instid0(VALU_DEP_1) | instskip(NEXT) | instid1(VALU_DEP_1)
	v_dual_add_f32 v15, 1.0, v11 :: v_dual_add_f32 v12, v14, v12
	v_add_f32_e32 v13, -1.0, v15
	v_add_f32_e32 v17, -1.0, v11
	s_delay_alu instid0(VALU_DEP_3) | instskip(NEXT) | instid1(VALU_DEP_3)
	v_ldexp_f32 v12, v12, v16
	v_sub_f32_e32 v13, v11, v13
	s_delay_alu instid0(VALU_DEP_1) | instskip(NEXT) | instid1(VALU_DEP_1)
	v_add_f32_e32 v16, v12, v13
	v_dual_add_f32 v14, 1.0, v17 :: v_dual_add_f32 v23, v15, v16
	s_delay_alu instid0(VALU_DEP_1) | instskip(NEXT) | instid1(VALU_DEP_2)
	v_sub_f32_e32 v11, v11, v14
	v_rcp_f32_e32 v28, v23
	s_delay_alu instid0(VALU_DEP_1) | instskip(NEXT) | instid1(VALU_DEP_1)
	v_add_f32_e32 v11, v12, v11
	v_add_f32_e32 v13, v17, v11
	s_delay_alu instid0(TRANS32_DEP_1) | instid1(VALU_DEP_1)
	v_mul_f32_e32 v29, v13, v28
	s_delay_alu instid0(VALU_DEP_1) | instskip(SKIP_1) | instid1(VALU_DEP_1)
	v_mul_f32_e32 v14, v23, v29
	v_dual_sub_f32 v12, v15, v23 :: v_dual_sub_f32 v31, v17, v13
	v_dual_add_f32 v30, v16, v12 :: v_dual_fma_f32 v16, v29, v23, -v14
	s_delay_alu instid0(VALU_DEP_1) | instskip(NEXT) | instid1(VALU_DEP_1)
	v_dual_add_f32 v11, v11, v31 :: v_dual_fmac_f32 v16, v29, v30
	v_add_f32_e32 v12, v14, v16
	s_delay_alu instid0(VALU_DEP_1) | instskip(NEXT) | instid1(VALU_DEP_1)
	v_dual_sub_f32 v15, v13, v12 :: v_dual_mov_b32 v17, v12
	v_pk_add_f32 v[12:13], v[12:13], v[14:15] neg_lo:[0,1] neg_hi:[0,1]
	s_delay_alu instid0(VALU_DEP_1) | instskip(NEXT) | instid1(VALU_DEP_1)
	v_pk_add_f32 v[12:13], v[12:13], v[16:17] neg_lo:[0,1] neg_hi:[0,1]
	v_add_f32_e32 v11, v11, v13
	s_delay_alu instid0(VALU_DEP_1) | instskip(NEXT) | instid1(VALU_DEP_1)
	v_add_f32_e32 v11, v12, v11
	v_add_f32_e32 v13, v15, v11
	s_delay_alu instid0(VALU_DEP_1) | instskip(NEXT) | instid1(VALU_DEP_1)
	v_mul_f32_e32 v31, v28, v13
	v_mul_f32_e32 v16, v23, v31
	s_delay_alu instid0(VALU_DEP_1) | instskip(SKIP_1) | instid1(VALU_DEP_2)
	v_fma_f32 v14, v31, v23, -v16
	v_sub_f32_e32 v23, v15, v13
	v_dual_fmac_f32 v14, v31, v30 :: v_dual_add_f32 v30, v29, v31
	s_delay_alu instid0(VALU_DEP_1) | instskip(NEXT) | instid1(VALU_DEP_1)
	v_dual_add_f32 v11, v11, v23 :: v_dual_add_f32 v12, v16, v14
	v_dual_mov_b32 v15, v12 :: v_dual_sub_f32 v17, v13, v12
	s_delay_alu instid0(VALU_DEP_1) | instskip(NEXT) | instid1(VALU_DEP_1)
	v_pk_add_f32 v[12:13], v[12:13], v[16:17] neg_lo:[0,1] neg_hi:[0,1]
	v_pk_add_f32 v[12:13], v[12:13], v[14:15] neg_lo:[0,1] neg_hi:[0,1]
	s_delay_alu instid0(VALU_DEP_1) | instskip(NEXT) | instid1(VALU_DEP_1)
	v_add_f32_e32 v11, v11, v13
	v_dual_add_f32 v11, v12, v11 :: v_dual_sub_f32 v12, v30, v29
	s_delay_alu instid0(VALU_DEP_1) | instskip(NEXT) | instid1(VALU_DEP_1)
	v_dual_sub_f32 v12, v31, v12 :: v_dual_add_f32 v11, v17, v11
	v_mul_f32_e32 v11, v28, v11
	s_delay_alu instid0(VALU_DEP_1) | instskip(SKIP_1) | instid1(VALU_DEP_2)
	v_add_f32_e32 v11, v12, v11
	v_cvt_f32_i32_e32 v12, v1
	v_add_f32_e32 v28, v30, v11
	s_delay_alu instid0(VALU_DEP_1) | instskip(NEXT) | instid1(VALU_DEP_1)
	v_mul_f32_e32 v14, v28, v28
	v_fmaak_f32 v15, s19, v14, 0x3ecc95a3
	v_mul_f32_e32 v13, v28, v14
	v_ldexp_f32 v17, v28, 1
	v_sub_f32_e32 v1, v28, v30
	s_delay_alu instid0(VALU_DEP_4) | instskip(NEXT) | instid1(VALU_DEP_1)
	v_fmaak_f32 v23, v14, v15, 0x3f2aaada
	v_pk_mul_f32 v[14:15], v[12:13], v[22:23]
	v_max_num_f32_e64 v23, |v7|, |v7|
	s_delay_alu instid0(VALU_DEP_2) | instskip(SKIP_1) | instid1(VALU_DEP_2)
	v_fma_f32 v16, 0x3f317218, v12, -v14
	v_mov_b32_e32 v28, v14
	v_fmac_f32_e32 v16, 0xb102e308, v12
	s_delay_alu instid0(VALU_DEP_1) | instskip(SKIP_1) | instid1(VALU_DEP_2)
	v_pk_add_f32 v[12:13], v[14:15], v[16:17]
	v_sub_f32_e32 v1, v11, v1
	v_dual_sub_f32 v11, v13, v17 :: v_dual_mov_b32 v17, v12
	s_delay_alu instid0(VALU_DEP_2) | instskip(NEXT) | instid1(VALU_DEP_2)
	v_ldexp_f32 v1, v1, 1
	v_sub_f32_e32 v11, v15, v11
	v_pk_add_f32 v[14:15], v[12:13], v[14:15] neg_lo:[0,1] neg_hi:[0,1]
	s_delay_alu instid0(VALU_DEP_2) | instskip(SKIP_1) | instid1(VALU_DEP_1)
	v_add_f32_e32 v29, v1, v11
	v_dual_max_num_f32 v1, v33, v23 :: v_dual_min_num_f32 v23, v33, v23
	v_frexp_mant_f32_e32 v11, v1
	s_delay_alu instid0(VALU_DEP_2) | instskip(SKIP_2) | instid1(VALU_DEP_4)
	v_frexp_exp_i32_f32_e32 v33, v23
	v_frexp_mant_f32_e32 v23, v23
	v_frexp_exp_i32_f32_e32 v1, v1
	v_rcp_f32_e32 v11, v11
	v_nop
	s_delay_alu instid0(TRANS32_DEP_1) | instskip(SKIP_2) | instid1(VALU_DEP_3)
	v_dual_sub_nc_u32 v1, v33, v1 :: v_dual_mul_f32 v11, v23, v11
	v_pk_add_f32 v[30:31], v[12:13], v[28:29]
	v_mov_b32_e32 v38, v13
	v_ldexp_f32 v11, v11, v1
	s_delay_alu instid0(VALU_DEP_3) | instskip(NEXT) | instid1(VALU_DEP_1)
	v_mov_b32_e32 v15, v31
	v_pk_add_f32 v[34:35], v[16:17], v[14:15]
	v_mov_b32_e32 v34, v31
	v_pk_add_f32 v[14:15], v[16:17], v[14:15] neg_lo:[0,1] neg_hi:[0,1]
	v_mul_f32_e32 v23, v11, v11
	s_delay_alu instid0(VALU_DEP_4) | instskip(NEXT) | instid1(VALU_DEP_1)
	v_mov_b32_e32 v28, v35
	v_pk_add_f32 v[36:37], v[28:29], v[12:13] neg_lo:[0,1] neg_hi:[0,1]
	v_dual_mov_b32 v13, v12 :: v_dual_mov_b32 v12, v29
	s_delay_alu instid0(VALU_DEP_2) | instskip(NEXT) | instid1(VALU_DEP_1)
	v_dual_mov_b32 v1, v36 :: v_dual_mov_b32 v39, v36
	v_pk_add_f32 v[30:31], v[30:31], v[0:1] neg_lo:[0,1] neg_hi:[0,1]
	s_delay_alu instid0(VALU_DEP_2) | instskip(SKIP_1) | instid1(VALU_DEP_2)
	v_pk_add_f32 v[16:17], v[34:35], v[38:39] neg_lo:[0,1] neg_hi:[0,1]
	v_mov_b32_e32 v30, v14
	v_pk_add_f32 v[12:13], v[12:13], v[16:17] neg_lo:[0,1] neg_hi:[0,1]
	s_delay_alu instid0(VALU_DEP_1) | instskip(NEXT) | instid1(VALU_DEP_1)
	v_pk_add_f32 v[16:17], v[30:31], v[12:13]
	v_dual_fmaak_f32 v1, s20, v23, 0xbc7a590c :: v_dual_mov_b32 v30, v17
	s_delay_alu instid0(VALU_DEP_1) | instskip(NEXT) | instid1(VALU_DEP_1)
	v_pk_add_f32 v[30:31], v[16:17], v[30:31]
	v_pk_add_f32 v[28:29], v[28:29], v[30:31]
	s_delay_alu instid0(VALU_DEP_1) | instskip(NEXT) | instid1(VALU_DEP_1)
	v_dual_mov_b32 v15, v35 :: v_dual_mov_b32 v17, v28
	v_pk_add_f32 v[34:35], v[16:17], v[14:15] neg_lo:[0,1] neg_hi:[0,1]
	s_delay_alu instid0(VALU_DEP_1) | instskip(SKIP_1) | instid1(VALU_DEP_2)
	v_dual_mov_b32 v13, v30 :: v_dual_sub_f32 v15, v16, v34
	v_fmaak_f32 v1, v23, v1, 0x3d29fb3f
	v_pk_add_f32 v[12:13], v[12:13], v[34:35] neg_lo:[0,1] neg_hi:[0,1]
	s_delay_alu instid0(VALU_DEP_2) | instskip(NEXT) | instid1(VALU_DEP_1)
	v_dual_sub_f32 v14, v14, v15 :: v_dual_fmaak_f32 v1, v23, v1, 0xbd97d4d7
	v_fmaak_f32 v1, v23, v1, 0x3dd931b2
	s_delay_alu instid0(VALU_DEP_1) | instskip(NEXT) | instid1(VALU_DEP_1)
	v_fmaak_f32 v1, v23, v1, 0xbe1160e6
	v_fmaak_f32 v1, v23, v1, 0x3e4cb8bf
	s_delay_alu instid0(VALU_DEP_1) | instskip(NEXT) | instid1(VALU_DEP_1)
	v_fmaak_f32 v1, v23, v1, 0xbeaaaa62
	v_mul_f32_e32 v1, v23, v1
	s_delay_alu instid0(VALU_DEP_1) | instskip(NEXT) | instid1(VALU_DEP_1)
	v_dual_fmac_f32 v11, v11, v1 :: v_dual_add_f32 v1, v12, v14
	v_dual_sub_f32 v12, 0x3fc90fdb, v11 :: v_dual_add_f32 v1, v1, v13
	s_delay_alu instid0(VALU_DEP_1) | instskip(SKIP_2) | instid1(VALU_DEP_3)
	v_cndmask_b32_e64 v11, v11, v12, s2
	v_cndmask_b32_e64 v12, 0, 0x40490fdb, vcc_lo
	v_cmp_gt_f32_e32 vcc_lo, 0, v6
	v_sub_f32_e32 v13, 0x40490fdb, v11
	s_delay_alu instid0(VALU_DEP_1) | instskip(SKIP_3) | instid1(VALU_DEP_3)
	v_cndmask_b32_e32 v11, v11, v13, vcc_lo
	v_add_f32_e32 v1, v28, v1
	v_cndmask_b32_e32 v13, 0x3f490fdb, v32, vcc_lo
	v_cmp_gt_f32_e64 vcc_lo, 0x33800000, |v10|
	v_cndmask_b32_e64 v1, 0x7f800000, v1, s3
	v_cmp_class_f32_e64 s3, v7, 0x204
	s_delay_alu instid0(VALU_DEP_2) | instskip(SKIP_1) | instid1(VALU_DEP_2)
	v_cndmask_b32_e32 v1, v1, v10, vcc_lo
	v_cmp_eq_f32_e32 vcc_lo, 0, v7
	v_dual_mul_f32 v10, 0.5, v1 :: v_dual_cndmask_b32 v11, v11, v12
	s_and_b32 vcc_lo, s6, s3
                                        ; implicit-def: $vgpr12
	s_delay_alu instid0(VALU_DEP_1)
	v_cndmask_b32_e32 v1, v11, v13, vcc_lo
.LBB168_26:                             ;   in Loop: Header=BB168_5 Depth=1
	s_and_not1_saveexec_b32 s5, s5
	s_cbranch_execz .LBB168_28
; %bb.27:                               ;   in Loop: Header=BB168_5 Depth=1
	v_max_num_f32_e64 v1, |v7|, |v7|
	v_max_num_f32_e64 v10, |v6|, |v6|
	v_cmp_eq_f32_e64 s3, 0, v7
	v_cmp_gt_i32_e32 vcc_lo, 0, v6
	v_cmp_class_f32_e64 s6, v6, 0x204
	v_cmp_class_f32_e64 s7, v7, 0x204
	v_dual_max_num_f32 v11, v10, v1 :: v_dual_min_num_f32 v1, v10, v1
	s_delay_alu instid0(VALU_DEP_1) | instskip(SKIP_1) | instid1(VALU_DEP_2)
	v_frexp_mant_f32_e32 v13, v11
	v_frexp_exp_i32_f32_e32 v10, v11
	v_rcp_f32_e32 v11, v13
	v_nop
	v_frexp_exp_i32_f32_e32 v13, v1
	v_frexp_mant_f32_e32 v1, v1
	s_delay_alu instid0(VALU_DEP_2)
	v_sub_nc_u32_e32 v10, v13, v10
	s_delay_alu instid0(TRANS32_DEP_1) | instid1(VALU_DEP_2)
	v_mul_f32_e32 v1, v1, v11
	s_delay_alu instid0(VALU_DEP_1) | instskip(NEXT) | instid1(VALU_DEP_1)
	v_ldexp_f32 v1, v1, v10
	v_mul_f32_e32 v10, v1, v1
	s_delay_alu instid0(VALU_DEP_1) | instskip(NEXT) | instid1(VALU_DEP_1)
	v_fmaak_f32 v11, s20, v10, 0xbc7a590c
	v_fmaak_f32 v11, v10, v11, 0x3d29fb3f
	s_delay_alu instid0(VALU_DEP_1) | instskip(NEXT) | instid1(VALU_DEP_1)
	v_fmaak_f32 v11, v10, v11, 0xbd97d4d7
	v_fmaak_f32 v11, v10, v11, 0x3dd931b2
	;; [unrolled: 3-line block ×3, first 2 shown]
	s_delay_alu instid0(VALU_DEP_1) | instskip(NEXT) | instid1(VALU_DEP_1)
	v_fmaak_f32 v11, v10, v11, 0xbeaaaa62
	v_mul_f32_e32 v10, v10, v11
	v_cndmask_b32_e64 v11, 0, 0x40490fdb, vcc_lo
	v_cmp_gt_f32_e32 vcc_lo, 0, v6
	s_delay_alu instid0(VALU_DEP_3) | instskip(NEXT) | instid1(VALU_DEP_1)
	v_fmac_f32_e32 v1, v1, v10
	v_sub_f32_e32 v10, 0x3fc90fdb, v1
	s_delay_alu instid0(VALU_DEP_1) | instskip(NEXT) | instid1(VALU_DEP_1)
	v_cndmask_b32_e64 v1, v1, v10, s2
	v_sub_f32_e32 v10, 0x40490fdb, v1
	s_delay_alu instid0(VALU_DEP_1) | instskip(NEXT) | instid1(VALU_DEP_1)
	v_dual_cndmask_b32 v1, v1, v10 :: v_dual_mul_f32 v10, 0.5, v12
	v_cndmask_b32_e64 v1, v1, v11, s3
	v_cndmask_b32_e32 v11, 0x3f490fdb, v32, vcc_lo
	s_and_b32 vcc_lo, s6, s7
	s_delay_alu instid0(VALU_DEP_1)
	v_dual_mul_f32 v10, v12, v10 :: v_dual_cndmask_b32 v1, v1, v11
.LBB168_28:                             ;   in Loop: Header=BB168_5 Depth=1
	s_or_b32 exec_lo, exec_lo, s5
.LBB168_29:                             ;   in Loop: Header=BB168_5 Depth=1
	s_delay_alu instid0(SALU_CYCLE_1)
	s_or_b32 exec_lo, exec_lo, s4
.LBB168_30:                             ;   in Loop: Header=BB168_5 Depth=1
	s_and_not1_saveexec_b32 s4, s23
	s_cbranch_execz .LBB168_32
; %bb.31:                               ;   in Loop: Header=BB168_5 Depth=1
	v_div_scale_f32 v1, null, 0x402df854, 0x402df854, v6
	v_div_scale_f32 v10, null, 0x402df854, 0x402df854, v7
	v_div_scale_f32 v15, vcc_lo, v6, 0x402df854, v6
	s_delay_alu instid0(VALU_DEP_3) | instskip(NEXT) | instid1(VALU_DEP_2)
	v_rcp_f32_e32 v11, v1
	v_rcp_f32_e32 v12, v10
	v_cmp_class_f32_e64 s5, v7, 0x204
	s_delay_alu instid0(TRANS32_DEP_2) | instskip(NEXT) | instid1(TRANS32_DEP_1)
	v_fma_f32 v13, -v1, v11, 1.0
	v_fma_f32 v14, -v10, v12, 1.0
	s_delay_alu instid0(VALU_DEP_1) | instskip(SKIP_1) | instid1(VALU_DEP_1)
	v_dual_fmac_f32 v11, v13, v11 :: v_dual_fmac_f32 v12, v14, v12
	v_div_scale_f32 v13, s3, v7, 0x402df854, v7
	v_dual_mul_f32 v14, v15, v11 :: v_dual_mul_f32 v16, v13, v12
	s_delay_alu instid0(VALU_DEP_1) | instskip(NEXT) | instid1(VALU_DEP_1)
	v_dual_fma_f32 v17, -v1, v14, v15 :: v_dual_fma_f32 v23, -v10, v16, v13
	v_dual_fmac_f32 v14, v17, v11 :: v_dual_fmac_f32 v16, v23, v12
	s_delay_alu instid0(VALU_DEP_1) | instskip(NEXT) | instid1(VALU_DEP_1)
	v_dual_fma_f32 v1, -v1, v14, v15 :: v_dual_fma_f32 v10, -v10, v16, v13
	v_div_fmas_f32 v1, v1, v11, v14
	s_mov_b32 vcc_lo, s3
	v_max_num_f32_e64 v14, |v6|, |v6|
	s_delay_alu instid0(VALU_DEP_3) | instskip(SKIP_2) | instid1(VALU_DEP_3)
	v_div_fmas_f32 v10, v10, v12, v16
	v_cmp_class_f32_e64 s3, v6, 0x204
	v_div_fixup_f32 v1, v1, 0x402df854, v6
	v_div_fixup_f32 v12, v10, 0x402df854, v7
	s_delay_alu instid0(VALU_DEP_1) | instskip(NEXT) | instid1(VALU_DEP_1)
	v_max_num_f32_e64 v13, |v1|, |v12|
	v_cvt_f64_f32_e32 v[10:11], v13
	v_cmp_neq_f32_e32 vcc_lo, 0x7f800000, v13
	s_delay_alu instid0(VALU_DEP_2) | instskip(SKIP_1) | instid1(VALU_DEP_1)
	v_frexp_exp_i32_f64_e32 v10, v[10:11]
	v_max_num_f32_e64 v11, |v7|, |v7|
	v_dual_max_num_f32 v15, v14, v11 :: v_dual_min_num_f32 v11, v14, v11
	s_delay_alu instid0(VALU_DEP_1) | instskip(SKIP_1) | instid1(VALU_DEP_2)
	v_frexp_mant_f32_e32 v16, v15
	v_frexp_exp_i32_f32_e32 v14, v15
	v_rcp_f32_e32 v15, v16
	v_nop
	v_frexp_exp_i32_f32_e32 v16, v11
	v_frexp_mant_f32_e32 v11, v11
	s_delay_alu instid0(TRANS32_DEP_1) | instid1(VALU_DEP_1)
	v_dual_mul_f32 v11, v11, v15 :: v_dual_sub_nc_u32 v14, v16, v14
	s_delay_alu instid0(VALU_DEP_1) | instskip(NEXT) | instid1(VALU_DEP_1)
	v_ldexp_f32 v11, v11, v14
	v_dual_mul_f32 v14, v11, v11 :: v_dual_sub_nc_u32 v15, 0, v10
	s_delay_alu instid0(VALU_DEP_1) | instskip(SKIP_1) | instid1(VALU_DEP_2)
	v_ldexp_f32 v12, |v12|, v15
	v_ldexp_f32 v1, |v1|, v15
	v_dual_fmaak_f32 v15, s20, v14, 0xbc7a590c :: v_dual_mul_f32 v12, v12, v12
	s_delay_alu instid0(VALU_DEP_1) | instskip(NEXT) | instid1(VALU_DEP_1)
	v_dual_fmac_f32 v12, v1, v1 :: v_dual_fmaak_f32 v1, v14, v15, 0x3d29fb3f
	v_sqrt_f32_e32 v12, v12
	s_delay_alu instid0(VALU_DEP_1) | instskip(NEXT) | instid1(VALU_DEP_1)
	v_fmaak_f32 v1, v14, v1, 0xbd97d4d7
	v_fmaak_f32 v1, v14, v1, 0x3dd931b2
	s_delay_alu instid0(TRANS32_DEP_1) | instskip(NEXT) | instid1(VALU_DEP_2)
	v_ldexp_f32 v10, v12, v10
	v_fmaak_f32 v1, v14, v1, 0xbe1160e6
	s_delay_alu instid0(VALU_DEP_1) | instskip(NEXT) | instid1(VALU_DEP_1)
	v_fmaak_f32 v1, v14, v1, 0x3e4cb8bf
	v_fmaak_f32 v1, v14, v1, 0xbeaaaa62
	s_delay_alu instid0(VALU_DEP_1) | instskip(NEXT) | instid1(VALU_DEP_1)
	v_dual_cndmask_b32 v10, 0x7f800000, v10 :: v_dual_mul_f32 v1, v14, v1
	v_cmp_gt_f32_e32 vcc_lo, 0x800000, v10
	s_delay_alu instid0(VALU_DEP_2) | instskip(SKIP_2) | instid1(VALU_DEP_2)
	v_fmac_f32_e32 v11, v11, v1
	v_cndmask_b32_e64 v12, 0, 32, vcc_lo
	v_cndmask_b32_e64 v14, 0, 0x41b17218, vcc_lo
	v_ldexp_f32 v10, v10, v12
	s_delay_alu instid0(VALU_DEP_1) | instskip(SKIP_1) | instid1(TRANS32_DEP_1)
	v_log_f32_e32 v10, v10
	v_nop
	v_mul_f32_e32 v12, 0x3f317217, v10
	v_cmp_gt_f32_e64 vcc_lo, 0x7f800000, |v10|
	s_delay_alu instid0(VALU_DEP_2) | instskip(NEXT) | instid1(VALU_DEP_1)
	v_fma_f32 v1, 0x3f317217, v10, -v12
	v_fmac_f32_e32 v1, 0x3377d1cf, v10
	s_delay_alu instid0(VALU_DEP_1) | instskip(NEXT) | instid1(VALU_DEP_1)
	v_fmac_f32_e32 v1, 0x3f317217, v10
	v_dual_sub_f32 v12, 0x3fc90fdb, v11 :: v_dual_cndmask_b32 v1, v10, v1
	s_delay_alu instid0(VALU_DEP_1) | instskip(SKIP_2) | instid1(VALU_DEP_4)
	v_cndmask_b32_e64 v11, v11, v12, s2
	v_cmp_gt_i32_e64 s2, 0, v6
	v_cmp_eq_f32_e32 vcc_lo, 0, v7
	v_sub_f32_e32 v1, v1, v14
	s_delay_alu instid0(VALU_DEP_4) | instskip(NEXT) | instid1(VALU_DEP_4)
	v_sub_f32_e32 v13, 0x40490fdb, v11
	v_cndmask_b32_e64 v12, 0, 0x40490fdb, s2
	v_cmp_gt_f32_e64 s2, 0, v6
	s_delay_alu instid0(VALU_DEP_1) | instskip(SKIP_1) | instid1(VALU_DEP_2)
	v_cndmask_b32_e64 v10, v11, v13, s2
	v_cndmask_b32_e64 v11, 0x3f490fdb, v32, s2
	v_cndmask_b32_e32 v12, v10, v12, vcc_lo
	s_and_b32 vcc_lo, s3, s5
	s_delay_alu instid0(VALU_DEP_1)
	v_dual_add_f32 v10, 1.0, v1 :: v_dual_cndmask_b32 v1, v12, v11
.LBB168_32:                             ;   in Loop: Header=BB168_5 Depth=1
	s_or_b32 exec_lo, exec_lo, s4
.LBB168_33:                             ;   in Loop: Header=BB168_5 Depth=1
	s_and_not1_saveexec_b32 s2, s22
	s_cbranch_execz .LBB168_39
; %bb.34:                               ;   in Loop: Header=BB168_5 Depth=1
	v_cmp_ngt_f32_e64 s3, 0x20000000, |v6|
	v_cmp_ngt_f32_e64 s4, 0x20000000, |v7|
                                        ; implicit-def: $vgpr1
	s_or_b32 s3, s3, s4
	s_delay_alu instid0(SALU_CYCLE_1) | instskip(NEXT) | instid1(SALU_CYCLE_1)
	s_and_saveexec_b32 s4, s3
	s_xor_b32 s3, exec_lo, s4
; %bb.35:                               ;   in Loop: Header=BB168_5 Depth=1
	v_pk_mul_f32 v[10:11], v[6:7], v[6:7]
	s_delay_alu instid0(VALU_DEP_1)
	v_add_f32_e32 v1, v10, v11
; %bb.36:                               ;   in Loop: Header=BB168_5 Depth=1
	s_and_not1_saveexec_b32 s3, s3
; %bb.37:                               ;   in Loop: Header=BB168_5 Depth=1
	v_pk_mul_f32 v[10:11], v[6:7], 4.0 op_sel_hi:[1,0]
	s_delay_alu instid0(VALU_DEP_1) | instskip(NEXT) | instid1(VALU_DEP_1)
	v_pk_mul_f32 v[10:11], v[10:11], v[10:11]
	v_add_f32_e32 v1, v10, v11
	s_delay_alu instid0(VALU_DEP_1)
	v_mul_f32_e32 v1, 0x3d800000, v1
; %bb.38:                               ;   in Loop: Header=BB168_5 Depth=1
	s_or_b32 exec_lo, exec_lo, s3
	s_delay_alu instid0(VALU_DEP_1) | instskip(SKIP_2) | instid1(VALU_DEP_2)
	v_cmp_gt_f32_e32 vcc_lo, 0x800000, v1
	v_cndmask_b32_e64 v6, 0, 32, vcc_lo
	v_cndmask_b32_e64 v10, 0, 0x41b17218, vcc_lo
	v_ldexp_f32 v1, v1, v6
	s_delay_alu instid0(VALU_DEP_1) | instskip(SKIP_1) | instid1(TRANS32_DEP_1)
	v_log_f32_e32 v1, v1
	v_nop
	v_mul_f32_e32 v6, 0x3f317217, v1
	v_cmp_gt_f32_e64 vcc_lo, 0x7f800000, |v1|
	s_delay_alu instid0(VALU_DEP_2) | instskip(NEXT) | instid1(VALU_DEP_1)
	v_fma_f32 v6, 0x3f317217, v1, -v6
	v_fmac_f32_e32 v6, 0x3377d1cf, v1
	s_delay_alu instid0(VALU_DEP_1) | instskip(NEXT) | instid1(VALU_DEP_1)
	v_fmac_f32_e32 v6, 0x3f317217, v1
	v_cndmask_b32_e32 v1, v1, v6, vcc_lo
	s_delay_alu instid0(VALU_DEP_1)
	v_dual_sub_f32 v10, v1, v10 :: v_dual_mov_b32 v1, 0x7fc00000
.LBB168_39:                             ;   in Loop: Header=BB168_5 Depth=1
	s_or_b32 exec_lo, exec_lo, s2
                                        ; implicit-def: $vgpr6
	s_delay_alu instid0(SALU_CYCLE_1)
	s_mov_b32 s2, exec_lo
	v_cmpx_o_f32_e32 v9, v8
	s_xor_b32 s22, exec_lo, s2
	s_cbranch_execz .LBB168_67
; %bb.40:                               ;   in Loop: Header=BB168_5 Depth=1
	v_cmp_lt_f32_e64 s2, |v8|, |v9|
                                        ; implicit-def: $vgpr6
	s_mov_b32 s4, exec_lo
	v_cndmask_b32_e64 v11, v9, v8, s2
	s_delay_alu instid0(VALU_DEP_1)
	v_cmpx_nlt_f32_e64 0x77f684df, |v11|
	s_xor_b32 s23, exec_lo, s4
	s_cbranch_execz .LBB168_64
; %bb.41:                               ;   in Loop: Header=BB168_5 Depth=1
	v_cndmask_b32_e64 v6, v8, v9, s2
	v_and_b32_e32 v14, 0x7fffffff, v11
	s_mov_b32 s3, exec_lo
	s_delay_alu instid0(VALU_DEP_2) | instskip(NEXT) | instid1(VALU_DEP_1)
	v_and_b32_e32 v15, 0x7fffffff, v6
                                        ; implicit-def: $vgpr6
	v_cmpx_neq_f32_e32 1.0, v15
	s_xor_b32 s24, exec_lo, s3
	s_cbranch_execz .LBB168_57
; %bb.42:                               ;   in Loop: Header=BB168_5 Depth=1
	v_dual_max_num_f32 v6, v14, v14 :: v_dual_max_num_f32 v11, v15, v15
	s_delay_alu instid0(VALU_DEP_1) | instskip(NEXT) | instid1(VALU_DEP_1)
	v_dual_min_num_f32 v12, v11, v6 :: v_dual_max_num_f32 v6, v11, v6
	v_cmp_ngt_f32_e32 vcc_lo, 0x358637bd, v12
	s_delay_alu instid0(VALU_DEP_2) | instskip(SKIP_1) | instid1(SALU_CYCLE_1)
	v_cmp_nlt_f32_e64 s3, 0x49742400, v6
                                        ; implicit-def: $vgpr6
	s_and_b32 s3, s3, vcc_lo
	s_and_saveexec_b32 s4, s3
	s_delay_alu instid0(SALU_CYCLE_1)
	s_xor_b32 s25, exec_lo, s4
	s_cbranch_execz .LBB168_54
; %bb.43:                               ;   in Loop: Header=BB168_5 Depth=1
                                        ; implicit-def: $vgpr6
	s_mov_b32 s3, exec_lo
	v_cmpx_le_f32_e32 1.0, v15
	s_xor_b32 s4, exec_lo, s3
	s_cbranch_execz .LBB168_45
; %bb.44:                               ;   in Loop: Header=BB168_5 Depth=1
	v_pk_add_f32 v[12:13], v[14:15], v[20:21] op_sel:[1,0]
	v_mov_b32_e32 v16, v14
	v_cmp_class_f32_e64 s5, v8, 0x204
	s_delay_alu instid0(VALU_DEP_3) | instskip(SKIP_1) | instid1(VALU_DEP_1)
	v_dual_mov_b32 v15, v12 :: v_dual_mov_b32 v17, v13
	v_mul_f32_e32 v6, v12, v13
	v_pk_fma_f32 v[12:13], v[14:15], v[16:17], v[6:7] op_sel_hi:[1,1,0]
	s_delay_alu instid0(VALU_DEP_1) | instskip(SKIP_1) | instid1(VALU_DEP_2)
	v_add_f32_e32 v15, 1.0, v12
	v_cmp_neq_f32_e64 s3, -1.0, v12
	v_add_f32_e32 v13, -1.0, v15
	s_delay_alu instid0(VALU_DEP_1) | instskip(SKIP_2) | instid1(VALU_DEP_1)
	v_mov_b32_e32 v14, v13
	v_cvt_f64_f32_e32 v[16:17], v15
	v_frexp_mant_f32_e32 v11, v15
	v_cmp_gt_f32_e32 vcc_lo, 0x3f2aaaab, v11
	s_delay_alu instid0(VALU_DEP_3) | instskip(NEXT) | instid1(VALU_DEP_1)
	v_frexp_exp_i32_f64_e32 v6, v[16:17]
	v_subrev_co_ci_u32_e64 v6, null, 0, v6, vcc_lo
	v_cmp_neq_f32_e32 vcc_lo, 0x7f800000, v12
	s_delay_alu instid0(VALU_DEP_2) | instskip(SKIP_1) | instid1(VALU_DEP_2)
	v_sub_nc_u32_e32 v11, 0, v6
	v_pk_add_f32 v[16:17], v[12:13], v[14:15] neg_lo:[0,1] neg_hi:[0,1]
	v_ldexp_f32 v13, v15, v11
	s_delay_alu instid0(VALU_DEP_2) | instskip(NEXT) | instid1(VALU_DEP_2)
	v_add_f32_e32 v14, 1.0, v17
	v_add_f32_e32 v17, 1.0, v13
	s_delay_alu instid0(VALU_DEP_1) | instskip(SKIP_1) | instid1(VALU_DEP_2)
	v_dual_add_f32 v15, -1.0, v17 :: v_dual_add_f32 v14, v16, v14
	v_add_f32_e32 v23, -1.0, v13
	v_ldexp_f32 v11, v14, v11
	s_delay_alu instid0(VALU_DEP_3) | instskip(NEXT) | instid1(VALU_DEP_1)
	v_sub_f32_e32 v14, v13, v15
	v_dual_add_f32 v15, 1.0, v23 :: v_dual_add_f32 v14, v11, v14
	s_delay_alu instid0(VALU_DEP_1) | instskip(NEXT) | instid1(VALU_DEP_1)
	v_add_f32_e32 v30, v17, v14
	v_dual_sub_f32 v13, v13, v15 :: v_dual_sub_f32 v17, v30, v17
	s_delay_alu instid0(VALU_DEP_1) | instskip(SKIP_1) | instid1(VALU_DEP_1)
	v_add_f32_e32 v11, v11, v13
	v_rcp_f32_e32 v13, v30
	v_dual_sub_f32 v33, v14, v17 :: v_dual_add_f32 v15, v23, v11
	s_delay_alu instid0(TRANS32_DEP_1) | instid1(VALU_DEP_1)
	v_dual_mul_f32 v31, v15, v13 :: v_dual_sub_f32 v23, v15, v23
	s_delay_alu instid0(VALU_DEP_1) | instskip(NEXT) | instid1(VALU_DEP_2)
	v_mul_f32_e32 v16, v30, v31
	v_sub_f32_e32 v11, v11, v23
	s_delay_alu instid0(VALU_DEP_2) | instskip(NEXT) | instid1(VALU_DEP_1)
	v_fma_f32 v28, v31, v30, -v16
	v_fmac_f32_e32 v28, v31, v33
	s_delay_alu instid0(VALU_DEP_1) | instskip(NEXT) | instid1(VALU_DEP_1)
	v_add_f32_e32 v14, v16, v28
	v_dual_sub_f32 v17, v15, v14 :: v_dual_mov_b32 v29, v14
	s_delay_alu instid0(VALU_DEP_1) | instskip(NEXT) | instid1(VALU_DEP_1)
	v_pk_add_f32 v[14:15], v[14:15], v[16:17] neg_lo:[0,1] neg_hi:[0,1]
	v_pk_add_f32 v[14:15], v[14:15], v[28:29] neg_lo:[0,1] neg_hi:[0,1]
	s_delay_alu instid0(VALU_DEP_1) | instskip(NEXT) | instid1(VALU_DEP_1)
	v_add_f32_e32 v11, v11, v15
	v_add_f32_e32 v11, v14, v11
	s_delay_alu instid0(VALU_DEP_1) | instskip(NEXT) | instid1(VALU_DEP_1)
	v_add_f32_e32 v15, v17, v11
	v_mul_f32_e32 v23, v13, v15
	s_delay_alu instid0(VALU_DEP_1) | instskip(NEXT) | instid1(VALU_DEP_1)
	v_mul_f32_e32 v28, v30, v23
	v_fma_f32 v16, v23, v30, -v28
	s_delay_alu instid0(VALU_DEP_1) | instskip(NEXT) | instid1(VALU_DEP_1)
	v_dual_fmac_f32 v16, v23, v33 :: v_dual_sub_f32 v30, v17, v15
	v_dual_add_f32 v14, v28, v16 :: v_dual_add_f32 v11, v11, v30
	v_add_f32_e32 v30, v31, v23
	s_delay_alu instid0(VALU_DEP_2) | instskip(NEXT) | instid1(VALU_DEP_1)
	v_dual_sub_f32 v29, v15, v14 :: v_dual_mov_b32 v17, v14
	v_pk_add_f32 v[14:15], v[14:15], v[28:29] neg_lo:[0,1] neg_hi:[0,1]
	s_delay_alu instid0(VALU_DEP_1) | instskip(NEXT) | instid1(VALU_DEP_1)
	v_pk_add_f32 v[14:15], v[14:15], v[16:17] neg_lo:[0,1] neg_hi:[0,1]
	v_add_f32_e32 v11, v11, v15
	s_delay_alu instid0(VALU_DEP_1) | instskip(SKIP_1) | instid1(VALU_DEP_1)
	v_add_f32_e32 v11, v14, v11
	v_sub_f32_e32 v14, v30, v31
	v_dual_sub_f32 v14, v23, v14 :: v_dual_add_f32 v11, v29, v11
	s_delay_alu instid0(VALU_DEP_1) | instskip(NEXT) | instid1(VALU_DEP_1)
	v_mul_f32_e32 v11, v13, v11
	v_add_f32_e32 v11, v14, v11
	v_cvt_f32_i32_e32 v14, v6
	s_delay_alu instid0(VALU_DEP_2) | instskip(NEXT) | instid1(VALU_DEP_1)
	v_add_f32_e32 v13, v30, v11
	v_mul_f32_e32 v16, v13, v13
	s_delay_alu instid0(VALU_DEP_1) | instskip(NEXT) | instid1(VALU_DEP_1)
	v_dual_fmaak_f32 v17, s19, v16, 0x3ecc95a3 :: v_dual_sub_f32 v6, v13, v30
	v_dual_fmaak_f32 v23, v16, v17, 0x3f2aaada :: v_dual_sub_f32 v6, v11, v6
	v_mul_f32_e32 v15, v13, v16
	v_ldexp_f32 v29, v13, 1
	s_delay_alu instid0(VALU_DEP_3) | instskip(NEXT) | instid1(VALU_DEP_3)
	v_ldexp_f32 v6, v6, 1
	v_pk_mul_f32 v[16:17], v[14:15], v[22:23]
	s_delay_alu instid0(VALU_DEP_1) | instskip(SKIP_1) | instid1(VALU_DEP_2)
	v_fma_f32 v28, 0x3f317218, v14, -v16
	v_mov_b32_e32 v30, v16
	v_fmac_f32_e32 v28, 0xb102e308, v14
	s_delay_alu instid0(VALU_DEP_1) | instskip(NEXT) | instid1(VALU_DEP_1)
	v_pk_add_f32 v[14:15], v[16:17], v[28:29]
	v_dual_sub_f32 v11, v15, v29 :: v_dual_mov_b32 v29, v14
	s_delay_alu instid0(VALU_DEP_1) | instskip(SKIP_1) | instid1(VALU_DEP_2)
	v_dual_mov_b32 v40, v15 :: v_dual_sub_f32 v11, v17, v11
	v_pk_add_f32 v[16:17], v[14:15], v[16:17] neg_lo:[0,1] neg_hi:[0,1]
	v_add_f32_e32 v31, v6, v11
	v_max_num_f32_e64 v6, |v9|, |v9|
	v_max_num_f32_e64 v11, |v8|, |v8|
	s_delay_alu instid0(VALU_DEP_1) | instskip(NEXT) | instid1(VALU_DEP_4)
	v_max_num_f32_e32 v13, v11, v6
	v_pk_add_f32 v[34:35], v[14:15], v[30:31]
	s_delay_alu instid0(VALU_DEP_2) | instskip(NEXT) | instid1(VALU_DEP_2)
	v_frexp_exp_i32_f32_e32 v23, v13
	v_mov_b32_e32 v17, v35
	v_frexp_mant_f32_e32 v13, v13
	s_delay_alu instid0(VALU_DEP_2) | instskip(SKIP_1) | instid1(VALU_DEP_3)
	v_pk_add_f32 v[36:37], v[28:29], v[16:17]
	v_min_num_f32_e32 v11, v11, v6
	v_rcp_f32_e32 v13, v13
	v_pk_add_f32 v[16:17], v[28:29], v[16:17] neg_lo:[0,1] neg_hi:[0,1]
	s_delay_alu instid0(VALU_DEP_3) | instskip(NEXT) | instid1(VALU_DEP_3)
	v_mov_b32_e32 v6, v37
	v_frexp_exp_i32_f32_e32 v30, v11
	v_frexp_mant_f32_e32 v33, v11
	s_delay_alu instid0(VALU_DEP_3) | instskip(NEXT) | instid1(VALU_DEP_3)
	v_pk_add_f32 v[38:39], v[6:7], v[14:15] neg_lo:[0,1] neg_hi:[0,1]
	v_dual_mov_b32 v36, v35 :: v_dual_sub_nc_u32 v23, v30, v23
	v_dual_mov_b32 v15, v14 :: v_dual_mov_b32 v14, v31
	s_delay_alu instid0(VALU_DEP_3) | instskip(SKIP_1) | instid1(VALU_DEP_2)
	v_dual_mov_b32 v41, v38 :: v_dual_mov_b32 v11, v38
	v_mul_f32_e32 v13, v33, v13
	v_pk_add_f32 v[28:29], v[36:37], v[40:41] neg_lo:[0,1] neg_hi:[0,1]
	s_delay_alu instid0(VALU_DEP_3) | instskip(NEXT) | instid1(VALU_DEP_3)
	v_pk_add_f32 v[30:31], v[34:35], v[10:11] neg_lo:[0,1] neg_hi:[0,1]
	v_ldexp_f32 v11, v13, v23
	v_mov_b32_e32 v30, v16
	s_delay_alu instid0(VALU_DEP_4) | instskip(NEXT) | instid1(VALU_DEP_3)
	v_pk_add_f32 v[14:15], v[14:15], v[28:29] neg_lo:[0,1] neg_hi:[0,1]
	v_mul_f32_e32 v13, v11, v11
	s_delay_alu instid0(VALU_DEP_2) | instskip(NEXT) | instid1(VALU_DEP_1)
	v_pk_add_f32 v[28:29], v[30:31], v[14:15]
	v_dual_fmaak_f32 v15, s20, v13, 0xbc7a590c :: v_dual_mov_b32 v30, v29
	s_delay_alu instid0(VALU_DEP_1) | instskip(NEXT) | instid1(VALU_DEP_1)
	v_pk_add_f32 v[30:31], v[28:29], v[30:31]
	v_pk_add_f32 v[34:35], v[6:7], v[30:31]
	s_delay_alu instid0(VALU_DEP_1) | instskip(NEXT) | instid1(VALU_DEP_1)
	v_dual_mov_b32 v17, v37 :: v_dual_mov_b32 v29, v34
	v_pk_add_f32 v[36:37], v[28:29], v[16:17] neg_lo:[0,1] neg_hi:[0,1]
	s_delay_alu instid0(VALU_DEP_1) | instskip(NEXT) | instid1(VALU_DEP_1)
	v_sub_f32_e32 v17, v28, v36
	v_dual_fmaak_f32 v15, v13, v15, 0x3d29fb3f :: v_dual_sub_f32 v16, v16, v17
	s_delay_alu instid0(VALU_DEP_1) | instskip(NEXT) | instid1(VALU_DEP_1)
	v_dual_fmaak_f32 v6, v13, v15, 0xbd97d4d7 :: v_dual_mov_b32 v15, v30
	v_pk_add_f32 v[14:15], v[14:15], v[36:37] neg_lo:[0,1] neg_hi:[0,1]
	s_delay_alu instid0(VALU_DEP_1) | instskip(NEXT) | instid1(VALU_DEP_3)
	v_add_f32_e32 v14, v14, v16
	v_fmaak_f32 v6, v13, v6, 0x3dd931b2
	s_delay_alu instid0(VALU_DEP_1) | instskip(NEXT) | instid1(VALU_DEP_1)
	v_fmaak_f32 v6, v13, v6, 0xbe1160e6
	v_fmaak_f32 v6, v13, v6, 0x3e4cb8bf
	s_delay_alu instid0(VALU_DEP_1) | instskip(NEXT) | instid1(VALU_DEP_1)
	v_fmaak_f32 v6, v13, v6, 0xbeaaaa62
	v_dual_mul_f32 v6, v13, v6 :: v_dual_add_f32 v13, v14, v15
	s_delay_alu instid0(VALU_DEP_1) | instskip(NEXT) | instid1(VALU_DEP_1)
	v_dual_fmac_f32 v11, v11, v6 :: v_dual_add_f32 v6, v34, v13
	v_sub_f32_e32 v13, 0x3fc90fdb, v11
	s_delay_alu instid0(VALU_DEP_2) | instskip(SKIP_1) | instid1(VALU_DEP_3)
	v_cndmask_b32_e32 v6, 0x7f800000, v6, vcc_lo
	v_cmp_gt_i32_e32 vcc_lo, 0, v8
	v_cndmask_b32_e64 v11, v11, v13, s2
	v_cndmask_b32_e64 v13, 0, 0x40490fdb, vcc_lo
	v_cmp_ngt_f32_e32 vcc_lo, -1.0, v12
	s_delay_alu instid0(VALU_DEP_3) | instskip(SKIP_2) | instid1(VALU_DEP_2)
	v_sub_f32_e32 v14, 0x40490fdb, v11
	v_cndmask_b32_e32 v6, 0x7fc00000, v6, vcc_lo
	v_cmp_gt_f32_e32 vcc_lo, 0, v8
	v_cndmask_b32_e64 v6, 0xff800000, v6, s3
	s_delay_alu instid0(VALU_DEP_4)
	v_cndmask_b32_e32 v11, v11, v14, vcc_lo
	v_cndmask_b32_e32 v14, 0x3f490fdb, v32, vcc_lo
	v_cmp_gt_f32_e64 vcc_lo, 0x33800000, |v12|
	v_cmp_class_f32_e64 s3, v9, 0x204
	v_cndmask_b32_e32 v6, v6, v12, vcc_lo
	v_cmp_eq_f32_e32 vcc_lo, 0, v9
	s_delay_alu instid0(VALU_DEP_2) | instskip(SKIP_1) | instid1(VALU_DEP_1)
	v_dual_mul_f32 v12, 0.5, v6 :: v_dual_cndmask_b32 v11, v11, v13
	s_and_b32 vcc_lo, s5, s3
	v_cndmask_b32_e32 v6, v11, v14, vcc_lo
                                        ; implicit-def: $vgpr14_vgpr15
.LBB168_45:                             ;   in Loop: Header=BB168_5 Depth=1
	s_and_not1_saveexec_b32 s26, s4
	s_cbranch_execz .LBB168_53
; %bb.46:                               ;   in Loop: Header=BB168_5 Depth=1
	v_pk_mul_f32 v[12:13], v[14:15], v[14:15]
                                        ; implicit-def: $vgpr6
	s_mov_b32 s3, exec_lo
	s_delay_alu instid0(VALU_DEP_1) | instskip(NEXT) | instid1(VALU_DEP_1)
	v_add_f32_e32 v11, v13, v12
	v_cmpx_ge_f32_e32 0x3f333333, v11
	s_xor_b32 s4, exec_lo, s3
	s_cbranch_execz .LBB168_48
; %bb.47:                               ;   in Loop: Header=BB168_5 Depth=1
	v_max_num_f32_e64 v6, |v9|, |v9|
	v_max_num_f32_e64 v12, |v8|, |v8|
	v_cmp_gt_f32_e32 vcc_lo, 0x800000, v11
	v_cmp_gt_i32_e64 s3, 0, v8
	v_cmp_class_f32_e64 s5, v8, 0x204
	v_cmp_class_f32_e64 s6, v9, 0x204
	v_dual_max_num_f32 v13, v12, v6 :: v_dual_min_num_f32 v6, v12, v6
	v_cndmask_b32_e64 v15, 0, 0x41b17218, vcc_lo
	s_delay_alu instid0(VALU_DEP_2) | instskip(SKIP_1) | instid1(VALU_DEP_2)
	v_frexp_mant_f32_e32 v14, v13
	v_frexp_exp_i32_f32_e32 v12, v13
	v_rcp_f32_e32 v13, v14
	v_nop
	v_frexp_exp_i32_f32_e32 v14, v6
	v_frexp_mant_f32_e32 v6, v6
	s_delay_alu instid0(VALU_DEP_2)
	v_sub_nc_u32_e32 v12, v14, v12
	s_delay_alu instid0(TRANS32_DEP_1) | instid1(VALU_DEP_2)
	v_mul_f32_e32 v6, v6, v13
	v_cndmask_b32_e64 v14, 0, 32, vcc_lo
	s_delay_alu instid0(VALU_DEP_2) | instskip(NEXT) | instid1(VALU_DEP_2)
	v_ldexp_f32 v6, v6, v12
	v_ldexp_f32 v11, v11, v14
	s_delay_alu instid0(VALU_DEP_2) | instskip(NEXT) | instid1(VALU_DEP_2)
	v_mul_f32_e32 v12, v6, v6
	v_log_f32_e32 v11, v11
	s_delay_alu instid0(VALU_DEP_1) | instskip(NEXT) | instid1(TRANS32_DEP_1)
	v_fmaak_f32 v13, s20, v12, 0xbc7a590c
	v_cmp_gt_f32_e64 vcc_lo, 0x7f800000, |v11|
	s_delay_alu instid0(VALU_DEP_2) | instskip(NEXT) | instid1(VALU_DEP_1)
	v_fmaak_f32 v13, v12, v13, 0x3d29fb3f
	v_fmaak_f32 v13, v12, v13, 0xbd97d4d7
	s_delay_alu instid0(VALU_DEP_1) | instskip(NEXT) | instid1(VALU_DEP_1)
	v_fmaak_f32 v13, v12, v13, 0x3dd931b2
	v_fmaak_f32 v13, v12, v13, 0xbe1160e6
	s_delay_alu instid0(VALU_DEP_1) | instskip(NEXT) | instid1(VALU_DEP_1)
	;; [unrolled: 3-line block ×3, first 2 shown]
	v_dual_mul_f32 v12, v12, v13 :: v_dual_mul_f32 v13, 0x3f317217, v11
	v_fmac_f32_e32 v6, v6, v12
	s_delay_alu instid0(VALU_DEP_2) | instskip(NEXT) | instid1(VALU_DEP_2)
	v_fma_f32 v12, 0x3f317217, v11, -v13
	v_sub_f32_e32 v13, 0x3fc90fdb, v6
	s_delay_alu instid0(VALU_DEP_2) | instskip(NEXT) | instid1(VALU_DEP_2)
	v_fmac_f32_e32 v12, 0x3377d1cf, v11
	v_cndmask_b32_e64 v6, v6, v13, s2
	s_delay_alu instid0(VALU_DEP_2) | instskip(SKIP_2) | instid1(VALU_DEP_3)
	v_fmac_f32_e32 v12, 0x3f317217, v11
	v_cndmask_b32_e64 v13, 0, 0x40490fdb, s3
	v_cmp_eq_f32_e64 s3, 0, v9
	v_dual_sub_f32 v14, 0x40490fdb, v6 :: v_dual_cndmask_b32 v11, v11, v12
	v_cmp_gt_f32_e32 vcc_lo, 0, v8
	s_delay_alu instid0(VALU_DEP_2) | instskip(NEXT) | instid1(VALU_DEP_1)
	v_dual_cndmask_b32 v6, v6, v14 :: v_dual_sub_f32 v11, v11, v15
                                        ; implicit-def: $vgpr14
	v_cndmask_b32_e64 v6, v6, v13, s3
	v_cndmask_b32_e32 v13, 0x3f490fdb, v32, vcc_lo
	s_and_b32 vcc_lo, s5, s6
	s_delay_alu instid0(VALU_DEP_1) | instid1(SALU_CYCLE_1)
	v_dual_mul_f32 v12, 0.5, v11 :: v_dual_cndmask_b32 v6, v6, v13, vcc_lo
.LBB168_48:                             ;   in Loop: Header=BB168_5 Depth=1
	s_and_not1_saveexec_b32 s27, s4
	s_cbranch_execz .LBB168_52
; %bb.49:                               ;   in Loop: Header=BB168_5 Depth=1
	v_and_b32_e32 v13, 0x7fff0000, v14
	v_and_b32_e32 v12, 0x7fff0000, v15
	s_mov_b32 s28, 0
	s_delay_alu instid0(VALU_DEP_1) | instskip(SKIP_2) | instid1(VALU_DEP_2)
	v_dual_add_f32 v29, v13, v13 :: v_dual_add_f32 v11, v12, v12
	v_pk_add_f32 v[14:15], v[14:15], v[12:13] op_sel:[1,0] op_sel_hi:[0,1] neg_lo:[0,1] neg_hi:[0,1]
	v_pk_mul_f32 v[12:13], v[12:13], v[12:13]
	v_and_b32_e32 v17, 0xffff0000, v15
	s_delay_alu instid0(VALU_DEP_3) | instskip(NEXT) | instid1(VALU_DEP_1)
	v_and_b32_e32 v16, 0xffff0000, v14
	v_dual_add_f32 v33, v17, v17 :: v_dual_add_f32 v31, v16, v16
	v_pk_add_f32 v[14:15], v[14:15], v[16:17] neg_lo:[0,1] neg_hi:[0,1]
	v_dual_mul_f32 v6, v11, v16 :: v_dual_mul_f32 v28, v29, v17
	v_pk_mul_f32 v[16:17], v[16:17], v[16:17]
	s_delay_alu instid0(VALU_DEP_3)
	v_dual_mul_f32 v23, v11, v14 :: v_dual_mul_f32 v30, v29, v15
	v_dual_mul_f32 v11, v31, v14 :: v_dual_mul_f32 v29, v33, v15
	v_pk_mul_f32 v[14:15], v[14:15], v[14:15]
.LBB168_50:                             ;   Parent Loop BB168_5 Depth=1
                                        ; =>  This Inner Loop Header: Depth=2
	v_cmp_nlt_f32_e32 vcc_lo, v12, v13
	v_dual_cndmask_b32 v31, v12, v13 :: v_dual_cndmask_b32 v12, v13, v12
	s_delay_alu instid0(VALU_DEP_1) | instskip(NEXT) | instid1(VALU_DEP_1)
	v_cmp_nlt_f32_e64 s3, v31, v6
	v_dual_cndmask_b32 v33, v31, v6, s3 :: v_dual_cndmask_b32 v13, v6, v31, s3
	s_and_b32 s3, vcc_lo, s3
	s_delay_alu instid0(VALU_DEP_1) | instskip(NEXT) | instid1(VALU_DEP_1)
	v_cmp_nlt_f32_e64 s4, v33, v28
	v_dual_cndmask_b32 v34, v33, v28, s4 :: v_dual_cndmask_b32 v6, v28, v33, s4
	s_delay_alu instid0(VALU_DEP_1) | instskip(NEXT) | instid1(VALU_DEP_1)
	v_cmp_nlt_f32_e64 s5, v34, v16
	v_cndmask_b32_e64 v31, v34, v16, s5
	s_and_b32 s29, s4, s5
	v_cndmask_b32_e64 v28, v16, v34, s5
	s_delay_alu instid0(VALU_DEP_2) | instskip(NEXT) | instid1(VALU_DEP_1)
	v_cmp_nlt_f32_e64 s6, v31, v17
	v_cndmask_b32_e64 v33, v31, v17, s6
	s_delay_alu instid0(VALU_DEP_1) | instskip(NEXT) | instid1(VALU_DEP_1)
	v_cmp_nlt_f32_e64 s7, v33, v23
	v_cndmask_b32_e64 v35, v33, v23, s7
	v_cndmask_b32_e64 v16, v17, v31, s6
	s_and_b32 s6, s6, s7
	v_cndmask_b32_e64 v17, v23, v33, s7
	s_delay_alu instid0(VALU_DEP_3) | instskip(NEXT) | instid1(VALU_DEP_1)
	v_cmp_nlt_f32_e64 s8, v35, v30
	v_cndmask_b32_e64 v36, v35, v30, s8
	s_and_b32 s6, s6, s8
	s_delay_alu instid0(VALU_DEP_1) | instskip(NEXT) | instid1(VALU_DEP_1)
	v_cmp_nlt_f32_e64 s9, v36, v11
	v_cndmask_b32_e64 v34, v36, v11, s9
	s_and_b32 s7, s6, s9
	s_delay_alu instid0(VALU_DEP_1) | instskip(NEXT) | instid1(VALU_DEP_1)
	v_cmp_nlt_f32_e64 s4, v34, v29
	v_cndmask_b32_e64 v31, v34, v29, s4
	v_dual_cndmask_b32 v23, v30, v35, s8 :: v_dual_cndmask_b32 v30, v11, v36, s9
	s_delay_alu instid0(VALU_DEP_2)
	v_cmp_nlt_f32_e64 s5, v31, v14
	v_cndmask_b32_e64 v11, v29, v34, s4
	s_and_b32 s4, s7, s4
	v_cndmask_b32_e64 v33, v31, v14, s5
	s_and_b32 s4, s4, s5
	v_cndmask_b32_e64 v29, v14, v31, s5
	s_delay_alu instid0(VALU_DEP_2) | instskip(SKIP_3) | instid1(SALU_CYCLE_1)
	v_cmp_nlt_f32_e64 s6, v33, v15
	s_and_b32 s4, s4, s6
	v_dual_cndmask_b32 v14, v15, v33, s6 :: v_dual_cndmask_b32 v15, v33, v15, s6
	s_and_b32 s4, s4, s29
	s_and_b32 s3, s4, s3
	s_delay_alu instid0(SALU_CYCLE_1) | instskip(NEXT) | instid1(SALU_CYCLE_1)
	s_and_b32 s3, exec_lo, s3
	s_or_b32 s28, s3, s28
	s_delay_alu instid0(SALU_CYCLE_1)
	s_and_not1_b32 exec_lo, exec_lo, s28
	s_cbranch_execnz .LBB168_50
; %bb.51:                               ;   in Loop: Header=BB168_5 Depth=1
	s_or_b32 exec_lo, exec_lo, s28
	v_add_f32_e32 v12, -1.0, v12
	v_cmp_class_f32_e64 s4, v8, 0x204
	s_delay_alu instid0(VALU_DEP_2) | instskip(NEXT) | instid1(VALU_DEP_1)
	v_add_f32_e32 v12, v12, v13
	v_add_f32_e32 v6, v12, v6
	s_delay_alu instid0(VALU_DEP_1) | instskip(NEXT) | instid1(VALU_DEP_1)
	v_add_f32_e32 v6, v6, v28
	v_add_f32_e32 v6, v6, v16
	s_delay_alu instid0(VALU_DEP_1) | instskip(NEXT) | instid1(VALU_DEP_1)
	;; [unrolled: 3-line block ×5, first 2 shown]
	v_add_f32_e32 v12, v15, v6
	v_add_f32_e32 v15, 1.0, v12
	s_delay_alu instid0(VALU_DEP_1) | instskip(SKIP_2) | instid1(VALU_DEP_2)
	v_cvt_f64_f32_e32 v[16:17], v15
	v_frexp_mant_f32_e32 v11, v15
	v_add_f32_e32 v13, -1.0, v15
	v_cmp_gt_f32_e32 vcc_lo, 0x3f2aaaab, v11
	s_delay_alu instid0(VALU_DEP_2) | instskip(SKIP_1) | instid1(VALU_DEP_1)
	v_mov_b32_e32 v14, v13
	v_frexp_exp_i32_f64_e32 v6, v[16:17]
	v_subrev_co_ci_u32_e64 v6, null, 0, v6, vcc_lo
	s_delay_alu instid0(VALU_DEP_1) | instskip(NEXT) | instid1(VALU_DEP_4)
	v_sub_nc_u32_e32 v11, 0, v6
	v_pk_add_f32 v[16:17], v[12:13], v[14:15] neg_lo:[0,1] neg_hi:[0,1]
	v_cmp_neq_f32_e32 vcc_lo, 0x7f800000, v12
	v_cmp_neq_f32_e64 s3, -1.0, v12
	s_delay_alu instid0(VALU_DEP_4) | instskip(NEXT) | instid1(VALU_DEP_4)
	v_ldexp_f32 v13, v15, v11
	v_add_f32_e32 v14, 1.0, v17
	s_delay_alu instid0(VALU_DEP_1) | instskip(NEXT) | instid1(VALU_DEP_1)
	v_dual_add_f32 v17, 1.0, v13 :: v_dual_add_f32 v14, v16, v14
	v_add_f32_e32 v15, -1.0, v17
	v_add_f32_e32 v23, -1.0, v13
	s_delay_alu instid0(VALU_DEP_3) | instskip(NEXT) | instid1(VALU_DEP_3)
	v_ldexp_f32 v11, v14, v11
	v_sub_f32_e32 v14, v13, v15
	s_delay_alu instid0(VALU_DEP_1) | instskip(NEXT) | instid1(VALU_DEP_1)
	v_dual_add_f32 v15, 1.0, v23 :: v_dual_add_f32 v14, v11, v14
	v_add_f32_e32 v30, v17, v14
	s_delay_alu instid0(VALU_DEP_1) | instskip(NEXT) | instid1(VALU_DEP_1)
	v_dual_sub_f32 v13, v13, v15 :: v_dual_sub_f32 v17, v30, v17
	v_add_f32_e32 v11, v11, v13
	v_rcp_f32_e32 v13, v30
	s_delay_alu instid0(VALU_DEP_1)
	v_dual_sub_f32 v33, v14, v17 :: v_dual_add_f32 v15, v23, v11
	s_delay_alu instid0(TRANS32_DEP_1) | instid1(VALU_DEP_1)
	v_dual_mul_f32 v31, v15, v13 :: v_dual_sub_f32 v23, v15, v23
	s_delay_alu instid0(VALU_DEP_1) | instskip(NEXT) | instid1(VALU_DEP_2)
	v_mul_f32_e32 v16, v30, v31
	v_sub_f32_e32 v11, v11, v23
	s_delay_alu instid0(VALU_DEP_2) | instskip(NEXT) | instid1(VALU_DEP_1)
	v_fma_f32 v28, v31, v30, -v16
	v_fmac_f32_e32 v28, v31, v33
	s_delay_alu instid0(VALU_DEP_1) | instskip(NEXT) | instid1(VALU_DEP_1)
	v_add_f32_e32 v14, v16, v28
	v_dual_sub_f32 v17, v15, v14 :: v_dual_mov_b32 v29, v14
	s_delay_alu instid0(VALU_DEP_1) | instskip(NEXT) | instid1(VALU_DEP_1)
	v_pk_add_f32 v[14:15], v[14:15], v[16:17] neg_lo:[0,1] neg_hi:[0,1]
	v_pk_add_f32 v[14:15], v[14:15], v[28:29] neg_lo:[0,1] neg_hi:[0,1]
	s_delay_alu instid0(VALU_DEP_1) | instskip(NEXT) | instid1(VALU_DEP_1)
	v_add_f32_e32 v11, v11, v15
	v_add_f32_e32 v11, v14, v11
	s_delay_alu instid0(VALU_DEP_1) | instskip(NEXT) | instid1(VALU_DEP_1)
	v_add_f32_e32 v15, v17, v11
	v_mul_f32_e32 v23, v13, v15
	s_delay_alu instid0(VALU_DEP_1) | instskip(NEXT) | instid1(VALU_DEP_1)
	v_mul_f32_e32 v28, v30, v23
	v_fma_f32 v16, v23, v30, -v28
	s_delay_alu instid0(VALU_DEP_1) | instskip(NEXT) | instid1(VALU_DEP_1)
	v_dual_fmac_f32 v16, v23, v33 :: v_dual_sub_f32 v30, v17, v15
	v_dual_add_f32 v14, v28, v16 :: v_dual_add_f32 v11, v11, v30
	v_add_f32_e32 v30, v31, v23
	s_delay_alu instid0(VALU_DEP_2) | instskip(NEXT) | instid1(VALU_DEP_1)
	v_dual_sub_f32 v29, v15, v14 :: v_dual_mov_b32 v17, v14
	v_pk_add_f32 v[14:15], v[14:15], v[28:29] neg_lo:[0,1] neg_hi:[0,1]
	s_delay_alu instid0(VALU_DEP_1) | instskip(NEXT) | instid1(VALU_DEP_1)
	v_pk_add_f32 v[14:15], v[14:15], v[16:17] neg_lo:[0,1] neg_hi:[0,1]
	v_add_f32_e32 v11, v11, v15
	s_delay_alu instid0(VALU_DEP_1) | instskip(SKIP_1) | instid1(VALU_DEP_1)
	v_add_f32_e32 v11, v14, v11
	v_sub_f32_e32 v14, v30, v31
	v_dual_sub_f32 v14, v23, v14 :: v_dual_add_f32 v11, v29, v11
	s_delay_alu instid0(VALU_DEP_1) | instskip(NEXT) | instid1(VALU_DEP_1)
	v_mul_f32_e32 v11, v13, v11
	v_add_f32_e32 v11, v14, v11
	v_cvt_f32_i32_e32 v14, v6
	s_delay_alu instid0(VALU_DEP_2) | instskip(NEXT) | instid1(VALU_DEP_1)
	v_add_f32_e32 v13, v30, v11
	v_mul_f32_e32 v16, v13, v13
	s_delay_alu instid0(VALU_DEP_1) | instskip(NEXT) | instid1(VALU_DEP_1)
	v_dual_fmaak_f32 v17, s19, v16, 0x3ecc95a3 :: v_dual_sub_f32 v6, v13, v30
	v_dual_fmaak_f32 v23, v16, v17, 0x3f2aaada :: v_dual_sub_f32 v6, v11, v6
	v_mul_f32_e32 v15, v13, v16
	v_ldexp_f32 v29, v13, 1
	s_delay_alu instid0(VALU_DEP_3) | instskip(NEXT) | instid1(VALU_DEP_3)
	v_ldexp_f32 v6, v6, 1
	v_pk_mul_f32 v[16:17], v[14:15], v[22:23]
	s_delay_alu instid0(VALU_DEP_1) | instskip(SKIP_1) | instid1(VALU_DEP_2)
	v_fma_f32 v28, 0x3f317218, v14, -v16
	v_mov_b32_e32 v30, v16
	v_fmac_f32_e32 v28, 0xb102e308, v14
	s_delay_alu instid0(VALU_DEP_1) | instskip(NEXT) | instid1(VALU_DEP_1)
	v_pk_add_f32 v[14:15], v[16:17], v[28:29]
	v_dual_sub_f32 v11, v15, v29 :: v_dual_mov_b32 v29, v14
	s_delay_alu instid0(VALU_DEP_1) | instskip(SKIP_1) | instid1(VALU_DEP_2)
	v_dual_mov_b32 v40, v15 :: v_dual_sub_f32 v11, v17, v11
	v_pk_add_f32 v[16:17], v[14:15], v[16:17] neg_lo:[0,1] neg_hi:[0,1]
	v_add_f32_e32 v31, v6, v11
	v_max_num_f32_e64 v6, |v9|, |v9|
	v_max_num_f32_e64 v11, |v8|, |v8|
	s_delay_alu instid0(VALU_DEP_1) | instskip(NEXT) | instid1(VALU_DEP_4)
	v_max_num_f32_e32 v13, v11, v6
	v_pk_add_f32 v[34:35], v[14:15], v[30:31]
	s_delay_alu instid0(VALU_DEP_2) | instskip(NEXT) | instid1(VALU_DEP_2)
	v_frexp_exp_i32_f32_e32 v23, v13
	v_mov_b32_e32 v17, v35
	v_frexp_mant_f32_e32 v13, v13
	s_delay_alu instid0(VALU_DEP_2) | instskip(SKIP_1) | instid1(VALU_DEP_3)
	v_pk_add_f32 v[36:37], v[28:29], v[16:17]
	v_min_num_f32_e32 v11, v11, v6
	v_rcp_f32_e32 v13, v13
	v_pk_add_f32 v[16:17], v[28:29], v[16:17] neg_lo:[0,1] neg_hi:[0,1]
	s_delay_alu instid0(VALU_DEP_3) | instskip(NEXT) | instid1(VALU_DEP_3)
	v_mov_b32_e32 v6, v37
	v_frexp_exp_i32_f32_e32 v30, v11
	v_frexp_mant_f32_e32 v33, v11
	s_delay_alu instid0(VALU_DEP_3) | instskip(NEXT) | instid1(VALU_DEP_3)
	v_pk_add_f32 v[38:39], v[6:7], v[14:15] neg_lo:[0,1] neg_hi:[0,1]
	v_dual_mov_b32 v36, v35 :: v_dual_sub_nc_u32 v23, v30, v23
	v_dual_mov_b32 v15, v14 :: v_dual_mov_b32 v14, v31
	s_delay_alu instid0(VALU_DEP_3) | instskip(SKIP_1) | instid1(VALU_DEP_2)
	v_dual_mov_b32 v41, v38 :: v_dual_mov_b32 v11, v38
	v_mul_f32_e32 v13, v33, v13
	v_pk_add_f32 v[28:29], v[36:37], v[40:41] neg_lo:[0,1] neg_hi:[0,1]
	s_delay_alu instid0(VALU_DEP_3) | instskip(NEXT) | instid1(VALU_DEP_3)
	v_pk_add_f32 v[30:31], v[34:35], v[10:11] neg_lo:[0,1] neg_hi:[0,1]
	v_ldexp_f32 v11, v13, v23
	v_mov_b32_e32 v30, v16
	s_delay_alu instid0(VALU_DEP_4) | instskip(NEXT) | instid1(VALU_DEP_3)
	v_pk_add_f32 v[14:15], v[14:15], v[28:29] neg_lo:[0,1] neg_hi:[0,1]
	v_mul_f32_e32 v13, v11, v11
	s_delay_alu instid0(VALU_DEP_2) | instskip(NEXT) | instid1(VALU_DEP_1)
	v_pk_add_f32 v[28:29], v[30:31], v[14:15]
	v_dual_fmaak_f32 v15, s20, v13, 0xbc7a590c :: v_dual_mov_b32 v30, v29
	s_delay_alu instid0(VALU_DEP_1) | instskip(NEXT) | instid1(VALU_DEP_1)
	v_pk_add_f32 v[30:31], v[28:29], v[30:31]
	v_pk_add_f32 v[34:35], v[6:7], v[30:31]
	s_delay_alu instid0(VALU_DEP_1) | instskip(NEXT) | instid1(VALU_DEP_1)
	v_dual_mov_b32 v17, v37 :: v_dual_mov_b32 v29, v34
	v_pk_add_f32 v[36:37], v[28:29], v[16:17] neg_lo:[0,1] neg_hi:[0,1]
	s_delay_alu instid0(VALU_DEP_1) | instskip(NEXT) | instid1(VALU_DEP_1)
	v_sub_f32_e32 v17, v28, v36
	v_dual_fmaak_f32 v15, v13, v15, 0x3d29fb3f :: v_dual_sub_f32 v16, v16, v17
	s_delay_alu instid0(VALU_DEP_1) | instskip(NEXT) | instid1(VALU_DEP_1)
	v_dual_fmaak_f32 v6, v13, v15, 0xbd97d4d7 :: v_dual_mov_b32 v15, v30
	v_pk_add_f32 v[14:15], v[14:15], v[36:37] neg_lo:[0,1] neg_hi:[0,1]
	s_delay_alu instid0(VALU_DEP_1) | instskip(NEXT) | instid1(VALU_DEP_3)
	v_add_f32_e32 v14, v14, v16
	v_fmaak_f32 v6, v13, v6, 0x3dd931b2
	s_delay_alu instid0(VALU_DEP_1) | instskip(NEXT) | instid1(VALU_DEP_1)
	v_fmaak_f32 v6, v13, v6, 0xbe1160e6
	v_fmaak_f32 v6, v13, v6, 0x3e4cb8bf
	s_delay_alu instid0(VALU_DEP_1) | instskip(NEXT) | instid1(VALU_DEP_1)
	v_fmaak_f32 v6, v13, v6, 0xbeaaaa62
	v_dual_mul_f32 v6, v13, v6 :: v_dual_add_f32 v13, v14, v15
	s_delay_alu instid0(VALU_DEP_1) | instskip(NEXT) | instid1(VALU_DEP_1)
	v_dual_fmac_f32 v11, v11, v6 :: v_dual_add_f32 v6, v34, v13
	v_sub_f32_e32 v13, 0x3fc90fdb, v11
	s_delay_alu instid0(VALU_DEP_2) | instskip(SKIP_1) | instid1(VALU_DEP_3)
	v_cndmask_b32_e32 v6, 0x7f800000, v6, vcc_lo
	v_cmp_gt_i32_e32 vcc_lo, 0, v8
	v_cndmask_b32_e64 v11, v11, v13, s2
	v_cndmask_b32_e64 v13, 0, 0x40490fdb, vcc_lo
	v_cmp_ngt_f32_e32 vcc_lo, -1.0, v12
	s_delay_alu instid0(VALU_DEP_3) | instskip(SKIP_2) | instid1(VALU_DEP_2)
	v_sub_f32_e32 v14, 0x40490fdb, v11
	v_cndmask_b32_e32 v6, 0x7fc00000, v6, vcc_lo
	v_cmp_gt_f32_e32 vcc_lo, 0, v8
	v_cndmask_b32_e64 v6, 0xff800000, v6, s3
	s_delay_alu instid0(VALU_DEP_4)
	v_cndmask_b32_e32 v11, v11, v14, vcc_lo
	v_cndmask_b32_e32 v14, 0x3f490fdb, v32, vcc_lo
	v_cmp_gt_f32_e64 vcc_lo, 0x33800000, |v12|
	v_cmp_class_f32_e64 s3, v9, 0x204
	v_cndmask_b32_e32 v6, v6, v12, vcc_lo
	v_cmp_eq_f32_e32 vcc_lo, 0, v9
	s_delay_alu instid0(VALU_DEP_2) | instskip(SKIP_1) | instid1(VALU_DEP_1)
	v_dual_mul_f32 v12, 0.5, v6 :: v_dual_cndmask_b32 v11, v11, v13
	s_and_b32 vcc_lo, s4, s3
	v_cndmask_b32_e32 v6, v11, v14, vcc_lo
.LBB168_52:                             ;   in Loop: Header=BB168_5 Depth=1
	s_or_b32 exec_lo, exec_lo, s27
.LBB168_53:                             ;   in Loop: Header=BB168_5 Depth=1
	s_delay_alu instid0(SALU_CYCLE_1)
	s_or_b32 exec_lo, exec_lo, s26
.LBB168_54:                             ;   in Loop: Header=BB168_5 Depth=1
	s_and_not1_saveexec_b32 s4, s25
	s_cbranch_execz .LBB168_56
; %bb.55:                               ;   in Loop: Header=BB168_5 Depth=1
	v_max_num_f32_e64 v6, |v9|, |v9|
	v_max_num_f32_e64 v11, |v8|, |v8|
	v_cmp_gt_i32_e64 s3, 0, v8
	v_cmp_class_f32_e64 s5, v8, 0x204
	v_cmp_class_f32_e64 s6, v9, 0x204
	s_delay_alu instid0(VALU_DEP_4) | instskip(NEXT) | instid1(VALU_DEP_1)
	v_dual_max_num_f32 v14, v11, v6 :: v_dual_min_num_f32 v6, v11, v6
	v_cvt_f64_f32_e32 v[12:13], v14
	v_frexp_exp_i32_f32_e32 v11, v14
	s_delay_alu instid0(VALU_DEP_3) | instskip(SKIP_4) | instid1(VALU_DEP_1)
	v_frexp_exp_i32_f32_e32 v15, v6
	v_frexp_mant_f32_e32 v6, v6
	v_cmp_neq_f32_e32 vcc_lo, 0x7f800000, v14
	v_frexp_exp_i32_f64_e32 v12, v[12:13]
	v_frexp_mant_f32_e32 v13, v14
	v_rcp_f32_e32 v13, v13
	v_nop
	s_delay_alu instid0(TRANS32_DEP_1) | instskip(NEXT) | instid1(VALU_DEP_1)
	v_dual_mul_f32 v6, v6, v13 :: v_dual_sub_nc_u32 v11, v15, v11
	v_ldexp_f32 v6, v6, v11
	s_delay_alu instid0(VALU_DEP_1) | instskip(NEXT) | instid1(VALU_DEP_1)
	v_dual_mul_f32 v13, v6, v6 :: v_dual_sub_nc_u32 v11, 0, v12
	v_ldexp_f32 v15, |v9|, v11
	s_delay_alu instid0(VALU_DEP_2) | instskip(SKIP_1) | instid1(VALU_DEP_2)
	v_fmaak_f32 v16, s20, v13, 0xbc7a590c
	v_ldexp_f32 v11, |v8|, v11
	v_dual_mul_f32 v15, v15, v15 :: v_dual_fmaak_f32 v16, v13, v16, 0x3d29fb3f
	s_delay_alu instid0(VALU_DEP_1) | instskip(NEXT) | instid1(VALU_DEP_2)
	v_fmac_f32_e32 v15, v11, v11
	v_fmaak_f32 v11, v13, v16, 0xbd97d4d7
	s_delay_alu instid0(VALU_DEP_2) | instskip(NEXT) | instid1(VALU_DEP_1)
	v_sqrt_f32_e32 v15, v15
	v_fmaak_f32 v11, v13, v11, 0x3dd931b2
	s_delay_alu instid0(VALU_DEP_1) | instskip(NEXT) | instid1(TRANS32_DEP_1)
	v_fmaak_f32 v11, v13, v11, 0xbe1160e6
	v_ldexp_f32 v12, v15, v12
	s_delay_alu instid0(VALU_DEP_2) | instskip(NEXT) | instid1(VALU_DEP_1)
	v_fmaak_f32 v11, v13, v11, 0x3e4cb8bf
	v_fmaak_f32 v11, v13, v11, 0xbeaaaa62
	s_delay_alu instid0(VALU_DEP_1) | instskip(NEXT) | instid1(VALU_DEP_1)
	v_dual_cndmask_b32 v12, 0x7f800000, v12 :: v_dual_mul_f32 v11, v13, v11
	v_cmp_gt_f32_e32 vcc_lo, 0x800000, v12
	v_cndmask_b32_e64 v14, 0, 32, vcc_lo
	v_cndmask_b32_e64 v15, 0, 0x41b17218, vcc_lo
	s_delay_alu instid0(VALU_DEP_2) | instskip(NEXT) | instid1(VALU_DEP_1)
	v_ldexp_f32 v12, v12, v14
	v_log_f32_e32 v12, v12
	v_nop
	s_delay_alu instid0(TRANS32_DEP_1) | instskip(SKIP_1) | instid1(VALU_DEP_2)
	v_dual_fmac_f32 v6, v6, v11 :: v_dual_mul_f32 v11, 0x3f317217, v12
	v_cmp_gt_f32_e64 vcc_lo, 0x7f800000, |v12|
	v_fma_f32 v11, 0x3f317217, v12, -v11
	s_delay_alu instid0(VALU_DEP_1) | instskip(NEXT) | instid1(VALU_DEP_1)
	v_fmac_f32_e32 v11, 0x3377d1cf, v12
	v_fmac_f32_e32 v11, 0x3f317217, v12
	s_delay_alu instid0(VALU_DEP_1) | instskip(SKIP_2) | instid1(VALU_DEP_2)
	v_cndmask_b32_e32 v11, v12, v11, vcc_lo
	v_sub_f32_e32 v13, 0x3fc90fdb, v6
	v_cmp_eq_f32_e32 vcc_lo, 0, v9
	v_dual_sub_f32 v12, v11, v15 :: v_dual_cndmask_b32 v6, v6, v13, s2
	v_cndmask_b32_e64 v13, 0, 0x40490fdb, s3
	v_cmp_gt_f32_e64 s3, 0, v8
	s_delay_alu instid0(VALU_DEP_3) | instskip(NEXT) | instid1(VALU_DEP_1)
	v_sub_f32_e32 v14, 0x40490fdb, v6
	v_cndmask_b32_e64 v6, v6, v14, s3
	v_cndmask_b32_e64 v14, 0x3f490fdb, v32, s3
	s_delay_alu instid0(VALU_DEP_2) | instskip(SKIP_1) | instid1(VALU_DEP_1)
	v_cndmask_b32_e32 v6, v6, v13, vcc_lo
	s_and_b32 vcc_lo, s5, s6
	v_cndmask_b32_e32 v6, v6, v14, vcc_lo
.LBB168_56:                             ;   in Loop: Header=BB168_5 Depth=1
	s_or_b32 exec_lo, exec_lo, s4
                                        ; implicit-def: $vgpr14
.LBB168_57:                             ;   in Loop: Header=BB168_5 Depth=1
	s_and_not1_saveexec_b32 s4, s24
	s_cbranch_execz .LBB168_63
; %bb.58:                               ;   in Loop: Header=BB168_5 Depth=1
                                        ; implicit-def: $vgpr6
	s_mov_b32 s3, exec_lo
	v_cmpx_ngt_f32_e32 0x1fec1e4a, v14
	s_xor_b32 s5, exec_lo, s3
	s_cbranch_execz .LBB168_60
; %bb.59:                               ;   in Loop: Header=BB168_5 Depth=1
	v_pk_mul_f32 v[12:13], v[14:15], v[14:15]
	v_cmp_class_f32_e64 s6, v8, 0x204
	s_delay_alu instid0(VALU_DEP_2) | instskip(SKIP_1) | instid1(VALU_DEP_2)
	v_add_f32_e32 v15, 1.0, v12
	v_cmp_neq_f32_e64 s3, 0x7f800000, v12
	v_add_f32_e32 v13, -1.0, v15
	s_delay_alu instid0(VALU_DEP_1) | instskip(SKIP_2) | instid1(VALU_DEP_1)
	v_mov_b32_e32 v14, v13
	v_cvt_f64_f32_e32 v[16:17], v15
	v_frexp_mant_f32_e32 v11, v15
	v_cmp_gt_f32_e32 vcc_lo, 0x3f2aaaab, v11
	s_delay_alu instid0(VALU_DEP_3) | instskip(NEXT) | instid1(VALU_DEP_1)
	v_frexp_exp_i32_f64_e32 v6, v[16:17]
	v_subrev_co_ci_u32_e64 v6, null, 0, v6, vcc_lo
	v_cmp_gt_i32_e32 vcc_lo, 0, v8
	s_delay_alu instid0(VALU_DEP_2) | instskip(SKIP_1) | instid1(VALU_DEP_2)
	v_sub_nc_u32_e32 v11, 0, v6
	v_pk_add_f32 v[16:17], v[12:13], v[14:15] neg_lo:[0,1] neg_hi:[0,1]
	v_ldexp_f32 v13, v15, v11
	s_delay_alu instid0(VALU_DEP_2) | instskip(NEXT) | instid1(VALU_DEP_2)
	v_add_f32_e32 v14, 1.0, v17
	v_add_f32_e32 v17, 1.0, v13
	s_delay_alu instid0(VALU_DEP_1) | instskip(SKIP_1) | instid1(VALU_DEP_2)
	v_dual_add_f32 v15, -1.0, v17 :: v_dual_add_f32 v14, v16, v14
	v_add_f32_e32 v23, -1.0, v13
	v_ldexp_f32 v11, v14, v11
	s_delay_alu instid0(VALU_DEP_3) | instskip(NEXT) | instid1(VALU_DEP_1)
	v_sub_f32_e32 v14, v13, v15
	v_dual_add_f32 v15, 1.0, v23 :: v_dual_add_f32 v14, v11, v14
	s_delay_alu instid0(VALU_DEP_1) | instskip(NEXT) | instid1(VALU_DEP_1)
	v_add_f32_e32 v30, v17, v14
	v_sub_f32_e32 v17, v17, v30
	s_delay_alu instid0(VALU_DEP_1) | instskip(NEXT) | instid1(VALU_DEP_1)
	v_dual_sub_f32 v13, v13, v15 :: v_dual_add_f32 v33, v14, v17
	v_add_f32_e32 v11, v11, v13
	v_rcp_f32_e32 v13, v30
	s_delay_alu instid0(VALU_DEP_1)
	v_add_f32_e32 v15, v23, v11
	s_delay_alu instid0(TRANS32_DEP_1) | instid1(VALU_DEP_1)
	v_mul_f32_e32 v31, v15, v13
	s_delay_alu instid0(VALU_DEP_1) | instskip(NEXT) | instid1(VALU_DEP_1)
	v_mul_f32_e32 v16, v30, v31
	v_fma_f32 v28, v31, v30, -v16
	s_delay_alu instid0(VALU_DEP_1) | instskip(NEXT) | instid1(VALU_DEP_1)
	v_fmac_f32_e32 v28, v31, v33
	v_dual_add_f32 v14, v16, v28 :: v_dual_sub_f32 v23, v23, v15
	s_delay_alu instid0(VALU_DEP_1) | instskip(NEXT) | instid1(VALU_DEP_2)
	v_dual_sub_f32 v17, v15, v14 :: v_dual_mov_b32 v29, v14
	v_add_f32_e32 v11, v11, v23
	s_delay_alu instid0(VALU_DEP_2) | instskip(NEXT) | instid1(VALU_DEP_1)
	v_pk_add_f32 v[14:15], v[14:15], v[16:17] neg_lo:[0,1] neg_hi:[0,1]
	v_pk_add_f32 v[14:15], v[14:15], v[28:29] neg_lo:[0,1] neg_hi:[0,1]
	s_delay_alu instid0(VALU_DEP_1) | instskip(NEXT) | instid1(VALU_DEP_1)
	v_add_f32_e32 v11, v11, v15
	v_add_f32_e32 v11, v14, v11
	s_delay_alu instid0(VALU_DEP_1) | instskip(NEXT) | instid1(VALU_DEP_1)
	v_add_f32_e32 v15, v17, v11
	v_mul_f32_e32 v23, v13, v15
	s_delay_alu instid0(VALU_DEP_1) | instskip(NEXT) | instid1(VALU_DEP_1)
	v_mul_f32_e32 v28, v30, v23
	v_dual_fma_f32 v16, v23, v30, -v28 :: v_dual_sub_f32 v30, v17, v15
	s_delay_alu instid0(VALU_DEP_1) | instskip(NEXT) | instid1(VALU_DEP_2)
	v_fmac_f32_e32 v16, v23, v33
	v_add_f32_e32 v11, v11, v30
	s_delay_alu instid0(VALU_DEP_2) | instskip(NEXT) | instid1(VALU_DEP_1)
	v_dual_add_f32 v30, v31, v23 :: v_dual_add_f32 v14, v28, v16
	v_dual_sub_f32 v29, v15, v14 :: v_dual_mov_b32 v17, v14
	s_delay_alu instid0(VALU_DEP_1) | instskip(NEXT) | instid1(VALU_DEP_1)
	v_pk_add_f32 v[14:15], v[14:15], v[28:29] neg_lo:[0,1] neg_hi:[0,1]
	v_pk_add_f32 v[14:15], v[14:15], v[16:17] neg_lo:[0,1] neg_hi:[0,1]
	s_delay_alu instid0(VALU_DEP_1) | instskip(NEXT) | instid1(VALU_DEP_1)
	v_add_f32_e32 v11, v11, v15
	v_add_f32_e32 v11, v14, v11
	v_sub_f32_e32 v14, v30, v31
	s_delay_alu instid0(VALU_DEP_1) | instskip(NEXT) | instid1(VALU_DEP_1)
	v_dual_sub_f32 v14, v23, v14 :: v_dual_add_f32 v11, v29, v11
	v_mul_f32_e32 v11, v13, v11
	s_delay_alu instid0(VALU_DEP_1) | instskip(SKIP_1) | instid1(VALU_DEP_2)
	v_add_f32_e32 v11, v14, v11
	v_cvt_f32_i32_e32 v14, v6
	v_add_f32_e32 v13, v30, v11
	s_delay_alu instid0(VALU_DEP_1) | instskip(NEXT) | instid1(VALU_DEP_1)
	v_mul_f32_e32 v16, v13, v13
	v_dual_fmaak_f32 v17, s19, v16, 0x3ecc95a3 :: v_dual_sub_f32 v6, v13, v30
	s_delay_alu instid0(VALU_DEP_1) | instskip(SKIP_3) | instid1(VALU_DEP_4)
	v_dual_fmaak_f32 v23, v16, v17, 0x3f2aaada :: v_dual_sub_f32 v6, v11, v6
	v_mul_f32_e32 v15, v13, v16
	v_ldexp_f32 v29, v13, 1
	v_max_num_f32_e64 v13, |v9|, |v9|
	v_ldexp_f32 v6, v6, 1
	s_delay_alu instid0(VALU_DEP_4) | instskip(SKIP_1) | instid1(VALU_DEP_2)
	v_pk_mul_f32 v[16:17], v[14:15], v[22:23]
	v_max_num_f32_e64 v23, |v8|, |v8|
	v_fma_f32 v28, 0x3f317218, v14, -v16
	v_mov_b32_e32 v30, v16
	s_delay_alu instid0(VALU_DEP_2) | instskip(NEXT) | instid1(VALU_DEP_1)
	v_fmac_f32_e32 v28, 0xb102e308, v14
	v_pk_add_f32 v[14:15], v[16:17], v[28:29]
	s_delay_alu instid0(VALU_DEP_1) | instskip(NEXT) | instid1(VALU_DEP_1)
	v_dual_sub_f32 v11, v15, v29 :: v_dual_mov_b32 v29, v14
	v_dual_mov_b32 v40, v15 :: v_dual_sub_f32 v11, v17, v11
	v_pk_add_f32 v[16:17], v[14:15], v[16:17] neg_lo:[0,1] neg_hi:[0,1]
	s_delay_alu instid0(VALU_DEP_2) | instskip(NEXT) | instid1(VALU_DEP_1)
	v_dual_add_f32 v31, v6, v11 :: v_dual_max_num_f32 v6, v23, v13
	v_pk_add_f32 v[34:35], v[14:15], v[30:31]
	s_delay_alu instid0(VALU_DEP_2) | instskip(NEXT) | instid1(VALU_DEP_2)
	v_frexp_mant_f32_e32 v11, v6
	v_mov_b32_e32 v17, v35
	s_delay_alu instid0(VALU_DEP_2) | instskip(NEXT) | instid1(VALU_DEP_1)
	v_rcp_f32_e32 v11, v11
	v_pk_add_f32 v[36:37], v[28:29], v[16:17]
	v_min_num_f32_e32 v13, v23, v13
	v_frexp_exp_i32_f32_e32 v23, v6
	v_mov_b32_e32 v36, v35
	v_pk_add_f32 v[16:17], v[28:29], v[16:17] neg_lo:[0,1] neg_hi:[0,1]
	v_mov_b32_e32 v6, v37
	v_frexp_exp_i32_f32_e32 v30, v13
	v_frexp_mant_f32_e32 v13, v13
	v_mov_b32_e32 v17, v37
	s_delay_alu instid0(VALU_DEP_4) | instskip(NEXT) | instid1(VALU_DEP_4)
	v_pk_add_f32 v[38:39], v[6:7], v[14:15] neg_lo:[0,1] neg_hi:[0,1]
	v_sub_nc_u32_e32 v23, v30, v23
	s_delay_alu instid0(VALU_DEP_4) | instskip(NEXT) | instid1(VALU_DEP_3)
	v_dual_mul_f32 v11, v13, v11 :: v_dual_mov_b32 v15, v14
	v_dual_mov_b32 v14, v31 :: v_dual_mov_b32 v41, v38
	s_delay_alu instid0(VALU_DEP_2) | instskip(SKIP_1) | instid1(VALU_DEP_3)
	v_ldexp_f32 v13, v11, v23
	v_mov_b32_e32 v11, v38
	v_pk_add_f32 v[28:29], v[36:37], v[40:41] neg_lo:[0,1] neg_hi:[0,1]
	s_delay_alu instid0(VALU_DEP_3) | instskip(NEXT) | instid1(VALU_DEP_3)
	v_mul_f32_e32 v23, v13, v13
	v_pk_add_f32 v[30:31], v[34:35], v[10:11] neg_lo:[0,1] neg_hi:[0,1]
	v_mov_b32_e32 v30, v16
	s_delay_alu instid0(VALU_DEP_4) | instskip(NEXT) | instid1(VALU_DEP_1)
	v_pk_add_f32 v[14:15], v[14:15], v[28:29] neg_lo:[0,1] neg_hi:[0,1]
	v_pk_add_f32 v[28:29], v[30:31], v[14:15]
	s_delay_alu instid0(VALU_DEP_1) | instskip(NEXT) | instid1(VALU_DEP_1)
	v_dual_fmaak_f32 v11, s20, v23, 0xbc7a590c :: v_dual_mov_b32 v30, v29
	v_fmaak_f32 v11, v23, v11, 0x3d29fb3f
	s_delay_alu instid0(VALU_DEP_2) | instskip(NEXT) | instid1(VALU_DEP_1)
	v_pk_add_f32 v[30:31], v[28:29], v[30:31]
	v_pk_add_f32 v[34:35], v[6:7], v[30:31]
	s_delay_alu instid0(VALU_DEP_3) | instskip(SKIP_1) | instid1(VALU_DEP_2)
	v_fmaak_f32 v11, v23, v11, 0xbd97d4d7
	v_mov_b32_e32 v15, v30
	v_fmaak_f32 v11, v23, v11, 0x3dd931b2
	s_delay_alu instid0(VALU_DEP_1) | instskip(NEXT) | instid1(VALU_DEP_1)
	v_dual_fmaak_f32 v6, v23, v11, 0xbe1160e6 :: v_dual_mov_b32 v29, v34
	v_fmaak_f32 v6, v23, v6, 0x3e4cb8bf
	s_delay_alu instid0(VALU_DEP_2) | instskip(NEXT) | instid1(VALU_DEP_2)
	v_pk_add_f32 v[36:37], v[28:29], v[16:17] neg_lo:[0,1] neg_hi:[0,1]
	v_fmaak_f32 v6, v23, v6, 0xbeaaaa62
	s_delay_alu instid0(VALU_DEP_2) | instskip(NEXT) | instid1(VALU_DEP_2)
	v_pk_add_f32 v[14:15], v[14:15], v[36:37] neg_lo:[0,1] neg_hi:[0,1]
	v_dual_mul_f32 v6, v23, v6 :: v_dual_sub_f32 v11, v28, v36
	s_delay_alu instid0(VALU_DEP_1) | instskip(NEXT) | instid1(VALU_DEP_1)
	v_dual_fmac_f32 v13, v13, v6 :: v_dual_sub_f32 v11, v16, v11
	v_dual_add_f32 v6, v14, v11 :: v_dual_sub_f32 v11, 0x3fc90fdb, v13
	s_delay_alu instid0(VALU_DEP_1) | instskip(SKIP_2) | instid1(VALU_DEP_3)
	v_cndmask_b32_e64 v11, v13, v11, s2
	v_cndmask_b32_e64 v13, 0, 0x40490fdb, vcc_lo
	v_cmp_gt_f32_e32 vcc_lo, 0, v8
	v_sub_f32_e32 v14, 0x40490fdb, v11
	s_delay_alu instid0(VALU_DEP_1) | instskip(NEXT) | instid1(VALU_DEP_1)
	v_dual_add_f32 v6, v6, v15 :: v_dual_cndmask_b32 v11, v11, v14
	v_add_f32_e32 v6, v34, v6
	v_cndmask_b32_e32 v14, 0x3f490fdb, v32, vcc_lo
	v_cmp_gt_f32_e64 vcc_lo, 0x33800000, |v12|
	s_delay_alu instid0(VALU_DEP_3) | instskip(SKIP_1) | instid1(VALU_DEP_2)
	v_cndmask_b32_e64 v6, 0x7f800000, v6, s3
	v_cmp_class_f32_e64 s3, v9, 0x204
	v_cndmask_b32_e32 v6, v6, v12, vcc_lo
	v_cmp_eq_f32_e32 vcc_lo, 0, v9
	s_delay_alu instid0(VALU_DEP_2) | instskip(SKIP_1) | instid1(VALU_DEP_1)
	v_dual_mul_f32 v12, 0.5, v6 :: v_dual_cndmask_b32 v11, v11, v13
	s_and_b32 vcc_lo, s6, s3
	v_cndmask_b32_e32 v6, v11, v14, vcc_lo
                                        ; implicit-def: $vgpr14
.LBB168_60:                             ;   in Loop: Header=BB168_5 Depth=1
	s_and_not1_saveexec_b32 s5, s5
	s_cbranch_execz .LBB168_62
; %bb.61:                               ;   in Loop: Header=BB168_5 Depth=1
	v_max_num_f32_e64 v6, |v9|, |v9|
	v_max_num_f32_e64 v11, |v8|, |v8|
	v_cmp_eq_f32_e64 s3, 0, v9
	v_cmp_gt_i32_e32 vcc_lo, 0, v8
	v_cmp_class_f32_e64 s6, v8, 0x204
	v_cmp_class_f32_e64 s7, v9, 0x204
	v_dual_max_num_f32 v12, v11, v6 :: v_dual_min_num_f32 v6, v11, v6
	s_delay_alu instid0(VALU_DEP_1) | instskip(SKIP_1) | instid1(VALU_DEP_2)
	v_frexp_mant_f32_e32 v13, v12
	v_frexp_exp_i32_f32_e32 v11, v12
	v_rcp_f32_e32 v12, v13
	v_nop
	v_frexp_exp_i32_f32_e32 v13, v6
	v_frexp_mant_f32_e32 v6, v6
	s_delay_alu instid0(TRANS32_DEP_1) | instid1(VALU_DEP_1)
	v_dual_mul_f32 v6, v6, v12 :: v_dual_sub_nc_u32 v11, v13, v11
	s_delay_alu instid0(VALU_DEP_1) | instskip(NEXT) | instid1(VALU_DEP_1)
	v_ldexp_f32 v6, v6, v11
	v_mul_f32_e32 v11, v6, v6
	s_delay_alu instid0(VALU_DEP_1) | instskip(NEXT) | instid1(VALU_DEP_1)
	v_fmaak_f32 v12, s20, v11, 0xbc7a590c
	v_fmaak_f32 v12, v11, v12, 0x3d29fb3f
	s_delay_alu instid0(VALU_DEP_1) | instskip(NEXT) | instid1(VALU_DEP_1)
	v_fmaak_f32 v12, v11, v12, 0xbd97d4d7
	v_fmaak_f32 v12, v11, v12, 0x3dd931b2
	;; [unrolled: 3-line block ×3, first 2 shown]
	s_delay_alu instid0(VALU_DEP_1) | instskip(NEXT) | instid1(VALU_DEP_1)
	v_fmaak_f32 v12, v11, v12, 0xbeaaaa62
	v_mul_f32_e32 v11, v11, v12
	v_cndmask_b32_e64 v12, 0, 0x40490fdb, vcc_lo
	v_cmp_gt_f32_e32 vcc_lo, 0, v8
	s_delay_alu instid0(VALU_DEP_3) | instskip(NEXT) | instid1(VALU_DEP_1)
	v_dual_fmac_f32 v6, v6, v11 :: v_dual_cndmask_b32 v13, 0x3f490fdb, v32
	v_sub_f32_e32 v11, 0x3fc90fdb, v6
	s_delay_alu instid0(VALU_DEP_1) | instskip(NEXT) | instid1(VALU_DEP_1)
	v_cndmask_b32_e64 v6, v6, v11, s2
	v_sub_f32_e32 v11, 0x40490fdb, v6
	s_delay_alu instid0(VALU_DEP_1) | instskip(SKIP_1) | instid1(VALU_DEP_1)
	v_dual_cndmask_b32 v6, v6, v11 :: v_dual_mul_f32 v11, 0.5, v14
	s_and_b32 vcc_lo, s6, s7
	v_cndmask_b32_e64 v6, v6, v12, s3
	s_delay_alu instid0(VALU_DEP_2) | instskip(NEXT) | instid1(VALU_DEP_2)
	v_mul_f32_e32 v12, v14, v11
	v_cndmask_b32_e32 v6, v6, v13, vcc_lo
.LBB168_62:                             ;   in Loop: Header=BB168_5 Depth=1
	s_or_b32 exec_lo, exec_lo, s5
.LBB168_63:                             ;   in Loop: Header=BB168_5 Depth=1
	s_delay_alu instid0(SALU_CYCLE_1)
	s_or_b32 exec_lo, exec_lo, s4
.LBB168_64:                             ;   in Loop: Header=BB168_5 Depth=1
	s_and_not1_saveexec_b32 s4, s23
	s_cbranch_execz .LBB168_66
; %bb.65:                               ;   in Loop: Header=BB168_5 Depth=1
	v_div_scale_f32 v6, null, 0x402df854, 0x402df854, v8
	v_div_scale_f32 v11, null, 0x402df854, 0x402df854, v9
	v_div_scale_f32 v16, vcc_lo, v8, 0x402df854, v8
	s_delay_alu instid0(VALU_DEP_3) | instskip(NEXT) | instid1(VALU_DEP_2)
	v_rcp_f32_e32 v12, v6
	v_rcp_f32_e32 v13, v11
	v_cmp_class_f32_e64 s5, v9, 0x204
	s_delay_alu instid0(TRANS32_DEP_2) | instskip(NEXT) | instid1(TRANS32_DEP_1)
	v_fma_f32 v14, -v6, v12, 1.0
	v_fma_f32 v15, -v11, v13, 1.0
	s_delay_alu instid0(VALU_DEP_1) | instskip(SKIP_1) | instid1(VALU_DEP_1)
	v_dual_fmac_f32 v12, v14, v12 :: v_dual_fmac_f32 v13, v15, v13
	v_div_scale_f32 v14, s3, v9, 0x402df854, v9
	v_dual_mul_f32 v15, v16, v12 :: v_dual_mul_f32 v17, v14, v13
	s_delay_alu instid0(VALU_DEP_1) | instskip(NEXT) | instid1(VALU_DEP_1)
	v_dual_fma_f32 v23, -v6, v15, v16 :: v_dual_fma_f32 v28, -v11, v17, v14
	v_dual_fmac_f32 v15, v23, v12 :: v_dual_fmac_f32 v17, v28, v13
	s_delay_alu instid0(VALU_DEP_1) | instskip(NEXT) | instid1(VALU_DEP_1)
	v_dual_fma_f32 v6, -v6, v15, v16 :: v_dual_fma_f32 v11, -v11, v17, v14
	v_div_fmas_f32 v6, v6, v12, v15
	s_mov_b32 vcc_lo, s3
	v_max_num_f32_e64 v15, |v8|, |v8|
	s_delay_alu instid0(VALU_DEP_3) | instskip(SKIP_2) | instid1(VALU_DEP_3)
	v_div_fmas_f32 v11, v11, v13, v17
	v_cmp_class_f32_e64 s3, v8, 0x204
	v_div_fixup_f32 v6, v6, 0x402df854, v8
	v_div_fixup_f32 v11, v11, 0x402df854, v9
	s_delay_alu instid0(VALU_DEP_1) | instskip(NEXT) | instid1(VALU_DEP_1)
	v_max_num_f32_e64 v14, |v6|, |v11|
	v_cvt_f64_f32_e32 v[12:13], v14
	v_cmp_neq_f32_e32 vcc_lo, 0x7f800000, v14
	s_delay_alu instid0(VALU_DEP_2) | instskip(SKIP_1) | instid1(VALU_DEP_1)
	v_frexp_exp_i32_f64_e32 v12, v[12:13]
	v_max_num_f32_e64 v13, |v9|, |v9|
	v_dual_max_num_f32 v16, v15, v13 :: v_dual_min_num_f32 v13, v15, v13
	s_delay_alu instid0(VALU_DEP_1) | instskip(SKIP_1) | instid1(VALU_DEP_2)
	v_frexp_mant_f32_e32 v17, v16
	v_frexp_exp_i32_f32_e32 v15, v16
	v_rcp_f32_e32 v16, v17
	v_nop
	v_frexp_exp_i32_f32_e32 v17, v13
	v_frexp_mant_f32_e32 v13, v13
	s_delay_alu instid0(VALU_DEP_2)
	v_sub_nc_u32_e32 v15, v17, v15
	s_delay_alu instid0(TRANS32_DEP_1) | instid1(VALU_DEP_2)
	v_mul_f32_e32 v13, v13, v16
	v_sub_nc_u32_e32 v16, 0, v12
	s_delay_alu instid0(VALU_DEP_1) | instskip(SKIP_1) | instid1(VALU_DEP_2)
	v_ldexp_f32 v11, |v11|, v16
	v_ldexp_f32 v6, |v6|, v16
	v_mul_f32_e32 v11, v11, v11
	v_ldexp_f32 v13, v13, v15
	s_delay_alu instid0(VALU_DEP_1) | instskip(NEXT) | instid1(VALU_DEP_1)
	v_dual_fmac_f32 v11, v6, v6 :: v_dual_mul_f32 v15, v13, v13
	v_sqrt_f32_e32 v11, v11
	s_delay_alu instid0(VALU_DEP_1) | instskip(NEXT) | instid1(VALU_DEP_1)
	v_fmaak_f32 v16, s20, v15, 0xbc7a590c
	v_fmaak_f32 v6, v15, v16, 0x3d29fb3f
	s_delay_alu instid0(TRANS32_DEP_1) | instskip(NEXT) | instid1(VALU_DEP_2)
	v_ldexp_f32 v11, v11, v12
	v_fmaak_f32 v6, v15, v6, 0xbd97d4d7
	s_delay_alu instid0(VALU_DEP_1) | instskip(NEXT) | instid1(VALU_DEP_1)
	v_fmaak_f32 v6, v15, v6, 0x3dd931b2
	v_fmaak_f32 v6, v15, v6, 0xbe1160e6
	s_delay_alu instid0(VALU_DEP_1) | instskip(NEXT) | instid1(VALU_DEP_1)
	v_fmaak_f32 v6, v15, v6, 0x3e4cb8bf
	v_fmaak_f32 v6, v15, v6, 0xbeaaaa62
	s_delay_alu instid0(VALU_DEP_1) | instskip(NEXT) | instid1(VALU_DEP_1)
	v_dual_cndmask_b32 v11, 0x7f800000, v11 :: v_dual_mul_f32 v6, v15, v6
	v_cmp_gt_f32_e32 vcc_lo, 0x800000, v11
	s_delay_alu instid0(VALU_DEP_2) | instskip(SKIP_2) | instid1(VALU_DEP_2)
	v_fmac_f32_e32 v13, v13, v6
	v_cndmask_b32_e64 v12, 0, 32, vcc_lo
	v_cndmask_b32_e64 v15, 0, 0x41b17218, vcc_lo
	v_ldexp_f32 v11, v11, v12
	s_delay_alu instid0(VALU_DEP_1) | instskip(SKIP_1) | instid1(TRANS32_DEP_1)
	v_log_f32_e32 v11, v11
	v_nop
	v_mul_f32_e32 v12, 0x3f317217, v11
	v_cmp_gt_f32_e64 vcc_lo, 0x7f800000, |v11|
	s_delay_alu instid0(VALU_DEP_2) | instskip(SKIP_1) | instid1(VALU_DEP_2)
	v_fma_f32 v6, 0x3f317217, v11, -v12
	v_sub_f32_e32 v12, 0x3fc90fdb, v13
	v_fmac_f32_e32 v6, 0x3377d1cf, v11
	s_delay_alu instid0(VALU_DEP_1) | instskip(NEXT) | instid1(VALU_DEP_3)
	v_fmac_f32_e32 v6, 0x3f317217, v11
	v_cndmask_b32_e64 v12, v13, v12, s2
	v_cmp_gt_i32_e64 s2, 0, v8
	s_delay_alu instid0(VALU_DEP_3) | instskip(NEXT) | instid1(VALU_DEP_3)
	v_cndmask_b32_e32 v6, v11, v6, vcc_lo
	v_sub_f32_e32 v14, 0x40490fdb, v12
	s_delay_alu instid0(VALU_DEP_3) | instskip(SKIP_2) | instid1(VALU_DEP_2)
	v_cndmask_b32_e64 v13, 0, 0x40490fdb, s2
	v_cmp_gt_f32_e64 s2, 0, v8
	v_cmp_eq_f32_e32 vcc_lo, 0, v9
	v_dual_sub_f32 v6, v6, v15 :: v_dual_cndmask_b32 v11, v12, v14, s2
	v_cndmask_b32_e64 v14, 0x3f490fdb, v32, s2
	s_delay_alu instid0(VALU_DEP_2) | instskip(SKIP_1) | instid1(VALU_DEP_1)
	v_dual_add_f32 v12, 1.0, v6 :: v_dual_cndmask_b32 v11, v11, v13
	s_and_b32 vcc_lo, s3, s5
	v_cndmask_b32_e32 v6, v11, v14, vcc_lo
.LBB168_66:                             ;   in Loop: Header=BB168_5 Depth=1
	s_or_b32 exec_lo, exec_lo, s4
.LBB168_67:                             ;   in Loop: Header=BB168_5 Depth=1
	s_and_not1_saveexec_b32 s2, s22
	s_cbranch_execz .LBB168_73
; %bb.68:                               ;   in Loop: Header=BB168_5 Depth=1
	v_cmp_ngt_f32_e64 s3, 0x20000000, |v8|
	v_cmp_ngt_f32_e64 s4, 0x20000000, |v9|
                                        ; implicit-def: $vgpr6
	s_or_b32 s3, s3, s4
	s_delay_alu instid0(SALU_CYCLE_1) | instskip(NEXT) | instid1(SALU_CYCLE_1)
	s_and_saveexec_b32 s4, s3
	s_xor_b32 s3, exec_lo, s4
; %bb.69:                               ;   in Loop: Header=BB168_5 Depth=1
	v_pk_mul_f32 v[12:13], v[8:9], v[8:9]
	s_delay_alu instid0(VALU_DEP_1)
	v_add_f32_e32 v6, v12, v13
; %bb.70:                               ;   in Loop: Header=BB168_5 Depth=1
	s_and_not1_saveexec_b32 s3, s3
; %bb.71:                               ;   in Loop: Header=BB168_5 Depth=1
	v_pk_mul_f32 v[12:13], v[8:9], 4.0 op_sel_hi:[1,0]
	s_delay_alu instid0(VALU_DEP_1) | instskip(NEXT) | instid1(VALU_DEP_1)
	v_pk_mul_f32 v[12:13], v[12:13], v[12:13]
	v_add_f32_e32 v6, v12, v13
	s_delay_alu instid0(VALU_DEP_1)
	v_mul_f32_e32 v6, 0x3d800000, v6
; %bb.72:                               ;   in Loop: Header=BB168_5 Depth=1
	s_or_b32 exec_lo, exec_lo, s3
	s_delay_alu instid0(VALU_DEP_1) | instskip(SKIP_2) | instid1(VALU_DEP_2)
	v_cmp_gt_f32_e32 vcc_lo, 0x800000, v6
	v_cndmask_b32_e64 v8, 0, 32, vcc_lo
	v_cndmask_b32_e64 v11, 0, 0x41b17218, vcc_lo
	v_ldexp_f32 v6, v6, v8
	s_delay_alu instid0(VALU_DEP_1) | instskip(SKIP_1) | instid1(TRANS32_DEP_1)
	v_log_f32_e32 v6, v6
	v_nop
	v_mul_f32_e32 v8, 0x3f317217, v6
	v_cmp_gt_f32_e64 vcc_lo, 0x7f800000, |v6|
	s_delay_alu instid0(VALU_DEP_2) | instskip(NEXT) | instid1(VALU_DEP_1)
	v_fma_f32 v8, 0x3f317217, v6, -v8
	v_fmac_f32_e32 v8, 0x3377d1cf, v6
	s_delay_alu instid0(VALU_DEP_1) | instskip(NEXT) | instid1(VALU_DEP_1)
	v_fmac_f32_e32 v8, 0x3f317217, v6
	v_cndmask_b32_e32 v6, v6, v8, vcc_lo
	s_delay_alu instid0(VALU_DEP_1)
	v_sub_f32_e32 v12, v6, v11
	v_mov_b32_e32 v6, 0x7fc00000
.LBB168_73:                             ;   in Loop: Header=BB168_5 Depth=1
	s_or_b32 exec_lo, exec_lo, s2
                                        ; implicit-def: $vgpr14
                                        ; implicit-def: $vgpr8
	s_delay_alu instid0(SALU_CYCLE_1)
	s_mov_b32 s2, exec_lo
	s_wait_loadcnt 0x0
	v_cmpx_o_f32_e32 v3, v2
	s_xor_b32 s22, exec_lo, s2
	s_cbranch_execz .LBB168_101
; %bb.74:                               ;   in Loop: Header=BB168_5 Depth=1
	v_cmp_lt_f32_e64 s2, |v2|, |v3|
                                        ; implicit-def: $vgpr14
                                        ; implicit-def: $vgpr8
	s_mov_b32 s4, exec_lo
	v_cndmask_b32_e64 v11, v3, v2, s2
	s_delay_alu instid0(VALU_DEP_1)
	v_cmpx_nlt_f32_e64 0x77f684df, |v11|
	s_xor_b32 s23, exec_lo, s4
	s_cbranch_execz .LBB168_98
; %bb.75:                               ;   in Loop: Header=BB168_5 Depth=1
	v_cndmask_b32_e64 v8, v2, v3, s2
	v_and_b32_e32 v16, 0x7fffffff, v11
                                        ; implicit-def: $vgpr14
	s_mov_b32 s3, exec_lo
	s_delay_alu instid0(VALU_DEP_2) | instskip(NEXT) | instid1(VALU_DEP_1)
	v_and_b32_e32 v17, 0x7fffffff, v8
                                        ; implicit-def: $vgpr8
	v_cmpx_neq_f32_e32 1.0, v17
	s_xor_b32 s24, exec_lo, s3
	s_cbranch_execz .LBB168_91
; %bb.76:                               ;   in Loop: Header=BB168_5 Depth=1
	v_dual_max_num_f32 v8, v16, v16 :: v_dual_max_num_f32 v11, v17, v17
                                        ; implicit-def: $vgpr14
	s_delay_alu instid0(VALU_DEP_1) | instskip(NEXT) | instid1(VALU_DEP_1)
	v_dual_min_num_f32 v13, v11, v8 :: v_dual_max_num_f32 v8, v11, v8
	v_cmp_ngt_f32_e32 vcc_lo, 0x358637bd, v13
	s_delay_alu instid0(VALU_DEP_2) | instskip(SKIP_1) | instid1(SALU_CYCLE_1)
	v_cmp_nlt_f32_e64 s3, 0x49742400, v8
                                        ; implicit-def: $vgpr8
	s_and_b32 s3, s3, vcc_lo
	s_and_saveexec_b32 s4, s3
	s_delay_alu instid0(SALU_CYCLE_1)
	s_xor_b32 s25, exec_lo, s4
	s_cbranch_execz .LBB168_88
; %bb.77:                               ;   in Loop: Header=BB168_5 Depth=1
                                        ; implicit-def: $vgpr14
                                        ; implicit-def: $vgpr8
	s_mov_b32 s3, exec_lo
	v_cmpx_le_f32_e32 1.0, v17
	s_xor_b32 s4, exec_lo, s3
	s_cbranch_execz .LBB168_79
; %bb.78:                               ;   in Loop: Header=BB168_5 Depth=1
	v_pk_add_f32 v[14:15], v[16:17], v[20:21] op_sel:[1,0]
	v_mov_b32_e32 v28, v16
	v_cmp_class_f32_e64 s5, v2, 0x204
	s_delay_alu instid0(VALU_DEP_3) | instskip(SKIP_1) | instid1(VALU_DEP_1)
	v_dual_mov_b32 v17, v14 :: v_dual_mov_b32 v29, v15
	v_mul_f32_e32 v8, v14, v15
	v_pk_fma_f32 v[14:15], v[16:17], v[28:29], v[8:9] op_sel_hi:[1,1,0]
	s_delay_alu instid0(VALU_DEP_1) | instskip(SKIP_1) | instid1(VALU_DEP_2)
	v_add_f32_e32 v17, 1.0, v14
	v_cmp_neq_f32_e64 s3, -1.0, v14
	v_add_f32_e32 v15, -1.0, v17
	s_delay_alu instid0(VALU_DEP_1) | instskip(SKIP_2) | instid1(VALU_DEP_1)
	v_mov_b32_e32 v16, v15
	v_cvt_f64_f32_e32 v[28:29], v17
	v_frexp_mant_f32_e32 v11, v17
	v_cmp_gt_f32_e32 vcc_lo, 0x3f2aaaab, v11
	s_delay_alu instid0(VALU_DEP_3) | instskip(NEXT) | instid1(VALU_DEP_1)
	v_frexp_exp_i32_f64_e32 v8, v[28:29]
	v_subrev_co_ci_u32_e64 v8, null, 0, v8, vcc_lo
	v_cmp_neq_f32_e32 vcc_lo, 0x7f800000, v14
	s_delay_alu instid0(VALU_DEP_2) | instskip(SKIP_1) | instid1(VALU_DEP_2)
	v_sub_nc_u32_e32 v11, 0, v8
	v_pk_add_f32 v[28:29], v[14:15], v[16:17] neg_lo:[0,1] neg_hi:[0,1]
	v_ldexp_f32 v13, v17, v11
	s_delay_alu instid0(VALU_DEP_1) | instskip(NEXT) | instid1(VALU_DEP_1)
	v_add_f32_e32 v16, 1.0, v13
	v_dual_add_f32 v15, 1.0, v29 :: v_dual_add_f32 v17, -1.0, v16
	s_delay_alu instid0(VALU_DEP_1) | instskip(NEXT) | instid1(VALU_DEP_1)
	v_add_f32_e32 v15, v28, v15
	v_ldexp_f32 v11, v15, v11
	s_delay_alu instid0(VALU_DEP_3) | instskip(NEXT) | instid1(VALU_DEP_1)
	v_sub_f32_e32 v15, v13, v17
	v_dual_add_f32 v23, -1.0, v13 :: v_dual_add_f32 v15, v11, v15
	s_delay_alu instid0(VALU_DEP_1) | instskip(NEXT) | instid1(VALU_DEP_1)
	v_add_f32_e32 v17, 1.0, v23
	v_dual_add_f32 v33, v16, v15 :: v_dual_sub_f32 v13, v13, v17
	s_delay_alu instid0(VALU_DEP_1) | instskip(SKIP_1) | instid1(VALU_DEP_1)
	v_dual_sub_f32 v16, v33, v16 :: v_dual_add_f32 v11, v11, v13
	v_rcp_f32_e32 v13, v33
	v_sub_f32_e32 v15, v15, v16
	s_delay_alu instid0(VALU_DEP_2)
	v_add_f32_e32 v17, v23, v11
	s_delay_alu instid0(TRANS32_DEP_1) | instid1(VALU_DEP_1)
	v_dual_mul_f32 v34, v17, v13 :: v_dual_sub_f32 v23, v17, v23
	s_delay_alu instid0(VALU_DEP_1) | instskip(NEXT) | instid1(VALU_DEP_1)
	v_dual_mul_f32 v28, v33, v34 :: v_dual_sub_f32 v11, v11, v23
	v_fma_f32 v30, v34, v33, -v28
	s_delay_alu instid0(VALU_DEP_1) | instskip(NEXT) | instid1(VALU_DEP_1)
	v_fmac_f32_e32 v30, v34, v15
	v_add_f32_e32 v16, v28, v30
	s_delay_alu instid0(VALU_DEP_1) | instskip(NEXT) | instid1(VALU_DEP_1)
	v_dual_sub_f32 v29, v17, v16 :: v_dual_mov_b32 v31, v16
	v_pk_add_f32 v[16:17], v[16:17], v[28:29] neg_lo:[0,1] neg_hi:[0,1]
	s_delay_alu instid0(VALU_DEP_1) | instskip(NEXT) | instid1(VALU_DEP_1)
	v_pk_add_f32 v[16:17], v[16:17], v[30:31] neg_lo:[0,1] neg_hi:[0,1]
	v_add_f32_e32 v11, v11, v17
	s_delay_alu instid0(VALU_DEP_1) | instskip(NEXT) | instid1(VALU_DEP_1)
	v_add_f32_e32 v11, v16, v11
	v_add_f32_e32 v17, v29, v11
	s_delay_alu instid0(VALU_DEP_1) | instskip(NEXT) | instid1(VALU_DEP_1)
	v_mul_f32_e32 v23, v13, v17
	v_mul_f32_e32 v30, v33, v23
	s_delay_alu instid0(VALU_DEP_1) | instskip(NEXT) | instid1(VALU_DEP_1)
	v_fma_f32 v28, v23, v33, -v30
	v_fmac_f32_e32 v28, v23, v15
	s_delay_alu instid0(VALU_DEP_1) | instskip(NEXT) | instid1(VALU_DEP_1)
	v_dual_add_f32 v16, v30, v28 :: v_dual_sub_f32 v15, v29, v17
	v_dual_mov_b32 v29, v16 :: v_dual_sub_f32 v31, v17, v16
	s_delay_alu instid0(VALU_DEP_2) | instskip(SKIP_1) | instid1(VALU_DEP_3)
	v_add_f32_e32 v11, v11, v15
	v_add_f32_e32 v15, v34, v23
	v_pk_add_f32 v[16:17], v[16:17], v[30:31] neg_lo:[0,1] neg_hi:[0,1]
	s_delay_alu instid0(VALU_DEP_1) | instskip(NEXT) | instid1(VALU_DEP_1)
	v_pk_add_f32 v[16:17], v[16:17], v[28:29] neg_lo:[0,1] neg_hi:[0,1]
	v_add_f32_e32 v11, v11, v17
	s_delay_alu instid0(VALU_DEP_1) | instskip(NEXT) | instid1(VALU_DEP_1)
	v_dual_add_f32 v11, v16, v11 :: v_dual_sub_f32 v16, v15, v34
	v_add_f32_e32 v11, v31, v11
	s_delay_alu instid0(VALU_DEP_1) | instskip(NEXT) | instid1(VALU_DEP_1)
	v_dual_sub_f32 v16, v23, v16 :: v_dual_mul_f32 v11, v13, v11
	v_add_f32_e32 v11, v16, v11
	v_cvt_f32_i32_e32 v16, v8
	s_delay_alu instid0(VALU_DEP_2) | instskip(NEXT) | instid1(VALU_DEP_1)
	v_add_f32_e32 v13, v15, v11
	v_mul_f32_e32 v23, v13, v13
	v_ldexp_f32 v31, v13, 1
	v_sub_f32_e32 v8, v13, v15
	s_delay_alu instid0(VALU_DEP_3) | instskip(NEXT) | instid1(VALU_DEP_1)
	v_dual_fmaak_f32 v28, s19, v23, 0x3ecc95a3 :: v_dual_mul_f32 v17, v13, v23
	v_fmaak_f32 v23, v23, v28, 0x3f2aaada
	s_delay_alu instid0(VALU_DEP_1) | instskip(NEXT) | instid1(VALU_DEP_1)
	v_pk_mul_f32 v[28:29], v[16:17], v[22:23]
	v_fma_f32 v30, 0x3f317218, v16, -v28
	v_mov_b32_e32 v34, v28
	s_delay_alu instid0(VALU_DEP_2) | instskip(NEXT) | instid1(VALU_DEP_1)
	v_fmac_f32_e32 v30, 0xb102e308, v16
	v_pk_add_f32 v[16:17], v[28:29], v[30:31]
	s_delay_alu instid0(VALU_DEP_1) | instskip(NEXT) | instid1(VALU_DEP_1)
	v_dual_sub_f32 v8, v11, v8 :: v_dual_sub_f32 v11, v17, v31
	v_ldexp_f32 v8, v8, 1
	s_delay_alu instid0(VALU_DEP_3) | instskip(NEXT) | instid1(VALU_DEP_3)
	v_dual_mov_b32 v31, v16 :: v_dual_mov_b32 v42, v17
	v_sub_f32_e32 v11, v29, v11
	v_pk_add_f32 v[28:29], v[16:17], v[28:29] neg_lo:[0,1] neg_hi:[0,1]
	s_delay_alu instid0(VALU_DEP_2) | instskip(SKIP_2) | instid1(VALU_DEP_1)
	v_add_f32_e32 v35, v8, v11
	v_max_num_f32_e64 v8, |v3|, |v3|
	v_max_num_f32_e64 v11, |v2|, |v2|
	v_max_num_f32_e32 v13, v11, v8
	s_delay_alu instid0(VALU_DEP_4) | instskip(SKIP_1) | instid1(VALU_DEP_3)
	v_pk_add_f32 v[36:37], v[16:17], v[34:35]
	v_min_num_f32_e32 v11, v11, v8
	v_frexp_exp_i32_f32_e32 v15, v13
	s_delay_alu instid0(VALU_DEP_3) | instskip(SKIP_1) | instid1(VALU_DEP_4)
	v_mov_b32_e32 v29, v37
	v_frexp_mant_f32_e32 v13, v13
	v_frexp_exp_i32_f32_e32 v23, v11
	v_frexp_mant_f32_e32 v33, v11
	s_delay_alu instid0(VALU_DEP_4) | instskip(SKIP_3) | instid1(VALU_DEP_3)
	v_pk_add_f32 v[38:39], v[30:31], v[28:29]
	v_mov_b32_e32 v38, v37
	v_rcp_f32_e32 v13, v13
	v_pk_add_f32 v[28:29], v[30:31], v[28:29] neg_lo:[0,1] neg_hi:[0,1]
	v_dual_mov_b32 v8, v39 :: v_dual_mov_b32 v29, v39
	s_delay_alu instid0(TRANS32_DEP_1) | instskip(NEXT) | instid1(VALU_DEP_2)
	v_mul_f32_e32 v13, v33, v13
	v_pk_add_f32 v[40:41], v[8:9], v[16:17] neg_lo:[0,1] neg_hi:[0,1]
	v_dual_sub_nc_u32 v15, v23, v15 :: v_dual_mov_b32 v17, v16
	s_delay_alu instid0(VALU_DEP_2) | instskip(SKIP_1) | instid1(VALU_DEP_2)
	v_dual_mov_b32 v16, v35 :: v_dual_mov_b32 v43, v40
	v_mov_b32_e32 v11, v40
	v_pk_add_f32 v[30:31], v[38:39], v[42:43] neg_lo:[0,1] neg_hi:[0,1]
	s_delay_alu instid0(VALU_DEP_2) | instskip(SKIP_2) | instid1(VALU_DEP_4)
	v_pk_add_f32 v[34:35], v[36:37], v[10:11] neg_lo:[0,1] neg_hi:[0,1]
	v_ldexp_f32 v11, v13, v15
	v_mov_b32_e32 v34, v28
	v_pk_add_f32 v[16:17], v[16:17], v[30:31] neg_lo:[0,1] neg_hi:[0,1]
	s_delay_alu instid0(VALU_DEP_3) | instskip(NEXT) | instid1(VALU_DEP_2)
	v_mul_f32_e32 v13, v11, v11
	v_pk_add_f32 v[30:31], v[34:35], v[16:17]
	s_delay_alu instid0(VALU_DEP_1) | instskip(NEXT) | instid1(VALU_DEP_1)
	v_dual_fmaak_f32 v15, s20, v13, 0xbc7a590c :: v_dual_mov_b32 v34, v31
	v_fmaak_f32 v15, v13, v15, 0x3d29fb3f
	s_delay_alu instid0(VALU_DEP_2) | instskip(NEXT) | instid1(VALU_DEP_1)
	v_pk_add_f32 v[34:35], v[30:31], v[34:35]
	v_pk_add_f32 v[36:37], v[8:9], v[34:35]
	s_delay_alu instid0(VALU_DEP_3) | instskip(NEXT) | instid1(VALU_DEP_1)
	v_dual_fmaak_f32 v8, v13, v15, 0xbd97d4d7 :: v_dual_mov_b32 v17, v34
	v_dual_mov_b32 v31, v36 :: v_dual_fmaak_f32 v8, v13, v8, 0x3dd931b2
	s_delay_alu instid0(VALU_DEP_1) | instskip(NEXT) | instid1(VALU_DEP_1)
	v_pk_add_f32 v[38:39], v[30:31], v[28:29] neg_lo:[0,1] neg_hi:[0,1]
	v_dual_fmaak_f32 v8, v13, v8, 0xbe1160e6 :: v_dual_sub_f32 v15, v30, v38
	s_delay_alu instid0(VALU_DEP_1) | instskip(NEXT) | instid1(VALU_DEP_3)
	v_fmaak_f32 v8, v13, v8, 0x3e4cb8bf
	v_pk_add_f32 v[16:17], v[16:17], v[38:39] neg_lo:[0,1] neg_hi:[0,1]
	s_delay_alu instid0(VALU_DEP_2) | instskip(NEXT) | instid1(VALU_DEP_1)
	v_dual_sub_f32 v15, v28, v15 :: v_dual_fmaak_f32 v8, v13, v8, 0xbeaaaa62
	v_dual_mul_f32 v8, v13, v8 :: v_dual_add_f32 v15, v16, v15
	s_delay_alu instid0(VALU_DEP_1) | instskip(NEXT) | instid1(VALU_DEP_2)
	v_fmac_f32_e32 v11, v11, v8
	v_add_f32_e32 v13, v15, v17
                                        ; implicit-def: $vgpr16_vgpr17
	s_delay_alu instid0(VALU_DEP_1) | instskip(NEXT) | instid1(VALU_DEP_1)
	v_dual_add_f32 v8, v36, v13 :: v_dual_sub_f32 v13, 0x3fc90fdb, v11
	v_cndmask_b32_e32 v8, 0x7f800000, v8, vcc_lo
	v_cmp_gt_i32_e32 vcc_lo, 0, v2
	s_delay_alu instid0(VALU_DEP_3) | instskip(SKIP_2) | instid1(VALU_DEP_3)
	v_cndmask_b32_e64 v11, v11, v13, s2
	v_cndmask_b32_e64 v13, 0, 0x40490fdb, vcc_lo
	v_cmp_ngt_f32_e32 vcc_lo, -1.0, v14
	v_sub_f32_e32 v15, 0x40490fdb, v11
	v_cndmask_b32_e32 v8, 0x7fc00000, v8, vcc_lo
	v_cmp_gt_f32_e32 vcc_lo, 0, v2
	s_delay_alu instid0(VALU_DEP_2) | instskip(NEXT) | instid1(VALU_DEP_4)
	v_cndmask_b32_e64 v8, 0xff800000, v8, s3
	v_cndmask_b32_e32 v11, v11, v15, vcc_lo
	v_cndmask_b32_e32 v15, 0x3f490fdb, v32, vcc_lo
	v_cmp_gt_f32_e64 vcc_lo, 0x33800000, |v14|
	v_cmp_class_f32_e64 s3, v3, 0x204
	v_cndmask_b32_e32 v8, v8, v14, vcc_lo
	v_cmp_eq_f32_e32 vcc_lo, 0, v3
	s_delay_alu instid0(VALU_DEP_2) | instskip(SKIP_1) | instid1(VALU_DEP_1)
	v_dual_mul_f32 v14, 0.5, v8 :: v_dual_cndmask_b32 v11, v11, v13
	s_and_b32 vcc_lo, s5, s3
	v_cndmask_b32_e32 v8, v11, v15, vcc_lo
.LBB168_79:                             ;   in Loop: Header=BB168_5 Depth=1
	s_and_not1_saveexec_b32 s26, s4
	s_cbranch_execz .LBB168_87
; %bb.80:                               ;   in Loop: Header=BB168_5 Depth=1
	v_pk_mul_f32 v[14:15], v[16:17], v[16:17]
                                        ; implicit-def: $vgpr8
	s_mov_b32 s3, exec_lo
	s_delay_alu instid0(VALU_DEP_1) | instskip(NEXT) | instid1(VALU_DEP_1)
	v_add_f32_e32 v11, v15, v14
                                        ; implicit-def: $vgpr14
	v_cmpx_ge_f32_e32 0x3f333333, v11
	s_xor_b32 s4, exec_lo, s3
	s_cbranch_execz .LBB168_82
; %bb.81:                               ;   in Loop: Header=BB168_5 Depth=1
	v_max_num_f32_e64 v8, |v3|, |v3|
	v_max_num_f32_e64 v13, |v2|, |v2|
	v_cmp_gt_f32_e32 vcc_lo, 0x800000, v11
	v_cmp_gt_i32_e64 s3, 0, v2
	v_cmp_class_f32_e64 s5, v2, 0x204
	v_cmp_class_f32_e64 s6, v3, 0x204
	v_dual_max_num_f32 v14, v13, v8 :: v_dual_min_num_f32 v8, v13, v8
	v_cndmask_b32_e64 v16, 0, 0x41b17218, vcc_lo
	s_delay_alu instid0(VALU_DEP_2) | instskip(SKIP_1) | instid1(VALU_DEP_2)
	v_frexp_mant_f32_e32 v15, v14
	v_frexp_exp_i32_f32_e32 v13, v14
	v_rcp_f32_e32 v14, v15
	v_nop
	v_frexp_exp_i32_f32_e32 v15, v8
	v_frexp_mant_f32_e32 v8, v8
	s_delay_alu instid0(TRANS32_DEP_1) | instid1(VALU_DEP_1)
	v_dual_mul_f32 v8, v8, v14 :: v_dual_sub_nc_u32 v13, v15, v13
	v_cndmask_b32_e64 v15, 0, 32, vcc_lo
	s_delay_alu instid0(VALU_DEP_2) | instskip(NEXT) | instid1(VALU_DEP_2)
	v_ldexp_f32 v8, v8, v13
	v_ldexp_f32 v11, v11, v15
	s_delay_alu instid0(VALU_DEP_1) | instskip(NEXT) | instid1(VALU_DEP_2)
	v_log_f32_e32 v11, v11
	v_mul_f32_e32 v13, v8, v8
	s_delay_alu instid0(VALU_DEP_1) | instskip(NEXT) | instid1(TRANS32_DEP_1)
	v_fmaak_f32 v14, s20, v13, 0xbc7a590c
	v_cmp_gt_f32_e64 vcc_lo, 0x7f800000, |v11|
	s_delay_alu instid0(VALU_DEP_2) | instskip(NEXT) | instid1(VALU_DEP_1)
	v_fmaak_f32 v14, v13, v14, 0x3d29fb3f
	v_fmaak_f32 v14, v13, v14, 0xbd97d4d7
	s_delay_alu instid0(VALU_DEP_1) | instskip(NEXT) | instid1(VALU_DEP_1)
	v_fmaak_f32 v14, v13, v14, 0x3dd931b2
	v_fmaak_f32 v14, v13, v14, 0xbe1160e6
	s_delay_alu instid0(VALU_DEP_1) | instskip(NEXT) | instid1(VALU_DEP_1)
	;; [unrolled: 3-line block ×3, first 2 shown]
	v_dual_mul_f32 v13, v13, v14 :: v_dual_mul_f32 v14, 0x3f317217, v11
	v_fmac_f32_e32 v8, v8, v13
	s_delay_alu instid0(VALU_DEP_2) | instskip(NEXT) | instid1(VALU_DEP_1)
	v_fma_f32 v13, 0x3f317217, v11, -v14
	v_fmac_f32_e32 v13, 0x3377d1cf, v11
	s_delay_alu instid0(VALU_DEP_3) | instskip(NEXT) | instid1(VALU_DEP_2)
	v_sub_f32_e32 v14, 0x3fc90fdb, v8
	v_fmac_f32_e32 v13, 0x3f317217, v11
	s_delay_alu instid0(VALU_DEP_1) | instskip(SKIP_1) | instid1(VALU_DEP_2)
	v_cndmask_b32_e32 v11, v11, v13, vcc_lo
	v_cmp_gt_f32_e32 vcc_lo, 0, v2
	v_dual_sub_f32 v11, v11, v16 :: v_dual_cndmask_b32 v8, v8, v14, s2
	v_cndmask_b32_e32 v13, 0x3f490fdb, v32, vcc_lo
	v_cndmask_b32_e64 v14, 0, 0x40490fdb, s3
	v_cmp_eq_f32_e64 s3, 0, v3
                                        ; implicit-def: $vgpr16
	s_delay_alu instid0(VALU_DEP_4) | instskip(NEXT) | instid1(VALU_DEP_1)
	v_sub_f32_e32 v15, 0x40490fdb, v8
	v_cndmask_b32_e32 v8, v8, v15, vcc_lo
	s_and_b32 vcc_lo, s5, s6
	s_delay_alu instid0(VALU_DEP_1) | instskip(NEXT) | instid1(VALU_DEP_1)
	v_dual_cndmask_b32 v8, v8, v14, s3 :: v_dual_mul_f32 v14, 0.5, v11
	v_cndmask_b32_e32 v8, v8, v13, vcc_lo
.LBB168_82:                             ;   in Loop: Header=BB168_5 Depth=1
	s_and_not1_saveexec_b32 s27, s4
	s_cbranch_execz .LBB168_86
; %bb.83:                               ;   in Loop: Header=BB168_5 Depth=1
	v_and_b32_e32 v15, 0x7fff0000, v16
	v_and_b32_e32 v14, 0x7fff0000, v17
	s_mov_b32 s28, 0
	s_delay_alu instid0(VALU_DEP_1) | instskip(SKIP_2) | instid1(VALU_DEP_2)
	v_dual_add_f32 v30, v15, v15 :: v_dual_add_f32 v11, v14, v14
	v_pk_add_f32 v[16:17], v[16:17], v[14:15] op_sel:[1,0] op_sel_hi:[0,1] neg_lo:[0,1] neg_hi:[0,1]
	v_pk_mul_f32 v[14:15], v[14:15], v[14:15]
	v_and_b32_e32 v29, 0xffff0000, v17
	s_delay_alu instid0(VALU_DEP_3) | instskip(NEXT) | instid1(VALU_DEP_1)
	v_and_b32_e32 v28, 0xffff0000, v16
	v_dual_add_f32 v34, v29, v29 :: v_dual_add_f32 v33, v28, v28
	v_pk_add_f32 v[16:17], v[16:17], v[28:29] neg_lo:[0,1] neg_hi:[0,1]
	v_dual_mul_f32 v8, v11, v28 :: v_dual_mul_f32 v23, v30, v29
	v_pk_mul_f32 v[28:29], v[28:29], v[28:29]
	s_delay_alu instid0(VALU_DEP_3)
	v_dual_mul_f32 v13, v11, v16 :: v_dual_mul_f32 v31, v30, v17
	v_dual_mul_f32 v11, v33, v16 :: v_dual_mul_f32 v30, v34, v17
	v_pk_mul_f32 v[16:17], v[16:17], v[16:17]
.LBB168_84:                             ;   Parent Loop BB168_5 Depth=1
                                        ; =>  This Inner Loop Header: Depth=2
	v_cmp_nlt_f32_e32 vcc_lo, v14, v15
	v_dual_cndmask_b32 v33, v14, v15 :: v_dual_cndmask_b32 v14, v15, v14
	s_delay_alu instid0(VALU_DEP_1) | instskip(NEXT) | instid1(VALU_DEP_1)
	v_cmp_nlt_f32_e64 s3, v33, v8
	v_dual_cndmask_b32 v34, v33, v8, s3 :: v_dual_cndmask_b32 v15, v8, v33, s3
	s_and_b32 s3, vcc_lo, s3
	s_delay_alu instid0(VALU_DEP_1) | instskip(NEXT) | instid1(VALU_DEP_1)
	v_cmp_nlt_f32_e64 s4, v34, v23
	v_dual_cndmask_b32 v35, v34, v23, s4 :: v_dual_cndmask_b32 v8, v23, v34, s4
	s_delay_alu instid0(VALU_DEP_1) | instskip(NEXT) | instid1(VALU_DEP_1)
	v_cmp_nlt_f32_e64 s5, v35, v28
	v_cndmask_b32_e64 v33, v35, v28, s5
	s_and_b32 s29, s4, s5
	s_delay_alu instid0(VALU_DEP_1) | instskip(NEXT) | instid1(VALU_DEP_1)
	v_cmp_nlt_f32_e64 s6, v33, v29
	v_cndmask_b32_e64 v34, v33, v29, s6
	s_delay_alu instid0(VALU_DEP_1) | instskip(NEXT) | instid1(VALU_DEP_1)
	v_cmp_nlt_f32_e64 s7, v34, v13
	v_dual_cndmask_b32 v36, v34, v13, s7 :: v_dual_cndmask_b32 v23, v28, v35, s5
	v_cndmask_b32_e64 v28, v29, v33, s6
	s_and_b32 s6, s6, s7
	s_delay_alu instid0(VALU_DEP_2) | instskip(NEXT) | instid1(VALU_DEP_1)
	v_cmp_nlt_f32_e64 s8, v36, v31
	v_cndmask_b32_e64 v37, v36, v31, s8
	s_and_b32 s6, s6, s8
	s_delay_alu instid0(VALU_DEP_1) | instskip(SKIP_1) | instid1(VALU_DEP_2)
	v_cmp_nlt_f32_e64 s9, v37, v11
	v_dual_cndmask_b32 v29, v13, v34, s7 :: v_dual_cndmask_b32 v13, v31, v36, s8
	v_dual_cndmask_b32 v35, v37, v11, s9 :: v_dual_cndmask_b32 v31, v11, v37, s9
	s_and_b32 s7, s6, s9
	s_delay_alu instid0(VALU_DEP_1) | instskip(NEXT) | instid1(VALU_DEP_1)
	v_cmp_nlt_f32_e64 s4, v35, v30
	v_dual_cndmask_b32 v33, v35, v30, s4 :: v_dual_cndmask_b32 v11, v30, v35, s4
	s_and_b32 s4, s7, s4
	s_delay_alu instid0(VALU_DEP_1) | instskip(NEXT) | instid1(VALU_DEP_1)
	v_cmp_nlt_f32_e64 s5, v33, v16
	v_dual_cndmask_b32 v34, v33, v16, s5 :: v_dual_cndmask_b32 v30, v16, v33, s5
	s_and_b32 s4, s4, s5
	s_delay_alu instid0(VALU_DEP_1) | instskip(SKIP_3) | instid1(SALU_CYCLE_1)
	v_cmp_nlt_f32_e64 s6, v34, v17
	s_and_b32 s4, s4, s6
	v_dual_cndmask_b32 v16, v17, v34, s6 :: v_dual_cndmask_b32 v17, v34, v17, s6
	s_and_b32 s4, s4, s29
	s_and_b32 s3, s4, s3
	s_delay_alu instid0(SALU_CYCLE_1) | instskip(NEXT) | instid1(SALU_CYCLE_1)
	s_and_b32 s3, exec_lo, s3
	s_or_b32 s28, s3, s28
	s_delay_alu instid0(SALU_CYCLE_1)
	s_and_not1_b32 exec_lo, exec_lo, s28
	s_cbranch_execnz .LBB168_84
; %bb.85:                               ;   in Loop: Header=BB168_5 Depth=1
	s_or_b32 exec_lo, exec_lo, s28
	v_add_f32_e32 v14, -1.0, v14
	v_cmp_class_f32_e64 s4, v2, 0x204
	s_delay_alu instid0(VALU_DEP_2) | instskip(NEXT) | instid1(VALU_DEP_1)
	v_add_f32_e32 v14, v14, v15
	v_add_f32_e32 v8, v14, v8
	s_delay_alu instid0(VALU_DEP_1) | instskip(NEXT) | instid1(VALU_DEP_1)
	v_add_f32_e32 v8, v8, v23
	v_add_f32_e32 v8, v8, v28
	s_delay_alu instid0(VALU_DEP_1) | instskip(NEXT) | instid1(VALU_DEP_1)
	;; [unrolled: 3-line block ×5, first 2 shown]
	v_add_f32_e32 v14, v17, v8
	v_add_f32_e32 v17, 1.0, v14
	s_delay_alu instid0(VALU_DEP_1) | instskip(SKIP_2) | instid1(VALU_DEP_2)
	v_cvt_f64_f32_e32 v[28:29], v17
	v_frexp_mant_f32_e32 v11, v17
	v_add_f32_e32 v15, -1.0, v17
	v_cmp_gt_f32_e32 vcc_lo, 0x3f2aaaab, v11
	s_delay_alu instid0(VALU_DEP_2) | instskip(SKIP_1) | instid1(VALU_DEP_1)
	v_mov_b32_e32 v16, v15
	v_frexp_exp_i32_f64_e32 v8, v[28:29]
	v_subrev_co_ci_u32_e64 v8, null, 0, v8, vcc_lo
	s_delay_alu instid0(VALU_DEP_1) | instskip(NEXT) | instid1(VALU_DEP_4)
	v_sub_nc_u32_e32 v11, 0, v8
	v_pk_add_f32 v[28:29], v[14:15], v[16:17] neg_lo:[0,1] neg_hi:[0,1]
	v_cmp_neq_f32_e32 vcc_lo, 0x7f800000, v14
	v_cmp_neq_f32_e64 s3, -1.0, v14
	s_delay_alu instid0(VALU_DEP_4) | instskip(NEXT) | instid1(VALU_DEP_4)
	v_ldexp_f32 v13, v17, v11
	v_add_f32_e32 v15, 1.0, v29
	s_delay_alu instid0(VALU_DEP_1) | instskip(NEXT) | instid1(VALU_DEP_1)
	v_dual_add_f32 v16, 1.0, v13 :: v_dual_add_f32 v15, v28, v15
	v_dual_add_f32 v23, -1.0, v13 :: v_dual_add_f32 v17, -1.0, v16
	s_delay_alu instid0(VALU_DEP_2) | instskip(NEXT) | instid1(VALU_DEP_2)
	v_ldexp_f32 v11, v15, v11
	v_dual_sub_f32 v15, v13, v17 :: v_dual_add_f32 v17, 1.0, v23
	s_delay_alu instid0(VALU_DEP_1) | instskip(NEXT) | instid1(VALU_DEP_1)
	v_dual_sub_f32 v13, v13, v17 :: v_dual_add_f32 v15, v11, v15
	v_add_f32_e32 v11, v11, v13
	s_delay_alu instid0(VALU_DEP_1) | instskip(NEXT) | instid1(VALU_DEP_3)
	v_add_f32_e32 v17, v23, v11
	v_add_f32_e32 v33, v16, v15
	s_delay_alu instid0(VALU_DEP_1) | instskip(SKIP_1) | instid1(TRANS32_DEP_1)
	v_rcp_f32_e32 v13, v33
	v_nop
	v_mul_f32_e32 v34, v17, v13
	v_sub_f32_e32 v16, v33, v16
	v_sub_f32_e32 v23, v17, v23
	s_delay_alu instid0(VALU_DEP_2) | instskip(NEXT) | instid1(VALU_DEP_1)
	v_dual_mul_f32 v28, v33, v34 :: v_dual_sub_f32 v15, v15, v16
	v_dual_sub_f32 v11, v11, v23 :: v_dual_fma_f32 v30, v34, v33, -v28
	s_delay_alu instid0(VALU_DEP_1) | instskip(NEXT) | instid1(VALU_DEP_1)
	v_fmac_f32_e32 v30, v34, v15
	v_add_f32_e32 v16, v28, v30
	s_delay_alu instid0(VALU_DEP_1) | instskip(NEXT) | instid1(VALU_DEP_1)
	v_dual_sub_f32 v29, v17, v16 :: v_dual_mov_b32 v31, v16
	v_pk_add_f32 v[16:17], v[16:17], v[28:29] neg_lo:[0,1] neg_hi:[0,1]
	s_delay_alu instid0(VALU_DEP_1) | instskip(NEXT) | instid1(VALU_DEP_1)
	v_pk_add_f32 v[16:17], v[16:17], v[30:31] neg_lo:[0,1] neg_hi:[0,1]
	v_add_f32_e32 v11, v11, v17
	s_delay_alu instid0(VALU_DEP_1) | instskip(NEXT) | instid1(VALU_DEP_1)
	v_add_f32_e32 v11, v16, v11
	v_add_f32_e32 v17, v29, v11
	s_delay_alu instid0(VALU_DEP_1) | instskip(NEXT) | instid1(VALU_DEP_1)
	v_mul_f32_e32 v23, v13, v17
	v_mul_f32_e32 v30, v33, v23
	s_delay_alu instid0(VALU_DEP_1) | instskip(NEXT) | instid1(VALU_DEP_1)
	v_fma_f32 v28, v23, v33, -v30
	v_fmac_f32_e32 v28, v23, v15
	s_delay_alu instid0(VALU_DEP_1) | instskip(NEXT) | instid1(VALU_DEP_1)
	v_dual_add_f32 v16, v30, v28 :: v_dual_sub_f32 v15, v29, v17
	v_dual_mov_b32 v29, v16 :: v_dual_sub_f32 v31, v17, v16
	s_delay_alu instid0(VALU_DEP_2) | instskip(SKIP_1) | instid1(VALU_DEP_3)
	v_add_f32_e32 v11, v11, v15
	v_add_f32_e32 v15, v34, v23
	v_pk_add_f32 v[16:17], v[16:17], v[30:31] neg_lo:[0,1] neg_hi:[0,1]
	s_delay_alu instid0(VALU_DEP_1) | instskip(NEXT) | instid1(VALU_DEP_1)
	v_pk_add_f32 v[16:17], v[16:17], v[28:29] neg_lo:[0,1] neg_hi:[0,1]
	v_add_f32_e32 v11, v11, v17
	s_delay_alu instid0(VALU_DEP_1) | instskip(NEXT) | instid1(VALU_DEP_1)
	v_dual_add_f32 v11, v16, v11 :: v_dual_sub_f32 v16, v15, v34
	v_add_f32_e32 v11, v31, v11
	s_delay_alu instid0(VALU_DEP_1) | instskip(NEXT) | instid1(VALU_DEP_1)
	v_dual_sub_f32 v16, v23, v16 :: v_dual_mul_f32 v11, v13, v11
	v_add_f32_e32 v11, v16, v11
	v_cvt_f32_i32_e32 v16, v8
	s_delay_alu instid0(VALU_DEP_2) | instskip(NEXT) | instid1(VALU_DEP_1)
	v_add_f32_e32 v13, v15, v11
	v_mul_f32_e32 v23, v13, v13
	v_ldexp_f32 v31, v13, 1
	v_sub_f32_e32 v8, v13, v15
	s_delay_alu instid0(VALU_DEP_3) | instskip(NEXT) | instid1(VALU_DEP_1)
	v_dual_fmaak_f32 v28, s19, v23, 0x3ecc95a3 :: v_dual_mul_f32 v17, v13, v23
	v_fmaak_f32 v23, v23, v28, 0x3f2aaada
	s_delay_alu instid0(VALU_DEP_1) | instskip(NEXT) | instid1(VALU_DEP_1)
	v_pk_mul_f32 v[28:29], v[16:17], v[22:23]
	v_fma_f32 v30, 0x3f317218, v16, -v28
	v_mov_b32_e32 v34, v28
	s_delay_alu instid0(VALU_DEP_2) | instskip(NEXT) | instid1(VALU_DEP_1)
	v_fmac_f32_e32 v30, 0xb102e308, v16
	v_pk_add_f32 v[16:17], v[28:29], v[30:31]
	s_delay_alu instid0(VALU_DEP_1) | instskip(NEXT) | instid1(VALU_DEP_1)
	v_dual_sub_f32 v8, v11, v8 :: v_dual_sub_f32 v11, v17, v31
	v_ldexp_f32 v8, v8, 1
	s_delay_alu instid0(VALU_DEP_3) | instskip(NEXT) | instid1(VALU_DEP_3)
	v_dual_mov_b32 v31, v16 :: v_dual_mov_b32 v42, v17
	v_sub_f32_e32 v11, v29, v11
	v_pk_add_f32 v[28:29], v[16:17], v[28:29] neg_lo:[0,1] neg_hi:[0,1]
	s_delay_alu instid0(VALU_DEP_2) | instskip(SKIP_2) | instid1(VALU_DEP_1)
	v_add_f32_e32 v35, v8, v11
	v_max_num_f32_e64 v8, |v3|, |v3|
	v_max_num_f32_e64 v11, |v2|, |v2|
	v_max_num_f32_e32 v13, v11, v8
	s_delay_alu instid0(VALU_DEP_4) | instskip(SKIP_1) | instid1(VALU_DEP_3)
	v_pk_add_f32 v[36:37], v[16:17], v[34:35]
	v_min_num_f32_e32 v11, v11, v8
	v_frexp_exp_i32_f32_e32 v15, v13
	s_delay_alu instid0(VALU_DEP_3) | instskip(SKIP_1) | instid1(VALU_DEP_4)
	v_mov_b32_e32 v29, v37
	v_frexp_mant_f32_e32 v13, v13
	v_frexp_exp_i32_f32_e32 v23, v11
	v_frexp_mant_f32_e32 v33, v11
	s_delay_alu instid0(VALU_DEP_4) | instskip(SKIP_3) | instid1(VALU_DEP_3)
	v_pk_add_f32 v[38:39], v[30:31], v[28:29]
	v_mov_b32_e32 v38, v37
	v_rcp_f32_e32 v13, v13
	v_pk_add_f32 v[28:29], v[30:31], v[28:29] neg_lo:[0,1] neg_hi:[0,1]
	v_dual_mov_b32 v8, v39 :: v_dual_mov_b32 v29, v39
	s_delay_alu instid0(TRANS32_DEP_1) | instskip(NEXT) | instid1(VALU_DEP_2)
	v_mul_f32_e32 v13, v33, v13
	v_pk_add_f32 v[40:41], v[8:9], v[16:17] neg_lo:[0,1] neg_hi:[0,1]
	v_dual_sub_nc_u32 v15, v23, v15 :: v_dual_mov_b32 v17, v16
	s_delay_alu instid0(VALU_DEP_2) | instskip(SKIP_1) | instid1(VALU_DEP_2)
	v_dual_mov_b32 v16, v35 :: v_dual_mov_b32 v43, v40
	v_mov_b32_e32 v11, v40
	v_pk_add_f32 v[30:31], v[38:39], v[42:43] neg_lo:[0,1] neg_hi:[0,1]
	s_delay_alu instid0(VALU_DEP_2) | instskip(SKIP_2) | instid1(VALU_DEP_4)
	v_pk_add_f32 v[34:35], v[36:37], v[10:11] neg_lo:[0,1] neg_hi:[0,1]
	v_ldexp_f32 v11, v13, v15
	v_mov_b32_e32 v34, v28
	v_pk_add_f32 v[16:17], v[16:17], v[30:31] neg_lo:[0,1] neg_hi:[0,1]
	s_delay_alu instid0(VALU_DEP_3) | instskip(NEXT) | instid1(VALU_DEP_2)
	v_mul_f32_e32 v13, v11, v11
	v_pk_add_f32 v[30:31], v[34:35], v[16:17]
	s_delay_alu instid0(VALU_DEP_1) | instskip(NEXT) | instid1(VALU_DEP_1)
	v_dual_fmaak_f32 v15, s20, v13, 0xbc7a590c :: v_dual_mov_b32 v34, v31
	v_fmaak_f32 v15, v13, v15, 0x3d29fb3f
	s_delay_alu instid0(VALU_DEP_2) | instskip(NEXT) | instid1(VALU_DEP_1)
	v_pk_add_f32 v[34:35], v[30:31], v[34:35]
	v_pk_add_f32 v[36:37], v[8:9], v[34:35]
	s_delay_alu instid0(VALU_DEP_3) | instskip(NEXT) | instid1(VALU_DEP_1)
	v_dual_fmaak_f32 v8, v13, v15, 0xbd97d4d7 :: v_dual_mov_b32 v17, v34
	v_dual_mov_b32 v31, v36 :: v_dual_fmaak_f32 v8, v13, v8, 0x3dd931b2
	s_delay_alu instid0(VALU_DEP_1) | instskip(NEXT) | instid1(VALU_DEP_1)
	v_pk_add_f32 v[38:39], v[30:31], v[28:29] neg_lo:[0,1] neg_hi:[0,1]
	v_dual_fmaak_f32 v8, v13, v8, 0xbe1160e6 :: v_dual_sub_f32 v15, v30, v38
	s_delay_alu instid0(VALU_DEP_1) | instskip(NEXT) | instid1(VALU_DEP_3)
	v_fmaak_f32 v8, v13, v8, 0x3e4cb8bf
	v_pk_add_f32 v[16:17], v[16:17], v[38:39] neg_lo:[0,1] neg_hi:[0,1]
	s_delay_alu instid0(VALU_DEP_2) | instskip(NEXT) | instid1(VALU_DEP_1)
	v_dual_sub_f32 v15, v28, v15 :: v_dual_fmaak_f32 v8, v13, v8, 0xbeaaaa62
	v_dual_mul_f32 v8, v13, v8 :: v_dual_add_f32 v15, v16, v15
	s_delay_alu instid0(VALU_DEP_1) | instskip(NEXT) | instid1(VALU_DEP_2)
	v_fmac_f32_e32 v11, v11, v8
	v_add_f32_e32 v13, v15, v17
	s_delay_alu instid0(VALU_DEP_1) | instskip(NEXT) | instid1(VALU_DEP_1)
	v_dual_add_f32 v8, v36, v13 :: v_dual_sub_f32 v13, 0x3fc90fdb, v11
	v_cndmask_b32_e32 v8, 0x7f800000, v8, vcc_lo
	v_cmp_gt_i32_e32 vcc_lo, 0, v2
	s_delay_alu instid0(VALU_DEP_3) | instskip(SKIP_2) | instid1(VALU_DEP_3)
	v_cndmask_b32_e64 v11, v11, v13, s2
	v_cndmask_b32_e64 v13, 0, 0x40490fdb, vcc_lo
	v_cmp_ngt_f32_e32 vcc_lo, -1.0, v14
	v_sub_f32_e32 v15, 0x40490fdb, v11
	v_cndmask_b32_e32 v8, 0x7fc00000, v8, vcc_lo
	v_cmp_gt_f32_e32 vcc_lo, 0, v2
	s_delay_alu instid0(VALU_DEP_2) | instskip(NEXT) | instid1(VALU_DEP_4)
	v_cndmask_b32_e64 v8, 0xff800000, v8, s3
	v_cndmask_b32_e32 v11, v11, v15, vcc_lo
	v_cndmask_b32_e32 v15, 0x3f490fdb, v32, vcc_lo
	v_cmp_gt_f32_e64 vcc_lo, 0x33800000, |v14|
	v_cmp_class_f32_e64 s3, v3, 0x204
	v_cndmask_b32_e32 v8, v8, v14, vcc_lo
	v_cmp_eq_f32_e32 vcc_lo, 0, v3
	s_delay_alu instid0(VALU_DEP_2) | instskip(SKIP_1) | instid1(VALU_DEP_1)
	v_dual_mul_f32 v14, 0.5, v8 :: v_dual_cndmask_b32 v11, v11, v13
	s_and_b32 vcc_lo, s4, s3
	v_cndmask_b32_e32 v8, v11, v15, vcc_lo
.LBB168_86:                             ;   in Loop: Header=BB168_5 Depth=1
	s_or_b32 exec_lo, exec_lo, s27
.LBB168_87:                             ;   in Loop: Header=BB168_5 Depth=1
	s_delay_alu instid0(SALU_CYCLE_1)
	s_or_b32 exec_lo, exec_lo, s26
.LBB168_88:                             ;   in Loop: Header=BB168_5 Depth=1
	s_and_not1_saveexec_b32 s4, s25
	s_cbranch_execz .LBB168_90
; %bb.89:                               ;   in Loop: Header=BB168_5 Depth=1
	v_max_num_f32_e64 v8, |v3|, |v3|
	v_max_num_f32_e64 v11, |v2|, |v2|
	v_cmp_gt_i32_e64 s3, 0, v2
	v_cmp_class_f32_e64 s5, v2, 0x204
	v_cmp_class_f32_e64 s6, v3, 0x204
	s_delay_alu instid0(VALU_DEP_4) | instskip(NEXT) | instid1(VALU_DEP_1)
	v_dual_max_num_f32 v13, v11, v8 :: v_dual_min_num_f32 v8, v11, v8
	v_cvt_f64_f32_e32 v[14:15], v13
	v_frexp_exp_i32_f32_e32 v11, v13
	s_delay_alu instid0(VALU_DEP_3) | instskip(SKIP_2) | instid1(VALU_DEP_3)
	v_frexp_exp_i32_f32_e32 v16, v8
	v_frexp_mant_f32_e32 v8, v8
	v_cmp_neq_f32_e32 vcc_lo, 0x7f800000, v13
	v_sub_nc_u32_e32 v11, v16, v11
	v_frexp_exp_i32_f64_e32 v14, v[14:15]
	v_frexp_mant_f32_e32 v15, v13
	s_delay_alu instid0(VALU_DEP_1) | instskip(SKIP_1) | instid1(TRANS32_DEP_1)
	v_rcp_f32_e32 v15, v15
	v_nop
	v_mul_f32_e32 v8, v8, v15
	s_delay_alu instid0(VALU_DEP_1) | instskip(SKIP_1) | instid1(VALU_DEP_1)
	v_ldexp_f32 v8, v8, v11
	v_sub_nc_u32_e32 v11, 0, v14
	v_ldexp_f32 v16, |v3|, v11
	v_ldexp_f32 v11, |v2|, v11
	s_delay_alu instid0(VALU_DEP_2) | instskip(NEXT) | instid1(VALU_DEP_1)
	v_mul_f32_e32 v16, v16, v16
	v_dual_mul_f32 v15, v8, v8 :: v_dual_fmac_f32 v16, v11, v11
	s_delay_alu instid0(VALU_DEP_1) | instskip(SKIP_1) | instid1(TRANS32_DEP_1)
	v_sqrt_f32_e32 v16, v16
	v_nop
	v_ldexp_f32 v14, v16, v14
	s_delay_alu instid0(VALU_DEP_1) | instskip(NEXT) | instid1(VALU_DEP_1)
	v_cndmask_b32_e32 v13, 0x7f800000, v14, vcc_lo
	v_cmp_gt_f32_e32 vcc_lo, 0x800000, v13
	v_cndmask_b32_e64 v16, 0, 0x41b17218, vcc_lo
	v_fmaak_f32 v17, s20, v15, 0xbc7a590c
	v_cndmask_b32_e64 v14, 0, 32, vcc_lo
	s_delay_alu instid0(VALU_DEP_2) | instskip(NEXT) | instid1(VALU_DEP_2)
	v_fmaak_f32 v17, v15, v17, 0x3d29fb3f
	v_ldexp_f32 v13, v13, v14
	s_delay_alu instid0(VALU_DEP_2) | instskip(NEXT) | instid1(VALU_DEP_2)
	v_fmaak_f32 v11, v15, v17, 0xbd97d4d7
	v_log_f32_e32 v13, v13
	s_delay_alu instid0(VALU_DEP_1) | instskip(NEXT) | instid1(TRANS32_DEP_1)
	v_fmaak_f32 v11, v15, v11, 0x3dd931b2
	v_cmp_gt_f32_e64 vcc_lo, 0x7f800000, |v13|
	s_delay_alu instid0(VALU_DEP_2) | instskip(NEXT) | instid1(VALU_DEP_1)
	v_fmaak_f32 v11, v15, v11, 0xbe1160e6
	v_fmaak_f32 v11, v15, v11, 0x3e4cb8bf
	s_delay_alu instid0(VALU_DEP_1) | instskip(NEXT) | instid1(VALU_DEP_1)
	v_fmaak_f32 v11, v15, v11, 0xbeaaaa62
	v_mul_f32_e32 v11, v15, v11
	s_delay_alu instid0(VALU_DEP_1) | instskip(NEXT) | instid1(VALU_DEP_1)
	v_fmac_f32_e32 v8, v8, v11
	v_sub_f32_e32 v14, 0x3fc90fdb, v8
	s_delay_alu instid0(VALU_DEP_1) | instskip(SKIP_2) | instid1(VALU_DEP_3)
	v_cndmask_b32_e64 v8, v8, v14, s2
	v_cndmask_b32_e64 v14, 0, 0x40490fdb, s3
	v_cmp_gt_f32_e64 s3, 0, v2
	v_sub_f32_e32 v15, 0x40490fdb, v8
	s_delay_alu instid0(VALU_DEP_1) | instskip(SKIP_2) | instid1(VALU_DEP_1)
	v_cndmask_b32_e64 v8, v8, v15, s3
	v_cndmask_b32_e64 v15, 0x3f490fdb, v32, s3
	v_mul_f32_e32 v11, 0x3f317217, v13
	v_fma_f32 v11, 0x3f317217, v13, -v11
	s_delay_alu instid0(VALU_DEP_1) | instskip(NEXT) | instid1(VALU_DEP_1)
	v_fmac_f32_e32 v11, 0x3377d1cf, v13
	v_fmac_f32_e32 v11, 0x3f317217, v13
	s_delay_alu instid0(VALU_DEP_1)
	v_cndmask_b32_e32 v11, v13, v11, vcc_lo
	v_cmp_eq_f32_e32 vcc_lo, 0, v3
	v_cndmask_b32_e32 v8, v8, v14, vcc_lo
	s_and_b32 vcc_lo, s5, s6
	s_delay_alu instid0(VALU_DEP_1) | instid1(SALU_CYCLE_1)
	v_dual_sub_f32 v14, v11, v16 :: v_dual_cndmask_b32 v8, v8, v15, vcc_lo
.LBB168_90:                             ;   in Loop: Header=BB168_5 Depth=1
	s_or_b32 exec_lo, exec_lo, s4
                                        ; implicit-def: $vgpr16
.LBB168_91:                             ;   in Loop: Header=BB168_5 Depth=1
	s_and_not1_saveexec_b32 s4, s24
	s_cbranch_execz .LBB168_97
; %bb.92:                               ;   in Loop: Header=BB168_5 Depth=1
                                        ; implicit-def: $vgpr14
                                        ; implicit-def: $vgpr8
	s_mov_b32 s3, exec_lo
	v_cmpx_ngt_f32_e32 0x1fec1e4a, v16
	s_xor_b32 s5, exec_lo, s3
	s_cbranch_execz .LBB168_94
; %bb.93:                               ;   in Loop: Header=BB168_5 Depth=1
	v_pk_mul_f32 v[14:15], v[16:17], v[16:17]
	v_cmp_class_f32_e64 s6, v2, 0x204
	s_delay_alu instid0(VALU_DEP_2) | instskip(SKIP_1) | instid1(VALU_DEP_2)
	v_add_f32_e32 v17, 1.0, v14
	v_cmp_neq_f32_e64 s3, 0x7f800000, v14
	v_add_f32_e32 v15, -1.0, v17
	s_delay_alu instid0(VALU_DEP_1) | instskip(SKIP_2) | instid1(VALU_DEP_1)
	v_mov_b32_e32 v16, v15
	v_cvt_f64_f32_e32 v[28:29], v17
	v_frexp_mant_f32_e32 v11, v17
	v_cmp_gt_f32_e32 vcc_lo, 0x3f2aaaab, v11
	s_delay_alu instid0(VALU_DEP_3) | instskip(NEXT) | instid1(VALU_DEP_1)
	v_frexp_exp_i32_f64_e32 v8, v[28:29]
	v_subrev_co_ci_u32_e64 v8, null, 0, v8, vcc_lo
	v_cmp_gt_i32_e32 vcc_lo, 0, v2
	s_delay_alu instid0(VALU_DEP_2) | instskip(SKIP_1) | instid1(VALU_DEP_2)
	v_sub_nc_u32_e32 v11, 0, v8
	v_pk_add_f32 v[28:29], v[14:15], v[16:17] neg_lo:[0,1] neg_hi:[0,1]
	v_ldexp_f32 v13, v17, v11
	s_delay_alu instid0(VALU_DEP_1) | instskip(NEXT) | instid1(VALU_DEP_1)
	v_add_f32_e32 v16, 1.0, v13
	v_dual_add_f32 v15, 1.0, v29 :: v_dual_add_f32 v17, -1.0, v16
	s_delay_alu instid0(VALU_DEP_1) | instskip(NEXT) | instid1(VALU_DEP_1)
	v_add_f32_e32 v15, v28, v15
	v_ldexp_f32 v11, v15, v11
	s_delay_alu instid0(VALU_DEP_3) | instskip(NEXT) | instid1(VALU_DEP_1)
	v_sub_f32_e32 v15, v13, v17
	v_dual_add_f32 v23, -1.0, v13 :: v_dual_add_f32 v15, v11, v15
	s_delay_alu instid0(VALU_DEP_1) | instskip(NEXT) | instid1(VALU_DEP_1)
	v_add_f32_e32 v17, 1.0, v23
	v_dual_add_f32 v33, v16, v15 :: v_dual_sub_f32 v13, v13, v17
	s_delay_alu instid0(VALU_DEP_1) | instskip(NEXT) | instid1(VALU_DEP_2)
	v_sub_f32_e32 v16, v16, v33
	v_add_f32_e32 v11, v11, v13
	v_rcp_f32_e32 v13, v33
	s_delay_alu instid0(VALU_DEP_2) | instskip(NEXT) | instid1(VALU_DEP_2)
	v_add_f32_e32 v15, v15, v16
	v_add_f32_e32 v17, v23, v11
	s_delay_alu instid0(TRANS32_DEP_1) | instid1(VALU_DEP_1)
	v_mul_f32_e32 v34, v17, v13
	s_delay_alu instid0(VALU_DEP_1) | instskip(NEXT) | instid1(VALU_DEP_1)
	v_dual_sub_f32 v23, v23, v17 :: v_dual_mul_f32 v28, v33, v34
	v_dual_add_f32 v11, v11, v23 :: v_dual_fma_f32 v30, v34, v33, -v28
	s_delay_alu instid0(VALU_DEP_1) | instskip(NEXT) | instid1(VALU_DEP_1)
	v_fmac_f32_e32 v30, v34, v15
	v_add_f32_e32 v16, v28, v30
	s_delay_alu instid0(VALU_DEP_1) | instskip(NEXT) | instid1(VALU_DEP_1)
	v_dual_sub_f32 v29, v17, v16 :: v_dual_mov_b32 v31, v16
	v_pk_add_f32 v[16:17], v[16:17], v[28:29] neg_lo:[0,1] neg_hi:[0,1]
	s_delay_alu instid0(VALU_DEP_1) | instskip(NEXT) | instid1(VALU_DEP_1)
	v_pk_add_f32 v[16:17], v[16:17], v[30:31] neg_lo:[0,1] neg_hi:[0,1]
	v_add_f32_e32 v11, v11, v17
	s_delay_alu instid0(VALU_DEP_1) | instskip(NEXT) | instid1(VALU_DEP_1)
	v_add_f32_e32 v11, v16, v11
	v_add_f32_e32 v17, v29, v11
	s_delay_alu instid0(VALU_DEP_1) | instskip(NEXT) | instid1(VALU_DEP_1)
	v_mul_f32_e32 v23, v13, v17
	v_mul_f32_e32 v30, v33, v23
	s_delay_alu instid0(VALU_DEP_1) | instskip(NEXT) | instid1(VALU_DEP_1)
	v_fma_f32 v28, v23, v33, -v30
	v_dual_fmac_f32 v28, v23, v15 :: v_dual_sub_f32 v15, v29, v17
	s_delay_alu instid0(VALU_DEP_1) | instskip(NEXT) | instid1(VALU_DEP_1)
	v_dual_add_f32 v16, v30, v28 :: v_dual_add_f32 v11, v11, v15
	v_dual_add_f32 v15, v34, v23 :: v_dual_sub_f32 v31, v17, v16
	v_mov_b32_e32 v29, v16
	s_delay_alu instid0(VALU_DEP_2) | instskip(NEXT) | instid1(VALU_DEP_1)
	v_pk_add_f32 v[16:17], v[16:17], v[30:31] neg_lo:[0,1] neg_hi:[0,1]
	v_pk_add_f32 v[16:17], v[16:17], v[28:29] neg_lo:[0,1] neg_hi:[0,1]
	s_delay_alu instid0(VALU_DEP_1) | instskip(NEXT) | instid1(VALU_DEP_1)
	v_add_f32_e32 v11, v11, v17
	v_dual_add_f32 v11, v16, v11 :: v_dual_sub_f32 v16, v15, v34
	s_delay_alu instid0(VALU_DEP_1) | instskip(NEXT) | instid1(VALU_DEP_1)
	v_add_f32_e32 v11, v31, v11
	v_dual_sub_f32 v16, v23, v16 :: v_dual_mul_f32 v11, v13, v11
	s_delay_alu instid0(VALU_DEP_1) | instskip(SKIP_1) | instid1(VALU_DEP_2)
	v_add_f32_e32 v11, v16, v11
	v_cvt_f32_i32_e32 v16, v8
	v_add_f32_e32 v13, v15, v11
	s_delay_alu instid0(VALU_DEP_1) | instskip(SKIP_3) | instid1(VALU_DEP_4)
	v_mul_f32_e32 v23, v13, v13
	v_ldexp_f32 v31, v13, 1
	v_sub_f32_e32 v8, v13, v15
	v_max_num_f32_e64 v15, |v2|, |v2|
	v_dual_fmaak_f32 v28, s19, v23, 0x3ecc95a3 :: v_dual_mul_f32 v17, v13, v23
	v_max_num_f32_e64 v13, |v3|, |v3|
	s_delay_alu instid0(VALU_DEP_2) | instskip(NEXT) | instid1(VALU_DEP_1)
	v_fmaak_f32 v23, v23, v28, 0x3f2aaada
	v_pk_mul_f32 v[28:29], v[16:17], v[22:23]
	s_delay_alu instid0(VALU_DEP_1) | instskip(NEXT) | instid1(VALU_DEP_1)
	v_fma_f32 v30, 0x3f317218, v16, -v28
	v_fmac_f32_e32 v30, 0xb102e308, v16
	s_delay_alu instid0(VALU_DEP_1) | instskip(SKIP_1) | instid1(VALU_DEP_2)
	v_pk_add_f32 v[16:17], v[28:29], v[30:31]
	v_dual_sub_f32 v8, v11, v8 :: v_dual_mov_b32 v34, v28
	v_sub_f32_e32 v11, v17, v31
	s_delay_alu instid0(VALU_DEP_2) | instskip(NEXT) | instid1(VALU_DEP_4)
	v_ldexp_f32 v8, v8, 1
	v_dual_mov_b32 v31, v16 :: v_dual_mov_b32 v42, v17
	s_delay_alu instid0(VALU_DEP_3) | instskip(SKIP_1) | instid1(VALU_DEP_2)
	v_sub_f32_e32 v11, v29, v11
	v_pk_add_f32 v[28:29], v[16:17], v[28:29] neg_lo:[0,1] neg_hi:[0,1]
	v_dual_add_f32 v35, v8, v11 :: v_dual_max_num_f32 v8, v15, v13
	v_min_num_f32_e32 v13, v15, v13
	s_delay_alu instid0(VALU_DEP_2) | instskip(NEXT) | instid1(VALU_DEP_3)
	v_pk_add_f32 v[36:37], v[16:17], v[34:35]
	v_frexp_mant_f32_e32 v11, v8
	v_frexp_exp_i32_f32_e32 v15, v8
	s_delay_alu instid0(VALU_DEP_4) | instskip(SKIP_3) | instid1(VALU_DEP_3)
	v_frexp_exp_i32_f32_e32 v23, v13
	v_frexp_mant_f32_e32 v13, v13
	v_mov_b32_e32 v29, v37
	v_rcp_f32_e32 v11, v11
	v_sub_nc_u32_e32 v15, v23, v15
	s_delay_alu instid0(VALU_DEP_2)
	v_pk_add_f32 v[38:39], v[30:31], v[28:29]
	v_mov_b32_e32 v38, v37
	v_pk_add_f32 v[28:29], v[30:31], v[28:29] neg_lo:[0,1] neg_hi:[0,1]
	s_delay_alu instid0(TRANS32_DEP_1) | instid1(VALU_DEP_3)
	v_dual_mul_f32 v11, v13, v11 :: v_dual_mov_b32 v8, v39
	s_delay_alu instid0(VALU_DEP_1) | instskip(NEXT) | instid1(VALU_DEP_2)
	v_ldexp_f32 v13, v11, v15
	v_pk_add_f32 v[40:41], v[8:9], v[16:17] neg_lo:[0,1] neg_hi:[0,1]
	v_dual_mov_b32 v17, v16 :: v_dual_mov_b32 v16, v35
	s_delay_alu instid0(VALU_DEP_2) | instskip(SKIP_1) | instid1(VALU_DEP_2)
	v_dual_mul_f32 v15, v13, v13 :: v_dual_mov_b32 v43, v40
	v_mov_b32_e32 v11, v40
	v_pk_add_f32 v[30:31], v[38:39], v[42:43] neg_lo:[0,1] neg_hi:[0,1]
	s_delay_alu instid0(VALU_DEP_2) | instskip(SKIP_1) | instid1(VALU_DEP_3)
	v_pk_add_f32 v[34:35], v[36:37], v[10:11] neg_lo:[0,1] neg_hi:[0,1]
	v_mov_b32_e32 v34, v28
	v_pk_add_f32 v[16:17], v[16:17], v[30:31] neg_lo:[0,1] neg_hi:[0,1]
	s_delay_alu instid0(VALU_DEP_1) | instskip(NEXT) | instid1(VALU_DEP_1)
	v_pk_add_f32 v[30:31], v[34:35], v[16:17]
	v_dual_fmaak_f32 v11, s20, v15, 0xbc7a590c :: v_dual_mov_b32 v34, v31
	s_delay_alu instid0(VALU_DEP_1) | instskip(NEXT) | instid1(VALU_DEP_2)
	v_fmaak_f32 v11, v15, v11, 0x3d29fb3f
	v_pk_add_f32 v[34:35], v[30:31], v[34:35]
	s_delay_alu instid0(VALU_DEP_1) | instskip(SKIP_1) | instid1(VALU_DEP_2)
	v_pk_add_f32 v[36:37], v[8:9], v[34:35]
	v_dual_mov_b32 v29, v39 :: v_dual_mov_b32 v17, v34
	v_mov_b32_e32 v31, v36
	s_delay_alu instid0(VALU_DEP_1) | instskip(NEXT) | instid1(VALU_DEP_1)
	v_pk_add_f32 v[38:39], v[30:31], v[28:29] neg_lo:[0,1] neg_hi:[0,1]
	v_pk_add_f32 v[16:17], v[16:17], v[38:39] neg_lo:[0,1] neg_hi:[0,1]
	v_fmaak_f32 v11, v15, v11, 0xbd97d4d7
	s_delay_alu instid0(VALU_DEP_1) | instskip(NEXT) | instid1(VALU_DEP_1)
	v_fmaak_f32 v11, v15, v11, 0x3dd931b2
	v_dual_fmaak_f32 v8, v15, v11, 0xbe1160e6 :: v_dual_sub_f32 v11, v30, v38
	s_delay_alu instid0(VALU_DEP_1) | instskip(NEXT) | instid1(VALU_DEP_1)
	v_dual_fmaak_f32 v8, v15, v8, 0x3e4cb8bf :: v_dual_sub_f32 v11, v28, v11
	v_fmaak_f32 v8, v15, v8, 0xbeaaaa62
	s_delay_alu instid0(VALU_DEP_1) | instskip(NEXT) | instid1(VALU_DEP_1)
	v_mul_f32_e32 v8, v15, v8
	v_dual_fmac_f32 v13, v13, v8 :: v_dual_add_f32 v8, v16, v11
                                        ; implicit-def: $vgpr16
	s_delay_alu instid0(VALU_DEP_1) | instskip(NEXT) | instid1(VALU_DEP_2)
	v_sub_f32_e32 v11, 0x3fc90fdb, v13
	v_add_f32_e32 v8, v8, v17
	s_delay_alu instid0(VALU_DEP_1) | instskip(NEXT) | instid1(VALU_DEP_1)
	v_add_f32_e32 v8, v36, v8
	v_cndmask_b32_e64 v8, 0x7f800000, v8, s3
	s_delay_alu instid0(VALU_DEP_4) | instskip(SKIP_3) | instid1(VALU_DEP_4)
	v_cndmask_b32_e64 v11, v13, v11, s2
	v_cndmask_b32_e64 v13, 0, 0x40490fdb, vcc_lo
	v_cmp_gt_f32_e32 vcc_lo, 0, v2
	v_cmp_class_f32_e64 s3, v3, 0x204
	v_sub_f32_e32 v15, 0x40490fdb, v11
	s_delay_alu instid0(VALU_DEP_1) | instskip(SKIP_4) | instid1(VALU_DEP_2)
	v_cndmask_b32_e32 v11, v11, v15, vcc_lo
	v_cndmask_b32_e32 v15, 0x3f490fdb, v32, vcc_lo
	v_cmp_gt_f32_e64 vcc_lo, 0x33800000, |v14|
	v_cndmask_b32_e32 v8, v8, v14, vcc_lo
	v_cmp_eq_f32_e32 vcc_lo, 0, v3
	v_dual_mul_f32 v14, 0.5, v8 :: v_dual_cndmask_b32 v11, v11, v13
	s_and_b32 vcc_lo, s6, s3
	s_delay_alu instid0(VALU_DEP_1)
	v_cndmask_b32_e32 v8, v11, v15, vcc_lo
.LBB168_94:                             ;   in Loop: Header=BB168_5 Depth=1
	s_and_not1_saveexec_b32 s5, s5
	s_cbranch_execz .LBB168_96
; %bb.95:                               ;   in Loop: Header=BB168_5 Depth=1
	v_max_num_f32_e64 v8, |v3|, |v3|
	v_max_num_f32_e64 v11, |v2|, |v2|
	v_cmp_eq_f32_e64 s3, 0, v3
	v_cmp_gt_i32_e32 vcc_lo, 0, v2
	v_cmp_class_f32_e64 s6, v2, 0x204
	v_cmp_class_f32_e64 s7, v3, 0x204
	v_dual_max_num_f32 v13, v11, v8 :: v_dual_min_num_f32 v8, v11, v8
	s_delay_alu instid0(VALU_DEP_1) | instskip(SKIP_1) | instid1(VALU_DEP_2)
	v_frexp_mant_f32_e32 v14, v13
	v_frexp_exp_i32_f32_e32 v11, v13
	v_rcp_f32_e32 v13, v14
	v_nop
	v_frexp_exp_i32_f32_e32 v14, v8
	v_frexp_mant_f32_e32 v8, v8
	s_delay_alu instid0(TRANS32_DEP_1) | instid1(VALU_DEP_1)
	v_dual_mul_f32 v8, v8, v13 :: v_dual_sub_nc_u32 v11, v14, v11
	s_delay_alu instid0(VALU_DEP_1) | instskip(NEXT) | instid1(VALU_DEP_1)
	v_ldexp_f32 v8, v8, v11
	v_mul_f32_e32 v11, v8, v8
	s_delay_alu instid0(VALU_DEP_1) | instskip(NEXT) | instid1(VALU_DEP_1)
	v_fmaak_f32 v13, s20, v11, 0xbc7a590c
	v_fmaak_f32 v13, v11, v13, 0x3d29fb3f
	s_delay_alu instid0(VALU_DEP_1) | instskip(NEXT) | instid1(VALU_DEP_1)
	v_fmaak_f32 v13, v11, v13, 0xbd97d4d7
	v_fmaak_f32 v13, v11, v13, 0x3dd931b2
	;; [unrolled: 3-line block ×3, first 2 shown]
	s_delay_alu instid0(VALU_DEP_1) | instskip(NEXT) | instid1(VALU_DEP_1)
	v_fmaak_f32 v13, v11, v13, 0xbeaaaa62
	v_mul_f32_e32 v11, v11, v13
	v_cndmask_b32_e64 v13, 0, 0x40490fdb, vcc_lo
	v_cmp_gt_f32_e32 vcc_lo, 0, v2
	s_delay_alu instid0(VALU_DEP_3) | instskip(NEXT) | instid1(VALU_DEP_1)
	v_fmac_f32_e32 v8, v8, v11
	v_sub_f32_e32 v11, 0x3fc90fdb, v8
	s_delay_alu instid0(VALU_DEP_1) | instskip(NEXT) | instid1(VALU_DEP_1)
	v_cndmask_b32_e64 v8, v8, v11, s2
	v_sub_f32_e32 v11, 0x40490fdb, v8
	s_delay_alu instid0(VALU_DEP_1) | instskip(NEXT) | instid1(VALU_DEP_1)
	v_dual_cndmask_b32 v8, v8, v11 :: v_dual_mul_f32 v11, 0.5, v16
	v_cndmask_b32_e64 v8, v8, v13, s3
	v_cndmask_b32_e32 v13, 0x3f490fdb, v32, vcc_lo
	s_and_b32 vcc_lo, s6, s7
	s_delay_alu instid0(VALU_DEP_3) | instskip(NEXT) | instid1(VALU_DEP_2)
	v_mul_f32_e32 v14, v16, v11
	v_cndmask_b32_e32 v8, v8, v13, vcc_lo
.LBB168_96:                             ;   in Loop: Header=BB168_5 Depth=1
	s_or_b32 exec_lo, exec_lo, s5
.LBB168_97:                             ;   in Loop: Header=BB168_5 Depth=1
	s_delay_alu instid0(SALU_CYCLE_1)
	s_or_b32 exec_lo, exec_lo, s4
.LBB168_98:                             ;   in Loop: Header=BB168_5 Depth=1
	s_and_not1_saveexec_b32 s4, s23
	s_cbranch_execz .LBB168_100
; %bb.99:                               ;   in Loop: Header=BB168_5 Depth=1
	v_div_scale_f32 v8, null, 0x402df854, 0x402df854, v2
	v_div_scale_f32 v11, null, 0x402df854, 0x402df854, v3
	v_div_scale_f32 v17, vcc_lo, v2, 0x402df854, v2
	s_delay_alu instid0(VALU_DEP_3) | instskip(NEXT) | instid1(VALU_DEP_2)
	v_rcp_f32_e32 v13, v8
	v_rcp_f32_e32 v14, v11
	v_cmp_class_f32_e64 s5, v3, 0x204
	s_delay_alu instid0(TRANS32_DEP_2) | instskip(NEXT) | instid1(TRANS32_DEP_1)
	v_fma_f32 v15, -v8, v13, 1.0
	v_fma_f32 v16, -v11, v14, 1.0
	s_delay_alu instid0(VALU_DEP_1) | instskip(SKIP_1) | instid1(VALU_DEP_1)
	v_dual_fmac_f32 v13, v15, v13 :: v_dual_fmac_f32 v14, v16, v14
	v_div_scale_f32 v15, s3, v3, 0x402df854, v3
	v_dual_mul_f32 v16, v17, v13 :: v_dual_mul_f32 v23, v15, v14
	s_delay_alu instid0(VALU_DEP_1) | instskip(NEXT) | instid1(VALU_DEP_1)
	v_dual_fma_f32 v28, -v8, v16, v17 :: v_dual_fma_f32 v29, -v11, v23, v15
	v_dual_fmac_f32 v16, v28, v13 :: v_dual_fmac_f32 v23, v29, v14
	s_delay_alu instid0(VALU_DEP_1) | instskip(NEXT) | instid1(VALU_DEP_1)
	v_dual_fma_f32 v8, -v8, v16, v17 :: v_dual_fma_f32 v11, -v11, v23, v15
	v_div_fmas_f32 v8, v8, v13, v16
	s_mov_b32 vcc_lo, s3
	v_max_num_f32_e64 v16, |v2|, |v2|
	s_delay_alu instid0(VALU_DEP_3) | instskip(SKIP_2) | instid1(VALU_DEP_3)
	v_div_fmas_f32 v11, v11, v14, v23
	v_cmp_class_f32_e64 s3, v2, 0x204
	v_div_fixup_f32 v8, v8, 0x402df854, v2
	v_div_fixup_f32 v11, v11, 0x402df854, v3
	s_delay_alu instid0(VALU_DEP_1) | instskip(NEXT) | instid1(VALU_DEP_1)
	v_max_num_f32_e64 v13, |v8|, |v11|
	v_cvt_f64_f32_e32 v[14:15], v13
	v_cmp_neq_f32_e32 vcc_lo, 0x7f800000, v13
	s_delay_alu instid0(VALU_DEP_2) | instskip(SKIP_1) | instid1(VALU_DEP_1)
	v_frexp_exp_i32_f64_e32 v14, v[14:15]
	v_max_num_f32_e64 v15, |v3|, |v3|
	v_dual_max_num_f32 v17, v16, v15 :: v_dual_min_num_f32 v15, v16, v15
	s_delay_alu instid0(VALU_DEP_1) | instskip(SKIP_1) | instid1(VALU_DEP_2)
	v_frexp_mant_f32_e32 v23, v17
	v_frexp_exp_i32_f32_e32 v16, v17
	v_rcp_f32_e32 v17, v23
	v_nop
	v_frexp_exp_i32_f32_e32 v23, v15
	v_frexp_mant_f32_e32 v15, v15
	s_delay_alu instid0(VALU_DEP_2)
	v_sub_nc_u32_e32 v16, v23, v16
	s_delay_alu instid0(TRANS32_DEP_1) | instid1(VALU_DEP_2)
	v_dual_mul_f32 v15, v15, v17 :: v_dual_sub_nc_u32 v17, 0, v14
	s_delay_alu instid0(VALU_DEP_1) | instskip(SKIP_1) | instid1(VALU_DEP_2)
	v_ldexp_f32 v11, |v11|, v17
	v_ldexp_f32 v8, |v8|, v17
	v_mul_f32_e32 v11, v11, v11
	s_delay_alu instid0(VALU_DEP_1) | instskip(SKIP_1) | instid1(VALU_DEP_2)
	v_fmac_f32_e32 v11, v8, v8
	v_ldexp_f32 v15, v15, v16
	v_sqrt_f32_e32 v11, v11
	s_delay_alu instid0(VALU_DEP_1) | instskip(NEXT) | instid1(VALU_DEP_1)
	v_mul_f32_e32 v16, v15, v15
	v_fmaak_f32 v17, s20, v16, 0xbc7a590c
	s_delay_alu instid0(TRANS32_DEP_1) | instskip(NEXT) | instid1(VALU_DEP_2)
	v_ldexp_f32 v11, v11, v14
	v_fmaak_f32 v8, v16, v17, 0x3d29fb3f
	s_delay_alu instid0(VALU_DEP_1) | instskip(NEXT) | instid1(VALU_DEP_1)
	v_fmaak_f32 v8, v16, v8, 0xbd97d4d7
	v_fmaak_f32 v8, v16, v8, 0x3dd931b2
	s_delay_alu instid0(VALU_DEP_1) | instskip(NEXT) | instid1(VALU_DEP_1)
	v_fmaak_f32 v8, v16, v8, 0xbe1160e6
	v_fmaak_f32 v8, v16, v8, 0x3e4cb8bf
	s_delay_alu instid0(VALU_DEP_1) | instskip(NEXT) | instid1(VALU_DEP_1)
	v_fmaak_f32 v8, v16, v8, 0xbeaaaa62
	v_dual_cndmask_b32 v11, 0x7f800000, v11 :: v_dual_mul_f32 v8, v16, v8
	s_delay_alu instid0(VALU_DEP_1) | instskip(NEXT) | instid1(VALU_DEP_2)
	v_cmp_gt_f32_e32 vcc_lo, 0x800000, v11
	v_fmac_f32_e32 v15, v15, v8
	v_cndmask_b32_e64 v13, 0, 32, vcc_lo
	v_cndmask_b32_e64 v16, 0, 0x41b17218, vcc_lo
	s_delay_alu instid0(VALU_DEP_2) | instskip(NEXT) | instid1(VALU_DEP_1)
	v_ldexp_f32 v11, v11, v13
	v_log_f32_e32 v11, v11
	v_nop
	s_delay_alu instid0(TRANS32_DEP_1) | instskip(SKIP_1) | instid1(VALU_DEP_2)
	v_mul_f32_e32 v13, 0x3f317217, v11
	v_cmp_gt_f32_e64 vcc_lo, 0x7f800000, |v11|
	v_fma_f32 v8, 0x3f317217, v11, -v13
	s_delay_alu instid0(VALU_DEP_1) | instskip(NEXT) | instid1(VALU_DEP_1)
	v_fmac_f32_e32 v8, 0x3377d1cf, v11
	v_fmac_f32_e32 v8, 0x3f317217, v11
	s_delay_alu instid0(VALU_DEP_1) | instskip(SKIP_1) | instid1(VALU_DEP_2)
	v_dual_sub_f32 v13, 0x3fc90fdb, v15 :: v_dual_cndmask_b32 v8, v11, v8
	v_cmp_eq_f32_e32 vcc_lo, 0, v3
	v_dual_sub_f32 v8, v8, v16 :: v_dual_cndmask_b32 v13, v15, v13, s2
	v_cmp_gt_i32_e64 s2, 0, v2
	s_delay_alu instid0(VALU_DEP_2) | instskip(NEXT) | instid1(VALU_DEP_2)
	v_sub_f32_e32 v15, 0x40490fdb, v13
	v_cndmask_b32_e64 v14, 0, 0x40490fdb, s2
	v_cmp_gt_f32_e64 s2, 0, v2
	s_delay_alu instid0(VALU_DEP_1) | instskip(SKIP_1) | instid1(VALU_DEP_2)
	v_cndmask_b32_e64 v11, v13, v15, s2
	v_cndmask_b32_e64 v13, 0x3f490fdb, v32, s2
	v_cndmask_b32_e32 v11, v11, v14, vcc_lo
	s_and_b32 vcc_lo, s3, s5
	s_delay_alu instid0(VALU_DEP_1) | instid1(SALU_CYCLE_1)
	v_dual_add_f32 v14, 1.0, v8 :: v_dual_cndmask_b32 v8, v11, v13, vcc_lo
.LBB168_100:                            ;   in Loop: Header=BB168_5 Depth=1
	s_or_b32 exec_lo, exec_lo, s4
.LBB168_101:                            ;   in Loop: Header=BB168_5 Depth=1
	s_and_not1_saveexec_b32 s2, s22
	s_cbranch_execz .LBB168_107
; %bb.102:                              ;   in Loop: Header=BB168_5 Depth=1
	v_cmp_ngt_f32_e64 s3, 0x20000000, |v2|
	v_cmp_ngt_f32_e64 s4, 0x20000000, |v3|
                                        ; implicit-def: $vgpr8
	s_or_b32 s3, s3, s4
	s_delay_alu instid0(SALU_CYCLE_1) | instskip(NEXT) | instid1(SALU_CYCLE_1)
	s_and_saveexec_b32 s4, s3
	s_xor_b32 s3, exec_lo, s4
; %bb.103:                              ;   in Loop: Header=BB168_5 Depth=1
	v_pk_mul_f32 v[14:15], v[2:3], v[2:3]
	s_delay_alu instid0(VALU_DEP_1)
	v_add_f32_e32 v8, v14, v15
; %bb.104:                              ;   in Loop: Header=BB168_5 Depth=1
	s_and_not1_saveexec_b32 s3, s3
; %bb.105:                              ;   in Loop: Header=BB168_5 Depth=1
	v_pk_mul_f32 v[14:15], v[2:3], 4.0 op_sel_hi:[1,0]
	s_delay_alu instid0(VALU_DEP_1) | instskip(NEXT) | instid1(VALU_DEP_1)
	v_pk_mul_f32 v[14:15], v[14:15], v[14:15]
	v_add_f32_e32 v2, v14, v15
	s_delay_alu instid0(VALU_DEP_1)
	v_mul_f32_e32 v8, 0x3d800000, v2
; %bb.106:                              ;   in Loop: Header=BB168_5 Depth=1
	s_or_b32 exec_lo, exec_lo, s3
	s_delay_alu instid0(VALU_DEP_1) | instskip(SKIP_2) | instid1(VALU_DEP_2)
	v_cmp_gt_f32_e32 vcc_lo, 0x800000, v8
	v_cndmask_b32_e64 v2, 0, 32, vcc_lo
	v_cndmask_b32_e64 v11, 0, 0x41b17218, vcc_lo
	v_ldexp_f32 v2, v8, v2
	s_delay_alu instid0(VALU_DEP_1) | instskip(SKIP_1) | instid1(TRANS32_DEP_1)
	v_log_f32_e32 v2, v2
	v_nop
	v_mul_f32_e32 v8, 0x3f317217, v2
	v_cmp_gt_f32_e64 vcc_lo, 0x7f800000, |v2|
	s_delay_alu instid0(VALU_DEP_2) | instskip(NEXT) | instid1(VALU_DEP_1)
	v_fma_f32 v8, 0x3f317217, v2, -v8
	v_fmac_f32_e32 v8, 0x3377d1cf, v2
	s_delay_alu instid0(VALU_DEP_1) | instskip(NEXT) | instid1(VALU_DEP_1)
	v_fmac_f32_e32 v8, 0x3f317217, v2
	v_cndmask_b32_e32 v2, v2, v8, vcc_lo
	v_mov_b32_e32 v8, 0x7fc00000
	s_delay_alu instid0(VALU_DEP_2)
	v_sub_f32_e32 v14, v2, v11
.LBB168_107:                            ;   in Loop: Header=BB168_5 Depth=1
	s_or_b32 exec_lo, exec_lo, s2
                                        ; implicit-def: $vgpr2
	s_delay_alu instid0(SALU_CYCLE_1)
	s_mov_b32 s2, exec_lo
	v_cmpx_o_f32_e32 v5, v4
	s_xor_b32 s22, exec_lo, s2
	s_cbranch_execz .LBB168_135
; %bb.108:                              ;   in Loop: Header=BB168_5 Depth=1
	v_cmp_lt_f32_e64 s2, |v4|, |v5|
                                        ; implicit-def: $vgpr2
	s_mov_b32 s4, exec_lo
	v_cndmask_b32_e64 v11, v5, v4, s2
	s_delay_alu instid0(VALU_DEP_1)
	v_cmpx_nlt_f32_e64 0x77f684df, |v11|
	s_xor_b32 s23, exec_lo, s4
	s_cbranch_execz .LBB168_132
; %bb.109:                              ;   in Loop: Header=BB168_5 Depth=1
	v_cndmask_b32_e64 v2, v4, v5, s2
	v_and_b32_e32 v28, 0x7fffffff, v11
	s_mov_b32 s3, exec_lo
	s_delay_alu instid0(VALU_DEP_2) | instskip(NEXT) | instid1(VALU_DEP_1)
	v_and_b32_e32 v29, 0x7fffffff, v2
                                        ; implicit-def: $vgpr2
	v_cmpx_neq_f32_e32 1.0, v29
	s_xor_b32 s24, exec_lo, s3
	s_cbranch_execz .LBB168_125
; %bb.110:                              ;   in Loop: Header=BB168_5 Depth=1
	v_dual_max_num_f32 v2, v28, v28 :: v_dual_max_num_f32 v11, v29, v29
	s_delay_alu instid0(VALU_DEP_1) | instskip(NEXT) | instid1(VALU_DEP_1)
	v_dual_min_num_f32 v13, v11, v2 :: v_dual_max_num_f32 v2, v11, v2
	v_cmp_ngt_f32_e32 vcc_lo, 0x358637bd, v13
	s_delay_alu instid0(VALU_DEP_2) | instskip(SKIP_1) | instid1(SALU_CYCLE_1)
	v_cmp_nlt_f32_e64 s3, 0x49742400, v2
                                        ; implicit-def: $vgpr2
	s_and_b32 s3, s3, vcc_lo
	s_and_saveexec_b32 s4, s3
	s_delay_alu instid0(SALU_CYCLE_1)
	s_xor_b32 s25, exec_lo, s4
	s_cbranch_execz .LBB168_122
; %bb.111:                              ;   in Loop: Header=BB168_5 Depth=1
                                        ; implicit-def: $vgpr2
	s_mov_b32 s3, exec_lo
	v_cmpx_le_f32_e32 1.0, v29
	s_xor_b32 s4, exec_lo, s3
	s_cbranch_execz .LBB168_113
; %bb.112:                              ;   in Loop: Header=BB168_5 Depth=1
	v_pk_add_f32 v[16:17], v[28:29], v[20:21] op_sel:[1,0]
	v_mov_b32_e32 v30, v28
	v_cmp_class_f32_e64 s5, v4, 0x204
	s_delay_alu instid0(VALU_DEP_3) | instskip(SKIP_1) | instid1(VALU_DEP_1)
	v_dual_mov_b32 v29, v16 :: v_dual_mov_b32 v31, v17
	v_mul_f32_e32 v2, v16, v17
	v_pk_fma_f32 v[16:17], v[28:29], v[30:31], v[2:3] op_sel_hi:[1,1,0]
	s_delay_alu instid0(VALU_DEP_1) | instskip(SKIP_1) | instid1(VALU_DEP_2)
	v_add_f32_e32 v29, 1.0, v16
	v_cmp_neq_f32_e64 s3, -1.0, v16
	v_add_f32_e32 v17, -1.0, v29
	s_delay_alu instid0(VALU_DEP_1) | instskip(SKIP_2) | instid1(VALU_DEP_1)
	v_mov_b32_e32 v28, v17
	v_cvt_f64_f32_e32 v[30:31], v29
	v_frexp_mant_f32_e32 v11, v29
	v_cmp_gt_f32_e32 vcc_lo, 0x3f2aaaab, v11
	s_delay_alu instid0(VALU_DEP_3) | instskip(NEXT) | instid1(VALU_DEP_1)
	v_frexp_exp_i32_f64_e32 v2, v[30:31]
	v_subrev_co_ci_u32_e64 v2, null, 0, v2, vcc_lo
	v_cmp_neq_f32_e32 vcc_lo, 0x7f800000, v16
	s_delay_alu instid0(VALU_DEP_2) | instskip(SKIP_1) | instid1(VALU_DEP_2)
	v_sub_nc_u32_e32 v11, 0, v2
	v_pk_add_f32 v[30:31], v[16:17], v[28:29] neg_lo:[0,1] neg_hi:[0,1]
	v_ldexp_f32 v13, v29, v11
	s_delay_alu instid0(VALU_DEP_1) | instskip(NEXT) | instid1(VALU_DEP_1)
	v_dual_add_f32 v15, 1.0, v31 :: v_dual_add_f32 v17, 1.0, v13
	v_dual_add_f32 v15, v30, v15 :: v_dual_add_f32 v23, -1.0, v17
	v_add_f32_e32 v33, -1.0, v13
	s_delay_alu instid0(VALU_DEP_2) | instskip(NEXT) | instid1(VALU_DEP_2)
	v_ldexp_f32 v11, v15, v11
	v_dual_sub_f32 v15, v13, v23 :: v_dual_add_f32 v23, 1.0, v33
	s_delay_alu instid0(VALU_DEP_1) | instskip(NEXT) | instid1(VALU_DEP_2)
	v_add_f32_e32 v15, v11, v15
	v_sub_f32_e32 v13, v13, v23
	s_delay_alu instid0(VALU_DEP_2) | instskip(NEXT) | instid1(VALU_DEP_1)
	v_add_f32_e32 v23, v17, v15
	v_sub_f32_e32 v17, v23, v17
	s_delay_alu instid0(VALU_DEP_3) | instskip(SKIP_1) | instid1(VALU_DEP_1)
	v_add_f32_e32 v11, v11, v13
	v_rcp_f32_e32 v13, v23
	v_add_f32_e32 v29, v33, v11
	s_delay_alu instid0(TRANS32_DEP_1) | instid1(VALU_DEP_1)
	v_mul_f32_e32 v36, v29, v13
	s_delay_alu instid0(VALU_DEP_1) | instskip(NEXT) | instid1(VALU_DEP_1)
	v_mul_f32_e32 v30, v23, v36
	v_dual_sub_f32 v15, v15, v17 :: v_dual_fma_f32 v34, v36, v23, -v30
	s_delay_alu instid0(VALU_DEP_1) | instskip(NEXT) | instid1(VALU_DEP_1)
	v_fmac_f32_e32 v34, v36, v15
	v_dual_add_f32 v28, v30, v34 :: v_dual_sub_f32 v17, v29, v33
	s_delay_alu instid0(VALU_DEP_1) | instskip(NEXT) | instid1(VALU_DEP_2)
	v_dual_mov_b32 v35, v28 :: v_dual_sub_f32 v31, v29, v28
	v_sub_f32_e32 v11, v11, v17
	s_delay_alu instid0(VALU_DEP_2) | instskip(NEXT) | instid1(VALU_DEP_1)
	v_pk_add_f32 v[28:29], v[28:29], v[30:31] neg_lo:[0,1] neg_hi:[0,1]
	v_pk_add_f32 v[28:29], v[28:29], v[34:35] neg_lo:[0,1] neg_hi:[0,1]
	s_delay_alu instid0(VALU_DEP_1) | instskip(NEXT) | instid1(VALU_DEP_1)
	v_add_f32_e32 v11, v11, v29
	v_add_f32_e32 v11, v28, v11
	s_delay_alu instid0(VALU_DEP_1) | instskip(NEXT) | instid1(VALU_DEP_1)
	v_add_f32_e32 v29, v31, v11
	v_mul_f32_e32 v17, v13, v29
	s_delay_alu instid0(VALU_DEP_1) | instskip(NEXT) | instid1(VALU_DEP_1)
	v_mul_f32_e32 v34, v23, v17
	v_fma_f32 v30, v17, v23, -v34
	s_delay_alu instid0(VALU_DEP_1) | instskip(NEXT) | instid1(VALU_DEP_1)
	v_fmac_f32_e32 v30, v17, v15
	v_dual_add_f32 v28, v34, v30 :: v_dual_sub_f32 v15, v31, v29
	s_delay_alu instid0(VALU_DEP_1) | instskip(NEXT) | instid1(VALU_DEP_2)
	v_dual_sub_f32 v35, v29, v28 :: v_dual_mov_b32 v31, v28
	v_dual_add_f32 v11, v11, v15 :: v_dual_add_f32 v15, v36, v17
	s_delay_alu instid0(VALU_DEP_2) | instskip(NEXT) | instid1(VALU_DEP_2)
	v_pk_add_f32 v[28:29], v[28:29], v[34:35] neg_lo:[0,1] neg_hi:[0,1]
	v_sub_f32_e32 v23, v15, v36
	s_delay_alu instid0(VALU_DEP_2) | instskip(NEXT) | instid1(VALU_DEP_1)
	v_pk_add_f32 v[28:29], v[28:29], v[30:31] neg_lo:[0,1] neg_hi:[0,1]
	v_dual_sub_f32 v17, v17, v23 :: v_dual_add_f32 v11, v11, v29
	s_delay_alu instid0(VALU_DEP_1) | instskip(SKIP_1) | instid1(VALU_DEP_2)
	v_add_f32_e32 v11, v28, v11
	v_cvt_f32_i32_e32 v28, v2
	v_add_f32_e32 v11, v35, v11
	s_delay_alu instid0(VALU_DEP_1) | instskip(NEXT) | instid1(VALU_DEP_1)
	v_mul_f32_e32 v11, v13, v11
	v_add_f32_e32 v11, v17, v11
	s_delay_alu instid0(VALU_DEP_1) | instskip(NEXT) | instid1(VALU_DEP_1)
	v_add_f32_e32 v13, v15, v11
	v_mul_f32_e32 v17, v13, v13
	s_delay_alu instid0(VALU_DEP_1) | instskip(SKIP_1) | instid1(VALU_DEP_2)
	v_fmaak_f32 v23, s19, v17, 0x3ecc95a3
	v_mul_f32_e32 v29, v13, v17
	v_fmaak_f32 v23, v17, v23, 0x3f2aaada
	s_delay_alu instid0(VALU_DEP_1) | instskip(NEXT) | instid1(VALU_DEP_1)
	v_pk_mul_f32 v[30:31], v[28:29], v[22:23]
	v_fma_f32 v34, 0x3f317218, v28, -v30
	v_mov_b32_e32 v36, v30
	v_ldexp_f32 v35, v13, 1
	v_sub_f32_e32 v2, v13, v15
	s_delay_alu instid0(VALU_DEP_4) | instskip(NEXT) | instid1(VALU_DEP_2)
	v_fmac_f32_e32 v34, 0xb102e308, v28
	v_sub_f32_e32 v2, v11, v2
	s_delay_alu instid0(VALU_DEP_2) | instskip(NEXT) | instid1(VALU_DEP_2)
	v_pk_add_f32 v[28:29], v[30:31], v[34:35]
	v_ldexp_f32 v2, v2, 1
	s_delay_alu instid0(VALU_DEP_2) | instskip(NEXT) | instid1(VALU_DEP_1)
	v_dual_sub_f32 v11, v29, v35 :: v_dual_mov_b32 v35, v28
	v_sub_f32_e32 v11, v31, v11
	v_pk_add_f32 v[30:31], v[28:29], v[30:31] neg_lo:[0,1] neg_hi:[0,1]
	s_delay_alu instid0(VALU_DEP_2) | instskip(SKIP_2) | instid1(VALU_DEP_3)
	v_add_f32_e32 v37, v2, v11
	v_max_num_f32_e64 v2, |v5|, |v5|
	v_max_num_f32_e64 v11, |v4|, |v4|
	v_pk_add_f32 v[38:39], v[28:29], v[36:37]
	s_delay_alu instid0(VALU_DEP_2) | instskip(NEXT) | instid1(VALU_DEP_2)
	v_dual_max_num_f32 v13, v11, v2 :: v_dual_min_num_f32 v11, v11, v2
	v_mov_b32_e32 v31, v39
	s_delay_alu instid0(VALU_DEP_2) | instskip(SKIP_1) | instid1(VALU_DEP_4)
	v_frexp_exp_i32_f32_e32 v15, v13
	v_frexp_mant_f32_e32 v13, v13
	v_frexp_exp_i32_f32_e32 v17, v11
	s_delay_alu instid0(VALU_DEP_4)
	v_pk_add_f32 v[40:41], v[34:35], v[30:31]
	v_frexp_mant_f32_e32 v23, v11
	v_mov_b32_e32 v40, v39
	v_rcp_f32_e32 v13, v13
	v_sub_nc_u32_e32 v15, v17, v15
	v_mov_b32_e32 v2, v41
	v_pk_add_f32 v[30:31], v[34:35], v[30:31] neg_lo:[0,1] neg_hi:[0,1]
	s_delay_alu instid0(VALU_DEP_2) | instskip(SKIP_1) | instid1(TRANS32_DEP_1)
	v_pk_add_f32 v[42:43], v[2:3], v[28:29] neg_lo:[0,1] neg_hi:[0,1]
	v_dual_mov_b32 v44, v29 :: v_dual_mov_b32 v29, v28
	v_dual_mov_b32 v28, v37 :: v_dual_mul_f32 v13, v23, v13
	s_delay_alu instid0(VALU_DEP_3) | instskip(NEXT) | instid1(VALU_DEP_1)
	v_dual_mov_b32 v11, v42 :: v_dual_mov_b32 v45, v42
	v_pk_add_f32 v[36:37], v[38:39], v[10:11] neg_lo:[0,1] neg_hi:[0,1]
	s_delay_alu instid0(VALU_DEP_2) | instskip(NEXT) | instid1(VALU_DEP_4)
	v_pk_add_f32 v[34:35], v[40:41], v[44:45] neg_lo:[0,1] neg_hi:[0,1]
	v_ldexp_f32 v11, v13, v15
	v_mov_b32_e32 v36, v30
	s_delay_alu instid0(VALU_DEP_3) | instskip(NEXT) | instid1(VALU_DEP_3)
	v_pk_add_f32 v[28:29], v[28:29], v[34:35] neg_lo:[0,1] neg_hi:[0,1]
	v_mul_f32_e32 v13, v11, v11
	s_delay_alu instid0(VALU_DEP_2) | instskip(NEXT) | instid1(VALU_DEP_1)
	v_pk_add_f32 v[34:35], v[36:37], v[28:29]
	v_dual_fmaak_f32 v15, s20, v13, 0xbc7a590c :: v_dual_mov_b32 v36, v35
	s_delay_alu instid0(VALU_DEP_1) | instskip(NEXT) | instid1(VALU_DEP_2)
	v_fmaak_f32 v15, v13, v15, 0x3d29fb3f
	v_pk_add_f32 v[36:37], v[34:35], v[36:37]
	s_delay_alu instid0(VALU_DEP_1) | instskip(NEXT) | instid1(VALU_DEP_2)
	v_dual_mov_b32 v31, v41 :: v_dual_mov_b32 v29, v36
	v_pk_add_f32 v[38:39], v[2:3], v[36:37]
	s_delay_alu instid0(VALU_DEP_1) | instskip(NEXT) | instid1(VALU_DEP_1)
	v_dual_fmaak_f32 v2, v13, v15, 0xbd97d4d7 :: v_dual_mov_b32 v35, v38
	v_pk_add_f32 v[40:41], v[34:35], v[30:31] neg_lo:[0,1] neg_hi:[0,1]
	s_delay_alu instid0(VALU_DEP_1) | instskip(NEXT) | instid1(VALU_DEP_1)
	v_dual_fmaak_f32 v2, v13, v2, 0x3dd931b2 :: v_dual_sub_f32 v15, v34, v40
	v_fmaak_f32 v2, v13, v2, 0xbe1160e6
	s_delay_alu instid0(VALU_DEP_3) | instskip(NEXT) | instid1(VALU_DEP_2)
	v_pk_add_f32 v[28:29], v[28:29], v[40:41] neg_lo:[0,1] neg_hi:[0,1]
	v_dual_sub_f32 v15, v30, v15 :: v_dual_fmaak_f32 v2, v13, v2, 0x3e4cb8bf
	s_delay_alu instid0(VALU_DEP_1) | instskip(NEXT) | instid1(VALU_DEP_1)
	v_dual_add_f32 v15, v28, v15 :: v_dual_fmaak_f32 v2, v13, v2, 0xbeaaaa62
	v_dual_mul_f32 v2, v13, v2 :: v_dual_add_f32 v13, v15, v29
                                        ; implicit-def: $vgpr28_vgpr29
	s_delay_alu instid0(VALU_DEP_1) | instskip(NEXT) | instid1(VALU_DEP_1)
	v_dual_fmac_f32 v11, v11, v2 :: v_dual_add_f32 v2, v38, v13
	v_sub_f32_e32 v13, 0x3fc90fdb, v11
	s_delay_alu instid0(VALU_DEP_2) | instskip(SKIP_1) | instid1(VALU_DEP_3)
	v_cndmask_b32_e32 v2, 0x7f800000, v2, vcc_lo
	v_cmp_gt_i32_e32 vcc_lo, 0, v4
	v_cndmask_b32_e64 v11, v11, v13, s2
	v_cndmask_b32_e64 v13, 0, 0x40490fdb, vcc_lo
	v_cmp_ngt_f32_e32 vcc_lo, -1.0, v16
	s_delay_alu instid0(VALU_DEP_3) | instskip(SKIP_2) | instid1(VALU_DEP_2)
	v_sub_f32_e32 v15, 0x40490fdb, v11
	v_cndmask_b32_e32 v2, 0x7fc00000, v2, vcc_lo
	v_cmp_gt_f32_e32 vcc_lo, 0, v4
	v_cndmask_b32_e64 v2, 0xff800000, v2, s3
	s_delay_alu instid0(VALU_DEP_4)
	v_cndmask_b32_e32 v11, v11, v15, vcc_lo
	v_cndmask_b32_e32 v15, 0x3f490fdb, v32, vcc_lo
	v_cmp_gt_f32_e64 vcc_lo, 0x33800000, |v16|
	v_cmp_class_f32_e64 s3, v5, 0x204
	v_cndmask_b32_e32 v2, v2, v16, vcc_lo
	v_cmp_eq_f32_e32 vcc_lo, 0, v5
	s_delay_alu instid0(VALU_DEP_2) | instskip(SKIP_1) | instid1(VALU_DEP_1)
	v_dual_mul_f32 v16, 0.5, v2 :: v_dual_cndmask_b32 v11, v11, v13
	s_and_b32 vcc_lo, s5, s3
	v_cndmask_b32_e32 v2, v11, v15, vcc_lo
.LBB168_113:                            ;   in Loop: Header=BB168_5 Depth=1
	s_and_not1_saveexec_b32 s26, s4
	s_cbranch_execz .LBB168_121
; %bb.114:                              ;   in Loop: Header=BB168_5 Depth=1
	v_pk_mul_f32 v[16:17], v[28:29], v[28:29]
                                        ; implicit-def: $vgpr2
	s_mov_b32 s3, exec_lo
	s_delay_alu instid0(VALU_DEP_1) | instskip(NEXT) | instid1(VALU_DEP_1)
	v_add_f32_e32 v11, v17, v16
	v_cmpx_ge_f32_e32 0x3f333333, v11
	s_xor_b32 s4, exec_lo, s3
	s_cbranch_execz .LBB168_116
; %bb.115:                              ;   in Loop: Header=BB168_5 Depth=1
	v_max_num_f32_e64 v2, |v5|, |v5|
	v_max_num_f32_e64 v13, |v4|, |v4|
	v_cmp_gt_f32_e32 vcc_lo, 0x800000, v11
	v_cmp_gt_i32_e64 s3, 0, v4
	v_cmp_class_f32_e64 s5, v4, 0x204
	v_cmp_class_f32_e64 s6, v5, 0x204
	v_dual_max_num_f32 v15, v13, v2 :: v_dual_min_num_f32 v2, v13, v2
	v_cndmask_b32_e64 v17, 0, 0x41b17218, vcc_lo
                                        ; implicit-def: $vgpr28
	s_delay_alu instid0(VALU_DEP_2) | instskip(SKIP_1) | instid1(VALU_DEP_2)
	v_frexp_mant_f32_e32 v16, v15
	v_frexp_exp_i32_f32_e32 v13, v15
	v_rcp_f32_e32 v15, v16
	v_nop
	v_frexp_exp_i32_f32_e32 v16, v2
	v_frexp_mant_f32_e32 v2, v2
	s_delay_alu instid0(TRANS32_DEP_1) | instid1(VALU_DEP_1)
	v_dual_mul_f32 v2, v2, v15 :: v_dual_sub_nc_u32 v13, v16, v13
	v_cndmask_b32_e64 v16, 0, 32, vcc_lo
	s_delay_alu instid0(VALU_DEP_2) | instskip(NEXT) | instid1(VALU_DEP_2)
	v_ldexp_f32 v2, v2, v13
	v_ldexp_f32 v11, v11, v16
	s_delay_alu instid0(VALU_DEP_2) | instskip(NEXT) | instid1(VALU_DEP_2)
	v_mul_f32_e32 v13, v2, v2
	v_log_f32_e32 v11, v11
	s_delay_alu instid0(VALU_DEP_1) | instskip(NEXT) | instid1(TRANS32_DEP_1)
	v_fmaak_f32 v15, s20, v13, 0xbc7a590c
	v_cmp_gt_f32_e64 vcc_lo, 0x7f800000, |v11|
	s_delay_alu instid0(VALU_DEP_2) | instskip(NEXT) | instid1(VALU_DEP_1)
	v_fmaak_f32 v15, v13, v15, 0x3d29fb3f
	v_fmaak_f32 v15, v13, v15, 0xbd97d4d7
	s_delay_alu instid0(VALU_DEP_1) | instskip(NEXT) | instid1(VALU_DEP_1)
	v_fmaak_f32 v15, v13, v15, 0x3dd931b2
	v_fmaak_f32 v15, v13, v15, 0xbe1160e6
	s_delay_alu instid0(VALU_DEP_1) | instskip(NEXT) | instid1(VALU_DEP_1)
	v_fmaak_f32 v15, v13, v15, 0x3e4cb8bf
	v_fmaak_f32 v15, v13, v15, 0xbeaaaa62
	s_delay_alu instid0(VALU_DEP_1) | instskip(NEXT) | instid1(VALU_DEP_1)
	v_mul_f32_e32 v13, v13, v15
	v_dual_mul_f32 v15, 0x3f317217, v11 :: v_dual_fmac_f32 v2, v2, v13
	s_delay_alu instid0(VALU_DEP_1) | instskip(NEXT) | instid1(VALU_DEP_2)
	v_fma_f32 v13, 0x3f317217, v11, -v15
	v_sub_f32_e32 v15, 0x3fc90fdb, v2
	s_delay_alu instid0(VALU_DEP_2) | instskip(NEXT) | instid1(VALU_DEP_2)
	v_fmac_f32_e32 v13, 0x3377d1cf, v11
	v_cndmask_b32_e64 v2, v2, v15, s2
	s_delay_alu instid0(VALU_DEP_2) | instskip(SKIP_2) | instid1(VALU_DEP_3)
	v_fmac_f32_e32 v13, 0x3f317217, v11
	v_cndmask_b32_e64 v15, 0, 0x40490fdb, s3
	v_cmp_eq_f32_e64 s3, 0, v5
	v_dual_sub_f32 v16, 0x40490fdb, v2 :: v_dual_cndmask_b32 v11, v11, v13
	v_cmp_gt_f32_e32 vcc_lo, 0, v4
	s_delay_alu instid0(VALU_DEP_2) | instskip(SKIP_2) | instid1(VALU_DEP_2)
	v_cndmask_b32_e32 v2, v2, v16, vcc_lo
	v_cndmask_b32_e32 v13, 0x3f490fdb, v32, vcc_lo
	s_and_b32 vcc_lo, s5, s6
	v_dual_cndmask_b32 v2, v2, v15, s3 :: v_dual_sub_f32 v11, v11, v17
	s_delay_alu instid0(VALU_DEP_1)
	v_dual_cndmask_b32 v2, v2, v13, vcc_lo :: v_dual_mul_f32 v16, 0.5, v11
.LBB168_116:                            ;   in Loop: Header=BB168_5 Depth=1
	s_and_not1_saveexec_b32 s27, s4
	s_cbranch_execz .LBB168_120
; %bb.117:                              ;   in Loop: Header=BB168_5 Depth=1
	v_and_b32_e32 v17, 0x7fff0000, v28
	v_and_b32_e32 v16, 0x7fff0000, v29
	s_mov_b32 s28, 0
	s_delay_alu instid0(VALU_DEP_1) | instskip(SKIP_2) | instid1(VALU_DEP_2)
	v_dual_add_f32 v23, v17, v17 :: v_dual_add_f32 v11, v16, v16
	v_pk_add_f32 v[28:29], v[28:29], v[16:17] op_sel:[1,0] op_sel_hi:[0,1] neg_lo:[0,1] neg_hi:[0,1]
	v_pk_mul_f32 v[16:17], v[16:17], v[16:17]
	v_and_b32_e32 v31, 0xffff0000, v29
	s_delay_alu instid0(VALU_DEP_3) | instskip(NEXT) | instid1(VALU_DEP_1)
	v_and_b32_e32 v30, 0xffff0000, v28
	v_pk_add_f32 v[28:29], v[28:29], v[30:31] neg_lo:[0,1] neg_hi:[0,1]
	v_dual_mul_f32 v2, v11, v30 :: v_dual_add_f32 v34, v30, v30
	v_add_f32_e32 v35, v31, v31
	s_delay_alu instid0(VALU_DEP_3) | instskip(SKIP_1) | instid1(VALU_DEP_4)
	v_dual_mul_f32 v15, v23, v31 :: v_dual_mul_f32 v33, v23, v29
	v_pk_mul_f32 v[30:31], v[30:31], v[30:31]
	v_dual_mul_f32 v13, v11, v28 :: v_dual_mul_f32 v11, v34, v28
	s_delay_alu instid0(VALU_DEP_4)
	v_mul_f32_e32 v23, v35, v29
	v_pk_mul_f32 v[28:29], v[28:29], v[28:29]
.LBB168_118:                            ;   Parent Loop BB168_5 Depth=1
                                        ; =>  This Inner Loop Header: Depth=2
	v_cmp_nlt_f32_e32 vcc_lo, v16, v17
	v_dual_cndmask_b32 v34, v16, v17, vcc_lo :: v_dual_cndmask_b32 v16, v17, v16, vcc_lo
	s_delay_alu instid0(VALU_DEP_1) | instskip(NEXT) | instid1(VALU_DEP_1)
	v_cmp_nlt_f32_e64 s3, v34, v2
	v_cndmask_b32_e64 v35, v34, v2, s3
	v_cndmask_b32_e64 v17, v2, v34, s3
	s_and_b32 s3, vcc_lo, s3
	s_delay_alu instid0(VALU_DEP_2) | instskip(NEXT) | instid1(VALU_DEP_1)
	v_cmp_nlt_f32_e64 s4, v35, v15
	v_cndmask_b32_e64 v36, v35, v15, s4
	v_cndmask_b32_e64 v2, v15, v35, s4
	s_delay_alu instid0(VALU_DEP_2) | instskip(NEXT) | instid1(VALU_DEP_1)
	v_cmp_nlt_f32_e64 s5, v36, v30
	v_dual_cndmask_b32 v34, v36, v30, s5 :: v_dual_cndmask_b32 v15, v30, v36, s5
	s_and_b32 s29, s4, s5
	s_delay_alu instid0(VALU_DEP_1) | instskip(NEXT) | instid1(VALU_DEP_1)
	v_cmp_nlt_f32_e64 s6, v34, v31
	v_dual_cndmask_b32 v35, v34, v31, s6 :: v_dual_cndmask_b32 v30, v31, v34, s6
	s_delay_alu instid0(VALU_DEP_1) | instskip(NEXT) | instid1(VALU_DEP_1)
	v_cmp_nlt_f32_e64 s7, v35, v13
	v_cndmask_b32_e64 v37, v35, v13, s7
	s_and_b32 s6, s6, s7
	s_delay_alu instid0(VALU_DEP_1) | instskip(NEXT) | instid1(VALU_DEP_1)
	v_cmp_nlt_f32_e64 s8, v37, v33
	v_cndmask_b32_e64 v38, v37, v33, s8
	s_and_b32 s6, s6, s8
	s_delay_alu instid0(VALU_DEP_1) | instskip(NEXT) | instid1(VALU_DEP_1)
	v_cmp_nlt_f32_e64 s9, v38, v11
	v_cndmask_b32_e64 v36, v38, v11, s9
	s_delay_alu instid0(VALU_DEP_1) | instskip(NEXT) | instid1(VALU_DEP_1)
	v_cmp_nlt_f32_e64 s4, v36, v23
	v_cndmask_b32_e64 v34, v36, v23, s4
	s_delay_alu instid0(VALU_DEP_1)
	v_cmp_nlt_f32_e64 s5, v34, v28
	v_cndmask_b32_e64 v31, v13, v35, s7
	s_and_b32 s7, s6, s9
	v_dual_cndmask_b32 v13, v33, v37, s8 :: v_dual_cndmask_b32 v33, v11, v38, s9
	v_cndmask_b32_e64 v35, v34, v28, s5
	v_dual_cndmask_b32 v11, v23, v36, s4 :: v_dual_cndmask_b32 v23, v28, v34, s5
	s_and_b32 s4, s7, s4
	s_delay_alu instid0(SALU_CYCLE_1) | instskip(NEXT) | instid1(VALU_DEP_2)
	s_and_b32 s4, s4, s5
	v_cmp_nlt_f32_e64 s6, v35, v29
	s_and_b32 s4, s4, s6
	v_dual_cndmask_b32 v28, v29, v35, s6 :: v_dual_cndmask_b32 v29, v35, v29, s6
	s_and_b32 s4, s4, s29
	s_delay_alu instid0(SALU_CYCLE_1) | instskip(NEXT) | instid1(SALU_CYCLE_1)
	s_and_b32 s3, s4, s3
	s_and_b32 s3, exec_lo, s3
	s_delay_alu instid0(SALU_CYCLE_1) | instskip(NEXT) | instid1(SALU_CYCLE_1)
	s_or_b32 s28, s3, s28
	s_and_not1_b32 exec_lo, exec_lo, s28
	s_cbranch_execnz .LBB168_118
; %bb.119:                              ;   in Loop: Header=BB168_5 Depth=1
	s_or_b32 exec_lo, exec_lo, s28
	v_add_f32_e32 v16, -1.0, v16
	v_cmp_class_f32_e64 s4, v4, 0x204
	s_delay_alu instid0(VALU_DEP_2) | instskip(NEXT) | instid1(VALU_DEP_1)
	v_add_f32_e32 v16, v16, v17
	v_add_f32_e32 v2, v16, v2
	s_delay_alu instid0(VALU_DEP_1) | instskip(NEXT) | instid1(VALU_DEP_1)
	v_add_f32_e32 v2, v2, v15
	v_add_f32_e32 v2, v2, v30
	s_delay_alu instid0(VALU_DEP_1) | instskip(NEXT) | instid1(VALU_DEP_1)
	;; [unrolled: 3-line block ×5, first 2 shown]
	v_add_f32_e32 v16, v29, v2
	v_add_f32_e32 v29, 1.0, v16
	s_delay_alu instid0(VALU_DEP_1) | instskip(SKIP_2) | instid1(VALU_DEP_2)
	v_cvt_f64_f32_e32 v[30:31], v29
	v_frexp_mant_f32_e32 v11, v29
	v_add_f32_e32 v17, -1.0, v29
	v_cmp_gt_f32_e32 vcc_lo, 0x3f2aaaab, v11
	s_delay_alu instid0(VALU_DEP_2) | instskip(SKIP_1) | instid1(VALU_DEP_1)
	v_mov_b32_e32 v28, v17
	v_frexp_exp_i32_f64_e32 v2, v[30:31]
	v_subrev_co_ci_u32_e64 v2, null, 0, v2, vcc_lo
	s_delay_alu instid0(VALU_DEP_1) | instskip(NEXT) | instid1(VALU_DEP_4)
	v_sub_nc_u32_e32 v11, 0, v2
	v_pk_add_f32 v[30:31], v[16:17], v[28:29] neg_lo:[0,1] neg_hi:[0,1]
	v_cmp_neq_f32_e32 vcc_lo, 0x7f800000, v16
	v_cmp_neq_f32_e64 s3, -1.0, v16
	s_delay_alu instid0(VALU_DEP_4) | instskip(NEXT) | instid1(VALU_DEP_1)
	v_ldexp_f32 v13, v29, v11
	v_dual_add_f32 v15, 1.0, v31 :: v_dual_add_f32 v17, 1.0, v13
	s_delay_alu instid0(VALU_DEP_1) | instskip(NEXT) | instid1(VALU_DEP_2)
	v_dual_add_f32 v33, -1.0, v13 :: v_dual_add_f32 v15, v30, v15
	v_add_f32_e32 v23, -1.0, v17
	s_delay_alu instid0(VALU_DEP_2) | instskip(NEXT) | instid1(VALU_DEP_2)
	v_ldexp_f32 v11, v15, v11
	v_dual_sub_f32 v15, v13, v23 :: v_dual_add_f32 v23, 1.0, v33
	s_delay_alu instid0(VALU_DEP_1) | instskip(NEXT) | instid1(VALU_DEP_1)
	v_sub_f32_e32 v13, v13, v23
	v_dual_add_f32 v15, v11, v15 :: v_dual_add_f32 v11, v11, v13
	s_delay_alu instid0(VALU_DEP_1) | instskip(NEXT) | instid1(VALU_DEP_1)
	v_add_f32_e32 v23, v17, v15
	v_dual_add_f32 v29, v33, v11 :: v_dual_sub_f32 v17, v23, v17
	s_delay_alu instid0(VALU_DEP_1) | instskip(SKIP_2) | instid1(TRANS32_DEP_1)
	v_sub_f32_e32 v15, v15, v17
	v_rcp_f32_e32 v13, v23
	v_nop
	v_mul_f32_e32 v36, v29, v13
	s_delay_alu instid0(VALU_DEP_1) | instskip(NEXT) | instid1(VALU_DEP_1)
	v_mul_f32_e32 v30, v23, v36
	v_fma_f32 v34, v36, v23, -v30
	s_delay_alu instid0(VALU_DEP_1) | instskip(NEXT) | instid1(VALU_DEP_1)
	v_fmac_f32_e32 v34, v36, v15
	v_dual_add_f32 v28, v30, v34 :: v_dual_sub_f32 v17, v29, v33
	s_delay_alu instid0(VALU_DEP_1) | instskip(NEXT) | instid1(VALU_DEP_2)
	v_dual_mov_b32 v35, v28 :: v_dual_sub_f32 v31, v29, v28
	v_sub_f32_e32 v11, v11, v17
	s_delay_alu instid0(VALU_DEP_2) | instskip(NEXT) | instid1(VALU_DEP_1)
	v_pk_add_f32 v[28:29], v[28:29], v[30:31] neg_lo:[0,1] neg_hi:[0,1]
	v_pk_add_f32 v[28:29], v[28:29], v[34:35] neg_lo:[0,1] neg_hi:[0,1]
	s_delay_alu instid0(VALU_DEP_1) | instskip(NEXT) | instid1(VALU_DEP_1)
	v_add_f32_e32 v11, v11, v29
	v_add_f32_e32 v11, v28, v11
	s_delay_alu instid0(VALU_DEP_1) | instskip(NEXT) | instid1(VALU_DEP_1)
	v_add_f32_e32 v29, v31, v11
	v_mul_f32_e32 v17, v13, v29
	s_delay_alu instid0(VALU_DEP_1) | instskip(NEXT) | instid1(VALU_DEP_1)
	v_mul_f32_e32 v34, v23, v17
	v_fma_f32 v30, v17, v23, -v34
	s_delay_alu instid0(VALU_DEP_1) | instskip(NEXT) | instid1(VALU_DEP_1)
	v_fmac_f32_e32 v30, v17, v15
	v_dual_add_f32 v28, v34, v30 :: v_dual_sub_f32 v15, v31, v29
	s_delay_alu instid0(VALU_DEP_1) | instskip(NEXT) | instid1(VALU_DEP_2)
	v_dual_sub_f32 v35, v29, v28 :: v_dual_mov_b32 v31, v28
	v_dual_add_f32 v11, v11, v15 :: v_dual_add_f32 v15, v36, v17
	s_delay_alu instid0(VALU_DEP_2) | instskip(NEXT) | instid1(VALU_DEP_2)
	v_pk_add_f32 v[28:29], v[28:29], v[34:35] neg_lo:[0,1] neg_hi:[0,1]
	v_sub_f32_e32 v23, v15, v36
	s_delay_alu instid0(VALU_DEP_2) | instskip(NEXT) | instid1(VALU_DEP_1)
	v_pk_add_f32 v[28:29], v[28:29], v[30:31] neg_lo:[0,1] neg_hi:[0,1]
	v_dual_sub_f32 v17, v17, v23 :: v_dual_add_f32 v11, v11, v29
	s_delay_alu instid0(VALU_DEP_1) | instskip(SKIP_1) | instid1(VALU_DEP_2)
	v_add_f32_e32 v11, v28, v11
	v_cvt_f32_i32_e32 v28, v2
	v_add_f32_e32 v11, v35, v11
	s_delay_alu instid0(VALU_DEP_1) | instskip(NEXT) | instid1(VALU_DEP_1)
	v_mul_f32_e32 v11, v13, v11
	v_add_f32_e32 v11, v17, v11
	s_delay_alu instid0(VALU_DEP_1) | instskip(NEXT) | instid1(VALU_DEP_1)
	v_add_f32_e32 v13, v15, v11
	v_mul_f32_e32 v17, v13, v13
	s_delay_alu instid0(VALU_DEP_1) | instskip(SKIP_1) | instid1(VALU_DEP_2)
	v_fmaak_f32 v23, s19, v17, 0x3ecc95a3
	v_mul_f32_e32 v29, v13, v17
	v_fmaak_f32 v23, v17, v23, 0x3f2aaada
	s_delay_alu instid0(VALU_DEP_1) | instskip(NEXT) | instid1(VALU_DEP_1)
	v_pk_mul_f32 v[30:31], v[28:29], v[22:23]
	v_fma_f32 v34, 0x3f317218, v28, -v30
	v_mov_b32_e32 v36, v30
	v_ldexp_f32 v35, v13, 1
	v_sub_f32_e32 v2, v13, v15
	s_delay_alu instid0(VALU_DEP_4) | instskip(NEXT) | instid1(VALU_DEP_2)
	v_fmac_f32_e32 v34, 0xb102e308, v28
	v_sub_f32_e32 v2, v11, v2
	s_delay_alu instid0(VALU_DEP_2) | instskip(NEXT) | instid1(VALU_DEP_2)
	v_pk_add_f32 v[28:29], v[30:31], v[34:35]
	v_ldexp_f32 v2, v2, 1
	s_delay_alu instid0(VALU_DEP_2) | instskip(NEXT) | instid1(VALU_DEP_1)
	v_dual_sub_f32 v11, v29, v35 :: v_dual_mov_b32 v35, v28
	v_sub_f32_e32 v11, v31, v11
	v_pk_add_f32 v[30:31], v[28:29], v[30:31] neg_lo:[0,1] neg_hi:[0,1]
	s_delay_alu instid0(VALU_DEP_2) | instskip(SKIP_2) | instid1(VALU_DEP_3)
	v_add_f32_e32 v37, v2, v11
	v_max_num_f32_e64 v2, |v5|, |v5|
	v_max_num_f32_e64 v11, |v4|, |v4|
	v_pk_add_f32 v[38:39], v[28:29], v[36:37]
	s_delay_alu instid0(VALU_DEP_2) | instskip(NEXT) | instid1(VALU_DEP_2)
	v_dual_max_num_f32 v13, v11, v2 :: v_dual_min_num_f32 v11, v11, v2
	v_mov_b32_e32 v31, v39
	s_delay_alu instid0(VALU_DEP_2) | instskip(SKIP_1) | instid1(VALU_DEP_4)
	v_frexp_exp_i32_f32_e32 v15, v13
	v_frexp_mant_f32_e32 v13, v13
	v_frexp_exp_i32_f32_e32 v17, v11
	s_delay_alu instid0(VALU_DEP_4)
	v_pk_add_f32 v[40:41], v[34:35], v[30:31]
	v_frexp_mant_f32_e32 v23, v11
	v_mov_b32_e32 v40, v39
	v_rcp_f32_e32 v13, v13
	v_sub_nc_u32_e32 v15, v17, v15
	v_mov_b32_e32 v2, v41
	v_pk_add_f32 v[30:31], v[34:35], v[30:31] neg_lo:[0,1] neg_hi:[0,1]
	s_delay_alu instid0(VALU_DEP_2) | instskip(SKIP_1) | instid1(TRANS32_DEP_1)
	v_pk_add_f32 v[42:43], v[2:3], v[28:29] neg_lo:[0,1] neg_hi:[0,1]
	v_dual_mov_b32 v44, v29 :: v_dual_mov_b32 v29, v28
	v_dual_mov_b32 v28, v37 :: v_dual_mul_f32 v13, v23, v13
	s_delay_alu instid0(VALU_DEP_3) | instskip(NEXT) | instid1(VALU_DEP_1)
	v_dual_mov_b32 v11, v42 :: v_dual_mov_b32 v45, v42
	v_pk_add_f32 v[36:37], v[38:39], v[10:11] neg_lo:[0,1] neg_hi:[0,1]
	s_delay_alu instid0(VALU_DEP_2) | instskip(NEXT) | instid1(VALU_DEP_4)
	v_pk_add_f32 v[34:35], v[40:41], v[44:45] neg_lo:[0,1] neg_hi:[0,1]
	v_ldexp_f32 v11, v13, v15
	v_mov_b32_e32 v36, v30
	s_delay_alu instid0(VALU_DEP_3) | instskip(NEXT) | instid1(VALU_DEP_3)
	v_pk_add_f32 v[28:29], v[28:29], v[34:35] neg_lo:[0,1] neg_hi:[0,1]
	v_mul_f32_e32 v13, v11, v11
	s_delay_alu instid0(VALU_DEP_2) | instskip(NEXT) | instid1(VALU_DEP_1)
	v_pk_add_f32 v[34:35], v[36:37], v[28:29]
	v_dual_fmaak_f32 v15, s20, v13, 0xbc7a590c :: v_dual_mov_b32 v36, v35
	s_delay_alu instid0(VALU_DEP_1) | instskip(NEXT) | instid1(VALU_DEP_2)
	v_fmaak_f32 v15, v13, v15, 0x3d29fb3f
	v_pk_add_f32 v[36:37], v[34:35], v[36:37]
	s_delay_alu instid0(VALU_DEP_1) | instskip(NEXT) | instid1(VALU_DEP_2)
	v_dual_mov_b32 v31, v41 :: v_dual_mov_b32 v29, v36
	v_pk_add_f32 v[38:39], v[2:3], v[36:37]
	s_delay_alu instid0(VALU_DEP_1) | instskip(NEXT) | instid1(VALU_DEP_1)
	v_dual_fmaak_f32 v2, v13, v15, 0xbd97d4d7 :: v_dual_mov_b32 v35, v38
	v_pk_add_f32 v[40:41], v[34:35], v[30:31] neg_lo:[0,1] neg_hi:[0,1]
	s_delay_alu instid0(VALU_DEP_1) | instskip(NEXT) | instid1(VALU_DEP_1)
	v_dual_fmaak_f32 v2, v13, v2, 0x3dd931b2 :: v_dual_sub_f32 v15, v34, v40
	v_fmaak_f32 v2, v13, v2, 0xbe1160e6
	s_delay_alu instid0(VALU_DEP_3) | instskip(NEXT) | instid1(VALU_DEP_2)
	v_pk_add_f32 v[28:29], v[28:29], v[40:41] neg_lo:[0,1] neg_hi:[0,1]
	v_dual_sub_f32 v15, v30, v15 :: v_dual_fmaak_f32 v2, v13, v2, 0x3e4cb8bf
	s_delay_alu instid0(VALU_DEP_1) | instskip(NEXT) | instid1(VALU_DEP_1)
	v_dual_add_f32 v15, v28, v15 :: v_dual_fmaak_f32 v2, v13, v2, 0xbeaaaa62
	v_dual_mul_f32 v2, v13, v2 :: v_dual_add_f32 v13, v15, v29
	s_delay_alu instid0(VALU_DEP_1) | instskip(NEXT) | instid1(VALU_DEP_1)
	v_dual_fmac_f32 v11, v11, v2 :: v_dual_add_f32 v2, v38, v13
	v_sub_f32_e32 v13, 0x3fc90fdb, v11
	s_delay_alu instid0(VALU_DEP_2) | instskip(SKIP_1) | instid1(VALU_DEP_3)
	v_cndmask_b32_e32 v2, 0x7f800000, v2, vcc_lo
	v_cmp_gt_i32_e32 vcc_lo, 0, v4
	v_cndmask_b32_e64 v11, v11, v13, s2
	v_cndmask_b32_e64 v13, 0, 0x40490fdb, vcc_lo
	v_cmp_ngt_f32_e32 vcc_lo, -1.0, v16
	s_delay_alu instid0(VALU_DEP_3) | instskip(SKIP_2) | instid1(VALU_DEP_2)
	v_sub_f32_e32 v15, 0x40490fdb, v11
	v_cndmask_b32_e32 v2, 0x7fc00000, v2, vcc_lo
	v_cmp_gt_f32_e32 vcc_lo, 0, v4
	v_cndmask_b32_e64 v2, 0xff800000, v2, s3
	s_delay_alu instid0(VALU_DEP_4)
	v_cndmask_b32_e32 v11, v11, v15, vcc_lo
	v_cndmask_b32_e32 v15, 0x3f490fdb, v32, vcc_lo
	v_cmp_gt_f32_e64 vcc_lo, 0x33800000, |v16|
	v_cmp_class_f32_e64 s3, v5, 0x204
	v_cndmask_b32_e32 v2, v2, v16, vcc_lo
	v_cmp_eq_f32_e32 vcc_lo, 0, v5
	s_delay_alu instid0(VALU_DEP_2) | instskip(SKIP_1) | instid1(VALU_DEP_1)
	v_dual_mul_f32 v16, 0.5, v2 :: v_dual_cndmask_b32 v11, v11, v13
	s_and_b32 vcc_lo, s4, s3
	v_cndmask_b32_e32 v2, v11, v15, vcc_lo
.LBB168_120:                            ;   in Loop: Header=BB168_5 Depth=1
	s_or_b32 exec_lo, exec_lo, s27
.LBB168_121:                            ;   in Loop: Header=BB168_5 Depth=1
	s_delay_alu instid0(SALU_CYCLE_1)
	s_or_b32 exec_lo, exec_lo, s26
.LBB168_122:                            ;   in Loop: Header=BB168_5 Depth=1
	s_and_not1_saveexec_b32 s4, s25
	s_cbranch_execz .LBB168_124
; %bb.123:                              ;   in Loop: Header=BB168_5 Depth=1
	v_max_num_f32_e64 v2, |v5|, |v5|
	v_max_num_f32_e64 v11, |v4|, |v4|
	v_cmp_gt_i32_e64 s3, 0, v4
	v_cmp_class_f32_e64 s5, v4, 0x204
	v_cmp_class_f32_e64 s6, v5, 0x204
	s_delay_alu instid0(VALU_DEP_4) | instskip(NEXT) | instid1(VALU_DEP_1)
	v_dual_max_num_f32 v13, v11, v2 :: v_dual_min_num_f32 v2, v11, v2
	v_cvt_f64_f32_e32 v[16:17], v13
	v_frexp_exp_i32_f32_e32 v11, v13
	v_cmp_neq_f32_e32 vcc_lo, 0x7f800000, v13
	s_delay_alu instid0(VALU_DEP_3) | instskip(SKIP_3) | instid1(VALU_DEP_3)
	v_frexp_exp_i32_f64_e32 v15, v[16:17]
	v_frexp_mant_f32_e32 v16, v13
	v_frexp_exp_i32_f32_e32 v17, v2
	v_frexp_mant_f32_e32 v2, v2
	v_rcp_f32_e32 v16, v16
	v_nop
	s_delay_alu instid0(TRANS32_DEP_1) | instskip(NEXT) | instid1(VALU_DEP_1)
	v_dual_mul_f32 v2, v2, v16 :: v_dual_sub_nc_u32 v11, v17, v11
	v_ldexp_f32 v2, v2, v11
	s_delay_alu instid0(VALU_DEP_1) | instskip(NEXT) | instid1(VALU_DEP_1)
	v_mul_f32_e32 v16, v2, v2
	v_fmaak_f32 v23, s20, v16, 0xbc7a590c
	v_sub_nc_u32_e32 v11, 0, v15
	s_delay_alu instid0(VALU_DEP_2) | instskip(NEXT) | instid1(VALU_DEP_2)
	v_fmaak_f32 v23, v16, v23, 0x3d29fb3f
	v_ldexp_f32 v17, |v5|, v11
	v_ldexp_f32 v11, |v4|, v11
	s_delay_alu instid0(VALU_DEP_2) | instskip(NEXT) | instid1(VALU_DEP_1)
	v_mul_f32_e32 v17, v17, v17
	v_fmac_f32_e32 v17, v11, v11
	v_fmaak_f32 v11, v16, v23, 0xbd97d4d7
	s_delay_alu instid0(VALU_DEP_2) | instskip(NEXT) | instid1(VALU_DEP_1)
	v_sqrt_f32_e32 v17, v17
	v_fmaak_f32 v11, v16, v11, 0x3dd931b2
	s_delay_alu instid0(VALU_DEP_1) | instskip(NEXT) | instid1(TRANS32_DEP_1)
	v_fmaak_f32 v11, v16, v11, 0xbe1160e6
	v_ldexp_f32 v15, v17, v15
	s_delay_alu instid0(VALU_DEP_2) | instskip(NEXT) | instid1(VALU_DEP_2)
	v_fmaak_f32 v11, v16, v11, 0x3e4cb8bf
	v_cndmask_b32_e32 v13, 0x7f800000, v15, vcc_lo
	s_delay_alu instid0(VALU_DEP_2) | instskip(NEXT) | instid1(VALU_DEP_2)
	v_fmaak_f32 v11, v16, v11, 0xbeaaaa62
	v_cmp_gt_f32_e32 vcc_lo, 0x800000, v13
	s_delay_alu instid0(VALU_DEP_2) | instskip(SKIP_1) | instid1(VALU_DEP_2)
	v_mul_f32_e32 v11, v16, v11
	v_cndmask_b32_e64 v15, 0, 32, vcc_lo
	v_fmac_f32_e32 v2, v2, v11
	s_delay_alu instid0(VALU_DEP_2) | instskip(NEXT) | instid1(VALU_DEP_2)
	v_ldexp_f32 v13, v13, v15
	v_sub_f32_e32 v15, 0x3fc90fdb, v2
	s_delay_alu instid0(VALU_DEP_2) | instskip(NEXT) | instid1(VALU_DEP_1)
	v_log_f32_e32 v13, v13
	v_cndmask_b32_e64 v2, v2, v15, s2
	v_cndmask_b32_e64 v15, 0, 0x40490fdb, s3
	v_cmp_gt_f32_e64 s3, 0, v4
	s_delay_alu instid0(VALU_DEP_3) | instskip(NEXT) | instid1(VALU_DEP_2)
	v_sub_f32_e32 v16, 0x40490fdb, v2
	v_cndmask_b32_e64 v17, 0x3f490fdb, v32, s3
	s_delay_alu instid0(VALU_DEP_2) | instskip(SKIP_3) | instid1(VALU_DEP_3)
	v_cndmask_b32_e64 v2, v2, v16, s3
	v_mul_f32_e32 v11, 0x3f317217, v13
	v_cndmask_b32_e64 v16, 0, 0x41b17218, vcc_lo
	v_cmp_gt_f32_e64 vcc_lo, 0x7f800000, |v13|
	v_fma_f32 v11, 0x3f317217, v13, -v11
	s_delay_alu instid0(VALU_DEP_1) | instskip(NEXT) | instid1(VALU_DEP_1)
	v_fmac_f32_e32 v11, 0x3377d1cf, v13
	v_fmac_f32_e32 v11, 0x3f317217, v13
	s_delay_alu instid0(VALU_DEP_1) | instskip(SKIP_1) | instid1(VALU_DEP_2)
	v_cndmask_b32_e32 v11, v13, v11, vcc_lo
	v_cmp_eq_f32_e32 vcc_lo, 0, v5
	v_dual_sub_f32 v16, v11, v16 :: v_dual_cndmask_b32 v2, v2, v15, vcc_lo
	s_and_b32 vcc_lo, s5, s6
	s_delay_alu instid0(VALU_DEP_1)
	v_cndmask_b32_e32 v2, v2, v17, vcc_lo
.LBB168_124:                            ;   in Loop: Header=BB168_5 Depth=1
	s_or_b32 exec_lo, exec_lo, s4
                                        ; implicit-def: $vgpr28
.LBB168_125:                            ;   in Loop: Header=BB168_5 Depth=1
	s_and_not1_saveexec_b32 s4, s24
	s_cbranch_execz .LBB168_131
; %bb.126:                              ;   in Loop: Header=BB168_5 Depth=1
                                        ; implicit-def: $vgpr2
	s_mov_b32 s3, exec_lo
	v_cmpx_ngt_f32_e32 0x1fec1e4a, v28
	s_xor_b32 s5, exec_lo, s3
	s_cbranch_execz .LBB168_128
; %bb.127:                              ;   in Loop: Header=BB168_5 Depth=1
	v_pk_mul_f32 v[16:17], v[28:29], v[28:29]
	v_cmp_class_f32_e64 s6, v4, 0x204
	s_delay_alu instid0(VALU_DEP_2) | instskip(SKIP_1) | instid1(VALU_DEP_2)
	v_add_f32_e32 v29, 1.0, v16
	v_cmp_neq_f32_e64 s3, 0x7f800000, v16
	v_add_f32_e32 v17, -1.0, v29
	s_delay_alu instid0(VALU_DEP_1) | instskip(SKIP_2) | instid1(VALU_DEP_1)
	v_mov_b32_e32 v28, v17
	v_cvt_f64_f32_e32 v[30:31], v29
	v_frexp_mant_f32_e32 v11, v29
	v_cmp_gt_f32_e32 vcc_lo, 0x3f2aaaab, v11
	s_delay_alu instid0(VALU_DEP_3) | instskip(NEXT) | instid1(VALU_DEP_1)
	v_frexp_exp_i32_f64_e32 v2, v[30:31]
	v_subrev_co_ci_u32_e64 v2, null, 0, v2, vcc_lo
	v_cmp_gt_i32_e32 vcc_lo, 0, v4
	s_delay_alu instid0(VALU_DEP_2) | instskip(SKIP_1) | instid1(VALU_DEP_2)
	v_sub_nc_u32_e32 v11, 0, v2
	v_pk_add_f32 v[30:31], v[16:17], v[28:29] neg_lo:[0,1] neg_hi:[0,1]
	v_ldexp_f32 v13, v29, v11
	s_delay_alu instid0(VALU_DEP_1) | instskip(NEXT) | instid1(VALU_DEP_1)
	v_dual_add_f32 v15, 1.0, v31 :: v_dual_add_f32 v17, 1.0, v13
	v_dual_add_f32 v15, v30, v15 :: v_dual_add_f32 v23, -1.0, v17
	v_add_f32_e32 v33, -1.0, v13
	s_delay_alu instid0(VALU_DEP_2) | instskip(NEXT) | instid1(VALU_DEP_2)
	v_ldexp_f32 v11, v15, v11
	v_dual_sub_f32 v15, v13, v23 :: v_dual_add_f32 v23, 1.0, v33
	s_delay_alu instid0(VALU_DEP_1) | instskip(NEXT) | instid1(VALU_DEP_2)
	v_add_f32_e32 v15, v11, v15
	v_sub_f32_e32 v13, v13, v23
	s_delay_alu instid0(VALU_DEP_1) | instskip(NEXT) | instid1(VALU_DEP_1)
	v_dual_add_f32 v23, v17, v15 :: v_dual_add_f32 v11, v11, v13
	v_rcp_f32_e32 v13, v23
	v_sub_f32_e32 v17, v17, v23
	s_delay_alu instid0(VALU_DEP_1)
	v_dual_add_f32 v29, v33, v11 :: v_dual_add_f32 v15, v15, v17
	s_delay_alu instid0(TRANS32_DEP_1) | instid1(VALU_DEP_1)
	v_mul_f32_e32 v36, v29, v13
	s_delay_alu instid0(VALU_DEP_1) | instskip(NEXT) | instid1(VALU_DEP_1)
	v_mul_f32_e32 v30, v23, v36
	v_fma_f32 v34, v36, v23, -v30
	s_delay_alu instid0(VALU_DEP_1) | instskip(NEXT) | instid1(VALU_DEP_1)
	v_fmac_f32_e32 v34, v36, v15
	v_dual_add_f32 v28, v30, v34 :: v_dual_sub_f32 v17, v33, v29
	s_delay_alu instid0(VALU_DEP_1) | instskip(NEXT) | instid1(VALU_DEP_2)
	v_dual_mov_b32 v35, v28 :: v_dual_sub_f32 v31, v29, v28
	v_add_f32_e32 v11, v11, v17
	s_delay_alu instid0(VALU_DEP_2) | instskip(NEXT) | instid1(VALU_DEP_1)
	v_pk_add_f32 v[28:29], v[28:29], v[30:31] neg_lo:[0,1] neg_hi:[0,1]
	v_pk_add_f32 v[28:29], v[28:29], v[34:35] neg_lo:[0,1] neg_hi:[0,1]
	s_delay_alu instid0(VALU_DEP_1) | instskip(NEXT) | instid1(VALU_DEP_1)
	v_add_f32_e32 v11, v11, v29
	v_add_f32_e32 v11, v28, v11
	s_delay_alu instid0(VALU_DEP_1) | instskip(NEXT) | instid1(VALU_DEP_1)
	v_add_f32_e32 v29, v31, v11
	v_mul_f32_e32 v17, v13, v29
	s_delay_alu instid0(VALU_DEP_1) | instskip(NEXT) | instid1(VALU_DEP_1)
	v_mul_f32_e32 v34, v23, v17
	v_fma_f32 v30, v17, v23, -v34
	s_delay_alu instid0(VALU_DEP_1) | instskip(NEXT) | instid1(VALU_DEP_1)
	v_fmac_f32_e32 v30, v17, v15
	v_dual_add_f32 v28, v34, v30 :: v_dual_sub_f32 v15, v31, v29
	s_delay_alu instid0(VALU_DEP_1) | instskip(NEXT) | instid1(VALU_DEP_2)
	v_dual_sub_f32 v35, v29, v28 :: v_dual_mov_b32 v31, v28
	v_dual_add_f32 v11, v11, v15 :: v_dual_add_f32 v15, v36, v17
	s_delay_alu instid0(VALU_DEP_2) | instskip(NEXT) | instid1(VALU_DEP_2)
	v_pk_add_f32 v[28:29], v[28:29], v[34:35] neg_lo:[0,1] neg_hi:[0,1]
	v_sub_f32_e32 v23, v15, v36
	s_delay_alu instid0(VALU_DEP_2) | instskip(NEXT) | instid1(VALU_DEP_1)
	v_pk_add_f32 v[28:29], v[28:29], v[30:31] neg_lo:[0,1] neg_hi:[0,1]
	v_dual_sub_f32 v17, v17, v23 :: v_dual_add_f32 v11, v11, v29
	s_delay_alu instid0(VALU_DEP_1) | instskip(SKIP_1) | instid1(VALU_DEP_2)
	v_add_f32_e32 v11, v28, v11
	v_cvt_f32_i32_e32 v28, v2
	v_add_f32_e32 v11, v35, v11
	s_delay_alu instid0(VALU_DEP_1) | instskip(NEXT) | instid1(VALU_DEP_1)
	v_mul_f32_e32 v11, v13, v11
	v_add_f32_e32 v11, v17, v11
	s_delay_alu instid0(VALU_DEP_1) | instskip(NEXT) | instid1(VALU_DEP_1)
	v_add_f32_e32 v13, v15, v11
	v_mul_f32_e32 v17, v13, v13
	s_delay_alu instid0(VALU_DEP_1) | instskip(SKIP_1) | instid1(VALU_DEP_2)
	v_fmaak_f32 v23, s19, v17, 0x3ecc95a3
	v_mul_f32_e32 v29, v13, v17
	v_fmaak_f32 v23, v17, v23, 0x3f2aaada
	s_delay_alu instid0(VALU_DEP_1) | instskip(NEXT) | instid1(VALU_DEP_1)
	v_pk_mul_f32 v[30:31], v[28:29], v[22:23]
	v_fma_f32 v34, 0x3f317218, v28, -v30
	v_mov_b32_e32 v36, v30
	v_ldexp_f32 v35, v13, 1
	v_sub_f32_e32 v2, v13, v15
	v_max_num_f32_e64 v13, |v5|, |v5|
	v_fmac_f32_e32 v34, 0xb102e308, v28
	v_max_num_f32_e64 v15, |v4|, |v4|
	s_delay_alu instid0(VALU_DEP_4) | instskip(NEXT) | instid1(VALU_DEP_3)
	v_sub_f32_e32 v2, v11, v2
	v_pk_add_f32 v[28:29], v[30:31], v[34:35]
	s_delay_alu instid0(VALU_DEP_2) | instskip(NEXT) | instid1(VALU_DEP_2)
	v_ldexp_f32 v2, v2, 1
	v_dual_sub_f32 v11, v29, v35 :: v_dual_mov_b32 v44, v29
	s_delay_alu instid0(VALU_DEP_1) | instskip(SKIP_1) | instid1(VALU_DEP_2)
	v_dual_mov_b32 v35, v28 :: v_dual_sub_f32 v11, v31, v11
	v_pk_add_f32 v[30:31], v[28:29], v[30:31] neg_lo:[0,1] neg_hi:[0,1]
	v_dual_add_f32 v37, v2, v11 :: v_dual_max_num_f32 v2, v15, v13
	s_delay_alu instid0(VALU_DEP_1) | instskip(NEXT) | instid1(VALU_DEP_2)
	v_pk_add_f32 v[38:39], v[28:29], v[36:37]
	v_frexp_mant_f32_e32 v11, v2
	s_delay_alu instid0(VALU_DEP_2) | instskip(NEXT) | instid1(VALU_DEP_2)
	v_mov_b32_e32 v31, v39
	v_rcp_f32_e32 v11, v11
	s_delay_alu instid0(VALU_DEP_1) | instskip(SKIP_3) | instid1(VALU_DEP_4)
	v_pk_add_f32 v[40:41], v[34:35], v[30:31]
	v_min_num_f32_e32 v13, v15, v13
	v_frexp_exp_i32_f32_e32 v15, v2
	v_pk_add_f32 v[30:31], v[34:35], v[30:31] neg_lo:[0,1] neg_hi:[0,1]
	v_dual_mov_b32 v40, v39 :: v_dual_mov_b32 v2, v41
	s_delay_alu instid0(VALU_DEP_4) | instskip(SKIP_1) | instid1(VALU_DEP_3)
	v_frexp_exp_i32_f32_e32 v17, v13
	v_frexp_mant_f32_e32 v13, v13
	v_pk_add_f32 v[42:43], v[2:3], v[28:29] neg_lo:[0,1] neg_hi:[0,1]
	s_delay_alu instid0(VALU_DEP_3) | instskip(NEXT) | instid1(VALU_DEP_3)
	v_sub_nc_u32_e32 v15, v17, v15
	v_dual_mul_f32 v11, v13, v11 :: v_dual_mov_b32 v29, v28
	s_delay_alu instid0(VALU_DEP_3) | instskip(NEXT) | instid1(VALU_DEP_2)
	v_dual_mov_b32 v28, v37 :: v_dual_mov_b32 v45, v42
	v_ldexp_f32 v13, v11, v15
	v_mov_b32_e32 v11, v42
	s_delay_alu instid0(VALU_DEP_3) | instskip(NEXT) | instid1(VALU_DEP_3)
	v_pk_add_f32 v[34:35], v[40:41], v[44:45] neg_lo:[0,1] neg_hi:[0,1]
	v_mul_f32_e32 v15, v13, v13
	s_delay_alu instid0(VALU_DEP_3) | instskip(SKIP_1) | instid1(VALU_DEP_4)
	v_pk_add_f32 v[36:37], v[38:39], v[10:11] neg_lo:[0,1] neg_hi:[0,1]
	v_mov_b32_e32 v36, v30
	v_pk_add_f32 v[28:29], v[28:29], v[34:35] neg_lo:[0,1] neg_hi:[0,1]
	s_delay_alu instid0(VALU_DEP_1) | instskip(NEXT) | instid1(VALU_DEP_1)
	v_pk_add_f32 v[34:35], v[36:37], v[28:29]
	v_dual_fmaak_f32 v11, s20, v15, 0xbc7a590c :: v_dual_mov_b32 v36, v35
	s_delay_alu instid0(VALU_DEP_1) | instskip(NEXT) | instid1(VALU_DEP_2)
	v_fmaak_f32 v11, v15, v11, 0x3d29fb3f
	v_pk_add_f32 v[36:37], v[34:35], v[36:37]
	s_delay_alu instid0(VALU_DEP_1) | instskip(SKIP_1) | instid1(VALU_DEP_2)
	v_pk_add_f32 v[38:39], v[2:3], v[36:37]
	v_dual_mov_b32 v31, v41 :: v_dual_mov_b32 v29, v36
	v_mov_b32_e32 v35, v38
	s_delay_alu instid0(VALU_DEP_1) | instskip(NEXT) | instid1(VALU_DEP_1)
	v_pk_add_f32 v[40:41], v[34:35], v[30:31] neg_lo:[0,1] neg_hi:[0,1]
	v_pk_add_f32 v[28:29], v[28:29], v[40:41] neg_lo:[0,1] neg_hi:[0,1]
	v_fmaak_f32 v11, v15, v11, 0xbd97d4d7
	s_delay_alu instid0(VALU_DEP_1) | instskip(NEXT) | instid1(VALU_DEP_1)
	v_fmaak_f32 v11, v15, v11, 0x3dd931b2
	v_dual_fmaak_f32 v2, v15, v11, 0xbe1160e6 :: v_dual_sub_f32 v11, v34, v40
	s_delay_alu instid0(VALU_DEP_1) | instskip(NEXT) | instid1(VALU_DEP_1)
	v_dual_fmaak_f32 v2, v15, v2, 0x3e4cb8bf :: v_dual_sub_f32 v11, v30, v11
	v_fmaak_f32 v2, v15, v2, 0xbeaaaa62
	s_delay_alu instid0(VALU_DEP_1) | instskip(NEXT) | instid1(VALU_DEP_1)
	v_mul_f32_e32 v2, v15, v2
	v_dual_fmac_f32 v13, v13, v2 :: v_dual_add_f32 v2, v28, v11
                                        ; implicit-def: $vgpr28
	s_delay_alu instid0(VALU_DEP_1) | instskip(NEXT) | instid1(VALU_DEP_2)
	v_sub_f32_e32 v11, 0x3fc90fdb, v13
	v_add_f32_e32 v2, v2, v29
	s_delay_alu instid0(VALU_DEP_1) | instskip(NEXT) | instid1(VALU_DEP_1)
	v_add_f32_e32 v2, v38, v2
	v_cndmask_b32_e64 v2, 0x7f800000, v2, s3
	s_delay_alu instid0(VALU_DEP_4) | instskip(SKIP_3) | instid1(VALU_DEP_4)
	v_cndmask_b32_e64 v11, v13, v11, s2
	v_cndmask_b32_e64 v13, 0, 0x40490fdb, vcc_lo
	v_cmp_gt_f32_e32 vcc_lo, 0, v4
	v_cmp_class_f32_e64 s3, v5, 0x204
	v_sub_f32_e32 v15, 0x40490fdb, v11
	s_delay_alu instid0(VALU_DEP_1) | instskip(SKIP_4) | instid1(VALU_DEP_2)
	v_cndmask_b32_e32 v11, v11, v15, vcc_lo
	v_cndmask_b32_e32 v15, 0x3f490fdb, v32, vcc_lo
	v_cmp_gt_f32_e64 vcc_lo, 0x33800000, |v16|
	v_cndmask_b32_e32 v2, v2, v16, vcc_lo
	v_cmp_eq_f32_e32 vcc_lo, 0, v5
	v_dual_mul_f32 v16, 0.5, v2 :: v_dual_cndmask_b32 v11, v11, v13
	s_and_b32 vcc_lo, s6, s3
	s_delay_alu instid0(VALU_DEP_1)
	v_cndmask_b32_e32 v2, v11, v15, vcc_lo
.LBB168_128:                            ;   in Loop: Header=BB168_5 Depth=1
	s_and_not1_saveexec_b32 s5, s5
	s_cbranch_execz .LBB168_130
; %bb.129:                              ;   in Loop: Header=BB168_5 Depth=1
	v_max_num_f32_e64 v2, |v5|, |v5|
	v_max_num_f32_e64 v11, |v4|, |v4|
	v_cmp_eq_f32_e64 s3, 0, v5
	v_cmp_gt_i32_e32 vcc_lo, 0, v4
	v_cmp_class_f32_e64 s6, v4, 0x204
	v_cmp_class_f32_e64 s7, v5, 0x204
	v_dual_max_num_f32 v13, v11, v2 :: v_dual_min_num_f32 v2, v11, v2
	s_delay_alu instid0(VALU_DEP_1) | instskip(SKIP_1) | instid1(VALU_DEP_2)
	v_frexp_mant_f32_e32 v15, v13
	v_frexp_exp_i32_f32_e32 v11, v13
	v_rcp_f32_e32 v13, v15
	v_nop
	v_frexp_exp_i32_f32_e32 v15, v2
	v_frexp_mant_f32_e32 v2, v2
	s_delay_alu instid0(TRANS32_DEP_1) | instid1(VALU_DEP_1)
	v_dual_mul_f32 v2, v2, v13 :: v_dual_sub_nc_u32 v11, v15, v11
	s_delay_alu instid0(VALU_DEP_1) | instskip(NEXT) | instid1(VALU_DEP_1)
	v_ldexp_f32 v2, v2, v11
	v_mul_f32_e32 v11, v2, v2
	s_delay_alu instid0(VALU_DEP_1) | instskip(NEXT) | instid1(VALU_DEP_1)
	v_fmaak_f32 v13, s20, v11, 0xbc7a590c
	v_fmaak_f32 v13, v11, v13, 0x3d29fb3f
	s_delay_alu instid0(VALU_DEP_1) | instskip(NEXT) | instid1(VALU_DEP_1)
	v_fmaak_f32 v13, v11, v13, 0xbd97d4d7
	v_fmaak_f32 v13, v11, v13, 0x3dd931b2
	s_delay_alu instid0(VALU_DEP_1) | instskip(NEXT) | instid1(VALU_DEP_1)
	v_fmaak_f32 v13, v11, v13, 0xbe1160e6
	v_fmaak_f32 v13, v11, v13, 0x3e4cb8bf
	s_delay_alu instid0(VALU_DEP_1) | instskip(NEXT) | instid1(VALU_DEP_1)
	v_fmaak_f32 v13, v11, v13, 0xbeaaaa62
	v_mul_f32_e32 v11, v11, v13
	v_cndmask_b32_e64 v13, 0, 0x40490fdb, vcc_lo
	v_cmp_gt_f32_e32 vcc_lo, 0, v4
	s_delay_alu instid0(VALU_DEP_3) | instskip(NEXT) | instid1(VALU_DEP_1)
	v_fmac_f32_e32 v2, v2, v11
	v_sub_f32_e32 v11, 0x3fc90fdb, v2
	s_delay_alu instid0(VALU_DEP_1) | instskip(NEXT) | instid1(VALU_DEP_1)
	v_cndmask_b32_e64 v2, v2, v11, s2
	v_sub_f32_e32 v11, 0x40490fdb, v2
	s_delay_alu instid0(VALU_DEP_1) | instskip(NEXT) | instid1(VALU_DEP_1)
	v_dual_cndmask_b32 v2, v2, v11 :: v_dual_mul_f32 v11, 0.5, v28
	v_cndmask_b32_e64 v2, v2, v13, s3
	v_cndmask_b32_e32 v13, 0x3f490fdb, v32, vcc_lo
	s_and_b32 vcc_lo, s6, s7
	s_delay_alu instid0(VALU_DEP_1) | instid1(SALU_CYCLE_1)
	v_dual_mul_f32 v16, v28, v11 :: v_dual_cndmask_b32 v2, v2, v13, vcc_lo
.LBB168_130:                            ;   in Loop: Header=BB168_5 Depth=1
	s_or_b32 exec_lo, exec_lo, s5
.LBB168_131:                            ;   in Loop: Header=BB168_5 Depth=1
	s_delay_alu instid0(SALU_CYCLE_1)
	s_or_b32 exec_lo, exec_lo, s4
.LBB168_132:                            ;   in Loop: Header=BB168_5 Depth=1
	s_and_not1_saveexec_b32 s4, s23
	s_cbranch_execz .LBB168_134
; %bb.133:                              ;   in Loop: Header=BB168_5 Depth=1
	v_div_scale_f32 v2, null, 0x402df854, 0x402df854, v4
	v_div_scale_f32 v11, null, 0x402df854, 0x402df854, v5
	v_div_scale_f32 v23, vcc_lo, v4, 0x402df854, v4
	s_delay_alu instid0(VALU_DEP_3) | instskip(NEXT) | instid1(VALU_DEP_2)
	v_rcp_f32_e32 v13, v2
	v_rcp_f32_e32 v15, v11
	v_cmp_class_f32_e64 s5, v5, 0x204
	s_delay_alu instid0(TRANS32_DEP_2) | instskip(NEXT) | instid1(TRANS32_DEP_1)
	v_fma_f32 v16, -v2, v13, 1.0
	v_fma_f32 v17, -v11, v15, 1.0
	s_delay_alu instid0(VALU_DEP_1) | instskip(SKIP_1) | instid1(VALU_DEP_1)
	v_dual_fmac_f32 v13, v16, v13 :: v_dual_fmac_f32 v15, v17, v15
	v_div_scale_f32 v16, s3, v5, 0x402df854, v5
	v_dual_mul_f32 v17, v23, v13 :: v_dual_mul_f32 v28, v16, v15
	s_delay_alu instid0(VALU_DEP_1) | instskip(NEXT) | instid1(VALU_DEP_1)
	v_dual_fma_f32 v29, -v2, v17, v23 :: v_dual_fma_f32 v30, -v11, v28, v16
	v_dual_fmac_f32 v17, v29, v13 :: v_dual_fmac_f32 v28, v30, v15
	s_delay_alu instid0(VALU_DEP_1) | instskip(NEXT) | instid1(VALU_DEP_1)
	v_dual_fma_f32 v2, -v2, v17, v23 :: v_dual_fma_f32 v11, -v11, v28, v16
	v_div_fmas_f32 v2, v2, v13, v17
	s_mov_b32 vcc_lo, s3
	v_cmp_class_f32_e64 s3, v4, 0x204
	s_delay_alu instid0(VALU_DEP_3) | instskip(NEXT) | instid1(VALU_DEP_3)
	v_div_fmas_f32 v11, v11, v15, v28
	v_div_fixup_f32 v2, v2, 0x402df854, v4
	s_delay_alu instid0(VALU_DEP_2) | instskip(NEXT) | instid1(VALU_DEP_1)
	v_div_fixup_f32 v11, v11, 0x402df854, v5
	v_max_num_f32_e64 v13, |v2|, |v11|
	s_delay_alu instid0(VALU_DEP_1) | instskip(SKIP_1) | instid1(VALU_DEP_2)
	v_cvt_f64_f32_e32 v[16:17], v13
	v_cmp_neq_f32_e32 vcc_lo, 0x7f800000, v13
	v_frexp_exp_i32_f64_e32 v15, v[16:17]
	v_max_num_f32_e64 v16, |v5|, |v5|
	v_max_num_f32_e64 v17, |v4|, |v4|
	s_delay_alu instid0(VALU_DEP_1) | instskip(NEXT) | instid1(VALU_DEP_1)
	v_dual_max_num_f32 v23, v17, v16 :: v_dual_min_num_f32 v16, v17, v16
	v_frexp_mant_f32_e32 v28, v23
	v_frexp_exp_i32_f32_e32 v17, v23
	s_delay_alu instid0(VALU_DEP_2) | instskip(SKIP_3) | instid1(VALU_DEP_2)
	v_rcp_f32_e32 v23, v28
	v_nop
	v_frexp_exp_i32_f32_e32 v28, v16
	v_frexp_mant_f32_e32 v16, v16
	v_sub_nc_u32_e32 v17, v28, v17
	s_delay_alu instid0(TRANS32_DEP_1) | instid1(VALU_DEP_2)
	v_mul_f32_e32 v16, v16, v23
	v_sub_nc_u32_e32 v23, 0, v15
	s_delay_alu instid0(VALU_DEP_2) | instskip(NEXT) | instid1(VALU_DEP_2)
	v_ldexp_f32 v16, v16, v17
	v_ldexp_f32 v11, |v11|, v23
	s_delay_alu instid0(VALU_DEP_2) | instskip(SKIP_1) | instid1(VALU_DEP_3)
	v_mul_f32_e32 v17, v16, v16
	v_ldexp_f32 v2, |v2|, v23
	v_mul_f32_e32 v11, v11, v11
	s_delay_alu instid0(VALU_DEP_3) | instskip(NEXT) | instid1(VALU_DEP_1)
	v_fmaak_f32 v23, s20, v17, 0xbc7a590c
	v_dual_fmac_f32 v11, v2, v2 :: v_dual_fmaak_f32 v2, v17, v23, 0x3d29fb3f
	s_delay_alu instid0(VALU_DEP_1) | instskip(NEXT) | instid1(VALU_DEP_1)
	v_sqrt_f32_e32 v11, v11
	v_fmaak_f32 v2, v17, v2, 0xbd97d4d7
	s_delay_alu instid0(VALU_DEP_1) | instskip(NEXT) | instid1(TRANS32_DEP_1)
	v_fmaak_f32 v2, v17, v2, 0x3dd931b2
	v_ldexp_f32 v11, v11, v15
	s_delay_alu instid0(VALU_DEP_2) | instskip(NEXT) | instid1(VALU_DEP_1)
	v_fmaak_f32 v2, v17, v2, 0xbe1160e6
	v_fmaak_f32 v2, v17, v2, 0x3e4cb8bf
	s_delay_alu instid0(VALU_DEP_1) | instskip(NEXT) | instid1(VALU_DEP_1)
	v_fmaak_f32 v2, v17, v2, 0xbeaaaa62
	v_dual_cndmask_b32 v11, 0x7f800000, v11 :: v_dual_mul_f32 v2, v17, v2
	s_delay_alu instid0(VALU_DEP_1) | instskip(NEXT) | instid1(VALU_DEP_2)
	v_cmp_gt_f32_e32 vcc_lo, 0x800000, v11
	v_fmac_f32_e32 v16, v16, v2
	v_cndmask_b32_e64 v13, 0, 32, vcc_lo
	v_cndmask_b32_e64 v17, 0, 0x41b17218, vcc_lo
	s_delay_alu instid0(VALU_DEP_2) | instskip(NEXT) | instid1(VALU_DEP_1)
	v_ldexp_f32 v11, v11, v13
	v_log_f32_e32 v11, v11
	v_nop
	s_delay_alu instid0(TRANS32_DEP_1) | instskip(SKIP_1) | instid1(VALU_DEP_2)
	v_mul_f32_e32 v13, 0x3f317217, v11
	v_cmp_gt_f32_e64 vcc_lo, 0x7f800000, |v11|
	v_fma_f32 v2, 0x3f317217, v11, -v13
	s_delay_alu instid0(VALU_DEP_1) | instskip(NEXT) | instid1(VALU_DEP_1)
	v_fmac_f32_e32 v2, 0x3377d1cf, v11
	v_fmac_f32_e32 v2, 0x3f317217, v11
	s_delay_alu instid0(VALU_DEP_1) | instskip(SKIP_1) | instid1(VALU_DEP_2)
	v_dual_sub_f32 v13, 0x3fc90fdb, v16 :: v_dual_cndmask_b32 v2, v11, v2
	v_cmp_eq_f32_e32 vcc_lo, 0, v5
	v_sub_f32_e32 v2, v2, v17
	s_delay_alu instid0(VALU_DEP_3) | instskip(SKIP_1) | instid1(VALU_DEP_2)
	v_cndmask_b32_e64 v13, v16, v13, s2
	v_cmp_gt_i32_e64 s2, 0, v4
	v_sub_f32_e32 v16, 0x40490fdb, v13
	s_delay_alu instid0(VALU_DEP_2) | instskip(SKIP_1) | instid1(VALU_DEP_1)
	v_cndmask_b32_e64 v15, 0, 0x40490fdb, s2
	v_cmp_gt_f32_e64 s2, 0, v4
	v_cndmask_b32_e64 v11, v13, v16, s2
	v_cndmask_b32_e64 v13, 0x3f490fdb, v32, s2
	s_delay_alu instid0(VALU_DEP_2) | instskip(SKIP_1) | instid1(VALU_DEP_1)
	v_dual_add_f32 v16, 1.0, v2 :: v_dual_cndmask_b32 v11, v11, v15
	s_and_b32 vcc_lo, s3, s5
	v_cndmask_b32_e32 v2, v11, v13, vcc_lo
.LBB168_134:                            ;   in Loop: Header=BB168_5 Depth=1
	s_or_b32 exec_lo, exec_lo, s4
.LBB168_135:                            ;   in Loop: Header=BB168_5 Depth=1
	s_and_not1_saveexec_b32 s2, s22
	s_cbranch_execz .LBB168_4
; %bb.136:                              ;   in Loop: Header=BB168_5 Depth=1
	v_cmp_ngt_f32_e64 s3, 0x20000000, |v4|
	v_cmp_ngt_f32_e64 s4, 0x20000000, |v5|
                                        ; implicit-def: $vgpr2
	s_or_b32 s3, s3, s4
	s_delay_alu instid0(SALU_CYCLE_1) | instskip(NEXT) | instid1(SALU_CYCLE_1)
	s_and_saveexec_b32 s4, s3
	s_xor_b32 s3, exec_lo, s4
; %bb.137:                              ;   in Loop: Header=BB168_5 Depth=1
	v_pk_mul_f32 v[16:17], v[4:5], v[4:5]
	s_delay_alu instid0(VALU_DEP_1)
	v_add_f32_e32 v2, v16, v17
; %bb.138:                              ;   in Loop: Header=BB168_5 Depth=1
	s_and_not1_saveexec_b32 s3, s3
	s_cbranch_execz .LBB168_3
; %bb.139:                              ;   in Loop: Header=BB168_5 Depth=1
	v_pk_mul_f32 v[16:17], v[4:5], 4.0 op_sel_hi:[1,0]
	s_delay_alu instid0(VALU_DEP_1) | instskip(NEXT) | instid1(VALU_DEP_1)
	v_pk_mul_f32 v[16:17], v[16:17], v[16:17]
	v_add_f32_e32 v2, v16, v17
	s_delay_alu instid0(VALU_DEP_1)
	v_mul_f32_e32 v2, 0x3d800000, v2
	s_branch .LBB168_3
.LBB168_140:
	s_or_b32 exec_lo, exec_lo, s18
	s_mov_b32 s2, 0
.LBB168_141:
	s_delay_alu instid0(SALU_CYCLE_1)
	s_and_not1_b32 vcc_lo, exec_lo, s2
	s_cbranch_vccnz .LBB168_297
; %bb.142:
	v_cmp_lt_i64_e64 s2, s[10:11], 1
	s_and_b32 vcc_lo, exec_lo, s2
	s_cbranch_vccnz .LBB168_297
; %bb.143:
	v_min_i64 v[2:3], 0x10000, s[10:11]
	v_min_u64 v[4:5], 0x10000, s[10:11]
	s_load_b32 s0, s[0:1], 0xc5c
	v_mov_b64_e32 v[6:7], 0x3f800000bf800000
	v_dual_mov_b32 v1, 0 :: v_dual_mov_b32 v8, 0x3f317218
	v_mov_b32_e32 v34, 0x4016cbe4
	s_mov_b32 s17, 0
	s_mov_b64 s[24:25], 0
	s_mov_b32 s19, s17
	s_mov_b32 s21, s17
	;; [unrolled: 1-line block ×5, first 2 shown]
	s_wait_kmcnt 0x0
	s_and_b32 s16, s0, 0xffff
	s_delay_alu instid0(SALU_CYCLE_1)
	s_lshl_b32 s18, s16, 1
	s_mul_i32 s20, s16, 3
	s_lshl_b32 s22, s16, 2
	s_branch .LBB168_145
.LBB168_144:                            ;   in Loop: Header=BB168_145 Depth=1
	s_wait_xcnt 0x0
	s_or_b32 exec_lo, exec_lo, s0
	s_add_nc_u64 s[24:25], s[24:25], s[22:23]
	s_delay_alu instid0(SALU_CYCLE_1)
	v_cmp_ge_i64_e32 vcc_lo, s[24:25], v[2:3]
	s_cbranch_vccnz .LBB168_297
.LBB168_145:                            ; =>This Loop Header: Depth=1
                                        ;     Child Loop BB168_164 Depth 2
                                        ;     Child Loop BB168_198 Depth 2
	;; [unrolled: 1-line block ×4, first 2 shown]
	v_add_nc_u64_e32 v[12:13], s[24:25], v[0:1]
	v_dual_mov_b32 v14, 0 :: v_dual_mov_b32 v15, 0
	s_delay_alu instid0(VALU_DEP_2)
	v_cmp_lt_u64_e64 s0, v[12:13], v[4:5]
	s_and_saveexec_b32 s1, s0
	s_cbranch_execz .LBB168_147
; %bb.146:                              ;   in Loop: Header=BB168_145 Depth=1
	v_lshl_add_u64 v[10:11], v[12:13], 3, s[12:13]
	global_load_b64 v[14:15], v[10:11], off
.LBB168_147:                            ;   in Loop: Header=BB168_145 Depth=1
	s_wait_xcnt 0x0
	s_or_b32 exec_lo, exec_lo, s1
	v_add_nc_u64_e32 v[16:17], s[16:17], v[12:13]
	v_dual_mov_b32 v10, 0 :: v_dual_mov_b32 v18, 0
	v_mov_b32_e32 v19, 0
	s_delay_alu instid0(VALU_DEP_3)
	v_cmp_lt_u64_e64 s1, v[16:17], v[4:5]
	s_and_saveexec_b32 s2, s1
	s_cbranch_execz .LBB168_149
; %bb.148:                              ;   in Loop: Header=BB168_145 Depth=1
	v_lshl_add_u64 v[18:19], v[16:17], 3, s[12:13]
	global_load_b64 v[18:19], v[18:19], off
.LBB168_149:                            ;   in Loop: Header=BB168_145 Depth=1
	s_wait_xcnt 0x0
	s_or_b32 exec_lo, exec_lo, s2
	v_add_nc_u64_e32 v[20:21], s[18:19], v[12:13]
	v_mov_b32_e32 v11, 0
	s_delay_alu instid0(VALU_DEP_2)
	v_cmp_lt_u64_e64 s2, v[20:21], v[4:5]
	s_and_saveexec_b32 s3, s2
	s_cbranch_execz .LBB168_151
; %bb.150:                              ;   in Loop: Header=BB168_145 Depth=1
	v_lshl_add_u64 v[10:11], v[20:21], 3, s[12:13]
	global_load_b64 v[10:11], v[10:11], off
.LBB168_151:                            ;   in Loop: Header=BB168_145 Depth=1
	s_wait_xcnt 0x0
	s_or_b32 exec_lo, exec_lo, s3
	v_add_nc_u64_e32 v[22:23], s[20:21], v[12:13]
	v_mov_b32_e32 v24, 0
	s_delay_alu instid0(VALU_DEP_1) | instskip(NEXT) | instid1(VALU_DEP_3)
	v_mov_b32_e32 v25, v24
	v_cmp_lt_u64_e64 s3, v[22:23], v[4:5]
	s_and_saveexec_b32 s4, s3
	s_cbranch_execz .LBB168_153
; %bb.152:                              ;   in Loop: Header=BB168_145 Depth=1
	v_lshl_add_u64 v[24:25], v[22:23], 3, s[12:13]
	global_load_b64 v[24:25], v[24:25], off
.LBB168_153:                            ;   in Loop: Header=BB168_145 Depth=1
	s_wait_xcnt 0x0
	s_or_b32 exec_lo, exec_lo, s4
                                        ; implicit-def: $vgpr26
                                        ; implicit-def: $vgpr27
	s_delay_alu instid0(SALU_CYCLE_1)
	s_mov_b32 s4, exec_lo
	s_wait_loadcnt 0x0
	v_cmpx_o_f32_e32 v15, v14
	s_xor_b32 s28, exec_lo, s4
	s_cbranch_execz .LBB168_181
; %bb.154:                              ;   in Loop: Header=BB168_145 Depth=1
	v_cmp_lt_f32_e64 s4, |v14|, |v15|
                                        ; implicit-def: $vgpr26
                                        ; implicit-def: $vgpr27
	s_mov_b32 s6, exec_lo
	v_cndmask_b32_e64 v9, v15, v14, s4
	s_delay_alu instid0(VALU_DEP_1)
	v_cmpx_nlt_f32_e64 0x77f684df, |v9|
	s_xor_b32 s29, exec_lo, s6
	s_cbranch_execz .LBB168_178
; %bb.155:                              ;   in Loop: Header=BB168_145 Depth=1
	v_cndmask_b32_e64 v26, v14, v15, s4
	v_and_b32_e32 v28, 0x7fffffff, v9
                                        ; implicit-def: $vgpr27
	s_mov_b32 s5, exec_lo
	s_delay_alu instid0(VALU_DEP_2) | instskip(NEXT) | instid1(VALU_DEP_1)
	v_and_b32_e32 v29, 0x7fffffff, v26
                                        ; implicit-def: $vgpr26
	v_cmpx_neq_f32_e32 1.0, v29
	s_xor_b32 s30, exec_lo, s5
	s_cbranch_execz .LBB168_171
; %bb.156:                              ;   in Loop: Header=BB168_145 Depth=1
	v_dual_max_num_f32 v9, v28, v28 :: v_dual_max_num_f32 v26, v29, v29
	s_delay_alu instid0(VALU_DEP_1) | instskip(NEXT) | instid1(VALU_DEP_1)
	v_dual_min_num_f32 v27, v26, v9 :: v_dual_max_num_f32 v9, v26, v9
                                        ; implicit-def: $vgpr26
	v_cmp_ngt_f32_e32 vcc_lo, 0x358637bd, v27
	s_delay_alu instid0(VALU_DEP_2) | instskip(SKIP_1) | instid1(SALU_CYCLE_1)
	v_cmp_nlt_f32_e64 s5, 0x49742400, v9
                                        ; implicit-def: $vgpr27
	s_and_b32 s5, s5, vcc_lo
	s_and_saveexec_b32 s6, s5
	s_delay_alu instid0(SALU_CYCLE_1)
	s_xor_b32 s31, exec_lo, s6
	s_cbranch_execz .LBB168_168
; %bb.157:                              ;   in Loop: Header=BB168_145 Depth=1
                                        ; implicit-def: $vgpr26
                                        ; implicit-def: $vgpr27
	s_mov_b32 s5, exec_lo
	v_cmpx_le_f32_e32 1.0, v29
	s_xor_b32 s6, exec_lo, s5
	s_cbranch_execz .LBB168_159
; %bb.158:                              ;   in Loop: Header=BB168_145 Depth=1
	v_pk_add_f32 v[26:27], v[28:29], v[6:7] op_sel:[1,0]
	v_mov_b32_e32 v30, v28
	v_cmp_class_f32_e64 s7, v14, 0x204
	s_delay_alu instid0(VALU_DEP_3) | instskip(SKIP_1) | instid1(VALU_DEP_1)
	v_dual_mov_b32 v29, v26 :: v_dual_mov_b32 v31, v27
	v_mul_f32_e32 v26, v26, v27
	v_pk_fma_f32 v[26:27], v[28:29], v[30:31], v[26:27] op_sel_hi:[1,1,0]
	s_delay_alu instid0(VALU_DEP_1) | instskip(SKIP_1) | instid1(VALU_DEP_2)
	v_add_f32_e32 v29, 1.0, v26
	v_cmp_neq_f32_e64 s5, -1.0, v26
	v_frexp_mant_f32_e32 v28, v29
	v_add_f32_e32 v27, -1.0, v29
	s_delay_alu instid0(VALU_DEP_2) | instskip(NEXT) | instid1(VALU_DEP_2)
	v_cmp_gt_f32_e32 vcc_lo, 0x3f2aaaab, v28
	v_mov_b32_e32 v28, v27
	v_cvt_f64_f32_e32 v[30:31], v29
	s_delay_alu instid0(VALU_DEP_1) | instskip(NEXT) | instid1(VALU_DEP_3)
	v_frexp_exp_i32_f64_e32 v9, v[30:31]
	v_pk_add_f32 v[30:31], v[26:27], v[28:29] neg_lo:[0,1] neg_hi:[0,1]
	s_delay_alu instid0(VALU_DEP_1) | instskip(NEXT) | instid1(VALU_DEP_3)
	v_add_f32_e32 v28, 1.0, v31
	v_subrev_co_ci_u32_e64 v9, null, 0, v9, vcc_lo
	v_cmp_neq_f32_e32 vcc_lo, 0x7f800000, v26
	s_delay_alu instid0(VALU_DEP_2) | instskip(NEXT) | instid1(VALU_DEP_1)
	v_sub_nc_u32_e32 v32, 0, v9
	v_ldexp_f32 v27, v29, v32
	s_delay_alu instid0(VALU_DEP_1) | instskip(NEXT) | instid1(VALU_DEP_1)
	v_dual_add_f32 v31, 1.0, v27 :: v_dual_add_f32 v28, v30, v28
	v_add_f32_e32 v29, -1.0, v31
	v_add_f32_e32 v33, -1.0, v27
	s_delay_alu instid0(VALU_DEP_3) | instskip(NEXT) | instid1(VALU_DEP_3)
	v_ldexp_f32 v28, v28, v32
	v_sub_f32_e32 v29, v27, v29
	s_delay_alu instid0(VALU_DEP_1) | instskip(NEXT) | instid1(VALU_DEP_1)
	v_add_f32_e32 v32, v28, v29
	v_dual_add_f32 v30, 1.0, v33 :: v_dual_add_f32 v35, v31, v32
	s_delay_alu instid0(VALU_DEP_1) | instskip(NEXT) | instid1(VALU_DEP_2)
	v_sub_f32_e32 v27, v27, v30
	v_rcp_f32_e32 v36, v35
	s_delay_alu instid0(VALU_DEP_1) | instskip(NEXT) | instid1(VALU_DEP_1)
	v_add_f32_e32 v27, v28, v27
	v_add_f32_e32 v29, v33, v27
	s_delay_alu instid0(TRANS32_DEP_1) | instid1(VALU_DEP_1)
	v_dual_mul_f32 v37, v29, v36 :: v_dual_sub_f32 v28, v35, v31
	s_delay_alu instid0(VALU_DEP_1) | instskip(SKIP_1) | instid1(VALU_DEP_2)
	v_dual_mul_f32 v30, v35, v37 :: v_dual_sub_f32 v38, v32, v28
	v_sub_f32_e32 v39, v29, v33
	v_fma_f32 v32, v37, v35, -v30
	s_delay_alu instid0(VALU_DEP_1) | instskip(NEXT) | instid1(VALU_DEP_1)
	v_dual_sub_f32 v27, v27, v39 :: v_dual_fmac_f32 v32, v37, v38
	v_add_f32_e32 v28, v30, v32
	s_delay_alu instid0(VALU_DEP_1) | instskip(NEXT) | instid1(VALU_DEP_1)
	v_dual_sub_f32 v31, v29, v28 :: v_dual_mov_b32 v33, v28
	v_pk_add_f32 v[28:29], v[28:29], v[30:31] neg_lo:[0,1] neg_hi:[0,1]
	s_delay_alu instid0(VALU_DEP_1) | instskip(NEXT) | instid1(VALU_DEP_1)
	v_pk_add_f32 v[28:29], v[28:29], v[32:33] neg_lo:[0,1] neg_hi:[0,1]
	v_add_f32_e32 v27, v27, v29
	s_delay_alu instid0(VALU_DEP_1) | instskip(NEXT) | instid1(VALU_DEP_1)
	v_add_f32_e32 v27, v28, v27
	v_add_f32_e32 v29, v31, v27
	s_delay_alu instid0(VALU_DEP_1) | instskip(NEXT) | instid1(VALU_DEP_1)
	v_mul_f32_e32 v39, v36, v29
	v_mul_f32_e32 v32, v35, v39
	s_delay_alu instid0(VALU_DEP_1) | instskip(SKIP_1) | instid1(VALU_DEP_2)
	v_fma_f32 v30, v39, v35, -v32
	v_sub_f32_e32 v35, v31, v29
	v_fmac_f32_e32 v30, v39, v38
	s_delay_alu instid0(VALU_DEP_2) | instskip(NEXT) | instid1(VALU_DEP_2)
	v_add_f32_e32 v27, v27, v35
	v_dual_add_f32 v35, v37, v39 :: v_dual_add_f32 v28, v32, v30
	s_delay_alu instid0(VALU_DEP_1) | instskip(NEXT) | instid1(VALU_DEP_1)
	v_dual_mov_b32 v31, v28 :: v_dual_sub_f32 v33, v29, v28
	v_pk_add_f32 v[28:29], v[28:29], v[32:33] neg_lo:[0,1] neg_hi:[0,1]
	s_delay_alu instid0(VALU_DEP_1) | instskip(NEXT) | instid1(VALU_DEP_1)
	v_pk_add_f32 v[28:29], v[28:29], v[30:31] neg_lo:[0,1] neg_hi:[0,1]
	v_add_f32_e32 v27, v27, v29
	s_delay_alu instid0(VALU_DEP_1) | instskip(NEXT) | instid1(VALU_DEP_1)
	v_dual_add_f32 v27, v28, v27 :: v_dual_sub_f32 v28, v35, v37
	v_dual_add_f32 v27, v33, v27 :: v_dual_sub_f32 v28, v39, v28
	s_delay_alu instid0(VALU_DEP_1) | instskip(NEXT) | instid1(VALU_DEP_1)
	v_mul_f32_e32 v27, v36, v27
	v_add_f32_e32 v27, v28, v27
	v_cvt_f32_i32_e32 v28, v9
	s_delay_alu instid0(VALU_DEP_2) | instskip(NEXT) | instid1(VALU_DEP_1)
	v_add_f32_e32 v36, v35, v27
	v_mul_f32_e32 v30, v36, v36
	s_delay_alu instid0(VALU_DEP_1) | instskip(SKIP_2) | instid1(VALU_DEP_3)
	v_fmaak_f32 v31, s26, v30, 0x3ecc95a3
	v_mul_f32_e32 v29, v36, v30
	v_ldexp_f32 v33, v36, 1
	v_fmaak_f32 v9, v30, v31, 0x3f2aaada
	s_delay_alu instid0(VALU_DEP_1) | instskip(NEXT) | instid1(VALU_DEP_1)
	v_pk_mul_f32 v[30:31], v[28:29], v[8:9]
	v_fma_f32 v32, 0x3f317218, v28, -v30
	s_delay_alu instid0(VALU_DEP_1) | instskip(NEXT) | instid1(VALU_DEP_1)
	v_fmac_f32_e32 v32, 0xb102e308, v28
	v_pk_add_f32 v[28:29], v[30:31], v[32:33]
	v_dual_sub_f32 v9, v36, v35 :: v_dual_mov_b32 v36, v30
	s_delay_alu instid0(VALU_DEP_1) | instskip(NEXT) | instid1(VALU_DEP_3)
	v_dual_mov_b32 v44, v29 :: v_dual_sub_f32 v9, v27, v9
	v_dual_sub_f32 v27, v29, v33 :: v_dual_mov_b32 v33, v28
	s_delay_alu instid0(VALU_DEP_2) | instskip(NEXT) | instid1(VALU_DEP_2)
	v_ldexp_f32 v9, v9, 1
	v_sub_f32_e32 v27, v31, v27
	v_pk_add_f32 v[30:31], v[28:29], v[30:31] neg_lo:[0,1] neg_hi:[0,1]
	s_delay_alu instid0(VALU_DEP_2) | instskip(SKIP_2) | instid1(VALU_DEP_3)
	v_add_f32_e32 v37, v9, v27
	v_max_num_f32_e64 v9, |v15|, |v15|
	v_max_num_f32_e64 v27, |v14|, |v14|
	v_pk_add_f32 v[38:39], v[28:29], v[36:37]
	s_delay_alu instid0(VALU_DEP_2) | instskip(NEXT) | instid1(VALU_DEP_2)
	v_dual_max_num_f32 v35, v27, v9 :: v_dual_min_num_f32 v9, v27, v9
	v_mov_b32_e32 v31, v39
	s_delay_alu instid0(VALU_DEP_2) | instskip(SKIP_1) | instid1(VALU_DEP_4)
	v_frexp_exp_i32_f32_e32 v27, v35
	v_frexp_mant_f32_e32 v35, v35
	v_frexp_mant_f32_e32 v46, v9
	s_delay_alu instid0(VALU_DEP_4) | instskip(SKIP_3) | instid1(VALU_DEP_2)
	v_pk_add_f32 v[40:41], v[32:33], v[30:31]
	v_frexp_exp_i32_f32_e32 v40, v9
	v_pk_add_f32 v[30:31], v[32:33], v[30:31] neg_lo:[0,1] neg_hi:[0,1]
	v_rcp_f32_e32 v35, v35
	v_dual_mov_b32 v36, v41 :: v_dual_sub_nc_u32 v27, v40, v27
	s_delay_alu instid0(VALU_DEP_1) | instskip(SKIP_1) | instid1(TRANS32_DEP_1)
	v_pk_add_f32 v[42:43], v[36:37], v[28:29] neg_lo:[0,1] neg_hi:[0,1]
	v_dual_mov_b32 v40, v39 :: v_dual_mov_b32 v29, v28
	v_dual_mov_b32 v28, v37 :: v_dual_mul_f32 v31, v46, v35
	s_delay_alu instid0(VALU_DEP_3) | instskip(NEXT) | instid1(VALU_DEP_1)
	v_dual_mov_b32 v45, v42 :: v_dual_mov_b32 v9, v42
	v_pk_add_f32 v[32:33], v[40:41], v[44:45] neg_lo:[0,1] neg_hi:[0,1]
	s_delay_alu instid0(VALU_DEP_2) | instskip(SKIP_2) | instid1(VALU_DEP_4)
	v_pk_add_f32 v[38:39], v[38:39], v[8:9] neg_lo:[0,1] neg_hi:[0,1]
	v_mov_b32_e32 v38, v30
	v_ldexp_f32 v9, v31, v27
	v_pk_add_f32 v[28:29], v[28:29], v[32:33] neg_lo:[0,1] neg_hi:[0,1]
	s_delay_alu instid0(VALU_DEP_2) | instskip(NEXT) | instid1(VALU_DEP_2)
	v_mul_f32_e32 v27, v9, v9
	v_pk_add_f32 v[32:33], v[38:39], v[28:29]
	s_delay_alu instid0(VALU_DEP_1) | instskip(NEXT) | instid1(VALU_DEP_1)
	v_dual_fmaak_f32 v29, s27, v27, 0xbc7a590c :: v_dual_mov_b32 v38, v33
	v_pk_add_f32 v[38:39], v[32:33], v[38:39]
	s_delay_alu instid0(VALU_DEP_1) | instskip(NEXT) | instid1(VALU_DEP_1)
	v_pk_add_f32 v[36:37], v[36:37], v[38:39]
	v_dual_mov_b32 v31, v41 :: v_dual_mov_b32 v33, v36
	s_delay_alu instid0(VALU_DEP_1) | instskip(NEXT) | instid1(VALU_DEP_1)
	v_pk_add_f32 v[40:41], v[32:33], v[30:31] neg_lo:[0,1] neg_hi:[0,1]
	v_dual_fmaak_f32 v29, v27, v29, 0x3d29fb3f :: v_dual_sub_f32 v32, v32, v40
	s_delay_alu instid0(VALU_DEP_1) | instskip(NEXT) | instid1(VALU_DEP_1)
	v_dual_fmaak_f32 v29, v27, v29, 0xbd97d4d7 :: v_dual_sub_f32 v30, v30, v32
	v_fmaak_f32 v29, v27, v29, 0x3dd931b2
	s_delay_alu instid0(VALU_DEP_1) | instskip(SKIP_1) | instid1(VALU_DEP_1)
	v_fmaak_f32 v31, v27, v29, 0xbe1160e6
	v_mov_b32_e32 v29, v38
	v_pk_add_f32 v[28:29], v[28:29], v[40:41] neg_lo:[0,1] neg_hi:[0,1]
	s_delay_alu instid0(VALU_DEP_1) | instskip(NEXT) | instid1(VALU_DEP_1)
	v_add_f32_e32 v28, v28, v30
	v_dual_add_f32 v28, v28, v29 :: v_dual_fmaak_f32 v31, v27, v31, 0x3e4cb8bf
	s_delay_alu instid0(VALU_DEP_1) | instskip(NEXT) | instid1(VALU_DEP_1)
	v_fmaak_f32 v31, v27, v31, 0xbeaaaa62
	v_mul_f32_e32 v27, v27, v31
	s_delay_alu instid0(VALU_DEP_1) | instskip(NEXT) | instid1(VALU_DEP_1)
	v_dual_fmac_f32 v9, v9, v27 :: v_dual_add_f32 v27, v36, v28
	v_sub_f32_e32 v28, 0x3fc90fdb, v9
	s_delay_alu instid0(VALU_DEP_2) | instskip(SKIP_1) | instid1(VALU_DEP_3)
	v_cndmask_b32_e32 v27, 0x7f800000, v27, vcc_lo
	v_cmp_gt_i32_e32 vcc_lo, 0, v14
	v_cndmask_b32_e64 v9, v9, v28, s4
	v_cndmask_b32_e64 v28, 0, 0x40490fdb, vcc_lo
	v_cmp_ngt_f32_e32 vcc_lo, -1.0, v26
	s_delay_alu instid0(VALU_DEP_3) | instskip(SKIP_2) | instid1(VALU_DEP_2)
	v_sub_f32_e32 v29, 0x40490fdb, v9
	v_cndmask_b32_e32 v27, 0x7fc00000, v27, vcc_lo
	v_cmp_gt_f32_e32 vcc_lo, 0, v14
	v_cndmask_b32_e64 v14, 0xff800000, v27, s5
	s_delay_alu instid0(VALU_DEP_4)
	v_cndmask_b32_e32 v9, v9, v29, vcc_lo
	v_cndmask_b32_e32 v27, 0x3f490fdb, v34, vcc_lo
	v_cmp_gt_f32_e64 vcc_lo, 0x33800000, |v26|
	v_cmp_class_f32_e64 s5, v15, 0x204
	v_cndmask_b32_e32 v14, v14, v26, vcc_lo
	v_cmp_eq_f32_e32 vcc_lo, 0, v15
	s_delay_alu instid0(VALU_DEP_2) | instskip(SKIP_1) | instid1(VALU_DEP_1)
	v_dual_mul_f32 v26, 0.5, v14 :: v_dual_cndmask_b32 v9, v9, v28
	s_and_b32 vcc_lo, s5, s7
                                        ; implicit-def: $vgpr28_vgpr29
	v_cndmask_b32_e32 v27, v9, v27, vcc_lo
.LBB168_159:                            ;   in Loop: Header=BB168_145 Depth=1
	s_and_not1_saveexec_b32 s33, s6
	s_cbranch_execz .LBB168_167
; %bb.160:                              ;   in Loop: Header=BB168_145 Depth=1
	v_pk_mul_f32 v[26:27], v[28:29], v[28:29]
	s_mov_b32 s5, exec_lo
	s_delay_alu instid0(VALU_DEP_1) | instskip(NEXT) | instid1(VALU_DEP_1)
	v_add_f32_e32 v9, v27, v26
                                        ; implicit-def: $vgpr26
                                        ; implicit-def: $vgpr27
	v_cmpx_ge_f32_e32 0x3f333333, v9
	s_xor_b32 s6, exec_lo, s5
	s_cbranch_execz .LBB168_162
; %bb.161:                              ;   in Loop: Header=BB168_145 Depth=1
	v_max_num_f32_e64 v26, |v15|, |v15|
	v_max_num_f32_e64 v27, |v14|, |v14|
	v_cmp_gt_f32_e32 vcc_lo, 0x800000, v9
	v_cmp_gt_i32_e64 s5, 0, v14
	v_cmp_class_f32_e64 s7, v14, 0x204
	v_cmp_class_f32_e64 s8, v15, 0x204
	v_dual_max_num_f32 v28, v27, v26 :: v_dual_min_num_f32 v26, v27, v26
	v_cndmask_b32_e64 v30, 0, 0x41b17218, vcc_lo
	s_delay_alu instid0(VALU_DEP_2) | instskip(SKIP_1) | instid1(VALU_DEP_2)
	v_frexp_mant_f32_e32 v29, v28
	v_frexp_exp_i32_f32_e32 v27, v28
	v_rcp_f32_e32 v28, v29
	v_nop
	v_frexp_exp_i32_f32_e32 v29, v26
	v_frexp_mant_f32_e32 v26, v26
	s_delay_alu instid0(TRANS32_DEP_1) | instid1(VALU_DEP_1)
	v_dual_mul_f32 v26, v26, v28 :: v_dual_sub_nc_u32 v27, v29, v27
	v_cndmask_b32_e64 v29, 0, 32, vcc_lo
	s_delay_alu instid0(VALU_DEP_2) | instskip(NEXT) | instid1(VALU_DEP_2)
	v_ldexp_f32 v26, v26, v27
	v_ldexp_f32 v9, v9, v29
	s_delay_alu instid0(VALU_DEP_1) | instskip(NEXT) | instid1(VALU_DEP_2)
	v_log_f32_e32 v9, v9
	v_mul_f32_e32 v27, v26, v26
	s_delay_alu instid0(VALU_DEP_1) | instskip(NEXT) | instid1(TRANS32_DEP_1)
	v_fmaak_f32 v28, s27, v27, 0xbc7a590c
	v_cmp_gt_f32_e64 vcc_lo, 0x7f800000, |v9|
	s_delay_alu instid0(VALU_DEP_2) | instskip(NEXT) | instid1(VALU_DEP_1)
	v_fmaak_f32 v28, v27, v28, 0x3d29fb3f
	v_fmaak_f32 v28, v27, v28, 0xbd97d4d7
	s_delay_alu instid0(VALU_DEP_1) | instskip(NEXT) | instid1(VALU_DEP_1)
	v_fmaak_f32 v28, v27, v28, 0x3dd931b2
	v_fmaak_f32 v28, v27, v28, 0xbe1160e6
	s_delay_alu instid0(VALU_DEP_1) | instskip(NEXT) | instid1(VALU_DEP_1)
	;; [unrolled: 3-line block ×3, first 2 shown]
	v_dual_mul_f32 v27, v27, v28 :: v_dual_mul_f32 v28, 0x3f317217, v9
	v_fmac_f32_e32 v26, v26, v27
	s_delay_alu instid0(VALU_DEP_2) | instskip(NEXT) | instid1(VALU_DEP_1)
	v_fma_f32 v27, 0x3f317217, v9, -v28
	v_fmac_f32_e32 v27, 0x3377d1cf, v9
	s_delay_alu instid0(VALU_DEP_3) | instskip(NEXT) | instid1(VALU_DEP_2)
	v_sub_f32_e32 v28, 0x3fc90fdb, v26
	v_fmac_f32_e32 v27, 0x3f317217, v9
	s_delay_alu instid0(VALU_DEP_2) | instskip(SKIP_2) | instid1(VALU_DEP_4)
	v_cndmask_b32_e64 v26, v26, v28, s4
	v_cndmask_b32_e64 v28, 0, 0x40490fdb, s5
	v_cmp_eq_f32_e64 s5, 0, v15
	v_cndmask_b32_e32 v9, v9, v27, vcc_lo
	s_delay_alu instid0(VALU_DEP_4) | instskip(SKIP_1) | instid1(VALU_DEP_2)
	v_sub_f32_e32 v29, 0x40490fdb, v26
	v_cmp_gt_f32_e32 vcc_lo, 0, v14
	v_dual_sub_f32 v9, v9, v30 :: v_dual_cndmask_b32 v26, v26, v29
	v_cndmask_b32_e32 v27, 0x3f490fdb, v34, vcc_lo
	s_and_b32 vcc_lo, s8, s7
	s_delay_alu instid0(VALU_DEP_2) | instskip(NEXT) | instid1(VALU_DEP_1)
	v_dual_cndmask_b32 v14, v26, v28, s5 :: v_dual_mul_f32 v26, 0.5, v9
                                        ; implicit-def: $vgpr28
	v_cndmask_b32_e32 v27, v14, v27, vcc_lo
.LBB168_162:                            ;   in Loop: Header=BB168_145 Depth=1
	s_and_not1_saveexec_b32 s34, s6
	s_cbranch_execz .LBB168_166
; %bb.163:                              ;   in Loop: Header=BB168_145 Depth=1
	v_and_b32_e32 v27, 0x7fff0000, v28
	v_and_b32_e32 v26, 0x7fff0000, v29
	s_mov_b32 s35, 0
	s_delay_alu instid0(VALU_DEP_1) | instskip(SKIP_2) | instid1(VALU_DEP_2)
	v_dual_add_f32 v36, v27, v27 :: v_dual_add_f32 v32, v26, v26
	v_pk_add_f32 v[28:29], v[28:29], v[26:27] op_sel:[1,0] op_sel_hi:[0,1] neg_lo:[0,1] neg_hi:[0,1]
	v_pk_mul_f32 v[26:27], v[26:27], v[26:27]
	v_and_b32_e32 v31, 0xffff0000, v29
	s_delay_alu instid0(VALU_DEP_3) | instskip(NEXT) | instid1(VALU_DEP_2)
	v_and_b32_e32 v30, 0xffff0000, v28
	v_dual_mul_f32 v35, v36, v31 :: v_dual_add_f32 v39, v31, v31
	s_delay_alu instid0(VALU_DEP_2) | instskip(SKIP_2) | instid1(VALU_DEP_3)
	v_pk_add_f32 v[28:29], v[28:29], v[30:31] neg_lo:[0,1] neg_hi:[0,1]
	v_dual_mul_f32 v9, v32, v30 :: v_dual_add_f32 v38, v30, v30
	v_pk_mul_f32 v[30:31], v[30:31], v[30:31]
	v_mul_f32_e32 v33, v32, v28
	s_delay_alu instid0(VALU_DEP_4) | instskip(NEXT) | instid1(VALU_DEP_4)
	v_dual_mul_f32 v37, v36, v29 :: v_dual_mul_f32 v36, v39, v29
	v_mul_f32_e32 v32, v38, v28
	v_pk_mul_f32 v[28:29], v[28:29], v[28:29]
.LBB168_164:                            ;   Parent Loop BB168_145 Depth=1
                                        ; =>  This Inner Loop Header: Depth=2
	v_cmp_nlt_f32_e32 vcc_lo, v26, v27
	v_dual_cndmask_b32 v38, v26, v27, vcc_lo :: v_dual_cndmask_b32 v26, v27, v26, vcc_lo
	s_delay_alu instid0(VALU_DEP_1) | instskip(NEXT) | instid1(VALU_DEP_1)
	v_cmp_nlt_f32_e64 s5, v38, v9
	v_dual_cndmask_b32 v39, v38, v9, s5 :: v_dual_cndmask_b32 v27, v9, v38, s5
	s_and_b32 s5, vcc_lo, s5
	s_delay_alu instid0(VALU_DEP_1) | instskip(NEXT) | instid1(VALU_DEP_1)
	v_cmp_nlt_f32_e64 s6, v39, v35
	v_cndmask_b32_e64 v40, v39, v35, s6
	v_cndmask_b32_e64 v9, v35, v39, s6
	s_delay_alu instid0(VALU_DEP_2) | instskip(NEXT) | instid1(VALU_DEP_1)
	v_cmp_nlt_f32_e64 s7, v40, v30
	v_cndmask_b32_e64 v38, v40, v30, s7
	s_and_b32 s36, s6, s7
	s_delay_alu instid0(VALU_DEP_1) | instskip(NEXT) | instid1(VALU_DEP_1)
	v_cmp_nlt_f32_e64 s8, v38, v31
	v_cndmask_b32_e64 v39, v38, v31, s8
	s_delay_alu instid0(VALU_DEP_1) | instskip(NEXT) | instid1(VALU_DEP_1)
	v_cmp_nlt_f32_e64 s9, v39, v33
	v_dual_cndmask_b32 v41, v39, v33, s9 :: v_dual_cndmask_b32 v35, v30, v40, s7
	v_cndmask_b32_e64 v30, v31, v38, s8
	s_and_b32 s8, s8, s9
	s_delay_alu instid0(VALU_DEP_2) | instskip(NEXT) | instid1(VALU_DEP_1)
	v_cmp_nlt_f32_e64 s10, v41, v37
	v_cndmask_b32_e64 v42, v41, v37, s10
	s_and_b32 s8, s8, s10
	v_cndmask_b32_e64 v31, v33, v39, s9
	v_cndmask_b32_e64 v33, v37, v41, s10
	s_delay_alu instid0(VALU_DEP_3) | instskip(NEXT) | instid1(VALU_DEP_1)
	v_cmp_nlt_f32_e64 s11, v42, v32
	v_cndmask_b32_e64 v40, v42, v32, s11
	s_and_b32 s9, s8, s11
	v_cndmask_b32_e64 v37, v32, v42, s11
	s_delay_alu instid0(VALU_DEP_2) | instskip(NEXT) | instid1(VALU_DEP_1)
	v_cmp_nlt_f32_e64 s6, v40, v36
	v_cndmask_b32_e64 v38, v40, v36, s6
	s_delay_alu instid0(VALU_DEP_1) | instskip(NEXT) | instid1(VALU_DEP_1)
	v_cmp_nlt_f32_e64 s7, v38, v28
	v_cndmask_b32_e64 v39, v38, v28, s7
	s_delay_alu instid0(VALU_DEP_1)
	v_cmp_nlt_f32_e64 s8, v39, v29
	v_cndmask_b32_e64 v32, v36, v40, s6
	s_and_b32 s6, s9, s6
	v_cndmask_b32_e64 v36, v28, v38, s7
	s_and_b32 s6, s6, s7
	;; [unrolled: 2-line block ×4, first 2 shown]
	s_delay_alu instid0(SALU_CYCLE_1) | instskip(NEXT) | instid1(SALU_CYCLE_1)
	s_and_b32 s5, s6, s5
	s_and_b32 s5, exec_lo, s5
	s_delay_alu instid0(SALU_CYCLE_1) | instskip(NEXT) | instid1(SALU_CYCLE_1)
	s_or_b32 s35, s5, s35
	s_and_not1_b32 exec_lo, exec_lo, s35
	s_cbranch_execnz .LBB168_164
; %bb.165:                              ;   in Loop: Header=BB168_145 Depth=1
	s_or_b32 exec_lo, exec_lo, s35
	v_add_f32_e32 v26, -1.0, v26
	v_cmp_class_f32_e64 s6, v14, 0x204
	s_delay_alu instid0(VALU_DEP_2) | instskip(NEXT) | instid1(VALU_DEP_1)
	v_add_f32_e32 v26, v26, v27
	v_add_f32_e32 v9, v26, v9
	s_delay_alu instid0(VALU_DEP_1) | instskip(NEXT) | instid1(VALU_DEP_1)
	v_add_f32_e32 v9, v9, v35
	v_add_f32_e32 v9, v9, v30
	s_delay_alu instid0(VALU_DEP_1) | instskip(NEXT) | instid1(VALU_DEP_1)
	;; [unrolled: 3-line block ×5, first 2 shown]
	v_add_f32_e32 v26, v29, v9
	v_add_f32_e32 v29, 1.0, v26
	s_delay_alu instid0(VALU_DEP_1) | instskip(SKIP_2) | instid1(VALU_DEP_2)
	v_cvt_f64_f32_e32 v[30:31], v29
	v_frexp_mant_f32_e32 v28, v29
	v_add_f32_e32 v27, -1.0, v29
	v_cmp_gt_f32_e32 vcc_lo, 0x3f2aaaab, v28
	s_delay_alu instid0(VALU_DEP_2) | instskip(SKIP_1) | instid1(VALU_DEP_1)
	v_mov_b32_e32 v28, v27
	v_frexp_exp_i32_f64_e32 v9, v[30:31]
	v_subrev_co_ci_u32_e64 v9, null, 0, v9, vcc_lo
	s_delay_alu instid0(VALU_DEP_1) | instskip(NEXT) | instid1(VALU_DEP_4)
	v_sub_nc_u32_e32 v32, 0, v9
	v_pk_add_f32 v[30:31], v[26:27], v[28:29] neg_lo:[0,1] neg_hi:[0,1]
	v_cmp_neq_f32_e32 vcc_lo, 0x7f800000, v26
	v_cmp_neq_f32_e64 s5, -1.0, v26
	s_delay_alu instid0(VALU_DEP_4) | instskip(NEXT) | instid1(VALU_DEP_4)
	v_ldexp_f32 v27, v29, v32
	v_add_f32_e32 v28, 1.0, v31
	s_delay_alu instid0(VALU_DEP_1) | instskip(NEXT) | instid1(VALU_DEP_1)
	v_dual_add_f32 v31, 1.0, v27 :: v_dual_add_f32 v28, v30, v28
	v_add_f32_e32 v29, -1.0, v31
	v_add_f32_e32 v33, -1.0, v27
	s_delay_alu instid0(VALU_DEP_3) | instskip(NEXT) | instid1(VALU_DEP_3)
	v_ldexp_f32 v28, v28, v32
	v_sub_f32_e32 v29, v27, v29
	s_delay_alu instid0(VALU_DEP_1) | instskip(NEXT) | instid1(VALU_DEP_1)
	v_add_f32_e32 v32, v28, v29
	v_dual_add_f32 v30, 1.0, v33 :: v_dual_add_f32 v35, v31, v32
	s_delay_alu instid0(VALU_DEP_1) | instskip(NEXT) | instid1(VALU_DEP_2)
	v_sub_f32_e32 v27, v27, v30
	v_rcp_f32_e32 v36, v35
	s_delay_alu instid0(VALU_DEP_1) | instskip(NEXT) | instid1(VALU_DEP_1)
	v_add_f32_e32 v27, v28, v27
	v_add_f32_e32 v29, v33, v27
	s_delay_alu instid0(TRANS32_DEP_1) | instid1(VALU_DEP_1)
	v_dual_mul_f32 v37, v29, v36 :: v_dual_sub_f32 v28, v35, v31
	s_delay_alu instid0(VALU_DEP_1) | instskip(SKIP_1) | instid1(VALU_DEP_2)
	v_dual_mul_f32 v30, v35, v37 :: v_dual_sub_f32 v38, v32, v28
	v_sub_f32_e32 v39, v29, v33
	v_fma_f32 v32, v37, v35, -v30
	s_delay_alu instid0(VALU_DEP_1) | instskip(NEXT) | instid1(VALU_DEP_1)
	v_dual_sub_f32 v27, v27, v39 :: v_dual_fmac_f32 v32, v37, v38
	v_add_f32_e32 v28, v30, v32
	s_delay_alu instid0(VALU_DEP_1) | instskip(NEXT) | instid1(VALU_DEP_1)
	v_dual_sub_f32 v31, v29, v28 :: v_dual_mov_b32 v33, v28
	v_pk_add_f32 v[28:29], v[28:29], v[30:31] neg_lo:[0,1] neg_hi:[0,1]
	s_delay_alu instid0(VALU_DEP_1) | instskip(NEXT) | instid1(VALU_DEP_1)
	v_pk_add_f32 v[28:29], v[28:29], v[32:33] neg_lo:[0,1] neg_hi:[0,1]
	v_add_f32_e32 v27, v27, v29
	s_delay_alu instid0(VALU_DEP_1) | instskip(NEXT) | instid1(VALU_DEP_1)
	v_add_f32_e32 v27, v28, v27
	v_add_f32_e32 v29, v31, v27
	s_delay_alu instid0(VALU_DEP_1) | instskip(NEXT) | instid1(VALU_DEP_1)
	v_mul_f32_e32 v39, v36, v29
	v_mul_f32_e32 v32, v35, v39
	s_delay_alu instid0(VALU_DEP_1) | instskip(SKIP_1) | instid1(VALU_DEP_2)
	v_fma_f32 v30, v39, v35, -v32
	v_sub_f32_e32 v35, v31, v29
	v_fmac_f32_e32 v30, v39, v38
	s_delay_alu instid0(VALU_DEP_2) | instskip(NEXT) | instid1(VALU_DEP_2)
	v_add_f32_e32 v27, v27, v35
	v_dual_add_f32 v35, v37, v39 :: v_dual_add_f32 v28, v32, v30
	s_delay_alu instid0(VALU_DEP_1) | instskip(NEXT) | instid1(VALU_DEP_1)
	v_dual_mov_b32 v31, v28 :: v_dual_sub_f32 v33, v29, v28
	v_pk_add_f32 v[28:29], v[28:29], v[32:33] neg_lo:[0,1] neg_hi:[0,1]
	s_delay_alu instid0(VALU_DEP_1) | instskip(NEXT) | instid1(VALU_DEP_1)
	v_pk_add_f32 v[28:29], v[28:29], v[30:31] neg_lo:[0,1] neg_hi:[0,1]
	v_add_f32_e32 v27, v27, v29
	s_delay_alu instid0(VALU_DEP_1) | instskip(NEXT) | instid1(VALU_DEP_1)
	v_dual_add_f32 v27, v28, v27 :: v_dual_sub_f32 v28, v35, v37
	v_dual_add_f32 v27, v33, v27 :: v_dual_sub_f32 v28, v39, v28
	s_delay_alu instid0(VALU_DEP_1) | instskip(NEXT) | instid1(VALU_DEP_1)
	v_mul_f32_e32 v27, v36, v27
	v_add_f32_e32 v27, v28, v27
	v_cvt_f32_i32_e32 v28, v9
	s_delay_alu instid0(VALU_DEP_2) | instskip(NEXT) | instid1(VALU_DEP_1)
	v_add_f32_e32 v36, v35, v27
	v_mul_f32_e32 v30, v36, v36
	s_delay_alu instid0(VALU_DEP_1) | instskip(SKIP_2) | instid1(VALU_DEP_3)
	v_fmaak_f32 v31, s26, v30, 0x3ecc95a3
	v_mul_f32_e32 v29, v36, v30
	v_ldexp_f32 v33, v36, 1
	v_fmaak_f32 v9, v30, v31, 0x3f2aaada
	s_delay_alu instid0(VALU_DEP_1) | instskip(NEXT) | instid1(VALU_DEP_1)
	v_pk_mul_f32 v[30:31], v[28:29], v[8:9]
	v_fma_f32 v32, 0x3f317218, v28, -v30
	s_delay_alu instid0(VALU_DEP_1) | instskip(NEXT) | instid1(VALU_DEP_1)
	v_fmac_f32_e32 v32, 0xb102e308, v28
	v_pk_add_f32 v[28:29], v[30:31], v[32:33]
	v_dual_sub_f32 v9, v36, v35 :: v_dual_mov_b32 v36, v30
	s_delay_alu instid0(VALU_DEP_1) | instskip(NEXT) | instid1(VALU_DEP_3)
	v_dual_mov_b32 v44, v29 :: v_dual_sub_f32 v9, v27, v9
	v_dual_sub_f32 v27, v29, v33 :: v_dual_mov_b32 v33, v28
	s_delay_alu instid0(VALU_DEP_2) | instskip(NEXT) | instid1(VALU_DEP_2)
	v_ldexp_f32 v9, v9, 1
	v_sub_f32_e32 v27, v31, v27
	v_pk_add_f32 v[30:31], v[28:29], v[30:31] neg_lo:[0,1] neg_hi:[0,1]
	s_delay_alu instid0(VALU_DEP_2) | instskip(SKIP_2) | instid1(VALU_DEP_3)
	v_add_f32_e32 v37, v9, v27
	v_max_num_f32_e64 v9, |v15|, |v15|
	v_max_num_f32_e64 v27, |v14|, |v14|
	v_pk_add_f32 v[38:39], v[28:29], v[36:37]
	s_delay_alu instid0(VALU_DEP_2) | instskip(NEXT) | instid1(VALU_DEP_2)
	v_dual_max_num_f32 v35, v27, v9 :: v_dual_min_num_f32 v9, v27, v9
	v_mov_b32_e32 v31, v39
	s_delay_alu instid0(VALU_DEP_2) | instskip(SKIP_1) | instid1(VALU_DEP_4)
	v_frexp_exp_i32_f32_e32 v27, v35
	v_frexp_mant_f32_e32 v35, v35
	v_frexp_mant_f32_e32 v46, v9
	s_delay_alu instid0(VALU_DEP_4) | instskip(SKIP_3) | instid1(VALU_DEP_2)
	v_pk_add_f32 v[40:41], v[32:33], v[30:31]
	v_frexp_exp_i32_f32_e32 v40, v9
	v_pk_add_f32 v[30:31], v[32:33], v[30:31] neg_lo:[0,1] neg_hi:[0,1]
	v_rcp_f32_e32 v35, v35
	v_dual_mov_b32 v36, v41 :: v_dual_sub_nc_u32 v27, v40, v27
	s_delay_alu instid0(VALU_DEP_1) | instskip(SKIP_1) | instid1(TRANS32_DEP_1)
	v_pk_add_f32 v[42:43], v[36:37], v[28:29] neg_lo:[0,1] neg_hi:[0,1]
	v_dual_mov_b32 v40, v39 :: v_dual_mov_b32 v29, v28
	v_dual_mov_b32 v28, v37 :: v_dual_mul_f32 v31, v46, v35
	s_delay_alu instid0(VALU_DEP_3) | instskip(NEXT) | instid1(VALU_DEP_1)
	v_dual_mov_b32 v45, v42 :: v_dual_mov_b32 v9, v42
	v_pk_add_f32 v[32:33], v[40:41], v[44:45] neg_lo:[0,1] neg_hi:[0,1]
	s_delay_alu instid0(VALU_DEP_2) | instskip(SKIP_2) | instid1(VALU_DEP_4)
	v_pk_add_f32 v[38:39], v[38:39], v[8:9] neg_lo:[0,1] neg_hi:[0,1]
	v_mov_b32_e32 v38, v30
	v_ldexp_f32 v9, v31, v27
	v_pk_add_f32 v[28:29], v[28:29], v[32:33] neg_lo:[0,1] neg_hi:[0,1]
	s_delay_alu instid0(VALU_DEP_2) | instskip(NEXT) | instid1(VALU_DEP_2)
	v_mul_f32_e32 v27, v9, v9
	v_pk_add_f32 v[32:33], v[38:39], v[28:29]
	s_delay_alu instid0(VALU_DEP_1) | instskip(NEXT) | instid1(VALU_DEP_1)
	v_dual_fmaak_f32 v29, s27, v27, 0xbc7a590c :: v_dual_mov_b32 v38, v33
	v_pk_add_f32 v[38:39], v[32:33], v[38:39]
	s_delay_alu instid0(VALU_DEP_1) | instskip(NEXT) | instid1(VALU_DEP_1)
	v_pk_add_f32 v[36:37], v[36:37], v[38:39]
	v_dual_mov_b32 v31, v41 :: v_dual_mov_b32 v33, v36
	s_delay_alu instid0(VALU_DEP_1) | instskip(NEXT) | instid1(VALU_DEP_1)
	v_pk_add_f32 v[40:41], v[32:33], v[30:31] neg_lo:[0,1] neg_hi:[0,1]
	v_dual_fmaak_f32 v29, v27, v29, 0x3d29fb3f :: v_dual_sub_f32 v32, v32, v40
	s_delay_alu instid0(VALU_DEP_1) | instskip(NEXT) | instid1(VALU_DEP_1)
	v_dual_fmaak_f32 v29, v27, v29, 0xbd97d4d7 :: v_dual_sub_f32 v30, v30, v32
	v_fmaak_f32 v29, v27, v29, 0x3dd931b2
	s_delay_alu instid0(VALU_DEP_1) | instskip(SKIP_1) | instid1(VALU_DEP_1)
	v_fmaak_f32 v31, v27, v29, 0xbe1160e6
	v_mov_b32_e32 v29, v38
	v_pk_add_f32 v[28:29], v[28:29], v[40:41] neg_lo:[0,1] neg_hi:[0,1]
	s_delay_alu instid0(VALU_DEP_1) | instskip(NEXT) | instid1(VALU_DEP_1)
	v_add_f32_e32 v28, v28, v30
	v_dual_add_f32 v28, v28, v29 :: v_dual_fmaak_f32 v31, v27, v31, 0x3e4cb8bf
	s_delay_alu instid0(VALU_DEP_1) | instskip(NEXT) | instid1(VALU_DEP_1)
	v_fmaak_f32 v31, v27, v31, 0xbeaaaa62
	v_mul_f32_e32 v27, v27, v31
	s_delay_alu instid0(VALU_DEP_1) | instskip(NEXT) | instid1(VALU_DEP_1)
	v_dual_fmac_f32 v9, v9, v27 :: v_dual_add_f32 v27, v36, v28
	v_sub_f32_e32 v28, 0x3fc90fdb, v9
	s_delay_alu instid0(VALU_DEP_2) | instskip(SKIP_1) | instid1(VALU_DEP_3)
	v_cndmask_b32_e32 v27, 0x7f800000, v27, vcc_lo
	v_cmp_gt_i32_e32 vcc_lo, 0, v14
	v_cndmask_b32_e64 v9, v9, v28, s4
	v_cndmask_b32_e64 v28, 0, 0x40490fdb, vcc_lo
	v_cmp_ngt_f32_e32 vcc_lo, -1.0, v26
	s_delay_alu instid0(VALU_DEP_3) | instskip(SKIP_2) | instid1(VALU_DEP_2)
	v_sub_f32_e32 v29, 0x40490fdb, v9
	v_cndmask_b32_e32 v27, 0x7fc00000, v27, vcc_lo
	v_cmp_gt_f32_e32 vcc_lo, 0, v14
	v_cndmask_b32_e64 v14, 0xff800000, v27, s5
	s_delay_alu instid0(VALU_DEP_4)
	v_cndmask_b32_e32 v9, v9, v29, vcc_lo
	v_cndmask_b32_e32 v27, 0x3f490fdb, v34, vcc_lo
	v_cmp_gt_f32_e64 vcc_lo, 0x33800000, |v26|
	v_cmp_class_f32_e64 s5, v15, 0x204
	v_cndmask_b32_e32 v14, v14, v26, vcc_lo
	v_cmp_eq_f32_e32 vcc_lo, 0, v15
	s_delay_alu instid0(VALU_DEP_2) | instskip(SKIP_1) | instid1(VALU_DEP_1)
	v_dual_mul_f32 v26, 0.5, v14 :: v_dual_cndmask_b32 v9, v9, v28
	s_and_b32 vcc_lo, s5, s6
	v_cndmask_b32_e32 v27, v9, v27, vcc_lo
.LBB168_166:                            ;   in Loop: Header=BB168_145 Depth=1
	s_or_b32 exec_lo, exec_lo, s34
.LBB168_167:                            ;   in Loop: Header=BB168_145 Depth=1
	s_delay_alu instid0(SALU_CYCLE_1)
	s_or_b32 exec_lo, exec_lo, s33
.LBB168_168:                            ;   in Loop: Header=BB168_145 Depth=1
	s_and_not1_saveexec_b32 s6, s31
	s_cbranch_execz .LBB168_170
; %bb.169:                              ;   in Loop: Header=BB168_145 Depth=1
	v_max_num_f32_e64 v9, |v15|, |v15|
	v_max_num_f32_e64 v28, |v14|, |v14|
	v_cmp_gt_i32_e64 s5, 0, v14
	v_cmp_class_f32_e64 s7, v14, 0x204
	v_cmp_class_f32_e64 s8, v15, 0x204
	s_delay_alu instid0(VALU_DEP_4) | instskip(NEXT) | instid1(VALU_DEP_1)
	v_dual_max_num_f32 v29, v28, v9 :: v_dual_min_num_f32 v9, v28, v9
	v_cvt_f64_f32_e32 v[26:27], v29
	v_frexp_exp_i32_f32_e32 v28, v29
	s_delay_alu instid0(VALU_DEP_3) | instskip(SKIP_4) | instid1(VALU_DEP_1)
	v_frexp_exp_i32_f32_e32 v30, v9
	v_frexp_mant_f32_e32 v9, v9
	v_cmp_neq_f32_e32 vcc_lo, 0x7f800000, v29
	v_frexp_exp_i32_f64_e32 v26, v[26:27]
	v_frexp_mant_f32_e32 v27, v29
	v_rcp_f32_e32 v27, v27
	v_nop
	s_delay_alu instid0(TRANS32_DEP_1) | instskip(NEXT) | instid1(VALU_DEP_1)
	v_dual_mul_f32 v9, v9, v27 :: v_dual_sub_nc_u32 v28, v30, v28
	v_ldexp_f32 v9, v9, v28
	s_delay_alu instid0(VALU_DEP_1) | instskip(NEXT) | instid1(VALU_DEP_1)
	v_dual_mul_f32 v28, v9, v9 :: v_dual_sub_nc_u32 v27, 0, v26
	v_ldexp_f32 v30, |v15|, v27
	s_delay_alu instid0(VALU_DEP_2) | instskip(SKIP_1) | instid1(VALU_DEP_2)
	v_fmaak_f32 v31, s27, v28, 0xbc7a590c
	v_ldexp_f32 v27, |v14|, v27
	v_dual_mul_f32 v30, v30, v30 :: v_dual_fmaak_f32 v31, v28, v31, 0x3d29fb3f
	s_delay_alu instid0(VALU_DEP_1) | instskip(NEXT) | instid1(VALU_DEP_2)
	v_fmac_f32_e32 v30, v27, v27
	v_fmaak_f32 v27, v28, v31, 0xbd97d4d7
	s_delay_alu instid0(VALU_DEP_1) | instskip(NEXT) | instid1(VALU_DEP_3)
	v_fmaak_f32 v27, v28, v27, 0x3dd931b2
	v_sqrt_f32_e32 v30, v30
	s_delay_alu instid0(VALU_DEP_1) | instskip(NEXT) | instid1(TRANS32_DEP_1)
	v_fmaak_f32 v27, v28, v27, 0xbe1160e6
	v_ldexp_f32 v26, v30, v26
	s_delay_alu instid0(VALU_DEP_2) | instskip(NEXT) | instid1(VALU_DEP_1)
	v_fmaak_f32 v27, v28, v27, 0x3e4cb8bf
	v_fmaak_f32 v27, v28, v27, 0xbeaaaa62
	s_delay_alu instid0(VALU_DEP_1) | instskip(NEXT) | instid1(VALU_DEP_1)
	v_dual_cndmask_b32 v26, 0x7f800000, v26 :: v_dual_mul_f32 v27, v28, v27
	v_cmp_gt_f32_e32 vcc_lo, 0x800000, v26
	v_cndmask_b32_e64 v29, 0, 32, vcc_lo
	s_delay_alu instid0(VALU_DEP_1) | instskip(NEXT) | instid1(VALU_DEP_1)
	v_ldexp_f32 v26, v26, v29
	v_log_f32_e32 v26, v26
	v_fmac_f32_e32 v9, v9, v27
	s_delay_alu instid0(VALU_DEP_1) | instskip(NEXT) | instid1(TRANS32_DEP_1)
	v_sub_f32_e32 v28, 0x3fc90fdb, v9
	v_mul_f32_e32 v27, 0x3f317217, v26
	s_delay_alu instid0(VALU_DEP_2) | instskip(NEXT) | instid1(VALU_DEP_2)
	v_cndmask_b32_e64 v9, v9, v28, s4
	v_fma_f32 v27, 0x3f317217, v26, -v27
	v_cndmask_b32_e64 v28, 0, 0x40490fdb, s5
	v_cmp_gt_f32_e64 s5, 0, v14
	s_delay_alu instid0(VALU_DEP_4) | instskip(NEXT) | instid1(VALU_DEP_4)
	v_sub_f32_e32 v29, 0x40490fdb, v9
	v_fmac_f32_e32 v27, 0x3377d1cf, v26
	s_delay_alu instid0(VALU_DEP_3) | instskip(NEXT) | instid1(VALU_DEP_3)
	v_cndmask_b32_e64 v14, 0x3f490fdb, v34, s5
	v_cndmask_b32_e64 v9, v9, v29, s5
	s_delay_alu instid0(VALU_DEP_3) | instskip(SKIP_2) | instid1(VALU_DEP_3)
	v_fmac_f32_e32 v27, 0x3f317217, v26
	v_cndmask_b32_e64 v29, 0, 0x41b17218, vcc_lo
	v_cmp_gt_f32_e64 vcc_lo, 0x7f800000, |v26|
	v_cndmask_b32_e32 v26, v26, v27, vcc_lo
	v_cmp_eq_f32_e32 vcc_lo, 0, v15
	s_delay_alu instid0(VALU_DEP_2) | instskip(SKIP_1) | instid1(VALU_DEP_1)
	v_dual_sub_f32 v26, v26, v29 :: v_dual_cndmask_b32 v9, v9, v28
	s_and_b32 vcc_lo, s8, s7
	v_cndmask_b32_e32 v27, v9, v14, vcc_lo
.LBB168_170:                            ;   in Loop: Header=BB168_145 Depth=1
	s_or_b32 exec_lo, exec_lo, s6
                                        ; implicit-def: $vgpr28
.LBB168_171:                            ;   in Loop: Header=BB168_145 Depth=1
	s_and_not1_saveexec_b32 s6, s30
	s_cbranch_execz .LBB168_177
; %bb.172:                              ;   in Loop: Header=BB168_145 Depth=1
                                        ; implicit-def: $vgpr26
                                        ; implicit-def: $vgpr27
	s_mov_b32 s5, exec_lo
	v_cmpx_ngt_f32_e32 0x1fec1e4a, v28
	s_xor_b32 s7, exec_lo, s5
	s_cbranch_execz .LBB168_174
; %bb.173:                              ;   in Loop: Header=BB168_145 Depth=1
	v_pk_mul_f32 v[26:27], v[28:29], v[28:29]
	v_max_num_f32_e64 v40, |v14|, |v14|
	v_cmp_class_f32_e64 s8, v14, 0x204
	s_delay_alu instid0(VALU_DEP_3) | instskip(SKIP_1) | instid1(VALU_DEP_2)
	v_add_f32_e32 v29, 1.0, v26
	v_cmp_neq_f32_e64 s5, 0x7f800000, v26
	v_frexp_mant_f32_e32 v28, v29
	v_add_f32_e32 v27, -1.0, v29
	s_delay_alu instid0(VALU_DEP_2) | instskip(NEXT) | instid1(VALU_DEP_2)
	v_cmp_gt_f32_e32 vcc_lo, 0x3f2aaaab, v28
	v_mov_b32_e32 v28, v27
	v_cvt_f64_f32_e32 v[30:31], v29
	s_delay_alu instid0(VALU_DEP_1) | instskip(NEXT) | instid1(VALU_DEP_3)
	v_frexp_exp_i32_f64_e32 v9, v[30:31]
	v_pk_add_f32 v[30:31], v[26:27], v[28:29] neg_lo:[0,1] neg_hi:[0,1]
	s_delay_alu instid0(VALU_DEP_1) | instskip(NEXT) | instid1(VALU_DEP_3)
	v_add_f32_e32 v28, 1.0, v31
	v_subrev_co_ci_u32_e64 v9, null, 0, v9, vcc_lo
	v_cmp_gt_i32_e32 vcc_lo, 0, v14
	s_delay_alu instid0(VALU_DEP_2) | instskip(NEXT) | instid1(VALU_DEP_1)
	v_sub_nc_u32_e32 v32, 0, v9
	v_ldexp_f32 v27, v29, v32
	s_delay_alu instid0(VALU_DEP_1) | instskip(NEXT) | instid1(VALU_DEP_1)
	v_dual_add_f32 v31, 1.0, v27 :: v_dual_add_f32 v28, v30, v28
	v_add_f32_e32 v29, -1.0, v31
	v_add_f32_e32 v33, -1.0, v27
	s_delay_alu instid0(VALU_DEP_3) | instskip(NEXT) | instid1(VALU_DEP_3)
	v_ldexp_f32 v28, v28, v32
	v_sub_f32_e32 v29, v27, v29
	s_delay_alu instid0(VALU_DEP_1) | instskip(NEXT) | instid1(VALU_DEP_1)
	v_add_f32_e32 v32, v28, v29
	v_dual_add_f32 v30, 1.0, v33 :: v_dual_add_f32 v35, v31, v32
	s_delay_alu instid0(VALU_DEP_1) | instskip(NEXT) | instid1(VALU_DEP_2)
	v_sub_f32_e32 v27, v27, v30
	v_rcp_f32_e32 v36, v35
	s_delay_alu instid0(VALU_DEP_1) | instskip(NEXT) | instid1(VALU_DEP_1)
	v_add_f32_e32 v27, v28, v27
	v_add_f32_e32 v29, v33, v27
	s_delay_alu instid0(TRANS32_DEP_1) | instid1(VALU_DEP_1)
	v_mul_f32_e32 v37, v29, v36
	s_delay_alu instid0(VALU_DEP_1) | instskip(SKIP_1) | instid1(VALU_DEP_1)
	v_mul_f32_e32 v30, v35, v37
	v_dual_sub_f32 v28, v31, v35 :: v_dual_sub_f32 v39, v33, v29
	v_dual_add_f32 v38, v32, v28 :: v_dual_fma_f32 v32, v37, v35, -v30
	s_delay_alu instid0(VALU_DEP_1) | instskip(NEXT) | instid1(VALU_DEP_1)
	v_dual_add_f32 v27, v27, v39 :: v_dual_fmac_f32 v32, v37, v38
	v_add_f32_e32 v28, v30, v32
	s_delay_alu instid0(VALU_DEP_1) | instskip(NEXT) | instid1(VALU_DEP_1)
	v_dual_sub_f32 v31, v29, v28 :: v_dual_mov_b32 v33, v28
	v_pk_add_f32 v[28:29], v[28:29], v[30:31] neg_lo:[0,1] neg_hi:[0,1]
	s_delay_alu instid0(VALU_DEP_1) | instskip(NEXT) | instid1(VALU_DEP_1)
	v_pk_add_f32 v[28:29], v[28:29], v[32:33] neg_lo:[0,1] neg_hi:[0,1]
	v_add_f32_e32 v27, v27, v29
	s_delay_alu instid0(VALU_DEP_1) | instskip(NEXT) | instid1(VALU_DEP_1)
	v_add_f32_e32 v27, v28, v27
	v_add_f32_e32 v29, v31, v27
	s_delay_alu instid0(VALU_DEP_1) | instskip(NEXT) | instid1(VALU_DEP_1)
	v_mul_f32_e32 v39, v36, v29
	v_mul_f32_e32 v32, v35, v39
	s_delay_alu instid0(VALU_DEP_1) | instskip(SKIP_1) | instid1(VALU_DEP_2)
	v_fma_f32 v30, v39, v35, -v32
	v_sub_f32_e32 v35, v31, v29
	v_fmac_f32_e32 v30, v39, v38
	s_delay_alu instid0(VALU_DEP_2) | instskip(NEXT) | instid1(VALU_DEP_2)
	v_add_f32_e32 v27, v27, v35
	v_dual_add_f32 v35, v37, v39 :: v_dual_add_f32 v28, v32, v30
	s_delay_alu instid0(VALU_DEP_1) | instskip(NEXT) | instid1(VALU_DEP_1)
	v_dual_mov_b32 v31, v28 :: v_dual_sub_f32 v33, v29, v28
	v_pk_add_f32 v[28:29], v[28:29], v[32:33] neg_lo:[0,1] neg_hi:[0,1]
	s_delay_alu instid0(VALU_DEP_1) | instskip(NEXT) | instid1(VALU_DEP_1)
	v_pk_add_f32 v[28:29], v[28:29], v[30:31] neg_lo:[0,1] neg_hi:[0,1]
	v_add_f32_e32 v27, v27, v29
	s_delay_alu instid0(VALU_DEP_1) | instskip(NEXT) | instid1(VALU_DEP_1)
	v_dual_add_f32 v27, v28, v27 :: v_dual_sub_f32 v28, v35, v37
	v_dual_add_f32 v27, v33, v27 :: v_dual_sub_f32 v28, v39, v28
	s_delay_alu instid0(VALU_DEP_1) | instskip(NEXT) | instid1(VALU_DEP_1)
	v_mul_f32_e32 v27, v36, v27
	v_add_f32_e32 v27, v28, v27
	v_cvt_f32_i32_e32 v28, v9
	s_delay_alu instid0(VALU_DEP_2) | instskip(NEXT) | instid1(VALU_DEP_1)
	v_add_f32_e32 v36, v35, v27
	v_mul_f32_e32 v30, v36, v36
	s_delay_alu instid0(VALU_DEP_1) | instskip(SKIP_2) | instid1(VALU_DEP_3)
	v_fmaak_f32 v31, s26, v30, 0x3ecc95a3
	v_mul_f32_e32 v29, v36, v30
	v_ldexp_f32 v33, v36, 1
	v_fmaak_f32 v9, v30, v31, 0x3f2aaada
	s_delay_alu instid0(VALU_DEP_1) | instskip(NEXT) | instid1(VALU_DEP_1)
	v_pk_mul_f32 v[30:31], v[28:29], v[8:9]
	v_fma_f32 v32, 0x3f317218, v28, -v30
	s_delay_alu instid0(VALU_DEP_1) | instskip(NEXT) | instid1(VALU_DEP_1)
	v_fmac_f32_e32 v32, 0xb102e308, v28
	v_pk_add_f32 v[28:29], v[30:31], v[32:33]
	v_dual_sub_f32 v9, v36, v35 :: v_dual_mov_b32 v36, v30
	v_max_num_f32_e64 v35, |v15|, |v15|
	s_delay_alu instid0(VALU_DEP_2) | instskip(NEXT) | instid1(VALU_DEP_4)
	v_sub_f32_e32 v9, v27, v9
	v_dual_sub_f32 v27, v29, v33 :: v_dual_mov_b32 v33, v28
	s_delay_alu instid0(VALU_DEP_2) | instskip(NEXT) | instid1(VALU_DEP_2)
	v_ldexp_f32 v9, v9, 1
	v_sub_f32_e32 v27, v31, v27
	v_pk_add_f32 v[30:31], v[28:29], v[30:31] neg_lo:[0,1] neg_hi:[0,1]
	s_delay_alu instid0(VALU_DEP_2) | instskip(SKIP_1) | instid1(VALU_DEP_2)
	v_add_f32_e32 v37, v9, v27
	v_dual_max_num_f32 v9, v40, v35 :: v_dual_min_num_f32 v35, v40, v35
	v_pk_add_f32 v[38:39], v[28:29], v[36:37]
	s_delay_alu instid0(VALU_DEP_2) | instskip(SKIP_1) | instid1(VALU_DEP_3)
	v_frexp_mant_f32_e32 v27, v9
	v_frexp_exp_i32_f32_e32 v9, v9
	v_dual_mov_b32 v44, v29 :: v_dual_mov_b32 v31, v39
	s_delay_alu instid0(VALU_DEP_3) | instskip(NEXT) | instid1(VALU_DEP_1)
	v_rcp_f32_e32 v27, v27
	v_pk_add_f32 v[40:41], v[32:33], v[30:31]
	v_frexp_exp_i32_f32_e32 v40, v35
	v_frexp_mant_f32_e32 v35, v35
	v_pk_add_f32 v[30:31], v[32:33], v[30:31] neg_lo:[0,1] neg_hi:[0,1]
	s_delay_alu instid0(VALU_DEP_3)
	v_dual_mov_b32 v36, v41 :: v_dual_sub_nc_u32 v9, v40, v9
	s_delay_alu instid0(TRANS32_DEP_1) | instid1(VALU_DEP_3)
	v_mul_f32_e32 v27, v35, v27
	v_mov_b32_e32 v40, v39
	s_delay_alu instid0(VALU_DEP_3) | instskip(SKIP_1) | instid1(VALU_DEP_4)
	v_pk_add_f32 v[42:43], v[36:37], v[28:29] neg_lo:[0,1] neg_hi:[0,1]
	v_mov_b32_e32 v29, v28
	v_ldexp_f32 v27, v27, v9
	s_delay_alu instid0(VALU_DEP_3) | instskip(NEXT) | instid1(VALU_DEP_2)
	v_dual_mov_b32 v28, v37 :: v_dual_mov_b32 v9, v42
	v_dual_mov_b32 v45, v42 :: v_dual_mul_f32 v35, v27, v27
	s_delay_alu instid0(VALU_DEP_2) | instskip(NEXT) | instid1(VALU_DEP_2)
	v_pk_add_f32 v[38:39], v[38:39], v[8:9] neg_lo:[0,1] neg_hi:[0,1]
	v_pk_add_f32 v[32:33], v[40:41], v[44:45] neg_lo:[0,1] neg_hi:[0,1]
	v_mov_b32_e32 v38, v30
	s_delay_alu instid0(VALU_DEP_2) | instskip(NEXT) | instid1(VALU_DEP_1)
	v_pk_add_f32 v[28:29], v[28:29], v[32:33] neg_lo:[0,1] neg_hi:[0,1]
	v_pk_add_f32 v[32:33], v[38:39], v[28:29]
	s_delay_alu instid0(VALU_DEP_1) | instskip(NEXT) | instid1(VALU_DEP_1)
	v_dual_fmaak_f32 v9, s27, v35, 0xbc7a590c :: v_dual_mov_b32 v38, v33
	v_pk_add_f32 v[38:39], v[32:33], v[38:39]
	s_delay_alu instid0(VALU_DEP_1) | instskip(NEXT) | instid1(VALU_DEP_1)
	v_pk_add_f32 v[36:37], v[36:37], v[38:39]
	v_dual_mov_b32 v31, v41 :: v_dual_mov_b32 v33, v36
	s_delay_alu instid0(VALU_DEP_1) | instskip(NEXT) | instid1(VALU_DEP_1)
	v_pk_add_f32 v[40:41], v[32:33], v[30:31] neg_lo:[0,1] neg_hi:[0,1]
	v_dual_mov_b32 v29, v38 :: v_dual_sub_f32 v31, v32, v40
	v_fmaak_f32 v9, v35, v9, 0x3d29fb3f
	s_delay_alu instid0(VALU_DEP_2) | instskip(NEXT) | instid1(VALU_DEP_2)
	v_pk_add_f32 v[28:29], v[28:29], v[40:41] neg_lo:[0,1] neg_hi:[0,1]
	v_dual_sub_f32 v30, v30, v31 :: v_dual_fmaak_f32 v9, v35, v9, 0xbd97d4d7
	s_delay_alu instid0(VALU_DEP_1) | instskip(NEXT) | instid1(VALU_DEP_1)
	v_fmaak_f32 v9, v35, v9, 0x3dd931b2
	v_fmaak_f32 v9, v35, v9, 0xbe1160e6
	s_delay_alu instid0(VALU_DEP_1) | instskip(NEXT) | instid1(VALU_DEP_1)
	v_fmaak_f32 v9, v35, v9, 0x3e4cb8bf
	v_fmaak_f32 v9, v35, v9, 0xbeaaaa62
	s_delay_alu instid0(VALU_DEP_1) | instskip(NEXT) | instid1(VALU_DEP_1)
	v_mul_f32_e32 v9, v35, v9
	v_dual_fmac_f32 v27, v27, v9 :: v_dual_add_f32 v9, v28, v30
	s_delay_alu instid0(VALU_DEP_1) | instskip(NEXT) | instid1(VALU_DEP_1)
	v_dual_sub_f32 v28, 0x3fc90fdb, v27 :: v_dual_add_f32 v9, v9, v29
	v_cndmask_b32_e64 v27, v27, v28, s4
	v_cndmask_b32_e64 v28, 0, 0x40490fdb, vcc_lo
	v_cmp_gt_f32_e32 vcc_lo, 0, v14
	s_delay_alu instid0(VALU_DEP_3) | instskip(NEXT) | instid1(VALU_DEP_1)
	v_sub_f32_e32 v29, 0x40490fdb, v27
	v_cndmask_b32_e32 v14, v27, v29, vcc_lo
	v_cndmask_b32_e32 v27, 0x3f490fdb, v34, vcc_lo
	v_add_f32_e32 v9, v36, v9
	v_cmp_gt_f32_e64 vcc_lo, 0x33800000, |v26|
	s_delay_alu instid0(VALU_DEP_2) | instskip(SKIP_1) | instid1(VALU_DEP_2)
	v_cndmask_b32_e64 v9, 0x7f800000, v9, s5
	v_cmp_class_f32_e64 s5, v15, 0x204
	v_cndmask_b32_e32 v9, v9, v26, vcc_lo
	v_cmp_eq_f32_e32 vcc_lo, 0, v15
	s_delay_alu instid0(VALU_DEP_2) | instskip(SKIP_1) | instid1(VALU_DEP_1)
	v_dual_mul_f32 v26, 0.5, v9 :: v_dual_cndmask_b32 v14, v14, v28, vcc_lo
	s_and_b32 vcc_lo, s5, s8
                                        ; implicit-def: $vgpr28
	v_cndmask_b32_e32 v27, v14, v27, vcc_lo
.LBB168_174:                            ;   in Loop: Header=BB168_145 Depth=1
	s_and_not1_saveexec_b32 s7, s7
	s_cbranch_execz .LBB168_176
; %bb.175:                              ;   in Loop: Header=BB168_145 Depth=1
	v_max_num_f32_e64 v9, |v15|, |v15|
	v_max_num_f32_e64 v26, |v14|, |v14|
	v_cmp_eq_f32_e64 s5, 0, v15
	v_cmp_gt_i32_e32 vcc_lo, 0, v14
	v_cmp_class_f32_e64 s8, v14, 0x204
	v_cmp_class_f32_e64 s9, v15, 0x204
	v_dual_max_num_f32 v27, v26, v9 :: v_dual_min_num_f32 v9, v26, v9
	s_delay_alu instid0(VALU_DEP_1) | instskip(SKIP_1) | instid1(VALU_DEP_2)
	v_frexp_mant_f32_e32 v29, v27
	v_frexp_exp_i32_f32_e32 v26, v27
	v_rcp_f32_e32 v27, v29
	v_nop
	v_frexp_exp_i32_f32_e32 v29, v9
	v_frexp_mant_f32_e32 v9, v9
	s_delay_alu instid0(VALU_DEP_2)
	v_sub_nc_u32_e32 v26, v29, v26
	s_delay_alu instid0(TRANS32_DEP_1) | instid1(VALU_DEP_2)
	v_mul_f32_e32 v9, v9, v27
	s_delay_alu instid0(VALU_DEP_1) | instskip(NEXT) | instid1(VALU_DEP_1)
	v_ldexp_f32 v9, v9, v26
	v_mul_f32_e32 v26, v9, v9
	s_delay_alu instid0(VALU_DEP_1) | instskip(NEXT) | instid1(VALU_DEP_1)
	v_fmaak_f32 v27, s27, v26, 0xbc7a590c
	v_fmaak_f32 v27, v26, v27, 0x3d29fb3f
	s_delay_alu instid0(VALU_DEP_1) | instskip(NEXT) | instid1(VALU_DEP_1)
	v_fmaak_f32 v27, v26, v27, 0xbd97d4d7
	v_fmaak_f32 v27, v26, v27, 0x3dd931b2
	;; [unrolled: 3-line block ×3, first 2 shown]
	s_delay_alu instid0(VALU_DEP_1) | instskip(NEXT) | instid1(VALU_DEP_1)
	v_fmaak_f32 v27, v26, v27, 0xbeaaaa62
	v_mul_f32_e32 v26, v26, v27
	v_cndmask_b32_e64 v27, 0, 0x40490fdb, vcc_lo
	v_cmp_gt_f32_e32 vcc_lo, 0, v14
	s_delay_alu instid0(VALU_DEP_3) | instskip(SKIP_1) | instid1(VALU_DEP_2)
	v_fmac_f32_e32 v9, v9, v26
	v_cndmask_b32_e32 v14, 0x3f490fdb, v34, vcc_lo
	v_sub_f32_e32 v26, 0x3fc90fdb, v9
	s_delay_alu instid0(VALU_DEP_1) | instskip(NEXT) | instid1(VALU_DEP_1)
	v_cndmask_b32_e64 v9, v9, v26, s4
	v_sub_f32_e32 v26, 0x40490fdb, v9
	s_delay_alu instid0(VALU_DEP_1) | instskip(SKIP_1) | instid1(VALU_DEP_1)
	v_dual_cndmask_b32 v9, v9, v26 :: v_dual_mul_f32 v26, 0.5, v28
	s_and_b32 vcc_lo, s9, s8
	v_dual_cndmask_b32 v9, v9, v27, s5 :: v_dual_mul_f32 v26, v28, v26
	s_delay_alu instid0(VALU_DEP_1)
	v_cndmask_b32_e32 v27, v9, v14, vcc_lo
.LBB168_176:                            ;   in Loop: Header=BB168_145 Depth=1
	s_or_b32 exec_lo, exec_lo, s7
.LBB168_177:                            ;   in Loop: Header=BB168_145 Depth=1
	s_delay_alu instid0(SALU_CYCLE_1)
	s_or_b32 exec_lo, exec_lo, s6
.LBB168_178:                            ;   in Loop: Header=BB168_145 Depth=1
	s_and_not1_saveexec_b32 s6, s29
	s_cbranch_execz .LBB168_180
; %bb.179:                              ;   in Loop: Header=BB168_145 Depth=1
	v_div_scale_f32 v9, null, 0x402df854, 0x402df854, v14
	v_div_scale_f32 v26, null, 0x402df854, 0x402df854, v15
	v_div_scale_f32 v31, vcc_lo, v14, 0x402df854, v14
	s_delay_alu instid0(VALU_DEP_3) | instskip(NEXT) | instid1(VALU_DEP_2)
	v_rcp_f32_e32 v27, v9
	v_rcp_f32_e32 v28, v26
	v_cmp_class_f32_e64 s7, v15, 0x204
	s_delay_alu instid0(TRANS32_DEP_2) | instskip(NEXT) | instid1(TRANS32_DEP_1)
	v_fma_f32 v29, -v9, v27, 1.0
	v_fma_f32 v30, -v26, v28, 1.0
	s_delay_alu instid0(VALU_DEP_1) | instskip(SKIP_1) | instid1(VALU_DEP_1)
	v_dual_fmac_f32 v27, v29, v27 :: v_dual_fmac_f32 v28, v30, v28
	v_div_scale_f32 v29, s5, v15, 0x402df854, v15
	v_dual_mul_f32 v30, v31, v27 :: v_dual_mul_f32 v32, v29, v28
	s_delay_alu instid0(VALU_DEP_1) | instskip(NEXT) | instid1(VALU_DEP_1)
	v_dual_fma_f32 v33, -v9, v30, v31 :: v_dual_fma_f32 v35, -v26, v32, v29
	v_dual_fmac_f32 v30, v33, v27 :: v_dual_fmac_f32 v32, v35, v28
	s_delay_alu instid0(VALU_DEP_1) | instskip(NEXT) | instid1(VALU_DEP_1)
	v_dual_fma_f32 v9, -v9, v30, v31 :: v_dual_fma_f32 v26, -v26, v32, v29
	v_div_fmas_f32 v9, v9, v27, v30
	s_mov_b32 vcc_lo, s5
	v_max_num_f32_e64 v30, |v14|, |v14|
	s_delay_alu instid0(VALU_DEP_3) | instskip(SKIP_2) | instid1(VALU_DEP_3)
	v_div_fmas_f32 v26, v26, v28, v32
	v_cmp_class_f32_e64 s5, v14, 0x204
	v_div_fixup_f32 v9, v9, 0x402df854, v14
	v_div_fixup_f32 v28, v26, 0x402df854, v15
	s_delay_alu instid0(VALU_DEP_1) | instskip(NEXT) | instid1(VALU_DEP_1)
	v_max_num_f32_e64 v29, |v9|, |v28|
	v_cvt_f64_f32_e32 v[26:27], v29
	v_cmp_neq_f32_e32 vcc_lo, 0x7f800000, v29
	s_delay_alu instid0(VALU_DEP_2) | instskip(SKIP_1) | instid1(VALU_DEP_1)
	v_frexp_exp_i32_f64_e32 v26, v[26:27]
	v_max_num_f32_e64 v27, |v15|, |v15|
	v_dual_max_num_f32 v31, v30, v27 :: v_dual_min_num_f32 v27, v30, v27
	s_delay_alu instid0(VALU_DEP_1) | instskip(SKIP_1) | instid1(VALU_DEP_2)
	v_frexp_mant_f32_e32 v32, v31
	v_frexp_exp_i32_f32_e32 v30, v31
	v_rcp_f32_e32 v31, v32
	v_nop
	v_frexp_exp_i32_f32_e32 v32, v27
	v_frexp_mant_f32_e32 v27, v27
	s_delay_alu instid0(TRANS32_DEP_1) | instid1(VALU_DEP_1)
	v_dual_mul_f32 v27, v27, v31 :: v_dual_sub_nc_u32 v30, v32, v30
	s_delay_alu instid0(VALU_DEP_1) | instskip(NEXT) | instid1(VALU_DEP_1)
	v_ldexp_f32 v27, v27, v30
	v_dual_mul_f32 v30, v27, v27 :: v_dual_sub_nc_u32 v31, 0, v26
	s_delay_alu instid0(VALU_DEP_1) | instskip(SKIP_1) | instid1(VALU_DEP_2)
	v_ldexp_f32 v28, |v28|, v31
	v_ldexp_f32 v9, |v9|, v31
	v_dual_fmaak_f32 v31, s27, v30, 0xbc7a590c :: v_dual_mul_f32 v28, v28, v28
	s_delay_alu instid0(VALU_DEP_1) | instskip(NEXT) | instid1(VALU_DEP_1)
	v_dual_fmac_f32 v28, v9, v9 :: v_dual_fmaak_f32 v9, v30, v31, 0x3d29fb3f
	v_sqrt_f32_e32 v28, v28
	s_delay_alu instid0(VALU_DEP_1) | instskip(NEXT) | instid1(VALU_DEP_1)
	v_fmaak_f32 v9, v30, v9, 0xbd97d4d7
	v_fmaak_f32 v9, v30, v9, 0x3dd931b2
	s_delay_alu instid0(TRANS32_DEP_1) | instskip(NEXT) | instid1(VALU_DEP_2)
	v_ldexp_f32 v26, v28, v26
	v_fmaak_f32 v9, v30, v9, 0xbe1160e6
	s_delay_alu instid0(VALU_DEP_1) | instskip(NEXT) | instid1(VALU_DEP_1)
	v_fmaak_f32 v9, v30, v9, 0x3e4cb8bf
	v_fmaak_f32 v9, v30, v9, 0xbeaaaa62
	s_delay_alu instid0(VALU_DEP_1) | instskip(NEXT) | instid1(VALU_DEP_1)
	v_dual_cndmask_b32 v26, 0x7f800000, v26 :: v_dual_mul_f32 v9, v30, v9
	v_cmp_gt_f32_e32 vcc_lo, 0x800000, v26
	s_delay_alu instid0(VALU_DEP_2) | instskip(SKIP_2) | instid1(VALU_DEP_2)
	v_fmac_f32_e32 v27, v27, v9
	v_cndmask_b32_e64 v28, 0, 32, vcc_lo
	v_cndmask_b32_e64 v30, 0, 0x41b17218, vcc_lo
	v_ldexp_f32 v26, v26, v28
	s_delay_alu instid0(VALU_DEP_1) | instskip(SKIP_1) | instid1(TRANS32_DEP_1)
	v_log_f32_e32 v26, v26
	v_nop
	v_mul_f32_e32 v28, 0x3f317217, v26
	v_cmp_gt_f32_e64 vcc_lo, 0x7f800000, |v26|
	s_delay_alu instid0(VALU_DEP_2) | instskip(NEXT) | instid1(VALU_DEP_1)
	v_fma_f32 v9, 0x3f317217, v26, -v28
	v_fmac_f32_e32 v9, 0x3377d1cf, v26
	s_delay_alu instid0(VALU_DEP_1) | instskip(NEXT) | instid1(VALU_DEP_1)
	v_fmac_f32_e32 v9, 0x3f317217, v26
	v_dual_sub_f32 v28, 0x3fc90fdb, v27 :: v_dual_cndmask_b32 v9, v26, v9
	s_delay_alu instid0(VALU_DEP_1) | instskip(SKIP_2) | instid1(VALU_DEP_4)
	v_cndmask_b32_e64 v27, v27, v28, s4
	v_cmp_gt_i32_e64 s4, 0, v14
	v_cmp_eq_f32_e32 vcc_lo, 0, v15
	v_sub_f32_e32 v9, v9, v30
	s_delay_alu instid0(VALU_DEP_4) | instskip(NEXT) | instid1(VALU_DEP_4)
	v_sub_f32_e32 v29, 0x40490fdb, v27
	v_cndmask_b32_e64 v28, 0, 0x40490fdb, s4
	v_cmp_gt_f32_e64 s4, 0, v14
	s_delay_alu instid0(VALU_DEP_4) | instskip(NEXT) | instid1(VALU_DEP_2)
	v_add_f32_e32 v26, 1.0, v9
	v_cndmask_b32_e64 v14, v27, v29, s4
	v_cndmask_b32_e64 v27, 0x3f490fdb, v34, s4
	s_delay_alu instid0(VALU_DEP_2) | instskip(SKIP_1) | instid1(VALU_DEP_1)
	v_cndmask_b32_e32 v14, v14, v28, vcc_lo
	s_and_b32 vcc_lo, s7, s5
	v_cndmask_b32_e32 v27, v14, v27, vcc_lo
.LBB168_180:                            ;   in Loop: Header=BB168_145 Depth=1
	s_or_b32 exec_lo, exec_lo, s6
.LBB168_181:                            ;   in Loop: Header=BB168_145 Depth=1
	s_and_not1_saveexec_b32 s4, s28
	s_cbranch_execz .LBB168_187
; %bb.182:                              ;   in Loop: Header=BB168_145 Depth=1
	v_cmp_ngt_f32_e64 s5, 0x20000000, |v14|
	v_cmp_ngt_f32_e64 s6, 0x20000000, |v15|
                                        ; implicit-def: $vgpr9
	s_or_b32 s5, s6, s5
	s_delay_alu instid0(SALU_CYCLE_1) | instskip(NEXT) | instid1(SALU_CYCLE_1)
	s_and_saveexec_b32 s6, s5
	s_xor_b32 s5, exec_lo, s6
; %bb.183:                              ;   in Loop: Header=BB168_145 Depth=1
	v_pk_mul_f32 v[26:27], v[14:15], v[14:15]
	s_delay_alu instid0(VALU_DEP_1)
	v_add_f32_e32 v9, v27, v26
; %bb.184:                              ;   in Loop: Header=BB168_145 Depth=1
	s_and_not1_saveexec_b32 s5, s5
; %bb.185:                              ;   in Loop: Header=BB168_145 Depth=1
	v_pk_mul_f32 v[26:27], v[14:15], 4.0 op_sel_hi:[1,0]
	s_delay_alu instid0(VALU_DEP_1) | instskip(NEXT) | instid1(VALU_DEP_1)
	v_pk_mul_f32 v[26:27], v[26:27], v[26:27]
	v_add_f32_e32 v9, v27, v26
	s_delay_alu instid0(VALU_DEP_1)
	v_mul_f32_e32 v9, 0x3d800000, v9
; %bb.186:                              ;   in Loop: Header=BB168_145 Depth=1
	s_or_b32 exec_lo, exec_lo, s5
	s_delay_alu instid0(VALU_DEP_1) | instskip(SKIP_3) | instid1(VALU_DEP_2)
	v_cmp_gt_f32_e32 vcc_lo, 0x800000, v9
	v_mov_b32_e32 v27, 0x7fc00000
	v_cndmask_b32_e64 v14, 0, 32, vcc_lo
	v_cndmask_b32_e64 v26, 0, 0x41b17218, vcc_lo
	v_ldexp_f32 v9, v9, v14
	s_delay_alu instid0(VALU_DEP_1) | instskip(SKIP_1) | instid1(TRANS32_DEP_1)
	v_log_f32_e32 v9, v9
	v_nop
	v_mul_f32_e32 v14, 0x3f317217, v9
	v_cmp_gt_f32_e64 vcc_lo, 0x7f800000, |v9|
	s_delay_alu instid0(VALU_DEP_2) | instskip(NEXT) | instid1(VALU_DEP_1)
	v_fma_f32 v14, 0x3f317217, v9, -v14
	v_fmac_f32_e32 v14, 0x3377d1cf, v9
	s_delay_alu instid0(VALU_DEP_1) | instskip(NEXT) | instid1(VALU_DEP_1)
	v_fmac_f32_e32 v14, 0x3f317217, v9
	v_cndmask_b32_e32 v9, v9, v14, vcc_lo
	s_delay_alu instid0(VALU_DEP_1)
	v_sub_f32_e32 v26, v9, v26
.LBB168_187:                            ;   in Loop: Header=BB168_145 Depth=1
	s_or_b32 exec_lo, exec_lo, s4
                                        ; implicit-def: $vgpr14
                                        ; implicit-def: $vgpr35
	s_delay_alu instid0(SALU_CYCLE_1)
	s_mov_b32 s4, exec_lo
	v_cmpx_o_f32_e32 v19, v18
	s_xor_b32 s28, exec_lo, s4
	s_cbranch_execz .LBB168_215
; %bb.188:                              ;   in Loop: Header=BB168_145 Depth=1
	v_cmp_lt_f32_e64 s4, |v18|, |v19|
                                        ; implicit-def: $vgpr14
                                        ; implicit-def: $vgpr35
	s_mov_b32 s6, exec_lo
	v_cndmask_b32_e64 v9, v19, v18, s4
	s_delay_alu instid0(VALU_DEP_1)
	v_cmpx_nlt_f32_e64 0x77f684df, |v9|
	s_xor_b32 s29, exec_lo, s6
	s_cbranch_execz .LBB168_212
; %bb.189:                              ;   in Loop: Header=BB168_145 Depth=1
	v_cndmask_b32_e64 v14, v18, v19, s4
	v_and_b32_e32 v28, 0x7fffffff, v9
                                        ; implicit-def: $vgpr35
	s_mov_b32 s5, exec_lo
	s_delay_alu instid0(VALU_DEP_2) | instskip(NEXT) | instid1(VALU_DEP_1)
	v_and_b32_e32 v29, 0x7fffffff, v14
                                        ; implicit-def: $vgpr14
	v_cmpx_neq_f32_e32 1.0, v29
	s_xor_b32 s30, exec_lo, s5
	s_cbranch_execz .LBB168_205
; %bb.190:                              ;   in Loop: Header=BB168_145 Depth=1
	v_dual_max_num_f32 v9, v28, v28 :: v_dual_max_num_f32 v14, v29, v29
                                        ; implicit-def: $vgpr35
	s_delay_alu instid0(VALU_DEP_1) | instskip(NEXT) | instid1(VALU_DEP_1)
	v_dual_min_num_f32 v30, v14, v9 :: v_dual_max_num_f32 v9, v14, v9
                                        ; implicit-def: $vgpr14
	v_cmp_ngt_f32_e32 vcc_lo, 0x358637bd, v30
	s_delay_alu instid0(VALU_DEP_2) | instskip(SKIP_1) | instid1(SALU_CYCLE_1)
	v_cmp_nlt_f32_e64 s5, 0x49742400, v9
	s_and_b32 s5, s5, vcc_lo
	s_and_saveexec_b32 s6, s5
	s_delay_alu instid0(SALU_CYCLE_1)
	s_xor_b32 s31, exec_lo, s6
	s_cbranch_execz .LBB168_202
; %bb.191:                              ;   in Loop: Header=BB168_145 Depth=1
                                        ; implicit-def: $vgpr14
                                        ; implicit-def: $vgpr35
	s_mov_b32 s5, exec_lo
	v_cmpx_le_f32_e32 1.0, v29
	s_xor_b32 s6, exec_lo, s5
	s_cbranch_execz .LBB168_193
; %bb.192:                              ;   in Loop: Header=BB168_145 Depth=1
	v_pk_add_f32 v[30:31], v[28:29], v[6:7] op_sel:[1,0]
	v_mov_b32_e32 v32, v28
	v_cmp_class_f32_e64 s7, v18, 0x204
	s_delay_alu instid0(VALU_DEP_3) | instskip(SKIP_1) | instid1(VALU_DEP_1)
	v_dual_mov_b32 v29, v30 :: v_dual_mov_b32 v33, v31
	v_mul_f32_e32 v14, v30, v31
	v_pk_fma_f32 v[28:29], v[28:29], v[32:33], v[14:15] op_sel_hi:[1,1,0]
	s_delay_alu instid0(VALU_DEP_1) | instskip(SKIP_1) | instid1(VALU_DEP_2)
	v_add_f32_e32 v31, 1.0, v28
	v_cmp_neq_f32_e64 s5, -1.0, v28
	v_add_f32_e32 v29, -1.0, v31
	s_delay_alu instid0(VALU_DEP_1) | instskip(SKIP_2) | instid1(VALU_DEP_1)
	v_mov_b32_e32 v30, v29
	v_cvt_f64_f32_e32 v[32:33], v31
	v_frexp_mant_f32_e32 v14, v31
	v_cmp_gt_f32_e32 vcc_lo, 0x3f2aaaab, v14
	s_delay_alu instid0(VALU_DEP_3) | instskip(NEXT) | instid1(VALU_DEP_1)
	v_frexp_exp_i32_f64_e32 v9, v[32:33]
	v_subrev_co_ci_u32_e64 v9, null, 0, v9, vcc_lo
	v_cmp_neq_f32_e32 vcc_lo, 0x7f800000, v28
	s_delay_alu instid0(VALU_DEP_2) | instskip(SKIP_1) | instid1(VALU_DEP_2)
	v_sub_nc_u32_e32 v14, 0, v9
	v_pk_add_f32 v[32:33], v[28:29], v[30:31] neg_lo:[0,1] neg_hi:[0,1]
	v_ldexp_f32 v29, v31, v14
	s_delay_alu instid0(VALU_DEP_2) | instskip(NEXT) | instid1(VALU_DEP_2)
	v_add_f32_e32 v30, 1.0, v33
	v_add_f32_e32 v33, 1.0, v29
	s_delay_alu instid0(VALU_DEP_1) | instskip(SKIP_1) | instid1(VALU_DEP_2)
	v_dual_add_f32 v31, -1.0, v33 :: v_dual_add_f32 v30, v32, v30
	v_add_f32_e32 v35, -1.0, v29
	v_ldexp_f32 v14, v30, v14
	s_delay_alu instid0(VALU_DEP_3) | instskip(NEXT) | instid1(VALU_DEP_1)
	v_sub_f32_e32 v30, v29, v31
	v_dual_add_f32 v31, 1.0, v35 :: v_dual_add_f32 v30, v14, v30
	s_delay_alu instid0(VALU_DEP_1) | instskip(NEXT) | instid1(VALU_DEP_1)
	v_sub_f32_e32 v29, v29, v31
	v_dual_add_f32 v38, v33, v30 :: v_dual_add_f32 v14, v14, v29
	s_delay_alu instid0(VALU_DEP_1) | instskip(NEXT) | instid1(VALU_DEP_1)
	v_rcp_f32_e32 v29, v38
	v_add_f32_e32 v31, v35, v14
	s_delay_alu instid0(TRANS32_DEP_1) | instid1(VALU_DEP_1)
	v_dual_sub_f32 v35, v31, v35 :: v_dual_mul_f32 v39, v31, v29
	v_sub_f32_e32 v33, v38, v33
	s_delay_alu instid0(VALU_DEP_2) | instskip(NEXT) | instid1(VALU_DEP_3)
	v_sub_f32_e32 v14, v14, v35
	v_mul_f32_e32 v32, v38, v39
	s_delay_alu instid0(VALU_DEP_1) | instskip(NEXT) | instid1(VALU_DEP_1)
	v_dual_sub_f32 v40, v30, v33 :: v_dual_fma_f32 v36, v39, v38, -v32
	v_fmac_f32_e32 v36, v39, v40
	s_delay_alu instid0(VALU_DEP_1) | instskip(NEXT) | instid1(VALU_DEP_1)
	v_add_f32_e32 v30, v32, v36
	v_dual_sub_f32 v33, v31, v30 :: v_dual_mov_b32 v37, v30
	s_delay_alu instid0(VALU_DEP_1) | instskip(NEXT) | instid1(VALU_DEP_1)
	v_pk_add_f32 v[30:31], v[30:31], v[32:33] neg_lo:[0,1] neg_hi:[0,1]
	v_pk_add_f32 v[30:31], v[30:31], v[36:37] neg_lo:[0,1] neg_hi:[0,1]
	s_delay_alu instid0(VALU_DEP_1) | instskip(NEXT) | instid1(VALU_DEP_1)
	v_add_f32_e32 v14, v14, v31
	v_add_f32_e32 v14, v30, v14
	s_delay_alu instid0(VALU_DEP_1) | instskip(NEXT) | instid1(VALU_DEP_1)
	v_add_f32_e32 v31, v33, v14
	v_mul_f32_e32 v35, v29, v31
	s_delay_alu instid0(VALU_DEP_1) | instskip(NEXT) | instid1(VALU_DEP_1)
	v_mul_f32_e32 v36, v38, v35
	v_dual_fma_f32 v32, v35, v38, -v36 :: v_dual_sub_f32 v38, v33, v31
	s_delay_alu instid0(VALU_DEP_1) | instskip(NEXT) | instid1(VALU_DEP_1)
	v_dual_fmac_f32 v32, v35, v40 :: v_dual_add_f32 v14, v14, v38
	v_dual_add_f32 v38, v39, v35 :: v_dual_add_f32 v30, v36, v32
	s_delay_alu instid0(VALU_DEP_1) | instskip(NEXT) | instid1(VALU_DEP_1)
	v_dual_sub_f32 v37, v31, v30 :: v_dual_mov_b32 v33, v30
	v_pk_add_f32 v[30:31], v[30:31], v[36:37] neg_lo:[0,1] neg_hi:[0,1]
	s_delay_alu instid0(VALU_DEP_1) | instskip(NEXT) | instid1(VALU_DEP_1)
	v_pk_add_f32 v[30:31], v[30:31], v[32:33] neg_lo:[0,1] neg_hi:[0,1]
	v_add_f32_e32 v14, v14, v31
	s_delay_alu instid0(VALU_DEP_1) | instskip(NEXT) | instid1(VALU_DEP_1)
	v_add_f32_e32 v14, v30, v14
	v_dual_sub_f32 v30, v38, v39 :: v_dual_add_f32 v14, v37, v14
	s_delay_alu instid0(VALU_DEP_1) | instskip(NEXT) | instid1(VALU_DEP_2)
	v_sub_f32_e32 v30, v35, v30
	v_mul_f32_e32 v14, v29, v14
	s_delay_alu instid0(VALU_DEP_1) | instskip(SKIP_1) | instid1(VALU_DEP_2)
	v_add_f32_e32 v14, v30, v14
	v_cvt_f32_i32_e32 v30, v9
	v_add_f32_e32 v29, v38, v14
	s_delay_alu instid0(VALU_DEP_1) | instskip(SKIP_1) | instid1(VALU_DEP_2)
	v_mul_f32_e32 v32, v29, v29
	v_ldexp_f32 v37, v29, 1
	v_fmaak_f32 v33, s26, v32, 0x3ecc95a3
	v_mul_f32_e32 v31, v29, v32
	s_delay_alu instid0(VALU_DEP_2) | instskip(NEXT) | instid1(VALU_DEP_1)
	v_fmaak_f32 v9, v32, v33, 0x3f2aaada
	v_pk_mul_f32 v[32:33], v[30:31], v[8:9]
	s_delay_alu instid0(VALU_DEP_1) | instskip(SKIP_1) | instid1(VALU_DEP_1)
	v_dual_sub_f32 v9, v29, v38 :: v_dual_mov_b32 v38, v32
	v_fma_f32 v36, 0x3f317218, v30, -v32
	v_dual_sub_f32 v9, v14, v9 :: v_dual_fmac_f32 v36, 0xb102e308, v30
	s_delay_alu instid0(VALU_DEP_1) | instskip(NEXT) | instid1(VALU_DEP_2)
	v_ldexp_f32 v9, v9, 1
	v_pk_add_f32 v[30:31], v[32:33], v[36:37]
	s_delay_alu instid0(VALU_DEP_1) | instskip(NEXT) | instid1(VALU_DEP_1)
	v_dual_sub_f32 v14, v31, v37 :: v_dual_mov_b32 v37, v30
	v_dual_mov_b32 v46, v31 :: v_dual_sub_f32 v14, v33, v14
	v_pk_add_f32 v[32:33], v[30:31], v[32:33] neg_lo:[0,1] neg_hi:[0,1]
	s_delay_alu instid0(VALU_DEP_2) | instskip(SKIP_2) | instid1(VALU_DEP_3)
	v_add_f32_e32 v39, v9, v14
	v_max_num_f32_e64 v9, |v19|, |v19|
	v_max_num_f32_e64 v14, |v18|, |v18|
	v_pk_add_f32 v[40:41], v[30:31], v[38:39]
	s_delay_alu instid0(VALU_DEP_1) | instskip(NEXT) | instid1(VALU_DEP_1)
	v_dual_max_num_f32 v29, v14, v9 :: v_dual_mov_b32 v33, v41
	v_frexp_exp_i32_f32_e32 v35, v29
	v_frexp_mant_f32_e32 v29, v29
	s_delay_alu instid0(VALU_DEP_3) | instskip(SKIP_2) | instid1(VALU_DEP_4)
	v_pk_add_f32 v[42:43], v[36:37], v[32:33]
	v_min_num_f32_e32 v9, v14, v9
	v_pk_add_f32 v[32:33], v[36:37], v[32:33] neg_lo:[0,1] neg_hi:[0,1]
	v_rcp_f32_e32 v29, v29
	s_delay_alu instid0(VALU_DEP_3) | instskip(NEXT) | instid1(VALU_DEP_3)
	v_mov_b32_e32 v14, v43
	v_frexp_exp_i32_f32_e32 v38, v9
	v_frexp_mant_f32_e32 v48, v9
	v_mov_b32_e32 v33, v43
	s_delay_alu instid0(VALU_DEP_4) | instskip(NEXT) | instid1(VALU_DEP_4)
	v_pk_add_f32 v[44:45], v[14:15], v[30:31] neg_lo:[0,1] neg_hi:[0,1]
	v_dual_mov_b32 v42, v41 :: v_dual_sub_nc_u32 v35, v38, v35
	v_dual_mov_b32 v31, v30 :: v_dual_mov_b32 v30, v39
	s_delay_alu instid0(VALU_DEP_3) | instskip(NEXT) | instid1(VALU_DEP_1)
	v_dual_mov_b32 v47, v44 :: v_dual_mov_b32 v9, v44
	v_pk_add_f32 v[36:37], v[42:43], v[46:47] neg_lo:[0,1] neg_hi:[0,1]
	s_delay_alu instid0(VALU_DEP_2) | instskip(SKIP_1) | instid1(VALU_DEP_3)
	v_pk_add_f32 v[38:39], v[40:41], v[8:9] neg_lo:[0,1] neg_hi:[0,1]
	v_mov_b32_e32 v38, v32
	v_pk_add_f32 v[30:31], v[30:31], v[36:37] neg_lo:[0,1] neg_hi:[0,1]
	s_delay_alu instid0(VALU_DEP_1) | instskip(NEXT) | instid1(VALU_DEP_1)
	v_pk_add_f32 v[36:37], v[38:39], v[30:31]
	v_dual_mul_f32 v29, v48, v29 :: v_dual_mov_b32 v38, v37
	s_delay_alu instid0(VALU_DEP_1) | instskip(NEXT) | instid1(VALU_DEP_2)
	v_ldexp_f32 v9, v29, v35
	v_pk_add_f32 v[38:39], v[36:37], v[38:39]
	s_delay_alu instid0(VALU_DEP_2) | instskip(NEXT) | instid1(VALU_DEP_2)
	v_mul_f32_e32 v29, v9, v9
	v_pk_add_f32 v[40:41], v[14:15], v[38:39]
	s_delay_alu instid0(VALU_DEP_1) | instskip(NEXT) | instid1(VALU_DEP_1)
	v_mov_b32_e32 v37, v40
	v_pk_add_f32 v[42:43], v[36:37], v[32:33] neg_lo:[0,1] neg_hi:[0,1]
	s_delay_alu instid0(VALU_DEP_1) | instskip(NEXT) | instid1(VALU_DEP_1)
	v_sub_f32_e32 v33, v36, v42
	v_sub_f32_e32 v32, v32, v33
	v_fmaak_f32 v31, s27, v29, 0xbc7a590c
	s_delay_alu instid0(VALU_DEP_1) | instskip(NEXT) | instid1(VALU_DEP_1)
	v_fmaak_f32 v31, v29, v31, 0x3d29fb3f
	v_dual_fmaak_f32 v14, v29, v31, 0xbd97d4d7 :: v_dual_mov_b32 v31, v38
	s_delay_alu instid0(VALU_DEP_1) | instskip(NEXT) | instid1(VALU_DEP_2)
	v_fmaak_f32 v14, v29, v14, 0x3dd931b2
	v_pk_add_f32 v[30:31], v[30:31], v[42:43] neg_lo:[0,1] neg_hi:[0,1]
	s_delay_alu instid0(VALU_DEP_1) | instskip(NEXT) | instid1(VALU_DEP_3)
	v_add_f32_e32 v30, v30, v32
	v_fmaak_f32 v14, v29, v14, 0xbe1160e6
	s_delay_alu instid0(VALU_DEP_1) | instskip(NEXT) | instid1(VALU_DEP_1)
	v_fmaak_f32 v14, v29, v14, 0x3e4cb8bf
	v_fmaak_f32 v14, v29, v14, 0xbeaaaa62
	s_delay_alu instid0(VALU_DEP_1) | instskip(NEXT) | instid1(VALU_DEP_1)
	v_dual_mul_f32 v14, v29, v14 :: v_dual_add_f32 v29, v30, v31
	v_dual_fmac_f32 v9, v9, v14 :: v_dual_add_f32 v14, v40, v29
	s_delay_alu instid0(VALU_DEP_1) | instskip(NEXT) | instid1(VALU_DEP_2)
	v_sub_f32_e32 v29, 0x3fc90fdb, v9
	v_cndmask_b32_e32 v14, 0x7f800000, v14, vcc_lo
	v_cmp_gt_i32_e32 vcc_lo, 0, v18
	s_delay_alu instid0(VALU_DEP_3) | instskip(SKIP_4) | instid1(VALU_DEP_2)
	v_cndmask_b32_e64 v9, v9, v29, s4
	v_cndmask_b32_e64 v29, 0, 0x40490fdb, vcc_lo
	v_cmp_ngt_f32_e32 vcc_lo, -1.0, v28
	v_cndmask_b32_e32 v14, 0x7fc00000, v14, vcc_lo
	v_cmp_gt_f32_e32 vcc_lo, 0, v18
	v_cndmask_b32_e64 v14, 0xff800000, v14, s5
	v_cndmask_b32_e32 v18, 0x3f490fdb, v34, vcc_lo
	v_sub_f32_e32 v30, 0x40490fdb, v9
	v_cmp_class_f32_e64 s5, v19, 0x204
	s_delay_alu instid0(VALU_DEP_2) | instskip(SKIP_3) | instid1(VALU_DEP_2)
	v_cndmask_b32_e32 v9, v9, v30, vcc_lo
	v_cmp_gt_f32_e64 vcc_lo, 0x33800000, |v28|
	v_cndmask_b32_e32 v14, v14, v28, vcc_lo
	v_cmp_eq_f32_e32 vcc_lo, 0, v19
	v_dual_mul_f32 v14, 0.5, v14 :: v_dual_cndmask_b32 v9, v9, v29
	s_and_b32 vcc_lo, s5, s7
                                        ; implicit-def: $vgpr28_vgpr29
	s_delay_alu instid0(VALU_DEP_1)
	v_cndmask_b32_e32 v35, v9, v18, vcc_lo
.LBB168_193:                            ;   in Loop: Header=BB168_145 Depth=1
	s_and_not1_saveexec_b32 s33, s6
	s_cbranch_execz .LBB168_201
; %bb.194:                              ;   in Loop: Header=BB168_145 Depth=1
	v_pk_mul_f32 v[30:31], v[28:29], v[28:29]
                                        ; implicit-def: $vgpr14
                                        ; implicit-def: $vgpr35
	s_mov_b32 s5, exec_lo
	s_delay_alu instid0(VALU_DEP_1) | instskip(NEXT) | instid1(VALU_DEP_1)
	v_add_f32_e32 v9, v31, v30
	v_cmpx_ge_f32_e32 0x3f333333, v9
	s_xor_b32 s6, exec_lo, s5
	s_cbranch_execz .LBB168_196
; %bb.195:                              ;   in Loop: Header=BB168_145 Depth=1
	v_max_num_f32_e64 v14, |v19|, |v19|
	v_max_num_f32_e64 v28, |v18|, |v18|
	v_cmp_gt_f32_e32 vcc_lo, 0x800000, v9
	v_cmp_gt_i32_e64 s5, 0, v18
	v_cmp_class_f32_e64 s7, v18, 0x204
	v_cmp_class_f32_e64 s8, v19, 0x204
	v_dual_max_num_f32 v29, v28, v14 :: v_dual_min_num_f32 v14, v28, v14
	v_cndmask_b32_e64 v31, 0, 0x41b17218, vcc_lo
	s_delay_alu instid0(VALU_DEP_2) | instskip(SKIP_1) | instid1(VALU_DEP_2)
	v_frexp_mant_f32_e32 v30, v29
	v_frexp_exp_i32_f32_e32 v28, v29
	v_rcp_f32_e32 v29, v30
	v_nop
	v_frexp_exp_i32_f32_e32 v30, v14
	v_frexp_mant_f32_e32 v14, v14
	s_delay_alu instid0(VALU_DEP_2)
	v_sub_nc_u32_e32 v28, v30, v28
	s_delay_alu instid0(TRANS32_DEP_1) | instid1(VALU_DEP_2)
	v_mul_f32_e32 v14, v14, v29
	v_cndmask_b32_e64 v30, 0, 32, vcc_lo
	s_delay_alu instid0(VALU_DEP_2) | instskip(NEXT) | instid1(VALU_DEP_2)
	v_ldexp_f32 v14, v14, v28
	v_ldexp_f32 v9, v9, v30
	s_delay_alu instid0(VALU_DEP_2) | instskip(NEXT) | instid1(VALU_DEP_2)
	v_mul_f32_e32 v28, v14, v14
	v_log_f32_e32 v9, v9
	s_delay_alu instid0(VALU_DEP_1) | instskip(NEXT) | instid1(TRANS32_DEP_1)
	v_fmaak_f32 v29, s27, v28, 0xbc7a590c
	v_cmp_gt_f32_e64 vcc_lo, 0x7f800000, |v9|
	s_delay_alu instid0(VALU_DEP_2) | instskip(NEXT) | instid1(VALU_DEP_1)
	v_fmaak_f32 v29, v28, v29, 0x3d29fb3f
	v_fmaak_f32 v29, v28, v29, 0xbd97d4d7
	s_delay_alu instid0(VALU_DEP_1) | instskip(NEXT) | instid1(VALU_DEP_1)
	v_fmaak_f32 v29, v28, v29, 0x3dd931b2
	v_fmaak_f32 v29, v28, v29, 0xbe1160e6
	s_delay_alu instid0(VALU_DEP_1) | instskip(NEXT) | instid1(VALU_DEP_1)
	v_fmaak_f32 v29, v28, v29, 0x3e4cb8bf
	v_fmaak_f32 v29, v28, v29, 0xbeaaaa62
	s_delay_alu instid0(VALU_DEP_1) | instskip(NEXT) | instid1(VALU_DEP_1)
	v_mul_f32_e32 v28, v28, v29
	v_dual_mul_f32 v29, 0x3f317217, v9 :: v_dual_fmac_f32 v14, v14, v28
	s_delay_alu instid0(VALU_DEP_1) | instskip(NEXT) | instid1(VALU_DEP_2)
	v_fma_f32 v28, 0x3f317217, v9, -v29
	v_sub_f32_e32 v29, 0x3fc90fdb, v14
	s_delay_alu instid0(VALU_DEP_2) | instskip(NEXT) | instid1(VALU_DEP_2)
	v_fmac_f32_e32 v28, 0x3377d1cf, v9
	v_cndmask_b32_e64 v14, v14, v29, s4
	s_delay_alu instid0(VALU_DEP_2) | instskip(SKIP_2) | instid1(VALU_DEP_3)
	v_fmac_f32_e32 v28, 0x3f317217, v9
	v_cndmask_b32_e64 v29, 0, 0x40490fdb, s5
	v_cmp_eq_f32_e64 s5, 0, v19
	v_dual_sub_f32 v30, 0x40490fdb, v14 :: v_dual_cndmask_b32 v9, v9, v28
	v_cmp_gt_f32_e32 vcc_lo, 0, v18
	s_delay_alu instid0(VALU_DEP_2) | instskip(SKIP_2) | instid1(VALU_DEP_2)
	v_dual_sub_f32 v9, v9, v31 :: v_dual_cndmask_b32 v14, v14, v30
	v_cndmask_b32_e32 v28, 0x3f490fdb, v34, vcc_lo
	s_and_b32 vcc_lo, s8, s7
	v_cndmask_b32_e64 v18, v14, v29, s5
	s_delay_alu instid0(VALU_DEP_1)
	v_dual_mul_f32 v14, 0.5, v9 :: v_dual_cndmask_b32 v35, v18, v28
                                        ; implicit-def: $vgpr28
.LBB168_196:                            ;   in Loop: Header=BB168_145 Depth=1
	s_and_not1_saveexec_b32 s34, s6
	s_cbranch_execz .LBB168_200
; %bb.197:                              ;   in Loop: Header=BB168_145 Depth=1
	v_and_b32_e32 v31, 0x7fff0000, v28
	v_and_b32_e32 v30, 0x7fff0000, v29
	s_mov_b32 s35, 0
	s_delay_alu instid0(VALU_DEP_1) | instskip(SKIP_2) | instid1(VALU_DEP_2)
	v_dual_add_f32 v37, v31, v31 :: v_dual_add_f32 v14, v30, v30
	v_pk_add_f32 v[32:33], v[28:29], v[30:31] op_sel:[1,0] op_sel_hi:[0,1] neg_lo:[0,1] neg_hi:[0,1]
	v_pk_mul_f32 v[28:29], v[30:31], v[30:31]
	v_and_b32_e32 v39, 0xffff0000, v33
	s_delay_alu instid0(VALU_DEP_3) | instskip(NEXT) | instid1(VALU_DEP_1)
	v_and_b32_e32 v38, 0xffff0000, v32
	v_dual_add_f32 v41, v39, v39 :: v_dual_add_f32 v40, v38, v38
	v_pk_add_f32 v[30:31], v[32:33], v[38:39] neg_lo:[0,1] neg_hi:[0,1]
	v_dual_mul_f32 v9, v14, v38 :: v_dual_mul_f32 v36, v37, v39
	v_pk_mul_f32 v[32:33], v[38:39], v[38:39]
	s_delay_alu instid0(VALU_DEP_3)
	v_dual_mul_f32 v35, v14, v30 :: v_dual_mul_f32 v38, v37, v31
	v_dual_mul_f32 v14, v40, v30 :: v_dual_mul_f32 v37, v41, v31
	v_pk_mul_f32 v[30:31], v[30:31], v[30:31]
.LBB168_198:                            ;   Parent Loop BB168_145 Depth=1
                                        ; =>  This Inner Loop Header: Depth=2
	v_cmp_nlt_f32_e32 vcc_lo, v28, v29
	v_dual_cndmask_b32 v39, v28, v29 :: v_dual_cndmask_b32 v28, v29, v28
	s_delay_alu instid0(VALU_DEP_1) | instskip(NEXT) | instid1(VALU_DEP_1)
	v_cmp_nlt_f32_e64 s5, v39, v9
	v_dual_cndmask_b32 v40, v39, v9, s5 :: v_dual_cndmask_b32 v29, v9, v39, s5
	s_and_b32 s5, vcc_lo, s5
	s_delay_alu instid0(VALU_DEP_1) | instskip(NEXT) | instid1(VALU_DEP_1)
	v_cmp_nlt_f32_e64 s6, v40, v36
	v_cndmask_b32_e64 v41, v40, v36, s6
	v_cndmask_b32_e64 v9, v36, v40, s6
	s_delay_alu instid0(VALU_DEP_2) | instskip(NEXT) | instid1(VALU_DEP_1)
	v_cmp_nlt_f32_e64 s7, v41, v32
	v_cndmask_b32_e64 v39, v41, v32, s7
	s_and_b32 s36, s6, s7
	s_delay_alu instid0(VALU_DEP_1) | instskip(NEXT) | instid1(VALU_DEP_1)
	v_cmp_nlt_f32_e64 s8, v39, v33
	v_cndmask_b32_e64 v40, v39, v33, s8
	s_delay_alu instid0(VALU_DEP_1) | instskip(NEXT) | instid1(VALU_DEP_1)
	v_cmp_nlt_f32_e64 s9, v40, v35
	v_cndmask_b32_e64 v42, v40, v35, s9
	;; [unrolled: 3-line block ×3, first 2 shown]
	s_delay_alu instid0(VALU_DEP_1)
	v_cmp_nlt_f32_e64 s11, v43, v14
	v_dual_cndmask_b32 v36, v32, v41, s7 :: v_dual_cndmask_b32 v32, v33, v39, s8
	v_cndmask_b32_e64 v33, v35, v40, s9
	s_and_b32 s8, s8, s9
	v_cndmask_b32_e64 v41, v43, v14, s11
	s_and_b32 s8, s8, s10
	;; [unrolled: 2-line block ×3, first 2 shown]
	v_cndmask_b32_e64 v38, v14, v43, s11
	v_cmp_nlt_f32_e64 s6, v41, v37
	s_delay_alu instid0(VALU_DEP_1) | instskip(NEXT) | instid1(VALU_DEP_1)
	v_cndmask_b32_e64 v39, v41, v37, s6
	v_cmp_nlt_f32_e64 s7, v39, v30
	v_cndmask_b32_e64 v14, v37, v41, s6
	s_and_b32 s6, s9, s6
	v_dual_cndmask_b32 v40, v39, v30, s7 :: v_dual_cndmask_b32 v37, v30, v39, s7
	s_and_b32 s6, s6, s7
	s_delay_alu instid0(VALU_DEP_1) | instskip(SKIP_3) | instid1(SALU_CYCLE_1)
	v_cmp_nlt_f32_e64 s8, v40, v31
	s_and_b32 s6, s6, s8
	v_dual_cndmask_b32 v30, v31, v40, s8 :: v_dual_cndmask_b32 v31, v40, v31, s8
	s_and_b32 s6, s6, s36
	s_and_b32 s5, s6, s5
	s_delay_alu instid0(SALU_CYCLE_1) | instskip(NEXT) | instid1(SALU_CYCLE_1)
	s_and_b32 s5, exec_lo, s5
	s_or_b32 s35, s5, s35
	s_delay_alu instid0(SALU_CYCLE_1)
	s_and_not1_b32 exec_lo, exec_lo, s35
	s_cbranch_execnz .LBB168_198
; %bb.199:                              ;   in Loop: Header=BB168_145 Depth=1
	s_or_b32 exec_lo, exec_lo, s35
	v_add_f32_e32 v28, -1.0, v28
	v_cmp_class_f32_e64 s6, v18, 0x204
	s_delay_alu instid0(VALU_DEP_2) | instskip(NEXT) | instid1(VALU_DEP_1)
	v_add_f32_e32 v28, v28, v29
	v_add_f32_e32 v9, v28, v9
	s_delay_alu instid0(VALU_DEP_1) | instskip(NEXT) | instid1(VALU_DEP_1)
	v_add_f32_e32 v9, v9, v36
	v_add_f32_e32 v9, v9, v32
	s_delay_alu instid0(VALU_DEP_1) | instskip(NEXT) | instid1(VALU_DEP_1)
	;; [unrolled: 3-line block ×5, first 2 shown]
	v_add_f32_e32 v28, v31, v9
	v_add_f32_e32 v31, 1.0, v28
	s_delay_alu instid0(VALU_DEP_1) | instskip(SKIP_2) | instid1(VALU_DEP_2)
	v_cvt_f64_f32_e32 v[32:33], v31
	v_frexp_mant_f32_e32 v14, v31
	v_add_f32_e32 v29, -1.0, v31
	v_cmp_gt_f32_e32 vcc_lo, 0x3f2aaaab, v14
	s_delay_alu instid0(VALU_DEP_2) | instskip(SKIP_2) | instid1(VALU_DEP_3)
	v_mov_b32_e32 v30, v29
	v_cmp_neq_f32_e64 s5, -1.0, v28
	v_frexp_exp_i32_f64_e32 v9, v[32:33]
	v_pk_add_f32 v[32:33], v[28:29], v[30:31] neg_lo:[0,1] neg_hi:[0,1]
	s_delay_alu instid0(VALU_DEP_1) | instskip(NEXT) | instid1(VALU_DEP_1)
	v_add_f32_e32 v30, 1.0, v33
	v_add_f32_e32 v30, v32, v30
	s_delay_alu instid0(VALU_DEP_4) | instskip(SKIP_1) | instid1(VALU_DEP_2)
	v_subrev_co_ci_u32_e64 v9, null, 0, v9, vcc_lo
	v_cmp_neq_f32_e32 vcc_lo, 0x7f800000, v28
	v_sub_nc_u32_e32 v14, 0, v9
	s_delay_alu instid0(VALU_DEP_1) | instskip(SKIP_1) | instid1(VALU_DEP_2)
	v_ldexp_f32 v29, v31, v14
	v_ldexp_f32 v14, v30, v14
	v_dual_add_f32 v33, 1.0, v29 :: v_dual_add_f32 v35, -1.0, v29
	s_delay_alu instid0(VALU_DEP_1) | instskip(NEXT) | instid1(VALU_DEP_1)
	v_add_f32_e32 v31, -1.0, v33
	v_sub_f32_e32 v30, v29, v31
	s_delay_alu instid0(VALU_DEP_1) | instskip(NEXT) | instid1(VALU_DEP_1)
	v_dual_add_f32 v31, 1.0, v35 :: v_dual_add_f32 v30, v14, v30
	v_sub_f32_e32 v29, v29, v31
	s_delay_alu instid0(VALU_DEP_1) | instskip(NEXT) | instid1(VALU_DEP_1)
	v_dual_add_f32 v38, v33, v30 :: v_dual_add_f32 v14, v14, v29
	v_rcp_f32_e32 v29, v38
	s_delay_alu instid0(VALU_DEP_1)
	v_add_f32_e32 v31, v35, v14
	s_delay_alu instid0(TRANS32_DEP_1) | instid1(VALU_DEP_1)
	v_dual_sub_f32 v35, v31, v35 :: v_dual_mul_f32 v39, v31, v29
	v_sub_f32_e32 v33, v38, v33
	s_delay_alu instid0(VALU_DEP_2) | instskip(NEXT) | instid1(VALU_DEP_3)
	v_sub_f32_e32 v14, v14, v35
	v_mul_f32_e32 v32, v38, v39
	s_delay_alu instid0(VALU_DEP_1) | instskip(NEXT) | instid1(VALU_DEP_1)
	v_dual_sub_f32 v40, v30, v33 :: v_dual_fma_f32 v36, v39, v38, -v32
	v_fmac_f32_e32 v36, v39, v40
	s_delay_alu instid0(VALU_DEP_1) | instskip(NEXT) | instid1(VALU_DEP_1)
	v_add_f32_e32 v30, v32, v36
	v_dual_sub_f32 v33, v31, v30 :: v_dual_mov_b32 v37, v30
	s_delay_alu instid0(VALU_DEP_1) | instskip(NEXT) | instid1(VALU_DEP_1)
	v_pk_add_f32 v[30:31], v[30:31], v[32:33] neg_lo:[0,1] neg_hi:[0,1]
	v_pk_add_f32 v[30:31], v[30:31], v[36:37] neg_lo:[0,1] neg_hi:[0,1]
	s_delay_alu instid0(VALU_DEP_1) | instskip(NEXT) | instid1(VALU_DEP_1)
	v_add_f32_e32 v14, v14, v31
	v_add_f32_e32 v14, v30, v14
	s_delay_alu instid0(VALU_DEP_1) | instskip(NEXT) | instid1(VALU_DEP_1)
	v_add_f32_e32 v31, v33, v14
	v_mul_f32_e32 v35, v29, v31
	s_delay_alu instid0(VALU_DEP_1) | instskip(NEXT) | instid1(VALU_DEP_1)
	v_mul_f32_e32 v36, v38, v35
	v_dual_fma_f32 v32, v35, v38, -v36 :: v_dual_sub_f32 v38, v33, v31
	s_delay_alu instid0(VALU_DEP_1) | instskip(NEXT) | instid1(VALU_DEP_1)
	v_dual_fmac_f32 v32, v35, v40 :: v_dual_add_f32 v14, v14, v38
	v_dual_add_f32 v38, v39, v35 :: v_dual_add_f32 v30, v36, v32
	s_delay_alu instid0(VALU_DEP_1) | instskip(NEXT) | instid1(VALU_DEP_1)
	v_dual_sub_f32 v37, v31, v30 :: v_dual_mov_b32 v33, v30
	v_pk_add_f32 v[30:31], v[30:31], v[36:37] neg_lo:[0,1] neg_hi:[0,1]
	s_delay_alu instid0(VALU_DEP_1) | instskip(NEXT) | instid1(VALU_DEP_1)
	v_pk_add_f32 v[30:31], v[30:31], v[32:33] neg_lo:[0,1] neg_hi:[0,1]
	v_add_f32_e32 v14, v14, v31
	s_delay_alu instid0(VALU_DEP_1) | instskip(NEXT) | instid1(VALU_DEP_1)
	v_add_f32_e32 v14, v30, v14
	v_dual_sub_f32 v30, v38, v39 :: v_dual_add_f32 v14, v37, v14
	s_delay_alu instid0(VALU_DEP_1) | instskip(NEXT) | instid1(VALU_DEP_2)
	v_sub_f32_e32 v30, v35, v30
	v_mul_f32_e32 v14, v29, v14
	s_delay_alu instid0(VALU_DEP_1) | instskip(SKIP_1) | instid1(VALU_DEP_2)
	v_add_f32_e32 v14, v30, v14
	v_cvt_f32_i32_e32 v30, v9
	v_add_f32_e32 v29, v38, v14
	s_delay_alu instid0(VALU_DEP_1) | instskip(SKIP_1) | instid1(VALU_DEP_2)
	v_mul_f32_e32 v32, v29, v29
	v_ldexp_f32 v37, v29, 1
	v_fmaak_f32 v33, s26, v32, 0x3ecc95a3
	v_mul_f32_e32 v31, v29, v32
	s_delay_alu instid0(VALU_DEP_2) | instskip(NEXT) | instid1(VALU_DEP_1)
	v_fmaak_f32 v9, v32, v33, 0x3f2aaada
	v_pk_mul_f32 v[32:33], v[30:31], v[8:9]
	s_delay_alu instid0(VALU_DEP_1) | instskip(SKIP_1) | instid1(VALU_DEP_1)
	v_dual_sub_f32 v9, v29, v38 :: v_dual_mov_b32 v38, v32
	v_fma_f32 v36, 0x3f317218, v30, -v32
	v_dual_sub_f32 v9, v14, v9 :: v_dual_fmac_f32 v36, 0xb102e308, v30
	s_delay_alu instid0(VALU_DEP_1) | instskip(NEXT) | instid1(VALU_DEP_2)
	v_ldexp_f32 v9, v9, 1
	v_pk_add_f32 v[30:31], v[32:33], v[36:37]
	s_delay_alu instid0(VALU_DEP_1) | instskip(NEXT) | instid1(VALU_DEP_1)
	v_dual_sub_f32 v14, v31, v37 :: v_dual_mov_b32 v37, v30
	v_dual_mov_b32 v46, v31 :: v_dual_sub_f32 v14, v33, v14
	v_pk_add_f32 v[32:33], v[30:31], v[32:33] neg_lo:[0,1] neg_hi:[0,1]
	s_delay_alu instid0(VALU_DEP_2) | instskip(SKIP_2) | instid1(VALU_DEP_3)
	v_add_f32_e32 v39, v9, v14
	v_max_num_f32_e64 v9, |v19|, |v19|
	v_max_num_f32_e64 v14, |v18|, |v18|
	v_pk_add_f32 v[40:41], v[30:31], v[38:39]
	s_delay_alu instid0(VALU_DEP_1) | instskip(NEXT) | instid1(VALU_DEP_1)
	v_dual_max_num_f32 v29, v14, v9 :: v_dual_mov_b32 v33, v41
	v_frexp_exp_i32_f32_e32 v35, v29
	v_frexp_mant_f32_e32 v29, v29
	s_delay_alu instid0(VALU_DEP_3) | instskip(SKIP_2) | instid1(VALU_DEP_4)
	v_pk_add_f32 v[42:43], v[36:37], v[32:33]
	v_min_num_f32_e32 v9, v14, v9
	v_pk_add_f32 v[32:33], v[36:37], v[32:33] neg_lo:[0,1] neg_hi:[0,1]
	v_rcp_f32_e32 v29, v29
	s_delay_alu instid0(VALU_DEP_3) | instskip(NEXT) | instid1(VALU_DEP_3)
	v_mov_b32_e32 v14, v43
	v_frexp_exp_i32_f32_e32 v38, v9
	v_frexp_mant_f32_e32 v48, v9
	v_mov_b32_e32 v33, v43
	s_delay_alu instid0(VALU_DEP_4) | instskip(NEXT) | instid1(VALU_DEP_4)
	v_pk_add_f32 v[44:45], v[14:15], v[30:31] neg_lo:[0,1] neg_hi:[0,1]
	v_dual_mov_b32 v42, v41 :: v_dual_sub_nc_u32 v35, v38, v35
	v_dual_mov_b32 v31, v30 :: v_dual_mov_b32 v30, v39
	s_delay_alu instid0(VALU_DEP_3) | instskip(NEXT) | instid1(VALU_DEP_1)
	v_dual_mov_b32 v47, v44 :: v_dual_mov_b32 v9, v44
	v_pk_add_f32 v[36:37], v[42:43], v[46:47] neg_lo:[0,1] neg_hi:[0,1]
	s_delay_alu instid0(VALU_DEP_2) | instskip(SKIP_1) | instid1(VALU_DEP_3)
	v_pk_add_f32 v[38:39], v[40:41], v[8:9] neg_lo:[0,1] neg_hi:[0,1]
	v_mov_b32_e32 v38, v32
	v_pk_add_f32 v[30:31], v[30:31], v[36:37] neg_lo:[0,1] neg_hi:[0,1]
	s_delay_alu instid0(VALU_DEP_1) | instskip(NEXT) | instid1(VALU_DEP_1)
	v_pk_add_f32 v[36:37], v[38:39], v[30:31]
	v_dual_mul_f32 v29, v48, v29 :: v_dual_mov_b32 v38, v37
	s_delay_alu instid0(VALU_DEP_1) | instskip(NEXT) | instid1(VALU_DEP_2)
	v_ldexp_f32 v9, v29, v35
	v_pk_add_f32 v[38:39], v[36:37], v[38:39]
	s_delay_alu instid0(VALU_DEP_2) | instskip(NEXT) | instid1(VALU_DEP_2)
	v_mul_f32_e32 v29, v9, v9
	v_pk_add_f32 v[40:41], v[14:15], v[38:39]
	s_delay_alu instid0(VALU_DEP_1) | instskip(NEXT) | instid1(VALU_DEP_1)
	v_mov_b32_e32 v37, v40
	v_pk_add_f32 v[42:43], v[36:37], v[32:33] neg_lo:[0,1] neg_hi:[0,1]
	s_delay_alu instid0(VALU_DEP_1) | instskip(NEXT) | instid1(VALU_DEP_1)
	v_sub_f32_e32 v33, v36, v42
	v_sub_f32_e32 v32, v32, v33
	v_fmaak_f32 v31, s27, v29, 0xbc7a590c
	s_delay_alu instid0(VALU_DEP_1) | instskip(NEXT) | instid1(VALU_DEP_1)
	v_fmaak_f32 v31, v29, v31, 0x3d29fb3f
	v_dual_fmaak_f32 v14, v29, v31, 0xbd97d4d7 :: v_dual_mov_b32 v31, v38
	s_delay_alu instid0(VALU_DEP_1) | instskip(NEXT) | instid1(VALU_DEP_2)
	v_fmaak_f32 v14, v29, v14, 0x3dd931b2
	v_pk_add_f32 v[30:31], v[30:31], v[42:43] neg_lo:[0,1] neg_hi:[0,1]
	s_delay_alu instid0(VALU_DEP_1) | instskip(NEXT) | instid1(VALU_DEP_3)
	v_add_f32_e32 v30, v30, v32
	v_fmaak_f32 v14, v29, v14, 0xbe1160e6
	s_delay_alu instid0(VALU_DEP_1) | instskip(NEXT) | instid1(VALU_DEP_1)
	v_fmaak_f32 v14, v29, v14, 0x3e4cb8bf
	v_fmaak_f32 v14, v29, v14, 0xbeaaaa62
	s_delay_alu instid0(VALU_DEP_1) | instskip(NEXT) | instid1(VALU_DEP_1)
	v_dual_mul_f32 v14, v29, v14 :: v_dual_add_f32 v29, v30, v31
	v_dual_fmac_f32 v9, v9, v14 :: v_dual_add_f32 v14, v40, v29
	s_delay_alu instid0(VALU_DEP_1) | instskip(NEXT) | instid1(VALU_DEP_2)
	v_sub_f32_e32 v29, 0x3fc90fdb, v9
	v_cndmask_b32_e32 v14, 0x7f800000, v14, vcc_lo
	v_cmp_gt_i32_e32 vcc_lo, 0, v18
	s_delay_alu instid0(VALU_DEP_3) | instskip(SKIP_4) | instid1(VALU_DEP_2)
	v_cndmask_b32_e64 v9, v9, v29, s4
	v_cndmask_b32_e64 v29, 0, 0x40490fdb, vcc_lo
	v_cmp_ngt_f32_e32 vcc_lo, -1.0, v28
	v_cndmask_b32_e32 v14, 0x7fc00000, v14, vcc_lo
	v_cmp_gt_f32_e32 vcc_lo, 0, v18
	v_cndmask_b32_e64 v14, 0xff800000, v14, s5
	v_cndmask_b32_e32 v18, 0x3f490fdb, v34, vcc_lo
	v_sub_f32_e32 v30, 0x40490fdb, v9
	v_cmp_class_f32_e64 s5, v19, 0x204
	s_delay_alu instid0(VALU_DEP_2) | instskip(SKIP_3) | instid1(VALU_DEP_2)
	v_cndmask_b32_e32 v9, v9, v30, vcc_lo
	v_cmp_gt_f32_e64 vcc_lo, 0x33800000, |v28|
	v_cndmask_b32_e32 v14, v14, v28, vcc_lo
	v_cmp_eq_f32_e32 vcc_lo, 0, v19
	v_dual_mul_f32 v14, 0.5, v14 :: v_dual_cndmask_b32 v9, v9, v29
	s_and_b32 vcc_lo, s5, s6
	s_delay_alu instid0(VALU_DEP_1)
	v_cndmask_b32_e32 v35, v9, v18, vcc_lo
.LBB168_200:                            ;   in Loop: Header=BB168_145 Depth=1
	s_or_b32 exec_lo, exec_lo, s34
.LBB168_201:                            ;   in Loop: Header=BB168_145 Depth=1
	s_delay_alu instid0(SALU_CYCLE_1)
	s_or_b32 exec_lo, exec_lo, s33
.LBB168_202:                            ;   in Loop: Header=BB168_145 Depth=1
	s_and_not1_saveexec_b32 s6, s31
	s_cbranch_execz .LBB168_204
; %bb.203:                              ;   in Loop: Header=BB168_145 Depth=1
	v_max_num_f32_e64 v9, |v19|, |v19|
	v_max_num_f32_e64 v14, |v18|, |v18|
	v_cmp_gt_i32_e64 s5, 0, v18
	v_cmp_class_f32_e64 s7, v18, 0x204
	v_cmp_class_f32_e64 s8, v19, 0x204
	s_delay_alu instid0(VALU_DEP_4) | instskip(NEXT) | instid1(VALU_DEP_1)
	v_dual_max_num_f32 v30, v14, v9 :: v_dual_min_num_f32 v9, v14, v9
	v_cvt_f64_f32_e32 v[28:29], v30
	v_frexp_exp_i32_f32_e32 v14, v30
	s_delay_alu instid0(VALU_DEP_3) | instskip(SKIP_4) | instid1(VALU_DEP_1)
	v_frexp_exp_i32_f32_e32 v31, v9
	v_frexp_mant_f32_e32 v9, v9
	v_cmp_neq_f32_e32 vcc_lo, 0x7f800000, v30
	v_frexp_exp_i32_f64_e32 v28, v[28:29]
	v_frexp_mant_f32_e32 v29, v30
	v_rcp_f32_e32 v29, v29
	v_nop
	s_delay_alu instid0(TRANS32_DEP_1) | instskip(NEXT) | instid1(VALU_DEP_1)
	v_dual_mul_f32 v9, v9, v29 :: v_dual_sub_nc_u32 v14, v31, v14
	v_ldexp_f32 v9, v9, v14
	s_delay_alu instid0(VALU_DEP_1) | instskip(NEXT) | instid1(VALU_DEP_1)
	v_dual_mul_f32 v29, v9, v9 :: v_dual_sub_nc_u32 v14, 0, v28
	v_ldexp_f32 v31, |v19|, v14
	s_delay_alu instid0(VALU_DEP_2) | instskip(SKIP_1) | instid1(VALU_DEP_2)
	v_fmaak_f32 v32, s27, v29, 0xbc7a590c
	v_ldexp_f32 v14, |v18|, v14
	v_dual_mul_f32 v31, v31, v31 :: v_dual_fmaak_f32 v32, v29, v32, 0x3d29fb3f
	s_delay_alu instid0(VALU_DEP_1) | instskip(NEXT) | instid1(VALU_DEP_1)
	v_dual_fmac_f32 v31, v14, v14 :: v_dual_fmaak_f32 v14, v29, v32, 0xbd97d4d7
	v_sqrt_f32_e32 v31, v31
	s_delay_alu instid0(VALU_DEP_1) | instskip(NEXT) | instid1(VALU_DEP_1)
	v_fmaak_f32 v14, v29, v14, 0x3dd931b2
	v_fmaak_f32 v14, v29, v14, 0xbe1160e6
	s_delay_alu instid0(TRANS32_DEP_1) | instskip(NEXT) | instid1(VALU_DEP_2)
	v_ldexp_f32 v28, v31, v28
	v_fmaak_f32 v14, v29, v14, 0x3e4cb8bf
	s_delay_alu instid0(VALU_DEP_1) | instskip(NEXT) | instid1(VALU_DEP_1)
	v_fmaak_f32 v14, v29, v14, 0xbeaaaa62
	v_mul_f32_e32 v14, v29, v14
	s_delay_alu instid0(VALU_DEP_1) | instskip(NEXT) | instid1(VALU_DEP_1)
	v_dual_cndmask_b32 v28, 0x7f800000, v28 :: v_dual_fmac_f32 v9, v9, v14
	v_cmp_gt_f32_e32 vcc_lo, 0x800000, v28
	s_delay_alu instid0(VALU_DEP_2) | instskip(SKIP_1) | instid1(VALU_DEP_1)
	v_sub_f32_e32 v29, 0x3fc90fdb, v9
	v_cndmask_b32_e64 v30, 0, 32, vcc_lo
	v_ldexp_f32 v28, v28, v30
	s_delay_alu instid0(VALU_DEP_1) | instskip(NEXT) | instid1(VALU_DEP_3)
	v_log_f32_e32 v28, v28
	v_cndmask_b32_e64 v9, v9, v29, s4
	v_cndmask_b32_e64 v29, 0, 0x40490fdb, s5
	v_cmp_gt_f32_e64 s5, 0, v18
	s_delay_alu instid0(VALU_DEP_3) | instskip(NEXT) | instid1(VALU_DEP_2)
	v_sub_f32_e32 v30, 0x40490fdb, v9
	v_cndmask_b32_e64 v18, 0x3f490fdb, v34, s5
	s_delay_alu instid0(VALU_DEP_2) | instskip(SKIP_3) | instid1(VALU_DEP_3)
	v_cndmask_b32_e64 v9, v9, v30, s5
	v_mul_f32_e32 v14, 0x3f317217, v28
	v_cndmask_b32_e64 v30, 0, 0x41b17218, vcc_lo
	v_cmp_gt_f32_e64 vcc_lo, 0x7f800000, |v28|
	v_fma_f32 v14, 0x3f317217, v28, -v14
	s_delay_alu instid0(VALU_DEP_1) | instskip(NEXT) | instid1(VALU_DEP_1)
	v_fmac_f32_e32 v14, 0x3377d1cf, v28
	v_fmac_f32_e32 v14, 0x3f317217, v28
	s_delay_alu instid0(VALU_DEP_1) | instskip(SKIP_1) | instid1(VALU_DEP_2)
	v_cndmask_b32_e32 v14, v28, v14, vcc_lo
	v_cmp_eq_f32_e32 vcc_lo, 0, v19
	v_dual_sub_f32 v14, v14, v30 :: v_dual_cndmask_b32 v9, v9, v29
	s_and_b32 vcc_lo, s8, s7
	s_delay_alu instid0(VALU_DEP_1)
	v_cndmask_b32_e32 v35, v9, v18, vcc_lo
.LBB168_204:                            ;   in Loop: Header=BB168_145 Depth=1
	s_or_b32 exec_lo, exec_lo, s6
                                        ; implicit-def: $vgpr28
.LBB168_205:                            ;   in Loop: Header=BB168_145 Depth=1
	s_and_not1_saveexec_b32 s6, s30
	s_cbranch_execz .LBB168_211
; %bb.206:                              ;   in Loop: Header=BB168_145 Depth=1
                                        ; implicit-def: $vgpr14
                                        ; implicit-def: $vgpr35
	s_mov_b32 s5, exec_lo
	v_cmpx_ngt_f32_e32 0x1fec1e4a, v28
	s_xor_b32 s7, exec_lo, s5
	s_cbranch_execz .LBB168_208
; %bb.207:                              ;   in Loop: Header=BB168_145 Depth=1
	v_pk_mul_f32 v[28:29], v[28:29], v[28:29]
	v_cmp_class_f32_e64 s8, v18, 0x204
	s_delay_alu instid0(VALU_DEP_2) | instskip(SKIP_1) | instid1(VALU_DEP_2)
	v_add_f32_e32 v31, 1.0, v28
	v_cmp_neq_f32_e64 s5, 0x7f800000, v28
	v_add_f32_e32 v29, -1.0, v31
	s_delay_alu instid0(VALU_DEP_1) | instskip(SKIP_2) | instid1(VALU_DEP_1)
	v_mov_b32_e32 v30, v29
	v_cvt_f64_f32_e32 v[32:33], v31
	v_frexp_mant_f32_e32 v14, v31
	v_cmp_gt_f32_e32 vcc_lo, 0x3f2aaaab, v14
	s_delay_alu instid0(VALU_DEP_3) | instskip(NEXT) | instid1(VALU_DEP_1)
	v_frexp_exp_i32_f64_e32 v9, v[32:33]
	v_subrev_co_ci_u32_e64 v9, null, 0, v9, vcc_lo
	v_cmp_gt_i32_e32 vcc_lo, 0, v18
	s_delay_alu instid0(VALU_DEP_2) | instskip(SKIP_1) | instid1(VALU_DEP_2)
	v_sub_nc_u32_e32 v14, 0, v9
	v_pk_add_f32 v[32:33], v[28:29], v[30:31] neg_lo:[0,1] neg_hi:[0,1]
	v_ldexp_f32 v29, v31, v14
	s_delay_alu instid0(VALU_DEP_2) | instskip(NEXT) | instid1(VALU_DEP_2)
	v_add_f32_e32 v30, 1.0, v33
	v_add_f32_e32 v33, 1.0, v29
	s_delay_alu instid0(VALU_DEP_1) | instskip(SKIP_1) | instid1(VALU_DEP_2)
	v_dual_add_f32 v31, -1.0, v33 :: v_dual_add_f32 v30, v32, v30
	v_add_f32_e32 v35, -1.0, v29
	v_ldexp_f32 v14, v30, v14
	s_delay_alu instid0(VALU_DEP_3) | instskip(NEXT) | instid1(VALU_DEP_1)
	v_sub_f32_e32 v30, v29, v31
	v_dual_add_f32 v31, 1.0, v35 :: v_dual_add_f32 v30, v14, v30
	s_delay_alu instid0(VALU_DEP_1) | instskip(NEXT) | instid1(VALU_DEP_1)
	v_sub_f32_e32 v29, v29, v31
	v_dual_add_f32 v38, v33, v30 :: v_dual_add_f32 v14, v14, v29
	s_delay_alu instid0(VALU_DEP_1) | instskip(NEXT) | instid1(VALU_DEP_1)
	v_rcp_f32_e32 v29, v38
	v_add_f32_e32 v31, v35, v14
	s_delay_alu instid0(VALU_DEP_1) | instskip(NEXT) | instid1(TRANS32_DEP_1)
	v_dual_sub_f32 v33, v33, v38 :: v_dual_sub_f32 v35, v35, v31
	v_mul_f32_e32 v39, v31, v29
	s_delay_alu instid0(VALU_DEP_2) | instskip(NEXT) | instid1(VALU_DEP_3)
	v_add_f32_e32 v40, v30, v33
	v_add_f32_e32 v14, v14, v35
	s_delay_alu instid0(VALU_DEP_3) | instskip(NEXT) | instid1(VALU_DEP_1)
	v_mul_f32_e32 v32, v38, v39
	v_fma_f32 v36, v39, v38, -v32
	s_delay_alu instid0(VALU_DEP_1) | instskip(NEXT) | instid1(VALU_DEP_1)
	v_fmac_f32_e32 v36, v39, v40
	v_add_f32_e32 v30, v32, v36
	s_delay_alu instid0(VALU_DEP_1) | instskip(NEXT) | instid1(VALU_DEP_1)
	v_dual_sub_f32 v33, v31, v30 :: v_dual_mov_b32 v37, v30
	v_pk_add_f32 v[30:31], v[30:31], v[32:33] neg_lo:[0,1] neg_hi:[0,1]
	s_delay_alu instid0(VALU_DEP_1) | instskip(NEXT) | instid1(VALU_DEP_1)
	v_pk_add_f32 v[30:31], v[30:31], v[36:37] neg_lo:[0,1] neg_hi:[0,1]
	v_add_f32_e32 v14, v14, v31
	s_delay_alu instid0(VALU_DEP_1) | instskip(NEXT) | instid1(VALU_DEP_1)
	v_add_f32_e32 v14, v30, v14
	v_add_f32_e32 v31, v33, v14
	s_delay_alu instid0(VALU_DEP_1) | instskip(NEXT) | instid1(VALU_DEP_1)
	v_mul_f32_e32 v35, v29, v31
	v_mul_f32_e32 v36, v38, v35
	s_delay_alu instid0(VALU_DEP_1) | instskip(NEXT) | instid1(VALU_DEP_1)
	v_dual_fma_f32 v32, v35, v38, -v36 :: v_dual_sub_f32 v38, v33, v31
	v_dual_fmac_f32 v32, v35, v40 :: v_dual_add_f32 v14, v14, v38
	s_delay_alu instid0(VALU_DEP_1) | instskip(NEXT) | instid1(VALU_DEP_1)
	v_dual_add_f32 v38, v39, v35 :: v_dual_add_f32 v30, v36, v32
	v_dual_sub_f32 v37, v31, v30 :: v_dual_mov_b32 v33, v30
	s_delay_alu instid0(VALU_DEP_1) | instskip(NEXT) | instid1(VALU_DEP_1)
	v_pk_add_f32 v[30:31], v[30:31], v[36:37] neg_lo:[0,1] neg_hi:[0,1]
	v_pk_add_f32 v[30:31], v[30:31], v[32:33] neg_lo:[0,1] neg_hi:[0,1]
	s_delay_alu instid0(VALU_DEP_1) | instskip(NEXT) | instid1(VALU_DEP_1)
	v_add_f32_e32 v14, v14, v31
	v_add_f32_e32 v14, v30, v14
	s_delay_alu instid0(VALU_DEP_1) | instskip(NEXT) | instid1(VALU_DEP_1)
	v_dual_sub_f32 v30, v38, v39 :: v_dual_add_f32 v14, v37, v14
	v_sub_f32_e32 v30, v35, v30
	v_max_num_f32_e64 v35, |v18|, |v18|
	s_delay_alu instid0(VALU_DEP_3) | instskip(NEXT) | instid1(VALU_DEP_1)
	v_mul_f32_e32 v14, v29, v14
	v_add_f32_e32 v14, v30, v14
	v_cvt_f32_i32_e32 v30, v9
	s_delay_alu instid0(VALU_DEP_2) | instskip(NEXT) | instid1(VALU_DEP_1)
	v_add_f32_e32 v29, v38, v14
	v_mul_f32_e32 v32, v29, v29
	v_ldexp_f32 v37, v29, 1
	s_delay_alu instid0(VALU_DEP_2) | instskip(SKIP_1) | instid1(VALU_DEP_2)
	v_fmaak_f32 v33, s26, v32, 0x3ecc95a3
	v_mul_f32_e32 v31, v29, v32
	v_fmaak_f32 v9, v32, v33, 0x3f2aaada
	s_delay_alu instid0(VALU_DEP_1) | instskip(SKIP_2) | instid1(VALU_DEP_3)
	v_pk_mul_f32 v[32:33], v[30:31], v[8:9]
	v_sub_f32_e32 v9, v29, v38
	v_max_num_f32_e64 v29, |v19|, |v19|
	v_fma_f32 v36, 0x3f317218, v30, -v32
	s_delay_alu instid0(VALU_DEP_3) | instskip(NEXT) | instid1(VALU_DEP_2)
	v_dual_mov_b32 v38, v32 :: v_dual_sub_f32 v9, v14, v9
	v_fmac_f32_e32 v36, 0xb102e308, v30
	s_delay_alu instid0(VALU_DEP_2) | instskip(NEXT) | instid1(VALU_DEP_2)
	v_ldexp_f32 v9, v9, 1
	v_pk_add_f32 v[30:31], v[32:33], v[36:37]
	s_delay_alu instid0(VALU_DEP_1) | instskip(NEXT) | instid1(VALU_DEP_1)
	v_dual_sub_f32 v14, v31, v37 :: v_dual_mov_b32 v46, v31
	v_sub_f32_e32 v14, v33, v14
	s_delay_alu instid0(VALU_DEP_3) | instskip(NEXT) | instid1(VALU_DEP_2)
	v_pk_add_f32 v[32:33], v[30:31], v[32:33] neg_lo:[0,1] neg_hi:[0,1]
	v_dual_add_f32 v39, v9, v14 :: v_dual_max_num_f32 v9, v35, v29
	s_delay_alu instid0(VALU_DEP_1) | instskip(SKIP_1) | instid1(VALU_DEP_3)
	v_pk_add_f32 v[40:41], v[30:31], v[38:39]
	v_mov_b32_e32 v37, v30
	v_frexp_mant_f32_e32 v14, v9
	v_min_num_f32_e32 v29, v35, v29
	v_frexp_exp_i32_f32_e32 v9, v9
	v_mov_b32_e32 v33, v41
	s_delay_alu instid0(VALU_DEP_4) | instskip(NEXT) | instid1(VALU_DEP_1)
	v_rcp_f32_e32 v35, v14
	v_pk_add_f32 v[42:43], v[36:37], v[32:33]
	v_mov_b32_e32 v42, v41
	v_frexp_exp_i32_f32_e32 v38, v29
	v_frexp_mant_f32_e32 v29, v29
	v_pk_add_f32 v[32:33], v[36:37], v[32:33] neg_lo:[0,1] neg_hi:[0,1]
	s_delay_alu instid0(VALU_DEP_3) | instskip(NEXT) | instid1(VALU_DEP_3)
	v_dual_mov_b32 v14, v43 :: v_dual_sub_nc_u32 v9, v38, v9
	v_mul_f32_e32 v29, v29, v35
	s_delay_alu instid0(VALU_DEP_2) | instskip(SKIP_1) | instid1(VALU_DEP_3)
	v_pk_add_f32 v[44:45], v[14:15], v[30:31] neg_lo:[0,1] neg_hi:[0,1]
	v_dual_mov_b32 v31, v30 :: v_dual_mov_b32 v30, v39
	v_ldexp_f32 v29, v29, v9
	s_delay_alu instid0(VALU_DEP_3) | instskip(NEXT) | instid1(VALU_DEP_2)
	v_dual_mov_b32 v47, v44 :: v_dual_mov_b32 v9, v44
	v_mul_f32_e32 v35, v29, v29
	s_delay_alu instid0(VALU_DEP_2) | instskip(NEXT) | instid1(VALU_DEP_3)
	v_pk_add_f32 v[36:37], v[42:43], v[46:47] neg_lo:[0,1] neg_hi:[0,1]
	v_pk_add_f32 v[38:39], v[40:41], v[8:9] neg_lo:[0,1] neg_hi:[0,1]
	v_mov_b32_e32 v38, v32
	s_delay_alu instid0(VALU_DEP_3) | instskip(NEXT) | instid1(VALU_DEP_1)
	v_pk_add_f32 v[30:31], v[30:31], v[36:37] neg_lo:[0,1] neg_hi:[0,1]
	v_pk_add_f32 v[36:37], v[38:39], v[30:31]
	s_delay_alu instid0(VALU_DEP_1) | instskip(NEXT) | instid1(VALU_DEP_1)
	v_dual_fmaak_f32 v9, s27, v35, 0xbc7a590c :: v_dual_mov_b32 v38, v37
	v_pk_add_f32 v[38:39], v[36:37], v[38:39]
	s_delay_alu instid0(VALU_DEP_1) | instskip(NEXT) | instid1(VALU_DEP_1)
	v_pk_add_f32 v[40:41], v[14:15], v[38:39]
	v_dual_mov_b32 v33, v43 :: v_dual_mov_b32 v37, v40
	s_delay_alu instid0(VALU_DEP_1) | instskip(NEXT) | instid1(VALU_DEP_1)
	v_pk_add_f32 v[42:43], v[36:37], v[32:33] neg_lo:[0,1] neg_hi:[0,1]
	v_dual_fmaak_f32 v9, v35, v9, 0x3d29fb3f :: v_dual_sub_f32 v14, v36, v42
	s_delay_alu instid0(VALU_DEP_1) | instskip(NEXT) | instid1(VALU_DEP_1)
	v_dual_fmaak_f32 v9, v35, v9, 0xbd97d4d7 :: v_dual_sub_f32 v14, v32, v14
	v_fmaak_f32 v9, v35, v9, 0x3dd931b2
	s_delay_alu instid0(VALU_DEP_1) | instskip(NEXT) | instid1(VALU_DEP_1)
	v_fmaak_f32 v9, v35, v9, 0xbe1160e6
	v_fmaak_f32 v9, v35, v9, 0x3e4cb8bf
	s_delay_alu instid0(VALU_DEP_1) | instskip(NEXT) | instid1(VALU_DEP_1)
	v_fmaak_f32 v9, v35, v9, 0xbeaaaa62
	v_dual_mov_b32 v31, v38 :: v_dual_mul_f32 v9, v35, v9
	s_delay_alu instid0(VALU_DEP_1) | instskip(NEXT) | instid1(VALU_DEP_1)
	v_pk_add_f32 v[30:31], v[30:31], v[42:43] neg_lo:[0,1] neg_hi:[0,1]
	v_dual_fmac_f32 v29, v29, v9 :: v_dual_add_f32 v9, v30, v14
	s_delay_alu instid0(VALU_DEP_1) | instskip(NEXT) | instid1(VALU_DEP_1)
	v_dual_sub_f32 v14, 0x3fc90fdb, v29 :: v_dual_add_f32 v9, v9, v31
	v_dual_cndmask_b32 v14, v29, v14, s4 :: v_dual_add_f32 v9, v40, v9
	v_cndmask_b32_e64 v29, 0, 0x40490fdb, vcc_lo
	v_cmp_gt_f32_e32 vcc_lo, 0, v18
	s_delay_alu instid0(VALU_DEP_3) | instskip(NEXT) | instid1(VALU_DEP_4)
	v_cndmask_b32_e64 v9, 0x7f800000, v9, s5
	v_sub_f32_e32 v30, 0x40490fdb, v14
	v_cndmask_b32_e32 v18, 0x3f490fdb, v34, vcc_lo
	v_cmp_class_f32_e64 s5, v19, 0x204
	s_delay_alu instid0(VALU_DEP_3) | instskip(SKIP_3) | instid1(VALU_DEP_4)
	v_cndmask_b32_e32 v14, v14, v30, vcc_lo
	v_cmp_gt_f32_e64 vcc_lo, 0x33800000, |v28|
	v_cndmask_b32_e32 v9, v9, v28, vcc_lo
	v_cmp_eq_f32_e32 vcc_lo, 0, v19
	v_cndmask_b32_e32 v28, v14, v29, vcc_lo
	s_and_b32 vcc_lo, s5, s8
	s_delay_alu instid0(VALU_DEP_1)
	v_dual_mul_f32 v14, 0.5, v9 :: v_dual_cndmask_b32 v35, v28, v18
                                        ; implicit-def: $vgpr28
.LBB168_208:                            ;   in Loop: Header=BB168_145 Depth=1
	s_and_not1_saveexec_b32 s7, s7
	s_cbranch_execz .LBB168_210
; %bb.209:                              ;   in Loop: Header=BB168_145 Depth=1
	v_max_num_f32_e64 v9, |v19|, |v19|
	v_max_num_f32_e64 v14, |v18|, |v18|
	v_cmp_eq_f32_e64 s5, 0, v19
	v_cmp_gt_i32_e32 vcc_lo, 0, v18
	v_cmp_class_f32_e64 s8, v18, 0x204
	v_cmp_class_f32_e64 s9, v19, 0x204
	v_dual_max_num_f32 v29, v14, v9 :: v_dual_min_num_f32 v9, v14, v9
	s_delay_alu instid0(VALU_DEP_1) | instskip(SKIP_1) | instid1(VALU_DEP_2)
	v_frexp_mant_f32_e32 v30, v29
	v_frexp_exp_i32_f32_e32 v14, v29
	v_rcp_f32_e32 v29, v30
	v_nop
	v_frexp_exp_i32_f32_e32 v30, v9
	v_frexp_mant_f32_e32 v9, v9
	s_delay_alu instid0(TRANS32_DEP_1) | instid1(VALU_DEP_1)
	v_dual_mul_f32 v9, v9, v29 :: v_dual_sub_nc_u32 v14, v30, v14
	s_delay_alu instid0(VALU_DEP_1) | instskip(NEXT) | instid1(VALU_DEP_1)
	v_ldexp_f32 v9, v9, v14
	v_mul_f32_e32 v14, v9, v9
	s_delay_alu instid0(VALU_DEP_1) | instskip(NEXT) | instid1(VALU_DEP_1)
	v_fmaak_f32 v29, s27, v14, 0xbc7a590c
	v_fmaak_f32 v29, v14, v29, 0x3d29fb3f
	s_delay_alu instid0(VALU_DEP_1) | instskip(NEXT) | instid1(VALU_DEP_1)
	v_fmaak_f32 v29, v14, v29, 0xbd97d4d7
	v_fmaak_f32 v29, v14, v29, 0x3dd931b2
	;; [unrolled: 3-line block ×3, first 2 shown]
	s_delay_alu instid0(VALU_DEP_1) | instskip(NEXT) | instid1(VALU_DEP_1)
	v_fmaak_f32 v29, v14, v29, 0xbeaaaa62
	v_mul_f32_e32 v14, v14, v29
	v_cndmask_b32_e64 v29, 0, 0x40490fdb, vcc_lo
	v_cmp_gt_f32_e32 vcc_lo, 0, v18
	s_delay_alu instid0(VALU_DEP_3) | instskip(SKIP_1) | instid1(VALU_DEP_2)
	v_fmac_f32_e32 v9, v9, v14
	v_cndmask_b32_e32 v18, 0x3f490fdb, v34, vcc_lo
	v_sub_f32_e32 v14, 0x3fc90fdb, v9
	s_delay_alu instid0(VALU_DEP_1) | instskip(NEXT) | instid1(VALU_DEP_1)
	v_cndmask_b32_e64 v9, v9, v14, s4
	v_sub_f32_e32 v14, 0x40490fdb, v9
	s_delay_alu instid0(VALU_DEP_1) | instskip(SKIP_1) | instid1(VALU_DEP_1)
	v_dual_cndmask_b32 v9, v9, v14 :: v_dual_mul_f32 v14, 0.5, v28
	s_and_b32 vcc_lo, s9, s8
	v_dual_cndmask_b32 v9, v9, v29, s5 :: v_dual_mul_f32 v14, v28, v14
	s_delay_alu instid0(VALU_DEP_1)
	v_cndmask_b32_e32 v35, v9, v18, vcc_lo
.LBB168_210:                            ;   in Loop: Header=BB168_145 Depth=1
	s_or_b32 exec_lo, exec_lo, s7
.LBB168_211:                            ;   in Loop: Header=BB168_145 Depth=1
	s_delay_alu instid0(SALU_CYCLE_1)
	s_or_b32 exec_lo, exec_lo, s6
.LBB168_212:                            ;   in Loop: Header=BB168_145 Depth=1
	s_and_not1_saveexec_b32 s6, s29
	s_cbranch_execz .LBB168_214
; %bb.213:                              ;   in Loop: Header=BB168_145 Depth=1
	v_div_scale_f32 v9, null, 0x402df854, 0x402df854, v18
	v_div_scale_f32 v14, null, 0x402df854, 0x402df854, v19
	v_div_scale_f32 v32, vcc_lo, v18, 0x402df854, v18
	s_delay_alu instid0(VALU_DEP_3) | instskip(NEXT) | instid1(VALU_DEP_2)
	v_rcp_f32_e32 v28, v9
	v_rcp_f32_e32 v29, v14
	v_cmp_class_f32_e64 s7, v19, 0x204
	s_delay_alu instid0(TRANS32_DEP_2) | instskip(NEXT) | instid1(TRANS32_DEP_1)
	v_fma_f32 v30, -v9, v28, 1.0
	v_fma_f32 v31, -v14, v29, 1.0
	s_delay_alu instid0(VALU_DEP_1) | instskip(SKIP_1) | instid1(VALU_DEP_1)
	v_dual_fmac_f32 v28, v30, v28 :: v_dual_fmac_f32 v29, v31, v29
	v_div_scale_f32 v30, s5, v19, 0x402df854, v19
	v_dual_mul_f32 v31, v32, v28 :: v_dual_mul_f32 v33, v30, v29
	s_delay_alu instid0(VALU_DEP_1) | instskip(NEXT) | instid1(VALU_DEP_1)
	v_dual_fma_f32 v35, -v9, v31, v32 :: v_dual_fma_f32 v36, -v14, v33, v30
	v_dual_fmac_f32 v31, v35, v28 :: v_dual_fmac_f32 v33, v36, v29
	s_delay_alu instid0(VALU_DEP_1) | instskip(NEXT) | instid1(VALU_DEP_1)
	v_dual_fma_f32 v9, -v9, v31, v32 :: v_dual_fma_f32 v14, -v14, v33, v30
	v_div_fmas_f32 v9, v9, v28, v31
	s_mov_b32 vcc_lo, s5
	v_max_num_f32_e64 v31, |v18|, |v18|
	s_delay_alu instid0(VALU_DEP_3) | instskip(SKIP_2) | instid1(VALU_DEP_3)
	v_div_fmas_f32 v14, v14, v29, v33
	v_cmp_class_f32_e64 s5, v18, 0x204
	v_div_fixup_f32 v9, v9, 0x402df854, v18
	v_div_fixup_f32 v14, v14, 0x402df854, v19
	s_delay_alu instid0(VALU_DEP_1) | instskip(NEXT) | instid1(VALU_DEP_1)
	v_max_num_f32_e64 v30, |v9|, |v14|
	v_cvt_f64_f32_e32 v[28:29], v30
	v_cmp_neq_f32_e32 vcc_lo, 0x7f800000, v30
	s_delay_alu instid0(VALU_DEP_2) | instskip(SKIP_1) | instid1(VALU_DEP_1)
	v_frexp_exp_i32_f64_e32 v28, v[28:29]
	v_max_num_f32_e64 v29, |v19|, |v19|
	v_dual_max_num_f32 v32, v31, v29 :: v_dual_min_num_f32 v29, v31, v29
	s_delay_alu instid0(VALU_DEP_1) | instskip(SKIP_1) | instid1(VALU_DEP_2)
	v_frexp_mant_f32_e32 v33, v32
	v_frexp_exp_i32_f32_e32 v31, v32
	v_rcp_f32_e32 v32, v33
	v_nop
	v_frexp_exp_i32_f32_e32 v33, v29
	v_frexp_mant_f32_e32 v29, v29
	s_delay_alu instid0(VALU_DEP_2)
	v_sub_nc_u32_e32 v31, v33, v31
	s_delay_alu instid0(TRANS32_DEP_1) | instid1(VALU_DEP_2)
	v_mul_f32_e32 v29, v29, v32
	v_sub_nc_u32_e32 v32, 0, v28
	s_delay_alu instid0(VALU_DEP_1) | instskip(SKIP_1) | instid1(VALU_DEP_2)
	v_ldexp_f32 v14, |v14|, v32
	v_ldexp_f32 v9, |v9|, v32
	v_mul_f32_e32 v14, v14, v14
	v_ldexp_f32 v29, v29, v31
	s_delay_alu instid0(VALU_DEP_2) | instskip(NEXT) | instid1(VALU_DEP_1)
	v_fmac_f32_e32 v14, v9, v9
	v_sqrt_f32_e32 v14, v14
	v_nop
	s_delay_alu instid0(TRANS32_DEP_1) | instskip(NEXT) | instid1(VALU_DEP_1)
	v_ldexp_f32 v14, v14, v28
	v_dual_mul_f32 v31, v29, v29 :: v_dual_cndmask_b32 v14, 0x7f800000, v14
	s_delay_alu instid0(VALU_DEP_1) | instskip(NEXT) | instid1(VALU_DEP_2)
	v_fmaak_f32 v32, s27, v31, 0xbc7a590c
	v_cmp_gt_f32_e32 vcc_lo, 0x800000, v14
	s_delay_alu instid0(VALU_DEP_2) | instskip(SKIP_1) | instid1(VALU_DEP_2)
	v_fmaak_f32 v9, v31, v32, 0x3d29fb3f
	v_cndmask_b32_e64 v28, 0, 32, vcc_lo
	v_fmaak_f32 v9, v31, v9, 0xbd97d4d7
	s_delay_alu instid0(VALU_DEP_2) | instskip(NEXT) | instid1(VALU_DEP_2)
	v_ldexp_f32 v14, v14, v28
	v_fmaak_f32 v9, v31, v9, 0x3dd931b2
	s_delay_alu instid0(VALU_DEP_2) | instskip(NEXT) | instid1(VALU_DEP_1)
	v_log_f32_e32 v14, v14
	v_fmaak_f32 v9, v31, v9, 0xbe1160e6
	s_delay_alu instid0(VALU_DEP_1) | instskip(NEXT) | instid1(VALU_DEP_1)
	v_fmaak_f32 v9, v31, v9, 0x3e4cb8bf
	v_fmaak_f32 v9, v31, v9, 0xbeaaaa62
	s_delay_alu instid0(TRANS32_DEP_1) | instid1(VALU_DEP_1)
	v_dual_mul_f32 v9, v31, v9 :: v_dual_mul_f32 v28, 0x3f317217, v14
	v_cndmask_b32_e64 v31, 0, 0x41b17218, vcc_lo
	v_cmp_gt_f32_e64 vcc_lo, 0x7f800000, |v14|
	s_delay_alu instid0(VALU_DEP_3) | instskip(NEXT) | instid1(VALU_DEP_4)
	v_fmac_f32_e32 v29, v29, v9
	v_fma_f32 v9, 0x3f317217, v14, -v28
	s_delay_alu instid0(VALU_DEP_1) | instskip(NEXT) | instid1(VALU_DEP_1)
	v_fmac_f32_e32 v9, 0x3377d1cf, v14
	v_fmac_f32_e32 v9, 0x3f317217, v14
	s_delay_alu instid0(VALU_DEP_1) | instskip(SKIP_2) | instid1(VALU_DEP_3)
	v_cndmask_b32_e32 v9, v14, v9, vcc_lo
	v_sub_f32_e32 v28, 0x3fc90fdb, v29
	v_cmp_eq_f32_e32 vcc_lo, 0, v19
	v_sub_f32_e32 v9, v9, v31
	s_delay_alu instid0(VALU_DEP_3) | instskip(SKIP_1) | instid1(VALU_DEP_1)
	v_cndmask_b32_e64 v28, v29, v28, s4
	v_cmp_gt_i32_e64 s4, 0, v18
	v_cndmask_b32_e64 v29, 0, 0x40490fdb, s4
	v_cmp_gt_f32_e64 s4, 0, v18
	s_delay_alu instid0(VALU_DEP_1) | instskip(SKIP_1) | instid1(VALU_DEP_1)
	v_cndmask_b32_e64 v18, 0x3f490fdb, v34, s4
	v_sub_f32_e32 v30, 0x40490fdb, v28
	v_cndmask_b32_e64 v14, v28, v30, s4
	s_delay_alu instid0(VALU_DEP_1) | instskip(SKIP_1) | instid1(VALU_DEP_1)
	v_cndmask_b32_e32 v28, v14, v29, vcc_lo
	s_and_b32 vcc_lo, s7, s5
	v_dual_add_f32 v14, 1.0, v9 :: v_dual_cndmask_b32 v35, v28, v18
.LBB168_214:                            ;   in Loop: Header=BB168_145 Depth=1
	s_or_b32 exec_lo, exec_lo, s6
.LBB168_215:                            ;   in Loop: Header=BB168_145 Depth=1
	s_and_not1_saveexec_b32 s4, s28
	s_cbranch_execz .LBB168_221
; %bb.216:                              ;   in Loop: Header=BB168_145 Depth=1
	v_cmp_ngt_f32_e64 s5, 0x20000000, |v18|
	v_cmp_ngt_f32_e64 s6, 0x20000000, |v19|
                                        ; implicit-def: $vgpr9
	s_or_b32 s5, s6, s5
	s_delay_alu instid0(SALU_CYCLE_1) | instskip(NEXT) | instid1(SALU_CYCLE_1)
	s_and_saveexec_b32 s6, s5
	s_xor_b32 s5, exec_lo, s6
; %bb.217:                              ;   in Loop: Header=BB168_145 Depth=1
	v_pk_mul_f32 v[28:29], v[18:19], v[18:19]
	s_delay_alu instid0(VALU_DEP_1)
	v_add_f32_e32 v9, v29, v28
; %bb.218:                              ;   in Loop: Header=BB168_145 Depth=1
	s_and_not1_saveexec_b32 s5, s5
; %bb.219:                              ;   in Loop: Header=BB168_145 Depth=1
	v_pk_mul_f32 v[28:29], v[18:19], 4.0 op_sel_hi:[1,0]
	s_delay_alu instid0(VALU_DEP_1) | instskip(NEXT) | instid1(VALU_DEP_1)
	v_pk_mul_f32 v[28:29], v[28:29], v[28:29]
	v_add_f32_e32 v9, v29, v28
	s_delay_alu instid0(VALU_DEP_1)
	v_mul_f32_e32 v9, 0x3d800000, v9
; %bb.220:                              ;   in Loop: Header=BB168_145 Depth=1
	s_or_b32 exec_lo, exec_lo, s5
	s_delay_alu instid0(VALU_DEP_1) | instskip(SKIP_3) | instid1(VALU_DEP_2)
	v_cmp_gt_f32_e32 vcc_lo, 0x800000, v9
	v_mov_b32_e32 v35, 0x7fc00000
	v_cndmask_b32_e64 v14, 0, 32, vcc_lo
	v_cndmask_b32_e64 v18, 0, 0x41b17218, vcc_lo
	v_ldexp_f32 v9, v9, v14
	s_delay_alu instid0(VALU_DEP_1) | instskip(SKIP_1) | instid1(TRANS32_DEP_1)
	v_log_f32_e32 v9, v9
	v_nop
	v_mul_f32_e32 v14, 0x3f317217, v9
	v_cmp_gt_f32_e64 vcc_lo, 0x7f800000, |v9|
	s_delay_alu instid0(VALU_DEP_2) | instskip(NEXT) | instid1(VALU_DEP_1)
	v_fma_f32 v14, 0x3f317217, v9, -v14
	v_fmac_f32_e32 v14, 0x3377d1cf, v9
	s_delay_alu instid0(VALU_DEP_1) | instskip(NEXT) | instid1(VALU_DEP_1)
	v_fmac_f32_e32 v14, 0x3f317217, v9
	v_cndmask_b32_e32 v9, v9, v14, vcc_lo
	s_delay_alu instid0(VALU_DEP_1)
	v_sub_f32_e32 v14, v9, v18
.LBB168_221:                            ;   in Loop: Header=BB168_145 Depth=1
	s_or_b32 exec_lo, exec_lo, s4
                                        ; implicit-def: $vgpr18
                                        ; implicit-def: $vgpr36
	s_delay_alu instid0(SALU_CYCLE_1)
	s_mov_b32 s4, exec_lo
	v_cmpx_o_f32_e32 v11, v10
	s_xor_b32 s28, exec_lo, s4
	s_cbranch_execz .LBB168_249
; %bb.222:                              ;   in Loop: Header=BB168_145 Depth=1
	v_cmp_lt_f32_e64 s4, |v10|, |v11|
                                        ; implicit-def: $vgpr18
                                        ; implicit-def: $vgpr36
	s_mov_b32 s6, exec_lo
	v_cndmask_b32_e64 v9, v11, v10, s4
	s_delay_alu instid0(VALU_DEP_1)
	v_cmpx_nlt_f32_e64 0x77f684df, |v9|
	s_xor_b32 s29, exec_lo, s6
	s_cbranch_execz .LBB168_246
; %bb.223:                              ;   in Loop: Header=BB168_145 Depth=1
	v_cndmask_b32_e64 v18, v10, v11, s4
	v_and_b32_e32 v28, 0x7fffffff, v9
                                        ; implicit-def: $vgpr36
	s_mov_b32 s5, exec_lo
	s_delay_alu instid0(VALU_DEP_2) | instskip(NEXT) | instid1(VALU_DEP_1)
	v_and_b32_e32 v29, 0x7fffffff, v18
                                        ; implicit-def: $vgpr18
	v_cmpx_neq_f32_e32 1.0, v29
	s_xor_b32 s30, exec_lo, s5
	s_cbranch_execz .LBB168_239
; %bb.224:                              ;   in Loop: Header=BB168_145 Depth=1
	v_dual_max_num_f32 v9, v28, v28 :: v_dual_max_num_f32 v18, v29, v29
                                        ; implicit-def: $vgpr36
	s_delay_alu instid0(VALU_DEP_1) | instskip(NEXT) | instid1(VALU_DEP_1)
	v_dual_min_num_f32 v30, v18, v9 :: v_dual_max_num_f32 v9, v18, v9
                                        ; implicit-def: $vgpr18
	v_cmp_ngt_f32_e32 vcc_lo, 0x358637bd, v30
	s_delay_alu instid0(VALU_DEP_2) | instskip(SKIP_1) | instid1(SALU_CYCLE_1)
	v_cmp_nlt_f32_e64 s5, 0x49742400, v9
	s_and_b32 s5, s5, vcc_lo
	s_and_saveexec_b32 s6, s5
	s_delay_alu instid0(SALU_CYCLE_1)
	s_xor_b32 s31, exec_lo, s6
	s_cbranch_execz .LBB168_236
; %bb.225:                              ;   in Loop: Header=BB168_145 Depth=1
                                        ; implicit-def: $vgpr18
                                        ; implicit-def: $vgpr36
	s_mov_b32 s5, exec_lo
	v_cmpx_le_f32_e32 1.0, v29
	s_xor_b32 s6, exec_lo, s5
	s_cbranch_execz .LBB168_227
; %bb.226:                              ;   in Loop: Header=BB168_145 Depth=1
	v_pk_add_f32 v[30:31], v[28:29], v[6:7] op_sel:[1,0]
	v_mov_b32_e32 v32, v28
	v_cmp_class_f32_e64 s7, v10, 0x204
	s_delay_alu instid0(VALU_DEP_3) | instskip(SKIP_1) | instid1(VALU_DEP_1)
	v_dual_mov_b32 v29, v30 :: v_dual_mov_b32 v33, v31
	v_mul_f32_e32 v18, v30, v31
	v_pk_fma_f32 v[28:29], v[28:29], v[32:33], v[18:19] op_sel_hi:[1,1,0]
	s_delay_alu instid0(VALU_DEP_1) | instskip(SKIP_1) | instid1(VALU_DEP_2)
	v_add_f32_e32 v31, 1.0, v28
	v_cmp_neq_f32_e64 s5, -1.0, v28
	v_add_f32_e32 v29, -1.0, v31
	s_delay_alu instid0(VALU_DEP_1) | instskip(SKIP_2) | instid1(VALU_DEP_1)
	v_mov_b32_e32 v30, v29
	v_cvt_f64_f32_e32 v[32:33], v31
	v_frexp_mant_f32_e32 v18, v31
	v_cmp_gt_f32_e32 vcc_lo, 0x3f2aaaab, v18
	s_delay_alu instid0(VALU_DEP_3) | instskip(NEXT) | instid1(VALU_DEP_1)
	v_frexp_exp_i32_f64_e32 v9, v[32:33]
	v_subrev_co_ci_u32_e64 v9, null, 0, v9, vcc_lo
	v_cmp_neq_f32_e32 vcc_lo, 0x7f800000, v28
	s_delay_alu instid0(VALU_DEP_2) | instskip(SKIP_1) | instid1(VALU_DEP_2)
	v_sub_nc_u32_e32 v18, 0, v9
	v_pk_add_f32 v[32:33], v[28:29], v[30:31] neg_lo:[0,1] neg_hi:[0,1]
	v_ldexp_f32 v29, v31, v18
	s_delay_alu instid0(VALU_DEP_2) | instskip(NEXT) | instid1(VALU_DEP_2)
	v_add_f32_e32 v30, 1.0, v33
	v_add_f32_e32 v33, 1.0, v29
	s_delay_alu instid0(VALU_DEP_1) | instskip(SKIP_1) | instid1(VALU_DEP_2)
	v_dual_add_f32 v31, -1.0, v33 :: v_dual_add_f32 v30, v32, v30
	v_add_f32_e32 v37, -1.0, v29
	v_ldexp_f32 v18, v30, v18
	s_delay_alu instid0(VALU_DEP_2) | instskip(NEXT) | instid1(VALU_DEP_1)
	v_dual_sub_f32 v30, v29, v31 :: v_dual_add_f32 v31, 1.0, v37
	v_add_f32_e32 v30, v18, v30
	s_delay_alu instid0(VALU_DEP_1) | instskip(NEXT) | instid1(VALU_DEP_1)
	v_add_f32_e32 v38, v33, v30
	v_dual_sub_f32 v29, v29, v31 :: v_dual_sub_f32 v33, v38, v33
	s_delay_alu instid0(VALU_DEP_1) | instskip(SKIP_1) | instid1(VALU_DEP_1)
	v_add_f32_e32 v18, v18, v29
	v_rcp_f32_e32 v29, v38
	v_add_f32_e32 v31, v37, v18
	s_delay_alu instid0(TRANS32_DEP_1) | instid1(VALU_DEP_1)
	v_mul_f32_e32 v39, v31, v29
	s_delay_alu instid0(VALU_DEP_1) | instskip(SKIP_2) | instid1(VALU_DEP_1)
	v_mul_f32_e32 v32, v38, v39
	v_sub_f32_e32 v40, v30, v33
	v_sub_f32_e32 v41, v31, v37
	v_dual_fma_f32 v36, v39, v38, -v32 :: v_dual_sub_f32 v18, v18, v41
	s_delay_alu instid0(VALU_DEP_1) | instskip(NEXT) | instid1(VALU_DEP_1)
	v_fmac_f32_e32 v36, v39, v40
	v_add_f32_e32 v30, v32, v36
	s_delay_alu instid0(VALU_DEP_1) | instskip(NEXT) | instid1(VALU_DEP_1)
	v_dual_sub_f32 v33, v31, v30 :: v_dual_mov_b32 v37, v30
	v_pk_add_f32 v[30:31], v[30:31], v[32:33] neg_lo:[0,1] neg_hi:[0,1]
	s_delay_alu instid0(VALU_DEP_1) | instskip(NEXT) | instid1(VALU_DEP_1)
	v_pk_add_f32 v[30:31], v[30:31], v[36:37] neg_lo:[0,1] neg_hi:[0,1]
	v_add_f32_e32 v18, v18, v31
	s_delay_alu instid0(VALU_DEP_1) | instskip(NEXT) | instid1(VALU_DEP_1)
	v_add_f32_e32 v18, v30, v18
	v_add_f32_e32 v31, v33, v18
	s_delay_alu instid0(VALU_DEP_1) | instskip(NEXT) | instid1(VALU_DEP_1)
	v_mul_f32_e32 v41, v29, v31
	v_mul_f32_e32 v36, v38, v41
	s_delay_alu instid0(VALU_DEP_1) | instskip(SKIP_1) | instid1(VALU_DEP_1)
	v_fma_f32 v32, v41, v38, -v36
	v_sub_f32_e32 v38, v33, v31
	v_dual_fmac_f32 v32, v41, v40 :: v_dual_add_f32 v18, v18, v38
	s_delay_alu instid0(VALU_DEP_1) | instskip(NEXT) | instid1(VALU_DEP_1)
	v_dual_add_f32 v38, v39, v41 :: v_dual_add_f32 v30, v36, v32
	v_dual_sub_f32 v37, v31, v30 :: v_dual_mov_b32 v33, v30
	s_delay_alu instid0(VALU_DEP_1) | instskip(NEXT) | instid1(VALU_DEP_1)
	v_pk_add_f32 v[30:31], v[30:31], v[36:37] neg_lo:[0,1] neg_hi:[0,1]
	v_pk_add_f32 v[30:31], v[30:31], v[32:33] neg_lo:[0,1] neg_hi:[0,1]
	s_delay_alu instid0(VALU_DEP_1) | instskip(NEXT) | instid1(VALU_DEP_1)
	v_add_f32_e32 v18, v18, v31
	v_add_f32_e32 v18, v30, v18
	s_delay_alu instid0(VALU_DEP_1) | instskip(NEXT) | instid1(VALU_DEP_1)
	v_dual_sub_f32 v30, v38, v39 :: v_dual_add_f32 v18, v37, v18
	v_sub_f32_e32 v30, v41, v30
	s_delay_alu instid0(VALU_DEP_2) | instskip(NEXT) | instid1(VALU_DEP_1)
	v_mul_f32_e32 v18, v29, v18
	v_add_f32_e32 v18, v30, v18
	v_cvt_f32_i32_e32 v30, v9
	s_delay_alu instid0(VALU_DEP_2) | instskip(NEXT) | instid1(VALU_DEP_1)
	v_add_f32_e32 v29, v38, v18
	v_mul_f32_e32 v32, v29, v29
	v_ldexp_f32 v37, v29, 1
	s_delay_alu instid0(VALU_DEP_2) | instskip(SKIP_1) | instid1(VALU_DEP_2)
	v_fmaak_f32 v33, s26, v32, 0x3ecc95a3
	v_mul_f32_e32 v31, v29, v32
	v_fmaak_f32 v9, v32, v33, 0x3f2aaada
	s_delay_alu instid0(VALU_DEP_1) | instskip(NEXT) | instid1(VALU_DEP_1)
	v_pk_mul_f32 v[32:33], v[30:31], v[8:9]
	v_dual_sub_f32 v9, v29, v38 :: v_dual_mov_b32 v38, v32
	v_fma_f32 v36, 0x3f317218, v30, -v32
	s_delay_alu instid0(VALU_DEP_1) | instskip(NEXT) | instid1(VALU_DEP_1)
	v_dual_sub_f32 v9, v18, v9 :: v_dual_fmac_f32 v36, 0xb102e308, v30
	v_ldexp_f32 v9, v9, 1
	s_delay_alu instid0(VALU_DEP_2) | instskip(NEXT) | instid1(VALU_DEP_1)
	v_pk_add_f32 v[30:31], v[32:33], v[36:37]
	v_dual_sub_f32 v18, v31, v37 :: v_dual_mov_b32 v37, v30
	s_delay_alu instid0(VALU_DEP_1) | instskip(SKIP_1) | instid1(VALU_DEP_2)
	v_dual_mov_b32 v46, v31 :: v_dual_sub_f32 v18, v33, v18
	v_pk_add_f32 v[32:33], v[30:31], v[32:33] neg_lo:[0,1] neg_hi:[0,1]
	v_add_f32_e32 v39, v9, v18
	v_max_num_f32_e64 v9, |v11|, |v11|
	v_max_num_f32_e64 v18, |v10|, |v10|
	s_delay_alu instid0(VALU_DEP_3) | instskip(NEXT) | instid1(VALU_DEP_1)
	v_pk_add_f32 v[40:41], v[30:31], v[38:39]
	v_dual_max_num_f32 v29, v18, v9 :: v_dual_mov_b32 v33, v41
	s_delay_alu instid0(VALU_DEP_1) | instskip(SKIP_1) | instid1(VALU_DEP_3)
	v_frexp_exp_i32_f32_e32 v38, v29
	v_frexp_mant_f32_e32 v29, v29
	v_pk_add_f32 v[42:43], v[36:37], v[32:33]
	v_min_num_f32_e32 v9, v18, v9
	v_pk_add_f32 v[32:33], v[36:37], v[32:33] neg_lo:[0,1] neg_hi:[0,1]
	s_delay_alu instid0(VALU_DEP_4) | instskip(NEXT) | instid1(VALU_DEP_3)
	v_rcp_f32_e32 v29, v29
	v_mov_b32_e32 v18, v43
	s_delay_alu instid0(VALU_DEP_3) | instskip(SKIP_2) | instid1(VALU_DEP_4)
	v_frexp_exp_i32_f32_e32 v42, v9
	v_frexp_mant_f32_e32 v48, v9
	v_mov_b32_e32 v33, v43
	v_pk_add_f32 v[44:45], v[18:19], v[30:31] neg_lo:[0,1] neg_hi:[0,1]
	s_delay_alu instid0(VALU_DEP_4) | instskip(SKIP_1) | instid1(VALU_DEP_3)
	v_dual_mov_b32 v42, v41 :: v_dual_sub_nc_u32 v45, v42, v38
	v_dual_mov_b32 v31, v30 :: v_dual_mov_b32 v30, v39
	v_dual_mov_b32 v47, v44 :: v_dual_mov_b32 v9, v44
	s_delay_alu instid0(VALU_DEP_1) | instskip(NEXT) | instid1(VALU_DEP_2)
	v_pk_add_f32 v[36:37], v[42:43], v[46:47] neg_lo:[0,1] neg_hi:[0,1]
	v_pk_add_f32 v[38:39], v[40:41], v[8:9] neg_lo:[0,1] neg_hi:[0,1]
	v_mov_b32_e32 v38, v32
	s_delay_alu instid0(VALU_DEP_3) | instskip(NEXT) | instid1(VALU_DEP_1)
	v_pk_add_f32 v[30:31], v[30:31], v[36:37] neg_lo:[0,1] neg_hi:[0,1]
	v_pk_add_f32 v[36:37], v[38:39], v[30:31]
	s_delay_alu instid0(VALU_DEP_1) | instskip(NEXT) | instid1(VALU_DEP_1)
	v_dual_mul_f32 v29, v48, v29 :: v_dual_mov_b32 v38, v37
	v_ldexp_f32 v9, v29, v45
	s_delay_alu instid0(VALU_DEP_2) | instskip(NEXT) | instid1(VALU_DEP_2)
	v_pk_add_f32 v[38:39], v[36:37], v[38:39]
	v_mul_f32_e32 v29, v9, v9
	s_delay_alu instid0(VALU_DEP_2) | instskip(NEXT) | instid1(VALU_DEP_1)
	v_pk_add_f32 v[40:41], v[18:19], v[38:39]
	v_mov_b32_e32 v37, v40
	s_delay_alu instid0(VALU_DEP_1) | instskip(NEXT) | instid1(VALU_DEP_1)
	v_pk_add_f32 v[42:43], v[36:37], v[32:33] neg_lo:[0,1] neg_hi:[0,1]
	v_sub_f32_e32 v33, v36, v42
	s_delay_alu instid0(VALU_DEP_1) | instskip(SKIP_1) | instid1(VALU_DEP_1)
	v_sub_f32_e32 v32, v32, v33
	v_fmaak_f32 v31, s27, v29, 0xbc7a590c
	v_fmaak_f32 v31, v29, v31, 0x3d29fb3f
	s_delay_alu instid0(VALU_DEP_1) | instskip(NEXT) | instid1(VALU_DEP_1)
	v_dual_fmaak_f32 v18, v29, v31, 0xbd97d4d7 :: v_dual_mov_b32 v31, v38
	v_fmaak_f32 v18, v29, v18, 0x3dd931b2
	s_delay_alu instid0(VALU_DEP_2) | instskip(NEXT) | instid1(VALU_DEP_1)
	v_pk_add_f32 v[30:31], v[30:31], v[42:43] neg_lo:[0,1] neg_hi:[0,1]
	v_add_f32_e32 v30, v30, v32
	s_delay_alu instid0(VALU_DEP_3) | instskip(NEXT) | instid1(VALU_DEP_1)
	v_fmaak_f32 v18, v29, v18, 0xbe1160e6
	v_fmaak_f32 v18, v29, v18, 0x3e4cb8bf
	s_delay_alu instid0(VALU_DEP_1) | instskip(NEXT) | instid1(VALU_DEP_1)
	v_fmaak_f32 v18, v29, v18, 0xbeaaaa62
	v_dual_mul_f32 v18, v29, v18 :: v_dual_add_f32 v29, v30, v31
	s_delay_alu instid0(VALU_DEP_1) | instskip(NEXT) | instid1(VALU_DEP_1)
	v_dual_fmac_f32 v9, v9, v18 :: v_dual_add_f32 v18, v40, v29
	v_sub_f32_e32 v29, 0x3fc90fdb, v9
	s_delay_alu instid0(VALU_DEP_2) | instskip(SKIP_1) | instid1(VALU_DEP_3)
	v_cndmask_b32_e32 v18, 0x7f800000, v18, vcc_lo
	v_cmp_gt_i32_e32 vcc_lo, 0, v10
	v_cndmask_b32_e64 v9, v9, v29, s4
	v_cndmask_b32_e64 v29, 0, 0x40490fdb, vcc_lo
	v_cmp_ngt_f32_e32 vcc_lo, -1.0, v28
	s_delay_alu instid0(VALU_DEP_3) | instskip(SKIP_2) | instid1(VALU_DEP_2)
	v_sub_f32_e32 v30, 0x40490fdb, v9
	v_cndmask_b32_e32 v18, 0x7fc00000, v18, vcc_lo
	v_cmp_gt_f32_e32 vcc_lo, 0, v10
	v_cndmask_b32_e64 v10, 0xff800000, v18, s5
	s_delay_alu instid0(VALU_DEP_4)
	v_cndmask_b32_e32 v9, v9, v30, vcc_lo
	v_cndmask_b32_e32 v30, 0x3f490fdb, v34, vcc_lo
	v_cmp_gt_f32_e64 vcc_lo, 0x33800000, |v28|
	v_cmp_class_f32_e64 s5, v11, 0x204
	v_cndmask_b32_e32 v10, v10, v28, vcc_lo
	v_cmp_eq_f32_e32 vcc_lo, 0, v11
	s_delay_alu instid0(VALU_DEP_2) | instskip(SKIP_1) | instid1(VALU_DEP_1)
	v_dual_mul_f32 v18, 0.5, v10 :: v_dual_cndmask_b32 v9, v9, v29
	s_and_b32 vcc_lo, s5, s7
                                        ; implicit-def: $vgpr28_vgpr29
	v_cndmask_b32_e32 v36, v9, v30, vcc_lo
.LBB168_227:                            ;   in Loop: Header=BB168_145 Depth=1
	s_and_not1_saveexec_b32 s33, s6
	s_cbranch_execz .LBB168_235
; %bb.228:                              ;   in Loop: Header=BB168_145 Depth=1
	v_pk_mul_f32 v[30:31], v[28:29], v[28:29]
                                        ; implicit-def: $vgpr18
                                        ; implicit-def: $vgpr36
	s_mov_b32 s5, exec_lo
	s_delay_alu instid0(VALU_DEP_1) | instskip(NEXT) | instid1(VALU_DEP_1)
	v_add_f32_e32 v9, v31, v30
	v_cmpx_ge_f32_e32 0x3f333333, v9
	s_xor_b32 s6, exec_lo, s5
	s_cbranch_execz .LBB168_230
; %bb.229:                              ;   in Loop: Header=BB168_145 Depth=1
	v_max_num_f32_e64 v18, |v11|, |v11|
	v_max_num_f32_e64 v28, |v10|, |v10|
	v_cmp_gt_f32_e32 vcc_lo, 0x800000, v9
	v_cmp_gt_i32_e64 s5, 0, v10
	v_cmp_class_f32_e64 s7, v10, 0x204
	v_cmp_class_f32_e64 s8, v11, 0x204
	v_dual_max_num_f32 v29, v28, v18 :: v_dual_min_num_f32 v18, v28, v18
	v_cndmask_b32_e64 v31, 0, 0x41b17218, vcc_lo
	s_delay_alu instid0(VALU_DEP_2) | instskip(SKIP_1) | instid1(VALU_DEP_2)
	v_frexp_mant_f32_e32 v30, v29
	v_frexp_exp_i32_f32_e32 v28, v29
	v_rcp_f32_e32 v29, v30
	v_nop
	v_frexp_exp_i32_f32_e32 v30, v18
	v_frexp_mant_f32_e32 v18, v18
	s_delay_alu instid0(VALU_DEP_2)
	v_sub_nc_u32_e32 v28, v30, v28
	s_delay_alu instid0(TRANS32_DEP_1) | instid1(VALU_DEP_2)
	v_mul_f32_e32 v18, v18, v29
	v_cndmask_b32_e64 v30, 0, 32, vcc_lo
	s_delay_alu instid0(VALU_DEP_2) | instskip(NEXT) | instid1(VALU_DEP_2)
	v_ldexp_f32 v18, v18, v28
	v_ldexp_f32 v9, v9, v30
	s_delay_alu instid0(VALU_DEP_2) | instskip(NEXT) | instid1(VALU_DEP_2)
	v_mul_f32_e32 v28, v18, v18
	v_log_f32_e32 v9, v9
	s_delay_alu instid0(VALU_DEP_1) | instskip(NEXT) | instid1(TRANS32_DEP_1)
	v_fmaak_f32 v29, s27, v28, 0xbc7a590c
	v_cmp_gt_f32_e64 vcc_lo, 0x7f800000, |v9|
	s_delay_alu instid0(VALU_DEP_2) | instskip(NEXT) | instid1(VALU_DEP_1)
	v_fmaak_f32 v29, v28, v29, 0x3d29fb3f
	v_fmaak_f32 v29, v28, v29, 0xbd97d4d7
	s_delay_alu instid0(VALU_DEP_1) | instskip(NEXT) | instid1(VALU_DEP_1)
	v_fmaak_f32 v29, v28, v29, 0x3dd931b2
	v_fmaak_f32 v29, v28, v29, 0xbe1160e6
	s_delay_alu instid0(VALU_DEP_1) | instskip(NEXT) | instid1(VALU_DEP_1)
	;; [unrolled: 3-line block ×3, first 2 shown]
	v_mul_f32_e32 v28, v28, v29
	v_dual_mul_f32 v29, 0x3f317217, v9 :: v_dual_fmac_f32 v18, v18, v28
	s_delay_alu instid0(VALU_DEP_1) | instskip(NEXT) | instid1(VALU_DEP_2)
	v_fma_f32 v28, 0x3f317217, v9, -v29
	v_sub_f32_e32 v29, 0x3fc90fdb, v18
	s_delay_alu instid0(VALU_DEP_2) | instskip(NEXT) | instid1(VALU_DEP_2)
	v_fmac_f32_e32 v28, 0x3377d1cf, v9
	v_cndmask_b32_e64 v18, v18, v29, s4
	s_delay_alu instid0(VALU_DEP_2) | instskip(SKIP_2) | instid1(VALU_DEP_3)
	v_fmac_f32_e32 v28, 0x3f317217, v9
	v_cndmask_b32_e64 v29, 0, 0x40490fdb, s5
	v_cmp_eq_f32_e64 s5, 0, v11
	v_dual_sub_f32 v30, 0x40490fdb, v18 :: v_dual_cndmask_b32 v9, v9, v28
	v_cmp_gt_f32_e32 vcc_lo, 0, v10
	s_delay_alu instid0(VALU_DEP_2) | instskip(SKIP_2) | instid1(VALU_DEP_2)
	v_dual_sub_f32 v9, v9, v31 :: v_dual_cndmask_b32 v18, v18, v30
	v_cndmask_b32_e32 v28, 0x3f490fdb, v34, vcc_lo
	s_and_b32 vcc_lo, s8, s7
	v_cndmask_b32_e64 v10, v18, v29, s5
	s_delay_alu instid0(VALU_DEP_1)
	v_dual_mul_f32 v18, 0.5, v9 :: v_dual_cndmask_b32 v36, v10, v28, vcc_lo
                                        ; implicit-def: $vgpr28
.LBB168_230:                            ;   in Loop: Header=BB168_145 Depth=1
	s_and_not1_saveexec_b32 s34, s6
	s_cbranch_execz .LBB168_234
; %bb.231:                              ;   in Loop: Header=BB168_145 Depth=1
	v_and_b32_e32 v31, 0x7fff0000, v28
	v_and_b32_e32 v30, 0x7fff0000, v29
	s_mov_b32 s35, 0
	s_delay_alu instid0(VALU_DEP_1) | instskip(SKIP_2) | instid1(VALU_DEP_2)
	v_dual_add_f32 v40, v31, v31 :: v_dual_add_f32 v18, v30, v30
	v_pk_add_f32 v[32:33], v[28:29], v[30:31] op_sel:[1,0] op_sel_hi:[0,1] neg_lo:[0,1] neg_hi:[0,1]
	v_pk_mul_f32 v[28:29], v[30:31], v[30:31]
	v_and_b32_e32 v39, 0xffff0000, v33
	s_delay_alu instid0(VALU_DEP_3) | instskip(NEXT) | instid1(VALU_DEP_1)
	v_and_b32_e32 v38, 0xffff0000, v32
	v_dual_add_f32 v42, v39, v39 :: v_dual_add_f32 v41, v38, v38
	v_pk_add_f32 v[30:31], v[32:33], v[38:39] neg_lo:[0,1] neg_hi:[0,1]
	v_dual_mul_f32 v9, v18, v38 :: v_dual_mul_f32 v37, v40, v39
	v_pk_mul_f32 v[32:33], v[38:39], v[38:39]
	s_delay_alu instid0(VALU_DEP_3)
	v_dual_mul_f32 v36, v18, v30 :: v_dual_mul_f32 v39, v40, v31
	v_dual_mul_f32 v18, v41, v30 :: v_dual_mul_f32 v38, v42, v31
	v_pk_mul_f32 v[30:31], v[30:31], v[30:31]
.LBB168_232:                            ;   Parent Loop BB168_145 Depth=1
                                        ; =>  This Inner Loop Header: Depth=2
	v_cmp_nlt_f32_e32 vcc_lo, v28, v29
	v_dual_cndmask_b32 v40, v28, v29, vcc_lo :: v_dual_cndmask_b32 v28, v29, v28, vcc_lo
	s_delay_alu instid0(VALU_DEP_1) | instskip(NEXT) | instid1(VALU_DEP_1)
	v_cmp_nlt_f32_e64 s5, v40, v9
	v_dual_cndmask_b32 v41, v40, v9, s5 :: v_dual_cndmask_b32 v29, v9, v40, s5
	s_and_b32 s5, vcc_lo, s5
	s_delay_alu instid0(VALU_DEP_1) | instskip(NEXT) | instid1(VALU_DEP_1)
	v_cmp_nlt_f32_e64 s6, v41, v37
	v_cndmask_b32_e64 v42, v41, v37, s6
	v_cndmask_b32_e64 v9, v37, v41, s6
	s_delay_alu instid0(VALU_DEP_2) | instskip(NEXT) | instid1(VALU_DEP_1)
	v_cmp_nlt_f32_e64 s7, v42, v32
	v_cndmask_b32_e64 v40, v42, v32, s7
	s_and_b32 s36, s6, s7
	s_delay_alu instid0(VALU_DEP_1) | instskip(NEXT) | instid1(VALU_DEP_1)
	v_cmp_nlt_f32_e64 s8, v40, v33
	v_cndmask_b32_e64 v41, v40, v33, s8
	s_delay_alu instid0(VALU_DEP_1) | instskip(NEXT) | instid1(VALU_DEP_1)
	v_cmp_nlt_f32_e64 s9, v41, v36
	v_dual_cndmask_b32 v43, v41, v36, s9 :: v_dual_cndmask_b32 v37, v32, v42, s7
	v_cndmask_b32_e64 v32, v33, v40, s8
	s_and_b32 s8, s8, s9
	s_delay_alu instid0(VALU_DEP_2) | instskip(NEXT) | instid1(VALU_DEP_1)
	v_cmp_nlt_f32_e64 s10, v43, v39
	v_cndmask_b32_e64 v44, v43, v39, s10
	s_and_b32 s8, s8, s10
	s_delay_alu instid0(VALU_DEP_1) | instskip(SKIP_1) | instid1(VALU_DEP_2)
	v_cmp_nlt_f32_e64 s11, v44, v18
	v_dual_cndmask_b32 v33, v36, v41, s9 :: v_dual_cndmask_b32 v36, v39, v43, s10
	v_cndmask_b32_e64 v42, v44, v18, s11
	s_and_b32 s9, s8, s11
	v_cndmask_b32_e64 v39, v18, v44, s11
	s_delay_alu instid0(VALU_DEP_2) | instskip(NEXT) | instid1(VALU_DEP_1)
	v_cmp_nlt_f32_e64 s6, v42, v38
	v_cndmask_b32_e64 v40, v42, v38, s6
	s_delay_alu instid0(VALU_DEP_1) | instskip(NEXT) | instid1(VALU_DEP_1)
	v_cmp_nlt_f32_e64 s7, v40, v30
	v_cndmask_b32_e64 v41, v40, v30, s7
	v_cndmask_b32_e64 v18, v38, v42, s6
	;; [unrolled: 1-line block ×3, first 2 shown]
	s_and_b32 s6, s9, s6
	s_delay_alu instid0(SALU_CYCLE_1)
	s_and_b32 s6, s6, s7
	v_cmp_nlt_f32_e64 s8, v41, v31
	s_and_b32 s6, s6, s8
	v_cndmask_b32_e64 v30, v31, v41, s8
	s_and_b32 s6, s6, s36
	v_cndmask_b32_e64 v31, v41, v31, s8
	s_and_b32 s5, s6, s5
	s_delay_alu instid0(SALU_CYCLE_1) | instskip(NEXT) | instid1(SALU_CYCLE_1)
	s_and_b32 s5, exec_lo, s5
	s_or_b32 s35, s5, s35
	s_delay_alu instid0(SALU_CYCLE_1)
	s_and_not1_b32 exec_lo, exec_lo, s35
	s_cbranch_execnz .LBB168_232
; %bb.233:                              ;   in Loop: Header=BB168_145 Depth=1
	s_or_b32 exec_lo, exec_lo, s35
	v_add_f32_e32 v28, -1.0, v28
	v_cmp_class_f32_e64 s6, v10, 0x204
	s_delay_alu instid0(VALU_DEP_2) | instskip(NEXT) | instid1(VALU_DEP_1)
	v_add_f32_e32 v28, v28, v29
	v_add_f32_e32 v9, v28, v9
	s_delay_alu instid0(VALU_DEP_1) | instskip(NEXT) | instid1(VALU_DEP_1)
	v_add_f32_e32 v9, v9, v37
	v_add_f32_e32 v9, v9, v32
	s_delay_alu instid0(VALU_DEP_1) | instskip(NEXT) | instid1(VALU_DEP_1)
	;; [unrolled: 3-line block ×5, first 2 shown]
	v_add_f32_e32 v28, v31, v9
	v_add_f32_e32 v31, 1.0, v28
	s_delay_alu instid0(VALU_DEP_1) | instskip(SKIP_2) | instid1(VALU_DEP_2)
	v_cvt_f64_f32_e32 v[32:33], v31
	v_frexp_mant_f32_e32 v18, v31
	v_add_f32_e32 v29, -1.0, v31
	v_cmp_gt_f32_e32 vcc_lo, 0x3f2aaaab, v18
	s_delay_alu instid0(VALU_DEP_2) | instskip(SKIP_2) | instid1(VALU_DEP_3)
	v_mov_b32_e32 v30, v29
	v_cmp_neq_f32_e64 s5, -1.0, v28
	v_frexp_exp_i32_f64_e32 v9, v[32:33]
	v_pk_add_f32 v[32:33], v[28:29], v[30:31] neg_lo:[0,1] neg_hi:[0,1]
	s_delay_alu instid0(VALU_DEP_1) | instskip(NEXT) | instid1(VALU_DEP_1)
	v_add_f32_e32 v30, 1.0, v33
	v_add_f32_e32 v30, v32, v30
	s_delay_alu instid0(VALU_DEP_4) | instskip(SKIP_1) | instid1(VALU_DEP_2)
	v_subrev_co_ci_u32_e64 v9, null, 0, v9, vcc_lo
	v_cmp_neq_f32_e32 vcc_lo, 0x7f800000, v28
	v_sub_nc_u32_e32 v18, 0, v9
	s_delay_alu instid0(VALU_DEP_1) | instskip(SKIP_1) | instid1(VALU_DEP_2)
	v_ldexp_f32 v29, v31, v18
	v_ldexp_f32 v18, v30, v18
	v_dual_add_f32 v33, 1.0, v29 :: v_dual_add_f32 v37, -1.0, v29
	s_delay_alu instid0(VALU_DEP_1) | instskip(NEXT) | instid1(VALU_DEP_1)
	v_add_f32_e32 v31, -1.0, v33
	v_dual_sub_f32 v30, v29, v31 :: v_dual_add_f32 v31, 1.0, v37
	s_delay_alu instid0(VALU_DEP_1) | instskip(NEXT) | instid1(VALU_DEP_1)
	v_add_f32_e32 v30, v18, v30
	v_add_f32_e32 v38, v33, v30
	s_delay_alu instid0(VALU_DEP_1) | instskip(NEXT) | instid1(VALU_DEP_1)
	v_dual_sub_f32 v29, v29, v31 :: v_dual_sub_f32 v33, v38, v33
	v_add_f32_e32 v18, v18, v29
	v_rcp_f32_e32 v29, v38
	s_delay_alu instid0(VALU_DEP_1)
	v_add_f32_e32 v31, v37, v18
	s_delay_alu instid0(TRANS32_DEP_1) | instid1(VALU_DEP_1)
	v_mul_f32_e32 v39, v31, v29
	s_delay_alu instid0(VALU_DEP_1) | instskip(SKIP_2) | instid1(VALU_DEP_1)
	v_mul_f32_e32 v32, v38, v39
	v_sub_f32_e32 v40, v30, v33
	v_sub_f32_e32 v41, v31, v37
	v_dual_fma_f32 v36, v39, v38, -v32 :: v_dual_sub_f32 v18, v18, v41
	s_delay_alu instid0(VALU_DEP_1) | instskip(NEXT) | instid1(VALU_DEP_1)
	v_fmac_f32_e32 v36, v39, v40
	v_add_f32_e32 v30, v32, v36
	s_delay_alu instid0(VALU_DEP_1) | instskip(NEXT) | instid1(VALU_DEP_1)
	v_dual_sub_f32 v33, v31, v30 :: v_dual_mov_b32 v37, v30
	v_pk_add_f32 v[30:31], v[30:31], v[32:33] neg_lo:[0,1] neg_hi:[0,1]
	s_delay_alu instid0(VALU_DEP_1) | instskip(NEXT) | instid1(VALU_DEP_1)
	v_pk_add_f32 v[30:31], v[30:31], v[36:37] neg_lo:[0,1] neg_hi:[0,1]
	v_add_f32_e32 v18, v18, v31
	s_delay_alu instid0(VALU_DEP_1) | instskip(NEXT) | instid1(VALU_DEP_1)
	v_add_f32_e32 v18, v30, v18
	v_add_f32_e32 v31, v33, v18
	s_delay_alu instid0(VALU_DEP_1) | instskip(NEXT) | instid1(VALU_DEP_1)
	v_mul_f32_e32 v41, v29, v31
	v_mul_f32_e32 v36, v38, v41
	s_delay_alu instid0(VALU_DEP_1) | instskip(SKIP_1) | instid1(VALU_DEP_1)
	v_fma_f32 v32, v41, v38, -v36
	v_sub_f32_e32 v38, v33, v31
	v_dual_fmac_f32 v32, v41, v40 :: v_dual_add_f32 v18, v18, v38
	s_delay_alu instid0(VALU_DEP_1) | instskip(NEXT) | instid1(VALU_DEP_1)
	v_dual_add_f32 v38, v39, v41 :: v_dual_add_f32 v30, v36, v32
	v_dual_sub_f32 v37, v31, v30 :: v_dual_mov_b32 v33, v30
	s_delay_alu instid0(VALU_DEP_1) | instskip(NEXT) | instid1(VALU_DEP_1)
	v_pk_add_f32 v[30:31], v[30:31], v[36:37] neg_lo:[0,1] neg_hi:[0,1]
	v_pk_add_f32 v[30:31], v[30:31], v[32:33] neg_lo:[0,1] neg_hi:[0,1]
	s_delay_alu instid0(VALU_DEP_1) | instskip(NEXT) | instid1(VALU_DEP_1)
	v_add_f32_e32 v18, v18, v31
	v_add_f32_e32 v18, v30, v18
	s_delay_alu instid0(VALU_DEP_1) | instskip(NEXT) | instid1(VALU_DEP_1)
	v_dual_sub_f32 v30, v38, v39 :: v_dual_add_f32 v18, v37, v18
	v_sub_f32_e32 v30, v41, v30
	s_delay_alu instid0(VALU_DEP_2) | instskip(NEXT) | instid1(VALU_DEP_1)
	v_mul_f32_e32 v18, v29, v18
	v_add_f32_e32 v18, v30, v18
	v_cvt_f32_i32_e32 v30, v9
	s_delay_alu instid0(VALU_DEP_2) | instskip(NEXT) | instid1(VALU_DEP_1)
	v_add_f32_e32 v29, v38, v18
	v_mul_f32_e32 v32, v29, v29
	v_ldexp_f32 v37, v29, 1
	s_delay_alu instid0(VALU_DEP_2) | instskip(SKIP_1) | instid1(VALU_DEP_2)
	v_fmaak_f32 v33, s26, v32, 0x3ecc95a3
	v_mul_f32_e32 v31, v29, v32
	v_fmaak_f32 v9, v32, v33, 0x3f2aaada
	s_delay_alu instid0(VALU_DEP_1) | instskip(NEXT) | instid1(VALU_DEP_1)
	v_pk_mul_f32 v[32:33], v[30:31], v[8:9]
	v_dual_sub_f32 v9, v29, v38 :: v_dual_mov_b32 v38, v32
	v_fma_f32 v36, 0x3f317218, v30, -v32
	s_delay_alu instid0(VALU_DEP_1) | instskip(NEXT) | instid1(VALU_DEP_1)
	v_dual_sub_f32 v9, v18, v9 :: v_dual_fmac_f32 v36, 0xb102e308, v30
	v_ldexp_f32 v9, v9, 1
	s_delay_alu instid0(VALU_DEP_2) | instskip(NEXT) | instid1(VALU_DEP_1)
	v_pk_add_f32 v[30:31], v[32:33], v[36:37]
	v_dual_sub_f32 v18, v31, v37 :: v_dual_mov_b32 v37, v30
	s_delay_alu instid0(VALU_DEP_1) | instskip(SKIP_1) | instid1(VALU_DEP_2)
	v_dual_mov_b32 v46, v31 :: v_dual_sub_f32 v18, v33, v18
	v_pk_add_f32 v[32:33], v[30:31], v[32:33] neg_lo:[0,1] neg_hi:[0,1]
	v_add_f32_e32 v39, v9, v18
	v_max_num_f32_e64 v9, |v11|, |v11|
	v_max_num_f32_e64 v18, |v10|, |v10|
	s_delay_alu instid0(VALU_DEP_3) | instskip(NEXT) | instid1(VALU_DEP_1)
	v_pk_add_f32 v[40:41], v[30:31], v[38:39]
	v_dual_max_num_f32 v29, v18, v9 :: v_dual_mov_b32 v33, v41
	s_delay_alu instid0(VALU_DEP_1) | instskip(SKIP_1) | instid1(VALU_DEP_3)
	v_frexp_exp_i32_f32_e32 v38, v29
	v_frexp_mant_f32_e32 v29, v29
	v_pk_add_f32 v[42:43], v[36:37], v[32:33]
	v_min_num_f32_e32 v9, v18, v9
	v_pk_add_f32 v[32:33], v[36:37], v[32:33] neg_lo:[0,1] neg_hi:[0,1]
	s_delay_alu instid0(VALU_DEP_4) | instskip(NEXT) | instid1(VALU_DEP_3)
	v_rcp_f32_e32 v29, v29
	v_mov_b32_e32 v18, v43
	s_delay_alu instid0(VALU_DEP_3) | instskip(SKIP_2) | instid1(VALU_DEP_4)
	v_frexp_exp_i32_f32_e32 v42, v9
	v_frexp_mant_f32_e32 v48, v9
	v_mov_b32_e32 v33, v43
	v_pk_add_f32 v[44:45], v[18:19], v[30:31] neg_lo:[0,1] neg_hi:[0,1]
	s_delay_alu instid0(VALU_DEP_4) | instskip(SKIP_1) | instid1(VALU_DEP_3)
	v_dual_mov_b32 v42, v41 :: v_dual_sub_nc_u32 v45, v42, v38
	v_dual_mov_b32 v31, v30 :: v_dual_mov_b32 v30, v39
	v_dual_mov_b32 v47, v44 :: v_dual_mov_b32 v9, v44
	s_delay_alu instid0(VALU_DEP_1) | instskip(NEXT) | instid1(VALU_DEP_2)
	v_pk_add_f32 v[36:37], v[42:43], v[46:47] neg_lo:[0,1] neg_hi:[0,1]
	v_pk_add_f32 v[38:39], v[40:41], v[8:9] neg_lo:[0,1] neg_hi:[0,1]
	v_mov_b32_e32 v38, v32
	s_delay_alu instid0(VALU_DEP_3) | instskip(NEXT) | instid1(VALU_DEP_1)
	v_pk_add_f32 v[30:31], v[30:31], v[36:37] neg_lo:[0,1] neg_hi:[0,1]
	v_pk_add_f32 v[36:37], v[38:39], v[30:31]
	s_delay_alu instid0(VALU_DEP_1) | instskip(NEXT) | instid1(VALU_DEP_1)
	v_dual_mul_f32 v29, v48, v29 :: v_dual_mov_b32 v38, v37
	v_ldexp_f32 v9, v29, v45
	s_delay_alu instid0(VALU_DEP_2) | instskip(NEXT) | instid1(VALU_DEP_2)
	v_pk_add_f32 v[38:39], v[36:37], v[38:39]
	v_mul_f32_e32 v29, v9, v9
	s_delay_alu instid0(VALU_DEP_2) | instskip(NEXT) | instid1(VALU_DEP_1)
	v_pk_add_f32 v[40:41], v[18:19], v[38:39]
	v_mov_b32_e32 v37, v40
	s_delay_alu instid0(VALU_DEP_1) | instskip(NEXT) | instid1(VALU_DEP_1)
	v_pk_add_f32 v[42:43], v[36:37], v[32:33] neg_lo:[0,1] neg_hi:[0,1]
	v_sub_f32_e32 v33, v36, v42
	s_delay_alu instid0(VALU_DEP_1) | instskip(SKIP_1) | instid1(VALU_DEP_1)
	v_sub_f32_e32 v32, v32, v33
	v_fmaak_f32 v31, s27, v29, 0xbc7a590c
	v_fmaak_f32 v31, v29, v31, 0x3d29fb3f
	s_delay_alu instid0(VALU_DEP_1) | instskip(NEXT) | instid1(VALU_DEP_1)
	v_dual_fmaak_f32 v18, v29, v31, 0xbd97d4d7 :: v_dual_mov_b32 v31, v38
	v_fmaak_f32 v18, v29, v18, 0x3dd931b2
	s_delay_alu instid0(VALU_DEP_2) | instskip(NEXT) | instid1(VALU_DEP_1)
	v_pk_add_f32 v[30:31], v[30:31], v[42:43] neg_lo:[0,1] neg_hi:[0,1]
	v_add_f32_e32 v30, v30, v32
	s_delay_alu instid0(VALU_DEP_3) | instskip(NEXT) | instid1(VALU_DEP_1)
	v_fmaak_f32 v18, v29, v18, 0xbe1160e6
	v_fmaak_f32 v18, v29, v18, 0x3e4cb8bf
	s_delay_alu instid0(VALU_DEP_1) | instskip(NEXT) | instid1(VALU_DEP_1)
	v_fmaak_f32 v18, v29, v18, 0xbeaaaa62
	v_dual_mul_f32 v18, v29, v18 :: v_dual_add_f32 v29, v30, v31
	s_delay_alu instid0(VALU_DEP_1) | instskip(NEXT) | instid1(VALU_DEP_1)
	v_dual_fmac_f32 v9, v9, v18 :: v_dual_add_f32 v18, v40, v29
	v_sub_f32_e32 v29, 0x3fc90fdb, v9
	s_delay_alu instid0(VALU_DEP_2) | instskip(SKIP_1) | instid1(VALU_DEP_3)
	v_cndmask_b32_e32 v18, 0x7f800000, v18, vcc_lo
	v_cmp_gt_i32_e32 vcc_lo, 0, v10
	v_cndmask_b32_e64 v9, v9, v29, s4
	v_cndmask_b32_e64 v29, 0, 0x40490fdb, vcc_lo
	v_cmp_ngt_f32_e32 vcc_lo, -1.0, v28
	s_delay_alu instid0(VALU_DEP_3) | instskip(SKIP_2) | instid1(VALU_DEP_2)
	v_sub_f32_e32 v30, 0x40490fdb, v9
	v_cndmask_b32_e32 v18, 0x7fc00000, v18, vcc_lo
	v_cmp_gt_f32_e32 vcc_lo, 0, v10
	v_cndmask_b32_e64 v10, 0xff800000, v18, s5
	s_delay_alu instid0(VALU_DEP_4)
	v_cndmask_b32_e32 v9, v9, v30, vcc_lo
	v_cndmask_b32_e32 v30, 0x3f490fdb, v34, vcc_lo
	v_cmp_gt_f32_e64 vcc_lo, 0x33800000, |v28|
	v_cmp_class_f32_e64 s5, v11, 0x204
	v_cndmask_b32_e32 v10, v10, v28, vcc_lo
	v_cmp_eq_f32_e32 vcc_lo, 0, v11
	s_delay_alu instid0(VALU_DEP_2) | instskip(SKIP_1) | instid1(VALU_DEP_1)
	v_dual_mul_f32 v18, 0.5, v10 :: v_dual_cndmask_b32 v9, v9, v29
	s_and_b32 vcc_lo, s5, s6
	v_cndmask_b32_e32 v36, v9, v30, vcc_lo
.LBB168_234:                            ;   in Loop: Header=BB168_145 Depth=1
	s_or_b32 exec_lo, exec_lo, s34
.LBB168_235:                            ;   in Loop: Header=BB168_145 Depth=1
	s_delay_alu instid0(SALU_CYCLE_1)
	s_or_b32 exec_lo, exec_lo, s33
.LBB168_236:                            ;   in Loop: Header=BB168_145 Depth=1
	s_and_not1_saveexec_b32 s6, s31
	s_cbranch_execz .LBB168_238
; %bb.237:                              ;   in Loop: Header=BB168_145 Depth=1
	v_max_num_f32_e64 v9, |v11|, |v11|
	v_max_num_f32_e64 v18, |v10|, |v10|
	v_cmp_gt_i32_e64 s5, 0, v10
	v_cmp_class_f32_e64 s7, v10, 0x204
	v_cmp_class_f32_e64 s8, v11, 0x204
	s_delay_alu instid0(VALU_DEP_4) | instskip(NEXT) | instid1(VALU_DEP_1)
	v_dual_max_num_f32 v30, v18, v9 :: v_dual_min_num_f32 v9, v18, v9
	v_cvt_f64_f32_e32 v[28:29], v30
	v_frexp_exp_i32_f32_e32 v18, v30
	s_delay_alu instid0(VALU_DEP_3) | instskip(SKIP_4) | instid1(VALU_DEP_1)
	v_frexp_exp_i32_f32_e32 v31, v9
	v_frexp_mant_f32_e32 v9, v9
	v_cmp_neq_f32_e32 vcc_lo, 0x7f800000, v30
	v_frexp_exp_i32_f64_e32 v28, v[28:29]
	v_frexp_mant_f32_e32 v29, v30
	v_rcp_f32_e32 v29, v29
	v_nop
	s_delay_alu instid0(TRANS32_DEP_1) | instskip(NEXT) | instid1(VALU_DEP_1)
	v_dual_mul_f32 v9, v9, v29 :: v_dual_sub_nc_u32 v18, v31, v18
	v_ldexp_f32 v9, v9, v18
	s_delay_alu instid0(VALU_DEP_1) | instskip(NEXT) | instid1(VALU_DEP_1)
	v_dual_mul_f32 v29, v9, v9 :: v_dual_sub_nc_u32 v18, 0, v28
	v_ldexp_f32 v31, |v11|, v18
	s_delay_alu instid0(VALU_DEP_2) | instskip(SKIP_1) | instid1(VALU_DEP_2)
	v_fmaak_f32 v32, s27, v29, 0xbc7a590c
	v_ldexp_f32 v18, |v10|, v18
	v_dual_mul_f32 v31, v31, v31 :: v_dual_fmaak_f32 v32, v29, v32, 0x3d29fb3f
	s_delay_alu instid0(VALU_DEP_1) | instskip(NEXT) | instid1(VALU_DEP_1)
	v_dual_fmac_f32 v31, v18, v18 :: v_dual_fmaak_f32 v18, v29, v32, 0xbd97d4d7
	v_sqrt_f32_e32 v31, v31
	s_delay_alu instid0(VALU_DEP_1) | instskip(NEXT) | instid1(VALU_DEP_1)
	v_fmaak_f32 v18, v29, v18, 0x3dd931b2
	v_fmaak_f32 v18, v29, v18, 0xbe1160e6
	s_delay_alu instid0(TRANS32_DEP_1) | instskip(NEXT) | instid1(VALU_DEP_2)
	v_ldexp_f32 v28, v31, v28
	v_fmaak_f32 v18, v29, v18, 0x3e4cb8bf
	s_delay_alu instid0(VALU_DEP_1) | instskip(NEXT) | instid1(VALU_DEP_1)
	v_fmaak_f32 v18, v29, v18, 0xbeaaaa62
	v_mul_f32_e32 v18, v29, v18
	s_delay_alu instid0(VALU_DEP_1) | instskip(NEXT) | instid1(VALU_DEP_1)
	v_dual_cndmask_b32 v28, 0x7f800000, v28 :: v_dual_fmac_f32 v9, v9, v18
	v_cmp_gt_f32_e32 vcc_lo, 0x800000, v28
	s_delay_alu instid0(VALU_DEP_2) | instskip(SKIP_1) | instid1(VALU_DEP_1)
	v_sub_f32_e32 v29, 0x3fc90fdb, v9
	v_cndmask_b32_e64 v30, 0, 32, vcc_lo
	v_ldexp_f32 v28, v28, v30
	s_delay_alu instid0(VALU_DEP_1) | instskip(NEXT) | instid1(VALU_DEP_3)
	v_log_f32_e32 v28, v28
	v_cndmask_b32_e64 v9, v9, v29, s4
	v_cndmask_b32_e64 v29, 0, 0x40490fdb, s5
	v_cmp_gt_f32_e64 s5, 0, v10
	s_delay_alu instid0(VALU_DEP_3) | instskip(NEXT) | instid1(VALU_DEP_2)
	v_sub_f32_e32 v30, 0x40490fdb, v9
	v_cndmask_b32_e64 v10, 0x3f490fdb, v34, s5
	s_delay_alu instid0(VALU_DEP_2) | instskip(SKIP_3) | instid1(VALU_DEP_3)
	v_cndmask_b32_e64 v9, v9, v30, s5
	v_mul_f32_e32 v18, 0x3f317217, v28
	v_cndmask_b32_e64 v30, 0, 0x41b17218, vcc_lo
	v_cmp_gt_f32_e64 vcc_lo, 0x7f800000, |v28|
	v_fma_f32 v18, 0x3f317217, v28, -v18
	s_delay_alu instid0(VALU_DEP_1) | instskip(NEXT) | instid1(VALU_DEP_1)
	v_fmac_f32_e32 v18, 0x3377d1cf, v28
	v_fmac_f32_e32 v18, 0x3f317217, v28
	s_delay_alu instid0(VALU_DEP_1) | instskip(SKIP_1) | instid1(VALU_DEP_2)
	v_cndmask_b32_e32 v18, v28, v18, vcc_lo
	v_cmp_eq_f32_e32 vcc_lo, 0, v11
	v_dual_sub_f32 v18, v18, v30 :: v_dual_cndmask_b32 v9, v9, v29
	s_and_b32 vcc_lo, s8, s7
	s_delay_alu instid0(VALU_DEP_1)
	v_cndmask_b32_e32 v36, v9, v10, vcc_lo
.LBB168_238:                            ;   in Loop: Header=BB168_145 Depth=1
	s_or_b32 exec_lo, exec_lo, s6
                                        ; implicit-def: $vgpr28
.LBB168_239:                            ;   in Loop: Header=BB168_145 Depth=1
	s_and_not1_saveexec_b32 s6, s30
	s_cbranch_execz .LBB168_245
; %bb.240:                              ;   in Loop: Header=BB168_145 Depth=1
                                        ; implicit-def: $vgpr18
                                        ; implicit-def: $vgpr36
	s_mov_b32 s5, exec_lo
	v_cmpx_ngt_f32_e32 0x1fec1e4a, v28
	s_xor_b32 s7, exec_lo, s5
	s_cbranch_execz .LBB168_242
; %bb.241:                              ;   in Loop: Header=BB168_145 Depth=1
	v_pk_mul_f32 v[28:29], v[28:29], v[28:29]
	v_max_num_f32_e64 v42, |v10|, |v10|
	v_cmp_class_f32_e64 s8, v10, 0x204
	s_delay_alu instid0(VALU_DEP_3) | instskip(SKIP_1) | instid1(VALU_DEP_2)
	v_add_f32_e32 v31, 1.0, v28
	v_cmp_neq_f32_e64 s5, 0x7f800000, v28
	v_add_f32_e32 v29, -1.0, v31
	s_delay_alu instid0(VALU_DEP_1) | instskip(SKIP_2) | instid1(VALU_DEP_1)
	v_mov_b32_e32 v30, v29
	v_cvt_f64_f32_e32 v[32:33], v31
	v_frexp_mant_f32_e32 v18, v31
	v_cmp_gt_f32_e32 vcc_lo, 0x3f2aaaab, v18
	s_delay_alu instid0(VALU_DEP_3) | instskip(NEXT) | instid1(VALU_DEP_1)
	v_frexp_exp_i32_f64_e32 v9, v[32:33]
	v_subrev_co_ci_u32_e64 v9, null, 0, v9, vcc_lo
	v_cmp_gt_i32_e32 vcc_lo, 0, v10
	s_delay_alu instid0(VALU_DEP_2) | instskip(SKIP_1) | instid1(VALU_DEP_2)
	v_sub_nc_u32_e32 v18, 0, v9
	v_pk_add_f32 v[32:33], v[28:29], v[30:31] neg_lo:[0,1] neg_hi:[0,1]
	v_ldexp_f32 v29, v31, v18
	s_delay_alu instid0(VALU_DEP_2) | instskip(NEXT) | instid1(VALU_DEP_2)
	v_add_f32_e32 v30, 1.0, v33
	v_add_f32_e32 v33, 1.0, v29
	s_delay_alu instid0(VALU_DEP_1) | instskip(SKIP_1) | instid1(VALU_DEP_2)
	v_dual_add_f32 v31, -1.0, v33 :: v_dual_add_f32 v30, v32, v30
	v_add_f32_e32 v37, -1.0, v29
	v_ldexp_f32 v18, v30, v18
	s_delay_alu instid0(VALU_DEP_2) | instskip(NEXT) | instid1(VALU_DEP_1)
	v_dual_sub_f32 v30, v29, v31 :: v_dual_add_f32 v31, 1.0, v37
	v_add_f32_e32 v30, v18, v30
	s_delay_alu instid0(VALU_DEP_1) | instskip(NEXT) | instid1(VALU_DEP_1)
	v_add_f32_e32 v38, v33, v30
	v_sub_f32_e32 v33, v33, v38
	s_delay_alu instid0(VALU_DEP_1) | instskip(NEXT) | instid1(VALU_DEP_1)
	v_dual_sub_f32 v29, v29, v31 :: v_dual_add_f32 v40, v30, v33
	v_add_f32_e32 v18, v18, v29
	v_rcp_f32_e32 v29, v38
	s_delay_alu instid0(VALU_DEP_1)
	v_add_f32_e32 v31, v37, v18
	s_delay_alu instid0(TRANS32_DEP_1) | instid1(VALU_DEP_1)
	v_mul_f32_e32 v39, v31, v29
	s_delay_alu instid0(VALU_DEP_1) | instskip(NEXT) | instid1(VALU_DEP_1)
	v_mul_f32_e32 v32, v38, v39
	v_dual_sub_f32 v41, v37, v31 :: v_dual_fma_f32 v36, v39, v38, -v32
	s_delay_alu instid0(VALU_DEP_1) | instskip(NEXT) | instid1(VALU_DEP_1)
	v_dual_add_f32 v18, v18, v41 :: v_dual_fmac_f32 v36, v39, v40
	v_add_f32_e32 v30, v32, v36
	s_delay_alu instid0(VALU_DEP_1) | instskip(NEXT) | instid1(VALU_DEP_1)
	v_dual_sub_f32 v33, v31, v30 :: v_dual_mov_b32 v37, v30
	v_pk_add_f32 v[30:31], v[30:31], v[32:33] neg_lo:[0,1] neg_hi:[0,1]
	s_delay_alu instid0(VALU_DEP_1) | instskip(NEXT) | instid1(VALU_DEP_1)
	v_pk_add_f32 v[30:31], v[30:31], v[36:37] neg_lo:[0,1] neg_hi:[0,1]
	v_add_f32_e32 v18, v18, v31
	s_delay_alu instid0(VALU_DEP_1) | instskip(NEXT) | instid1(VALU_DEP_1)
	v_add_f32_e32 v18, v30, v18
	v_add_f32_e32 v31, v33, v18
	s_delay_alu instid0(VALU_DEP_1) | instskip(NEXT) | instid1(VALU_DEP_1)
	v_mul_f32_e32 v41, v29, v31
	v_mul_f32_e32 v36, v38, v41
	s_delay_alu instid0(VALU_DEP_1) | instskip(SKIP_1) | instid1(VALU_DEP_1)
	v_fma_f32 v32, v41, v38, -v36
	v_sub_f32_e32 v38, v33, v31
	v_dual_fmac_f32 v32, v41, v40 :: v_dual_add_f32 v18, v18, v38
	s_delay_alu instid0(VALU_DEP_1) | instskip(NEXT) | instid1(VALU_DEP_1)
	v_dual_add_f32 v38, v39, v41 :: v_dual_add_f32 v30, v36, v32
	v_dual_sub_f32 v37, v31, v30 :: v_dual_mov_b32 v33, v30
	s_delay_alu instid0(VALU_DEP_1) | instskip(NEXT) | instid1(VALU_DEP_1)
	v_pk_add_f32 v[30:31], v[30:31], v[36:37] neg_lo:[0,1] neg_hi:[0,1]
	v_pk_add_f32 v[30:31], v[30:31], v[32:33] neg_lo:[0,1] neg_hi:[0,1]
	s_delay_alu instid0(VALU_DEP_1) | instskip(NEXT) | instid1(VALU_DEP_1)
	v_add_f32_e32 v18, v18, v31
	v_add_f32_e32 v18, v30, v18
	s_delay_alu instid0(VALU_DEP_1) | instskip(NEXT) | instid1(VALU_DEP_1)
	v_dual_sub_f32 v30, v38, v39 :: v_dual_add_f32 v18, v37, v18
	v_sub_f32_e32 v30, v41, v30
	s_delay_alu instid0(VALU_DEP_2) | instskip(NEXT) | instid1(VALU_DEP_1)
	v_mul_f32_e32 v18, v29, v18
	v_add_f32_e32 v18, v30, v18
	v_cvt_f32_i32_e32 v30, v9
	s_delay_alu instid0(VALU_DEP_2) | instskip(NEXT) | instid1(VALU_DEP_1)
	v_add_f32_e32 v29, v38, v18
	v_mul_f32_e32 v32, v29, v29
	v_ldexp_f32 v37, v29, 1
	s_delay_alu instid0(VALU_DEP_2) | instskip(SKIP_1) | instid1(VALU_DEP_2)
	v_fmaak_f32 v33, s26, v32, 0x3ecc95a3
	v_mul_f32_e32 v31, v29, v32
	v_fmaak_f32 v9, v32, v33, 0x3f2aaada
	s_delay_alu instid0(VALU_DEP_1) | instskip(SKIP_2) | instid1(VALU_DEP_3)
	v_pk_mul_f32 v[32:33], v[30:31], v[8:9]
	v_sub_f32_e32 v9, v29, v38
	v_max_num_f32_e64 v29, |v11|, |v11|
	v_fma_f32 v36, 0x3f317218, v30, -v32
	s_delay_alu instid0(VALU_DEP_3) | instskip(NEXT) | instid1(VALU_DEP_2)
	v_dual_mov_b32 v38, v32 :: v_dual_sub_f32 v9, v18, v9
	v_fmac_f32_e32 v36, 0xb102e308, v30
	s_delay_alu instid0(VALU_DEP_2) | instskip(NEXT) | instid1(VALU_DEP_2)
	v_ldexp_f32 v9, v9, 1
	v_pk_add_f32 v[30:31], v[32:33], v[36:37]
	s_delay_alu instid0(VALU_DEP_1) | instskip(NEXT) | instid1(VALU_DEP_1)
	v_sub_f32_e32 v18, v31, v37
	v_sub_f32_e32 v18, v33, v18
	s_delay_alu instid0(VALU_DEP_3) | instskip(NEXT) | instid1(VALU_DEP_2)
	v_pk_add_f32 v[32:33], v[30:31], v[32:33] neg_lo:[0,1] neg_hi:[0,1]
	v_dual_add_f32 v39, v9, v18 :: v_dual_max_num_f32 v9, v42, v29
	v_min_num_f32_e32 v29, v42, v29
	s_delay_alu instid0(VALU_DEP_2) | instskip(SKIP_1) | instid1(VALU_DEP_4)
	v_pk_add_f32 v[40:41], v[30:31], v[38:39]
	v_mov_b32_e32 v37, v30
	v_frexp_mant_f32_e32 v18, v9
	v_frexp_exp_i32_f32_e32 v9, v9
	s_delay_alu instid0(VALU_DEP_4) | instskip(NEXT) | instid1(VALU_DEP_3)
	v_dual_mov_b32 v46, v31 :: v_dual_mov_b32 v33, v41
	v_rcp_f32_e32 v38, v18
	s_delay_alu instid0(VALU_DEP_1) | instskip(SKIP_1) | instid1(VALU_DEP_2)
	v_pk_add_f32 v[42:43], v[36:37], v[32:33]
	v_pk_add_f32 v[32:33], v[36:37], v[32:33] neg_lo:[0,1] neg_hi:[0,1]
	v_mov_b32_e32 v18, v43
	v_frexp_exp_i32_f32_e32 v42, v29
	v_frexp_mant_f32_e32 v29, v29
	s_delay_alu instid0(VALU_DEP_3) | instskip(NEXT) | instid1(VALU_DEP_2)
	v_pk_add_f32 v[44:45], v[18:19], v[30:31] neg_lo:[0,1] neg_hi:[0,1]
	v_dual_sub_nc_u32 v9, v42, v9 :: v_dual_mul_f32 v29, v29, v38
	v_dual_mov_b32 v42, v41 :: v_dual_mov_b32 v31, v30
	s_delay_alu instid0(VALU_DEP_3) | instskip(NEXT) | instid1(VALU_DEP_3)
	v_dual_mov_b32 v47, v44 :: v_dual_mov_b32 v30, v39
	v_ldexp_f32 v29, v29, v9
	v_mov_b32_e32 v9, v44
	s_delay_alu instid0(VALU_DEP_3) | instskip(NEXT) | instid1(VALU_DEP_3)
	v_pk_add_f32 v[36:37], v[42:43], v[46:47] neg_lo:[0,1] neg_hi:[0,1]
	v_mul_f32_e32 v44, v29, v29
	s_delay_alu instid0(VALU_DEP_3) | instskip(SKIP_1) | instid1(VALU_DEP_4)
	v_pk_add_f32 v[38:39], v[40:41], v[8:9] neg_lo:[0,1] neg_hi:[0,1]
	v_mov_b32_e32 v38, v32
	v_pk_add_f32 v[30:31], v[30:31], v[36:37] neg_lo:[0,1] neg_hi:[0,1]
	s_delay_alu instid0(VALU_DEP_1) | instskip(NEXT) | instid1(VALU_DEP_1)
	v_pk_add_f32 v[36:37], v[38:39], v[30:31]
	v_dual_fmaak_f32 v9, s27, v44, 0xbc7a590c :: v_dual_mov_b32 v38, v37
	s_delay_alu instid0(VALU_DEP_1) | instskip(NEXT) | instid1(VALU_DEP_2)
	v_fmaak_f32 v9, v44, v9, 0x3d29fb3f
	v_pk_add_f32 v[38:39], v[36:37], v[38:39]
	s_delay_alu instid0(VALU_DEP_2) | instskip(NEXT) | instid1(VALU_DEP_2)
	v_fmaak_f32 v9, v44, v9, 0xbd97d4d7
	v_pk_add_f32 v[40:41], v[18:19], v[38:39]
	s_delay_alu instid0(VALU_DEP_2) | instskip(NEXT) | instid1(VALU_DEP_2)
	v_fmaak_f32 v9, v44, v9, 0x3dd931b2
	v_dual_mov_b32 v33, v43 :: v_dual_mov_b32 v37, v40
	s_delay_alu instid0(VALU_DEP_2) | instskip(NEXT) | instid1(VALU_DEP_2)
	v_fmaak_f32 v9, v44, v9, 0xbe1160e6
	v_pk_add_f32 v[42:43], v[36:37], v[32:33] neg_lo:[0,1] neg_hi:[0,1]
	s_delay_alu instid0(VALU_DEP_2) | instskip(NEXT) | instid1(VALU_DEP_2)
	v_fmaak_f32 v9, v44, v9, 0x3e4cb8bf
	v_dual_mov_b32 v31, v38 :: v_dual_sub_f32 v18, v36, v42
	s_delay_alu instid0(VALU_DEP_2) | instskip(NEXT) | instid1(VALU_DEP_2)
	v_fmaak_f32 v9, v44, v9, 0xbeaaaa62
	v_pk_add_f32 v[30:31], v[30:31], v[42:43] neg_lo:[0,1] neg_hi:[0,1]
	s_delay_alu instid0(VALU_DEP_2) | instskip(NEXT) | instid1(VALU_DEP_1)
	v_mul_f32_e32 v9, v44, v9
	v_dual_sub_f32 v18, v32, v18 :: v_dual_fmac_f32 v29, v29, v9
	s_delay_alu instid0(VALU_DEP_1) | instskip(NEXT) | instid1(VALU_DEP_1)
	v_dual_add_f32 v9, v30, v18 :: v_dual_sub_f32 v18, 0x3fc90fdb, v29
	v_cndmask_b32_e64 v18, v29, v18, s4
	s_delay_alu instid0(VALU_DEP_2) | instskip(SKIP_2) | instid1(VALU_DEP_3)
	v_add_f32_e32 v9, v9, v31
	v_cndmask_b32_e64 v29, 0, 0x40490fdb, vcc_lo
	v_cmp_gt_f32_e32 vcc_lo, 0, v10
	v_dual_sub_f32 v30, 0x40490fdb, v18 :: v_dual_add_f32 v9, v40, v9
	s_delay_alu instid0(VALU_DEP_1) | instskip(SKIP_1) | instid1(VALU_DEP_3)
	v_cndmask_b32_e32 v10, v18, v30, vcc_lo
	v_cndmask_b32_e32 v30, 0x3f490fdb, v34, vcc_lo
	v_cndmask_b32_e64 v9, 0x7f800000, v9, s5
	v_cmp_gt_f32_e64 vcc_lo, 0x33800000, |v28|
	v_cmp_class_f32_e64 s5, v11, 0x204
	s_delay_alu instid0(VALU_DEP_3)
	v_cndmask_b32_e32 v9, v9, v28, vcc_lo
	v_cmp_eq_f32_e32 vcc_lo, 0, v11
                                        ; implicit-def: $vgpr28
	v_cndmask_b32_e32 v10, v10, v29, vcc_lo
	s_and_b32 vcc_lo, s5, s8
	s_delay_alu instid0(VALU_DEP_1) | instid1(SALU_CYCLE_1)
	v_dual_mul_f32 v18, 0.5, v9 :: v_dual_cndmask_b32 v36, v10, v30, vcc_lo
.LBB168_242:                            ;   in Loop: Header=BB168_145 Depth=1
	s_and_not1_saveexec_b32 s7, s7
	s_cbranch_execz .LBB168_244
; %bb.243:                              ;   in Loop: Header=BB168_145 Depth=1
	v_max_num_f32_e64 v9, |v11|, |v11|
	v_max_num_f32_e64 v18, |v10|, |v10|
	v_cmp_eq_f32_e64 s5, 0, v11
	v_cmp_gt_i32_e32 vcc_lo, 0, v10
	v_cmp_class_f32_e64 s8, v10, 0x204
	v_cmp_class_f32_e64 s9, v11, 0x204
	v_dual_max_num_f32 v29, v18, v9 :: v_dual_min_num_f32 v9, v18, v9
	s_delay_alu instid0(VALU_DEP_1) | instskip(SKIP_1) | instid1(VALU_DEP_2)
	v_frexp_mant_f32_e32 v30, v29
	v_frexp_exp_i32_f32_e32 v18, v29
	v_rcp_f32_e32 v29, v30
	v_nop
	v_frexp_exp_i32_f32_e32 v30, v9
	v_frexp_mant_f32_e32 v9, v9
	s_delay_alu instid0(TRANS32_DEP_1) | instid1(VALU_DEP_1)
	v_dual_mul_f32 v9, v9, v29 :: v_dual_sub_nc_u32 v18, v30, v18
	s_delay_alu instid0(VALU_DEP_1) | instskip(NEXT) | instid1(VALU_DEP_1)
	v_ldexp_f32 v9, v9, v18
	v_mul_f32_e32 v18, v9, v9
	s_delay_alu instid0(VALU_DEP_1) | instskip(NEXT) | instid1(VALU_DEP_1)
	v_fmaak_f32 v29, s27, v18, 0xbc7a590c
	v_fmaak_f32 v29, v18, v29, 0x3d29fb3f
	s_delay_alu instid0(VALU_DEP_1) | instskip(NEXT) | instid1(VALU_DEP_1)
	v_fmaak_f32 v29, v18, v29, 0xbd97d4d7
	v_fmaak_f32 v29, v18, v29, 0x3dd931b2
	;; [unrolled: 3-line block ×3, first 2 shown]
	s_delay_alu instid0(VALU_DEP_1) | instskip(NEXT) | instid1(VALU_DEP_1)
	v_fmaak_f32 v29, v18, v29, 0xbeaaaa62
	v_mul_f32_e32 v18, v18, v29
	v_cndmask_b32_e64 v29, 0, 0x40490fdb, vcc_lo
	v_cmp_gt_f32_e32 vcc_lo, 0, v10
	s_delay_alu instid0(VALU_DEP_3) | instskip(SKIP_1) | instid1(VALU_DEP_2)
	v_fmac_f32_e32 v9, v9, v18
	v_cndmask_b32_e32 v10, 0x3f490fdb, v34, vcc_lo
	v_sub_f32_e32 v18, 0x3fc90fdb, v9
	s_delay_alu instid0(VALU_DEP_1) | instskip(NEXT) | instid1(VALU_DEP_1)
	v_cndmask_b32_e64 v9, v9, v18, s4
	v_sub_f32_e32 v18, 0x40490fdb, v9
	s_delay_alu instid0(VALU_DEP_1) | instskip(SKIP_1) | instid1(VALU_DEP_1)
	v_dual_cndmask_b32 v9, v9, v18 :: v_dual_mul_f32 v18, 0.5, v28
	s_and_b32 vcc_lo, s9, s8
	v_dual_cndmask_b32 v9, v9, v29, s5 :: v_dual_mul_f32 v18, v28, v18
	s_delay_alu instid0(VALU_DEP_1)
	v_cndmask_b32_e32 v36, v9, v10, vcc_lo
.LBB168_244:                            ;   in Loop: Header=BB168_145 Depth=1
	s_or_b32 exec_lo, exec_lo, s7
.LBB168_245:                            ;   in Loop: Header=BB168_145 Depth=1
	s_delay_alu instid0(SALU_CYCLE_1)
	s_or_b32 exec_lo, exec_lo, s6
.LBB168_246:                            ;   in Loop: Header=BB168_145 Depth=1
	s_and_not1_saveexec_b32 s6, s29
	s_cbranch_execz .LBB168_248
; %bb.247:                              ;   in Loop: Header=BB168_145 Depth=1
	v_div_scale_f32 v9, null, 0x402df854, 0x402df854, v10
	v_div_scale_f32 v18, null, 0x402df854, 0x402df854, v11
	v_div_scale_f32 v32, vcc_lo, v10, 0x402df854, v10
	s_delay_alu instid0(VALU_DEP_3) | instskip(NEXT) | instid1(VALU_DEP_2)
	v_rcp_f32_e32 v28, v9
	v_rcp_f32_e32 v29, v18
	v_cmp_class_f32_e64 s7, v11, 0x204
	s_delay_alu instid0(TRANS32_DEP_2) | instskip(NEXT) | instid1(TRANS32_DEP_1)
	v_fma_f32 v30, -v9, v28, 1.0
	v_fma_f32 v31, -v18, v29, 1.0
	s_delay_alu instid0(VALU_DEP_1) | instskip(SKIP_1) | instid1(VALU_DEP_1)
	v_dual_fmac_f32 v28, v30, v28 :: v_dual_fmac_f32 v29, v31, v29
	v_div_scale_f32 v30, s5, v11, 0x402df854, v11
	v_dual_mul_f32 v31, v32, v28 :: v_dual_mul_f32 v33, v30, v29
	s_delay_alu instid0(VALU_DEP_1) | instskip(NEXT) | instid1(VALU_DEP_1)
	v_dual_fma_f32 v36, -v9, v31, v32 :: v_dual_fma_f32 v37, -v18, v33, v30
	v_dual_fmac_f32 v31, v36, v28 :: v_dual_fmac_f32 v33, v37, v29
	s_delay_alu instid0(VALU_DEP_1) | instskip(NEXT) | instid1(VALU_DEP_1)
	v_dual_fma_f32 v9, -v9, v31, v32 :: v_dual_fma_f32 v18, -v18, v33, v30
	v_div_fmas_f32 v9, v9, v28, v31
	s_mov_b32 vcc_lo, s5
	v_max_num_f32_e64 v31, |v10|, |v10|
	s_delay_alu instid0(VALU_DEP_3) | instskip(SKIP_2) | instid1(VALU_DEP_3)
	v_div_fmas_f32 v18, v18, v29, v33
	v_cmp_class_f32_e64 s5, v10, 0x204
	v_div_fixup_f32 v9, v9, 0x402df854, v10
	v_div_fixup_f32 v18, v18, 0x402df854, v11
	s_delay_alu instid0(VALU_DEP_1) | instskip(NEXT) | instid1(VALU_DEP_1)
	v_max_num_f32_e64 v30, |v9|, |v18|
	v_cvt_f64_f32_e32 v[28:29], v30
	v_cmp_neq_f32_e32 vcc_lo, 0x7f800000, v30
	s_delay_alu instid0(VALU_DEP_2) | instskip(SKIP_1) | instid1(VALU_DEP_1)
	v_frexp_exp_i32_f64_e32 v28, v[28:29]
	v_max_num_f32_e64 v29, |v11|, |v11|
	v_dual_max_num_f32 v32, v31, v29 :: v_dual_min_num_f32 v29, v31, v29
	s_delay_alu instid0(VALU_DEP_1) | instskip(SKIP_1) | instid1(VALU_DEP_2)
	v_frexp_mant_f32_e32 v33, v32
	v_frexp_exp_i32_f32_e32 v31, v32
	v_rcp_f32_e32 v32, v33
	v_nop
	v_frexp_exp_i32_f32_e32 v33, v29
	v_frexp_mant_f32_e32 v29, v29
	s_delay_alu instid0(VALU_DEP_2)
	v_sub_nc_u32_e32 v31, v33, v31
	s_delay_alu instid0(TRANS32_DEP_1) | instid1(VALU_DEP_2)
	v_mul_f32_e32 v29, v29, v32
	v_sub_nc_u32_e32 v32, 0, v28
	s_delay_alu instid0(VALU_DEP_1) | instskip(SKIP_1) | instid1(VALU_DEP_2)
	v_ldexp_f32 v18, |v18|, v32
	v_ldexp_f32 v9, |v9|, v32
	v_mul_f32_e32 v18, v18, v18
	v_ldexp_f32 v29, v29, v31
	s_delay_alu instid0(VALU_DEP_2) | instskip(NEXT) | instid1(VALU_DEP_1)
	v_fmac_f32_e32 v18, v9, v9
	v_sqrt_f32_e32 v18, v18
	v_nop
	s_delay_alu instid0(TRANS32_DEP_1) | instskip(NEXT) | instid1(VALU_DEP_1)
	v_ldexp_f32 v18, v18, v28
	v_dual_mul_f32 v31, v29, v29 :: v_dual_cndmask_b32 v18, 0x7f800000, v18
	s_delay_alu instid0(VALU_DEP_1) | instskip(NEXT) | instid1(VALU_DEP_2)
	v_fmaak_f32 v32, s27, v31, 0xbc7a590c
	v_cmp_gt_f32_e32 vcc_lo, 0x800000, v18
	s_delay_alu instid0(VALU_DEP_2) | instskip(SKIP_1) | instid1(VALU_DEP_2)
	v_fmaak_f32 v9, v31, v32, 0x3d29fb3f
	v_cndmask_b32_e64 v28, 0, 32, vcc_lo
	v_fmaak_f32 v9, v31, v9, 0xbd97d4d7
	s_delay_alu instid0(VALU_DEP_2) | instskip(NEXT) | instid1(VALU_DEP_2)
	v_ldexp_f32 v18, v18, v28
	v_fmaak_f32 v9, v31, v9, 0x3dd931b2
	s_delay_alu instid0(VALU_DEP_2) | instskip(NEXT) | instid1(VALU_DEP_1)
	v_log_f32_e32 v18, v18
	v_fmaak_f32 v9, v31, v9, 0xbe1160e6
	s_delay_alu instid0(VALU_DEP_1) | instskip(NEXT) | instid1(VALU_DEP_1)
	v_fmaak_f32 v9, v31, v9, 0x3e4cb8bf
	v_fmaak_f32 v9, v31, v9, 0xbeaaaa62
	s_delay_alu instid0(TRANS32_DEP_1) | instid1(VALU_DEP_1)
	v_dual_mul_f32 v9, v31, v9 :: v_dual_mul_f32 v28, 0x3f317217, v18
	v_cndmask_b32_e64 v31, 0, 0x41b17218, vcc_lo
	v_cmp_gt_f32_e64 vcc_lo, 0x7f800000, |v18|
	s_delay_alu instid0(VALU_DEP_3) | instskip(NEXT) | instid1(VALU_DEP_4)
	v_fmac_f32_e32 v29, v29, v9
	v_fma_f32 v9, 0x3f317217, v18, -v28
	s_delay_alu instid0(VALU_DEP_1) | instskip(NEXT) | instid1(VALU_DEP_1)
	v_fmac_f32_e32 v9, 0x3377d1cf, v18
	v_fmac_f32_e32 v9, 0x3f317217, v18
	s_delay_alu instid0(VALU_DEP_1) | instskip(SKIP_2) | instid1(VALU_DEP_3)
	v_cndmask_b32_e32 v9, v18, v9, vcc_lo
	v_sub_f32_e32 v28, 0x3fc90fdb, v29
	v_cmp_eq_f32_e32 vcc_lo, 0, v11
	v_sub_f32_e32 v9, v9, v31
	s_delay_alu instid0(VALU_DEP_3) | instskip(SKIP_1) | instid1(VALU_DEP_3)
	v_cndmask_b32_e64 v28, v29, v28, s4
	v_cmp_gt_i32_e64 s4, 0, v10
	v_add_f32_e32 v18, 1.0, v9
	s_delay_alu instid0(VALU_DEP_3) | instskip(NEXT) | instid1(VALU_DEP_3)
	v_sub_f32_e32 v30, 0x40490fdb, v28
	v_cndmask_b32_e64 v29, 0, 0x40490fdb, s4
	v_cmp_gt_f32_e64 s4, 0, v10
	s_delay_alu instid0(VALU_DEP_1) | instskip(SKIP_1) | instid1(VALU_DEP_2)
	v_cndmask_b32_e64 v10, v28, v30, s4
	v_cndmask_b32_e64 v28, 0x3f490fdb, v34, s4
	v_cndmask_b32_e32 v10, v10, v29, vcc_lo
	s_and_b32 vcc_lo, s7, s5
	s_delay_alu instid0(VALU_DEP_1)
	v_cndmask_b32_e32 v36, v10, v28, vcc_lo
.LBB168_248:                            ;   in Loop: Header=BB168_145 Depth=1
	s_or_b32 exec_lo, exec_lo, s6
.LBB168_249:                            ;   in Loop: Header=BB168_145 Depth=1
	s_and_not1_saveexec_b32 s4, s28
	s_cbranch_execz .LBB168_255
; %bb.250:                              ;   in Loop: Header=BB168_145 Depth=1
	v_cmp_ngt_f32_e64 s5, 0x20000000, |v10|
	v_cmp_ngt_f32_e64 s6, 0x20000000, |v11|
                                        ; implicit-def: $vgpr9
	s_or_b32 s5, s6, s5
	s_delay_alu instid0(SALU_CYCLE_1) | instskip(NEXT) | instid1(SALU_CYCLE_1)
	s_and_saveexec_b32 s6, s5
	s_xor_b32 s5, exec_lo, s6
; %bb.251:                              ;   in Loop: Header=BB168_145 Depth=1
	v_pk_mul_f32 v[28:29], v[10:11], v[10:11]
	s_delay_alu instid0(VALU_DEP_1)
	v_add_f32_e32 v9, v29, v28
; %bb.252:                              ;   in Loop: Header=BB168_145 Depth=1
	s_and_not1_saveexec_b32 s5, s5
; %bb.253:                              ;   in Loop: Header=BB168_145 Depth=1
	v_pk_mul_f32 v[28:29], v[10:11], 4.0 op_sel_hi:[1,0]
	s_delay_alu instid0(VALU_DEP_1) | instskip(NEXT) | instid1(VALU_DEP_1)
	v_pk_mul_f32 v[28:29], v[28:29], v[28:29]
	v_add_f32_e32 v9, v29, v28
	s_delay_alu instid0(VALU_DEP_1)
	v_mul_f32_e32 v9, 0x3d800000, v9
; %bb.254:                              ;   in Loop: Header=BB168_145 Depth=1
	s_or_b32 exec_lo, exec_lo, s5
	s_delay_alu instid0(VALU_DEP_1) | instskip(SKIP_3) | instid1(VALU_DEP_2)
	v_cmp_gt_f32_e32 vcc_lo, 0x800000, v9
	v_mov_b32_e32 v36, 0x7fc00000
	v_cndmask_b32_e64 v10, 0, 32, vcc_lo
	v_cndmask_b32_e64 v18, 0, 0x41b17218, vcc_lo
	v_ldexp_f32 v9, v9, v10
	s_delay_alu instid0(VALU_DEP_1) | instskip(SKIP_1) | instid1(TRANS32_DEP_1)
	v_log_f32_e32 v9, v9
	v_nop
	v_mul_f32_e32 v10, 0x3f317217, v9
	v_cmp_gt_f32_e64 vcc_lo, 0x7f800000, |v9|
	s_delay_alu instid0(VALU_DEP_2) | instskip(NEXT) | instid1(VALU_DEP_1)
	v_fma_f32 v10, 0x3f317217, v9, -v10
	v_fmac_f32_e32 v10, 0x3377d1cf, v9
	s_delay_alu instid0(VALU_DEP_1) | instskip(NEXT) | instid1(VALU_DEP_1)
	v_fmac_f32_e32 v10, 0x3f317217, v9
	v_cndmask_b32_e32 v9, v9, v10, vcc_lo
	s_delay_alu instid0(VALU_DEP_1)
	v_sub_f32_e32 v18, v9, v18
.LBB168_255:                            ;   in Loop: Header=BB168_145 Depth=1
	s_or_b32 exec_lo, exec_lo, s4
                                        ; implicit-def: $vgpr10
                                        ; implicit-def: $vgpr9
	s_delay_alu instid0(SALU_CYCLE_1)
	s_mov_b32 s4, exec_lo
	v_cmpx_o_f32_e32 v25, v24
	s_xor_b32 s28, exec_lo, s4
	s_cbranch_execnz .LBB168_261
; %bb.256:                              ;   in Loop: Header=BB168_145 Depth=1
	s_and_not1_saveexec_b32 s4, s28
	s_cbranch_execnz .LBB168_288
.LBB168_257:                            ;   in Loop: Header=BB168_145 Depth=1
	s_or_b32 exec_lo, exec_lo, s4
	s_and_saveexec_b32 s4, s0
	s_delay_alu instid0(SALU_CYCLE_1)
	s_xor_b32 s0, exec_lo, s4
	s_cbranch_execnz .LBB168_293
.LBB168_258:                            ;   in Loop: Header=BB168_145 Depth=1
	s_or_b32 exec_lo, exec_lo, s0
	s_and_saveexec_b32 s0, s1
	s_cbranch_execnz .LBB168_294
.LBB168_259:                            ;   in Loop: Header=BB168_145 Depth=1
	s_or_b32 exec_lo, exec_lo, s0
	s_and_saveexec_b32 s0, s2
	s_cbranch_execnz .LBB168_295
.LBB168_260:                            ;   in Loop: Header=BB168_145 Depth=1
	s_or_b32 exec_lo, exec_lo, s0
	s_and_saveexec_b32 s0, s3
	s_cbranch_execz .LBB168_144
	s_branch .LBB168_296
.LBB168_261:                            ;   in Loop: Header=BB168_145 Depth=1
	v_cmp_lt_f32_e64 s4, |v24|, |v25|
                                        ; implicit-def: $vgpr10
                                        ; implicit-def: $vgpr9
	s_mov_b32 s6, exec_lo
	v_cndmask_b32_e64 v28, v25, v24, s4
	s_delay_alu instid0(VALU_DEP_1)
	v_cmpx_nlt_f32_e64 0x77f684df, |v28|
	s_xor_b32 s29, exec_lo, s6
	s_cbranch_execz .LBB168_285
; %bb.262:                              ;   in Loop: Header=BB168_145 Depth=1
	v_cndmask_b32_e64 v9, v24, v25, s4
	v_and_b32_e32 v28, 0x7fffffff, v28
                                        ; implicit-def: $vgpr10
	s_mov_b32 s5, exec_lo
	s_delay_alu instid0(VALU_DEP_2) | instskip(NEXT) | instid1(VALU_DEP_1)
	v_and_b32_e32 v29, 0x7fffffff, v9
                                        ; implicit-def: $vgpr9
	v_cmpx_neq_f32_e32 1.0, v29
	s_xor_b32 s30, exec_lo, s5
	s_cbranch_execz .LBB168_278
; %bb.263:                              ;   in Loop: Header=BB168_145 Depth=1
	v_dual_max_num_f32 v9, v28, v28 :: v_dual_max_num_f32 v10, v29, v29
	s_delay_alu instid0(VALU_DEP_1) | instskip(NEXT) | instid1(VALU_DEP_1)
	v_dual_min_num_f32 v30, v10, v9 :: v_dual_max_num_f32 v9, v10, v9
                                        ; implicit-def: $vgpr10
	v_cmp_ngt_f32_e32 vcc_lo, 0x358637bd, v30
	s_delay_alu instid0(VALU_DEP_2) | instskip(SKIP_1) | instid1(SALU_CYCLE_1)
	v_cmp_nlt_f32_e64 s5, 0x49742400, v9
                                        ; implicit-def: $vgpr9
	s_and_b32 s5, s5, vcc_lo
	s_and_saveexec_b32 s6, s5
	s_delay_alu instid0(SALU_CYCLE_1)
	s_xor_b32 s31, exec_lo, s6
	s_cbranch_execz .LBB168_275
; %bb.264:                              ;   in Loop: Header=BB168_145 Depth=1
                                        ; implicit-def: $vgpr10
                                        ; implicit-def: $vgpr9
	s_mov_b32 s5, exec_lo
	v_cmpx_le_f32_e32 1.0, v29
	s_xor_b32 s6, exec_lo, s5
	s_cbranch_execz .LBB168_266
; %bb.265:                              ;   in Loop: Header=BB168_145 Depth=1
	v_pk_add_f32 v[30:31], v[28:29], v[6:7] op_sel:[1,0]
	v_mov_b32_e32 v32, v28
	v_cmp_class_f32_e64 s7, v24, 0x204
	s_delay_alu instid0(VALU_DEP_3) | instskip(SKIP_1) | instid1(VALU_DEP_1)
	v_dual_mov_b32 v29, v30 :: v_dual_mov_b32 v33, v31
	v_mul_f32_e32 v10, v30, v31
	v_pk_fma_f32 v[28:29], v[28:29], v[32:33], v[10:11] op_sel_hi:[1,1,0]
	s_delay_alu instid0(VALU_DEP_1) | instskip(SKIP_1) | instid1(VALU_DEP_2)
	v_add_f32_e32 v31, 1.0, v28
	v_cmp_neq_f32_e64 s5, -1.0, v28
	v_add_f32_e32 v29, -1.0, v31
	s_delay_alu instid0(VALU_DEP_1) | instskip(SKIP_2) | instid1(VALU_DEP_1)
	v_mov_b32_e32 v30, v29
	v_cvt_f64_f32_e32 v[32:33], v31
	v_frexp_mant_f32_e32 v10, v31
	v_cmp_gt_f32_e32 vcc_lo, 0x3f2aaaab, v10
	s_delay_alu instid0(VALU_DEP_3) | instskip(NEXT) | instid1(VALU_DEP_1)
	v_frexp_exp_i32_f64_e32 v9, v[32:33]
	v_subrev_co_ci_u32_e64 v9, null, 0, v9, vcc_lo
	v_cmp_neq_f32_e32 vcc_lo, 0x7f800000, v28
	s_delay_alu instid0(VALU_DEP_2) | instskip(SKIP_1) | instid1(VALU_DEP_2)
	v_sub_nc_u32_e32 v10, 0, v9
	v_pk_add_f32 v[32:33], v[28:29], v[30:31] neg_lo:[0,1] neg_hi:[0,1]
	v_ldexp_f32 v29, v31, v10
	s_delay_alu instid0(VALU_DEP_2) | instskip(NEXT) | instid1(VALU_DEP_2)
	v_add_f32_e32 v30, 1.0, v33
	v_add_f32_e32 v33, 1.0, v29
	s_delay_alu instid0(VALU_DEP_1) | instskip(SKIP_1) | instid1(VALU_DEP_2)
	v_dual_add_f32 v31, -1.0, v33 :: v_dual_add_f32 v30, v32, v30
	v_add_f32_e32 v37, -1.0, v29
	v_ldexp_f32 v10, v30, v10
	s_delay_alu instid0(VALU_DEP_2) | instskip(NEXT) | instid1(VALU_DEP_1)
	v_dual_sub_f32 v30, v29, v31 :: v_dual_add_f32 v31, 1.0, v37
	v_add_f32_e32 v30, v10, v30
	s_delay_alu instid0(VALU_DEP_1) | instskip(NEXT) | instid1(VALU_DEP_1)
	v_add_f32_e32 v40, v33, v30
	v_dual_sub_f32 v29, v29, v31 :: v_dual_sub_f32 v33, v40, v33
	s_delay_alu instid0(VALU_DEP_1) | instskip(SKIP_1) | instid1(VALU_DEP_1)
	v_add_f32_e32 v10, v10, v29
	v_rcp_f32_e32 v29, v40
	v_add_f32_e32 v31, v37, v10
	s_delay_alu instid0(TRANS32_DEP_1) | instid1(VALU_DEP_1)
	v_mul_f32_e32 v41, v31, v29
	s_delay_alu instid0(VALU_DEP_1) | instskip(SKIP_1) | instid1(VALU_DEP_2)
	v_mul_f32_e32 v32, v40, v41
	v_sub_f32_e32 v42, v30, v33
	v_dual_sub_f32 v37, v31, v37 :: v_dual_fma_f32 v38, v41, v40, -v32
	s_delay_alu instid0(VALU_DEP_1) | instskip(NEXT) | instid1(VALU_DEP_1)
	v_dual_sub_f32 v10, v10, v37 :: v_dual_fmac_f32 v38, v41, v42
	v_add_f32_e32 v30, v32, v38
	s_delay_alu instid0(VALU_DEP_1) | instskip(NEXT) | instid1(VALU_DEP_1)
	v_dual_sub_f32 v33, v31, v30 :: v_dual_mov_b32 v39, v30
	v_pk_add_f32 v[30:31], v[30:31], v[32:33] neg_lo:[0,1] neg_hi:[0,1]
	s_delay_alu instid0(VALU_DEP_1) | instskip(NEXT) | instid1(VALU_DEP_1)
	v_pk_add_f32 v[30:31], v[30:31], v[38:39] neg_lo:[0,1] neg_hi:[0,1]
	v_add_f32_e32 v10, v10, v31
	s_delay_alu instid0(VALU_DEP_1) | instskip(NEXT) | instid1(VALU_DEP_1)
	v_add_f32_e32 v10, v30, v10
	v_add_f32_e32 v31, v33, v10
	s_delay_alu instid0(VALU_DEP_1) | instskip(NEXT) | instid1(VALU_DEP_1)
	v_mul_f32_e32 v37, v29, v31
	v_mul_f32_e32 v38, v40, v37
	s_delay_alu instid0(VALU_DEP_1) | instskip(NEXT) | instid1(VALU_DEP_1)
	v_fma_f32 v32, v37, v40, -v38
	v_fmac_f32_e32 v32, v37, v42
	s_delay_alu instid0(VALU_DEP_1) | instskip(NEXT) | instid1(VALU_DEP_1)
	v_dual_add_f32 v30, v38, v32 :: v_dual_sub_f32 v40, v33, v31
	v_dual_sub_f32 v39, v31, v30 :: v_dual_mov_b32 v33, v30
	s_delay_alu instid0(VALU_DEP_2) | instskip(NEXT) | instid1(VALU_DEP_2)
	v_dual_add_f32 v10, v10, v40 :: v_dual_add_f32 v40, v41, v37
	v_pk_add_f32 v[30:31], v[30:31], v[38:39] neg_lo:[0,1] neg_hi:[0,1]
	s_delay_alu instid0(VALU_DEP_1) | instskip(NEXT) | instid1(VALU_DEP_1)
	v_pk_add_f32 v[30:31], v[30:31], v[32:33] neg_lo:[0,1] neg_hi:[0,1]
	v_add_f32_e32 v10, v10, v31
	s_delay_alu instid0(VALU_DEP_1) | instskip(NEXT) | instid1(VALU_DEP_1)
	v_dual_add_f32 v10, v30, v10 :: v_dual_sub_f32 v30, v40, v41
	v_add_f32_e32 v10, v39, v10
	s_delay_alu instid0(VALU_DEP_2) | instskip(NEXT) | instid1(VALU_DEP_2)
	v_sub_f32_e32 v30, v37, v30
	v_mul_f32_e32 v10, v29, v10
	s_delay_alu instid0(VALU_DEP_1) | instskip(SKIP_1) | instid1(VALU_DEP_2)
	v_add_f32_e32 v10, v30, v10
	v_cvt_f32_i32_e32 v30, v9
	v_add_f32_e32 v29, v40, v10
	s_delay_alu instid0(VALU_DEP_1) | instskip(NEXT) | instid1(VALU_DEP_1)
	v_mul_f32_e32 v32, v29, v29
	v_fmaak_f32 v33, s26, v32, 0x3ecc95a3
	v_mul_f32_e32 v31, v29, v32
	s_delay_alu instid0(VALU_DEP_2) | instskip(NEXT) | instid1(VALU_DEP_1)
	v_fmaak_f32 v9, v32, v33, 0x3f2aaada
	v_pk_mul_f32 v[32:33], v[30:31], v[8:9]
	v_sub_f32_e32 v9, v29, v40
	s_delay_alu instid0(VALU_DEP_2) | instskip(NEXT) | instid1(VALU_DEP_2)
	v_fma_f32 v38, 0x3f317218, v30, -v32
	v_sub_f32_e32 v9, v10, v9
	v_ldexp_f32 v39, v29, 1
	v_mov_b32_e32 v40, v32
	s_delay_alu instid0(VALU_DEP_4) | instskip(NEXT) | instid1(VALU_DEP_4)
	v_fmac_f32_e32 v38, 0xb102e308, v30
	v_ldexp_f32 v9, v9, 1
	s_delay_alu instid0(VALU_DEP_2) | instskip(NEXT) | instid1(VALU_DEP_1)
	v_pk_add_f32 v[30:31], v[32:33], v[38:39]
	v_dual_sub_f32 v10, v31, v39 :: v_dual_mov_b32 v39, v30
	s_delay_alu instid0(VALU_DEP_1) | instskip(SKIP_1) | instid1(VALU_DEP_2)
	v_dual_mov_b32 v48, v31 :: v_dual_sub_f32 v10, v33, v10
	v_pk_add_f32 v[32:33], v[30:31], v[32:33] neg_lo:[0,1] neg_hi:[0,1]
	v_add_f32_e32 v41, v9, v10
	v_max_num_f32_e64 v9, |v25|, |v25|
	v_max_num_f32_e64 v10, |v24|, |v24|
	s_delay_alu instid0(VALU_DEP_1) | instskip(NEXT) | instid1(VALU_DEP_4)
	v_max_num_f32_e32 v29, v10, v9
	v_pk_add_f32 v[42:43], v[30:31], v[40:41]
	s_delay_alu instid0(VALU_DEP_2) | instskip(NEXT) | instid1(VALU_DEP_2)
	v_frexp_exp_i32_f32_e32 v37, v29
	v_mov_b32_e32 v33, v43
	v_frexp_mant_f32_e32 v29, v29
	s_delay_alu instid0(VALU_DEP_2) | instskip(SKIP_2) | instid1(VALU_DEP_4)
	v_pk_add_f32 v[44:45], v[38:39], v[32:33]
	v_min_num_f32_e32 v9, v10, v9
	v_pk_add_f32 v[32:33], v[38:39], v[32:33] neg_lo:[0,1] neg_hi:[0,1]
	v_rcp_f32_e32 v29, v29
	s_delay_alu instid0(VALU_DEP_3) | instskip(NEXT) | instid1(VALU_DEP_3)
	v_mov_b32_e32 v10, v45
	v_frexp_exp_i32_f32_e32 v40, v9
	v_frexp_mant_f32_e32 v50, v9
	v_mov_b32_e32 v33, v45
	s_delay_alu instid0(VALU_DEP_4) | instskip(NEXT) | instid1(VALU_DEP_4)
	v_pk_add_f32 v[46:47], v[10:11], v[30:31] neg_lo:[0,1] neg_hi:[0,1]
	v_dual_mov_b32 v44, v43 :: v_dual_sub_nc_u32 v37, v40, v37
	v_dual_mov_b32 v31, v30 :: v_dual_mov_b32 v30, v41
	s_delay_alu instid0(VALU_DEP_3) | instskip(NEXT) | instid1(VALU_DEP_1)
	v_dual_mov_b32 v49, v46 :: v_dual_mov_b32 v9, v46
	v_pk_add_f32 v[38:39], v[44:45], v[48:49] neg_lo:[0,1] neg_hi:[0,1]
	s_delay_alu instid0(VALU_DEP_2) | instskip(SKIP_1) | instid1(VALU_DEP_3)
	v_pk_add_f32 v[40:41], v[42:43], v[8:9] neg_lo:[0,1] neg_hi:[0,1]
	v_mov_b32_e32 v40, v32
	v_pk_add_f32 v[30:31], v[30:31], v[38:39] neg_lo:[0,1] neg_hi:[0,1]
	s_delay_alu instid0(VALU_DEP_1) | instskip(NEXT) | instid1(VALU_DEP_1)
	v_pk_add_f32 v[38:39], v[40:41], v[30:31]
	v_dual_mul_f32 v29, v50, v29 :: v_dual_mov_b32 v40, v39
	s_delay_alu instid0(VALU_DEP_1) | instskip(NEXT) | instid1(VALU_DEP_2)
	v_ldexp_f32 v9, v29, v37
	v_pk_add_f32 v[40:41], v[38:39], v[40:41]
	s_delay_alu instid0(VALU_DEP_1) | instskip(NEXT) | instid1(VALU_DEP_1)
	v_pk_add_f32 v[42:43], v[10:11], v[40:41]
	v_dual_mul_f32 v29, v9, v9 :: v_dual_mov_b32 v39, v42
	s_delay_alu instid0(VALU_DEP_1) | instskip(NEXT) | instid1(VALU_DEP_1)
	v_pk_add_f32 v[44:45], v[38:39], v[32:33] neg_lo:[0,1] neg_hi:[0,1]
	v_sub_f32_e32 v33, v38, v44
	s_delay_alu instid0(VALU_DEP_1) | instskip(NEXT) | instid1(VALU_DEP_4)
	v_sub_f32_e32 v32, v32, v33
	v_fmaak_f32 v31, s27, v29, 0xbc7a590c
	s_delay_alu instid0(VALU_DEP_1) | instskip(NEXT) | instid1(VALU_DEP_1)
	v_fmaak_f32 v31, v29, v31, 0x3d29fb3f
	v_dual_fmaak_f32 v10, v29, v31, 0xbd97d4d7 :: v_dual_mov_b32 v31, v40
	s_delay_alu instid0(VALU_DEP_1) | instskip(NEXT) | instid1(VALU_DEP_2)
	v_fmaak_f32 v10, v29, v10, 0x3dd931b2
	v_pk_add_f32 v[30:31], v[30:31], v[44:45] neg_lo:[0,1] neg_hi:[0,1]
	s_delay_alu instid0(VALU_DEP_2) | instskip(NEXT) | instid1(VALU_DEP_1)
	v_fmaak_f32 v10, v29, v10, 0xbe1160e6
	v_fmaak_f32 v10, v29, v10, 0x3e4cb8bf
	s_delay_alu instid0(VALU_DEP_1) | instskip(NEXT) | instid1(VALU_DEP_1)
	v_fmaak_f32 v10, v29, v10, 0xbeaaaa62
	v_mul_f32_e32 v10, v29, v10
	s_delay_alu instid0(VALU_DEP_1) | instskip(NEXT) | instid1(VALU_DEP_1)
	v_dual_fmac_f32 v9, v9, v10 :: v_dual_add_f32 v30, v30, v32
	v_add_f32_e32 v29, v30, v31
	s_delay_alu instid0(VALU_DEP_1) | instskip(NEXT) | instid1(VALU_DEP_3)
	v_add_f32_e32 v10, v42, v29
	v_sub_f32_e32 v29, 0x3fc90fdb, v9
	s_delay_alu instid0(VALU_DEP_1) | instskip(NEXT) | instid1(VALU_DEP_3)
	v_cndmask_b32_e64 v9, v9, v29, s4
	v_cndmask_b32_e32 v10, 0x7f800000, v10, vcc_lo
	v_cmp_gt_i32_e32 vcc_lo, 0, v24
	v_cndmask_b32_e64 v29, 0, 0x40490fdb, vcc_lo
	v_cmp_ngt_f32_e32 vcc_lo, -1.0, v28
	s_delay_alu instid0(VALU_DEP_4) | instskip(SKIP_1) | instid1(VALU_DEP_2)
	v_cndmask_b32_e32 v10, 0x7fc00000, v10, vcc_lo
	v_cmp_gt_f32_e32 vcc_lo, 0, v24
	v_cndmask_b32_e64 v10, 0xff800000, v10, s5
	v_cndmask_b32_e32 v24, 0x3f490fdb, v34, vcc_lo
	v_sub_f32_e32 v30, 0x40490fdb, v9
	v_cmp_class_f32_e64 s5, v25, 0x204
	s_delay_alu instid0(VALU_DEP_2) | instskip(SKIP_3) | instid1(VALU_DEP_2)
	v_cndmask_b32_e32 v9, v9, v30, vcc_lo
	v_cmp_gt_f32_e64 vcc_lo, 0x33800000, |v28|
	v_cndmask_b32_e32 v10, v10, v28, vcc_lo
	v_cmp_eq_f32_e32 vcc_lo, 0, v25
	v_dual_mul_f32 v10, 0.5, v10 :: v_dual_cndmask_b32 v9, v9, v29
	s_and_b32 vcc_lo, s5, s7
                                        ; implicit-def: $vgpr28_vgpr29
	s_delay_alu instid0(VALU_DEP_1)
	v_cndmask_b32_e32 v9, v9, v24, vcc_lo
.LBB168_266:                            ;   in Loop: Header=BB168_145 Depth=1
	s_and_not1_saveexec_b32 s33, s6
	s_cbranch_execz .LBB168_274
; %bb.267:                              ;   in Loop: Header=BB168_145 Depth=1
	v_pk_mul_f32 v[30:31], v[28:29], v[28:29]
                                        ; implicit-def: $vgpr10
                                        ; implicit-def: $vgpr9
	s_mov_b32 s5, exec_lo
	s_delay_alu instid0(VALU_DEP_1) | instskip(NEXT) | instid1(VALU_DEP_1)
	v_add_f32_e32 v30, v31, v30
	v_cmpx_ge_f32_e32 0x3f333333, v30
	s_xor_b32 s6, exec_lo, s5
	s_cbranch_execz .LBB168_269
; %bb.268:                              ;   in Loop: Header=BB168_145 Depth=1
	v_max_num_f32_e64 v9, |v25|, |v25|
	v_max_num_f32_e64 v10, |v24|, |v24|
	v_cmp_gt_f32_e32 vcc_lo, 0x800000, v30
	v_cmp_gt_i32_e64 s5, 0, v24
	v_cmp_class_f32_e64 s7, v24, 0x204
	v_cmp_class_f32_e64 s8, v25, 0x204
	v_dual_max_num_f32 v28, v10, v9 :: v_dual_min_num_f32 v9, v10, v9
	v_cndmask_b32_e64 v31, 0, 0x41b17218, vcc_lo
	s_delay_alu instid0(VALU_DEP_2) | instskip(SKIP_1) | instid1(VALU_DEP_2)
	v_frexp_mant_f32_e32 v29, v28
	v_frexp_exp_i32_f32_e32 v10, v28
	v_rcp_f32_e32 v28, v29
	v_nop
	v_frexp_exp_i32_f32_e32 v29, v9
	v_frexp_mant_f32_e32 v9, v9
	s_delay_alu instid0(VALU_DEP_2)
	v_sub_nc_u32_e32 v10, v29, v10
	s_delay_alu instid0(TRANS32_DEP_1) | instid1(VALU_DEP_2)
	v_mul_f32_e32 v9, v9, v28
	v_cndmask_b32_e64 v29, 0, 32, vcc_lo
	s_delay_alu instid0(VALU_DEP_2) | instskip(NEXT) | instid1(VALU_DEP_2)
	v_ldexp_f32 v9, v9, v10
	v_ldexp_f32 v29, v30, v29
	s_delay_alu instid0(VALU_DEP_2) | instskip(NEXT) | instid1(VALU_DEP_2)
	v_mul_f32_e32 v10, v9, v9
	v_log_f32_e32 v29, v29
	s_delay_alu instid0(VALU_DEP_1) | instskip(NEXT) | instid1(TRANS32_DEP_1)
	v_fmaak_f32 v28, s27, v10, 0xbc7a590c
	v_cmp_gt_f32_e64 vcc_lo, 0x7f800000, |v29|
	s_delay_alu instid0(VALU_DEP_2) | instskip(NEXT) | instid1(VALU_DEP_1)
	v_fmaak_f32 v28, v10, v28, 0x3d29fb3f
	v_fmaak_f32 v28, v10, v28, 0xbd97d4d7
	s_delay_alu instid0(VALU_DEP_1) | instskip(NEXT) | instid1(VALU_DEP_1)
	v_fmaak_f32 v28, v10, v28, 0x3dd931b2
	v_fmaak_f32 v28, v10, v28, 0xbe1160e6
	s_delay_alu instid0(VALU_DEP_1) | instskip(NEXT) | instid1(VALU_DEP_1)
	;; [unrolled: 3-line block ×3, first 2 shown]
	v_mul_f32_e32 v10, v10, v28
	v_dual_mul_f32 v28, 0x3f317217, v29 :: v_dual_fmac_f32 v9, v9, v10
	s_delay_alu instid0(VALU_DEP_1) | instskip(NEXT) | instid1(VALU_DEP_2)
	v_fma_f32 v10, 0x3f317217, v29, -v28
	v_sub_f32_e32 v28, 0x3fc90fdb, v9
	s_delay_alu instid0(VALU_DEP_2) | instskip(NEXT) | instid1(VALU_DEP_2)
	v_fmac_f32_e32 v10, 0x3377d1cf, v29
	v_cndmask_b32_e64 v9, v9, v28, s4
	s_delay_alu instid0(VALU_DEP_2) | instskip(SKIP_2) | instid1(VALU_DEP_4)
	v_fmac_f32_e32 v10, 0x3f317217, v29
	v_cndmask_b32_e64 v28, 0, 0x40490fdb, s5
	v_cmp_eq_f32_e64 s5, 0, v25
	v_sub_f32_e32 v30, 0x40490fdb, v9
	s_delay_alu instid0(VALU_DEP_4) | instskip(SKIP_1) | instid1(VALU_DEP_2)
	v_cndmask_b32_e32 v10, v29, v10, vcc_lo
	v_cmp_gt_f32_e32 vcc_lo, 0, v24
	v_dual_sub_f32 v10, v10, v31 :: v_dual_cndmask_b32 v9, v9, v30
	v_cndmask_b32_e32 v24, 0x3f490fdb, v34, vcc_lo
	s_and_b32 vcc_lo, s8, s7
	s_delay_alu instid0(VALU_DEP_2) | instskip(NEXT) | instid1(VALU_DEP_1)
	v_dual_mul_f32 v10, 0.5, v10 :: v_dual_cndmask_b32 v9, v9, v28, s5
                                        ; implicit-def: $vgpr28
	v_cndmask_b32_e32 v9, v9, v24, vcc_lo
.LBB168_269:                            ;   in Loop: Header=BB168_145 Depth=1
	s_and_not1_saveexec_b32 s34, s6
	s_cbranch_execz .LBB168_273
; %bb.270:                              ;   in Loop: Header=BB168_145 Depth=1
	v_and_b32_e32 v31, 0x7fff0000, v28
	v_and_b32_e32 v30, 0x7fff0000, v29
	s_mov_b32 s35, 0
	s_delay_alu instid0(VALU_DEP_1) | instskip(SKIP_2) | instid1(VALU_DEP_2)
	v_dual_add_f32 v39, v31, v31 :: v_dual_add_f32 v10, v30, v30
	v_pk_add_f32 v[32:33], v[28:29], v[30:31] op_sel:[1,0] op_sel_hi:[0,1] neg_lo:[0,1] neg_hi:[0,1]
	v_pk_mul_f32 v[28:29], v[30:31], v[30:31]
	v_and_b32_e32 v41, 0xffff0000, v33
	s_delay_alu instid0(VALU_DEP_3) | instskip(NEXT) | instid1(VALU_DEP_1)
	v_and_b32_e32 v40, 0xffff0000, v32
	v_dual_add_f32 v43, v41, v41 :: v_dual_add_f32 v42, v40, v40
	v_pk_add_f32 v[30:31], v[32:33], v[40:41] neg_lo:[0,1] neg_hi:[0,1]
	v_dual_mul_f32 v9, v10, v40 :: v_dual_mul_f32 v38, v39, v41
	v_pk_mul_f32 v[32:33], v[40:41], v[40:41]
	s_delay_alu instid0(VALU_DEP_3)
	v_dual_mul_f32 v37, v10, v30 :: v_dual_mul_f32 v40, v39, v31
	v_dual_mul_f32 v10, v42, v30 :: v_dual_mul_f32 v39, v43, v31
	v_pk_mul_f32 v[30:31], v[30:31], v[30:31]
.LBB168_271:                            ;   Parent Loop BB168_145 Depth=1
                                        ; =>  This Inner Loop Header: Depth=2
	v_cmp_nlt_f32_e32 vcc_lo, v28, v29
	v_dual_cndmask_b32 v41, v28, v29 :: v_dual_cndmask_b32 v28, v29, v28
	s_delay_alu instid0(VALU_DEP_1) | instskip(NEXT) | instid1(VALU_DEP_1)
	v_cmp_nlt_f32_e64 s5, v41, v9
	v_cndmask_b32_e64 v42, v41, v9, s5
	v_cndmask_b32_e64 v29, v9, v41, s5
	s_and_b32 s5, vcc_lo, s5
	s_delay_alu instid0(VALU_DEP_2) | instskip(NEXT) | instid1(VALU_DEP_1)
	v_cmp_nlt_f32_e64 s6, v42, v38
	v_cndmask_b32_e64 v43, v42, v38, s6
	s_delay_alu instid0(VALU_DEP_1) | instskip(NEXT) | instid1(VALU_DEP_1)
	v_cmp_nlt_f32_e64 s7, v43, v32
	v_cndmask_b32_e64 v41, v43, v32, s7
	s_and_b32 s36, s6, s7
	s_delay_alu instid0(VALU_DEP_1) | instskip(SKIP_1) | instid1(VALU_DEP_2)
	v_cmp_nlt_f32_e64 s8, v41, v33
	v_dual_cndmask_b32 v9, v38, v42, s6 :: v_dual_cndmask_b32 v38, v32, v43, s7
	v_cndmask_b32_e64 v42, v41, v33, s8
	v_cndmask_b32_e64 v32, v33, v41, s8
	s_delay_alu instid0(VALU_DEP_2) | instskip(NEXT) | instid1(VALU_DEP_1)
	v_cmp_nlt_f32_e64 s9, v42, v37
	v_cndmask_b32_e64 v44, v42, v37, s9
	s_and_b32 s8, s8, s9
	s_delay_alu instid0(VALU_DEP_1) | instskip(NEXT) | instid1(VALU_DEP_1)
	v_cmp_nlt_f32_e64 s10, v44, v40
	v_cndmask_b32_e64 v45, v44, v40, s10
	s_and_b32 s8, s8, s10
	s_delay_alu instid0(VALU_DEP_1) | instskip(NEXT) | instid1(VALU_DEP_1)
	v_cmp_nlt_f32_e64 s11, v45, v10
	v_cndmask_b32_e64 v43, v45, v10, s11
	v_dual_cndmask_b32 v33, v37, v42, s9 :: v_dual_cndmask_b32 v37, v40, v44, s10
	s_and_b32 s9, s8, s11
	v_cndmask_b32_e64 v40, v10, v45, s11
	s_delay_alu instid0(VALU_DEP_3) | instskip(NEXT) | instid1(VALU_DEP_1)
	v_cmp_nlt_f32_e64 s6, v43, v39
	v_cndmask_b32_e64 v41, v43, v39, s6
	v_cndmask_b32_e64 v10, v39, v43, s6
	s_and_b32 s6, s9, s6
	s_delay_alu instid0(VALU_DEP_2) | instskip(NEXT) | instid1(VALU_DEP_1)
	v_cmp_nlt_f32_e64 s7, v41, v30
	v_dual_cndmask_b32 v42, v41, v30, s7 :: v_dual_cndmask_b32 v39, v30, v41, s7
	s_and_b32 s6, s6, s7
	s_delay_alu instid0(VALU_DEP_1) | instskip(SKIP_3) | instid1(SALU_CYCLE_1)
	v_cmp_nlt_f32_e64 s8, v42, v31
	s_and_b32 s6, s6, s8
	v_dual_cndmask_b32 v30, v31, v42, s8 :: v_dual_cndmask_b32 v31, v42, v31, s8
	s_and_b32 s6, s6, s36
	s_and_b32 s5, s6, s5
	s_delay_alu instid0(SALU_CYCLE_1) | instskip(NEXT) | instid1(SALU_CYCLE_1)
	s_and_b32 s5, exec_lo, s5
	s_or_b32 s35, s5, s35
	s_delay_alu instid0(SALU_CYCLE_1)
	s_and_not1_b32 exec_lo, exec_lo, s35
	s_cbranch_execnz .LBB168_271
; %bb.272:                              ;   in Loop: Header=BB168_145 Depth=1
	s_or_b32 exec_lo, exec_lo, s35
	v_add_f32_e32 v28, -1.0, v28
	v_cmp_class_f32_e64 s6, v24, 0x204
	s_delay_alu instid0(VALU_DEP_2) | instskip(NEXT) | instid1(VALU_DEP_1)
	v_add_f32_e32 v28, v28, v29
	v_add_f32_e32 v9, v28, v9
	s_delay_alu instid0(VALU_DEP_1) | instskip(NEXT) | instid1(VALU_DEP_1)
	v_add_f32_e32 v9, v9, v38
	v_add_f32_e32 v9, v9, v32
	s_delay_alu instid0(VALU_DEP_1) | instskip(NEXT) | instid1(VALU_DEP_1)
	;; [unrolled: 3-line block ×5, first 2 shown]
	v_add_f32_e32 v28, v31, v9
	v_add_f32_e32 v31, 1.0, v28
	s_delay_alu instid0(VALU_DEP_1) | instskip(SKIP_2) | instid1(VALU_DEP_2)
	v_cvt_f64_f32_e32 v[32:33], v31
	v_frexp_mant_f32_e32 v10, v31
	v_add_f32_e32 v29, -1.0, v31
	v_cmp_gt_f32_e32 vcc_lo, 0x3f2aaaab, v10
	s_delay_alu instid0(VALU_DEP_2) | instskip(SKIP_2) | instid1(VALU_DEP_3)
	v_mov_b32_e32 v30, v29
	v_cmp_neq_f32_e64 s5, -1.0, v28
	v_frexp_exp_i32_f64_e32 v9, v[32:33]
	v_pk_add_f32 v[32:33], v[28:29], v[30:31] neg_lo:[0,1] neg_hi:[0,1]
	s_delay_alu instid0(VALU_DEP_1) | instskip(NEXT) | instid1(VALU_DEP_1)
	v_add_f32_e32 v30, 1.0, v33
	v_add_f32_e32 v30, v32, v30
	s_delay_alu instid0(VALU_DEP_4) | instskip(SKIP_1) | instid1(VALU_DEP_2)
	v_subrev_co_ci_u32_e64 v9, null, 0, v9, vcc_lo
	v_cmp_neq_f32_e32 vcc_lo, 0x7f800000, v28
	v_sub_nc_u32_e32 v10, 0, v9
	s_delay_alu instid0(VALU_DEP_1) | instskip(SKIP_1) | instid1(VALU_DEP_2)
	v_ldexp_f32 v29, v31, v10
	v_ldexp_f32 v10, v30, v10
	v_dual_add_f32 v33, 1.0, v29 :: v_dual_add_f32 v37, -1.0, v29
	s_delay_alu instid0(VALU_DEP_1) | instskip(NEXT) | instid1(VALU_DEP_1)
	v_add_f32_e32 v31, -1.0, v33
	v_dual_sub_f32 v30, v29, v31 :: v_dual_add_f32 v31, 1.0, v37
	s_delay_alu instid0(VALU_DEP_1) | instskip(NEXT) | instid1(VALU_DEP_1)
	v_add_f32_e32 v30, v10, v30
	v_add_f32_e32 v40, v33, v30
	s_delay_alu instid0(VALU_DEP_1) | instskip(NEXT) | instid1(VALU_DEP_1)
	v_dual_sub_f32 v29, v29, v31 :: v_dual_sub_f32 v33, v40, v33
	v_add_f32_e32 v10, v10, v29
	v_rcp_f32_e32 v29, v40
	s_delay_alu instid0(VALU_DEP_1)
	v_add_f32_e32 v31, v37, v10
	s_delay_alu instid0(TRANS32_DEP_1) | instid1(VALU_DEP_1)
	v_mul_f32_e32 v41, v31, v29
	s_delay_alu instid0(VALU_DEP_1) | instskip(SKIP_1) | instid1(VALU_DEP_2)
	v_mul_f32_e32 v32, v40, v41
	v_sub_f32_e32 v42, v30, v33
	v_dual_sub_f32 v37, v31, v37 :: v_dual_fma_f32 v38, v41, v40, -v32
	s_delay_alu instid0(VALU_DEP_1) | instskip(NEXT) | instid1(VALU_DEP_1)
	v_dual_sub_f32 v10, v10, v37 :: v_dual_fmac_f32 v38, v41, v42
	v_add_f32_e32 v30, v32, v38
	s_delay_alu instid0(VALU_DEP_1) | instskip(NEXT) | instid1(VALU_DEP_1)
	v_dual_sub_f32 v33, v31, v30 :: v_dual_mov_b32 v39, v30
	v_pk_add_f32 v[30:31], v[30:31], v[32:33] neg_lo:[0,1] neg_hi:[0,1]
	s_delay_alu instid0(VALU_DEP_1) | instskip(NEXT) | instid1(VALU_DEP_1)
	v_pk_add_f32 v[30:31], v[30:31], v[38:39] neg_lo:[0,1] neg_hi:[0,1]
	v_add_f32_e32 v10, v10, v31
	s_delay_alu instid0(VALU_DEP_1) | instskip(NEXT) | instid1(VALU_DEP_1)
	v_add_f32_e32 v10, v30, v10
	v_add_f32_e32 v31, v33, v10
	s_delay_alu instid0(VALU_DEP_1) | instskip(NEXT) | instid1(VALU_DEP_1)
	v_mul_f32_e32 v37, v29, v31
	v_mul_f32_e32 v38, v40, v37
	s_delay_alu instid0(VALU_DEP_1) | instskip(NEXT) | instid1(VALU_DEP_1)
	v_fma_f32 v32, v37, v40, -v38
	v_fmac_f32_e32 v32, v37, v42
	s_delay_alu instid0(VALU_DEP_1) | instskip(NEXT) | instid1(VALU_DEP_1)
	v_dual_add_f32 v30, v38, v32 :: v_dual_sub_f32 v40, v33, v31
	v_dual_sub_f32 v39, v31, v30 :: v_dual_mov_b32 v33, v30
	s_delay_alu instid0(VALU_DEP_2) | instskip(NEXT) | instid1(VALU_DEP_2)
	v_dual_add_f32 v10, v10, v40 :: v_dual_add_f32 v40, v41, v37
	v_pk_add_f32 v[30:31], v[30:31], v[38:39] neg_lo:[0,1] neg_hi:[0,1]
	s_delay_alu instid0(VALU_DEP_1) | instskip(NEXT) | instid1(VALU_DEP_1)
	v_pk_add_f32 v[30:31], v[30:31], v[32:33] neg_lo:[0,1] neg_hi:[0,1]
	v_add_f32_e32 v10, v10, v31
	s_delay_alu instid0(VALU_DEP_1) | instskip(NEXT) | instid1(VALU_DEP_1)
	v_dual_add_f32 v10, v30, v10 :: v_dual_sub_f32 v30, v40, v41
	v_add_f32_e32 v10, v39, v10
	s_delay_alu instid0(VALU_DEP_2) | instskip(NEXT) | instid1(VALU_DEP_2)
	v_sub_f32_e32 v30, v37, v30
	v_mul_f32_e32 v10, v29, v10
	s_delay_alu instid0(VALU_DEP_1) | instskip(SKIP_1) | instid1(VALU_DEP_2)
	v_add_f32_e32 v10, v30, v10
	v_cvt_f32_i32_e32 v30, v9
	v_add_f32_e32 v29, v40, v10
	s_delay_alu instid0(VALU_DEP_1) | instskip(NEXT) | instid1(VALU_DEP_1)
	v_mul_f32_e32 v32, v29, v29
	v_fmaak_f32 v33, s26, v32, 0x3ecc95a3
	v_mul_f32_e32 v31, v29, v32
	s_delay_alu instid0(VALU_DEP_2) | instskip(NEXT) | instid1(VALU_DEP_1)
	v_fmaak_f32 v9, v32, v33, 0x3f2aaada
	v_pk_mul_f32 v[32:33], v[30:31], v[8:9]
	v_sub_f32_e32 v9, v29, v40
	s_delay_alu instid0(VALU_DEP_2) | instskip(NEXT) | instid1(VALU_DEP_2)
	v_fma_f32 v38, 0x3f317218, v30, -v32
	v_sub_f32_e32 v9, v10, v9
	v_ldexp_f32 v39, v29, 1
	v_mov_b32_e32 v40, v32
	s_delay_alu instid0(VALU_DEP_4) | instskip(NEXT) | instid1(VALU_DEP_4)
	v_fmac_f32_e32 v38, 0xb102e308, v30
	v_ldexp_f32 v9, v9, 1
	s_delay_alu instid0(VALU_DEP_2) | instskip(NEXT) | instid1(VALU_DEP_1)
	v_pk_add_f32 v[30:31], v[32:33], v[38:39]
	v_dual_sub_f32 v10, v31, v39 :: v_dual_mov_b32 v39, v30
	s_delay_alu instid0(VALU_DEP_1) | instskip(SKIP_1) | instid1(VALU_DEP_2)
	v_dual_mov_b32 v48, v31 :: v_dual_sub_f32 v10, v33, v10
	v_pk_add_f32 v[32:33], v[30:31], v[32:33] neg_lo:[0,1] neg_hi:[0,1]
	v_add_f32_e32 v41, v9, v10
	v_max_num_f32_e64 v9, |v25|, |v25|
	v_max_num_f32_e64 v10, |v24|, |v24|
	s_delay_alu instid0(VALU_DEP_1) | instskip(NEXT) | instid1(VALU_DEP_4)
	v_max_num_f32_e32 v29, v10, v9
	v_pk_add_f32 v[42:43], v[30:31], v[40:41]
	s_delay_alu instid0(VALU_DEP_2) | instskip(NEXT) | instid1(VALU_DEP_2)
	v_frexp_exp_i32_f32_e32 v37, v29
	v_mov_b32_e32 v33, v43
	v_frexp_mant_f32_e32 v29, v29
	s_delay_alu instid0(VALU_DEP_2) | instskip(SKIP_2) | instid1(VALU_DEP_4)
	v_pk_add_f32 v[44:45], v[38:39], v[32:33]
	v_min_num_f32_e32 v9, v10, v9
	v_pk_add_f32 v[32:33], v[38:39], v[32:33] neg_lo:[0,1] neg_hi:[0,1]
	v_rcp_f32_e32 v29, v29
	s_delay_alu instid0(VALU_DEP_3) | instskip(NEXT) | instid1(VALU_DEP_3)
	v_mov_b32_e32 v10, v45
	v_frexp_exp_i32_f32_e32 v40, v9
	v_frexp_mant_f32_e32 v50, v9
	v_mov_b32_e32 v33, v45
	s_delay_alu instid0(VALU_DEP_4) | instskip(NEXT) | instid1(VALU_DEP_4)
	v_pk_add_f32 v[46:47], v[10:11], v[30:31] neg_lo:[0,1] neg_hi:[0,1]
	v_dual_mov_b32 v44, v43 :: v_dual_sub_nc_u32 v37, v40, v37
	v_dual_mov_b32 v31, v30 :: v_dual_mov_b32 v30, v41
	s_delay_alu instid0(VALU_DEP_3) | instskip(NEXT) | instid1(VALU_DEP_1)
	v_dual_mov_b32 v49, v46 :: v_dual_mov_b32 v9, v46
	v_pk_add_f32 v[38:39], v[44:45], v[48:49] neg_lo:[0,1] neg_hi:[0,1]
	s_delay_alu instid0(VALU_DEP_2) | instskip(SKIP_1) | instid1(VALU_DEP_3)
	v_pk_add_f32 v[40:41], v[42:43], v[8:9] neg_lo:[0,1] neg_hi:[0,1]
	v_mov_b32_e32 v40, v32
	v_pk_add_f32 v[30:31], v[30:31], v[38:39] neg_lo:[0,1] neg_hi:[0,1]
	s_delay_alu instid0(VALU_DEP_1) | instskip(NEXT) | instid1(VALU_DEP_1)
	v_pk_add_f32 v[38:39], v[40:41], v[30:31]
	v_dual_mul_f32 v29, v50, v29 :: v_dual_mov_b32 v40, v39
	s_delay_alu instid0(VALU_DEP_1) | instskip(NEXT) | instid1(VALU_DEP_2)
	v_ldexp_f32 v9, v29, v37
	v_pk_add_f32 v[40:41], v[38:39], v[40:41]
	s_delay_alu instid0(VALU_DEP_1) | instskip(NEXT) | instid1(VALU_DEP_1)
	v_pk_add_f32 v[42:43], v[10:11], v[40:41]
	v_dual_mul_f32 v29, v9, v9 :: v_dual_mov_b32 v39, v42
	s_delay_alu instid0(VALU_DEP_1) | instskip(NEXT) | instid1(VALU_DEP_1)
	v_pk_add_f32 v[44:45], v[38:39], v[32:33] neg_lo:[0,1] neg_hi:[0,1]
	v_sub_f32_e32 v33, v38, v44
	s_delay_alu instid0(VALU_DEP_1) | instskip(NEXT) | instid1(VALU_DEP_4)
	v_sub_f32_e32 v32, v32, v33
	v_fmaak_f32 v31, s27, v29, 0xbc7a590c
	s_delay_alu instid0(VALU_DEP_1) | instskip(NEXT) | instid1(VALU_DEP_1)
	v_fmaak_f32 v31, v29, v31, 0x3d29fb3f
	v_dual_fmaak_f32 v10, v29, v31, 0xbd97d4d7 :: v_dual_mov_b32 v31, v40
	s_delay_alu instid0(VALU_DEP_1) | instskip(NEXT) | instid1(VALU_DEP_2)
	v_fmaak_f32 v10, v29, v10, 0x3dd931b2
	v_pk_add_f32 v[30:31], v[30:31], v[44:45] neg_lo:[0,1] neg_hi:[0,1]
	s_delay_alu instid0(VALU_DEP_2) | instskip(NEXT) | instid1(VALU_DEP_1)
	v_fmaak_f32 v10, v29, v10, 0xbe1160e6
	v_fmaak_f32 v10, v29, v10, 0x3e4cb8bf
	s_delay_alu instid0(VALU_DEP_1) | instskip(NEXT) | instid1(VALU_DEP_1)
	v_fmaak_f32 v10, v29, v10, 0xbeaaaa62
	v_mul_f32_e32 v10, v29, v10
	s_delay_alu instid0(VALU_DEP_1) | instskip(NEXT) | instid1(VALU_DEP_1)
	v_dual_fmac_f32 v9, v9, v10 :: v_dual_add_f32 v30, v30, v32
	v_add_f32_e32 v29, v30, v31
	s_delay_alu instid0(VALU_DEP_1) | instskip(NEXT) | instid1(VALU_DEP_3)
	v_add_f32_e32 v10, v42, v29
	v_sub_f32_e32 v29, 0x3fc90fdb, v9
	s_delay_alu instid0(VALU_DEP_1) | instskip(NEXT) | instid1(VALU_DEP_3)
	v_cndmask_b32_e64 v9, v9, v29, s4
	v_cndmask_b32_e32 v10, 0x7f800000, v10, vcc_lo
	v_cmp_gt_i32_e32 vcc_lo, 0, v24
	v_cndmask_b32_e64 v29, 0, 0x40490fdb, vcc_lo
	v_cmp_ngt_f32_e32 vcc_lo, -1.0, v28
	s_delay_alu instid0(VALU_DEP_4) | instskip(SKIP_1) | instid1(VALU_DEP_2)
	v_cndmask_b32_e32 v10, 0x7fc00000, v10, vcc_lo
	v_cmp_gt_f32_e32 vcc_lo, 0, v24
	v_cndmask_b32_e64 v10, 0xff800000, v10, s5
	v_cndmask_b32_e32 v24, 0x3f490fdb, v34, vcc_lo
	v_sub_f32_e32 v30, 0x40490fdb, v9
	v_cmp_class_f32_e64 s5, v25, 0x204
	s_delay_alu instid0(VALU_DEP_2) | instskip(SKIP_3) | instid1(VALU_DEP_2)
	v_cndmask_b32_e32 v9, v9, v30, vcc_lo
	v_cmp_gt_f32_e64 vcc_lo, 0x33800000, |v28|
	v_cndmask_b32_e32 v10, v10, v28, vcc_lo
	v_cmp_eq_f32_e32 vcc_lo, 0, v25
	v_dual_mul_f32 v10, 0.5, v10 :: v_dual_cndmask_b32 v9, v9, v29
	s_and_b32 vcc_lo, s5, s6
	s_delay_alu instid0(VALU_DEP_1)
	v_cndmask_b32_e32 v9, v9, v24, vcc_lo
.LBB168_273:                            ;   in Loop: Header=BB168_145 Depth=1
	s_or_b32 exec_lo, exec_lo, s34
.LBB168_274:                            ;   in Loop: Header=BB168_145 Depth=1
	s_delay_alu instid0(SALU_CYCLE_1)
	s_or_b32 exec_lo, exec_lo, s33
.LBB168_275:                            ;   in Loop: Header=BB168_145 Depth=1
	s_and_not1_saveexec_b32 s6, s31
	s_cbranch_execz .LBB168_277
; %bb.276:                              ;   in Loop: Header=BB168_145 Depth=1
	v_max_num_f32_e64 v9, |v25|, |v25|
	v_max_num_f32_e64 v10, |v24|, |v24|
	v_cmp_gt_i32_e64 s5, 0, v24
	v_cmp_class_f32_e64 s7, v24, 0x204
	v_cmp_class_f32_e64 s8, v25, 0x204
	s_delay_alu instid0(VALU_DEP_4) | instskip(NEXT) | instid1(VALU_DEP_1)
	v_dual_max_num_f32 v30, v10, v9 :: v_dual_min_num_f32 v9, v10, v9
	v_cvt_f64_f32_e32 v[28:29], v30
	v_frexp_exp_i32_f32_e32 v10, v30
	s_delay_alu instid0(VALU_DEP_3) | instskip(SKIP_4) | instid1(VALU_DEP_1)
	v_frexp_exp_i32_f32_e32 v31, v9
	v_frexp_mant_f32_e32 v9, v9
	v_cmp_neq_f32_e32 vcc_lo, 0x7f800000, v30
	v_frexp_exp_i32_f64_e32 v28, v[28:29]
	v_frexp_mant_f32_e32 v29, v30
	v_rcp_f32_e32 v29, v29
	v_nop
	s_delay_alu instid0(TRANS32_DEP_1) | instskip(NEXT) | instid1(VALU_DEP_1)
	v_dual_mul_f32 v9, v9, v29 :: v_dual_sub_nc_u32 v10, v31, v10
	v_ldexp_f32 v9, v9, v10
	s_delay_alu instid0(VALU_DEP_1) | instskip(NEXT) | instid1(VALU_DEP_1)
	v_dual_mul_f32 v29, v9, v9 :: v_dual_sub_nc_u32 v10, 0, v28
	v_ldexp_f32 v31, |v25|, v10
	s_delay_alu instid0(VALU_DEP_2) | instskip(SKIP_1) | instid1(VALU_DEP_2)
	v_fmaak_f32 v32, s27, v29, 0xbc7a590c
	v_ldexp_f32 v10, |v24|, v10
	v_dual_mul_f32 v31, v31, v31 :: v_dual_fmaak_f32 v32, v29, v32, 0x3d29fb3f
	s_delay_alu instid0(VALU_DEP_1) | instskip(NEXT) | instid1(VALU_DEP_1)
	v_dual_fmac_f32 v31, v10, v10 :: v_dual_fmaak_f32 v10, v29, v32, 0xbd97d4d7
	v_sqrt_f32_e32 v31, v31
	s_delay_alu instid0(VALU_DEP_1) | instskip(NEXT) | instid1(VALU_DEP_1)
	v_fmaak_f32 v10, v29, v10, 0x3dd931b2
	v_fmaak_f32 v10, v29, v10, 0xbe1160e6
	s_delay_alu instid0(TRANS32_DEP_1) | instskip(NEXT) | instid1(VALU_DEP_2)
	v_ldexp_f32 v28, v31, v28
	v_fmaak_f32 v10, v29, v10, 0x3e4cb8bf
	s_delay_alu instid0(VALU_DEP_1) | instskip(NEXT) | instid1(VALU_DEP_1)
	v_fmaak_f32 v10, v29, v10, 0xbeaaaa62
	v_mul_f32_e32 v10, v29, v10
	s_delay_alu instid0(VALU_DEP_1) | instskip(NEXT) | instid1(VALU_DEP_1)
	v_dual_cndmask_b32 v28, 0x7f800000, v28 :: v_dual_fmac_f32 v9, v9, v10
	v_cmp_gt_f32_e32 vcc_lo, 0x800000, v28
	s_delay_alu instid0(VALU_DEP_2) | instskip(SKIP_1) | instid1(VALU_DEP_1)
	v_sub_f32_e32 v29, 0x3fc90fdb, v9
	v_cndmask_b32_e64 v30, 0, 32, vcc_lo
	v_ldexp_f32 v28, v28, v30
	s_delay_alu instid0(VALU_DEP_1) | instskip(NEXT) | instid1(VALU_DEP_3)
	v_log_f32_e32 v28, v28
	v_cndmask_b32_e64 v9, v9, v29, s4
	v_cndmask_b32_e64 v29, 0, 0x40490fdb, s5
	v_cmp_gt_f32_e64 s5, 0, v24
	s_delay_alu instid0(VALU_DEP_1) | instskip(NEXT) | instid1(VALU_DEP_4)
	v_cndmask_b32_e64 v24, 0x3f490fdb, v34, s5
	v_sub_f32_e32 v30, 0x40490fdb, v9
	s_delay_alu instid0(VALU_DEP_1) | instskip(SKIP_3) | instid1(VALU_DEP_3)
	v_cndmask_b32_e64 v9, v9, v30, s5
	v_mul_f32_e32 v10, 0x3f317217, v28
	v_cndmask_b32_e64 v30, 0, 0x41b17218, vcc_lo
	v_cmp_gt_f32_e64 vcc_lo, 0x7f800000, |v28|
	v_fma_f32 v10, 0x3f317217, v28, -v10
	s_delay_alu instid0(VALU_DEP_1) | instskip(NEXT) | instid1(VALU_DEP_1)
	v_fmac_f32_e32 v10, 0x3377d1cf, v28
	v_fmac_f32_e32 v10, 0x3f317217, v28
	s_delay_alu instid0(VALU_DEP_1) | instskip(SKIP_1) | instid1(VALU_DEP_2)
	v_cndmask_b32_e32 v10, v28, v10, vcc_lo
	v_cmp_eq_f32_e32 vcc_lo, 0, v25
	v_dual_sub_f32 v10, v10, v30 :: v_dual_cndmask_b32 v9, v9, v29
	s_and_b32 vcc_lo, s8, s7
	s_delay_alu instid0(VALU_DEP_1)
	v_cndmask_b32_e32 v9, v9, v24, vcc_lo
.LBB168_277:                            ;   in Loop: Header=BB168_145 Depth=1
	s_or_b32 exec_lo, exec_lo, s6
                                        ; implicit-def: $vgpr28
.LBB168_278:                            ;   in Loop: Header=BB168_145 Depth=1
	s_and_not1_saveexec_b32 s6, s30
	s_cbranch_execz .LBB168_284
; %bb.279:                              ;   in Loop: Header=BB168_145 Depth=1
                                        ; implicit-def: $vgpr10
                                        ; implicit-def: $vgpr9
	s_mov_b32 s5, exec_lo
	v_cmpx_ngt_f32_e32 0x1fec1e4a, v28
	s_xor_b32 s7, exec_lo, s5
	s_cbranch_execz .LBB168_281
; %bb.280:                              ;   in Loop: Header=BB168_145 Depth=1
	v_pk_mul_f32 v[28:29], v[28:29], v[28:29]
	v_cmp_class_f32_e64 s8, v24, 0x204
	s_delay_alu instid0(VALU_DEP_2) | instskip(SKIP_1) | instid1(VALU_DEP_2)
	v_add_f32_e32 v31, 1.0, v28
	v_cmp_neq_f32_e64 s5, 0x7f800000, v28
	v_add_f32_e32 v29, -1.0, v31
	s_delay_alu instid0(VALU_DEP_1) | instskip(SKIP_2) | instid1(VALU_DEP_1)
	v_mov_b32_e32 v30, v29
	v_cvt_f64_f32_e32 v[32:33], v31
	v_frexp_mant_f32_e32 v10, v31
	v_cmp_gt_f32_e32 vcc_lo, 0x3f2aaaab, v10
	s_delay_alu instid0(VALU_DEP_3) | instskip(NEXT) | instid1(VALU_DEP_1)
	v_frexp_exp_i32_f64_e32 v9, v[32:33]
	v_subrev_co_ci_u32_e64 v9, null, 0, v9, vcc_lo
	v_cmp_gt_i32_e32 vcc_lo, 0, v24
	s_delay_alu instid0(VALU_DEP_2) | instskip(SKIP_1) | instid1(VALU_DEP_2)
	v_sub_nc_u32_e32 v10, 0, v9
	v_pk_add_f32 v[32:33], v[28:29], v[30:31] neg_lo:[0,1] neg_hi:[0,1]
	v_ldexp_f32 v29, v31, v10
	s_delay_alu instid0(VALU_DEP_2) | instskip(NEXT) | instid1(VALU_DEP_2)
	v_add_f32_e32 v30, 1.0, v33
	v_add_f32_e32 v33, 1.0, v29
	s_delay_alu instid0(VALU_DEP_1) | instskip(SKIP_1) | instid1(VALU_DEP_2)
	v_dual_add_f32 v31, -1.0, v33 :: v_dual_add_f32 v30, v32, v30
	v_add_f32_e32 v37, -1.0, v29
	v_ldexp_f32 v10, v30, v10
	s_delay_alu instid0(VALU_DEP_2) | instskip(NEXT) | instid1(VALU_DEP_1)
	v_dual_sub_f32 v30, v29, v31 :: v_dual_add_f32 v31, 1.0, v37
	v_add_f32_e32 v30, v10, v30
	s_delay_alu instid0(VALU_DEP_1) | instskip(NEXT) | instid1(VALU_DEP_3)
	v_add_f32_e32 v40, v33, v30
	v_sub_f32_e32 v29, v29, v31
	s_delay_alu instid0(VALU_DEP_1) | instskip(NEXT) | instid1(VALU_DEP_3)
	v_add_f32_e32 v10, v10, v29
	v_rcp_f32_e32 v29, v40
	v_sub_f32_e32 v33, v33, v40
	s_delay_alu instid0(VALU_DEP_1)
	v_dual_add_f32 v31, v37, v10 :: v_dual_add_f32 v42, v30, v33
	s_delay_alu instid0(TRANS32_DEP_1) | instid1(VALU_DEP_1)
	v_dual_mul_f32 v41, v31, v29 :: v_dual_sub_f32 v37, v37, v31
	s_delay_alu instid0(VALU_DEP_1) | instskip(NEXT) | instid1(VALU_DEP_1)
	v_mul_f32_e32 v32, v40, v41
	v_dual_add_f32 v10, v10, v37 :: v_dual_fma_f32 v38, v41, v40, -v32
	s_delay_alu instid0(VALU_DEP_1) | instskip(NEXT) | instid1(VALU_DEP_1)
	v_fmac_f32_e32 v38, v41, v42
	v_add_f32_e32 v30, v32, v38
	s_delay_alu instid0(VALU_DEP_1) | instskip(NEXT) | instid1(VALU_DEP_1)
	v_dual_sub_f32 v33, v31, v30 :: v_dual_mov_b32 v39, v30
	v_pk_add_f32 v[30:31], v[30:31], v[32:33] neg_lo:[0,1] neg_hi:[0,1]
	s_delay_alu instid0(VALU_DEP_1) | instskip(NEXT) | instid1(VALU_DEP_1)
	v_pk_add_f32 v[30:31], v[30:31], v[38:39] neg_lo:[0,1] neg_hi:[0,1]
	v_add_f32_e32 v10, v10, v31
	s_delay_alu instid0(VALU_DEP_1) | instskip(NEXT) | instid1(VALU_DEP_1)
	v_add_f32_e32 v10, v30, v10
	v_add_f32_e32 v31, v33, v10
	s_delay_alu instid0(VALU_DEP_1) | instskip(NEXT) | instid1(VALU_DEP_1)
	v_mul_f32_e32 v37, v29, v31
	v_mul_f32_e32 v38, v40, v37
	s_delay_alu instid0(VALU_DEP_1) | instskip(SKIP_1) | instid1(VALU_DEP_1)
	v_fma_f32 v32, v37, v40, -v38
	v_sub_f32_e32 v40, v33, v31
	v_dual_fmac_f32 v32, v37, v42 :: v_dual_add_f32 v10, v10, v40
	s_delay_alu instid0(VALU_DEP_1) | instskip(NEXT) | instid1(VALU_DEP_1)
	v_dual_add_f32 v40, v41, v37 :: v_dual_add_f32 v30, v38, v32
	v_dual_sub_f32 v39, v31, v30 :: v_dual_mov_b32 v33, v30
	s_delay_alu instid0(VALU_DEP_1) | instskip(NEXT) | instid1(VALU_DEP_1)
	v_pk_add_f32 v[30:31], v[30:31], v[38:39] neg_lo:[0,1] neg_hi:[0,1]
	v_pk_add_f32 v[30:31], v[30:31], v[32:33] neg_lo:[0,1] neg_hi:[0,1]
	s_delay_alu instid0(VALU_DEP_1) | instskip(NEXT) | instid1(VALU_DEP_1)
	v_add_f32_e32 v10, v10, v31
	v_dual_add_f32 v10, v30, v10 :: v_dual_sub_f32 v30, v40, v41
	s_delay_alu instid0(VALU_DEP_1) | instskip(NEXT) | instid1(VALU_DEP_2)
	v_add_f32_e32 v10, v39, v10
	v_sub_f32_e32 v30, v37, v30
	v_max_num_f32_e64 v37, |v24|, |v24|
	s_delay_alu instid0(VALU_DEP_3) | instskip(NEXT) | instid1(VALU_DEP_1)
	v_mul_f32_e32 v10, v29, v10
	v_add_f32_e32 v10, v30, v10
	v_cvt_f32_i32_e32 v30, v9
	s_delay_alu instid0(VALU_DEP_2) | instskip(NEXT) | instid1(VALU_DEP_1)
	v_add_f32_e32 v29, v40, v10
	v_mul_f32_e32 v32, v29, v29
	s_delay_alu instid0(VALU_DEP_1) | instskip(SKIP_1) | instid1(VALU_DEP_2)
	v_fmaak_f32 v33, s26, v32, 0x3ecc95a3
	v_mul_f32_e32 v31, v29, v32
	v_fmaak_f32 v9, v32, v33, 0x3f2aaada
	s_delay_alu instid0(VALU_DEP_1) | instskip(SKIP_1) | instid1(VALU_DEP_2)
	v_pk_mul_f32 v[32:33], v[30:31], v[8:9]
	v_sub_f32_e32 v9, v29, v40
	v_fma_f32 v38, 0x3f317218, v30, -v32
	s_delay_alu instid0(VALU_DEP_2)
	v_sub_f32_e32 v9, v10, v9
	v_ldexp_f32 v39, v29, 1
	v_max_num_f32_e64 v29, |v25|, |v25|
	v_mov_b32_e32 v40, v32
	v_fmac_f32_e32 v38, 0xb102e308, v30
	v_ldexp_f32 v9, v9, 1
	s_delay_alu instid0(VALU_DEP_2) | instskip(NEXT) | instid1(VALU_DEP_1)
	v_pk_add_f32 v[30:31], v[32:33], v[38:39]
	v_dual_sub_f32 v10, v31, v39 :: v_dual_mov_b32 v39, v30
	s_delay_alu instid0(VALU_DEP_1) | instskip(SKIP_1) | instid1(VALU_DEP_2)
	v_dual_mov_b32 v48, v31 :: v_dual_sub_f32 v10, v33, v10
	v_pk_add_f32 v[32:33], v[30:31], v[32:33] neg_lo:[0,1] neg_hi:[0,1]
	v_add_f32_e32 v41, v9, v10
	v_dual_max_num_f32 v9, v37, v29 :: v_dual_min_num_f32 v29, v37, v29
	s_delay_alu instid0(VALU_DEP_2) | instskip(NEXT) | instid1(VALU_DEP_2)
	v_pk_add_f32 v[42:43], v[30:31], v[40:41]
	v_frexp_mant_f32_e32 v10, v9
	v_frexp_exp_i32_f32_e32 v9, v9
	s_delay_alu instid0(VALU_DEP_4) | instskip(SKIP_3) | instid1(VALU_DEP_3)
	v_frexp_exp_i32_f32_e32 v40, v29
	v_frexp_mant_f32_e32 v29, v29
	v_mov_b32_e32 v33, v43
	v_rcp_f32_e32 v37, v10
	v_sub_nc_u32_e32 v9, v40, v9
	s_delay_alu instid0(VALU_DEP_2) | instskip(SKIP_2) | instid1(TRANS32_DEP_1)
	v_pk_add_f32 v[44:45], v[38:39], v[32:33]
	v_mov_b32_e32 v44, v43
	v_pk_add_f32 v[32:33], v[38:39], v[32:33] neg_lo:[0,1] neg_hi:[0,1]
	v_mul_f32_e32 v29, v29, v37
	s_delay_alu instid0(VALU_DEP_4) | instskip(NEXT) | instid1(VALU_DEP_2)
	v_mov_b32_e32 v10, v45
	v_ldexp_f32 v29, v29, v9
	s_delay_alu instid0(VALU_DEP_2) | instskip(SKIP_1) | instid1(VALU_DEP_2)
	v_pk_add_f32 v[46:47], v[10:11], v[30:31] neg_lo:[0,1] neg_hi:[0,1]
	v_dual_mov_b32 v31, v30 :: v_dual_mov_b32 v30, v41
	v_dual_mul_f32 v37, v29, v29 :: v_dual_mov_b32 v49, v46
	v_mov_b32_e32 v9, v46
	s_delay_alu instid0(VALU_DEP_2) | instskip(NEXT) | instid1(VALU_DEP_2)
	v_pk_add_f32 v[38:39], v[44:45], v[48:49] neg_lo:[0,1] neg_hi:[0,1]
	v_pk_add_f32 v[40:41], v[42:43], v[8:9] neg_lo:[0,1] neg_hi:[0,1]
	v_mov_b32_e32 v40, v32
	s_delay_alu instid0(VALU_DEP_3) | instskip(NEXT) | instid1(VALU_DEP_1)
	v_pk_add_f32 v[30:31], v[30:31], v[38:39] neg_lo:[0,1] neg_hi:[0,1]
	v_pk_add_f32 v[38:39], v[40:41], v[30:31]
	s_delay_alu instid0(VALU_DEP_1) | instskip(NEXT) | instid1(VALU_DEP_1)
	v_dual_fmaak_f32 v9, s27, v37, 0xbc7a590c :: v_dual_mov_b32 v40, v39
	v_pk_add_f32 v[40:41], v[38:39], v[40:41]
	s_delay_alu instid0(VALU_DEP_1) | instskip(NEXT) | instid1(VALU_DEP_1)
	v_pk_add_f32 v[42:43], v[10:11], v[40:41]
	v_dual_mov_b32 v33, v45 :: v_dual_mov_b32 v39, v42
	s_delay_alu instid0(VALU_DEP_1) | instskip(NEXT) | instid1(VALU_DEP_1)
	v_pk_add_f32 v[44:45], v[38:39], v[32:33] neg_lo:[0,1] neg_hi:[0,1]
	v_dual_fmaak_f32 v9, v37, v9, 0x3d29fb3f :: v_dual_sub_f32 v10, v38, v44
	s_delay_alu instid0(VALU_DEP_1) | instskip(NEXT) | instid1(VALU_DEP_1)
	v_dual_fmaak_f32 v9, v37, v9, 0xbd97d4d7 :: v_dual_sub_f32 v10, v32, v10
	v_fmaak_f32 v9, v37, v9, 0x3dd931b2
	s_delay_alu instid0(VALU_DEP_1) | instskip(NEXT) | instid1(VALU_DEP_1)
	v_fmaak_f32 v9, v37, v9, 0xbe1160e6
	v_fmaak_f32 v9, v37, v9, 0x3e4cb8bf
	s_delay_alu instid0(VALU_DEP_1) | instskip(NEXT) | instid1(VALU_DEP_1)
	v_fmaak_f32 v9, v37, v9, 0xbeaaaa62
	v_dual_mov_b32 v31, v40 :: v_dual_mul_f32 v9, v37, v9
	s_delay_alu instid0(VALU_DEP_1) | instskip(NEXT) | instid1(VALU_DEP_1)
	v_pk_add_f32 v[30:31], v[30:31], v[44:45] neg_lo:[0,1] neg_hi:[0,1]
	v_dual_fmac_f32 v29, v29, v9 :: v_dual_add_f32 v9, v30, v10
	s_delay_alu instid0(VALU_DEP_1) | instskip(NEXT) | instid1(VALU_DEP_1)
	v_dual_sub_f32 v10, 0x3fc90fdb, v29 :: v_dual_add_f32 v9, v9, v31
	v_dual_cndmask_b32 v10, v29, v10, s4 :: v_dual_add_f32 v9, v42, v9
	v_cndmask_b32_e64 v29, 0, 0x40490fdb, vcc_lo
	v_cmp_gt_f32_e32 vcc_lo, 0, v24
	s_delay_alu instid0(VALU_DEP_3) | instskip(NEXT) | instid1(VALU_DEP_4)
	v_cndmask_b32_e64 v9, 0x7f800000, v9, s5
	v_sub_f32_e32 v30, 0x40490fdb, v10
	v_cndmask_b32_e32 v24, 0x3f490fdb, v34, vcc_lo
	v_cmp_class_f32_e64 s5, v25, 0x204
	s_delay_alu instid0(VALU_DEP_3) | instskip(SKIP_3) | instid1(VALU_DEP_4)
	v_cndmask_b32_e32 v10, v10, v30, vcc_lo
	v_cmp_gt_f32_e64 vcc_lo, 0x33800000, |v28|
	v_cndmask_b32_e32 v9, v9, v28, vcc_lo
	v_cmp_eq_f32_e32 vcc_lo, 0, v25
	v_cndmask_b32_e32 v28, v10, v29, vcc_lo
	s_and_b32 vcc_lo, s5, s8
	s_delay_alu instid0(VALU_DEP_1)
	v_dual_mul_f32 v10, 0.5, v9 :: v_dual_cndmask_b32 v9, v28, v24
                                        ; implicit-def: $vgpr28
.LBB168_281:                            ;   in Loop: Header=BB168_145 Depth=1
	s_and_not1_saveexec_b32 s7, s7
	s_cbranch_execz .LBB168_283
; %bb.282:                              ;   in Loop: Header=BB168_145 Depth=1
	v_max_num_f32_e64 v9, |v25|, |v25|
	v_max_num_f32_e64 v10, |v24|, |v24|
	v_cmp_eq_f32_e64 s5, 0, v25
	v_cmp_gt_i32_e32 vcc_lo, 0, v24
	v_cmp_class_f32_e64 s8, v24, 0x204
	v_cmp_class_f32_e64 s9, v25, 0x204
	v_dual_max_num_f32 v29, v10, v9 :: v_dual_min_num_f32 v9, v10, v9
	s_delay_alu instid0(VALU_DEP_1) | instskip(SKIP_1) | instid1(VALU_DEP_2)
	v_frexp_mant_f32_e32 v30, v29
	v_frexp_exp_i32_f32_e32 v10, v29
	v_rcp_f32_e32 v29, v30
	v_nop
	v_frexp_exp_i32_f32_e32 v30, v9
	v_frexp_mant_f32_e32 v9, v9
	s_delay_alu instid0(TRANS32_DEP_1) | instid1(VALU_DEP_1)
	v_dual_mul_f32 v9, v9, v29 :: v_dual_sub_nc_u32 v10, v30, v10
	s_delay_alu instid0(VALU_DEP_1) | instskip(NEXT) | instid1(VALU_DEP_1)
	v_ldexp_f32 v9, v9, v10
	v_mul_f32_e32 v10, v9, v9
	s_delay_alu instid0(VALU_DEP_1) | instskip(NEXT) | instid1(VALU_DEP_1)
	v_fmaak_f32 v29, s27, v10, 0xbc7a590c
	v_fmaak_f32 v29, v10, v29, 0x3d29fb3f
	s_delay_alu instid0(VALU_DEP_1) | instskip(NEXT) | instid1(VALU_DEP_1)
	v_fmaak_f32 v29, v10, v29, 0xbd97d4d7
	v_fmaak_f32 v29, v10, v29, 0x3dd931b2
	s_delay_alu instid0(VALU_DEP_1) | instskip(NEXT) | instid1(VALU_DEP_1)
	v_fmaak_f32 v29, v10, v29, 0xbe1160e6
	v_fmaak_f32 v29, v10, v29, 0x3e4cb8bf
	s_delay_alu instid0(VALU_DEP_1) | instskip(NEXT) | instid1(VALU_DEP_1)
	v_fmaak_f32 v29, v10, v29, 0xbeaaaa62
	v_mul_f32_e32 v10, v10, v29
	v_cndmask_b32_e64 v29, 0, 0x40490fdb, vcc_lo
	v_cmp_gt_f32_e32 vcc_lo, 0, v24
	s_delay_alu instid0(VALU_DEP_3) | instskip(SKIP_1) | instid1(VALU_DEP_2)
	v_fmac_f32_e32 v9, v9, v10
	v_cndmask_b32_e32 v24, 0x3f490fdb, v34, vcc_lo
	v_sub_f32_e32 v10, 0x3fc90fdb, v9
	s_delay_alu instid0(VALU_DEP_1) | instskip(NEXT) | instid1(VALU_DEP_1)
	v_cndmask_b32_e64 v9, v9, v10, s4
	v_sub_f32_e32 v10, 0x40490fdb, v9
	s_delay_alu instid0(VALU_DEP_1) | instskip(SKIP_1) | instid1(VALU_DEP_1)
	v_dual_cndmask_b32 v9, v9, v10 :: v_dual_mul_f32 v10, 0.5, v28
	s_and_b32 vcc_lo, s9, s8
	v_dual_cndmask_b32 v9, v9, v29, s5 :: v_dual_mul_f32 v10, v28, v10
	s_delay_alu instid0(VALU_DEP_1)
	v_cndmask_b32_e32 v9, v9, v24, vcc_lo
.LBB168_283:                            ;   in Loop: Header=BB168_145 Depth=1
	s_or_b32 exec_lo, exec_lo, s7
.LBB168_284:                            ;   in Loop: Header=BB168_145 Depth=1
	s_delay_alu instid0(SALU_CYCLE_1)
	s_or_b32 exec_lo, exec_lo, s6
.LBB168_285:                            ;   in Loop: Header=BB168_145 Depth=1
	s_and_not1_saveexec_b32 s6, s29
	s_cbranch_execz .LBB168_287
; %bb.286:                              ;   in Loop: Header=BB168_145 Depth=1
	v_div_scale_f32 v9, null, 0x402df854, 0x402df854, v24
	v_div_scale_f32 v10, null, 0x402df854, 0x402df854, v25
	v_div_scale_f32 v32, vcc_lo, v24, 0x402df854, v24
	s_delay_alu instid0(VALU_DEP_3) | instskip(NEXT) | instid1(VALU_DEP_2)
	v_rcp_f32_e32 v28, v9
	v_rcp_f32_e32 v29, v10
	v_cmp_class_f32_e64 s7, v25, 0x204
	s_delay_alu instid0(TRANS32_DEP_2) | instskip(NEXT) | instid1(TRANS32_DEP_1)
	v_fma_f32 v30, -v9, v28, 1.0
	v_fma_f32 v31, -v10, v29, 1.0
	s_delay_alu instid0(VALU_DEP_1) | instskip(SKIP_1) | instid1(VALU_DEP_1)
	v_dual_fmac_f32 v28, v30, v28 :: v_dual_fmac_f32 v29, v31, v29
	v_div_scale_f32 v30, s5, v25, 0x402df854, v25
	v_dual_mul_f32 v31, v32, v28 :: v_dual_mul_f32 v33, v30, v29
	s_delay_alu instid0(VALU_DEP_1) | instskip(NEXT) | instid1(VALU_DEP_1)
	v_dual_fma_f32 v37, -v9, v31, v32 :: v_dual_fma_f32 v38, -v10, v33, v30
	v_dual_fmac_f32 v31, v37, v28 :: v_dual_fmac_f32 v33, v38, v29
	s_delay_alu instid0(VALU_DEP_1) | instskip(NEXT) | instid1(VALU_DEP_1)
	v_dual_fma_f32 v9, -v9, v31, v32 :: v_dual_fma_f32 v10, -v10, v33, v30
	v_div_fmas_f32 v9, v9, v28, v31
	s_mov_b32 vcc_lo, s5
	v_max_num_f32_e64 v31, |v24|, |v24|
	s_delay_alu instid0(VALU_DEP_3) | instskip(SKIP_2) | instid1(VALU_DEP_3)
	v_div_fmas_f32 v10, v10, v29, v33
	v_cmp_class_f32_e64 s5, v24, 0x204
	v_div_fixup_f32 v9, v9, 0x402df854, v24
	v_div_fixup_f32 v10, v10, 0x402df854, v25
	s_delay_alu instid0(VALU_DEP_1) | instskip(NEXT) | instid1(VALU_DEP_1)
	v_max_num_f32_e64 v30, |v9|, |v10|
	v_cvt_f64_f32_e32 v[28:29], v30
	v_cmp_neq_f32_e32 vcc_lo, 0x7f800000, v30
	s_delay_alu instid0(VALU_DEP_2) | instskip(SKIP_1) | instid1(VALU_DEP_1)
	v_frexp_exp_i32_f64_e32 v28, v[28:29]
	v_max_num_f32_e64 v29, |v25|, |v25|
	v_dual_max_num_f32 v32, v31, v29 :: v_dual_min_num_f32 v29, v31, v29
	s_delay_alu instid0(VALU_DEP_1) | instskip(SKIP_1) | instid1(VALU_DEP_2)
	v_frexp_mant_f32_e32 v33, v32
	v_frexp_exp_i32_f32_e32 v31, v32
	v_rcp_f32_e32 v32, v33
	v_nop
	v_frexp_exp_i32_f32_e32 v33, v29
	v_frexp_mant_f32_e32 v29, v29
	s_delay_alu instid0(VALU_DEP_2)
	v_sub_nc_u32_e32 v31, v33, v31
	s_delay_alu instid0(TRANS32_DEP_1) | instid1(VALU_DEP_2)
	v_mul_f32_e32 v29, v29, v32
	v_sub_nc_u32_e32 v32, 0, v28
	s_delay_alu instid0(VALU_DEP_1) | instskip(SKIP_1) | instid1(VALU_DEP_2)
	v_ldexp_f32 v10, |v10|, v32
	v_ldexp_f32 v9, |v9|, v32
	v_mul_f32_e32 v10, v10, v10
	v_ldexp_f32 v29, v29, v31
	s_delay_alu instid0(VALU_DEP_2) | instskip(NEXT) | instid1(VALU_DEP_1)
	v_fmac_f32_e32 v10, v9, v9
	v_sqrt_f32_e32 v10, v10
	v_nop
	s_delay_alu instid0(TRANS32_DEP_1) | instskip(NEXT) | instid1(VALU_DEP_1)
	v_ldexp_f32 v10, v10, v28
	v_dual_mul_f32 v31, v29, v29 :: v_dual_cndmask_b32 v10, 0x7f800000, v10
	s_delay_alu instid0(VALU_DEP_1) | instskip(NEXT) | instid1(VALU_DEP_2)
	v_fmaak_f32 v32, s27, v31, 0xbc7a590c
	v_cmp_gt_f32_e32 vcc_lo, 0x800000, v10
	s_delay_alu instid0(VALU_DEP_2) | instskip(SKIP_1) | instid1(VALU_DEP_2)
	v_fmaak_f32 v9, v31, v32, 0x3d29fb3f
	v_cndmask_b32_e64 v28, 0, 32, vcc_lo
	v_fmaak_f32 v9, v31, v9, 0xbd97d4d7
	s_delay_alu instid0(VALU_DEP_2) | instskip(NEXT) | instid1(VALU_DEP_2)
	v_ldexp_f32 v10, v10, v28
	v_fmaak_f32 v9, v31, v9, 0x3dd931b2
	s_delay_alu instid0(VALU_DEP_2) | instskip(NEXT) | instid1(VALU_DEP_1)
	v_log_f32_e32 v10, v10
	v_fmaak_f32 v9, v31, v9, 0xbe1160e6
	s_delay_alu instid0(VALU_DEP_1) | instskip(NEXT) | instid1(VALU_DEP_1)
	v_fmaak_f32 v9, v31, v9, 0x3e4cb8bf
	v_fmaak_f32 v9, v31, v9, 0xbeaaaa62
	s_delay_alu instid0(TRANS32_DEP_1) | instid1(VALU_DEP_1)
	v_dual_mul_f32 v9, v31, v9 :: v_dual_mul_f32 v28, 0x3f317217, v10
	v_cndmask_b32_e64 v31, 0, 0x41b17218, vcc_lo
	v_cmp_gt_f32_e64 vcc_lo, 0x7f800000, |v10|
	s_delay_alu instid0(VALU_DEP_3) | instskip(NEXT) | instid1(VALU_DEP_4)
	v_fmac_f32_e32 v29, v29, v9
	v_fma_f32 v9, 0x3f317217, v10, -v28
	s_delay_alu instid0(VALU_DEP_1) | instskip(NEXT) | instid1(VALU_DEP_1)
	v_fmac_f32_e32 v9, 0x3377d1cf, v10
	v_fmac_f32_e32 v9, 0x3f317217, v10
	s_delay_alu instid0(VALU_DEP_1) | instskip(SKIP_2) | instid1(VALU_DEP_3)
	v_cndmask_b32_e32 v9, v10, v9, vcc_lo
	v_sub_f32_e32 v28, 0x3fc90fdb, v29
	v_cmp_eq_f32_e32 vcc_lo, 0, v25
	v_sub_f32_e32 v9, v9, v31
	s_delay_alu instid0(VALU_DEP_3) | instskip(SKIP_1) | instid1(VALU_DEP_2)
	v_cndmask_b32_e64 v28, v29, v28, s4
	v_cmp_gt_i32_e64 s4, 0, v24
	v_sub_f32_e32 v30, 0x40490fdb, v28
	s_delay_alu instid0(VALU_DEP_2) | instskip(SKIP_1) | instid1(VALU_DEP_1)
	v_cndmask_b32_e64 v29, 0, 0x40490fdb, s4
	v_cmp_gt_f32_e64 s4, 0, v24
	v_cndmask_b32_e64 v10, v28, v30, s4
	v_cndmask_b32_e64 v24, 0x3f490fdb, v34, s4
	s_delay_alu instid0(VALU_DEP_2) | instskip(SKIP_1) | instid1(VALU_DEP_1)
	v_cndmask_b32_e32 v28, v10, v29, vcc_lo
	s_and_b32 vcc_lo, s7, s5
	v_dual_add_f32 v10, 1.0, v9 :: v_dual_cndmask_b32 v9, v28, v24
.LBB168_287:                            ;   in Loop: Header=BB168_145 Depth=1
	s_or_b32 exec_lo, exec_lo, s6
	s_and_not1_saveexec_b32 s4, s28
	s_cbranch_execz .LBB168_257
.LBB168_288:                            ;   in Loop: Header=BB168_145 Depth=1
	v_cmp_ngt_f32_e64 s5, 0x20000000, |v24|
	v_cmp_ngt_f32_e64 s6, 0x20000000, |v25|
                                        ; implicit-def: $vgpr9
	s_or_b32 s5, s6, s5
	s_delay_alu instid0(SALU_CYCLE_1) | instskip(NEXT) | instid1(SALU_CYCLE_1)
	s_and_saveexec_b32 s6, s5
	s_xor_b32 s5, exec_lo, s6
; %bb.289:                              ;   in Loop: Header=BB168_145 Depth=1
	v_pk_mul_f32 v[28:29], v[24:25], v[24:25]
	s_delay_alu instid0(VALU_DEP_1)
	v_add_f32_e32 v9, v29, v28
; %bb.290:                              ;   in Loop: Header=BB168_145 Depth=1
	s_and_not1_saveexec_b32 s5, s5
; %bb.291:                              ;   in Loop: Header=BB168_145 Depth=1
	v_pk_mul_f32 v[28:29], v[24:25], 4.0 op_sel_hi:[1,0]
	s_delay_alu instid0(VALU_DEP_1) | instskip(NEXT) | instid1(VALU_DEP_1)
	v_pk_mul_f32 v[28:29], v[28:29], v[28:29]
	v_add_f32_e32 v9, v29, v28
	s_delay_alu instid0(VALU_DEP_1)
	v_mul_f32_e32 v9, 0x3d800000, v9
; %bb.292:                              ;   in Loop: Header=BB168_145 Depth=1
	s_or_b32 exec_lo, exec_lo, s5
	s_delay_alu instid0(VALU_DEP_1) | instskip(SKIP_2) | instid1(VALU_DEP_2)
	v_cmp_gt_f32_e32 vcc_lo, 0x800000, v9
	v_cndmask_b32_e64 v10, 0, 32, vcc_lo
	v_cndmask_b32_e64 v24, 0, 0x41b17218, vcc_lo
	v_ldexp_f32 v9, v9, v10
	s_delay_alu instid0(VALU_DEP_1) | instskip(SKIP_1) | instid1(TRANS32_DEP_1)
	v_log_f32_e32 v9, v9
	v_nop
	v_mul_f32_e32 v10, 0x3f317217, v9
	v_cmp_gt_f32_e64 vcc_lo, 0x7f800000, |v9|
	s_delay_alu instid0(VALU_DEP_2) | instskip(NEXT) | instid1(VALU_DEP_1)
	v_fma_f32 v10, 0x3f317217, v9, -v10
	v_fmac_f32_e32 v10, 0x3377d1cf, v9
	s_delay_alu instid0(VALU_DEP_1) | instskip(NEXT) | instid1(VALU_DEP_1)
	v_fmac_f32_e32 v10, 0x3f317217, v9
	v_cndmask_b32_e32 v9, v9, v10, vcc_lo
	s_delay_alu instid0(VALU_DEP_1) | instskip(SKIP_2) | instid1(SALU_CYCLE_1)
	v_dual_sub_f32 v10, v9, v24 :: v_dual_mov_b32 v9, 0x7fc00000
	s_or_b32 exec_lo, exec_lo, s4
	s_and_saveexec_b32 s4, s0
	s_xor_b32 s0, exec_lo, s4
	s_cbranch_execz .LBB168_258
.LBB168_293:                            ;   in Loop: Header=BB168_145 Depth=1
	v_bfi_b32 v27, 0x7fffffff, v27, v15
	v_lshl_add_u64 v[12:13], v[12:13], 3, s[14:15]
	global_store_b64 v[12:13], v[26:27], off
	s_wait_xcnt 0x0
	s_or_b32 exec_lo, exec_lo, s0
	s_and_saveexec_b32 s0, s1
	s_cbranch_execz .LBB168_259
.LBB168_294:                            ;   in Loop: Header=BB168_145 Depth=1
	v_bfi_b32 v15, 0x7fffffff, v35, v19
	v_lshl_add_u64 v[12:13], v[16:17], 3, s[14:15]
	global_store_b64 v[12:13], v[14:15], off
	s_wait_xcnt 0x0
	s_or_b32 exec_lo, exec_lo, s0
	s_and_saveexec_b32 s0, s2
	s_cbranch_execz .LBB168_260
.LBB168_295:                            ;   in Loop: Header=BB168_145 Depth=1
	v_bfi_b32 v19, 0x7fffffff, v36, v11
	v_lshl_add_u64 v[12:13], v[20:21], 3, s[14:15]
	global_store_b64 v[12:13], v[18:19], off
	s_wait_xcnt 0x0
	s_or_b32 exec_lo, exec_lo, s0
	s_and_saveexec_b32 s0, s3
	s_cbranch_execz .LBB168_144
.LBB168_296:                            ;   in Loop: Header=BB168_145 Depth=1
	v_bfi_b32 v11, 0x7fffffff, v9, v25
	v_lshl_add_u64 v[12:13], v[22:23], 3, s[14:15]
	global_store_b64 v[12:13], v[10:11], off
	s_branch .LBB168_144
.LBB168_297:
	s_endpgm
	.section	.rodata,"a",@progbits
	.p2align	6, 0x0
	.amdhsa_kernel _ZN2at6native12_GLOBAL__N_125multi_tensor_apply_kernelINS1_18TensorListMetadataILi2EEENS1_14UnaryOpFunctorIN3c107complexIfEELi2ELi1ELi1EEEJNS0_3LogIS8_EEEEEvT_T0_DpT1_
		.amdhsa_group_segment_fixed_size 0
		.amdhsa_private_segment_fixed_size 0
		.amdhsa_kernarg_size 3408
		.amdhsa_user_sgpr_count 2
		.amdhsa_user_sgpr_dispatch_ptr 0
		.amdhsa_user_sgpr_queue_ptr 0
		.amdhsa_user_sgpr_kernarg_segment_ptr 1
		.amdhsa_user_sgpr_dispatch_id 0
		.amdhsa_user_sgpr_kernarg_preload_length 0
		.amdhsa_user_sgpr_kernarg_preload_offset 0
		.amdhsa_user_sgpr_private_segment_size 0
		.amdhsa_wavefront_size32 1
		.amdhsa_uses_dynamic_stack 0
		.amdhsa_enable_private_segment 0
		.amdhsa_system_sgpr_workgroup_id_x 1
		.amdhsa_system_sgpr_workgroup_id_y 0
		.amdhsa_system_sgpr_workgroup_id_z 0
		.amdhsa_system_sgpr_workgroup_info 0
		.amdhsa_system_vgpr_workitem_id 0
		.amdhsa_next_free_vgpr 51
		.amdhsa_next_free_sgpr 37
		.amdhsa_named_barrier_count 0
		.amdhsa_reserve_vcc 1
		.amdhsa_float_round_mode_32 0
		.amdhsa_float_round_mode_16_64 0
		.amdhsa_float_denorm_mode_32 3
		.amdhsa_float_denorm_mode_16_64 3
		.amdhsa_fp16_overflow 0
		.amdhsa_memory_ordered 1
		.amdhsa_forward_progress 1
		.amdhsa_inst_pref_size 255
		.amdhsa_round_robin_scheduling 0
		.amdhsa_exception_fp_ieee_invalid_op 0
		.amdhsa_exception_fp_denorm_src 0
		.amdhsa_exception_fp_ieee_div_zero 0
		.amdhsa_exception_fp_ieee_overflow 0
		.amdhsa_exception_fp_ieee_underflow 0
		.amdhsa_exception_fp_ieee_inexact 0
		.amdhsa_exception_int_div_zero 0
	.end_amdhsa_kernel
	.section	.text._ZN2at6native12_GLOBAL__N_125multi_tensor_apply_kernelINS1_18TensorListMetadataILi2EEENS1_14UnaryOpFunctorIN3c107complexIfEELi2ELi1ELi1EEEJNS0_3LogIS8_EEEEEvT_T0_DpT1_,"axG",@progbits,_ZN2at6native12_GLOBAL__N_125multi_tensor_apply_kernelINS1_18TensorListMetadataILi2EEENS1_14UnaryOpFunctorIN3c107complexIfEELi2ELi1ELi1EEEJNS0_3LogIS8_EEEEEvT_T0_DpT1_,comdat
.Lfunc_end168:
	.size	_ZN2at6native12_GLOBAL__N_125multi_tensor_apply_kernelINS1_18TensorListMetadataILi2EEENS1_14UnaryOpFunctorIN3c107complexIfEELi2ELi1ELi1EEEJNS0_3LogIS8_EEEEEvT_T0_DpT1_, .Lfunc_end168-_ZN2at6native12_GLOBAL__N_125multi_tensor_apply_kernelINS1_18TensorListMetadataILi2EEENS1_14UnaryOpFunctorIN3c107complexIfEELi2ELi1ELi1EEEJNS0_3LogIS8_EEEEEvT_T0_DpT1_
                                        ; -- End function
	.set _ZN2at6native12_GLOBAL__N_125multi_tensor_apply_kernelINS1_18TensorListMetadataILi2EEENS1_14UnaryOpFunctorIN3c107complexIfEELi2ELi1ELi1EEEJNS0_3LogIS8_EEEEEvT_T0_DpT1_.num_vgpr, 51
	.set _ZN2at6native12_GLOBAL__N_125multi_tensor_apply_kernelINS1_18TensorListMetadataILi2EEENS1_14UnaryOpFunctorIN3c107complexIfEELi2ELi1ELi1EEEJNS0_3LogIS8_EEEEEvT_T0_DpT1_.num_agpr, 0
	.set _ZN2at6native12_GLOBAL__N_125multi_tensor_apply_kernelINS1_18TensorListMetadataILi2EEENS1_14UnaryOpFunctorIN3c107complexIfEELi2ELi1ELi1EEEJNS0_3LogIS8_EEEEEvT_T0_DpT1_.numbered_sgpr, 37
	.set _ZN2at6native12_GLOBAL__N_125multi_tensor_apply_kernelINS1_18TensorListMetadataILi2EEENS1_14UnaryOpFunctorIN3c107complexIfEELi2ELi1ELi1EEEJNS0_3LogIS8_EEEEEvT_T0_DpT1_.num_named_barrier, 0
	.set _ZN2at6native12_GLOBAL__N_125multi_tensor_apply_kernelINS1_18TensorListMetadataILi2EEENS1_14UnaryOpFunctorIN3c107complexIfEELi2ELi1ELi1EEEJNS0_3LogIS8_EEEEEvT_T0_DpT1_.private_seg_size, 0
	.set _ZN2at6native12_GLOBAL__N_125multi_tensor_apply_kernelINS1_18TensorListMetadataILi2EEENS1_14UnaryOpFunctorIN3c107complexIfEELi2ELi1ELi1EEEJNS0_3LogIS8_EEEEEvT_T0_DpT1_.uses_vcc, 1
	.set _ZN2at6native12_GLOBAL__N_125multi_tensor_apply_kernelINS1_18TensorListMetadataILi2EEENS1_14UnaryOpFunctorIN3c107complexIfEELi2ELi1ELi1EEEJNS0_3LogIS8_EEEEEvT_T0_DpT1_.uses_flat_scratch, 0
	.set _ZN2at6native12_GLOBAL__N_125multi_tensor_apply_kernelINS1_18TensorListMetadataILi2EEENS1_14UnaryOpFunctorIN3c107complexIfEELi2ELi1ELi1EEEJNS0_3LogIS8_EEEEEvT_T0_DpT1_.has_dyn_sized_stack, 0
	.set _ZN2at6native12_GLOBAL__N_125multi_tensor_apply_kernelINS1_18TensorListMetadataILi2EEENS1_14UnaryOpFunctorIN3c107complexIfEELi2ELi1ELi1EEEJNS0_3LogIS8_EEEEEvT_T0_DpT1_.has_recursion, 0
	.set _ZN2at6native12_GLOBAL__N_125multi_tensor_apply_kernelINS1_18TensorListMetadataILi2EEENS1_14UnaryOpFunctorIN3c107complexIfEELi2ELi1ELi1EEEJNS0_3LogIS8_EEEEEvT_T0_DpT1_.has_indirect_call, 0
	.section	.AMDGPU.csdata,"",@progbits
; Kernel info:
; codeLenInByte = 51588
; TotalNumSgprs: 39
; NumVgprs: 51
; ScratchSize: 0
; MemoryBound: 1
; FloatMode: 240
; IeeeMode: 1
; LDSByteSize: 0 bytes/workgroup (compile time only)
; SGPRBlocks: 0
; VGPRBlocks: 3
; NumSGPRsForWavesPerEU: 39
; NumVGPRsForWavesPerEU: 51
; NamedBarCnt: 0
; Occupancy: 16
; WaveLimiterHint : 0
; COMPUTE_PGM_RSRC2:SCRATCH_EN: 0
; COMPUTE_PGM_RSRC2:USER_SGPR: 2
; COMPUTE_PGM_RSRC2:TRAP_HANDLER: 0
; COMPUTE_PGM_RSRC2:TGID_X_EN: 1
; COMPUTE_PGM_RSRC2:TGID_Y_EN: 0
; COMPUTE_PGM_RSRC2:TGID_Z_EN: 0
; COMPUTE_PGM_RSRC2:TIDIG_COMP_CNT: 0
	.section	.text._ZN2at6native12_GLOBAL__N_125multi_tensor_apply_kernelINS1_18TensorListMetadataILi2EEENS1_14UnaryOpFunctorIN3c104HalfELi2ELi1ELi1EEEJNS0_3LogIfEEEEEvT_T0_DpT1_,"axG",@progbits,_ZN2at6native12_GLOBAL__N_125multi_tensor_apply_kernelINS1_18TensorListMetadataILi2EEENS1_14UnaryOpFunctorIN3c104HalfELi2ELi1ELi1EEEJNS0_3LogIfEEEEEvT_T0_DpT1_,comdat
	.globl	_ZN2at6native12_GLOBAL__N_125multi_tensor_apply_kernelINS1_18TensorListMetadataILi2EEENS1_14UnaryOpFunctorIN3c104HalfELi2ELi1ELi1EEEJNS0_3LogIfEEEEEvT_T0_DpT1_ ; -- Begin function _ZN2at6native12_GLOBAL__N_125multi_tensor_apply_kernelINS1_18TensorListMetadataILi2EEENS1_14UnaryOpFunctorIN3c104HalfELi2ELi1ELi1EEEJNS0_3LogIfEEEEEvT_T0_DpT1_
	.p2align	8
	.type	_ZN2at6native12_GLOBAL__N_125multi_tensor_apply_kernelINS1_18TensorListMetadataILi2EEENS1_14UnaryOpFunctorIN3c104HalfELi2ELi1ELi1EEEJNS0_3LogIfEEEEEvT_T0_DpT1_,@function
_ZN2at6native12_GLOBAL__N_125multi_tensor_apply_kernelINS1_18TensorListMetadataILi2EEENS1_14UnaryOpFunctorIN3c104HalfELi2ELi1ELi1EEEJNS0_3LogIfEEEEEvT_T0_DpT1_: ; @_ZN2at6native12_GLOBAL__N_125multi_tensor_apply_kernelINS1_18TensorListMetadataILi2EEENS1_14UnaryOpFunctorIN3c104HalfELi2ELi1ELi1EEEJNS0_3LogIfEEEEEvT_T0_DpT1_
; %bb.0:
	s_bfe_u32 s2, ttmp6, 0x4000c
	s_and_b32 s3, ttmp6, 15
	s_add_co_i32 s2, s2, 1
	s_getreg_b32 s4, hwreg(HW_REG_IB_STS2, 6, 4)
	s_mul_i32 s2, ttmp9, s2
	s_delay_alu instid0(SALU_CYCLE_1)
	s_add_co_i32 s3, s3, s2
	s_cmp_eq_u32 s4, 0
	s_cselect_b32 s2, ttmp9, s3
	s_mov_b32 s3, 0
	s_load_u8 s14, s[0:1], s2 offset:0x600
	s_add_nc_u64 s[4:5], s[0:1], s[2:3]
	s_mul_u64 s[6:7], s[2:3], 3
	s_mov_b32 s15, s3
	s_add_nc_u64 s[4:5], s[4:5], s[6:7]
	s_load_b32 s6, s[4:5], 0x740
	s_wait_kmcnt 0x0
	s_clause 0x2
	s_load_b64 s[8:9], s[0:1], s14 offset:0x0 scale_offset
	s_load_b64 s[10:11], s[0:1], s14 offset:0x200 scale_offset
	;; [unrolled: 1-line block ×3, first 2 shown]
	s_ashr_i32 s7, s6, 31
	s_delay_alu instid0(SALU_CYCLE_1)
	s_lshl_b64 s[4:5], s[6:7], 17
	s_wait_kmcnt 0x0
	s_and_b64 s[18:19], s[10:11], 7
	s_add_nc_u64 s[16:17], s[8:9], s[4:5]
	s_and_b32 s14, s12, 3
	s_and_b32 s2, s16, 7
	s_or_b64 s[14:15], s[18:19], s[14:15]
	s_lshl_b64 s[6:7], s[6:7], 16
	s_or_b64 s[2:3], s[14:15], s[2:3]
	s_sub_nc_u64 s[6:7], s[12:13], s[6:7]
	s_cmp_eq_u64 s[2:3], 0
	s_mov_b32 s2, -1
	s_cbranch_scc0 .LBB169_5
; %bb.1:
	v_min_i64 v[2:3], 0x10000, s[6:7]
	v_dual_mov_b32 v5, 0 :: v_dual_lshlrev_b32 v4, 2, v0
	s_mov_b32 s3, exec_lo
	s_delay_alu instid0(VALU_DEP_1)
	v_cmpx_lt_i64_e64 v[4:5], v[2:3]
	s_cbranch_execz .LBB169_4
; %bb.2:
	s_load_b32 s2, s[0:1], 0xc5c
	v_dual_mov_b32 v1, v5 :: v_dual_lshlrev_b32 v4, 3, v0
	s_mov_b32 s13, 0
	s_delay_alu instid0(SALU_CYCLE_1) | instskip(NEXT) | instid1(VALU_DEP_1)
	s_mov_b32 s15, s13
	v_add_nc_u64_e32 v[4:5], s[4:5], v[4:5]
	s_delay_alu instid0(VALU_DEP_2) | instskip(SKIP_3) | instid1(SALU_CYCLE_1)
	v_mov_b64_e32 v[6:7], v[0:1]
	s_mov_b32 s16, s13
	s_wait_kmcnt 0x0
	s_and_b32 s12, s2, 0xffff
	s_lshl_b32 s14, s12, 3
.LBB169_3:                              ; =>This Inner Loop Header: Depth=1
	s_delay_alu instid0(VALU_DEP_2) | instskip(NEXT) | instid1(VALU_DEP_2)
	v_add_nc_u64_e32 v[8:9], s[8:9], v[4:5]
	v_add_nc_u64_e32 v[6:7], s[12:13], v[6:7]
	global_load_b64 v[8:9], v[8:9], off
	v_lshlrev_b64_e32 v[10:11], 2, v[6:7]
	s_wait_loadcnt 0x0
	v_cvt_f32_f16_e32 v1, v8
	s_wait_xcnt 0x0
	v_dual_lshrrev_b32 v8, 16, v8 :: v_dual_lshrrev_b32 v12, 16, v9
	v_cvt_f32_f16_e32 v9, v9
	s_delay_alu instid0(VALU_DEP_3) | instskip(NEXT) | instid1(VALU_DEP_2)
	v_log_f32_e32 v1, v1
	v_cvt_f32_f16_e32 v8, v8
	s_delay_alu instid0(VALU_DEP_3) | instskip(NEXT) | instid1(VALU_DEP_3)
	v_cvt_f32_f16_e32 v12, v12
	v_log_f32_e32 v9, v9
	s_delay_alu instid0(VALU_DEP_2) | instskip(NEXT) | instid1(VALU_DEP_1)
	v_log_f32_e32 v8, v8
	v_log_f32_e32 v12, v12
	v_mul_f32_e32 v13, 0x3f317217, v1
	v_cmp_gt_f32_e64 s2, 0x7f800000, |v1|
	s_delay_alu instid0(TRANS32_DEP_3) | instskip(SKIP_1) | instid1(TRANS32_DEP_2)
	v_mul_f32_e32 v14, 0x3f317217, v9
	v_cmp_gt_f32_e64 vcc_lo, 0x7f800000, |v9|
	v_mul_f32_e32 v15, 0x3f317217, v8
	s_delay_alu instid0(TRANS32_DEP_1) | instskip(SKIP_2) | instid1(VALU_DEP_4)
	v_mul_f32_e32 v16, 0x3f317217, v12
	v_fma_f32 v13, 0x3f317217, v1, -v13
	v_fma_f32 v14, 0x3f317217, v9, -v14
	;; [unrolled: 1-line block ×3, first 2 shown]
	s_delay_alu instid0(VALU_DEP_4) | instskip(NEXT) | instid1(VALU_DEP_4)
	v_fma_f32 v16, 0x3f317217, v12, -v16
	v_fmac_f32_e32 v13, 0x3377d1cf, v1
	s_delay_alu instid0(VALU_DEP_3) | instskip(NEXT) | instid1(VALU_DEP_3)
	v_dual_fmac_f32 v14, 0x3377d1cf, v9 :: v_dual_fmac_f32 v15, 0x3377d1cf, v8
	v_fmac_f32_e32 v16, 0x3377d1cf, v12
	s_delay_alu instid0(VALU_DEP_3) | instskip(NEXT) | instid1(VALU_DEP_3)
	v_fmac_f32_e32 v13, 0x3f317217, v1
	v_dual_fmac_f32 v14, 0x3f317217, v9 :: v_dual_fmac_f32 v15, 0x3f317217, v8
	s_delay_alu instid0(VALU_DEP_3) | instskip(NEXT) | instid1(VALU_DEP_3)
	v_fmac_f32_e32 v16, 0x3f317217, v12
	v_cndmask_b32_e64 v1, v1, v13, s2
	v_cmp_gt_f32_e64 s2, 0x7f800000, |v8|
	s_delay_alu instid0(VALU_DEP_4) | instskip(SKIP_1) | instid1(VALU_DEP_3)
	v_cndmask_b32_e32 v13, v9, v14, vcc_lo
	v_cmp_gt_f32_e64 vcc_lo, 0x7f800000, |v12|
	v_cndmask_b32_e64 v14, v8, v15, s2
	v_add_nc_u64_e32 v[8:9], s[10:11], v[4:5]
	v_cndmask_b32_e32 v12, v12, v16, vcc_lo
	v_cmp_ge_i64_e32 vcc_lo, v[10:11], v[2:3]
	v_add_nc_u64_e32 v[4:5], s[14:15], v[4:5]
	v_cvt_pk_f16_f32 v10, v1, v14
	s_delay_alu instid0(VALU_DEP_4)
	v_cvt_pk_f16_f32 v11, v13, v12
	s_or_b32 s16, vcc_lo, s16
	global_store_b64 v[8:9], v[10:11], off
	s_wait_xcnt 0x0
	s_and_not1_b32 exec_lo, exec_lo, s16
	s_cbranch_execnz .LBB169_3
.LBB169_4:
	s_or_b32 exec_lo, exec_lo, s3
	s_mov_b32 s2, 0
.LBB169_5:
	s_delay_alu instid0(SALU_CYCLE_1)
	s_and_not1_b32 vcc_lo, exec_lo, s2
	s_cbranch_vccnz .LBB169_25
; %bb.6:
	v_cmp_lt_i64_e64 s2, s[6:7], 1
	s_and_b32 vcc_lo, exec_lo, s2
	s_cbranch_vccnz .LBB169_25
; %bb.7:
	s_load_b32 s0, s[0:1], 0xc5c
	v_min_i64 v[2:3], 0x10000, s[6:7]
	v_min_u64 v[4:5], 0x10000, s[6:7]
	v_dual_mov_b32 v1, 0 :: v_dual_lshlrev_b32 v10, 1, v0
	s_wait_xcnt 0x0
	s_mov_b32 s1, 0
	s_delay_alu instid0(SALU_CYCLE_1) | instskip(NEXT) | instid1(VALU_DEP_1)
	s_mov_b32 s7, s1
	v_dual_mov_b32 v11, v1 :: v_dual_mov_b32 v27, v1
	s_mov_b32 s3, s1
	s_mov_b32 s13, s1
	s_delay_alu instid0(VALU_DEP_1) | instskip(SKIP_2) | instid1(SALU_CYCLE_1)
	v_add_nc_u64_e32 v[6:7], s[8:9], v[10:11]
	s_wait_kmcnt 0x0
	s_and_b32 s0, s0, 0xffff
	v_add_nc_u64_e32 v[8:9], s[0:1], v[0:1]
	v_mad_nc_u64_u32 v[22:23], s0, 6, v[10:11]
	s_lshl_b32 s6, s0, 2
	s_mul_i32 s12, s0, 3
	v_add_nc_u64_e32 v[18:19], s[6:7], v[10:11]
	s_lshl_b32 s2, s0, 1
	v_add_nc_u64_e32 v[10:11], s[10:11], v[10:11]
	v_lshlrev_b32_e32 v26, 1, v8
	v_add_nc_u64_e32 v[12:13], s[12:13], v[0:1]
	v_add_nc_u64_e32 v[14:15], s[2:3], v[0:1]
	;; [unrolled: 1-line block ×8, first 2 shown]
	s_lshl_b32 s8, s0, 3
	s_mov_b32 s9, s1
	s_mov_b64 s[10:11], 0
	s_branch .LBB169_9
.LBB169_8:                              ;   in Loop: Header=BB169_9 Depth=1
	s_wait_xcnt 0x0
	s_or_b32 exec_lo, exec_lo, s1
	s_add_nc_u64 s[10:11], s[10:11], s[6:7]
	v_add_nc_u64_e32 v[6:7], s[8:9], v[6:7]
	v_cmp_ge_i64_e32 vcc_lo, s[10:11], v[2:3]
	v_add_nc_u64_e32 v[10:11], s[8:9], v[10:11]
	v_add_nc_u64_e32 v[20:21], s[8:9], v[20:21]
	;; [unrolled: 1-line block ×7, first 2 shown]
	s_cbranch_vccnz .LBB169_25
.LBB169_9:                              ; =>This Inner Loop Header: Depth=1
	v_add_nc_u64_e32 v[28:29], s[10:11], v[0:1]
	v_mov_b32_e32 v31, 0
	s_delay_alu instid0(VALU_DEP_2)
	v_cmp_lt_u64_e64 s2, v[28:29], v[4:5]
	s_and_saveexec_b32 s0, s2
	s_cbranch_execz .LBB169_11
; %bb.10:                               ;   in Loop: Header=BB169_9 Depth=1
	v_add_nc_u64_e32 v[28:29], s[4:5], v[6:7]
	global_load_u16 v28, v[28:29], off
	s_wait_loadcnt 0x0
	v_cvt_f32_f16_e32 v31, v28
.LBB169_11:                             ;   in Loop: Header=BB169_9 Depth=1
	s_wait_xcnt 0x0
	s_or_b32 exec_lo, exec_lo, s0
	v_add_nc_u64_e32 v[28:29], s[10:11], v[8:9]
	v_mov_b32_e32 v30, 0
	s_delay_alu instid0(VALU_DEP_2)
	v_cmp_lt_u64_e64 s1, v[28:29], v[4:5]
	v_mov_b32_e32 v28, 0
	s_and_saveexec_b32 s0, s1
	s_cbranch_execz .LBB169_13
; %bb.12:                               ;   in Loop: Header=BB169_9 Depth=1
	v_add_nc_u64_e32 v[32:33], s[4:5], v[24:25]
	global_load_u16 v29, v[32:33], off
	s_wait_loadcnt 0x0
	v_cvt_f32_f16_e32 v30, v29
.LBB169_13:                             ;   in Loop: Header=BB169_9 Depth=1
	s_wait_xcnt 0x0
	s_or_b32 exec_lo, exec_lo, s0
	v_add_nc_u64_e32 v[32:33], s[10:11], v[14:15]
	s_delay_alu instid0(VALU_DEP_1)
	v_cmp_lt_u64_e64 s0, v[32:33], v[4:5]
	s_and_saveexec_b32 s3, s0
	s_cbranch_execz .LBB169_15
; %bb.14:                               ;   in Loop: Header=BB169_9 Depth=1
	v_add_nc_u64_e32 v[28:29], s[4:5], v[16:17]
	global_load_u16 v28, v[28:29], off
	s_wait_loadcnt 0x0
	v_cvt_f32_f16_e32 v28, v28
.LBB169_15:                             ;   in Loop: Header=BB169_9 Depth=1
	s_or_b32 exec_lo, exec_lo, s3
	v_add_nc_u64_e32 v[32:33], s[10:11], v[12:13]
	v_mov_b32_e32 v29, 0
	s_delay_alu instid0(VALU_DEP_2)
	v_cmp_lt_u64_e32 vcc_lo, v[32:33], v[4:5]
	s_and_saveexec_b32 s3, vcc_lo
	s_cbranch_execnz .LBB169_20
; %bb.16:                               ;   in Loop: Header=BB169_9 Depth=1
	s_or_b32 exec_lo, exec_lo, s3
	s_and_saveexec_b32 s12, s2
	s_cbranch_execnz .LBB169_21
.LBB169_17:                             ;   in Loop: Header=BB169_9 Depth=1
	s_or_b32 exec_lo, exec_lo, s12
	s_and_saveexec_b32 s3, s1
	s_cbranch_execnz .LBB169_22
.LBB169_18:                             ;   in Loop: Header=BB169_9 Depth=1
	s_or_b32 exec_lo, exec_lo, s3
	s_and_saveexec_b32 s2, s0
	s_cbranch_execnz .LBB169_23
.LBB169_19:                             ;   in Loop: Header=BB169_9 Depth=1
	s_or_b32 exec_lo, exec_lo, s2
	s_and_saveexec_b32 s1, vcc_lo
	s_cbranch_execz .LBB169_8
	s_branch .LBB169_24
.LBB169_20:                             ;   in Loop: Header=BB169_9 Depth=1
	v_add_nc_u64_e32 v[32:33], s[4:5], v[20:21]
	global_load_u16 v29, v[32:33], off
	s_wait_loadcnt 0x0
	v_cvt_f32_f16_e32 v29, v29
	s_wait_xcnt 0x0
	s_or_b32 exec_lo, exec_lo, s3
	s_and_saveexec_b32 s12, s2
	s_cbranch_execz .LBB169_17
.LBB169_21:                             ;   in Loop: Header=BB169_9 Depth=1
	v_cmp_gt_f32_e64 s2, 0x800000, v31
	s_delay_alu instid0(VALU_DEP_1) | instskip(NEXT) | instid1(VALU_DEP_1)
	v_cndmask_b32_e64 v32, 0, 32, s2
	v_ldexp_f32 v31, v31, v32
	s_delay_alu instid0(VALU_DEP_1) | instskip(SKIP_1) | instid1(TRANS32_DEP_1)
	v_log_f32_e32 v31, v31
	v_nop
	v_mul_f32_e32 v32, 0x3f317217, v31
	v_cmp_gt_f32_e64 s3, 0x7f800000, |v31|
	s_delay_alu instid0(VALU_DEP_2) | instskip(NEXT) | instid1(VALU_DEP_1)
	v_fma_f32 v32, 0x3f317217, v31, -v32
	v_fmac_f32_e32 v32, 0x3377d1cf, v31
	s_delay_alu instid0(VALU_DEP_1) | instskip(NEXT) | instid1(VALU_DEP_1)
	v_fmac_f32_e32 v32, 0x3f317217, v31
	v_cndmask_b32_e64 v31, v31, v32, s3
	v_cndmask_b32_e64 v32, 0, 0x41b17218, s2
	s_delay_alu instid0(VALU_DEP_1) | instskip(SKIP_1) | instid1(VALU_DEP_2)
	v_sub_f32_e32 v31, v31, v32
	v_add_nc_u64_e32 v[32:33], s[4:5], v[10:11]
	v_cvt_f16_f32_e32 v31, v31
	global_store_b16 v[32:33], v31, off
	s_wait_xcnt 0x0
	s_or_b32 exec_lo, exec_lo, s12
	s_and_saveexec_b32 s3, s1
	s_cbranch_execz .LBB169_18
.LBB169_22:                             ;   in Loop: Header=BB169_9 Depth=1
	v_cmp_gt_f32_e64 s1, 0x800000, v30
	s_delay_alu instid0(VALU_DEP_1) | instskip(NEXT) | instid1(VALU_DEP_1)
	v_cndmask_b32_e64 v31, 0, 32, s1
	v_ldexp_f32 v30, v30, v31
	s_delay_alu instid0(VALU_DEP_1) | instskip(SKIP_1) | instid1(TRANS32_DEP_1)
	v_log_f32_e32 v30, v30
	v_nop
	v_mul_f32_e32 v31, 0x3f317217, v30
	v_cmp_gt_f32_e64 s2, 0x7f800000, |v30|
	s_delay_alu instid0(VALU_DEP_2) | instskip(NEXT) | instid1(VALU_DEP_1)
	v_fma_f32 v31, 0x3f317217, v30, -v31
	v_fmac_f32_e32 v31, 0x3377d1cf, v30
	s_delay_alu instid0(VALU_DEP_1) | instskip(NEXT) | instid1(VALU_DEP_1)
	v_fmac_f32_e32 v31, 0x3f317217, v30
	v_cndmask_b32_e64 v30, v30, v31, s2
	v_cndmask_b32_e64 v31, 0, 0x41b17218, s1
	s_delay_alu instid0(VALU_DEP_1) | instskip(SKIP_1) | instid1(VALU_DEP_2)
	v_sub_f32_e32 v32, v30, v31
	v_add_nc_u64_e32 v[30:31], s[4:5], v[26:27]
	v_cvt_f16_f32_e32 v32, v32
	global_store_b16 v[30:31], v32, off
	s_wait_xcnt 0x0
	s_or_b32 exec_lo, exec_lo, s3
	s_and_saveexec_b32 s2, s0
	s_cbranch_execz .LBB169_19
.LBB169_23:                             ;   in Loop: Header=BB169_9 Depth=1
	v_cmp_gt_f32_e64 s0, 0x800000, v28
	s_delay_alu instid0(VALU_DEP_1) | instskip(NEXT) | instid1(VALU_DEP_1)
	v_cndmask_b32_e64 v30, 0, 32, s0
	v_ldexp_f32 v28, v28, v30
	s_delay_alu instid0(VALU_DEP_1) | instskip(SKIP_1) | instid1(TRANS32_DEP_1)
	v_log_f32_e32 v28, v28
	v_nop
	v_mul_f32_e32 v30, 0x3f317217, v28
	v_cmp_gt_f32_e64 s1, 0x7f800000, |v28|
	s_delay_alu instid0(VALU_DEP_2) | instskip(NEXT) | instid1(VALU_DEP_1)
	v_fma_f32 v30, 0x3f317217, v28, -v30
	v_fmac_f32_e32 v30, 0x3377d1cf, v28
	s_delay_alu instid0(VALU_DEP_1) | instskip(NEXT) | instid1(VALU_DEP_1)
	v_fmac_f32_e32 v30, 0x3f317217, v28
	v_cndmask_b32_e64 v28, v28, v30, s1
	v_cndmask_b32_e64 v30, 0, 0x41b17218, s0
	s_delay_alu instid0(VALU_DEP_1) | instskip(SKIP_1) | instid1(VALU_DEP_2)
	v_sub_f32_e32 v28, v28, v30
	v_add_nc_u64_e32 v[30:31], s[4:5], v[18:19]
	v_cvt_f16_f32_e32 v28, v28
	global_store_b16 v[30:31], v28, off
	s_wait_xcnt 0x0
	s_or_b32 exec_lo, exec_lo, s2
	s_and_saveexec_b32 s1, vcc_lo
	s_cbranch_execz .LBB169_8
.LBB169_24:                             ;   in Loop: Header=BB169_9 Depth=1
	v_cmp_gt_f32_e32 vcc_lo, 0x800000, v29
	v_cndmask_b32_e64 v28, 0, 32, vcc_lo
	s_delay_alu instid0(VALU_DEP_1) | instskip(NEXT) | instid1(VALU_DEP_1)
	v_ldexp_f32 v28, v29, v28
	v_log_f32_e32 v28, v28
	v_nop
	s_delay_alu instid0(TRANS32_DEP_1) | instskip(SKIP_1) | instid1(VALU_DEP_2)
	v_mul_f32_e32 v29, 0x3f317217, v28
	v_cmp_gt_f32_e64 s0, 0x7f800000, |v28|
	v_fma_f32 v29, 0x3f317217, v28, -v29
	s_delay_alu instid0(VALU_DEP_1) | instskip(NEXT) | instid1(VALU_DEP_1)
	v_fmac_f32_e32 v29, 0x3377d1cf, v28
	v_fmac_f32_e32 v29, 0x3f317217, v28
	s_delay_alu instid0(VALU_DEP_1) | instskip(SKIP_1) | instid1(VALU_DEP_1)
	v_cndmask_b32_e64 v28, v28, v29, s0
	v_cndmask_b32_e64 v29, 0, 0x41b17218, vcc_lo
	v_sub_f32_e32 v30, v28, v29
	v_add_nc_u64_e32 v[28:29], s[4:5], v[22:23]
	s_delay_alu instid0(VALU_DEP_2)
	v_cvt_f16_f32_e32 v30, v30
	global_store_b16 v[28:29], v30, off
	s_branch .LBB169_8
.LBB169_25:
	s_endpgm
	.section	.rodata,"a",@progbits
	.p2align	6, 0x0
	.amdhsa_kernel _ZN2at6native12_GLOBAL__N_125multi_tensor_apply_kernelINS1_18TensorListMetadataILi2EEENS1_14UnaryOpFunctorIN3c104HalfELi2ELi1ELi1EEEJNS0_3LogIfEEEEEvT_T0_DpT1_
		.amdhsa_group_segment_fixed_size 0
		.amdhsa_private_segment_fixed_size 0
		.amdhsa_kernarg_size 3408
		.amdhsa_user_sgpr_count 2
		.amdhsa_user_sgpr_dispatch_ptr 0
		.amdhsa_user_sgpr_queue_ptr 0
		.amdhsa_user_sgpr_kernarg_segment_ptr 1
		.amdhsa_user_sgpr_dispatch_id 0
		.amdhsa_user_sgpr_kernarg_preload_length 0
		.amdhsa_user_sgpr_kernarg_preload_offset 0
		.amdhsa_user_sgpr_private_segment_size 0
		.amdhsa_wavefront_size32 1
		.amdhsa_uses_dynamic_stack 0
		.amdhsa_enable_private_segment 0
		.amdhsa_system_sgpr_workgroup_id_x 1
		.amdhsa_system_sgpr_workgroup_id_y 0
		.amdhsa_system_sgpr_workgroup_id_z 0
		.amdhsa_system_sgpr_workgroup_info 0
		.amdhsa_system_vgpr_workitem_id 0
		.amdhsa_next_free_vgpr 34
		.amdhsa_next_free_sgpr 20
		.amdhsa_named_barrier_count 0
		.amdhsa_reserve_vcc 1
		.amdhsa_float_round_mode_32 0
		.amdhsa_float_round_mode_16_64 0
		.amdhsa_float_denorm_mode_32 3
		.amdhsa_float_denorm_mode_16_64 3
		.amdhsa_fp16_overflow 0
		.amdhsa_memory_ordered 1
		.amdhsa_forward_progress 1
		.amdhsa_inst_pref_size 15
		.amdhsa_round_robin_scheduling 0
		.amdhsa_exception_fp_ieee_invalid_op 0
		.amdhsa_exception_fp_denorm_src 0
		.amdhsa_exception_fp_ieee_div_zero 0
		.amdhsa_exception_fp_ieee_overflow 0
		.amdhsa_exception_fp_ieee_underflow 0
		.amdhsa_exception_fp_ieee_inexact 0
		.amdhsa_exception_int_div_zero 0
	.end_amdhsa_kernel
	.section	.text._ZN2at6native12_GLOBAL__N_125multi_tensor_apply_kernelINS1_18TensorListMetadataILi2EEENS1_14UnaryOpFunctorIN3c104HalfELi2ELi1ELi1EEEJNS0_3LogIfEEEEEvT_T0_DpT1_,"axG",@progbits,_ZN2at6native12_GLOBAL__N_125multi_tensor_apply_kernelINS1_18TensorListMetadataILi2EEENS1_14UnaryOpFunctorIN3c104HalfELi2ELi1ELi1EEEJNS0_3LogIfEEEEEvT_T0_DpT1_,comdat
.Lfunc_end169:
	.size	_ZN2at6native12_GLOBAL__N_125multi_tensor_apply_kernelINS1_18TensorListMetadataILi2EEENS1_14UnaryOpFunctorIN3c104HalfELi2ELi1ELi1EEEJNS0_3LogIfEEEEEvT_T0_DpT1_, .Lfunc_end169-_ZN2at6native12_GLOBAL__N_125multi_tensor_apply_kernelINS1_18TensorListMetadataILi2EEENS1_14UnaryOpFunctorIN3c104HalfELi2ELi1ELi1EEEJNS0_3LogIfEEEEEvT_T0_DpT1_
                                        ; -- End function
	.set _ZN2at6native12_GLOBAL__N_125multi_tensor_apply_kernelINS1_18TensorListMetadataILi2EEENS1_14UnaryOpFunctorIN3c104HalfELi2ELi1ELi1EEEJNS0_3LogIfEEEEEvT_T0_DpT1_.num_vgpr, 34
	.set _ZN2at6native12_GLOBAL__N_125multi_tensor_apply_kernelINS1_18TensorListMetadataILi2EEENS1_14UnaryOpFunctorIN3c104HalfELi2ELi1ELi1EEEJNS0_3LogIfEEEEEvT_T0_DpT1_.num_agpr, 0
	.set _ZN2at6native12_GLOBAL__N_125multi_tensor_apply_kernelINS1_18TensorListMetadataILi2EEENS1_14UnaryOpFunctorIN3c104HalfELi2ELi1ELi1EEEJNS0_3LogIfEEEEEvT_T0_DpT1_.numbered_sgpr, 20
	.set _ZN2at6native12_GLOBAL__N_125multi_tensor_apply_kernelINS1_18TensorListMetadataILi2EEENS1_14UnaryOpFunctorIN3c104HalfELi2ELi1ELi1EEEJNS0_3LogIfEEEEEvT_T0_DpT1_.num_named_barrier, 0
	.set _ZN2at6native12_GLOBAL__N_125multi_tensor_apply_kernelINS1_18TensorListMetadataILi2EEENS1_14UnaryOpFunctorIN3c104HalfELi2ELi1ELi1EEEJNS0_3LogIfEEEEEvT_T0_DpT1_.private_seg_size, 0
	.set _ZN2at6native12_GLOBAL__N_125multi_tensor_apply_kernelINS1_18TensorListMetadataILi2EEENS1_14UnaryOpFunctorIN3c104HalfELi2ELi1ELi1EEEJNS0_3LogIfEEEEEvT_T0_DpT1_.uses_vcc, 1
	.set _ZN2at6native12_GLOBAL__N_125multi_tensor_apply_kernelINS1_18TensorListMetadataILi2EEENS1_14UnaryOpFunctorIN3c104HalfELi2ELi1ELi1EEEJNS0_3LogIfEEEEEvT_T0_DpT1_.uses_flat_scratch, 0
	.set _ZN2at6native12_GLOBAL__N_125multi_tensor_apply_kernelINS1_18TensorListMetadataILi2EEENS1_14UnaryOpFunctorIN3c104HalfELi2ELi1ELi1EEEJNS0_3LogIfEEEEEvT_T0_DpT1_.has_dyn_sized_stack, 0
	.set _ZN2at6native12_GLOBAL__N_125multi_tensor_apply_kernelINS1_18TensorListMetadataILi2EEENS1_14UnaryOpFunctorIN3c104HalfELi2ELi1ELi1EEEJNS0_3LogIfEEEEEvT_T0_DpT1_.has_recursion, 0
	.set _ZN2at6native12_GLOBAL__N_125multi_tensor_apply_kernelINS1_18TensorListMetadataILi2EEENS1_14UnaryOpFunctorIN3c104HalfELi2ELi1ELi1EEEJNS0_3LogIfEEEEEvT_T0_DpT1_.has_indirect_call, 0
	.section	.AMDGPU.csdata,"",@progbits
; Kernel info:
; codeLenInByte = 1860
; TotalNumSgprs: 22
; NumVgprs: 34
; ScratchSize: 0
; MemoryBound: 0
; FloatMode: 240
; IeeeMode: 1
; LDSByteSize: 0 bytes/workgroup (compile time only)
; SGPRBlocks: 0
; VGPRBlocks: 2
; NumSGPRsForWavesPerEU: 22
; NumVGPRsForWavesPerEU: 34
; NamedBarCnt: 0
; Occupancy: 16
; WaveLimiterHint : 0
; COMPUTE_PGM_RSRC2:SCRATCH_EN: 0
; COMPUTE_PGM_RSRC2:USER_SGPR: 2
; COMPUTE_PGM_RSRC2:TRAP_HANDLER: 0
; COMPUTE_PGM_RSRC2:TGID_X_EN: 1
; COMPUTE_PGM_RSRC2:TGID_Y_EN: 0
; COMPUTE_PGM_RSRC2:TGID_Z_EN: 0
; COMPUTE_PGM_RSRC2:TIDIG_COMP_CNT: 0
	.section	.text._ZN2at6native12_GLOBAL__N_125multi_tensor_apply_kernelINS1_18TensorListMetadataILi2EEENS1_14UnaryOpFunctorIN3c108BFloat16ELi2ELi1ELi1EEEJNS0_3LogIfEEEEEvT_T0_DpT1_,"axG",@progbits,_ZN2at6native12_GLOBAL__N_125multi_tensor_apply_kernelINS1_18TensorListMetadataILi2EEENS1_14UnaryOpFunctorIN3c108BFloat16ELi2ELi1ELi1EEEJNS0_3LogIfEEEEEvT_T0_DpT1_,comdat
	.globl	_ZN2at6native12_GLOBAL__N_125multi_tensor_apply_kernelINS1_18TensorListMetadataILi2EEENS1_14UnaryOpFunctorIN3c108BFloat16ELi2ELi1ELi1EEEJNS0_3LogIfEEEEEvT_T0_DpT1_ ; -- Begin function _ZN2at6native12_GLOBAL__N_125multi_tensor_apply_kernelINS1_18TensorListMetadataILi2EEENS1_14UnaryOpFunctorIN3c108BFloat16ELi2ELi1ELi1EEEJNS0_3LogIfEEEEEvT_T0_DpT1_
	.p2align	8
	.type	_ZN2at6native12_GLOBAL__N_125multi_tensor_apply_kernelINS1_18TensorListMetadataILi2EEENS1_14UnaryOpFunctorIN3c108BFloat16ELi2ELi1ELi1EEEJNS0_3LogIfEEEEEvT_T0_DpT1_,@function
_ZN2at6native12_GLOBAL__N_125multi_tensor_apply_kernelINS1_18TensorListMetadataILi2EEENS1_14UnaryOpFunctorIN3c108BFloat16ELi2ELi1ELi1EEEJNS0_3LogIfEEEEEvT_T0_DpT1_: ; @_ZN2at6native12_GLOBAL__N_125multi_tensor_apply_kernelINS1_18TensorListMetadataILi2EEENS1_14UnaryOpFunctorIN3c108BFloat16ELi2ELi1ELi1EEEJNS0_3LogIfEEEEEvT_T0_DpT1_
; %bb.0:
	s_bfe_u32 s2, ttmp6, 0x4000c
	s_and_b32 s3, ttmp6, 15
	s_add_co_i32 s2, s2, 1
	s_getreg_b32 s4, hwreg(HW_REG_IB_STS2, 6, 4)
	s_mul_i32 s2, ttmp9, s2
	s_delay_alu instid0(SALU_CYCLE_1)
	s_add_co_i32 s3, s3, s2
	s_cmp_eq_u32 s4, 0
	s_cselect_b32 s2, ttmp9, s3
	s_mov_b32 s3, 0
	s_load_u8 s11, s[0:1], s2 offset:0x600
	s_add_nc_u64 s[4:5], s[0:1], s[2:3]
	s_mul_u64 s[6:7], s[2:3], 3
	s_mov_b32 s15, s3
	s_add_nc_u64 s[4:5], s[4:5], s[6:7]
	s_load_b32 s10, s[4:5], 0x740
	s_wait_kmcnt 0x0
	s_clause 0x2
	s_load_b64 s[6:7], s[0:1], s11 offset:0x0 scale_offset
	s_load_b64 s[8:9], s[0:1], s11 offset:0x200 scale_offset
	;; [unrolled: 1-line block ×3, first 2 shown]
	s_wait_xcnt 0x0
	s_ashr_i32 s11, s10, 31
	s_delay_alu instid0(SALU_CYCLE_1)
	s_lshl_b64 s[4:5], s[10:11], 17
	s_wait_kmcnt 0x0
	s_and_b64 s[18:19], s[8:9], 7
	s_add_nc_u64 s[16:17], s[6:7], s[4:5]
	s_and_b32 s14, s12, 3
	s_and_b32 s2, s16, 7
	s_or_b64 s[14:15], s[18:19], s[14:15]
	s_lshl_b64 s[10:11], s[10:11], 16
	s_or_b64 s[2:3], s[14:15], s[2:3]
	s_sub_nc_u64 s[10:11], s[12:13], s[10:11]
	s_cmp_eq_u64 s[2:3], 0
	s_mov_b32 s2, -1
	s_cbranch_scc0 .LBB170_5
; %bb.1:
	v_min_i64 v[2:3], 0x10000, s[10:11]
	v_dual_mov_b32 v5, 0 :: v_dual_lshlrev_b32 v4, 2, v0
	s_mov_b32 s16, exec_lo
	s_delay_alu instid0(VALU_DEP_1)
	v_cmpx_lt_i64_e64 v[4:5], v[2:3]
	s_cbranch_execz .LBB170_4
; %bb.2:
	s_load_b32 s2, s[0:1], 0xc5c
	v_dual_mov_b32 v1, v5 :: v_dual_lshlrev_b32 v4, 3, v0
	s_mov_b32 s13, 0
	s_delay_alu instid0(SALU_CYCLE_1) | instskip(NEXT) | instid1(VALU_DEP_1)
	s_mov_b32 s15, s13
	v_add_nc_u64_e32 v[4:5], s[4:5], v[4:5]
	s_delay_alu instid0(VALU_DEP_2) | instskip(SKIP_3) | instid1(SALU_CYCLE_1)
	v_mov_b64_e32 v[6:7], v[0:1]
	s_mov_b32 s17, s13
	s_wait_kmcnt 0x0
	s_and_b32 s12, s2, 0xffff
	s_lshl_b32 s14, s12, 3
.LBB170_3:                              ; =>This Inner Loop Header: Depth=1
	s_delay_alu instid0(VALU_DEP_2) | instskip(NEXT) | instid1(VALU_DEP_2)
	v_add_nc_u64_e32 v[8:9], s[6:7], v[4:5]
	v_add_nc_u64_e32 v[6:7], s[12:13], v[6:7]
	global_load_b64 v[8:9], v[8:9], off
	v_lshlrev_b64_e32 v[10:11], 2, v[6:7]
	s_wait_loadcnt 0x0
	v_lshlrev_b32_e32 v1, 16, v8
	v_and_b32_e32 v12, 0xffff0000, v8
	s_wait_xcnt 0x0
	v_alignbit_b32 v8, v9, v8, 16
	v_and_b32_e32 v9, 0xffff0000, v9
	v_cmp_gt_f32_e32 vcc_lo, 0x800000, v1
	v_cmp_gt_f32_e64 s2, 0x800000, v12
	s_delay_alu instid0(VALU_DEP_4) | instskip(NEXT) | instid1(VALU_DEP_4)
	v_and_b32_e32 v8, 0xffff0000, v8
	v_cmp_gt_f32_e64 s3, 0x800000, v9
	v_cndmask_b32_e64 v13, 0, 32, vcc_lo
	s_delay_alu instid0(VALU_DEP_4) | instskip(NEXT) | instid1(VALU_DEP_3)
	v_cndmask_b32_e64 v14, 0, 32, s2
	v_cndmask_b32_e64 v15, 0, 32, s3
	s_delay_alu instid0(VALU_DEP_3) | instskip(SKIP_1) | instid1(VALU_DEP_4)
	v_ldexp_f32 v1, v1, v13
	v_cndmask_b32_e64 v13, 0, 0x41b17218, vcc_lo
	v_ldexp_f32 v12, v12, v14
	v_cmp_gt_f32_e32 vcc_lo, 0x800000, v8
	v_ldexp_f32 v9, v9, v15
	v_log_f32_e32 v1, v1
	v_cndmask_b32_e64 v15, 0, 0x41b17218, s3
	v_log_f32_e32 v12, v12
	v_cndmask_b32_e64 v16, 0, 32, vcc_lo
	v_log_f32_e32 v9, v9
	v_cndmask_b32_e64 v14, 0, 0x41b17218, s2
	s_delay_alu instid0(TRANS32_DEP_3) | instskip(NEXT) | instid1(VALU_DEP_3)
	v_mul_f32_e32 v17, 0x3f317217, v1
	v_ldexp_f32 v8, v8, v16
	s_delay_alu instid0(TRANS32_DEP_2)
	v_mul_f32_e32 v18, 0x3f317217, v12
	v_cndmask_b32_e64 v16, 0, 0x41b17218, vcc_lo
	v_cmp_gt_f32_e64 vcc_lo, 0x7f800000, |v12|
	v_fma_f32 v17, 0x3f317217, v1, -v17
	v_log_f32_e32 v8, v8
	v_fma_f32 v18, 0x3f317217, v12, -v18
	v_cmp_gt_f32_e64 s3, 0x7f800000, |v1|
	v_cmp_gt_f32_e64 s2, 0x7f800000, |v9|
	s_delay_alu instid0(VALU_DEP_3) | instskip(NEXT) | instid1(TRANS32_DEP_1)
	v_dual_fmac_f32 v17, 0x3377d1cf, v1 :: v_dual_fmac_f32 v18, 0x3377d1cf, v12
	v_dual_mul_f32 v19, 0x3f317217, v9 :: v_dual_mul_f32 v20, 0x3f317217, v8
	s_delay_alu instid0(VALU_DEP_2) | instskip(NEXT) | instid1(VALU_DEP_2)
	v_fmac_f32_e32 v18, 0x3f317217, v12
	v_fma_f32 v19, 0x3f317217, v9, -v19
	s_delay_alu instid0(VALU_DEP_3) | instskip(NEXT) | instid1(VALU_DEP_2)
	v_fma_f32 v20, 0x3f317217, v8, -v20
	v_dual_cndmask_b32 v12, v12, v18 :: v_dual_fmac_f32 v19, 0x3377d1cf, v9
	s_delay_alu instid0(VALU_DEP_2) | instskip(SKIP_2) | instid1(VALU_DEP_4)
	v_fmac_f32_e32 v20, 0x3377d1cf, v8
	v_fmac_f32_e32 v17, 0x3f317217, v1
	v_cmp_gt_f32_e64 vcc_lo, 0x7f800000, |v8|
	v_dual_sub_f32 v12, v12, v14 :: v_dual_fmac_f32 v19, 0x3f317217, v9
	s_delay_alu instid0(VALU_DEP_4) | instskip(NEXT) | instid1(VALU_DEP_4)
	v_fmac_f32_e32 v20, 0x3f317217, v8
	v_cndmask_b32_e64 v1, v1, v17, s3
	s_delay_alu instid0(VALU_DEP_3) | instskip(NEXT) | instid1(VALU_DEP_3)
	v_bfe_u32 v14, v12, 16, 1
	v_dual_cndmask_b32 v9, v9, v19, s2 :: v_dual_cndmask_b32 v8, v8, v20, vcc_lo
	s_delay_alu instid0(VALU_DEP_3) | instskip(SKIP_1) | instid1(VALU_DEP_4)
	v_sub_f32_e32 v1, v1, v13
	v_cmp_o_f32_e32 vcc_lo, v12, v12
	v_add3_u32 v14, v12, v14, 0x7fff
	s_delay_alu instid0(VALU_DEP_4) | instskip(NEXT) | instid1(VALU_DEP_4)
	v_sub_f32_e32 v8, v8, v16
	v_bfe_u32 v13, v1, 16, 1
	v_cmp_o_f32_e64 s2, v1, v1
	s_delay_alu instid0(VALU_DEP_4) | instskip(NEXT) | instid1(VALU_DEP_4)
	v_and_b32_e32 v14, 0xffff0000, v14
	v_bfe_u32 v16, v8, 16, 1
	s_delay_alu instid0(VALU_DEP_4) | instskip(NEXT) | instid1(VALU_DEP_3)
	v_add3_u32 v13, v1, v13, 0x7fff
	v_dual_sub_f32 v9, v9, v15 :: v_dual_cndmask_b32 v12, 0x7fc00000, v14
	s_delay_alu instid0(VALU_DEP_3) | instskip(NEXT) | instid1(VALU_DEP_3)
	v_add3_u32 v16, v8, v16, 0x7fff
	v_lshrrev_b32_e32 v13, 16, v13
	s_delay_alu instid0(VALU_DEP_3) | instskip(SKIP_1) | instid1(VALU_DEP_4)
	v_bfe_u32 v15, v9, 16, 1
	v_cmp_o_f32_e32 vcc_lo, v9, v9
	v_lshrrev_b32_e32 v1, 16, v16
	s_delay_alu instid0(VALU_DEP_4) | instskip(NEXT) | instid1(VALU_DEP_4)
	v_cndmask_b32_e64 v13, 0x7fc0, v13, s2
	v_add3_u32 v15, v9, v15, 0x7fff
	s_delay_alu instid0(VALU_DEP_2) | instskip(NEXT) | instid1(VALU_DEP_2)
	v_or_b32_e32 v12, v13, v12
	v_and_b32_e32 v15, 0xffff0000, v15
	s_delay_alu instid0(VALU_DEP_1)
	v_cndmask_b32_e32 v14, 0x7fc00000, v15, vcc_lo
	v_cmp_o_f32_e32 vcc_lo, v8, v8
	v_add_nc_u64_e32 v[8:9], s[8:9], v[4:5]
	v_add_nc_u64_e32 v[4:5], s[14:15], v[4:5]
	v_cndmask_b32_e32 v1, 0x7fc0, v1, vcc_lo
	v_cmp_ge_i64_e32 vcc_lo, v[10:11], v[2:3]
	v_or3_b32 v10, v12, 0, 0
	s_delay_alu instid0(VALU_DEP_3)
	v_or3_b32 v11, 0, v1, v14
	s_or_b32 s17, vcc_lo, s17
	global_store_b64 v[8:9], v[10:11], off
	s_wait_xcnt 0x0
	s_and_not1_b32 exec_lo, exec_lo, s17
	s_cbranch_execnz .LBB170_3
.LBB170_4:
	s_or_b32 exec_lo, exec_lo, s16
	s_mov_b32 s2, 0
.LBB170_5:
	s_delay_alu instid0(SALU_CYCLE_1)
	s_and_not1_b32 vcc_lo, exec_lo, s2
	s_cbranch_vccnz .LBB170_25
; %bb.6:
	v_cmp_lt_i64_e64 s2, s[10:11], 1
	s_and_b32 vcc_lo, exec_lo, s2
	s_cbranch_vccnz .LBB170_25
; %bb.7:
	s_load_b32 s0, s[0:1], 0xc5c
	v_min_i64 v[2:3], 0x10000, s[10:11]
	v_min_u64 v[4:5], 0x10000, s[10:11]
	v_dual_mov_b32 v1, 0 :: v_dual_lshlrev_b32 v10, 1, v0
	s_wait_xcnt 0x0
	s_mov_b32 s1, 0
	s_delay_alu instid0(SALU_CYCLE_1) | instskip(NEXT) | instid1(VALU_DEP_1)
	s_mov_b32 s11, s1
	v_dual_mov_b32 v11, v1 :: v_dual_mov_b32 v27, v1
	s_mov_b32 s3, s1
	s_mov_b32 s13, s1
	s_delay_alu instid0(VALU_DEP_1) | instskip(SKIP_2) | instid1(SALU_CYCLE_1)
	v_add_nc_u64_e32 v[6:7], s[6:7], v[10:11]
	s_wait_kmcnt 0x0
	s_and_b32 s0, s0, 0xffff
	v_add_nc_u64_e32 v[8:9], s[0:1], v[0:1]
	v_mad_nc_u64_u32 v[22:23], s0, 6, v[10:11]
	s_lshl_b32 s10, s0, 2
	s_mul_i32 s12, s0, 3
	v_add_nc_u64_e32 v[18:19], s[10:11], v[10:11]
	s_lshl_b32 s2, s0, 1
	v_add_nc_u64_e32 v[10:11], s[8:9], v[10:11]
	v_lshlrev_b32_e32 v26, 1, v8
	v_add_nc_u64_e32 v[12:13], s[12:13], v[0:1]
	v_add_nc_u64_e32 v[14:15], s[2:3], v[0:1]
	;; [unrolled: 1-line block ×8, first 2 shown]
	s_lshl_b32 s6, s0, 3
	s_mov_b32 s7, s1
	s_mov_b64 s[8:9], 0
	s_branch .LBB170_9
.LBB170_8:                              ;   in Loop: Header=BB170_9 Depth=1
	s_wait_xcnt 0x0
	s_or_b32 exec_lo, exec_lo, s1
	s_add_nc_u64 s[8:9], s[8:9], s[10:11]
	v_add_nc_u64_e32 v[6:7], s[6:7], v[6:7]
	v_cmp_ge_i64_e32 vcc_lo, s[8:9], v[2:3]
	v_add_nc_u64_e32 v[10:11], s[6:7], v[10:11]
	v_add_nc_u64_e32 v[20:21], s[6:7], v[20:21]
	v_add_nc_u64_e32 v[22:23], s[6:7], v[22:23]
	v_add_nc_u64_e32 v[16:17], s[6:7], v[16:17]
	v_add_nc_u64_e32 v[18:19], s[6:7], v[18:19]
	v_add_nc_u64_e32 v[24:25], s[6:7], v[24:25]
	v_add_nc_u64_e32 v[26:27], s[6:7], v[26:27]
	s_cbranch_vccnz .LBB170_25
.LBB170_9:                              ; =>This Inner Loop Header: Depth=1
	v_add_nc_u64_e32 v[28:29], s[8:9], v[0:1]
	v_mov_b32_e32 v31, 0
	s_delay_alu instid0(VALU_DEP_2)
	v_cmp_lt_u64_e64 s2, v[28:29], v[4:5]
	s_and_saveexec_b32 s0, s2
	s_cbranch_execz .LBB170_11
; %bb.10:                               ;   in Loop: Header=BB170_9 Depth=1
	v_add_nc_u64_e32 v[28:29], s[4:5], v[6:7]
	global_load_u16 v28, v[28:29], off
	s_wait_loadcnt 0x0
	v_lshlrev_b32_e32 v31, 16, v28
.LBB170_11:                             ;   in Loop: Header=BB170_9 Depth=1
	s_wait_xcnt 0x0
	s_or_b32 exec_lo, exec_lo, s0
	v_add_nc_u64_e32 v[28:29], s[8:9], v[8:9]
	v_mov_b32_e32 v30, 0
	s_delay_alu instid0(VALU_DEP_2)
	v_cmp_lt_u64_e64 s1, v[28:29], v[4:5]
	v_mov_b32_e32 v28, 0
	s_and_saveexec_b32 s0, s1
	s_cbranch_execz .LBB170_13
; %bb.12:                               ;   in Loop: Header=BB170_9 Depth=1
	v_add_nc_u64_e32 v[32:33], s[4:5], v[24:25]
	global_load_u16 v29, v[32:33], off
	s_wait_loadcnt 0x0
	v_lshlrev_b32_e32 v30, 16, v29
.LBB170_13:                             ;   in Loop: Header=BB170_9 Depth=1
	s_wait_xcnt 0x0
	s_or_b32 exec_lo, exec_lo, s0
	v_add_nc_u64_e32 v[32:33], s[8:9], v[14:15]
	s_delay_alu instid0(VALU_DEP_1)
	v_cmp_lt_u64_e64 s0, v[32:33], v[4:5]
	s_and_saveexec_b32 s3, s0
	s_cbranch_execz .LBB170_15
; %bb.14:                               ;   in Loop: Header=BB170_9 Depth=1
	v_add_nc_u64_e32 v[28:29], s[4:5], v[16:17]
	global_load_u16 v28, v[28:29], off
	s_wait_loadcnt 0x0
	v_lshlrev_b32_e32 v28, 16, v28
.LBB170_15:                             ;   in Loop: Header=BB170_9 Depth=1
	s_or_b32 exec_lo, exec_lo, s3
	v_add_nc_u64_e32 v[32:33], s[8:9], v[12:13]
	v_mov_b32_e32 v29, 0
	s_delay_alu instid0(VALU_DEP_2)
	v_cmp_lt_u64_e32 vcc_lo, v[32:33], v[4:5]
	s_and_saveexec_b32 s3, vcc_lo
	s_cbranch_execnz .LBB170_20
; %bb.16:                               ;   in Loop: Header=BB170_9 Depth=1
	s_or_b32 exec_lo, exec_lo, s3
	s_and_saveexec_b32 s12, s2
	s_cbranch_execnz .LBB170_21
.LBB170_17:                             ;   in Loop: Header=BB170_9 Depth=1
	s_or_b32 exec_lo, exec_lo, s12
	s_and_saveexec_b32 s3, s1
	s_cbranch_execnz .LBB170_22
.LBB170_18:                             ;   in Loop: Header=BB170_9 Depth=1
	s_or_b32 exec_lo, exec_lo, s3
	s_and_saveexec_b32 s2, s0
	s_cbranch_execnz .LBB170_23
.LBB170_19:                             ;   in Loop: Header=BB170_9 Depth=1
	s_or_b32 exec_lo, exec_lo, s2
	s_and_saveexec_b32 s1, vcc_lo
	s_cbranch_execz .LBB170_8
	s_branch .LBB170_24
.LBB170_20:                             ;   in Loop: Header=BB170_9 Depth=1
	v_add_nc_u64_e32 v[32:33], s[4:5], v[20:21]
	global_load_u16 v29, v[32:33], off
	s_wait_loadcnt 0x0
	v_lshlrev_b32_e32 v29, 16, v29
	s_wait_xcnt 0x0
	s_or_b32 exec_lo, exec_lo, s3
	s_and_saveexec_b32 s12, s2
	s_cbranch_execz .LBB170_17
.LBB170_21:                             ;   in Loop: Header=BB170_9 Depth=1
	v_cmp_gt_f32_e64 s2, 0x800000, v31
	s_delay_alu instid0(VALU_DEP_1) | instskip(NEXT) | instid1(VALU_DEP_1)
	v_cndmask_b32_e64 v32, 0, 32, s2
	v_ldexp_f32 v31, v31, v32
	s_delay_alu instid0(VALU_DEP_1) | instskip(SKIP_1) | instid1(TRANS32_DEP_1)
	v_log_f32_e32 v31, v31
	v_nop
	v_mul_f32_e32 v32, 0x3f317217, v31
	v_cmp_gt_f32_e64 s3, 0x7f800000, |v31|
	s_delay_alu instid0(VALU_DEP_2) | instskip(NEXT) | instid1(VALU_DEP_1)
	v_fma_f32 v32, 0x3f317217, v31, -v32
	v_fmac_f32_e32 v32, 0x3377d1cf, v31
	s_delay_alu instid0(VALU_DEP_1) | instskip(NEXT) | instid1(VALU_DEP_1)
	v_fmac_f32_e32 v32, 0x3f317217, v31
	v_cndmask_b32_e64 v31, v31, v32, s3
	v_cndmask_b32_e64 v32, 0, 0x41b17218, s2
	s_delay_alu instid0(VALU_DEP_1) | instskip(NEXT) | instid1(VALU_DEP_1)
	v_sub_f32_e32 v31, v31, v32
	v_bfe_u32 v32, v31, 16, 1
	v_cmp_o_f32_e64 s2, v31, v31
	s_delay_alu instid0(VALU_DEP_2) | instskip(NEXT) | instid1(VALU_DEP_1)
	v_add3_u32 v32, v31, v32, 0x7fff
	v_lshrrev_b32_e32 v34, 16, v32
	v_add_nc_u64_e32 v[32:33], s[4:5], v[10:11]
	s_delay_alu instid0(VALU_DEP_2)
	v_cndmask_b32_e64 v31, 0x7fc0, v34, s2
	global_store_b16 v[32:33], v31, off
	s_wait_xcnt 0x0
	s_or_b32 exec_lo, exec_lo, s12
	s_and_saveexec_b32 s3, s1
	s_cbranch_execz .LBB170_18
.LBB170_22:                             ;   in Loop: Header=BB170_9 Depth=1
	v_cmp_gt_f32_e64 s1, 0x800000, v30
	s_delay_alu instid0(VALU_DEP_1) | instskip(NEXT) | instid1(VALU_DEP_1)
	v_cndmask_b32_e64 v31, 0, 32, s1
	v_ldexp_f32 v30, v30, v31
	s_delay_alu instid0(VALU_DEP_1) | instskip(SKIP_1) | instid1(TRANS32_DEP_1)
	v_log_f32_e32 v30, v30
	v_nop
	v_mul_f32_e32 v31, 0x3f317217, v30
	v_cmp_gt_f32_e64 s2, 0x7f800000, |v30|
	s_delay_alu instid0(VALU_DEP_2) | instskip(NEXT) | instid1(VALU_DEP_1)
	v_fma_f32 v31, 0x3f317217, v30, -v31
	v_fmac_f32_e32 v31, 0x3377d1cf, v30
	s_delay_alu instid0(VALU_DEP_1) | instskip(NEXT) | instid1(VALU_DEP_1)
	v_fmac_f32_e32 v31, 0x3f317217, v30
	v_cndmask_b32_e64 v30, v30, v31, s2
	v_cndmask_b32_e64 v31, 0, 0x41b17218, s1
	s_delay_alu instid0(VALU_DEP_1) | instskip(NEXT) | instid1(VALU_DEP_1)
	v_sub_f32_e32 v32, v30, v31
	v_bfe_u32 v30, v32, 16, 1
	s_delay_alu instid0(VALU_DEP_1) | instskip(NEXT) | instid1(VALU_DEP_1)
	v_add3_u32 v30, v32, v30, 0x7fff
	v_lshrrev_b32_e32 v33, 16, v30
	v_cmp_o_f32_e64 s1, v32, v32
	v_add_nc_u64_e32 v[30:31], s[4:5], v[26:27]
	s_delay_alu instid0(VALU_DEP_2)
	v_cndmask_b32_e64 v32, 0x7fc0, v33, s1
	global_store_b16 v[30:31], v32, off
	s_wait_xcnt 0x0
	s_or_b32 exec_lo, exec_lo, s3
	s_and_saveexec_b32 s2, s0
	s_cbranch_execz .LBB170_19
.LBB170_23:                             ;   in Loop: Header=BB170_9 Depth=1
	v_cmp_gt_f32_e64 s0, 0x800000, v28
	s_delay_alu instid0(VALU_DEP_1) | instskip(NEXT) | instid1(VALU_DEP_1)
	v_cndmask_b32_e64 v30, 0, 32, s0
	v_ldexp_f32 v28, v28, v30
	s_delay_alu instid0(VALU_DEP_1) | instskip(SKIP_1) | instid1(TRANS32_DEP_1)
	v_log_f32_e32 v28, v28
	v_nop
	v_mul_f32_e32 v30, 0x3f317217, v28
	v_cmp_gt_f32_e64 s1, 0x7f800000, |v28|
	s_delay_alu instid0(VALU_DEP_2) | instskip(NEXT) | instid1(VALU_DEP_1)
	v_fma_f32 v30, 0x3f317217, v28, -v30
	v_fmac_f32_e32 v30, 0x3377d1cf, v28
	s_delay_alu instid0(VALU_DEP_1) | instskip(NEXT) | instid1(VALU_DEP_1)
	v_fmac_f32_e32 v30, 0x3f317217, v28
	v_cndmask_b32_e64 v28, v28, v30, s1
	v_cndmask_b32_e64 v30, 0, 0x41b17218, s0
	s_delay_alu instid0(VALU_DEP_1) | instskip(NEXT) | instid1(VALU_DEP_1)
	v_sub_f32_e32 v28, v28, v30
	v_bfe_u32 v30, v28, 16, 1
	v_cmp_o_f32_e64 s0, v28, v28
	s_delay_alu instid0(VALU_DEP_2) | instskip(NEXT) | instid1(VALU_DEP_1)
	v_add3_u32 v30, v28, v30, 0x7fff
	v_lshrrev_b32_e32 v32, 16, v30
	v_add_nc_u64_e32 v[30:31], s[4:5], v[18:19]
	s_delay_alu instid0(VALU_DEP_2)
	v_cndmask_b32_e64 v28, 0x7fc0, v32, s0
	global_store_b16 v[30:31], v28, off
	s_wait_xcnt 0x0
	s_or_b32 exec_lo, exec_lo, s2
	s_and_saveexec_b32 s1, vcc_lo
	s_cbranch_execz .LBB170_8
.LBB170_24:                             ;   in Loop: Header=BB170_9 Depth=1
	v_cmp_gt_f32_e32 vcc_lo, 0x800000, v29
	v_cndmask_b32_e64 v28, 0, 32, vcc_lo
	s_delay_alu instid0(VALU_DEP_1) | instskip(NEXT) | instid1(VALU_DEP_1)
	v_ldexp_f32 v28, v29, v28
	v_log_f32_e32 v28, v28
	v_nop
	s_delay_alu instid0(TRANS32_DEP_1) | instskip(SKIP_1) | instid1(VALU_DEP_2)
	v_mul_f32_e32 v29, 0x3f317217, v28
	v_cmp_gt_f32_e64 s0, 0x7f800000, |v28|
	v_fma_f32 v29, 0x3f317217, v28, -v29
	s_delay_alu instid0(VALU_DEP_1) | instskip(NEXT) | instid1(VALU_DEP_1)
	v_fmac_f32_e32 v29, 0x3377d1cf, v28
	v_fmac_f32_e32 v29, 0x3f317217, v28
	s_delay_alu instid0(VALU_DEP_1) | instskip(SKIP_1) | instid1(VALU_DEP_1)
	v_cndmask_b32_e64 v28, v28, v29, s0
	v_cndmask_b32_e64 v29, 0, 0x41b17218, vcc_lo
	v_sub_f32_e32 v30, v28, v29
	s_delay_alu instid0(VALU_DEP_1) | instskip(NEXT) | instid1(VALU_DEP_1)
	v_bfe_u32 v28, v30, 16, 1
	v_add3_u32 v28, v30, v28, 0x7fff
	s_delay_alu instid0(VALU_DEP_1) | instskip(SKIP_2) | instid1(VALU_DEP_3)
	v_lshrrev_b32_e32 v31, 16, v28
	v_cmp_o_f32_e32 vcc_lo, v30, v30
	v_add_nc_u64_e32 v[28:29], s[4:5], v[22:23]
	v_cndmask_b32_e32 v30, 0x7fc0, v31, vcc_lo
	global_store_b16 v[28:29], v30, off
	s_branch .LBB170_8
.LBB170_25:
	s_endpgm
	.section	.rodata,"a",@progbits
	.p2align	6, 0x0
	.amdhsa_kernel _ZN2at6native12_GLOBAL__N_125multi_tensor_apply_kernelINS1_18TensorListMetadataILi2EEENS1_14UnaryOpFunctorIN3c108BFloat16ELi2ELi1ELi1EEEJNS0_3LogIfEEEEEvT_T0_DpT1_
		.amdhsa_group_segment_fixed_size 0
		.amdhsa_private_segment_fixed_size 0
		.amdhsa_kernarg_size 3408
		.amdhsa_user_sgpr_count 2
		.amdhsa_user_sgpr_dispatch_ptr 0
		.amdhsa_user_sgpr_queue_ptr 0
		.amdhsa_user_sgpr_kernarg_segment_ptr 1
		.amdhsa_user_sgpr_dispatch_id 0
		.amdhsa_user_sgpr_kernarg_preload_length 0
		.amdhsa_user_sgpr_kernarg_preload_offset 0
		.amdhsa_user_sgpr_private_segment_size 0
		.amdhsa_wavefront_size32 1
		.amdhsa_uses_dynamic_stack 0
		.amdhsa_enable_private_segment 0
		.amdhsa_system_sgpr_workgroup_id_x 1
		.amdhsa_system_sgpr_workgroup_id_y 0
		.amdhsa_system_sgpr_workgroup_id_z 0
		.amdhsa_system_sgpr_workgroup_info 0
		.amdhsa_system_vgpr_workitem_id 0
		.amdhsa_next_free_vgpr 35
		.amdhsa_next_free_sgpr 20
		.amdhsa_named_barrier_count 0
		.amdhsa_reserve_vcc 1
		.amdhsa_float_round_mode_32 0
		.amdhsa_float_round_mode_16_64 0
		.amdhsa_float_denorm_mode_32 3
		.amdhsa_float_denorm_mode_16_64 3
		.amdhsa_fp16_overflow 0
		.amdhsa_memory_ordered 1
		.amdhsa_forward_progress 1
		.amdhsa_inst_pref_size 19
		.amdhsa_round_robin_scheduling 0
		.amdhsa_exception_fp_ieee_invalid_op 0
		.amdhsa_exception_fp_denorm_src 0
		.amdhsa_exception_fp_ieee_div_zero 0
		.amdhsa_exception_fp_ieee_overflow 0
		.amdhsa_exception_fp_ieee_underflow 0
		.amdhsa_exception_fp_ieee_inexact 0
		.amdhsa_exception_int_div_zero 0
	.end_amdhsa_kernel
	.section	.text._ZN2at6native12_GLOBAL__N_125multi_tensor_apply_kernelINS1_18TensorListMetadataILi2EEENS1_14UnaryOpFunctorIN3c108BFloat16ELi2ELi1ELi1EEEJNS0_3LogIfEEEEEvT_T0_DpT1_,"axG",@progbits,_ZN2at6native12_GLOBAL__N_125multi_tensor_apply_kernelINS1_18TensorListMetadataILi2EEENS1_14UnaryOpFunctorIN3c108BFloat16ELi2ELi1ELi1EEEJNS0_3LogIfEEEEEvT_T0_DpT1_,comdat
.Lfunc_end170:
	.size	_ZN2at6native12_GLOBAL__N_125multi_tensor_apply_kernelINS1_18TensorListMetadataILi2EEENS1_14UnaryOpFunctorIN3c108BFloat16ELi2ELi1ELi1EEEJNS0_3LogIfEEEEEvT_T0_DpT1_, .Lfunc_end170-_ZN2at6native12_GLOBAL__N_125multi_tensor_apply_kernelINS1_18TensorListMetadataILi2EEENS1_14UnaryOpFunctorIN3c108BFloat16ELi2ELi1ELi1EEEJNS0_3LogIfEEEEEvT_T0_DpT1_
                                        ; -- End function
	.set _ZN2at6native12_GLOBAL__N_125multi_tensor_apply_kernelINS1_18TensorListMetadataILi2EEENS1_14UnaryOpFunctorIN3c108BFloat16ELi2ELi1ELi1EEEJNS0_3LogIfEEEEEvT_T0_DpT1_.num_vgpr, 35
	.set _ZN2at6native12_GLOBAL__N_125multi_tensor_apply_kernelINS1_18TensorListMetadataILi2EEENS1_14UnaryOpFunctorIN3c108BFloat16ELi2ELi1ELi1EEEJNS0_3LogIfEEEEEvT_T0_DpT1_.num_agpr, 0
	.set _ZN2at6native12_GLOBAL__N_125multi_tensor_apply_kernelINS1_18TensorListMetadataILi2EEENS1_14UnaryOpFunctorIN3c108BFloat16ELi2ELi1ELi1EEEJNS0_3LogIfEEEEEvT_T0_DpT1_.numbered_sgpr, 20
	.set _ZN2at6native12_GLOBAL__N_125multi_tensor_apply_kernelINS1_18TensorListMetadataILi2EEENS1_14UnaryOpFunctorIN3c108BFloat16ELi2ELi1ELi1EEEJNS0_3LogIfEEEEEvT_T0_DpT1_.num_named_barrier, 0
	.set _ZN2at6native12_GLOBAL__N_125multi_tensor_apply_kernelINS1_18TensorListMetadataILi2EEENS1_14UnaryOpFunctorIN3c108BFloat16ELi2ELi1ELi1EEEJNS0_3LogIfEEEEEvT_T0_DpT1_.private_seg_size, 0
	.set _ZN2at6native12_GLOBAL__N_125multi_tensor_apply_kernelINS1_18TensorListMetadataILi2EEENS1_14UnaryOpFunctorIN3c108BFloat16ELi2ELi1ELi1EEEJNS0_3LogIfEEEEEvT_T0_DpT1_.uses_vcc, 1
	.set _ZN2at6native12_GLOBAL__N_125multi_tensor_apply_kernelINS1_18TensorListMetadataILi2EEENS1_14UnaryOpFunctorIN3c108BFloat16ELi2ELi1ELi1EEEJNS0_3LogIfEEEEEvT_T0_DpT1_.uses_flat_scratch, 0
	.set _ZN2at6native12_GLOBAL__N_125multi_tensor_apply_kernelINS1_18TensorListMetadataILi2EEENS1_14UnaryOpFunctorIN3c108BFloat16ELi2ELi1ELi1EEEJNS0_3LogIfEEEEEvT_T0_DpT1_.has_dyn_sized_stack, 0
	.set _ZN2at6native12_GLOBAL__N_125multi_tensor_apply_kernelINS1_18TensorListMetadataILi2EEENS1_14UnaryOpFunctorIN3c108BFloat16ELi2ELi1ELi1EEEJNS0_3LogIfEEEEEvT_T0_DpT1_.has_recursion, 0
	.set _ZN2at6native12_GLOBAL__N_125multi_tensor_apply_kernelINS1_18TensorListMetadataILi2EEENS1_14UnaryOpFunctorIN3c108BFloat16ELi2ELi1ELi1EEEJNS0_3LogIfEEEEEvT_T0_DpT1_.has_indirect_call, 0
	.section	.AMDGPU.csdata,"",@progbits
; Kernel info:
; codeLenInByte = 2424
; TotalNumSgprs: 22
; NumVgprs: 35
; ScratchSize: 0
; MemoryBound: 0
; FloatMode: 240
; IeeeMode: 1
; LDSByteSize: 0 bytes/workgroup (compile time only)
; SGPRBlocks: 0
; VGPRBlocks: 2
; NumSGPRsForWavesPerEU: 22
; NumVGPRsForWavesPerEU: 35
; NamedBarCnt: 0
; Occupancy: 16
; WaveLimiterHint : 0
; COMPUTE_PGM_RSRC2:SCRATCH_EN: 0
; COMPUTE_PGM_RSRC2:USER_SGPR: 2
; COMPUTE_PGM_RSRC2:TRAP_HANDLER: 0
; COMPUTE_PGM_RSRC2:TGID_X_EN: 1
; COMPUTE_PGM_RSRC2:TGID_Y_EN: 0
; COMPUTE_PGM_RSRC2:TGID_Z_EN: 0
; COMPUTE_PGM_RSRC2:TIDIG_COMP_CNT: 0
	.section	.text._ZN2at6native12_GLOBAL__N_125multi_tensor_apply_kernelINS1_18TensorListMetadataILi1EEENS1_14UnaryOpFunctorIdLi1ELi1ELi0EEEJNS0_3LogIdEEEEEvT_T0_DpT1_,"axG",@progbits,_ZN2at6native12_GLOBAL__N_125multi_tensor_apply_kernelINS1_18TensorListMetadataILi1EEENS1_14UnaryOpFunctorIdLi1ELi1ELi0EEEJNS0_3LogIdEEEEEvT_T0_DpT1_,comdat
	.globl	_ZN2at6native12_GLOBAL__N_125multi_tensor_apply_kernelINS1_18TensorListMetadataILi1EEENS1_14UnaryOpFunctorIdLi1ELi1ELi0EEEJNS0_3LogIdEEEEEvT_T0_DpT1_ ; -- Begin function _ZN2at6native12_GLOBAL__N_125multi_tensor_apply_kernelINS1_18TensorListMetadataILi1EEENS1_14UnaryOpFunctorIdLi1ELi1ELi0EEEJNS0_3LogIdEEEEEvT_T0_DpT1_
	.p2align	8
	.type	_ZN2at6native12_GLOBAL__N_125multi_tensor_apply_kernelINS1_18TensorListMetadataILi1EEENS1_14UnaryOpFunctorIdLi1ELi1ELi0EEEJNS0_3LogIdEEEEEvT_T0_DpT1_,@function
_ZN2at6native12_GLOBAL__N_125multi_tensor_apply_kernelINS1_18TensorListMetadataILi1EEENS1_14UnaryOpFunctorIdLi1ELi1ELi0EEEJNS0_3LogIdEEEEEvT_T0_DpT1_: ; @_ZN2at6native12_GLOBAL__N_125multi_tensor_apply_kernelINS1_18TensorListMetadataILi1EEENS1_14UnaryOpFunctorIdLi1ELi1ELi0EEEJNS0_3LogIdEEEEEvT_T0_DpT1_
; %bb.0:
	s_bfe_u32 s2, ttmp6, 0x4000c
	s_and_b32 s3, ttmp6, 15
	s_add_co_i32 s2, s2, 1
	s_getreg_b32 s4, hwreg(HW_REG_IB_STS2, 6, 4)
	s_mul_i32 s2, ttmp9, s2
	s_delay_alu instid0(SALU_CYCLE_1)
	s_add_co_i32 s3, s3, s2
	s_cmp_eq_u32 s4, 0
	s_cselect_b32 s2, ttmp9, s3
	s_mov_b32 s3, 0
	s_load_u8 s8, s[0:1], s2 offset:0x6e0
	s_add_nc_u64 s[4:5], s[0:1], s[2:3]
	s_mul_u64 s[6:7], s[2:3], 3
	s_delay_alu instid0(SALU_CYCLE_1)
	s_add_nc_u64 s[4:5], s[4:5], s[6:7]
	s_load_b32 s10, s[4:5], 0x820
	s_wait_kmcnt 0x0
	s_clause 0x1
	s_load_b64 s[6:7], s[0:1], s8 offset:0x0 scale_offset
	s_load_b64 s[12:13], s[0:1], s8 offset:0x370 scale_offset
	s_ashr_i32 s11, s10, 31
	s_wait_kmcnt 0x0
	s_and_b64 s[4:5], s[6:7], 31
	s_and_b32 s2, s12, 3
	s_lshl_b64 s[8:9], s[10:11], 19
	s_or_b64 s[2:3], s[4:5], s[2:3]
	s_lshl_b64 s[4:5], s[10:11], 16
	s_cmp_eq_u64 s[2:3], 0
	s_sub_nc_u64 s[10:11], s[12:13], s[4:5]
	s_cbranch_scc1 .LBB171_21
; %bb.1:
	v_cmp_lt_i64_e64 s2, s[10:11], 1
	s_and_b32 vcc_lo, exec_lo, s2
	s_cbranch_vccnz .LBB171_20
; %bb.2:
	s_load_b32 s4, s[0:1], 0xd3c
	v_min_i64 v[2:3], 0x10000, s[10:11]
	v_min_u64 v[4:5], 0x10000, s[10:11]
	v_dual_mov_b32 v1, 0 :: v_dual_lshlrev_b32 v8, 3, v0
	s_mov_b32 s23, 0
	s_add_nc_u64 s[2:3], s[6:7], s[8:9]
	s_mov_b32 s5, s23
	s_delay_alu instid0(VALU_DEP_1) | instskip(SKIP_3) | instid1(VALU_DEP_2)
	v_dual_mov_b32 v9, v1 :: v_dual_mov_b32 v15, v1
	s_mov_b32 s21, s23
	v_mov_b64_e32 v[16:17], 0x3fc385386b47b09a
	s_mov_b64 s[12:13], 0x3fe5555555555555
	v_add_nc_u64_e32 v[8:9], s[2:3], v[8:9]
	s_mov_b64 s[14:15], 0x3fe62e42fefa39ef
	s_mov_b32 s17, s23
	s_mov_b32 s19, s23
	s_mov_b64 s[24:25], 0
                                        ; implicit-def: $vgpr18_vgpr19
                                        ; implicit-def: $vgpr18_vgpr19
	;; [unrolled: 1-line block ×5, first 2 shown]
	s_wait_kmcnt 0x0
	s_and_b32 s22, s4, 0xffff
	s_delay_alu instid0(SALU_CYCLE_1)
	v_add_nc_u64_e32 v[6:7], s[22:23], v[0:1]
	s_lshl_b32 s4, s22, 1
	s_mul_i32 s20, s22, 3
	v_add_nc_u64_e32 v[12:13], s[4:5], v[0:1]
	v_add_nc_u64_e32 v[10:11], s[20:21], v[0:1]
	s_lshl_b32 s16, s22, 2
	s_lshl_b32 s18, s22, 5
	v_lshlrev_b32_e32 v14, 3, v6
	s_mul_u64 s[20:21], s[22:23], 24
	s_lshl_b32 s22, s22, 4
	s_delay_alu instid0(VALU_DEP_1)
	v_add_nc_u64_e32 v[14:15], s[2:3], v[14:15]
	s_branch .LBB171_4
.LBB171_3:                              ;   in Loop: Header=BB171_4 Depth=1
	s_wait_xcnt 0x0
	s_or_b32 exec_lo, exec_lo, s2
	s_add_nc_u64 s[24:25], s[24:25], s[16:17]
	v_add_nc_u64_e32 v[8:9], s[18:19], v[8:9]
	v_cmp_lt_i64_e32 vcc_lo, s[24:25], v[2:3]
	v_add_nc_u64_e32 v[14:15], s[18:19], v[14:15]
	s_cbranch_vccz .LBB171_20
.LBB171_4:                              ; =>This Inner Loop Header: Depth=1
	s_wait_loadcnt 0x0
	v_add_nc_u64_e32 v[18:19], s[24:25], v[0:1]
	v_mov_b64_e32 v[26:27], 0
	v_mov_b64_e32 v[28:29], 0
	s_delay_alu instid0(VALU_DEP_3)
	v_cmp_lt_u64_e64 s4, v[18:19], v[4:5]
	s_and_saveexec_b32 s2, s4
	s_cbranch_execz .LBB171_6
; %bb.5:                                ;   in Loop: Header=BB171_4 Depth=1
	global_load_b64 v[28:29], v[8:9], off
.LBB171_6:                              ;   in Loop: Header=BB171_4 Depth=1
	s_wait_xcnt 0x0
	s_or_b32 exec_lo, exec_lo, s2
	v_add_nc_u64_e32 v[18:19], s[24:25], v[6:7]
	s_delay_alu instid0(VALU_DEP_1)
	v_cmp_lt_u64_e64 s3, v[18:19], v[4:5]
	s_and_saveexec_b32 s2, s3
	s_cbranch_execz .LBB171_8
; %bb.7:                                ;   in Loop: Header=BB171_4 Depth=1
	global_load_b64 v[26:27], v[14:15], off
.LBB171_8:                              ;   in Loop: Header=BB171_4 Depth=1
	s_wait_xcnt 0x0
	s_or_b32 exec_lo, exec_lo, s2
	v_add_nc_u64_e32 v[20:21], s[24:25], v[12:13]
	v_mov_b64_e32 v[18:19], 0
	v_add_nc_u64_e32 v[22:23], s[22:23], v[8:9]
	v_mov_b64_e32 v[24:25], 0
	s_delay_alu instid0(VALU_DEP_4)
	v_cmp_lt_u64_e64 s2, v[20:21], v[4:5]
	s_and_saveexec_b32 s5, s2
	s_cbranch_execz .LBB171_10
; %bb.9:                                ;   in Loop: Header=BB171_4 Depth=1
	global_load_b64 v[24:25], v[22:23], off
.LBB171_10:                             ;   in Loop: Header=BB171_4 Depth=1
	s_wait_xcnt 0x0
	s_or_b32 exec_lo, exec_lo, s5
	v_add_nc_u64_e32 v[20:21], s[24:25], v[10:11]
	s_delay_alu instid0(VALU_DEP_1)
	v_cmp_lt_u64_e32 vcc_lo, v[20:21], v[4:5]
	v_add_nc_u64_e32 v[20:21], s[20:21], v[8:9]
	s_and_saveexec_b32 s5, vcc_lo
	s_cbranch_execnz .LBB171_15
; %bb.11:                               ;   in Loop: Header=BB171_4 Depth=1
	s_or_b32 exec_lo, exec_lo, s5
	s_and_saveexec_b32 s5, s4
	s_cbranch_execnz .LBB171_16
.LBB171_12:                             ;   in Loop: Header=BB171_4 Depth=1
	s_or_b32 exec_lo, exec_lo, s5
	s_and_saveexec_b32 s4, s3
	s_cbranch_execnz .LBB171_17
.LBB171_13:                             ;   in Loop: Header=BB171_4 Depth=1
	s_or_b32 exec_lo, exec_lo, s4
	s_and_saveexec_b32 s3, s2
	s_cbranch_execnz .LBB171_18
.LBB171_14:                             ;   in Loop: Header=BB171_4 Depth=1
	s_or_b32 exec_lo, exec_lo, s3
	s_and_saveexec_b32 s2, vcc_lo
	s_cbranch_execz .LBB171_3
	s_branch .LBB171_19
.LBB171_15:                             ;   in Loop: Header=BB171_4 Depth=1
	global_load_b64 v[18:19], v[20:21], off
	s_wait_xcnt 0x0
	s_or_b32 exec_lo, exec_lo, s5
	s_and_saveexec_b32 s5, s4
	s_cbranch_execz .LBB171_12
.LBB171_16:                             ;   in Loop: Header=BB171_4 Depth=1
	s_wait_loadcnt 0x0
	v_frexp_mant_f64_e32 v[30:31], v[28:29]
	v_frexp_exp_i32_f64_e32 v32, v[28:29]
	s_delay_alu instid0(VALU_DEP_2) | instskip(NEXT) | instid1(VALU_DEP_1)
	v_cmp_gt_f64_e64 s4, s[12:13], v[30:31]
	v_subrev_co_ci_u32_e64 v44, null, 0, v32, s4
	v_cndmask_b32_e64 v32, 0, 1, s4
	v_cmp_class_f64_e64 s4, v[28:29], 0x204
	s_delay_alu instid0(VALU_DEP_2) | instskip(NEXT) | instid1(VALU_DEP_1)
	v_ldexp_f64 v[30:31], v[30:31], v32
	v_add_f64_e32 v[32:33], 1.0, v[30:31]
	v_add_f64_e32 v[38:39], -1.0, v[30:31]
	s_delay_alu instid0(VALU_DEP_2) | instskip(SKIP_1) | instid1(VALU_DEP_1)
	v_rcp_f64_e32 v[34:35], v[32:33]
	v_add_f64_e32 v[40:41], -1.0, v[32:33]
	v_add_f64_e64 v[30:31], v[30:31], -v[40:41]
	s_delay_alu instid0(TRANS32_DEP_1) | instskip(NEXT) | instid1(VALU_DEP_1)
	v_fma_f64 v[36:37], -v[32:33], v[34:35], 1.0
	v_fmac_f64_e32 v[34:35], v[36:37], v[34:35]
	s_delay_alu instid0(VALU_DEP_1) | instskip(NEXT) | instid1(VALU_DEP_1)
	v_fma_f64 v[36:37], -v[32:33], v[34:35], 1.0
	v_fmac_f64_e32 v[34:35], v[36:37], v[34:35]
	s_delay_alu instid0(VALU_DEP_1) | instskip(NEXT) | instid1(VALU_DEP_1)
	v_mul_f64_e32 v[36:37], v[38:39], v[34:35]
	v_mul_f64_e32 v[42:43], v[32:33], v[36:37]
	s_delay_alu instid0(VALU_DEP_1) | instskip(NEXT) | instid1(VALU_DEP_1)
	v_fma_f64 v[32:33], v[36:37], v[32:33], -v[42:43]
	v_fmac_f64_e32 v[32:33], v[36:37], v[30:31]
	s_delay_alu instid0(VALU_DEP_1) | instskip(NEXT) | instid1(VALU_DEP_1)
	v_add_f64_e32 v[30:31], v[42:43], v[32:33]
	v_add_f64_e64 v[40:41], v[38:39], -v[30:31]
	v_add_f64_e64 v[42:43], v[30:31], -v[42:43]
	s_delay_alu instid0(VALU_DEP_2) | instskip(NEXT) | instid1(VALU_DEP_2)
	v_add_f64_e64 v[38:39], v[38:39], -v[40:41]
	v_add_f64_e64 v[32:33], v[42:43], -v[32:33]
	s_delay_alu instid0(VALU_DEP_2) | instskip(NEXT) | instid1(VALU_DEP_1)
	v_add_f64_e64 v[30:31], v[38:39], -v[30:31]
	v_add_f64_e32 v[30:31], v[32:33], v[30:31]
	s_delay_alu instid0(VALU_DEP_1) | instskip(NEXT) | instid1(VALU_DEP_1)
	v_add_f64_e32 v[30:31], v[40:41], v[30:31]
	v_mul_f64_e32 v[30:31], v[34:35], v[30:31]
	s_delay_alu instid0(VALU_DEP_1) | instskip(NEXT) | instid1(VALU_DEP_1)
	v_add_f64_e32 v[32:33], v[36:37], v[30:31]
	v_mul_f64_e32 v[34:35], v[32:33], v[32:33]
	s_delay_alu instid0(VALU_DEP_1) | instskip(SKIP_1) | instid1(VALU_DEP_2)
	v_fmamk_f64 v[38:39], v[34:35], 0x3fc3ab76bf559e2b, v[16:17]
	v_mul_f64_e32 v[40:41], v[32:33], v[34:35]
	v_fmaak_f64 v[38:39], v[34:35], v[38:39], 0x3fc7474dd7f4df2e
	s_delay_alu instid0(VALU_DEP_1) | instskip(NEXT) | instid1(VALU_DEP_1)
	v_fmaak_f64 v[38:39], v[34:35], v[38:39], 0x3fcc71c016291751
	v_fmaak_f64 v[38:39], v[34:35], v[38:39], 0x3fd249249b27acf1
	s_delay_alu instid0(VALU_DEP_1) | instskip(NEXT) | instid1(VALU_DEP_1)
	v_fmaak_f64 v[38:39], v[34:35], v[38:39], 0x3fd99999998ef7b6
	v_fmaak_f64 v[34:35], v[34:35], v[38:39], 0x3fe5555555555780
	v_ldexp_f64 v[38:39], v[32:33], 1
	v_add_f64_e64 v[32:33], v[32:33], -v[36:37]
	s_delay_alu instid0(VALU_DEP_3) | instskip(SKIP_1) | instid1(VALU_DEP_3)
	v_mul_f64_e32 v[34:35], v[40:41], v[34:35]
	v_cvt_f64_i32_e32 v[40:41], v44
	v_add_f64_e64 v[30:31], v[30:31], -v[32:33]
	s_delay_alu instid0(VALU_DEP_3) | instskip(NEXT) | instid1(VALU_DEP_3)
	v_add_f64_e32 v[36:37], v[38:39], v[34:35]
	v_mul_f64_e32 v[42:43], 0x3fe62e42fefa39ef, v[40:41]
	s_delay_alu instid0(VALU_DEP_3) | instskip(NEXT) | instid1(VALU_DEP_3)
	v_ldexp_f64 v[30:31], v[30:31], 1
	v_add_f64_e64 v[32:33], v[36:37], -v[38:39]
	s_delay_alu instid0(VALU_DEP_3) | instskip(NEXT) | instid1(VALU_DEP_2)
	v_fma_f64 v[38:39], v[40:41], s[14:15], -v[42:43]
	v_add_f64_e64 v[32:33], v[34:35], -v[32:33]
	s_delay_alu instid0(VALU_DEP_2) | instskip(NEXT) | instid1(VALU_DEP_2)
	v_fmac_f64_e32 v[38:39], 0x3c7abc9e3b39803f, v[40:41]
	v_add_f64_e32 v[30:31], v[30:31], v[32:33]
	s_delay_alu instid0(VALU_DEP_2) | instskip(NEXT) | instid1(VALU_DEP_2)
	v_add_f64_e32 v[32:33], v[42:43], v[38:39]
	v_add_f64_e32 v[34:35], v[36:37], v[30:31]
	s_delay_alu instid0(VALU_DEP_2) | instskip(NEXT) | instid1(VALU_DEP_2)
	v_add_f64_e64 v[42:43], v[32:33], -v[42:43]
	v_add_f64_e32 v[40:41], v[32:33], v[34:35]
	v_add_f64_e64 v[36:37], v[34:35], -v[36:37]
	s_delay_alu instid0(VALU_DEP_3) | instskip(NEXT) | instid1(VALU_DEP_3)
	v_add_f64_e64 v[38:39], v[38:39], -v[42:43]
	v_add_f64_e64 v[44:45], v[40:41], -v[32:33]
	s_delay_alu instid0(VALU_DEP_3) | instskip(NEXT) | instid1(VALU_DEP_2)
	v_add_f64_e64 v[30:31], v[30:31], -v[36:37]
	v_add_f64_e64 v[46:47], v[40:41], -v[44:45]
	;; [unrolled: 1-line block ×3, first 2 shown]
	s_delay_alu instid0(VALU_DEP_3) | instskip(NEXT) | instid1(VALU_DEP_3)
	v_add_f64_e32 v[36:37], v[38:39], v[30:31]
	v_add_f64_e64 v[32:33], v[32:33], -v[46:47]
	s_delay_alu instid0(VALU_DEP_1) | instskip(NEXT) | instid1(VALU_DEP_3)
	v_add_f64_e32 v[32:33], v[34:35], v[32:33]
	v_add_f64_e64 v[34:35], v[36:37], -v[38:39]
	s_delay_alu instid0(VALU_DEP_2) | instskip(NEXT) | instid1(VALU_DEP_2)
	v_add_f64_e32 v[32:33], v[36:37], v[32:33]
	v_add_f64_e64 v[36:37], v[36:37], -v[34:35]
	v_add_f64_e64 v[30:31], v[30:31], -v[34:35]
	s_delay_alu instid0(VALU_DEP_3) | instskip(NEXT) | instid1(VALU_DEP_3)
	v_add_f64_e32 v[42:43], v[40:41], v[32:33]
	v_add_f64_e64 v[34:35], v[38:39], -v[36:37]
	s_delay_alu instid0(VALU_DEP_2) | instskip(NEXT) | instid1(VALU_DEP_2)
	v_add_f64_e64 v[36:37], v[42:43], -v[40:41]
	v_add_f64_e32 v[30:31], v[30:31], v[34:35]
	s_delay_alu instid0(VALU_DEP_2) | instskip(NEXT) | instid1(VALU_DEP_1)
	v_add_f64_e64 v[32:33], v[32:33], -v[36:37]
	v_add_f64_e32 v[30:31], v[30:31], v[32:33]
	s_delay_alu instid0(VALU_DEP_1) | instskip(NEXT) | instid1(VALU_DEP_1)
	v_add_f64_e32 v[30:31], v[42:43], v[30:31]
	v_dual_cndmask_b32 v30, v30, v28, s4 :: v_dual_cndmask_b32 v31, v31, v29, s4
	v_cmp_ngt_f64_e64 s4, 0, v[28:29]
	s_delay_alu instid0(VALU_DEP_1) | instskip(SKIP_1) | instid1(VALU_DEP_1)
	v_cndmask_b32_e64 v31, 0x7ff80000, v31, s4
	v_cmp_nge_f64_e64 s4, 0, v[28:29]
	v_cndmask_b32_e64 v30, 0, v30, s4
	v_cmp_neq_f64_e64 s4, 0, v[28:29]
	s_delay_alu instid0(VALU_DEP_1)
	v_cndmask_b32_e64 v31, 0xfff00000, v31, s4
	global_store_b64 v[8:9], v[30:31], off
	s_wait_xcnt 0x0
	s_or_b32 exec_lo, exec_lo, s5
	s_and_saveexec_b32 s4, s3
	s_cbranch_execz .LBB171_13
.LBB171_17:                             ;   in Loop: Header=BB171_4 Depth=1
	s_wait_loadcnt 0x0
	v_frexp_mant_f64_e32 v[28:29], v[26:27]
	s_delay_alu instid0(VALU_DEP_1) | instskip(NEXT) | instid1(VALU_DEP_1)
	v_cmp_gt_f64_e64 s3, s[12:13], v[28:29]
	v_cndmask_b32_e64 v30, 0, 1, s3
	s_delay_alu instid0(VALU_DEP_1) | instskip(NEXT) | instid1(VALU_DEP_1)
	v_ldexp_f64 v[28:29], v[28:29], v30
	v_add_f64_e32 v[30:31], 1.0, v[28:29]
	v_add_f64_e32 v[36:37], -1.0, v[28:29]
	s_delay_alu instid0(VALU_DEP_2) | instskip(SKIP_1) | instid1(VALU_DEP_1)
	v_rcp_f64_e32 v[32:33], v[30:31]
	v_add_f64_e32 v[38:39], -1.0, v[30:31]
	v_add_f64_e64 v[28:29], v[28:29], -v[38:39]
	s_delay_alu instid0(TRANS32_DEP_1) | instskip(NEXT) | instid1(VALU_DEP_1)
	v_fma_f64 v[34:35], -v[30:31], v[32:33], 1.0
	v_fmac_f64_e32 v[32:33], v[34:35], v[32:33]
	s_delay_alu instid0(VALU_DEP_1) | instskip(NEXT) | instid1(VALU_DEP_1)
	v_fma_f64 v[34:35], -v[30:31], v[32:33], 1.0
	v_fmac_f64_e32 v[32:33], v[34:35], v[32:33]
	s_delay_alu instid0(VALU_DEP_1) | instskip(NEXT) | instid1(VALU_DEP_1)
	v_mul_f64_e32 v[34:35], v[36:37], v[32:33]
	v_mul_f64_e32 v[40:41], v[30:31], v[34:35]
	s_delay_alu instid0(VALU_DEP_1) | instskip(NEXT) | instid1(VALU_DEP_1)
	v_fma_f64 v[30:31], v[34:35], v[30:31], -v[40:41]
	v_fmac_f64_e32 v[30:31], v[34:35], v[28:29]
	s_delay_alu instid0(VALU_DEP_1) | instskip(NEXT) | instid1(VALU_DEP_1)
	v_add_f64_e32 v[28:29], v[40:41], v[30:31]
	v_add_f64_e64 v[38:39], v[36:37], -v[28:29]
	v_add_f64_e64 v[40:41], v[28:29], -v[40:41]
	s_delay_alu instid0(VALU_DEP_2) | instskip(NEXT) | instid1(VALU_DEP_2)
	v_add_f64_e64 v[36:37], v[36:37], -v[38:39]
	v_add_f64_e64 v[30:31], v[40:41], -v[30:31]
	v_frexp_exp_i32_f64_e32 v40, v[26:27]
	s_delay_alu instid0(VALU_DEP_3) | instskip(NEXT) | instid1(VALU_DEP_1)
	v_add_f64_e64 v[28:29], v[36:37], -v[28:29]
	v_add_f64_e32 v[28:29], v[30:31], v[28:29]
	s_delay_alu instid0(VALU_DEP_1) | instskip(NEXT) | instid1(VALU_DEP_1)
	v_add_f64_e32 v[28:29], v[38:39], v[28:29]
	v_mul_f64_e32 v[28:29], v[32:33], v[28:29]
	s_delay_alu instid0(VALU_DEP_1) | instskip(NEXT) | instid1(VALU_DEP_1)
	v_add_f64_e32 v[30:31], v[34:35], v[28:29]
	v_mul_f64_e32 v[32:33], v[30:31], v[30:31]
	s_delay_alu instid0(VALU_DEP_1) | instskip(SKIP_1) | instid1(VALU_DEP_2)
	v_fmamk_f64 v[36:37], v[32:33], 0x3fc3ab76bf559e2b, v[16:17]
	v_mul_f64_e32 v[38:39], v[30:31], v[32:33]
	v_fmaak_f64 v[36:37], v[32:33], v[36:37], 0x3fc7474dd7f4df2e
	s_delay_alu instid0(VALU_DEP_1) | instskip(NEXT) | instid1(VALU_DEP_1)
	v_fmaak_f64 v[36:37], v[32:33], v[36:37], 0x3fcc71c016291751
	v_fmaak_f64 v[36:37], v[32:33], v[36:37], 0x3fd249249b27acf1
	s_delay_alu instid0(VALU_DEP_1) | instskip(NEXT) | instid1(VALU_DEP_1)
	v_fmaak_f64 v[36:37], v[32:33], v[36:37], 0x3fd99999998ef7b6
	v_fmaak_f64 v[32:33], v[32:33], v[36:37], 0x3fe5555555555780
	v_ldexp_f64 v[36:37], v[30:31], 1
	v_add_f64_e64 v[30:31], v[30:31], -v[34:35]
	s_delay_alu instid0(VALU_DEP_3) | instskip(SKIP_2) | instid1(VALU_DEP_2)
	v_mul_f64_e32 v[32:33], v[38:39], v[32:33]
	v_subrev_co_ci_u32_e64 v38, null, 0, v40, s3
	v_cmp_class_f64_e64 s3, v[26:27], 0x204
	v_cvt_f64_i32_e32 v[38:39], v38
	v_add_f64_e64 v[28:29], v[28:29], -v[30:31]
	v_add_f64_e32 v[34:35], v[36:37], v[32:33]
	s_delay_alu instid0(VALU_DEP_3) | instskip(NEXT) | instid1(VALU_DEP_3)
	v_mul_f64_e32 v[40:41], 0x3fe62e42fefa39ef, v[38:39]
	v_ldexp_f64 v[28:29], v[28:29], 1
	s_delay_alu instid0(VALU_DEP_3) | instskip(NEXT) | instid1(VALU_DEP_3)
	v_add_f64_e64 v[30:31], v[34:35], -v[36:37]
	v_fma_f64 v[36:37], v[38:39], s[14:15], -v[40:41]
	s_delay_alu instid0(VALU_DEP_2) | instskip(NEXT) | instid1(VALU_DEP_2)
	v_add_f64_e64 v[30:31], v[32:33], -v[30:31]
	v_fmac_f64_e32 v[36:37], 0x3c7abc9e3b39803f, v[38:39]
	s_delay_alu instid0(VALU_DEP_2) | instskip(NEXT) | instid1(VALU_DEP_2)
	v_add_f64_e32 v[28:29], v[28:29], v[30:31]
	v_add_f64_e32 v[30:31], v[40:41], v[36:37]
	s_delay_alu instid0(VALU_DEP_2) | instskip(NEXT) | instid1(VALU_DEP_2)
	v_add_f64_e32 v[32:33], v[34:35], v[28:29]
	v_add_f64_e64 v[40:41], v[30:31], -v[40:41]
	s_delay_alu instid0(VALU_DEP_2) | instskip(SKIP_1) | instid1(VALU_DEP_3)
	v_add_f64_e32 v[38:39], v[30:31], v[32:33]
	v_add_f64_e64 v[34:35], v[32:33], -v[34:35]
	v_add_f64_e64 v[36:37], v[36:37], -v[40:41]
	s_delay_alu instid0(VALU_DEP_3) | instskip(NEXT) | instid1(VALU_DEP_3)
	v_add_f64_e64 v[42:43], v[38:39], -v[30:31]
	v_add_f64_e64 v[28:29], v[28:29], -v[34:35]
	s_delay_alu instid0(VALU_DEP_2) | instskip(SKIP_1) | instid1(VALU_DEP_3)
	v_add_f64_e64 v[44:45], v[38:39], -v[42:43]
	v_add_f64_e64 v[32:33], v[32:33], -v[42:43]
	v_add_f64_e32 v[34:35], v[36:37], v[28:29]
	s_delay_alu instid0(VALU_DEP_3) | instskip(NEXT) | instid1(VALU_DEP_1)
	v_add_f64_e64 v[30:31], v[30:31], -v[44:45]
	v_add_f64_e32 v[30:31], v[32:33], v[30:31]
	s_delay_alu instid0(VALU_DEP_3) | instskip(NEXT) | instid1(VALU_DEP_2)
	v_add_f64_e64 v[32:33], v[34:35], -v[36:37]
	v_add_f64_e32 v[30:31], v[34:35], v[30:31]
	s_delay_alu instid0(VALU_DEP_2) | instskip(SKIP_1) | instid1(VALU_DEP_3)
	v_add_f64_e64 v[34:35], v[34:35], -v[32:33]
	v_add_f64_e64 v[28:29], v[28:29], -v[32:33]
	v_add_f64_e32 v[40:41], v[38:39], v[30:31]
	s_delay_alu instid0(VALU_DEP_3) | instskip(NEXT) | instid1(VALU_DEP_2)
	v_add_f64_e64 v[32:33], v[36:37], -v[34:35]
	v_add_f64_e64 v[34:35], v[40:41], -v[38:39]
	s_delay_alu instid0(VALU_DEP_2) | instskip(NEXT) | instid1(VALU_DEP_2)
	v_add_f64_e32 v[28:29], v[28:29], v[32:33]
	v_add_f64_e64 v[30:31], v[30:31], -v[34:35]
	s_delay_alu instid0(VALU_DEP_1) | instskip(NEXT) | instid1(VALU_DEP_1)
	v_add_f64_e32 v[28:29], v[28:29], v[30:31]
	v_add_f64_e32 v[28:29], v[40:41], v[28:29]
	s_delay_alu instid0(VALU_DEP_1) | instskip(SKIP_1) | instid1(VALU_DEP_1)
	v_dual_cndmask_b32 v28, v28, v26, s3 :: v_dual_cndmask_b32 v29, v29, v27, s3
	v_cmp_ngt_f64_e64 s3, 0, v[26:27]
	v_cndmask_b32_e64 v29, 0x7ff80000, v29, s3
	v_cmp_nge_f64_e64 s3, 0, v[26:27]
	s_delay_alu instid0(VALU_DEP_1) | instskip(SKIP_1) | instid1(VALU_DEP_1)
	v_cndmask_b32_e64 v28, 0, v28, s3
	v_cmp_neq_f64_e64 s3, 0, v[26:27]
	v_cndmask_b32_e64 v29, 0xfff00000, v29, s3
	global_store_b64 v[14:15], v[28:29], off
	s_wait_xcnt 0x0
	s_or_b32 exec_lo, exec_lo, s4
	s_and_saveexec_b32 s3, s2
	s_cbranch_execz .LBB171_14
.LBB171_18:                             ;   in Loop: Header=BB171_4 Depth=1
	s_wait_loadcnt 0x0
	v_frexp_mant_f64_e32 v[26:27], v[24:25]
	s_delay_alu instid0(VALU_DEP_1) | instskip(NEXT) | instid1(VALU_DEP_1)
	v_cmp_gt_f64_e64 s2, s[12:13], v[26:27]
	v_cndmask_b32_e64 v28, 0, 1, s2
	s_delay_alu instid0(VALU_DEP_1) | instskip(NEXT) | instid1(VALU_DEP_1)
	v_ldexp_f64 v[26:27], v[26:27], v28
	v_add_f64_e32 v[28:29], 1.0, v[26:27]
	v_add_f64_e32 v[34:35], -1.0, v[26:27]
	s_delay_alu instid0(VALU_DEP_2) | instskip(SKIP_1) | instid1(VALU_DEP_1)
	v_rcp_f64_e32 v[30:31], v[28:29]
	v_add_f64_e32 v[36:37], -1.0, v[28:29]
	v_add_f64_e64 v[26:27], v[26:27], -v[36:37]
	s_delay_alu instid0(TRANS32_DEP_1) | instskip(NEXT) | instid1(VALU_DEP_1)
	v_fma_f64 v[32:33], -v[28:29], v[30:31], 1.0
	v_fmac_f64_e32 v[30:31], v[32:33], v[30:31]
	s_delay_alu instid0(VALU_DEP_1) | instskip(NEXT) | instid1(VALU_DEP_1)
	v_fma_f64 v[32:33], -v[28:29], v[30:31], 1.0
	v_fmac_f64_e32 v[30:31], v[32:33], v[30:31]
	s_delay_alu instid0(VALU_DEP_1) | instskip(NEXT) | instid1(VALU_DEP_1)
	v_mul_f64_e32 v[32:33], v[34:35], v[30:31]
	v_mul_f64_e32 v[38:39], v[28:29], v[32:33]
	s_delay_alu instid0(VALU_DEP_1) | instskip(NEXT) | instid1(VALU_DEP_1)
	v_fma_f64 v[28:29], v[32:33], v[28:29], -v[38:39]
	v_fmac_f64_e32 v[28:29], v[32:33], v[26:27]
	s_delay_alu instid0(VALU_DEP_1) | instskip(NEXT) | instid1(VALU_DEP_1)
	v_add_f64_e32 v[26:27], v[38:39], v[28:29]
	v_add_f64_e64 v[36:37], v[34:35], -v[26:27]
	v_add_f64_e64 v[38:39], v[26:27], -v[38:39]
	s_delay_alu instid0(VALU_DEP_2) | instskip(NEXT) | instid1(VALU_DEP_2)
	v_add_f64_e64 v[34:35], v[34:35], -v[36:37]
	v_add_f64_e64 v[28:29], v[38:39], -v[28:29]
	v_frexp_exp_i32_f64_e32 v38, v[24:25]
	s_delay_alu instid0(VALU_DEP_3) | instskip(NEXT) | instid1(VALU_DEP_1)
	v_add_f64_e64 v[26:27], v[34:35], -v[26:27]
	v_add_f64_e32 v[26:27], v[28:29], v[26:27]
	s_delay_alu instid0(VALU_DEP_1) | instskip(NEXT) | instid1(VALU_DEP_1)
	v_add_f64_e32 v[26:27], v[36:37], v[26:27]
	v_mul_f64_e32 v[26:27], v[30:31], v[26:27]
	s_delay_alu instid0(VALU_DEP_1) | instskip(NEXT) | instid1(VALU_DEP_1)
	v_add_f64_e32 v[28:29], v[32:33], v[26:27]
	v_mul_f64_e32 v[30:31], v[28:29], v[28:29]
	s_delay_alu instid0(VALU_DEP_1) | instskip(SKIP_1) | instid1(VALU_DEP_2)
	v_fmamk_f64 v[34:35], v[30:31], 0x3fc3ab76bf559e2b, v[16:17]
	v_mul_f64_e32 v[36:37], v[28:29], v[30:31]
	v_fmaak_f64 v[34:35], v[30:31], v[34:35], 0x3fc7474dd7f4df2e
	s_delay_alu instid0(VALU_DEP_1) | instskip(NEXT) | instid1(VALU_DEP_1)
	v_fmaak_f64 v[34:35], v[30:31], v[34:35], 0x3fcc71c016291751
	v_fmaak_f64 v[34:35], v[30:31], v[34:35], 0x3fd249249b27acf1
	s_delay_alu instid0(VALU_DEP_1) | instskip(NEXT) | instid1(VALU_DEP_1)
	v_fmaak_f64 v[34:35], v[30:31], v[34:35], 0x3fd99999998ef7b6
	v_fmaak_f64 v[30:31], v[30:31], v[34:35], 0x3fe5555555555780
	v_ldexp_f64 v[34:35], v[28:29], 1
	v_add_f64_e64 v[28:29], v[28:29], -v[32:33]
	s_delay_alu instid0(VALU_DEP_3) | instskip(SKIP_2) | instid1(VALU_DEP_2)
	v_mul_f64_e32 v[30:31], v[36:37], v[30:31]
	v_subrev_co_ci_u32_e64 v36, null, 0, v38, s2
	v_cmp_class_f64_e64 s2, v[24:25], 0x204
	v_cvt_f64_i32_e32 v[36:37], v36
	v_add_f64_e64 v[26:27], v[26:27], -v[28:29]
	v_add_f64_e32 v[32:33], v[34:35], v[30:31]
	s_delay_alu instid0(VALU_DEP_3) | instskip(NEXT) | instid1(VALU_DEP_3)
	v_mul_f64_e32 v[38:39], 0x3fe62e42fefa39ef, v[36:37]
	v_ldexp_f64 v[26:27], v[26:27], 1
	s_delay_alu instid0(VALU_DEP_3) | instskip(NEXT) | instid1(VALU_DEP_3)
	v_add_f64_e64 v[28:29], v[32:33], -v[34:35]
	v_fma_f64 v[34:35], v[36:37], s[14:15], -v[38:39]
	s_delay_alu instid0(VALU_DEP_2) | instskip(NEXT) | instid1(VALU_DEP_2)
	v_add_f64_e64 v[28:29], v[30:31], -v[28:29]
	v_fmac_f64_e32 v[34:35], 0x3c7abc9e3b39803f, v[36:37]
	s_delay_alu instid0(VALU_DEP_2) | instskip(NEXT) | instid1(VALU_DEP_2)
	v_add_f64_e32 v[26:27], v[26:27], v[28:29]
	v_add_f64_e32 v[28:29], v[38:39], v[34:35]
	s_delay_alu instid0(VALU_DEP_2) | instskip(NEXT) | instid1(VALU_DEP_2)
	v_add_f64_e32 v[30:31], v[32:33], v[26:27]
	v_add_f64_e64 v[38:39], v[28:29], -v[38:39]
	s_delay_alu instid0(VALU_DEP_2) | instskip(SKIP_1) | instid1(VALU_DEP_3)
	v_add_f64_e32 v[36:37], v[28:29], v[30:31]
	v_add_f64_e64 v[32:33], v[30:31], -v[32:33]
	v_add_f64_e64 v[34:35], v[34:35], -v[38:39]
	s_delay_alu instid0(VALU_DEP_3) | instskip(NEXT) | instid1(VALU_DEP_3)
	v_add_f64_e64 v[40:41], v[36:37], -v[28:29]
	v_add_f64_e64 v[26:27], v[26:27], -v[32:33]
	s_delay_alu instid0(VALU_DEP_2) | instskip(SKIP_1) | instid1(VALU_DEP_3)
	v_add_f64_e64 v[42:43], v[36:37], -v[40:41]
	v_add_f64_e64 v[30:31], v[30:31], -v[40:41]
	v_add_f64_e32 v[32:33], v[34:35], v[26:27]
	s_delay_alu instid0(VALU_DEP_3) | instskip(NEXT) | instid1(VALU_DEP_1)
	v_add_f64_e64 v[28:29], v[28:29], -v[42:43]
	v_add_f64_e32 v[28:29], v[30:31], v[28:29]
	s_delay_alu instid0(VALU_DEP_3) | instskip(NEXT) | instid1(VALU_DEP_2)
	v_add_f64_e64 v[30:31], v[32:33], -v[34:35]
	v_add_f64_e32 v[28:29], v[32:33], v[28:29]
	s_delay_alu instid0(VALU_DEP_2) | instskip(SKIP_1) | instid1(VALU_DEP_3)
	v_add_f64_e64 v[32:33], v[32:33], -v[30:31]
	v_add_f64_e64 v[26:27], v[26:27], -v[30:31]
	v_add_f64_e32 v[38:39], v[36:37], v[28:29]
	s_delay_alu instid0(VALU_DEP_3) | instskip(NEXT) | instid1(VALU_DEP_2)
	v_add_f64_e64 v[30:31], v[34:35], -v[32:33]
	v_add_f64_e64 v[32:33], v[38:39], -v[36:37]
	s_delay_alu instid0(VALU_DEP_2) | instskip(NEXT) | instid1(VALU_DEP_2)
	v_add_f64_e32 v[26:27], v[26:27], v[30:31]
	v_add_f64_e64 v[28:29], v[28:29], -v[32:33]
	s_delay_alu instid0(VALU_DEP_1) | instskip(NEXT) | instid1(VALU_DEP_1)
	v_add_f64_e32 v[26:27], v[26:27], v[28:29]
	v_add_f64_e32 v[26:27], v[38:39], v[26:27]
	s_delay_alu instid0(VALU_DEP_1) | instskip(SKIP_1) | instid1(VALU_DEP_1)
	v_dual_cndmask_b32 v26, v26, v24, s2 :: v_dual_cndmask_b32 v27, v27, v25, s2
	v_cmp_ngt_f64_e64 s2, 0, v[24:25]
	v_cndmask_b32_e64 v27, 0x7ff80000, v27, s2
	v_cmp_nge_f64_e64 s2, 0, v[24:25]
	s_delay_alu instid0(VALU_DEP_1) | instskip(SKIP_1) | instid1(VALU_DEP_1)
	v_cndmask_b32_e64 v26, 0, v26, s2
	v_cmp_neq_f64_e64 s2, 0, v[24:25]
	v_cndmask_b32_e64 v27, 0xfff00000, v27, s2
	global_store_b64 v[22:23], v[26:27], off
	s_wait_xcnt 0x0
	s_or_b32 exec_lo, exec_lo, s3
	s_and_saveexec_b32 s2, vcc_lo
	s_cbranch_execz .LBB171_3
.LBB171_19:                             ;   in Loop: Header=BB171_4 Depth=1
	s_wait_loadcnt 0x0
	v_frexp_mant_f64_e32 v[22:23], v[18:19]
	s_delay_alu instid0(VALU_DEP_1) | instskip(SKIP_1) | instid1(VALU_DEP_1)
	v_cmp_gt_f64_e32 vcc_lo, s[12:13], v[22:23]
	v_cndmask_b32_e64 v24, 0, 1, vcc_lo
	v_ldexp_f64 v[22:23], v[22:23], v24
	s_delay_alu instid0(VALU_DEP_1) | instskip(SKIP_1) | instid1(VALU_DEP_2)
	v_add_f64_e32 v[24:25], 1.0, v[22:23]
	v_add_f64_e32 v[30:31], -1.0, v[22:23]
	v_rcp_f64_e32 v[26:27], v[24:25]
	v_add_f64_e32 v[32:33], -1.0, v[24:25]
	s_delay_alu instid0(VALU_DEP_1) | instskip(NEXT) | instid1(TRANS32_DEP_1)
	v_add_f64_e64 v[22:23], v[22:23], -v[32:33]
	v_fma_f64 v[28:29], -v[24:25], v[26:27], 1.0
	s_delay_alu instid0(VALU_DEP_1) | instskip(NEXT) | instid1(VALU_DEP_1)
	v_fmac_f64_e32 v[26:27], v[28:29], v[26:27]
	v_fma_f64 v[28:29], -v[24:25], v[26:27], 1.0
	s_delay_alu instid0(VALU_DEP_1) | instskip(NEXT) | instid1(VALU_DEP_1)
	v_fmac_f64_e32 v[26:27], v[28:29], v[26:27]
	v_mul_f64_e32 v[28:29], v[30:31], v[26:27]
	s_delay_alu instid0(VALU_DEP_1) | instskip(NEXT) | instid1(VALU_DEP_1)
	v_mul_f64_e32 v[34:35], v[24:25], v[28:29]
	v_fma_f64 v[24:25], v[28:29], v[24:25], -v[34:35]
	s_delay_alu instid0(VALU_DEP_1) | instskip(NEXT) | instid1(VALU_DEP_1)
	v_fmac_f64_e32 v[24:25], v[28:29], v[22:23]
	v_add_f64_e32 v[22:23], v[34:35], v[24:25]
	s_delay_alu instid0(VALU_DEP_1) | instskip(SKIP_1) | instid1(VALU_DEP_2)
	v_add_f64_e64 v[32:33], v[30:31], -v[22:23]
	v_add_f64_e64 v[34:35], v[22:23], -v[34:35]
	;; [unrolled: 1-line block ×3, first 2 shown]
	s_delay_alu instid0(VALU_DEP_2) | instskip(SKIP_1) | instid1(VALU_DEP_3)
	v_add_f64_e64 v[24:25], v[34:35], -v[24:25]
	v_frexp_exp_i32_f64_e32 v34, v[18:19]
	v_add_f64_e64 v[22:23], v[30:31], -v[22:23]
	s_delay_alu instid0(VALU_DEP_1) | instskip(NEXT) | instid1(VALU_DEP_1)
	v_add_f64_e32 v[22:23], v[24:25], v[22:23]
	v_add_f64_e32 v[22:23], v[32:33], v[22:23]
	s_delay_alu instid0(VALU_DEP_1) | instskip(NEXT) | instid1(VALU_DEP_1)
	v_mul_f64_e32 v[22:23], v[26:27], v[22:23]
	v_add_f64_e32 v[24:25], v[28:29], v[22:23]
	s_delay_alu instid0(VALU_DEP_1) | instskip(NEXT) | instid1(VALU_DEP_1)
	v_mul_f64_e32 v[26:27], v[24:25], v[24:25]
	v_fmamk_f64 v[30:31], v[26:27], 0x3fc3ab76bf559e2b, v[16:17]
	v_mul_f64_e32 v[32:33], v[24:25], v[26:27]
	s_delay_alu instid0(VALU_DEP_2) | instskip(NEXT) | instid1(VALU_DEP_1)
	v_fmaak_f64 v[30:31], v[26:27], v[30:31], 0x3fc7474dd7f4df2e
	v_fmaak_f64 v[30:31], v[26:27], v[30:31], 0x3fcc71c016291751
	s_delay_alu instid0(VALU_DEP_1) | instskip(NEXT) | instid1(VALU_DEP_1)
	v_fmaak_f64 v[30:31], v[26:27], v[30:31], 0x3fd249249b27acf1
	v_fmaak_f64 v[30:31], v[26:27], v[30:31], 0x3fd99999998ef7b6
	s_delay_alu instid0(VALU_DEP_1) | instskip(SKIP_2) | instid1(VALU_DEP_3)
	v_fmaak_f64 v[26:27], v[26:27], v[30:31], 0x3fe5555555555780
	v_ldexp_f64 v[30:31], v[24:25], 1
	v_add_f64_e64 v[24:25], v[24:25], -v[28:29]
	v_mul_f64_e32 v[26:27], v[32:33], v[26:27]
	v_subrev_co_ci_u32_e64 v32, null, 0, v34, vcc_lo
	v_cmp_class_f64_e64 vcc_lo, v[18:19], 0x204
	s_delay_alu instid0(VALU_DEP_2) | instskip(SKIP_2) | instid1(VALU_DEP_3)
	v_cvt_f64_i32_e32 v[32:33], v32
	v_add_f64_e64 v[22:23], v[22:23], -v[24:25]
	v_add_f64_e32 v[28:29], v[30:31], v[26:27]
	v_mul_f64_e32 v[34:35], 0x3fe62e42fefa39ef, v[32:33]
	s_delay_alu instid0(VALU_DEP_3) | instskip(NEXT) | instid1(VALU_DEP_3)
	v_ldexp_f64 v[22:23], v[22:23], 1
	v_add_f64_e64 v[24:25], v[28:29], -v[30:31]
	s_delay_alu instid0(VALU_DEP_3) | instskip(NEXT) | instid1(VALU_DEP_2)
	v_fma_f64 v[30:31], v[32:33], s[14:15], -v[34:35]
	v_add_f64_e64 v[24:25], v[26:27], -v[24:25]
	s_delay_alu instid0(VALU_DEP_2) | instskip(NEXT) | instid1(VALU_DEP_2)
	v_fmac_f64_e32 v[30:31], 0x3c7abc9e3b39803f, v[32:33]
	v_add_f64_e32 v[22:23], v[22:23], v[24:25]
	s_delay_alu instid0(VALU_DEP_2) | instskip(NEXT) | instid1(VALU_DEP_2)
	v_add_f64_e32 v[24:25], v[34:35], v[30:31]
	v_add_f64_e32 v[26:27], v[28:29], v[22:23]
	s_delay_alu instid0(VALU_DEP_2) | instskip(NEXT) | instid1(VALU_DEP_2)
	v_add_f64_e64 v[34:35], v[24:25], -v[34:35]
	v_add_f64_e32 v[32:33], v[24:25], v[26:27]
	v_add_f64_e64 v[28:29], v[26:27], -v[28:29]
	s_delay_alu instid0(VALU_DEP_3) | instskip(NEXT) | instid1(VALU_DEP_3)
	v_add_f64_e64 v[30:31], v[30:31], -v[34:35]
	v_add_f64_e64 v[36:37], v[32:33], -v[24:25]
	s_delay_alu instid0(VALU_DEP_3) | instskip(NEXT) | instid1(VALU_DEP_2)
	v_add_f64_e64 v[22:23], v[22:23], -v[28:29]
	v_add_f64_e64 v[38:39], v[32:33], -v[36:37]
	;; [unrolled: 1-line block ×3, first 2 shown]
	s_delay_alu instid0(VALU_DEP_3) | instskip(NEXT) | instid1(VALU_DEP_3)
	v_add_f64_e32 v[28:29], v[30:31], v[22:23]
	v_add_f64_e64 v[24:25], v[24:25], -v[38:39]
	s_delay_alu instid0(VALU_DEP_1) | instskip(NEXT) | instid1(VALU_DEP_3)
	v_add_f64_e32 v[24:25], v[26:27], v[24:25]
	v_add_f64_e64 v[26:27], v[28:29], -v[30:31]
	s_delay_alu instid0(VALU_DEP_2) | instskip(NEXT) | instid1(VALU_DEP_2)
	v_add_f64_e32 v[24:25], v[28:29], v[24:25]
	v_add_f64_e64 v[28:29], v[28:29], -v[26:27]
	v_add_f64_e64 v[22:23], v[22:23], -v[26:27]
	s_delay_alu instid0(VALU_DEP_3) | instskip(NEXT) | instid1(VALU_DEP_3)
	v_add_f64_e32 v[34:35], v[32:33], v[24:25]
	v_add_f64_e64 v[26:27], v[30:31], -v[28:29]
	s_delay_alu instid0(VALU_DEP_2) | instskip(NEXT) | instid1(VALU_DEP_2)
	v_add_f64_e64 v[28:29], v[34:35], -v[32:33]
	v_add_f64_e32 v[22:23], v[22:23], v[26:27]
	s_delay_alu instid0(VALU_DEP_2) | instskip(NEXT) | instid1(VALU_DEP_1)
	v_add_f64_e64 v[24:25], v[24:25], -v[28:29]
	v_add_f64_e32 v[22:23], v[22:23], v[24:25]
	s_delay_alu instid0(VALU_DEP_1) | instskip(NEXT) | instid1(VALU_DEP_1)
	v_add_f64_e32 v[22:23], v[34:35], v[22:23]
	v_dual_cndmask_b32 v22, v22, v18 :: v_dual_cndmask_b32 v23, v23, v19
	v_cmp_ngt_f64_e32 vcc_lo, 0, v[18:19]
	s_delay_alu instid0(VALU_DEP_2) | instskip(SKIP_1) | instid1(VALU_DEP_4)
	v_cndmask_b32_e32 v23, 0x7ff80000, v23, vcc_lo
	v_cmp_nge_f64_e32 vcc_lo, 0, v[18:19]
	v_cndmask_b32_e32 v22, 0, v22, vcc_lo
	v_cmp_neq_f64_e32 vcc_lo, 0, v[18:19]
	s_delay_alu instid0(VALU_DEP_4)
	v_cndmask_b32_e32 v23, 0xfff00000, v23, vcc_lo
	global_store_b64 v[20:21], v[22:23], off
	s_branch .LBB171_3
.LBB171_20:
	s_cbranch_execz .LBB171_22
	s_branch .LBB171_25
.LBB171_21:
.LBB171_22:
	v_min_i64 v[10:11], 0x10000, s[10:11]
	v_dual_mov_b32 v3, 0 :: v_dual_lshlrev_b32 v2, 2, v0
	s_mov_b32 s2, exec_lo
	s_delay_alu instid0(VALU_DEP_1)
	v_cmpx_lt_i64_e64 v[2:3], v[10:11]
	s_cbranch_execz .LBB171_25
; %bb.23:
	s_load_b32 s2, s[0:1], 0xd3c
	v_dual_mov_b32 v1, v3 :: v_dual_lshlrev_b32 v2, 5, v0
	s_wait_xcnt 0x0
	s_add_nc_u64 s[0:1], s[6:7], s[8:9]
	v_mov_b64_e32 v[12:13], 0x3fc385386b47b09a
	s_mov_b32 s9, 0
	v_add_nc_u64_e32 v[4:5], s[0:1], v[2:3]
	s_mov_b64 s[4:5], 0x3fe5555555555555
	s_mov_b64 s[6:7], 0x3fe62e42fefa39ef
	s_mov_b32 s11, s9
	s_mov_b32 s3, s9
                                        ; implicit-def: $vgpr2_vgpr3
                                        ; implicit-def: $vgpr2_vgpr3
	;; [unrolled: 1-line block ×5, first 2 shown]
	s_delay_alu instid0(VALU_DEP_1) | instskip(SKIP_2) | instid1(SALU_CYCLE_1)
	v_add_nc_u64_e32 v[14:15], 16, v[4:5]
	s_wait_kmcnt 0x0
	s_and_b32 s8, s2, 0xffff
	s_lshl_b32 s10, s8, 5
.LBB171_24:                             ; =>This Inner Loop Header: Depth=1
	s_clause 0x1
	global_load_b128 v[6:9], v[14:15], off offset:-16
	global_load_b128 v[2:5], v[14:15], off
	v_add_nc_u64_e32 v[0:1], s[8:9], v[0:1]
	s_wait_loadcnt 0x1
	v_frexp_mant_f64_e32 v[16:17], v[6:7]
	v_frexp_mant_f64_e32 v[18:19], v[8:9]
	s_wait_loadcnt 0x0
	v_frexp_mant_f64_e32 v[22:23], v[4:5]
	s_delay_alu instid0(VALU_DEP_3) | instskip(NEXT) | instid1(VALU_DEP_3)
	v_cmp_gt_f64_e32 vcc_lo, s[4:5], v[16:17]
	v_cmp_gt_f64_e64 s0, s[4:5], v[18:19]
	s_delay_alu instid0(VALU_DEP_3) | instskip(SKIP_1) | instid1(VALU_DEP_3)
	v_cmp_gt_f64_e64 s2, s[4:5], v[22:23]
	v_cndmask_b32_e64 v20, 0, 1, vcc_lo
	v_cndmask_b32_e64 v21, 0, 1, s0
	s_delay_alu instid0(VALU_DEP_3) | instskip(NEXT) | instid1(VALU_DEP_3)
	v_cndmask_b32_e64 v30, 0, 1, s2
	v_ldexp_f64 v[16:17], v[16:17], v20
	s_delay_alu instid0(VALU_DEP_3) | instskip(SKIP_1) | instid1(VALU_DEP_4)
	v_ldexp_f64 v[18:19], v[18:19], v21
	v_frexp_mant_f64_e32 v[20:21], v[2:3]
	v_ldexp_f64 v[22:23], v[22:23], v30
	s_delay_alu instid0(VALU_DEP_4) | instskip(NEXT) | instid1(VALU_DEP_4)
	v_add_f64_e32 v[24:25], 1.0, v[16:17]
	v_add_f64_e32 v[26:27], 1.0, v[18:19]
	s_delay_alu instid0(VALU_DEP_4) | instskip(NEXT) | instid1(VALU_DEP_4)
	v_cmp_gt_f64_e64 s1, s[4:5], v[20:21]
	v_add_f64_e32 v[34:35], 1.0, v[22:23]
	s_delay_alu instid0(VALU_DEP_3) | instskip(NEXT) | instid1(VALU_DEP_2)
	v_rcp_f64_e32 v[30:31], v[26:27]
	v_cndmask_b32_e64 v28, 0, 1, s1
	s_delay_alu instid0(VALU_DEP_2) | instskip(SKIP_1) | instid1(VALU_DEP_2)
	v_rcp_f64_e32 v[42:43], v[34:35]
	v_add_f64_e32 v[50:51], -1.0, v[26:27]
	v_ldexp_f64 v[20:21], v[20:21], v28
	v_rcp_f64_e32 v[28:29], v[24:25]
	s_delay_alu instid0(VALU_DEP_1) | instskip(NEXT) | instid1(TRANS32_DEP_3)
	v_add_f64_e32 v[32:33], 1.0, v[20:21]
	v_fma_f64 v[38:39], -v[26:27], v[30:31], 1.0
	s_delay_alu instid0(TRANS32_DEP_2) | instskip(SKIP_1) | instid1(TRANS32_DEP_1)
	v_fma_f64 v[44:45], -v[34:35], v[42:43], 1.0
	v_add_f64_e32 v[56:57], -1.0, v[20:21]
	v_fma_f64 v[36:37], -v[24:25], v[28:29], 1.0
	v_rcp_f64_e32 v[40:41], v[32:33]
	s_delay_alu instid0(VALU_DEP_4) | instskip(NEXT) | instid1(VALU_DEP_4)
	v_fmac_f64_e32 v[30:31], v[38:39], v[30:31]
	v_fmac_f64_e32 v[42:43], v[44:45], v[42:43]
	v_add_f64_e32 v[58:59], -1.0, v[32:33]
	s_delay_alu instid0(VALU_DEP_4) | instskip(NEXT) | instid1(VALU_DEP_4)
	v_fmac_f64_e32 v[28:29], v[36:37], v[28:29]
	v_fma_f64 v[46:47], -v[26:27], v[30:31], 1.0
	s_delay_alu instid0(VALU_DEP_4) | instskip(NEXT) | instid1(VALU_DEP_4)
	v_fma_f64 v[52:53], -v[34:35], v[42:43], 1.0
	v_add_f64_e64 v[20:21], v[20:21], -v[58:59]
	s_delay_alu instid0(TRANS32_DEP_1)
	v_fma_f64 v[36:37], -v[32:33], v[40:41], 1.0
	v_fma_f64 v[38:39], -v[24:25], v[28:29], 1.0
	v_fmac_f64_e32 v[30:31], v[46:47], v[30:31]
	v_fmac_f64_e32 v[42:43], v[52:53], v[42:43]
	v_add_f64_e32 v[52:53], -1.0, v[22:23]
	v_fmac_f64_e32 v[40:41], v[36:37], v[40:41]
	v_add_f64_e32 v[36:37], -1.0, v[18:19]
	v_add_f64_e64 v[18:19], v[18:19], -v[50:51]
	v_fmac_f64_e32 v[28:29], v[38:39], v[28:29]
	s_delay_alu instid0(VALU_DEP_4) | instskip(NEXT) | instid1(VALU_DEP_4)
	v_fma_f64 v[44:45], -v[32:33], v[40:41], 1.0
	v_mul_f64_e32 v[54:55], v[36:37], v[30:31]
	s_delay_alu instid0(VALU_DEP_2) | instskip(SKIP_1) | instid1(VALU_DEP_3)
	v_fmac_f64_e32 v[40:41], v[44:45], v[40:41]
	v_add_f64_e32 v[44:45], -1.0, v[34:35]
	v_mul_f64_e32 v[50:51], v[26:27], v[54:55]
	s_delay_alu instid0(VALU_DEP_3) | instskip(NEXT) | instid1(VALU_DEP_3)
	v_mul_f64_e32 v[58:59], v[56:57], v[40:41]
	v_add_f64_e64 v[22:23], v[22:23], -v[44:45]
	s_delay_alu instid0(VALU_DEP_3) | instskip(SKIP_1) | instid1(VALU_DEP_2)
	v_fma_f64 v[26:27], v[54:55], v[26:27], -v[50:51]
	v_mul_f64_e32 v[44:45], v[52:53], v[42:43]
	v_fmac_f64_e32 v[26:27], v[54:55], v[18:19]
	s_delay_alu instid0(VALU_DEP_2) | instskip(NEXT) | instid1(VALU_DEP_1)
	v_mul_f64_e32 v[18:19], v[34:35], v[44:45]
	v_fma_f64 v[34:35], v[44:45], v[34:35], -v[18:19]
	s_delay_alu instid0(VALU_DEP_1) | instskip(NEXT) | instid1(VALU_DEP_4)
	v_fmac_f64_e32 v[34:35], v[44:45], v[22:23]
	v_add_f64_e32 v[22:23], v[50:51], v[26:27]
	s_delay_alu instid0(VALU_DEP_1) | instskip(NEXT) | instid1(VALU_DEP_1)
	v_add_f64_e64 v[50:51], v[22:23], -v[50:51]
	v_add_f64_e64 v[26:27], v[50:51], -v[26:27]
	s_delay_alu instid0(VALU_DEP_4) | instskip(NEXT) | instid1(VALU_DEP_1)
	v_add_f64_e32 v[50:51], v[18:19], v[34:35]
	v_add_f64_e64 v[18:19], v[50:51], -v[18:19]
	s_delay_alu instid0(VALU_DEP_1) | instskip(SKIP_1) | instid1(VALU_DEP_1)
	v_add_f64_e64 v[18:19], v[18:19], -v[34:35]
	v_add_f64_e64 v[34:35], v[36:37], -v[22:23]
	;; [unrolled: 1-line block ×3, first 2 shown]
	s_delay_alu instid0(VALU_DEP_1) | instskip(SKIP_1) | instid1(VALU_DEP_2)
	v_add_f64_e64 v[22:23], v[36:37], -v[22:23]
	v_add_f64_e64 v[36:37], v[52:53], -v[50:51]
	v_add_f64_e32 v[22:23], v[26:27], v[22:23]
	s_delay_alu instid0(VALU_DEP_2) | instskip(NEXT) | instid1(VALU_DEP_2)
	v_add_f64_e64 v[52:53], v[52:53], -v[36:37]
	v_add_f64_e32 v[22:23], v[34:35], v[22:23]
	s_delay_alu instid0(VALU_DEP_2) | instskip(SKIP_2) | instid1(VALU_DEP_4)
	v_add_f64_e64 v[50:51], v[52:53], -v[50:51]
	v_frexp_exp_i32_f64_e32 v52, v[2:3]
	v_frexp_exp_i32_f64_e32 v53, v[4:5]
	v_mul_f64_e32 v[22:23], v[30:31], v[22:23]
	s_delay_alu instid0(VALU_DEP_4) | instskip(NEXT) | instid1(VALU_DEP_4)
	v_add_f64_e32 v[18:19], v[18:19], v[50:51]
	v_subrev_co_ci_u32_e64 v52, null, 0, v52, s1
	v_cmp_class_f64_e64 s1, v[2:3], 0x204
	v_add_f64_e32 v[48:49], -1.0, v[16:17]
	v_add_f64_e32 v[38:39], -1.0, v[24:25]
	v_add_f64_e32 v[18:19], v[36:37], v[18:19]
	s_delay_alu instid0(VALU_DEP_3) | instskip(NEXT) | instid1(VALU_DEP_3)
	v_mul_f64_e32 v[46:47], v[48:49], v[28:29]
	v_add_f64_e64 v[16:17], v[16:17], -v[38:39]
	s_delay_alu instid0(VALU_DEP_3) | instskip(SKIP_1) | instid1(VALU_DEP_4)
	v_mul_f64_e32 v[18:19], v[42:43], v[18:19]
	v_add_f64_e32 v[42:43], v[54:55], v[22:23]
	v_mul_f64_e32 v[38:39], v[24:25], v[46:47]
	s_delay_alu instid0(VALU_DEP_2) | instskip(NEXT) | instid1(VALU_DEP_2)
	v_add_f64_e64 v[54:55], v[42:43], -v[54:55]
	v_fma_f64 v[24:25], v[46:47], v[24:25], -v[38:39]
	s_delay_alu instid0(VALU_DEP_2) | instskip(NEXT) | instid1(VALU_DEP_2)
	v_add_f64_e64 v[22:23], v[22:23], -v[54:55]
	v_fmac_f64_e32 v[24:25], v[46:47], v[16:17]
	v_mul_f64_e32 v[16:17], v[32:33], v[58:59]
	s_delay_alu instid0(VALU_DEP_3) | instskip(NEXT) | instid1(VALU_DEP_2)
	v_ldexp_f64 v[22:23], v[22:23], 1
	v_fma_f64 v[32:33], v[58:59], v[32:33], -v[16:17]
	s_delay_alu instid0(VALU_DEP_1) | instskip(SKIP_1) | instid1(VALU_DEP_1)
	v_fmac_f64_e32 v[32:33], v[58:59], v[20:21]
	v_add_f64_e32 v[20:21], v[38:39], v[24:25]
	v_add_f64_e64 v[38:39], v[20:21], -v[38:39]
	s_delay_alu instid0(VALU_DEP_1) | instskip(NEXT) | instid1(VALU_DEP_4)
	v_add_f64_e64 v[24:25], v[38:39], -v[24:25]
	v_add_f64_e32 v[38:39], v[16:17], v[32:33]
	s_delay_alu instid0(VALU_DEP_1) | instskip(NEXT) | instid1(VALU_DEP_1)
	v_add_f64_e64 v[16:17], v[38:39], -v[16:17]
	v_add_f64_e64 v[16:17], v[16:17], -v[32:33]
	;; [unrolled: 1-line block ×3, first 2 shown]
	s_delay_alu instid0(VALU_DEP_1) | instskip(NEXT) | instid1(VALU_DEP_1)
	v_add_f64_e64 v[48:49], v[48:49], -v[32:33]
	v_add_f64_e64 v[20:21], v[48:49], -v[20:21]
	;; [unrolled: 1-line block ×3, first 2 shown]
	s_delay_alu instid0(VALU_DEP_2) | instskip(NEXT) | instid1(VALU_DEP_2)
	v_add_f64_e32 v[20:21], v[24:25], v[20:21]
	v_add_f64_e64 v[56:57], v[56:57], -v[48:49]
	s_delay_alu instid0(VALU_DEP_2) | instskip(NEXT) | instid1(VALU_DEP_2)
	v_add_f64_e32 v[20:21], v[32:33], v[20:21]
	v_add_f64_e64 v[38:39], v[56:57], -v[38:39]
	v_frexp_exp_i32_f64_e32 v56, v[6:7]
	v_frexp_exp_i32_f64_e32 v57, v[8:9]
	s_delay_alu instid0(VALU_DEP_4) | instskip(NEXT) | instid1(VALU_DEP_4)
	v_mul_f64_e32 v[20:21], v[28:29], v[20:21]
	v_add_f64_e32 v[16:17], v[16:17], v[38:39]
	s_delay_alu instid0(VALU_DEP_4) | instskip(SKIP_3) | instid1(VALU_DEP_3)
	v_subrev_co_ci_u32_e64 v24, null, 0, v56, vcc_lo
	v_subrev_co_ci_u32_e64 v56, null, 0, v53, s2
	v_subrev_co_ci_u32_e64 v26, null, 0, v57, s0
	v_cvt_f64_i32_e32 v[52:53], v52
	v_cvt_f64_i32_e32 v[56:57], v56
	;; [unrolled: 1-line block ×3, first 2 shown]
	s_delay_alu instid0(VALU_DEP_4)
	v_cvt_f64_i32_e32 v[26:27], v26
	v_cmp_class_f64_e64 vcc_lo, v[6:7], 0x204
	v_cmp_class_f64_e64 s0, v[8:9], 0x204
	v_cmp_class_f64_e64 s2, v[4:5], 0x204
	v_add_f64_e32 v[16:17], v[48:49], v[16:17]
	v_mul_f64_e32 v[38:39], 0x3fe62e42fefa39ef, v[52:53]
	v_mul_f64_e32 v[50:51], 0x3fe62e42fefa39ef, v[56:57]
	;; [unrolled: 1-line block ×5, first 2 shown]
	v_add_f64_e32 v[40:41], v[46:47], v[20:21]
	v_fma_f64 v[36:37], v[52:53], s[6:7], -v[38:39]
	v_fma_f64 v[48:49], v[56:57], s[6:7], -v[50:51]
	;; [unrolled: 1-line block ×4, first 2 shown]
	v_add_f64_e64 v[46:47], v[40:41], -v[46:47]
	v_fmac_f64_e32 v[36:37], 0x3c7abc9e3b39803f, v[52:53]
	v_fmac_f64_e32 v[48:49], 0x3c7abc9e3b39803f, v[56:57]
	v_mul_f64_e32 v[52:53], v[40:41], v[40:41]
	v_mul_f64_e32 v[56:57], v[42:43], v[42:43]
	v_fmac_f64_e32 v[28:29], 0x3c7abc9e3b39803f, v[24:25]
	v_fmac_f64_e32 v[30:31], 0x3c7abc9e3b39803f, v[26:27]
	v_add_f64_e32 v[24:25], v[58:59], v[16:17]
	v_add_f64_e32 v[26:27], v[44:45], v[18:19]
	v_add_f64_e64 v[20:21], v[20:21], -v[46:47]
	v_fmamk_f64 v[46:47], v[52:53], 0x3fc3ab76bf559e2b, v[12:13]
	v_fmamk_f64 v[54:55], v[56:57], 0x3fc3ab76bf559e2b, v[12:13]
	v_add_f64_e64 v[58:59], v[24:25], -v[58:59]
	v_add_f64_e64 v[44:45], v[26:27], -v[44:45]
	s_delay_alu instid0(VALU_DEP_4) | instskip(NEXT) | instid1(VALU_DEP_4)
	v_fmaak_f64 v[46:47], v[52:53], v[46:47], 0x3fc7474dd7f4df2e
	v_fmaak_f64 v[54:55], v[56:57], v[54:55], 0x3fc7474dd7f4df2e
	s_delay_alu instid0(VALU_DEP_2) | instskip(NEXT) | instid1(VALU_DEP_2)
	v_fmaak_f64 v[46:47], v[52:53], v[46:47], 0x3fcc71c016291751
	v_fmaak_f64 v[54:55], v[56:57], v[54:55], 0x3fcc71c016291751
	s_delay_alu instid0(VALU_DEP_2) | instskip(NEXT) | instid1(VALU_DEP_2)
	v_fmaak_f64 v[46:47], v[52:53], v[46:47], 0x3fd249249b27acf1
	v_fmaak_f64 v[54:55], v[56:57], v[54:55], 0x3fd249249b27acf1
	v_ldexp_f64 v[20:21], v[20:21], 1
	s_delay_alu instid0(VALU_DEP_3) | instskip(NEXT) | instid1(VALU_DEP_3)
	v_fmaak_f64 v[46:47], v[52:53], v[46:47], 0x3fd99999998ef7b6
	v_fmaak_f64 v[54:55], v[56:57], v[54:55], 0x3fd99999998ef7b6
	s_delay_alu instid0(VALU_DEP_2)
	v_fmaak_f64 v[46:47], v[52:53], v[46:47], 0x3fe5555555555780
	v_add_f64_e64 v[16:17], v[16:17], -v[58:59]
	v_mul_f64_e32 v[58:59], v[24:25], v[24:25]
	v_add_f64_e64 v[18:19], v[18:19], -v[44:45]
	v_mul_f64_e32 v[44:45], v[40:41], v[52:53]
	v_mul_f64_e32 v[52:53], v[42:43], v[56:57]
	v_fmaak_f64 v[54:55], v[56:57], v[54:55], 0x3fe5555555555780
	v_mul_f64_e32 v[56:57], v[26:27], v[26:27]
	v_ldexp_f64 v[40:41], v[40:41], 1
	v_ldexp_f64 v[42:43], v[42:43], 1
	;; [unrolled: 1-line block ×4, first 2 shown]
	v_mul_f64_e32 v[44:45], v[44:45], v[46:47]
	v_fmamk_f64 v[46:47], v[58:59], 0x3fc3ab76bf559e2b, v[12:13]
	v_mul_f64_e32 v[52:53], v[52:53], v[54:55]
	v_fmamk_f64 v[54:55], v[56:57], 0x3fc3ab76bf559e2b, v[12:13]
	s_delay_alu instid0(VALU_DEP_3) | instskip(NEXT) | instid1(VALU_DEP_2)
	v_fmaak_f64 v[46:47], v[58:59], v[46:47], 0x3fc7474dd7f4df2e
	v_fmaak_f64 v[54:55], v[56:57], v[54:55], 0x3fc7474dd7f4df2e
	s_delay_alu instid0(VALU_DEP_2) | instskip(NEXT) | instid1(VALU_DEP_2)
	v_fmaak_f64 v[46:47], v[58:59], v[46:47], 0x3fcc71c016291751
	v_fmaak_f64 v[54:55], v[56:57], v[54:55], 0x3fcc71c016291751
	s_delay_alu instid0(VALU_DEP_2) | instskip(NEXT) | instid1(VALU_DEP_2)
	;; [unrolled: 3-line block ×3, first 2 shown]
	v_fmaak_f64 v[46:47], v[58:59], v[46:47], 0x3fd99999998ef7b6
	v_fmaak_f64 v[54:55], v[56:57], v[54:55], 0x3fd99999998ef7b6
	s_delay_alu instid0(VALU_DEP_2) | instskip(SKIP_1) | instid1(VALU_DEP_3)
	v_fmaak_f64 v[46:47], v[58:59], v[46:47], 0x3fe5555555555780
	v_mul_f64_e32 v[58:59], v[24:25], v[58:59]
	v_fmaak_f64 v[54:55], v[56:57], v[54:55], 0x3fe5555555555780
	v_mul_f64_e32 v[56:57], v[26:27], v[56:57]
	v_ldexp_f64 v[24:25], v[24:25], 1
	v_ldexp_f64 v[26:27], v[26:27], 1
	v_mul_f64_e32 v[46:47], v[58:59], v[46:47]
	v_add_f64_e32 v[58:59], v[40:41], v[44:45]
	v_mul_f64_e32 v[54:55], v[56:57], v[54:55]
	v_add_f64_e32 v[56:57], v[42:43], v[52:53]
	s_delay_alu instid0(VALU_DEP_3) | instskip(NEXT) | instid1(VALU_DEP_2)
	v_add_f64_e64 v[40:41], v[58:59], -v[40:41]
	v_add_f64_e64 v[42:43], v[56:57], -v[42:43]
	s_delay_alu instid0(VALU_DEP_2) | instskip(SKIP_1) | instid1(VALU_DEP_3)
	v_add_f64_e64 v[40:41], v[44:45], -v[40:41]
	v_add_f64_e32 v[44:45], v[24:25], v[46:47]
	v_add_f64_e64 v[42:43], v[52:53], -v[42:43]
	v_add_f64_e32 v[52:53], v[26:27], v[54:55]
	s_delay_alu instid0(VALU_DEP_4) | instskip(NEXT) | instid1(VALU_DEP_4)
	v_add_f64_e32 v[20:21], v[20:21], v[40:41]
	v_add_f64_e64 v[24:25], v[44:45], -v[24:25]
	v_add_f64_e32 v[40:41], v[38:39], v[36:37]
	s_delay_alu instid0(VALU_DEP_4)
	v_add_f64_e64 v[26:27], v[52:53], -v[26:27]
	v_add_f64_e32 v[22:23], v[22:23], v[42:43]
	v_add_f64_e32 v[42:43], v[50:51], v[48:49]
	v_add_f64_e64 v[24:25], v[46:47], -v[24:25]
	v_add_f64_e32 v[46:47], v[32:33], v[28:29]
	v_add_f64_e64 v[26:27], v[54:55], -v[26:27]
	;; [unrolled: 2-line block ×7, first 2 shown]
	v_add_f64_e64 v[32:33], v[36:37], -v[38:39]
	v_add_f64_e64 v[30:31], v[30:31], -v[34:35]
	v_add_f64_e32 v[34:35], v[44:45], v[16:17]
	v_add_f64_e32 v[36:37], v[52:53], v[18:19]
	v_add_f64_e64 v[38:39], v[24:25], -v[58:59]
	v_add_f64_e32 v[58:59], v[46:47], v[24:25]
	v_add_f64_e64 v[26:27], v[48:49], -v[26:27]
	v_add_f64_e64 v[48:49], v[50:51], -v[56:57]
	v_add_f64_e32 v[56:57], v[54:55], v[50:51]
	v_add_f64_e64 v[44:45], v[34:35], -v[44:45]
	v_add_f64_e64 v[52:53], v[36:37], -v[52:53]
	;; [unrolled: 1-line block ×8, first 2 shown]
	v_add_f64_e32 v[52:53], v[40:41], v[34:35]
	v_add_f64_e64 v[44:45], v[58:59], -v[38:39]
	v_add_f64_e64 v[24:25], v[24:25], -v[38:39]
	;; [unrolled: 1-line block ×4, first 2 shown]
	v_add_f64_e32 v[50:51], v[42:43], v[36:37]
	v_add_f64_e64 v[44:45], v[46:47], -v[44:45]
	v_add_f64_e64 v[46:47], v[52:53], -v[40:41]
	;; [unrolled: 1-line block ×3, first 2 shown]
	s_delay_alu instid0(VALU_DEP_4) | instskip(NEXT) | instid1(VALU_DEP_4)
	v_add_f64_e64 v[54:55], v[50:51], -v[42:43]
	v_add_f64_e32 v[24:25], v[24:25], v[44:45]
	s_delay_alu instid0(VALU_DEP_4)
	v_add_f64_e64 v[34:35], v[34:35], -v[46:47]
	v_add_f64_e64 v[46:47], v[52:53], -v[46:47]
	v_add_f64_e32 v[38:39], v[48:49], v[38:39]
	v_add_f64_e32 v[48:49], v[32:33], v[16:17]
	v_add_f64_e64 v[36:37], v[36:37], -v[54:55]
	v_add_f64_e64 v[54:55], v[50:51], -v[54:55]
	;; [unrolled: 1-line block ×3, first 2 shown]
	v_add_f64_e32 v[46:47], v[28:29], v[20:21]
	s_delay_alu instid0(VALU_DEP_3) | instskip(SKIP_1) | instid1(VALU_DEP_4)
	v_add_f64_e64 v[42:43], v[42:43], -v[54:55]
	v_add_f64_e32 v[54:55], v[30:31], v[22:23]
	v_add_f64_e32 v[34:35], v[34:35], v[40:41]
	s_delay_alu instid0(VALU_DEP_4)
	v_add_f64_e64 v[44:45], v[46:47], -v[28:29]
	v_add_f64_e32 v[24:25], v[46:47], v[24:25]
	v_add_f64_e32 v[36:37], v[36:37], v[42:43]
	v_add_f64_e64 v[40:41], v[54:55], -v[30:31]
	v_add_f64_e32 v[42:43], v[26:27], v[18:19]
	v_add_f64_e32 v[38:39], v[54:55], v[38:39]
	v_add_f64_e32 v[34:35], v[48:49], v[34:35]
	v_add_f64_e64 v[20:21], v[20:21], -v[44:45]
	v_add_f64_e64 v[44:45], v[46:47], -v[44:45]
	;; [unrolled: 1-line block ×6, first 2 shown]
	v_add_f64_e32 v[36:37], v[42:43], v[36:37]
	v_add_f64_e64 v[28:29], v[28:29], -v[44:45]
	v_add_f64_e64 v[48:49], v[48:49], -v[46:47]
	v_add_f64_e64 v[16:17], v[16:17], -v[46:47]
	v_add_f64_e32 v[46:47], v[58:59], v[24:25]
	v_add_f64_e32 v[44:45], v[52:53], v[34:35]
	v_add_f64_e64 v[42:43], v[42:43], -v[54:55]
	v_add_f64_e64 v[18:19], v[18:19], -v[54:55]
	v_add_f64_e32 v[54:55], v[56:57], v[38:39]
	v_add_f64_e64 v[30:31], v[30:31], -v[40:41]
	v_add_f64_e32 v[40:41], v[50:51], v[36:37]
	v_add_f64_e32 v[20:21], v[20:21], v[28:29]
	v_add_f64_e64 v[32:33], v[32:33], -v[48:49]
	v_add_f64_e64 v[58:59], v[46:47], -v[58:59]
	v_add_f64_e64 v[48:49], v[44:45], -v[52:53]
	v_add_f64_e64 v[26:27], v[26:27], -v[42:43]
	v_add_f64_e64 v[56:57], v[54:55], -v[56:57]
	v_add_f64_e32 v[22:23], v[22:23], v[30:31]
	v_add_f64_e64 v[42:43], v[40:41], -v[50:51]
	v_add_f64_e32 v[16:17], v[16:17], v[32:33]
	v_add_f64_e64 v[24:25], v[24:25], -v[58:59]
	v_add_f64_e64 v[30:31], v[34:35], -v[48:49]
	v_add_f64_e32 v[18:19], v[18:19], v[26:27]
	v_add_f64_e64 v[28:29], v[38:39], -v[56:57]
	v_add_f64_e64 v[26:27], v[36:37], -v[42:43]
	v_add_f64_e32 v[20:21], v[20:21], v[24:25]
	v_add_f64_e32 v[16:17], v[16:17], v[30:31]
	v_lshlrev_b64_e32 v[24:25], 2, v[0:1]
	v_add_f64_e32 v[22:23], v[22:23], v[28:29]
	v_add_f64_e32 v[18:19], v[18:19], v[26:27]
	;; [unrolled: 1-line block ×4, first 2 shown]
	s_delay_alu instid0(VALU_DEP_4) | instskip(NEXT) | instid1(VALU_DEP_4)
	v_add_f64_e32 v[22:23], v[54:55], v[22:23]
	v_add_f64_e32 v[18:19], v[40:41], v[18:19]
	s_delay_alu instid0(VALU_DEP_4) | instskip(SKIP_1) | instid1(VALU_DEP_4)
	v_dual_cndmask_b32 v20, v20, v6 :: v_dual_cndmask_b32 v21, v21, v7
	v_cmp_ngt_f64_e32 vcc_lo, 0, v[6:7]
	v_dual_cndmask_b32 v26, v16, v2, s1 :: v_dual_cndmask_b32 v23, v23, v9, s0
	v_cndmask_b32_e64 v22, v22, v8, s0
	v_dual_cndmask_b32 v27, v18, v4, s2 :: v_dual_cndmask_b32 v17, v17, v3, s1
	v_cndmask_b32_e64 v19, v19, v5, s2
	v_cndmask_b32_e32 v21, 0x7ff80000, v21, vcc_lo
	v_cmp_nge_f64_e32 vcc_lo, 0, v[6:7]
	v_cndmask_b32_e32 v16, 0, v20, vcc_lo
	v_cmp_ngt_f64_e32 vcc_lo, 0, v[8:9]
	v_cndmask_b32_e32 v23, 0x7ff80000, v23, vcc_lo
	v_cmp_nge_f64_e32 vcc_lo, 0, v[8:9]
	v_cndmask_b32_e32 v18, 0, v22, vcc_lo
	v_cmp_ngt_f64_e32 vcc_lo, 0, v[2:3]
	;; [unrolled: 4-line block ×3, first 2 shown]
	v_cndmask_b32_e32 v26, 0x7ff80000, v19, vcc_lo
	v_cmp_nge_f64_e32 vcc_lo, 0, v[4:5]
	v_cndmask_b32_e32 v22, 0, v27, vcc_lo
	v_cmp_neq_f64_e32 vcc_lo, 0, v[6:7]
	v_cndmask_b32_e32 v17, 0xfff00000, v21, vcc_lo
	v_cmp_neq_f64_e32 vcc_lo, 0, v[8:9]
	;; [unrolled: 2-line block ×4, first 2 shown]
	v_cndmask_b32_e32 v23, 0xfff00000, v26, vcc_lo
	v_cmp_ge_i64_e32 vcc_lo, v[24:25], v[10:11]
	s_clause 0x1
	global_store_b128 v[14:15], v[16:19], off offset:-16
	global_store_b128 v[14:15], v[20:23], off
	s_wait_xcnt 0x0
	v_add_nc_u64_e32 v[14:15], s[10:11], v[14:15]
	s_or_b32 s3, vcc_lo, s3
	s_delay_alu instid0(SALU_CYCLE_1)
	s_and_not1_b32 exec_lo, exec_lo, s3
	s_cbranch_execnz .LBB171_24
.LBB171_25:
	s_endpgm
	.section	.rodata,"a",@progbits
	.p2align	6, 0x0
	.amdhsa_kernel _ZN2at6native12_GLOBAL__N_125multi_tensor_apply_kernelINS1_18TensorListMetadataILi1EEENS1_14UnaryOpFunctorIdLi1ELi1ELi0EEEJNS0_3LogIdEEEEEvT_T0_DpT1_
		.amdhsa_group_segment_fixed_size 0
		.amdhsa_private_segment_fixed_size 0
		.amdhsa_kernarg_size 3632
		.amdhsa_user_sgpr_count 2
		.amdhsa_user_sgpr_dispatch_ptr 0
		.amdhsa_user_sgpr_queue_ptr 0
		.amdhsa_user_sgpr_kernarg_segment_ptr 1
		.amdhsa_user_sgpr_dispatch_id 0
		.amdhsa_user_sgpr_kernarg_preload_length 0
		.amdhsa_user_sgpr_kernarg_preload_offset 0
		.amdhsa_user_sgpr_private_segment_size 0
		.amdhsa_wavefront_size32 1
		.amdhsa_uses_dynamic_stack 0
		.amdhsa_enable_private_segment 0
		.amdhsa_system_sgpr_workgroup_id_x 1
		.amdhsa_system_sgpr_workgroup_id_y 0
		.amdhsa_system_sgpr_workgroup_id_z 0
		.amdhsa_system_sgpr_workgroup_info 0
		.amdhsa_system_vgpr_workitem_id 0
		.amdhsa_next_free_vgpr 60
		.amdhsa_next_free_sgpr 26
		.amdhsa_named_barrier_count 0
		.amdhsa_reserve_vcc 1
		.amdhsa_float_round_mode_32 0
		.amdhsa_float_round_mode_16_64 0
		.amdhsa_float_denorm_mode_32 3
		.amdhsa_float_denorm_mode_16_64 3
		.amdhsa_fp16_overflow 0
		.amdhsa_memory_ordered 1
		.amdhsa_forward_progress 1
		.amdhsa_inst_pref_size 49
		.amdhsa_round_robin_scheduling 0
		.amdhsa_exception_fp_ieee_invalid_op 0
		.amdhsa_exception_fp_denorm_src 0
		.amdhsa_exception_fp_ieee_div_zero 0
		.amdhsa_exception_fp_ieee_overflow 0
		.amdhsa_exception_fp_ieee_underflow 0
		.amdhsa_exception_fp_ieee_inexact 0
		.amdhsa_exception_int_div_zero 0
	.end_amdhsa_kernel
	.section	.text._ZN2at6native12_GLOBAL__N_125multi_tensor_apply_kernelINS1_18TensorListMetadataILi1EEENS1_14UnaryOpFunctorIdLi1ELi1ELi0EEEJNS0_3LogIdEEEEEvT_T0_DpT1_,"axG",@progbits,_ZN2at6native12_GLOBAL__N_125multi_tensor_apply_kernelINS1_18TensorListMetadataILi1EEENS1_14UnaryOpFunctorIdLi1ELi1ELi0EEEJNS0_3LogIdEEEEEvT_T0_DpT1_,comdat
.Lfunc_end171:
	.size	_ZN2at6native12_GLOBAL__N_125multi_tensor_apply_kernelINS1_18TensorListMetadataILi1EEENS1_14UnaryOpFunctorIdLi1ELi1ELi0EEEJNS0_3LogIdEEEEEvT_T0_DpT1_, .Lfunc_end171-_ZN2at6native12_GLOBAL__N_125multi_tensor_apply_kernelINS1_18TensorListMetadataILi1EEENS1_14UnaryOpFunctorIdLi1ELi1ELi0EEEJNS0_3LogIdEEEEEvT_T0_DpT1_
                                        ; -- End function
	.set _ZN2at6native12_GLOBAL__N_125multi_tensor_apply_kernelINS1_18TensorListMetadataILi1EEENS1_14UnaryOpFunctorIdLi1ELi1ELi0EEEJNS0_3LogIdEEEEEvT_T0_DpT1_.num_vgpr, 60
	.set _ZN2at6native12_GLOBAL__N_125multi_tensor_apply_kernelINS1_18TensorListMetadataILi1EEENS1_14UnaryOpFunctorIdLi1ELi1ELi0EEEJNS0_3LogIdEEEEEvT_T0_DpT1_.num_agpr, 0
	.set _ZN2at6native12_GLOBAL__N_125multi_tensor_apply_kernelINS1_18TensorListMetadataILi1EEENS1_14UnaryOpFunctorIdLi1ELi1ELi0EEEJNS0_3LogIdEEEEEvT_T0_DpT1_.numbered_sgpr, 26
	.set _ZN2at6native12_GLOBAL__N_125multi_tensor_apply_kernelINS1_18TensorListMetadataILi1EEENS1_14UnaryOpFunctorIdLi1ELi1ELi0EEEJNS0_3LogIdEEEEEvT_T0_DpT1_.num_named_barrier, 0
	.set _ZN2at6native12_GLOBAL__N_125multi_tensor_apply_kernelINS1_18TensorListMetadataILi1EEENS1_14UnaryOpFunctorIdLi1ELi1ELi0EEEJNS0_3LogIdEEEEEvT_T0_DpT1_.private_seg_size, 0
	.set _ZN2at6native12_GLOBAL__N_125multi_tensor_apply_kernelINS1_18TensorListMetadataILi1EEENS1_14UnaryOpFunctorIdLi1ELi1ELi0EEEJNS0_3LogIdEEEEEvT_T0_DpT1_.uses_vcc, 1
	.set _ZN2at6native12_GLOBAL__N_125multi_tensor_apply_kernelINS1_18TensorListMetadataILi1EEENS1_14UnaryOpFunctorIdLi1ELi1ELi0EEEJNS0_3LogIdEEEEEvT_T0_DpT1_.uses_flat_scratch, 0
	.set _ZN2at6native12_GLOBAL__N_125multi_tensor_apply_kernelINS1_18TensorListMetadataILi1EEENS1_14UnaryOpFunctorIdLi1ELi1ELi0EEEJNS0_3LogIdEEEEEvT_T0_DpT1_.has_dyn_sized_stack, 0
	.set _ZN2at6native12_GLOBAL__N_125multi_tensor_apply_kernelINS1_18TensorListMetadataILi1EEENS1_14UnaryOpFunctorIdLi1ELi1ELi0EEEJNS0_3LogIdEEEEEvT_T0_DpT1_.has_recursion, 0
	.set _ZN2at6native12_GLOBAL__N_125multi_tensor_apply_kernelINS1_18TensorListMetadataILi1EEENS1_14UnaryOpFunctorIdLi1ELi1ELi0EEEJNS0_3LogIdEEEEEvT_T0_DpT1_.has_indirect_call, 0
	.section	.AMDGPU.csdata,"",@progbits
; Kernel info:
; codeLenInByte = 6240
; TotalNumSgprs: 28
; NumVgprs: 60
; ScratchSize: 0
; MemoryBound: 0
; FloatMode: 240
; IeeeMode: 1
; LDSByteSize: 0 bytes/workgroup (compile time only)
; SGPRBlocks: 0
; VGPRBlocks: 3
; NumSGPRsForWavesPerEU: 28
; NumVGPRsForWavesPerEU: 60
; NamedBarCnt: 0
; Occupancy: 16
; WaveLimiterHint : 0
; COMPUTE_PGM_RSRC2:SCRATCH_EN: 0
; COMPUTE_PGM_RSRC2:USER_SGPR: 2
; COMPUTE_PGM_RSRC2:TRAP_HANDLER: 0
; COMPUTE_PGM_RSRC2:TGID_X_EN: 1
; COMPUTE_PGM_RSRC2:TGID_Y_EN: 0
; COMPUTE_PGM_RSRC2:TGID_Z_EN: 0
; COMPUTE_PGM_RSRC2:TIDIG_COMP_CNT: 0
	.section	.text._ZN2at6native12_GLOBAL__N_125multi_tensor_apply_kernelINS1_18TensorListMetadataILi1EEENS1_14UnaryOpFunctorIfLi1ELi1ELi0EEEJNS0_3LogIfEEEEEvT_T0_DpT1_,"axG",@progbits,_ZN2at6native12_GLOBAL__N_125multi_tensor_apply_kernelINS1_18TensorListMetadataILi1EEENS1_14UnaryOpFunctorIfLi1ELi1ELi0EEEJNS0_3LogIfEEEEEvT_T0_DpT1_,comdat
	.globl	_ZN2at6native12_GLOBAL__N_125multi_tensor_apply_kernelINS1_18TensorListMetadataILi1EEENS1_14UnaryOpFunctorIfLi1ELi1ELi0EEEJNS0_3LogIfEEEEEvT_T0_DpT1_ ; -- Begin function _ZN2at6native12_GLOBAL__N_125multi_tensor_apply_kernelINS1_18TensorListMetadataILi1EEENS1_14UnaryOpFunctorIfLi1ELi1ELi0EEEJNS0_3LogIfEEEEEvT_T0_DpT1_
	.p2align	8
	.type	_ZN2at6native12_GLOBAL__N_125multi_tensor_apply_kernelINS1_18TensorListMetadataILi1EEENS1_14UnaryOpFunctorIfLi1ELi1ELi0EEEJNS0_3LogIfEEEEEvT_T0_DpT1_,@function
_ZN2at6native12_GLOBAL__N_125multi_tensor_apply_kernelINS1_18TensorListMetadataILi1EEENS1_14UnaryOpFunctorIfLi1ELi1ELi0EEEJNS0_3LogIfEEEEEvT_T0_DpT1_: ; @_ZN2at6native12_GLOBAL__N_125multi_tensor_apply_kernelINS1_18TensorListMetadataILi1EEENS1_14UnaryOpFunctorIfLi1ELi1ELi0EEEJNS0_3LogIfEEEEEvT_T0_DpT1_
; %bb.0:
	s_bfe_u32 s2, ttmp6, 0x4000c
	s_and_b32 s3, ttmp6, 15
	s_add_co_i32 s2, s2, 1
	s_getreg_b32 s4, hwreg(HW_REG_IB_STS2, 6, 4)
	s_mul_i32 s2, ttmp9, s2
	s_delay_alu instid0(SALU_CYCLE_1)
	s_add_co_i32 s3, s3, s2
	s_cmp_eq_u32 s4, 0
	s_cselect_b32 s2, ttmp9, s3
	s_mov_b32 s3, 0
	s_load_u8 s10, s[0:1], s2 offset:0x6e0
	s_add_nc_u64 s[4:5], s[0:1], s[2:3]
	s_mul_u64 s[6:7], s[2:3], 3
	s_delay_alu instid0(SALU_CYCLE_1)
	s_add_nc_u64 s[4:5], s[4:5], s[6:7]
	s_load_b32 s6, s[4:5], 0x820
	s_wait_kmcnt 0x0
	s_clause 0x1
	s_load_b64 s[8:9], s[0:1], s10 offset:0x0 scale_offset
	s_load_b64 s[12:13], s[0:1], s10 offset:0x370 scale_offset
	s_ashr_i32 s7, s6, 31
	s_wait_kmcnt 0x0
	s_and_b64 s[4:5], s[8:9], 15
	s_and_b32 s2, s12, 3
	s_lshl_b64 s[10:11], s[6:7], 18
	s_or_b64 s[2:3], s[4:5], s[2:3]
	s_lshl_b64 s[4:5], s[6:7], 16
	s_cmp_eq_u64 s[2:3], 0
	s_sub_nc_u64 s[6:7], s[12:13], s[4:5]
	s_cbranch_scc1 .LBB172_21
; %bb.1:
	v_cmp_lt_i64_e64 s2, s[6:7], 1
	s_and_b32 vcc_lo, exec_lo, s2
	s_cbranch_vccnz .LBB172_20
; %bb.2:
	s_load_b32 s4, s[0:1], 0xd3c
	v_min_i64 v[2:3], 0x10000, s[6:7]
	v_min_u64 v[4:5], 0x10000, s[6:7]
	v_dual_mov_b32 v1, 0 :: v_dual_lshlrev_b32 v8, 2, v0
	s_mov_b32 s19, 0
	s_add_nc_u64 s[2:3], s[8:9], s[10:11]
	s_mov_b32 s5, s19
	s_delay_alu instid0(VALU_DEP_1)
	v_mov_b32_e32 v15, v1
	s_mov_b32 s17, s19
	s_mov_b32 s13, s19
	;; [unrolled: 1-line block ×3, first 2 shown]
	s_mov_b64 s[20:21], 0
	s_wait_kmcnt 0x0
	s_and_b32 s18, s4, 0xffff
	s_delay_alu instid0(SALU_CYCLE_1)
	v_add_nc_u64_e32 v[6:7], s[18:19], v[0:1]
	v_mov_b32_e32 v9, v1
	s_lshl_b32 s4, s18, 1
	s_mul_i32 s16, s18, 3
	v_add_nc_u64_e32 v[12:13], s[4:5], v[0:1]
	v_add_nc_u64_e32 v[10:11], s[16:17], v[0:1]
	s_lshl_b32 s12, s18, 2
	v_lshlrev_b32_e32 v14, 2, v6
	v_add_nc_u64_e32 v[8:9], s[2:3], v[8:9]
	s_lshl_b32 s14, s18, 4
	s_mul_u64 s[16:17], s[18:19], 12
	s_lshl_b32 s18, s18, 3
	v_add_nc_u64_e32 v[14:15], s[2:3], v[14:15]
	s_branch .LBB172_4
.LBB172_3:                              ;   in Loop: Header=BB172_4 Depth=1
	s_wait_xcnt 0x0
	s_or_b32 exec_lo, exec_lo, s3
	s_add_nc_u64 s[20:21], s[20:21], s[12:13]
	v_add_nc_u64_e32 v[8:9], s[14:15], v[8:9]
	v_cmp_lt_i64_e32 vcc_lo, s[20:21], v[2:3]
	v_add_nc_u64_e32 v[14:15], s[14:15], v[14:15]
	s_cbranch_vccz .LBB172_20
.LBB172_4:                              ; =>This Inner Loop Header: Depth=1
	v_add_nc_u64_e32 v[16:17], s[20:21], v[0:1]
	s_wait_loadcnt 0x0
	v_mov_b32_e32 v23, 0
	s_delay_alu instid0(VALU_DEP_2)
	v_cmp_lt_u64_e64 s4, v[16:17], v[4:5]
	s_and_saveexec_b32 s2, s4
	s_cbranch_execz .LBB172_6
; %bb.5:                                ;   in Loop: Header=BB172_4 Depth=1
	global_load_b32 v23, v[8:9], off
.LBB172_6:                              ;   in Loop: Header=BB172_4 Depth=1
	s_wait_xcnt 0x0
	s_or_b32 exec_lo, exec_lo, s2
	v_add_nc_u64_e32 v[16:17], s[20:21], v[6:7]
	v_dual_mov_b32 v20, 0 :: v_dual_mov_b32 v22, 0
	s_delay_alu instid0(VALU_DEP_2)
	v_cmp_lt_u64_e64 s3, v[16:17], v[4:5]
	s_and_saveexec_b32 s2, s3
	s_cbranch_execz .LBB172_8
; %bb.7:                                ;   in Loop: Header=BB172_4 Depth=1
	global_load_b32 v22, v[14:15], off
.LBB172_8:                              ;   in Loop: Header=BB172_4 Depth=1
	s_wait_xcnt 0x0
	s_or_b32 exec_lo, exec_lo, s2
	v_add_nc_u64_e32 v[16:17], s[20:21], v[12:13]
	v_add_nc_u64_e32 v[18:19], s[18:19], v[8:9]
	s_delay_alu instid0(VALU_DEP_2)
	v_cmp_lt_u64_e64 s2, v[16:17], v[4:5]
	s_and_saveexec_b32 s5, s2
	s_cbranch_execz .LBB172_10
; %bb.9:                                ;   in Loop: Header=BB172_4 Depth=1
	global_load_b32 v20, v[18:19], off
.LBB172_10:                             ;   in Loop: Header=BB172_4 Depth=1
	s_wait_xcnt 0x0
	s_or_b32 exec_lo, exec_lo, s5
	v_add_nc_u64_e32 v[16:17], s[20:21], v[10:11]
	v_mov_b32_e32 v21, 0
	s_delay_alu instid0(VALU_DEP_2)
	v_cmp_lt_u64_e32 vcc_lo, v[16:17], v[4:5]
	v_add_nc_u64_e32 v[16:17], s[16:17], v[8:9]
	s_and_saveexec_b32 s5, vcc_lo
	s_cbranch_execnz .LBB172_15
; %bb.11:                               ;   in Loop: Header=BB172_4 Depth=1
	s_or_b32 exec_lo, exec_lo, s5
	s_and_saveexec_b32 s22, s4
	s_cbranch_execnz .LBB172_16
.LBB172_12:                             ;   in Loop: Header=BB172_4 Depth=1
	s_or_b32 exec_lo, exec_lo, s22
	s_and_saveexec_b32 s5, s3
	s_cbranch_execnz .LBB172_17
.LBB172_13:                             ;   in Loop: Header=BB172_4 Depth=1
	s_or_b32 exec_lo, exec_lo, s5
	s_and_saveexec_b32 s4, s2
	s_cbranch_execnz .LBB172_18
.LBB172_14:                             ;   in Loop: Header=BB172_4 Depth=1
	s_or_b32 exec_lo, exec_lo, s4
	s_and_saveexec_b32 s3, vcc_lo
	s_cbranch_execz .LBB172_3
	s_branch .LBB172_19
.LBB172_15:                             ;   in Loop: Header=BB172_4 Depth=1
	global_load_b32 v21, v[16:17], off
	s_wait_xcnt 0x0
	s_or_b32 exec_lo, exec_lo, s5
	s_and_saveexec_b32 s22, s4
	s_cbranch_execz .LBB172_12
.LBB172_16:                             ;   in Loop: Header=BB172_4 Depth=1
	s_wait_loadcnt 0x0
	v_cmp_gt_f32_e64 s4, 0x800000, v23
	s_delay_alu instid0(VALU_DEP_1) | instskip(NEXT) | instid1(VALU_DEP_1)
	v_cndmask_b32_e64 v24, 0, 32, s4
	v_ldexp_f32 v23, v23, v24
	s_delay_alu instid0(VALU_DEP_1) | instskip(SKIP_1) | instid1(TRANS32_DEP_1)
	v_log_f32_e32 v23, v23
	v_nop
	v_mul_f32_e32 v24, 0x3f317217, v23
	v_cmp_gt_f32_e64 s5, 0x7f800000, |v23|
	s_delay_alu instid0(VALU_DEP_2) | instskip(NEXT) | instid1(VALU_DEP_1)
	v_fma_f32 v24, 0x3f317217, v23, -v24
	v_fmac_f32_e32 v24, 0x3377d1cf, v23
	s_delay_alu instid0(VALU_DEP_1) | instskip(NEXT) | instid1(VALU_DEP_1)
	v_fmac_f32_e32 v24, 0x3f317217, v23
	v_cndmask_b32_e64 v23, v23, v24, s5
	v_cndmask_b32_e64 v24, 0, 0x41b17218, s4
	s_delay_alu instid0(VALU_DEP_1)
	v_sub_f32_e32 v23, v23, v24
	global_store_b32 v[8:9], v23, off
	s_wait_xcnt 0x0
	s_or_b32 exec_lo, exec_lo, s22
	s_and_saveexec_b32 s5, s3
	s_cbranch_execz .LBB172_13
.LBB172_17:                             ;   in Loop: Header=BB172_4 Depth=1
	s_wait_loadcnt 0x0
	v_cmp_gt_f32_e64 s3, 0x800000, v22
	s_delay_alu instid0(VALU_DEP_1) | instskip(NEXT) | instid1(VALU_DEP_1)
	v_cndmask_b32_e64 v23, 0, 32, s3
	v_ldexp_f32 v22, v22, v23
	s_delay_alu instid0(VALU_DEP_1) | instskip(SKIP_1) | instid1(TRANS32_DEP_1)
	v_log_f32_e32 v22, v22
	v_nop
	v_mul_f32_e32 v23, 0x3f317217, v22
	v_cmp_gt_f32_e64 s4, 0x7f800000, |v22|
	s_delay_alu instid0(VALU_DEP_2) | instskip(NEXT) | instid1(VALU_DEP_1)
	v_fma_f32 v23, 0x3f317217, v22, -v23
	v_fmac_f32_e32 v23, 0x3377d1cf, v22
	s_delay_alu instid0(VALU_DEP_1) | instskip(NEXT) | instid1(VALU_DEP_1)
	v_fmac_f32_e32 v23, 0x3f317217, v22
	v_cndmask_b32_e64 v22, v22, v23, s4
	v_cndmask_b32_e64 v23, 0, 0x41b17218, s3
	s_delay_alu instid0(VALU_DEP_1)
	v_sub_f32_e32 v22, v22, v23
	global_store_b32 v[14:15], v22, off
	s_wait_xcnt 0x0
	s_or_b32 exec_lo, exec_lo, s5
	s_and_saveexec_b32 s4, s2
	s_cbranch_execz .LBB172_14
.LBB172_18:                             ;   in Loop: Header=BB172_4 Depth=1
	s_wait_loadcnt 0x0
	v_cmp_gt_f32_e64 s2, 0x800000, v20
	s_delay_alu instid0(VALU_DEP_1) | instskip(NEXT) | instid1(VALU_DEP_1)
	v_cndmask_b32_e64 v22, 0, 32, s2
	v_ldexp_f32 v20, v20, v22
	s_delay_alu instid0(VALU_DEP_1) | instskip(SKIP_1) | instid1(TRANS32_DEP_1)
	v_log_f32_e32 v20, v20
	v_nop
	v_mul_f32_e32 v22, 0x3f317217, v20
	v_cmp_gt_f32_e64 s3, 0x7f800000, |v20|
	s_delay_alu instid0(VALU_DEP_2) | instskip(NEXT) | instid1(VALU_DEP_1)
	v_fma_f32 v22, 0x3f317217, v20, -v22
	v_fmac_f32_e32 v22, 0x3377d1cf, v20
	s_delay_alu instid0(VALU_DEP_1) | instskip(NEXT) | instid1(VALU_DEP_1)
	v_fmac_f32_e32 v22, 0x3f317217, v20
	v_cndmask_b32_e64 v20, v20, v22, s3
	v_cndmask_b32_e64 v22, 0, 0x41b17218, s2
	s_delay_alu instid0(VALU_DEP_1)
	v_sub_f32_e32 v20, v20, v22
	global_store_b32 v[18:19], v20, off
	s_wait_xcnt 0x0
	s_or_b32 exec_lo, exec_lo, s4
	s_and_saveexec_b32 s3, vcc_lo
	s_cbranch_execz .LBB172_3
.LBB172_19:                             ;   in Loop: Header=BB172_4 Depth=1
	s_wait_loadcnt 0x0
	v_cmp_gt_f32_e32 vcc_lo, 0x800000, v21
	v_cndmask_b32_e64 v18, 0, 32, vcc_lo
	s_delay_alu instid0(VALU_DEP_1) | instskip(NEXT) | instid1(VALU_DEP_1)
	v_ldexp_f32 v18, v21, v18
	v_log_f32_e32 v18, v18
	v_nop
	s_delay_alu instid0(TRANS32_DEP_1) | instskip(SKIP_1) | instid1(VALU_DEP_2)
	v_mul_f32_e32 v19, 0x3f317217, v18
	v_cmp_gt_f32_e64 s2, 0x7f800000, |v18|
	v_fma_f32 v19, 0x3f317217, v18, -v19
	s_delay_alu instid0(VALU_DEP_1) | instskip(NEXT) | instid1(VALU_DEP_1)
	v_fmac_f32_e32 v19, 0x3377d1cf, v18
	v_fmac_f32_e32 v19, 0x3f317217, v18
	s_delay_alu instid0(VALU_DEP_1) | instskip(SKIP_1) | instid1(VALU_DEP_1)
	v_cndmask_b32_e64 v18, v18, v19, s2
	v_cndmask_b32_e64 v19, 0, 0x41b17218, vcc_lo
	v_sub_f32_e32 v18, v18, v19
	global_store_b32 v[16:17], v18, off
	s_branch .LBB172_3
.LBB172_20:
	s_cbranch_execz .LBB172_22
	s_branch .LBB172_30
.LBB172_21:
.LBB172_22:
	v_min_i64 v[2:3], 0x10000, s[6:7]
	v_dual_mov_b32 v5, 0 :: v_dual_lshlrev_b32 v4, 2, v0
	s_mov_b32 s2, exec_lo
	s_delay_alu instid0(VALU_DEP_1)
	v_cmpx_lt_i64_e64 v[4:5], v[2:3]
	s_cbranch_execz .LBB172_30
; %bb.23:
	v_dual_mov_b32 v7, v5 :: v_dual_add_nc_u32 v6, 4, v4
	s_mov_b32 s7, 0
	s_load_b32 s0, s[0:1], 0xd3c
	v_dual_mov_b32 v1, v5 :: v_dual_mov_b32 v9, s7
	s_delay_alu instid0(VALU_DEP_2) | instskip(SKIP_2) | instid1(SALU_CYCLE_1)
	v_max_i64 v[6:7], v[2:3], v[6:7]
	s_wait_kmcnt 0x0
	s_and_b32 s12, s0, 0xffff
	s_cmp_eq_u32 s12, 1
	s_cselect_b32 s0, -1, 0
	s_delay_alu instid0(VALU_DEP_1) | instskip(NEXT) | instid1(VALU_DEP_1)
	v_add_nc_u64_e32 v[6:7], -4, v[6:7]
	v_cmp_ne_u64_e32 vcc_lo, v[6:7], v[4:5]
	v_cndmask_b32_e64 v8, 0, 1, vcc_lo
	s_delay_alu instid0(VALU_DEP_1) | instskip(NEXT) | instid1(VALU_DEP_1)
	v_or_b32_e32 v4, v4, v8
	v_sub_nc_u64_e32 v[6:7], v[6:7], v[4:5]
	s_delay_alu instid0(VALU_DEP_1) | instskip(NEXT) | instid1(VALU_DEP_1)
	v_lshrrev_b64 v[6:7], 2, v[6:7]
	v_add_nc_u64_e32 v[6:7], v[6:7], v[8:9]
	s_delay_alu instid0(VALU_DEP_1)
	v_cmp_ne_u64_e32 vcc_lo, 0, v[6:7]
	s_and_b32 s1, vcc_lo, s0
	s_mov_b32 s0, -1
	s_and_saveexec_b32 s13, s1
	s_cbranch_execz .LBB172_27
; %bb.24:
	v_dual_mov_b32 v9, 0 :: v_dual_lshlrev_b32 v8, 4, v0
	v_add_nc_u64_e32 v[4:5], 1, v[6:7]
	s_add_nc_u64 s[0:1], s[8:9], s[10:11]
	s_delay_alu instid0(VALU_DEP_2) | instid1(SALU_CYCLE_1)
	v_add_nc_u64_e32 v[8:9], s[0:1], v[8:9]
	s_delay_alu instid0(VALU_DEP_2) | instskip(NEXT) | instid1(VALU_DEP_2)
	v_dual_mov_b32 v7, v5 :: v_dual_bitop2_b32 v6, -2, v4 bitop3:0x40
	v_add_nc_u64_e32 v[8:9], 28, v[8:9]
	s_delay_alu instid0(VALU_DEP_2)
	v_mov_b64_e32 v[10:11], v[6:7]
.LBB172_25:                             ; =>This Inner Loop Header: Depth=1
	s_clause 0x1
	global_load_b128 v[12:15], v[8:9], off offset:-12
	global_load_b128 v[16:19], v[8:9], off offset:-28
	v_add_nc_u64_e32 v[10:11], -2, v[10:11]
	s_wait_loadcnt 0x1
	v_cmp_gt_f32_e32 vcc_lo, 0x800000, v12
	s_wait_loadcnt 0x0
	v_cmp_gt_f32_e64 s0, 0x800000, v16
	v_cmp_gt_f32_e64 s1, 0x800000, v13
	;; [unrolled: 1-line block ×4, first 2 shown]
	v_cndmask_b32_e64 v20, 0, 32, vcc_lo
	v_cndmask_b32_e64 v21, 0, 32, s0
	v_cndmask_b32_e64 v22, 0, 32, s1
	v_cndmask_b32_e64 v23, 0, 32, s2
	v_cndmask_b32_e64 v24, 0, 32, s3
	v_ldexp_f32 v12, v12, v20
	v_ldexp_f32 v16, v16, v21
	v_ldexp_f32 v13, v13, v22
	v_ldexp_f32 v17, v17, v23
	v_cmp_gt_f32_e64 s4, 0x800000, v18
	v_log_f32_e32 v12, v12
	v_log_f32_e32 v16, v16
	;; [unrolled: 1-line block ×4, first 2 shown]
	v_cmp_gt_f32_e64 s5, 0x800000, v15
	v_cmp_gt_f32_e64 s6, 0x800000, v19
	v_cndmask_b32_e64 v25, 0, 32, s4
	v_mul_f32_e32 v28, 0x3f317217, v12
	s_delay_alu instid0(TRANS32_DEP_2) | instskip(NEXT) | instid1(TRANS32_DEP_1)
	v_dual_mul_f32 v29, 0x3f317217, v16 :: v_dual_mul_f32 v30, 0x3f317217, v13
	v_mul_f32_e32 v31, 0x3f317217, v17
	v_cndmask_b32_e64 v26, 0, 32, s5
	s_delay_alu instid0(VALU_DEP_4)
	v_fma_f32 v28, 0x3f317217, v12, -v28
	v_cndmask_b32_e64 v27, 0, 32, s6
	v_ldexp_f32 v14, v14, v24
	v_fma_f32 v29, 0x3f317217, v16, -v29
	v_fma_f32 v30, 0x3f317217, v13, -v30
	;; [unrolled: 1-line block ×3, first 2 shown]
	v_fmac_f32_e32 v28, 0x3377d1cf, v12
	v_ldexp_f32 v18, v18, v25
	v_ldexp_f32 v15, v15, v26
	;; [unrolled: 1-line block ×3, first 2 shown]
	v_log_f32_e32 v14, v14
	v_cndmask_b32_e64 v20, 0, 0x41b17218, vcc_lo
	v_dual_fmac_f32 v29, 0x3377d1cf, v16 :: v_dual_fmac_f32 v30, 0x3377d1cf, v13
	v_fmac_f32_e32 v31, 0x3377d1cf, v17
	v_fmac_f32_e32 v28, 0x3f317217, v12
	v_cmp_gt_f32_e64 vcc_lo, 0x7f800000, |v12|
	v_log_f32_e32 v18, v18
	v_log_f32_e32 v15, v15
	;; [unrolled: 1-line block ×3, first 2 shown]
	v_dual_mul_f32 v32, 0x3f317217, v14 :: v_dual_fmac_f32 v29, 0x3f317217, v16
	v_fmac_f32_e32 v30, 0x3f317217, v13
	v_dual_fmac_f32 v31, 0x3f317217, v17 :: v_dual_cndmask_b32 v12, v12, v28
	v_cmp_gt_f32_e64 vcc_lo, 0x7f800000, |v16|
	s_delay_alu instid0(TRANS32_DEP_2) | instskip(NEXT) | instid1(TRANS32_DEP_1)
	v_dual_mul_f32 v33, 0x3f317217, v18 :: v_dual_mul_f32 v34, 0x3f317217, v15
	v_mul_f32_e32 v35, 0x3f317217, v19
	v_fma_f32 v32, 0x3f317217, v14, -v32
	v_cndmask_b32_e32 v16, v16, v29, vcc_lo
	v_cmp_gt_f32_e64 vcc_lo, 0x7f800000, |v13|
	v_fma_f32 v33, 0x3f317217, v18, -v33
	v_fma_f32 v34, 0x3f317217, v15, -v34
	v_fma_f32 v35, 0x3f317217, v19, -v35
	v_fmac_f32_e32 v32, 0x3377d1cf, v14
	v_cndmask_b32_e32 v13, v13, v30, vcc_lo
	v_cmp_gt_f32_e64 vcc_lo, 0x7f800000, |v17|
	v_dual_fmac_f32 v33, 0x3377d1cf, v18 :: v_dual_fmac_f32 v34, 0x3377d1cf, v15
	v_fmac_f32_e32 v35, 0x3377d1cf, v19
	v_dual_fmac_f32 v32, 0x3f317217, v14 :: v_dual_cndmask_b32 v17, v17, v31
	v_cmp_gt_f32_e64 vcc_lo, 0x7f800000, |v14|
	s_delay_alu instid0(VALU_DEP_4) | instskip(NEXT) | instid1(VALU_DEP_4)
	v_dual_fmac_f32 v33, 0x3f317217, v18 :: v_dual_fmac_f32 v34, 0x3f317217, v15
	v_fmac_f32_e32 v35, 0x3f317217, v19
	v_cndmask_b32_e64 v21, 0, 0x41b17218, s0
	v_cndmask_b32_e32 v14, v14, v32, vcc_lo
	v_cmp_gt_f32_e64 vcc_lo, 0x7f800000, |v18|
	v_cndmask_b32_e64 v23, 0, 0x41b17218, s2
	v_cndmask_b32_e64 v24, 0, 0x41b17218, s3
	;; [unrolled: 1-line block ×4, first 2 shown]
	v_cndmask_b32_e32 v18, v18, v33, vcc_lo
	v_cmp_gt_f32_e64 vcc_lo, 0x7f800000, |v15|
	v_cndmask_b32_e64 v22, 0, 0x41b17218, s1
	v_cndmask_b32_e64 v26, 0, 0x41b17218, s5
	v_dual_sub_f32 v16, v16, v21 :: v_dual_sub_f32 v17, v17, v23
	v_cndmask_b32_e32 v15, v15, v34, vcc_lo
	v_cmp_gt_f32_e64 vcc_lo, 0x7f800000, |v19|
	v_dual_sub_f32 v12, v12, v20 :: v_dual_sub_f32 v13, v13, v22
	s_delay_alu instid0(VALU_DEP_3) | instskip(SKIP_3) | instid1(VALU_DEP_3)
	v_sub_f32_e32 v15, v15, v26
	v_dual_cndmask_b32 v19, v19, v35 :: v_dual_sub_f32 v14, v14, v24
	v_sub_f32_e32 v18, v18, v25
	v_cmp_eq_u64_e32 vcc_lo, 0, v[10:11]
	v_sub_f32_e32 v19, v19, v27
	s_clause 0x1
	global_store_b128 v[8:9], v[16:19], off offset:-28
	global_store_b128 v[8:9], v[12:15], off offset:-12
	s_wait_xcnt 0x0
	v_add_nc_u64_e32 v[8:9], 32, v[8:9]
	s_or_b32 s7, vcc_lo, s7
	s_delay_alu instid0(SALU_CYCLE_1)
	s_and_not1_b32 exec_lo, exec_lo, s7
	s_cbranch_execnz .LBB172_25
; %bb.26:
	s_or_b32 exec_lo, exec_lo, s7
	v_cmp_ne_u64_e32 vcc_lo, v[4:5], v[6:7]
	v_add_nc_u64_e32 v[0:1], v[6:7], v[0:1]
	s_or_not1_b32 s0, vcc_lo, exec_lo
.LBB172_27:
	s_or_b32 exec_lo, exec_lo, s13
	s_delay_alu instid0(SALU_CYCLE_1)
	s_and_b32 exec_lo, exec_lo, s0
	s_cbranch_execz .LBB172_30
; %bb.28:
	s_add_nc_u64 s[0:1], s[8:9], s[10:11]
	s_mov_b32 s13, 0
	v_lshl_add_u64 v[4:5], v[0:1], 4, s[0:1]
	s_lshl_b32 s4, s12, 4
	s_mov_b32 s5, s13
	s_mov_b32 s3, s13
	s_delay_alu instid0(VALU_DEP_1)
	v_add_nc_u64_e32 v[4:5], 8, v[4:5]
.LBB172_29:                             ; =>This Inner Loop Header: Depth=1
	global_load_b128 v[6:9], v[4:5], off offset:-8
	v_add_nc_u64_e32 v[0:1], s[12:13], v[0:1]
	s_wait_loadcnt 0x0
	v_cmp_gt_f32_e32 vcc_lo, 0x800000, v6
	v_cmp_gt_f32_e64 s0, 0x800000, v7
	v_cmp_gt_f32_e64 s1, 0x800000, v8
	;; [unrolled: 1-line block ×3, first 2 shown]
	v_cndmask_b32_e64 v10, 0, 32, vcc_lo
	s_delay_alu instid0(VALU_DEP_4) | instskip(NEXT) | instid1(VALU_DEP_4)
	v_cndmask_b32_e64 v11, 0, 32, s0
	v_cndmask_b32_e64 v12, 0, 32, s1
	s_delay_alu instid0(VALU_DEP_4)
	v_cndmask_b32_e64 v13, 0, 32, s2
	v_cndmask_b32_e64 v15, 0, 0x41b17218, s0
	v_ldexp_f32 v6, v6, v10
	v_ldexp_f32 v7, v7, v11
	;; [unrolled: 1-line block ×4, first 2 shown]
	v_cndmask_b32_e64 v12, 0, 0x41b17218, vcc_lo
	v_log_f32_e32 v6, v6
	v_log_f32_e32 v7, v7
	;; [unrolled: 1-line block ×4, first 2 shown]
	v_cndmask_b32_e64 v16, 0, 0x41b17218, s1
	v_cndmask_b32_e64 v17, 0, 0x41b17218, s2
	s_delay_alu instid0(TRANS32_DEP_3) | instskip(NEXT) | instid1(TRANS32_DEP_1)
	v_dual_mul_f32 v10, 0x3f317217, v6 :: v_dual_mul_f32 v11, 0x3f317217, v7
	v_dual_mul_f32 v13, 0x3f317217, v8 :: v_dual_mul_f32 v14, 0x3f317217, v9
	v_cmp_gt_f32_e64 vcc_lo, 0x7f800000, |v6|
	s_delay_alu instid0(VALU_DEP_3) | instskip(NEXT) | instid1(VALU_DEP_4)
	v_fma_f32 v10, 0x3f317217, v6, -v10
	v_fma_f32 v11, 0x3f317217, v7, -v11
	s_delay_alu instid0(VALU_DEP_4) | instskip(SKIP_1) | instid1(VALU_DEP_3)
	v_fma_f32 v13, 0x3f317217, v8, -v13
	v_fma_f32 v14, 0x3f317217, v9, -v14
	v_dual_fmac_f32 v10, 0x3377d1cf, v6 :: v_dual_fmac_f32 v11, 0x3377d1cf, v7
	s_delay_alu instid0(VALU_DEP_2) | instskip(NEXT) | instid1(VALU_DEP_2)
	v_dual_fmac_f32 v13, 0x3377d1cf, v8 :: v_dual_fmac_f32 v14, 0x3377d1cf, v9
	v_dual_fmac_f32 v10, 0x3f317217, v6 :: v_dual_fmac_f32 v11, 0x3f317217, v7
	s_delay_alu instid0(VALU_DEP_2) | instskip(NEXT) | instid1(VALU_DEP_2)
	v_dual_fmac_f32 v13, 0x3f317217, v8 :: v_dual_fmac_f32 v14, 0x3f317217, v9
	v_cndmask_b32_e32 v6, v6, v10, vcc_lo
	v_cmp_gt_f32_e64 vcc_lo, 0x7f800000, |v7|
	s_delay_alu instid0(VALU_DEP_4) | instskip(SKIP_2) | instid1(VALU_DEP_3)
	v_cndmask_b32_e32 v7, v7, v11, vcc_lo
	v_cmp_gt_f32_e64 vcc_lo, 0x7f800000, |v8|
	v_lshlrev_b64_e32 v[10:11], 2, v[0:1]
	v_dual_sub_f32 v6, v6, v12 :: v_dual_sub_f32 v7, v7, v15
	v_cndmask_b32_e32 v8, v8, v13, vcc_lo
	v_cmp_gt_f32_e64 vcc_lo, 0x7f800000, |v9|
	s_delay_alu instid0(VALU_DEP_2) | instskip(SKIP_1) | instid1(VALU_DEP_2)
	v_dual_cndmask_b32 v9, v9, v14 :: v_dual_sub_f32 v8, v8, v16
	v_cmp_ge_i64_e32 vcc_lo, v[10:11], v[2:3]
	v_sub_f32_e32 v9, v9, v17
	s_or_b32 s3, vcc_lo, s3
	global_store_b128 v[4:5], v[6:9], off offset:-8
	s_wait_xcnt 0x0
	v_add_nc_u64_e32 v[4:5], s[4:5], v[4:5]
	s_and_not1_b32 exec_lo, exec_lo, s3
	s_cbranch_execnz .LBB172_29
.LBB172_30:
	s_endpgm
	.section	.rodata,"a",@progbits
	.p2align	6, 0x0
	.amdhsa_kernel _ZN2at6native12_GLOBAL__N_125multi_tensor_apply_kernelINS1_18TensorListMetadataILi1EEENS1_14UnaryOpFunctorIfLi1ELi1ELi0EEEJNS0_3LogIfEEEEEvT_T0_DpT1_
		.amdhsa_group_segment_fixed_size 0
		.amdhsa_private_segment_fixed_size 0
		.amdhsa_kernarg_size 3632
		.amdhsa_user_sgpr_count 2
		.amdhsa_user_sgpr_dispatch_ptr 0
		.amdhsa_user_sgpr_queue_ptr 0
		.amdhsa_user_sgpr_kernarg_segment_ptr 1
		.amdhsa_user_sgpr_dispatch_id 0
		.amdhsa_user_sgpr_kernarg_preload_length 0
		.amdhsa_user_sgpr_kernarg_preload_offset 0
		.amdhsa_user_sgpr_private_segment_size 0
		.amdhsa_wavefront_size32 1
		.amdhsa_uses_dynamic_stack 0
		.amdhsa_enable_private_segment 0
		.amdhsa_system_sgpr_workgroup_id_x 1
		.amdhsa_system_sgpr_workgroup_id_y 0
		.amdhsa_system_sgpr_workgroup_id_z 0
		.amdhsa_system_sgpr_workgroup_info 0
		.amdhsa_system_vgpr_workitem_id 0
		.amdhsa_next_free_vgpr 36
		.amdhsa_next_free_sgpr 23
		.amdhsa_named_barrier_count 0
		.amdhsa_reserve_vcc 1
		.amdhsa_float_round_mode_32 0
		.amdhsa_float_round_mode_16_64 0
		.amdhsa_float_denorm_mode_32 3
		.amdhsa_float_denorm_mode_16_64 3
		.amdhsa_fp16_overflow 0
		.amdhsa_memory_ordered 1
		.amdhsa_forward_progress 1
		.amdhsa_inst_pref_size 23
		.amdhsa_round_robin_scheduling 0
		.amdhsa_exception_fp_ieee_invalid_op 0
		.amdhsa_exception_fp_denorm_src 0
		.amdhsa_exception_fp_ieee_div_zero 0
		.amdhsa_exception_fp_ieee_overflow 0
		.amdhsa_exception_fp_ieee_underflow 0
		.amdhsa_exception_fp_ieee_inexact 0
		.amdhsa_exception_int_div_zero 0
	.end_amdhsa_kernel
	.section	.text._ZN2at6native12_GLOBAL__N_125multi_tensor_apply_kernelINS1_18TensorListMetadataILi1EEENS1_14UnaryOpFunctorIfLi1ELi1ELi0EEEJNS0_3LogIfEEEEEvT_T0_DpT1_,"axG",@progbits,_ZN2at6native12_GLOBAL__N_125multi_tensor_apply_kernelINS1_18TensorListMetadataILi1EEENS1_14UnaryOpFunctorIfLi1ELi1ELi0EEEJNS0_3LogIfEEEEEvT_T0_DpT1_,comdat
.Lfunc_end172:
	.size	_ZN2at6native12_GLOBAL__N_125multi_tensor_apply_kernelINS1_18TensorListMetadataILi1EEENS1_14UnaryOpFunctorIfLi1ELi1ELi0EEEJNS0_3LogIfEEEEEvT_T0_DpT1_, .Lfunc_end172-_ZN2at6native12_GLOBAL__N_125multi_tensor_apply_kernelINS1_18TensorListMetadataILi1EEENS1_14UnaryOpFunctorIfLi1ELi1ELi0EEEJNS0_3LogIfEEEEEvT_T0_DpT1_
                                        ; -- End function
	.set _ZN2at6native12_GLOBAL__N_125multi_tensor_apply_kernelINS1_18TensorListMetadataILi1EEENS1_14UnaryOpFunctorIfLi1ELi1ELi0EEEJNS0_3LogIfEEEEEvT_T0_DpT1_.num_vgpr, 36
	.set _ZN2at6native12_GLOBAL__N_125multi_tensor_apply_kernelINS1_18TensorListMetadataILi1EEENS1_14UnaryOpFunctorIfLi1ELi1ELi0EEEJNS0_3LogIfEEEEEvT_T0_DpT1_.num_agpr, 0
	.set _ZN2at6native12_GLOBAL__N_125multi_tensor_apply_kernelINS1_18TensorListMetadataILi1EEENS1_14UnaryOpFunctorIfLi1ELi1ELi0EEEJNS0_3LogIfEEEEEvT_T0_DpT1_.numbered_sgpr, 23
	.set _ZN2at6native12_GLOBAL__N_125multi_tensor_apply_kernelINS1_18TensorListMetadataILi1EEENS1_14UnaryOpFunctorIfLi1ELi1ELi0EEEJNS0_3LogIfEEEEEvT_T0_DpT1_.num_named_barrier, 0
	.set _ZN2at6native12_GLOBAL__N_125multi_tensor_apply_kernelINS1_18TensorListMetadataILi1EEENS1_14UnaryOpFunctorIfLi1ELi1ELi0EEEJNS0_3LogIfEEEEEvT_T0_DpT1_.private_seg_size, 0
	.set _ZN2at6native12_GLOBAL__N_125multi_tensor_apply_kernelINS1_18TensorListMetadataILi1EEENS1_14UnaryOpFunctorIfLi1ELi1ELi0EEEJNS0_3LogIfEEEEEvT_T0_DpT1_.uses_vcc, 1
	.set _ZN2at6native12_GLOBAL__N_125multi_tensor_apply_kernelINS1_18TensorListMetadataILi1EEENS1_14UnaryOpFunctorIfLi1ELi1ELi0EEEJNS0_3LogIfEEEEEvT_T0_DpT1_.uses_flat_scratch, 0
	.set _ZN2at6native12_GLOBAL__N_125multi_tensor_apply_kernelINS1_18TensorListMetadataILi1EEENS1_14UnaryOpFunctorIfLi1ELi1ELi0EEEJNS0_3LogIfEEEEEvT_T0_DpT1_.has_dyn_sized_stack, 0
	.set _ZN2at6native12_GLOBAL__N_125multi_tensor_apply_kernelINS1_18TensorListMetadataILi1EEENS1_14UnaryOpFunctorIfLi1ELi1ELi0EEEJNS0_3LogIfEEEEEvT_T0_DpT1_.has_recursion, 0
	.set _ZN2at6native12_GLOBAL__N_125multi_tensor_apply_kernelINS1_18TensorListMetadataILi1EEENS1_14UnaryOpFunctorIfLi1ELi1ELi0EEEJNS0_3LogIfEEEEEvT_T0_DpT1_.has_indirect_call, 0
	.section	.AMDGPU.csdata,"",@progbits
; Kernel info:
; codeLenInByte = 2880
; TotalNumSgprs: 25
; NumVgprs: 36
; ScratchSize: 0
; MemoryBound: 0
; FloatMode: 240
; IeeeMode: 1
; LDSByteSize: 0 bytes/workgroup (compile time only)
; SGPRBlocks: 0
; VGPRBlocks: 2
; NumSGPRsForWavesPerEU: 25
; NumVGPRsForWavesPerEU: 36
; NamedBarCnt: 0
; Occupancy: 16
; WaveLimiterHint : 0
; COMPUTE_PGM_RSRC2:SCRATCH_EN: 0
; COMPUTE_PGM_RSRC2:USER_SGPR: 2
; COMPUTE_PGM_RSRC2:TRAP_HANDLER: 0
; COMPUTE_PGM_RSRC2:TGID_X_EN: 1
; COMPUTE_PGM_RSRC2:TGID_Y_EN: 0
; COMPUTE_PGM_RSRC2:TGID_Z_EN: 0
; COMPUTE_PGM_RSRC2:TIDIG_COMP_CNT: 0
	.section	.text._ZN2at6native12_GLOBAL__N_125multi_tensor_apply_kernelINS1_18TensorListMetadataILi1EEENS1_14UnaryOpFunctorIN3c107complexIdEELi1ELi1ELi0EEEJNS0_3LogIS8_EEEEEvT_T0_DpT1_,"axG",@progbits,_ZN2at6native12_GLOBAL__N_125multi_tensor_apply_kernelINS1_18TensorListMetadataILi1EEENS1_14UnaryOpFunctorIN3c107complexIdEELi1ELi1ELi0EEEJNS0_3LogIS8_EEEEEvT_T0_DpT1_,comdat
	.globl	_ZN2at6native12_GLOBAL__N_125multi_tensor_apply_kernelINS1_18TensorListMetadataILi1EEENS1_14UnaryOpFunctorIN3c107complexIdEELi1ELi1ELi0EEEJNS0_3LogIS8_EEEEEvT_T0_DpT1_ ; -- Begin function _ZN2at6native12_GLOBAL__N_125multi_tensor_apply_kernelINS1_18TensorListMetadataILi1EEENS1_14UnaryOpFunctorIN3c107complexIdEELi1ELi1ELi0EEEJNS0_3LogIS8_EEEEEvT_T0_DpT1_
	.p2align	8
	.type	_ZN2at6native12_GLOBAL__N_125multi_tensor_apply_kernelINS1_18TensorListMetadataILi1EEENS1_14UnaryOpFunctorIN3c107complexIdEELi1ELi1ELi0EEEJNS0_3LogIS8_EEEEEvT_T0_DpT1_,@function
_ZN2at6native12_GLOBAL__N_125multi_tensor_apply_kernelINS1_18TensorListMetadataILi1EEENS1_14UnaryOpFunctorIN3c107complexIdEELi1ELi1ELi0EEEJNS0_3LogIS8_EEEEEvT_T0_DpT1_: ; @_ZN2at6native12_GLOBAL__N_125multi_tensor_apply_kernelINS1_18TensorListMetadataILi1EEENS1_14UnaryOpFunctorIN3c107complexIdEELi1ELi1ELi0EEEJNS0_3LogIS8_EEEEEvT_T0_DpT1_
; %bb.0:
	s_bfe_u32 s2, ttmp6, 0x4000c
	s_and_b32 s3, ttmp6, 15
	s_add_co_i32 s2, s2, 1
	s_getreg_b32 s4, hwreg(HW_REG_IB_STS2, 6, 4)
	s_mul_i32 s2, ttmp9, s2
	s_delay_alu instid0(SALU_CYCLE_1)
	s_add_co_i32 s3, s3, s2
	s_cmp_eq_u32 s4, 0
	s_cselect_b32 s2, ttmp9, s3
	s_mov_b32 s3, 0
	s_load_u8 s12, s[0:1], s2 offset:0x6e0
	s_add_nc_u64 s[4:5], s[0:1], s[2:3]
	s_mul_u64 s[6:7], s[2:3], 3
	s_delay_alu instid0(SALU_CYCLE_1)
	s_add_nc_u64 s[4:5], s[4:5], s[6:7]
	s_load_b32 s6, s[4:5], 0x820
	s_wait_kmcnt 0x0
	s_clause 0x1
	s_load_b64 s[8:9], s[0:1], s12 offset:0x0 scale_offset
	s_load_b64 s[10:11], s[0:1], s12 offset:0x370 scale_offset
	s_ashr_i32 s7, s6, 31
	s_delay_alu instid0(SALU_CYCLE_1) | instskip(SKIP_3) | instid1(SALU_CYCLE_1)
	s_lshl_b64 s[4:5], s[6:7], 20
	s_wait_kmcnt 0x0
	s_and_b32 s2, s10, 3
	s_add_nc_u64 s[18:19], s[8:9], s[4:5]
	s_and_b64 s[4:5], s[18:19], 63
	s_delay_alu instid0(SALU_CYCLE_1)
	s_or_b64 s[2:3], s[4:5], s[2:3]
	s_lshl_b64 s[4:5], s[6:7], 16
	s_cmp_eq_u64 s[2:3], 0
	s_sub_nc_u64 s[20:21], s[10:11], s[4:5]
	s_cbranch_scc1 .LBB173_157
; %bb.1:
	v_cmp_lt_i64_e64 s2, s[20:21], 1
	s_and_b32 vcc_lo, exec_lo, s2
	s_cbranch_vccnz .LBB173_156
; %bb.2:
	v_min_i64 v[34:35], 0x10000, s[20:21]
	v_min_u64 v[38:39], 0x10000, s[20:21]
	s_load_b32 s2, s[0:1], 0xd3c
	v_dual_mov_b32 v36, 0 :: v_dual_mov_b32 v69, 0x4002d97c
	v_mov_b64_e32 v[40:41], 0x3fc385386b47b09a
	v_mov_b64_e32 v[42:43], 0xbf23e260bd3237f4
	s_delay_alu instid0(VALU_DEP_3)
	v_dual_mov_b32 v68, 0x7f3321d2 :: v_dual_mov_b32 v1, v36
	s_mov_b32 s23, 0
	s_mov_b64 s[24:25], 0x7fd1ccf385ebc8a0
	s_mov_b64 s[26:27], 0x358dee7a4ad4b81f
	;; [unrolled: 1-line block ×5, first 2 shown]
	s_mov_b32 s37, s23
	s_mov_b32 s39, s23
	s_mov_b64 s[40:41], 0x3ff921fb54442d18
	s_mov_b64 s[42:43], 0x400921fb54442d18
	;; [unrolled: 1-line block ×5, first 2 shown]
	s_wait_kmcnt 0x0
	s_and_b32 s22, s2, 0xffff
	s_mov_b32 s51, s23
	s_lshl_b32 s36, s22, 1
	s_mul_i32 s38, s22, 3
	s_lshl_b32 s50, s22, 2
	s_mov_b64 s[52:53], 0
                                        ; implicit-def: $vgpr2_vgpr3
                                        ; implicit-def: $vgpr2_vgpr3
	;; [unrolled: 1-line block ×23, first 2 shown]
	s_branch .LBB173_4
.LBB173_3:                              ;   in Loop: Header=BB173_4 Depth=1
	s_wait_xcnt 0x0
	s_or_b32 exec_lo, exec_lo, s2
	s_add_nc_u64 s[52:53], s[52:53], s[50:51]
	s_delay_alu instid0(SALU_CYCLE_1)
	v_cmp_ge_i64_e32 vcc_lo, s[52:53], v[34:35]
	s_cbranch_vccnz .LBB173_156
.LBB173_4:                              ; =>This Loop Header: Depth=1
                                        ;     Child Loop BB173_23 Depth 2
                                        ;     Child Loop BB173_57 Depth 2
	;; [unrolled: 1-line block ×4, first 2 shown]
	v_add_nc_u64_e32 v[10:11], s[52:53], v[0:1]
	v_mov_b64_e32 v[4:5], 0
	v_mov_b64_e32 v[8:9], 0
	;; [unrolled: 1-line block ×3, first 2 shown]
	s_delay_alu instid0(VALU_DEP_4)
	v_cmp_lt_u64_e64 s2, v[10:11], v[38:39]
	v_lshl_add_u64 v[44:45], v[10:11], 4, s[18:19]
	s_and_saveexec_b32 s3, s2
	s_cbranch_execz .LBB173_6
; %bb.5:                                ;   in Loop: Header=BB173_4 Depth=1
	global_load_b128 v[6:9], v[44:45], off
.LBB173_6:                              ;   in Loop: Header=BB173_4 Depth=1
	s_wait_xcnt 0x0
	s_or_b32 exec_lo, exec_lo, s3
	v_add_nc_u64_e32 v[12:13], s[22:23], v[10:11]
	v_mov_b64_e32 v[2:3], 0
	s_delay_alu instid0(VALU_DEP_2)
	v_cmp_lt_u64_e64 s3, v[12:13], v[38:39]
	v_lshl_add_u64 v[46:47], v[12:13], 4, s[18:19]
	s_and_saveexec_b32 s4, s3
	s_cbranch_execz .LBB173_8
; %bb.7:                                ;   in Loop: Header=BB173_4 Depth=1
	global_load_b128 v[2:5], v[46:47], off
.LBB173_8:                              ;   in Loop: Header=BB173_4 Depth=1
	s_wait_xcnt 0x0
	s_or_b32 exec_lo, exec_lo, s4
	v_add_nc_u64_e32 v[18:19], s[36:37], v[10:11]
	v_mov_b64_e32 v[12:13], 0
	v_mov_b64_e32 v[16:17], 0
	;; [unrolled: 1-line block ×3, first 2 shown]
	s_delay_alu instid0(VALU_DEP_4)
	v_cmp_lt_u64_e64 s4, v[18:19], v[38:39]
	v_lshl_add_u64 v[48:49], v[18:19], 4, s[18:19]
	s_and_saveexec_b32 s5, s4
	s_cbranch_execz .LBB173_10
; %bb.9:                                ;   in Loop: Header=BB173_4 Depth=1
	global_load_b128 v[14:17], v[48:49], off
.LBB173_10:                             ;   in Loop: Header=BB173_4 Depth=1
	s_wait_xcnt 0x0
	s_or_b32 exec_lo, exec_lo, s5
	v_add_nc_u64_e32 v[18:19], s[38:39], v[10:11]
	v_mov_b64_e32 v[10:11], 0
	s_delay_alu instid0(VALU_DEP_2)
	v_cmp_lt_u64_e64 s5, v[18:19], v[38:39]
	v_lshl_add_u64 v[50:51], v[18:19], 4, s[18:19]
	s_and_saveexec_b32 s6, s5
	s_cbranch_execz .LBB173_12
; %bb.11:                               ;   in Loop: Header=BB173_4 Depth=1
	global_load_b128 v[10:13], v[50:51], off
.LBB173_12:                             ;   in Loop: Header=BB173_4 Depth=1
	s_wait_xcnt 0x0
	s_or_b32 exec_lo, exec_lo, s6
                                        ; implicit-def: $vgpr18_vgpr19
	s_delay_alu instid0(SALU_CYCLE_1)
	s_mov_b32 s6, exec_lo
	s_wait_loadcnt 0x0
	v_cmpx_o_f64_e32 v[6:7], v[8:9]
	s_xor_b32 s17, exec_lo, s6
	s_cbranch_execz .LBB173_40
; %bb.13:                               ;   in Loop: Header=BB173_4 Depth=1
	v_cmp_lt_f64_e64 s6, |v[6:7]|, |v[8:9]|
	v_and_b32_e32 v22, 0x7fffffff, v7
	v_and_b32_e32 v21, 0x7fffffff, v9
                                        ; implicit-def: $vgpr18_vgpr19
	s_mov_b32 s7, exec_lo
	s_delay_alu instid0(VALU_DEP_1) | instskip(SKIP_1) | instid1(VALU_DEP_1)
	v_dual_mov_b32 v20, v8 :: v_dual_cndmask_b32 v25, v21, v22, s6
	v_cndmask_b32_e64 v24, v8, v6, s6
	v_cmpx_nlt_f64_e32 s[24:25], v[24:25]
	s_xor_b32 s33, exec_lo, s7
	s_cbranch_execz .LBB173_37
; %bb.14:                               ;   in Loop: Header=BB173_4 Depth=1
	v_cndmask_b32_e64 v23, v22, v21, s6
	v_cndmask_b32_e64 v22, v6, v20, s6
                                        ; implicit-def: $vgpr18_vgpr19
	s_mov_b32 s7, exec_lo
	s_delay_alu instid0(VALU_DEP_1)
	v_cmpx_neq_f64_e32 1.0, v[22:23]
	s_xor_b32 s54, exec_lo, s7
	s_cbranch_execz .LBB173_30
; %bb.15:                               ;   in Loop: Header=BB173_4 Depth=1
	v_max_num_f64_e32 v[18:19], v[24:25], v[24:25]
	v_max_num_f64_e32 v[20:21], v[22:23], v[22:23]
	s_delay_alu instid0(VALU_DEP_1) | instskip(SKIP_1) | instid1(VALU_DEP_2)
	v_min_num_f64_e32 v[26:27], v[20:21], v[18:19]
	v_max_num_f64_e32 v[18:19], v[20:21], v[18:19]
	v_cmp_ngt_f64_e32 vcc_lo, s[26:27], v[26:27]
	s_delay_alu instid0(VALU_DEP_2) | instskip(SKIP_1) | instid1(SALU_CYCLE_1)
	v_cmp_nlt_f64_e64 s7, s[28:29], v[18:19]
                                        ; implicit-def: $vgpr18_vgpr19
	s_and_b32 s7, s7, vcc_lo
	s_and_saveexec_b32 s8, s7
	s_delay_alu instid0(SALU_CYCLE_1)
	s_xor_b32 s55, exec_lo, s8
	s_cbranch_execz .LBB173_27
; %bb.16:                               ;   in Loop: Header=BB173_4 Depth=1
                                        ; implicit-def: $vgpr18_vgpr19
	s_mov_b32 s7, exec_lo
	v_cmpx_le_f64_e32 1.0, v[22:23]
	s_xor_b32 s10, exec_lo, s7
	s_cbranch_execz .LBB173_18
; %bb.17:                               ;   in Loop: Header=BB173_4 Depth=1
	v_add_f64_e32 v[18:19], -1.0, v[22:23]
	v_add_f64_e32 v[20:21], 1.0, v[22:23]
	v_cmp_eq_f64_e64 s7, 0, v[8:9]
	v_cmp_class_f64_e64 s12, v[6:7], 0x204
	v_cmp_class_f64_e64 s11, v[8:9], 0x204
	s_delay_alu instid0(VALU_DEP_4) | instskip(NEXT) | instid1(VALU_DEP_1)
	v_mul_f64_e32 v[22:23], v[18:19], v[20:21]
	v_fmac_f64_e32 v[22:23], v[24:25], v[24:25]
	s_delay_alu instid0(VALU_DEP_1) | instskip(SKIP_2) | instid1(VALU_DEP_3)
	v_add_f64_e32 v[18:19], 1.0, v[22:23]
	v_cmp_nge_f64_e64 s8, -1.0, v[22:23]
	v_cmp_neq_f64_e64 s9, 0x7ff00000, v[22:23]
	v_frexp_mant_f64_e32 v[20:21], v[18:19]
	v_frexp_exp_i32_f64_e32 v26, v[18:19]
	v_add_f64_e32 v[24:25], -1.0, v[18:19]
	s_delay_alu instid0(VALU_DEP_3) | instskip(NEXT) | instid1(VALU_DEP_2)
	v_cmp_gt_f64_e32 vcc_lo, s[30:31], v[20:21]
	v_add_f64_e64 v[20:21], v[24:25], -v[18:19]
	v_add_f64_e64 v[24:25], v[22:23], -v[24:25]
	v_subrev_co_ci_u32_e64 v37, null, 0, v26, vcc_lo
	s_delay_alu instid0(VALU_DEP_3) | instskip(NEXT) | instid1(VALU_DEP_2)
	v_add_f64_e32 v[20:21], 1.0, v[20:21]
	v_sub_nc_u32_e32 v28, 0, v37
	s_delay_alu instid0(VALU_DEP_1) | instskip(NEXT) | instid1(VALU_DEP_3)
	v_ldexp_f64 v[18:19], v[18:19], v28
	v_add_f64_e32 v[20:21], v[24:25], v[20:21]
	s_delay_alu instid0(VALU_DEP_2) | instskip(SKIP_1) | instid1(VALU_DEP_3)
	v_add_f64_e32 v[26:27], 1.0, v[18:19]
	v_add_f64_e32 v[32:33], -1.0, v[18:19]
	v_ldexp_f64 v[20:21], v[20:21], v28
	s_delay_alu instid0(VALU_DEP_3) | instskip(NEXT) | instid1(VALU_DEP_3)
	v_add_f64_e32 v[24:25], -1.0, v[26:27]
	v_add_f64_e32 v[52:53], 1.0, v[32:33]
	s_delay_alu instid0(VALU_DEP_2) | instskip(NEXT) | instid1(VALU_DEP_2)
	v_add_f64_e64 v[24:25], v[18:19], -v[24:25]
	v_add_f64_e64 v[18:19], v[18:19], -v[52:53]
	s_delay_alu instid0(VALU_DEP_2) | instskip(NEXT) | instid1(VALU_DEP_2)
	v_add_f64_e32 v[24:25], v[20:21], v[24:25]
	v_add_f64_e32 v[18:19], v[20:21], v[18:19]
	s_delay_alu instid0(VALU_DEP_2) | instskip(NEXT) | instid1(VALU_DEP_2)
	v_add_f64_e32 v[28:29], v[26:27], v[24:25]
	v_add_f64_e32 v[52:53], v[32:33], v[18:19]
	s_delay_alu instid0(VALU_DEP_2) | instskip(SKIP_1) | instid1(VALU_DEP_2)
	v_rcp_f64_e32 v[30:31], v[28:29]
	v_add_f64_e64 v[26:27], v[28:29], -v[26:27]
	v_add_f64_e64 v[32:33], v[52:53], -v[32:33]
	s_delay_alu instid0(VALU_DEP_2) | instskip(NEXT) | instid1(VALU_DEP_2)
	v_add_f64_e64 v[24:25], v[24:25], -v[26:27]
	v_add_f64_e64 v[18:19], v[18:19], -v[32:33]
	s_delay_alu instid0(TRANS32_DEP_1) | instskip(NEXT) | instid1(VALU_DEP_1)
	v_fma_f64 v[54:55], -v[28:29], v[30:31], 1.0
	v_fmac_f64_e32 v[30:31], v[54:55], v[30:31]
	s_delay_alu instid0(VALU_DEP_1) | instskip(NEXT) | instid1(VALU_DEP_1)
	v_fma_f64 v[20:21], -v[28:29], v[30:31], 1.0
	v_fmac_f64_e32 v[30:31], v[20:21], v[30:31]
	s_delay_alu instid0(VALU_DEP_1) | instskip(NEXT) | instid1(VALU_DEP_1)
	v_mul_f64_e32 v[20:21], v[52:53], v[30:31]
	v_mul_f64_e32 v[54:55], v[28:29], v[20:21]
	s_delay_alu instid0(VALU_DEP_1) | instskip(NEXT) | instid1(VALU_DEP_1)
	v_fma_f64 v[26:27], v[20:21], v[28:29], -v[54:55]
	v_fmac_f64_e32 v[26:27], v[20:21], v[24:25]
	s_delay_alu instid0(VALU_DEP_1) | instskip(NEXT) | instid1(VALU_DEP_1)
	v_add_f64_e32 v[56:57], v[54:55], v[26:27]
	v_add_f64_e64 v[58:59], v[52:53], -v[56:57]
	v_add_f64_e64 v[32:33], v[56:57], -v[54:55]
	s_delay_alu instid0(VALU_DEP_2) | instskip(NEXT) | instid1(VALU_DEP_2)
	v_add_f64_e64 v[52:53], v[52:53], -v[58:59]
	v_add_f64_e64 v[26:27], v[32:33], -v[26:27]
	s_delay_alu instid0(VALU_DEP_2) | instskip(NEXT) | instid1(VALU_DEP_1)
	v_add_f64_e64 v[52:53], v[52:53], -v[56:57]
	v_add_f64_e32 v[18:19], v[18:19], v[52:53]
	s_delay_alu instid0(VALU_DEP_1) | instskip(NEXT) | instid1(VALU_DEP_1)
	v_add_f64_e32 v[18:19], v[26:27], v[18:19]
	v_add_f64_e32 v[26:27], v[58:59], v[18:19]
	s_delay_alu instid0(VALU_DEP_1) | instskip(SKIP_1) | instid1(VALU_DEP_2)
	v_mul_f64_e32 v[32:33], v[30:31], v[26:27]
	v_add_f64_e64 v[56:57], v[58:59], -v[26:27]
	v_mul_f64_e32 v[52:53], v[28:29], v[32:33]
	s_delay_alu instid0(VALU_DEP_2) | instskip(NEXT) | instid1(VALU_DEP_2)
	v_add_f64_e32 v[18:19], v[18:19], v[56:57]
	v_fma_f64 v[28:29], v[32:33], v[28:29], -v[52:53]
	s_delay_alu instid0(VALU_DEP_1) | instskip(NEXT) | instid1(VALU_DEP_1)
	v_fmac_f64_e32 v[28:29], v[32:33], v[24:25]
	v_add_f64_e32 v[24:25], v[52:53], v[28:29]
	s_delay_alu instid0(VALU_DEP_1) | instskip(SKIP_1) | instid1(VALU_DEP_2)
	v_add_f64_e64 v[54:55], v[26:27], -v[24:25]
	v_add_f64_e64 v[52:53], v[24:25], -v[52:53]
	;; [unrolled: 1-line block ×3, first 2 shown]
	s_delay_alu instid0(VALU_DEP_1) | instskip(NEXT) | instid1(VALU_DEP_3)
	v_add_f64_e64 v[24:25], v[26:27], -v[24:25]
	v_add_f64_e64 v[26:27], v[52:53], -v[28:29]
	v_max_num_f64_e64 v[28:29], |v[6:7]|, |v[6:7]|
	s_delay_alu instid0(VALU_DEP_3) | instskip(SKIP_1) | instid1(VALU_DEP_2)
	v_add_f64_e32 v[18:19], v[18:19], v[24:25]
	v_add_f64_e32 v[24:25], v[20:21], v[32:33]
	;; [unrolled: 1-line block ×3, first 2 shown]
	s_delay_alu instid0(VALU_DEP_2) | instskip(SKIP_1) | instid1(VALU_DEP_3)
	v_add_f64_e64 v[20:21], v[24:25], -v[20:21]
	v_max_num_f64_e64 v[26:27], |v[8:9]|, |v[8:9]|
	v_add_f64_e32 v[18:19], v[54:55], v[18:19]
	s_delay_alu instid0(VALU_DEP_3) | instskip(NEXT) | instid1(VALU_DEP_2)
	v_add_f64_e64 v[20:21], v[32:33], -v[20:21]
	v_mul_f64_e32 v[18:19], v[30:31], v[18:19]
	s_delay_alu instid0(VALU_DEP_1) | instskip(SKIP_2) | instid1(VALU_DEP_3)
	v_add_f64_e32 v[18:19], v[20:21], v[18:19]
	v_max_num_f64_e32 v[20:21], v[28:29], v[26:27]
	v_min_num_f64_e32 v[26:27], v[28:29], v[26:27]
	v_add_f64_e32 v[28:29], v[24:25], v[18:19]
	s_delay_alu instid0(VALU_DEP_2) | instskip(NEXT) | instid1(VALU_DEP_2)
	v_div_scale_f64 v[30:31], null, v[20:21], v[20:21], v[26:27]
	v_mul_f64_e32 v[32:33], v[28:29], v[28:29]
	v_add_f64_e64 v[24:25], v[28:29], -v[24:25]
	s_delay_alu instid0(VALU_DEP_3) | instskip(NEXT) | instid1(VALU_DEP_2)
	v_rcp_f64_e32 v[52:53], v[30:31]
	v_fmamk_f64 v[54:55], v[32:33], 0x3fc3ab76bf559e2b, v[40:41]
	v_mul_f64_e32 v[56:57], v[28:29], v[32:33]
	s_delay_alu instid0(VALU_DEP_3) | instskip(NEXT) | instid1(VALU_DEP_3)
	v_add_f64_e64 v[18:19], v[18:19], -v[24:25]
	v_fmaak_f64 v[54:55], v[32:33], v[54:55], 0x3fc7474dd7f4df2e
	s_delay_alu instid0(TRANS32_DEP_1) | instskip(NEXT) | instid1(VALU_DEP_2)
	v_fma_f64 v[58:59], -v[30:31], v[52:53], 1.0
	v_fmaak_f64 v[54:55], v[32:33], v[54:55], 0x3fcc71c016291751
	s_delay_alu instid0(VALU_DEP_1) | instskip(NEXT) | instid1(VALU_DEP_1)
	v_fmaak_f64 v[54:55], v[32:33], v[54:55], 0x3fd249249b27acf1
	v_fmaak_f64 v[54:55], v[32:33], v[54:55], 0x3fd99999998ef7b6
	v_ldexp_f64 v[18:19], v[18:19], 1
	s_delay_alu instid0(VALU_DEP_2) | instskip(SKIP_2) | instid1(VALU_DEP_3)
	v_fmaak_f64 v[32:33], v[32:33], v[54:55], 0x3fe5555555555780
	v_ldexp_f64 v[54:55], v[28:29], 1
	v_fmac_f64_e32 v[52:53], v[52:53], v[58:59]
	v_mul_f64_e32 v[32:33], v[56:57], v[32:33]
	v_cvt_f64_i32_e32 v[56:57], v37
	s_delay_alu instid0(VALU_DEP_3) | instskip(NEXT) | instid1(VALU_DEP_3)
	v_fma_f64 v[58:59], -v[30:31], v[52:53], 1.0
	v_add_f64_e32 v[28:29], v[54:55], v[32:33]
	s_delay_alu instid0(VALU_DEP_3) | instskip(NEXT) | instid1(VALU_DEP_3)
	v_mul_f64_e32 v[60:61], 0x3fe62e42fefa39ef, v[56:57]
	v_fmac_f64_e32 v[52:53], v[52:53], v[58:59]
	s_delay_alu instid0(VALU_DEP_3) | instskip(SKIP_1) | instid1(VALU_DEP_4)
	v_add_f64_e64 v[24:25], v[28:29], -v[54:55]
	v_div_scale_f64 v[54:55], vcc_lo, v[26:27], v[20:21], v[26:27]
	v_fma_f64 v[58:59], v[56:57], s[34:35], -v[60:61]
	s_delay_alu instid0(VALU_DEP_3) | instskip(NEXT) | instid1(VALU_DEP_3)
	v_add_f64_e64 v[24:25], v[32:33], -v[24:25]
	v_mul_f64_e32 v[32:33], v[54:55], v[52:53]
	s_delay_alu instid0(VALU_DEP_3) | instskip(NEXT) | instid1(VALU_DEP_3)
	v_fmac_f64_e32 v[58:59], 0x3c7abc9e3b39803f, v[56:57]
	v_add_f64_e32 v[18:19], v[18:19], v[24:25]
	s_delay_alu instid0(VALU_DEP_3) | instskip(NEXT) | instid1(VALU_DEP_3)
	v_fma_f64 v[24:25], -v[30:31], v[32:33], v[54:55]
	v_add_f64_e32 v[30:31], v[60:61], v[58:59]
	s_delay_alu instid0(VALU_DEP_3) | instskip(NEXT) | instid1(VALU_DEP_3)
	v_add_f64_e32 v[54:55], v[28:29], v[18:19]
	v_div_fmas_f64 v[24:25], v[24:25], v[52:53], v[32:33]
	v_cmp_gt_i32_e32 vcc_lo, 0, v7
	s_delay_alu instid0(VALU_DEP_4) | instskip(SKIP_1) | instid1(VALU_DEP_1)
	v_add_f64_e64 v[52:53], v[30:31], -v[60:61]
	v_cndmask_b32_e32 v6, 0x3fe921fb, v69, vcc_lo
	v_bfi_b32 v6, 0x7fffffff, v6, v9
	v_add_f64_e32 v[32:33], v[30:31], v[54:55]
	v_div_fixup_f64 v[20:21], v[24:25], v[20:21], v[26:27]
	v_add_f64_e64 v[28:29], v[54:55], -v[28:29]
	v_add_f64_e64 v[52:53], v[58:59], -v[52:53]
	s_delay_alu instid0(VALU_DEP_4) | instskip(NEXT) | instid1(VALU_DEP_4)
	v_add_f64_e64 v[24:25], v[32:33], -v[30:31]
	v_mul_f64_e32 v[26:27], v[20:21], v[20:21]
	s_delay_alu instid0(VALU_DEP_4) | instskip(NEXT) | instid1(VALU_DEP_3)
	v_add_f64_e64 v[18:19], v[18:19], -v[28:29]
	v_add_f64_e64 v[56:57], v[32:33], -v[24:25]
	s_delay_alu instid0(VALU_DEP_3) | instskip(SKIP_1) | instid1(VALU_DEP_4)
	v_fmamk_f64 v[60:61], v[26:27], 0x3eeba404b5e68a13, v[42:43]
	v_add_f64_e64 v[24:25], v[54:55], -v[24:25]
	v_add_f64_e32 v[54:55], v[52:53], v[18:19]
	s_delay_alu instid0(VALU_DEP_3) | instskip(SKIP_1) | instid1(VALU_DEP_2)
	v_fmaak_f64 v[60:61], v[26:27], v[60:61], 0x3f4b2bb069efb384
	v_add_f64_e64 v[28:29], v[30:31], -v[56:57]
	v_fmaak_f64 v[30:31], v[26:27], v[60:61], 0xbf67952daf56de9b
	s_delay_alu instid0(VALU_DEP_1) | instskip(NEXT) | instid1(VALU_DEP_1)
	v_fmaak_f64 v[30:31], v[26:27], v[30:31], 0x3f7d6d43a595c56f
	v_fmaak_f64 v[30:31], v[26:27], v[30:31], 0xbf8c6ea4a57d9582
	s_delay_alu instid0(VALU_DEP_1) | instskip(NEXT) | instid1(VALU_DEP_1)
	v_fmaak_f64 v[30:31], v[26:27], v[30:31], 0x3f967e295f08b19f
	v_fmaak_f64 v[30:31], v[26:27], v[30:31], 0xbf9e9ae6fc27006a
	v_add_f64_e32 v[24:25], v[24:25], v[28:29]
	s_delay_alu instid0(VALU_DEP_2) | instskip(SKIP_1) | instid1(VALU_DEP_2)
	v_fmaak_f64 v[28:29], v[26:27], v[30:31], 0x3fa2c15b5711927a
	v_add_f64_e64 v[30:31], v[54:55], -v[52:53]
	v_fmaak_f64 v[28:29], v[26:27], v[28:29], 0xbfa59976e82d3ff0
	s_delay_alu instid0(VALU_DEP_1) | instskip(NEXT) | instid1(VALU_DEP_1)
	v_fmaak_f64 v[28:29], v[26:27], v[28:29], 0x3fa82d5d6ef28734
	v_fmaak_f64 v[28:29], v[26:27], v[28:29], 0xbfaae5ce6a214619
	s_delay_alu instid0(VALU_DEP_1) | instskip(SKIP_3) | instid1(VALU_DEP_4)
	v_fmaak_f64 v[28:29], v[26:27], v[28:29], 0x3fae1bb48427b883
	v_add_f64_e32 v[24:25], v[54:55], v[24:25]
	v_add_f64_e64 v[54:55], v[54:55], -v[30:31]
	v_add_f64_e64 v[18:19], v[18:19], -v[30:31]
	v_fmaak_f64 v[28:29], v[26:27], v[28:29], 0xbfb110e48b207f05
	s_delay_alu instid0(VALU_DEP_1) | instskip(NEXT) | instid1(VALU_DEP_1)
	v_fmaak_f64 v[28:29], v[26:27], v[28:29], 0x3fb3b13657b87036
	v_fmaak_f64 v[28:29], v[26:27], v[28:29], 0xbfb745d119378e4f
	s_delay_alu instid0(VALU_DEP_1) | instskip(SKIP_1) | instid1(VALU_DEP_2)
	v_fmaak_f64 v[28:29], v[26:27], v[28:29], 0x3fbc71c717e1913c
	v_add_f64_e32 v[56:57], v[32:33], v[24:25]
	v_fmaak_f64 v[28:29], v[26:27], v[28:29], 0xbfc2492492376b7d
	s_delay_alu instid0(VALU_DEP_1) | instskip(NEXT) | instid1(VALU_DEP_1)
	v_fmaak_f64 v[28:29], v[26:27], v[28:29], 0x3fc99999999952cc
	v_fmaak_f64 v[28:29], v[26:27], v[28:29], 0xbfd5555555555523
	s_delay_alu instid0(VALU_DEP_1) | instskip(SKIP_2) | instid1(VALU_DEP_3)
	v_mul_f64_e32 v[26:27], v[26:27], v[28:29]
	v_add_f64_e64 v[28:29], v[52:53], -v[54:55]
	v_add_f64_e64 v[30:31], v[56:57], -v[32:33]
	v_fmac_f64_e32 v[20:21], v[20:21], v[26:27]
	s_delay_alu instid0(VALU_DEP_3) | instskip(NEXT) | instid1(VALU_DEP_3)
	v_add_f64_e32 v[18:19], v[18:19], v[28:29]
	v_add_f64_e64 v[24:25], v[24:25], -v[30:31]
	s_delay_alu instid0(VALU_DEP_3) | instskip(NEXT) | instid1(VALU_DEP_1)
	v_add_f64_e64 v[26:27], -v[20:21], s[40:41]
	v_dual_add_f64 v[18:19], v[18:19], v[24:25] :: v_dual_cndmask_b32 v21, v21, v27, s6
	s_delay_alu instid0(VALU_DEP_2) | instskip(SKIP_1) | instid1(VALU_DEP_2)
	v_dual_cndmask_b32 v20, v20, v26, s6 :: v_dual_ashrrev_i32 v26, 31, v7
	v_cndmask_b32_e32 v27, 0x54442d18, v68, vcc_lo
	v_add_f64_e64 v[24:25], -v[20:21], s[42:43]
	s_delay_alu instid0(VALU_DEP_3) | instskip(SKIP_2) | instid1(VALU_DEP_4)
	v_and_b32_e32 v28, 0x54442d18, v26
	v_and_b32_e32 v7, 0x400921fb, v26
	v_add_f64_e32 v[18:19], v[56:57], v[18:19]
	v_dual_cndmask_b32 v20, v20, v24 :: v_dual_cndmask_b32 v21, v21, v25
	v_cmp_ngt_f64_e32 vcc_lo, -1.0, v[22:23]
	s_delay_alu instid0(VALU_DEP_3) | instskip(NEXT) | instid1(VALU_DEP_3)
	v_mul_f64_e32 v[18:19], 0.5, v[18:19]
                                        ; implicit-def: $vgpr24_vgpr25
	v_dual_cndmask_b32 v20, v20, v28, s7 :: v_dual_cndmask_b32 v7, v21, v7, s7
	s_and_b32 s7, s8, s9
	s_delay_alu instid0(VALU_DEP_2) | instid1(SALU_CYCLE_1)
	v_cndmask_b32_e64 v18, 0, v18, s7
	v_cmp_neq_f64_e64 s7, -1.0, v[22:23]
	s_delay_alu instid0(VALU_DEP_4) | instskip(NEXT) | instid1(VALU_DEP_1)
	v_cndmask_b32_e64 v19, 0x7ff00000, v19, s9
                                        ; implicit-def: $vgpr22_vgpr23
	v_cndmask_b32_e32 v19, 0x7ff80000, v19, vcc_lo
	s_and_b32 vcc_lo, s11, s12
	v_dual_cndmask_b32 v21, v7, v6 :: v_dual_cndmask_b32 v20, v20, v27
	s_delay_alu instid0(VALU_DEP_2)
	v_cndmask_b32_e64 v19, 0xfff00000, v19, s7
.LBB173_18:                             ;   in Loop: Header=BB173_4 Depth=1
	s_and_not1_saveexec_b32 s56, s10
	s_cbranch_execz .LBB173_26
; %bb.19:                               ;   in Loop: Header=BB173_4 Depth=1
	v_mul_f64_e32 v[20:21], v[24:25], v[24:25]
                                        ; implicit-def: $vgpr18_vgpr19
	s_mov_b32 s7, exec_lo
	s_delay_alu instid0(VALU_DEP_1) | instskip(NEXT) | instid1(VALU_DEP_1)
	v_fmac_f64_e32 v[20:21], v[22:23], v[22:23]
	v_cmpx_ge_f64_e32 s[44:45], v[20:21]
	s_xor_b32 s9, exec_lo, s7
	s_cbranch_execz .LBB173_21
; %bb.20:                               ;   in Loop: Header=BB173_4 Depth=1
	v_frexp_mant_f64_e32 v[18:19], v[20:21]
	v_cmp_eq_f64_e64 s7, 0, v[8:9]
	v_frexp_exp_i32_f64_e32 v37, v[20:21]
	v_cmp_neq_f64_e64 s8, 0, v[20:21]
	v_cmp_class_f64_e64 s10, v[8:9], 0x204
	v_cmp_class_f64_e64 s11, v[6:7], 0x204
	v_cmp_gt_f64_e32 vcc_lo, s[30:31], v[18:19]
	v_cndmask_b32_e64 v22, 0, 1, vcc_lo
	v_subrev_co_ci_u32_e64 v37, null, 0, v37, vcc_lo
	s_delay_alu instid0(VALU_DEP_2) | instskip(NEXT) | instid1(VALU_DEP_1)
	v_ldexp_f64 v[18:19], v[18:19], v22
	v_add_f64_e32 v[22:23], 1.0, v[18:19]
	v_add_f64_e32 v[28:29], -1.0, v[18:19]
	s_delay_alu instid0(VALU_DEP_2) | instskip(SKIP_1) | instid1(VALU_DEP_1)
	v_rcp_f64_e32 v[24:25], v[22:23]
	v_add_f64_e32 v[30:31], -1.0, v[22:23]
	v_add_f64_e64 v[18:19], v[18:19], -v[30:31]
	s_delay_alu instid0(TRANS32_DEP_1) | instskip(NEXT) | instid1(VALU_DEP_1)
	v_fma_f64 v[26:27], -v[22:23], v[24:25], 1.0
	v_fmac_f64_e32 v[24:25], v[26:27], v[24:25]
	s_delay_alu instid0(VALU_DEP_1) | instskip(NEXT) | instid1(VALU_DEP_1)
	v_fma_f64 v[26:27], -v[22:23], v[24:25], 1.0
	v_fmac_f64_e32 v[24:25], v[26:27], v[24:25]
	s_delay_alu instid0(VALU_DEP_1) | instskip(NEXT) | instid1(VALU_DEP_1)
	v_mul_f64_e32 v[26:27], v[28:29], v[24:25]
	v_mul_f64_e32 v[32:33], v[22:23], v[26:27]
	s_delay_alu instid0(VALU_DEP_1) | instskip(NEXT) | instid1(VALU_DEP_1)
	v_fma_f64 v[22:23], v[26:27], v[22:23], -v[32:33]
	v_fmac_f64_e32 v[22:23], v[26:27], v[18:19]
	s_delay_alu instid0(VALU_DEP_1) | instskip(NEXT) | instid1(VALU_DEP_1)
	v_add_f64_e32 v[18:19], v[32:33], v[22:23]
	v_add_f64_e64 v[30:31], v[28:29], -v[18:19]
	v_add_f64_e64 v[32:33], v[18:19], -v[32:33]
	s_delay_alu instid0(VALU_DEP_2) | instskip(NEXT) | instid1(VALU_DEP_2)
	v_add_f64_e64 v[28:29], v[28:29], -v[30:31]
	v_add_f64_e64 v[22:23], v[32:33], -v[22:23]
	s_delay_alu instid0(VALU_DEP_2) | instskip(SKIP_1) | instid1(VALU_DEP_2)
	v_add_f64_e64 v[18:19], v[28:29], -v[18:19]
	v_max_num_f64_e64 v[28:29], |v[6:7]|, |v[6:7]|
	v_add_f64_e32 v[18:19], v[22:23], v[18:19]
	v_max_num_f64_e64 v[22:23], |v[8:9]|, |v[8:9]|
	s_delay_alu instid0(VALU_DEP_2) | instskip(NEXT) | instid1(VALU_DEP_1)
	v_add_f64_e32 v[18:19], v[30:31], v[18:19]
	v_mul_f64_e32 v[18:19], v[24:25], v[18:19]
	s_delay_alu instid0(VALU_DEP_3) | instskip(SKIP_1) | instid1(VALU_DEP_3)
	v_max_num_f64_e32 v[24:25], v[28:29], v[22:23]
	v_min_num_f64_e32 v[22:23], v[28:29], v[22:23]
	v_add_f64_e32 v[28:29], v[26:27], v[18:19]
	s_delay_alu instid0(VALU_DEP_2) | instskip(NEXT) | instid1(VALU_DEP_2)
	v_div_scale_f64 v[30:31], null, v[24:25], v[24:25], v[22:23]
	v_mul_f64_e32 v[32:33], v[28:29], v[28:29]
	v_add_f64_e64 v[26:27], v[28:29], -v[26:27]
	s_delay_alu instid0(VALU_DEP_3) | instskip(NEXT) | instid1(VALU_DEP_2)
	v_rcp_f64_e32 v[52:53], v[30:31]
	v_fmamk_f64 v[54:55], v[32:33], 0x3fc3ab76bf559e2b, v[40:41]
	v_mul_f64_e32 v[56:57], v[28:29], v[32:33]
	s_delay_alu instid0(VALU_DEP_3) | instskip(NEXT) | instid1(VALU_DEP_3)
	v_add_f64_e64 v[18:19], v[18:19], -v[26:27]
	v_fmaak_f64 v[54:55], v[32:33], v[54:55], 0x3fc7474dd7f4df2e
	s_delay_alu instid0(TRANS32_DEP_1) | instskip(NEXT) | instid1(VALU_DEP_2)
	v_fma_f64 v[58:59], -v[30:31], v[52:53], 1.0
	v_fmaak_f64 v[54:55], v[32:33], v[54:55], 0x3fcc71c016291751
	s_delay_alu instid0(VALU_DEP_1) | instskip(NEXT) | instid1(VALU_DEP_1)
	v_fmaak_f64 v[54:55], v[32:33], v[54:55], 0x3fd249249b27acf1
	v_fmaak_f64 v[54:55], v[32:33], v[54:55], 0x3fd99999998ef7b6
	v_ldexp_f64 v[18:19], v[18:19], 1
	s_delay_alu instid0(VALU_DEP_2) | instskip(SKIP_2) | instid1(VALU_DEP_3)
	v_fmaak_f64 v[32:33], v[32:33], v[54:55], 0x3fe5555555555780
	v_ldexp_f64 v[54:55], v[28:29], 1
	v_fmac_f64_e32 v[52:53], v[52:53], v[58:59]
	v_mul_f64_e32 v[32:33], v[56:57], v[32:33]
	v_cvt_f64_i32_e32 v[56:57], v37
	s_delay_alu instid0(VALU_DEP_3) | instskip(NEXT) | instid1(VALU_DEP_3)
	v_fma_f64 v[58:59], -v[30:31], v[52:53], 1.0
	v_add_f64_e32 v[28:29], v[54:55], v[32:33]
	s_delay_alu instid0(VALU_DEP_3) | instskip(NEXT) | instid1(VALU_DEP_3)
	v_mul_f64_e32 v[60:61], 0x3fe62e42fefa39ef, v[56:57]
	v_fmac_f64_e32 v[52:53], v[52:53], v[58:59]
	s_delay_alu instid0(VALU_DEP_3) | instskip(SKIP_1) | instid1(VALU_DEP_4)
	v_add_f64_e64 v[26:27], v[28:29], -v[54:55]
	v_div_scale_f64 v[54:55], vcc_lo, v[22:23], v[24:25], v[22:23]
	v_fma_f64 v[58:59], v[56:57], s[34:35], -v[60:61]
	s_delay_alu instid0(VALU_DEP_3) | instskip(NEXT) | instid1(VALU_DEP_3)
	v_add_f64_e64 v[26:27], v[32:33], -v[26:27]
	v_mul_f64_e32 v[32:33], v[54:55], v[52:53]
	s_delay_alu instid0(VALU_DEP_3) | instskip(NEXT) | instid1(VALU_DEP_3)
	v_fmac_f64_e32 v[58:59], 0x3c7abc9e3b39803f, v[56:57]
	v_add_f64_e32 v[18:19], v[18:19], v[26:27]
	s_delay_alu instid0(VALU_DEP_3) | instskip(NEXT) | instid1(VALU_DEP_3)
	v_fma_f64 v[26:27], -v[30:31], v[32:33], v[54:55]
	v_add_f64_e32 v[30:31], v[60:61], v[58:59]
	s_delay_alu instid0(VALU_DEP_3) | instskip(NEXT) | instid1(VALU_DEP_3)
	v_add_f64_e32 v[54:55], v[28:29], v[18:19]
	v_div_fmas_f64 v[26:27], v[26:27], v[52:53], v[32:33]
	v_cmp_gt_i32_e32 vcc_lo, 0, v7
	s_delay_alu instid0(VALU_DEP_4) | instskip(NEXT) | instid1(VALU_DEP_4)
	v_add_f64_e64 v[52:53], v[30:31], -v[60:61]
	v_add_f64_e32 v[32:33], v[30:31], v[54:55]
	s_delay_alu instid0(VALU_DEP_4) | instskip(SKIP_1) | instid1(VALU_DEP_4)
	v_div_fixup_f64 v[22:23], v[26:27], v[24:25], v[22:23]
	v_add_f64_e64 v[28:29], v[54:55], -v[28:29]
	v_add_f64_e64 v[52:53], v[58:59], -v[52:53]
	s_delay_alu instid0(VALU_DEP_4) | instskip(NEXT) | instid1(VALU_DEP_4)
	v_add_f64_e64 v[24:25], v[32:33], -v[30:31]
	v_mul_f64_e32 v[26:27], v[22:23], v[22:23]
	s_delay_alu instid0(VALU_DEP_4) | instskip(NEXT) | instid1(VALU_DEP_3)
	v_add_f64_e64 v[18:19], v[18:19], -v[28:29]
	v_add_f64_e64 v[56:57], v[32:33], -v[24:25]
	s_delay_alu instid0(VALU_DEP_3) | instskip(SKIP_1) | instid1(VALU_DEP_4)
	v_fmamk_f64 v[60:61], v[26:27], 0x3eeba404b5e68a13, v[42:43]
	v_add_f64_e64 v[24:25], v[54:55], -v[24:25]
	v_add_f64_e32 v[54:55], v[52:53], v[18:19]
	s_delay_alu instid0(VALU_DEP_3) | instskip(NEXT) | instid1(VALU_DEP_1)
	v_fmaak_f64 v[60:61], v[26:27], v[60:61], 0x3f4b2bb069efb384
	v_fmaak_f64 v[60:61], v[26:27], v[60:61], 0xbf67952daf56de9b
	v_add_f64_e64 v[28:29], v[30:31], -v[56:57]
	s_delay_alu instid0(VALU_DEP_2) | instskip(NEXT) | instid1(VALU_DEP_1)
	v_fmaak_f64 v[30:31], v[26:27], v[60:61], 0x3f7d6d43a595c56f
	v_fmaak_f64 v[30:31], v[26:27], v[30:31], 0xbf8c6ea4a57d9582
	s_delay_alu instid0(VALU_DEP_1) | instskip(NEXT) | instid1(VALU_DEP_1)
	v_fmaak_f64 v[30:31], v[26:27], v[30:31], 0x3f967e295f08b19f
	v_fmaak_f64 v[30:31], v[26:27], v[30:31], 0xbf9e9ae6fc27006a
	s_delay_alu instid0(VALU_DEP_1) | instskip(SKIP_1) | instid1(VALU_DEP_2)
	v_fmaak_f64 v[30:31], v[26:27], v[30:31], 0x3fa2c15b5711927a
	v_add_f64_e32 v[24:25], v[24:25], v[28:29]
	v_fmaak_f64 v[28:29], v[26:27], v[30:31], 0xbfa59976e82d3ff0
	v_add_f64_e64 v[30:31], v[54:55], -v[52:53]
	s_delay_alu instid0(VALU_DEP_2) | instskip(NEXT) | instid1(VALU_DEP_1)
	v_fmaak_f64 v[28:29], v[26:27], v[28:29], 0x3fa82d5d6ef28734
	v_fmaak_f64 v[28:29], v[26:27], v[28:29], 0xbfaae5ce6a214619
	s_delay_alu instid0(VALU_DEP_1) | instskip(NEXT) | instid1(VALU_DEP_1)
	v_fmaak_f64 v[28:29], v[26:27], v[28:29], 0x3fae1bb48427b883
	v_fmaak_f64 v[28:29], v[26:27], v[28:29], 0xbfb110e48b207f05
	v_add_f64_e32 v[24:25], v[54:55], v[24:25]
	v_add_f64_e64 v[54:55], v[54:55], -v[30:31]
	v_add_f64_e64 v[18:19], v[18:19], -v[30:31]
	s_delay_alu instid0(VALU_DEP_4) | instskip(NEXT) | instid1(VALU_DEP_1)
	v_fmaak_f64 v[28:29], v[26:27], v[28:29], 0x3fb3b13657b87036
	v_fmaak_f64 v[28:29], v[26:27], v[28:29], 0xbfb745d119378e4f
	s_delay_alu instid0(VALU_DEP_1) | instskip(NEXT) | instid1(VALU_DEP_1)
	v_fmaak_f64 v[28:29], v[26:27], v[28:29], 0x3fbc71c717e1913c
	v_fmaak_f64 v[28:29], v[26:27], v[28:29], 0xbfc2492492376b7d
	v_add_f64_e32 v[56:57], v[32:33], v[24:25]
	s_delay_alu instid0(VALU_DEP_2) | instskip(NEXT) | instid1(VALU_DEP_1)
	v_fmaak_f64 v[28:29], v[26:27], v[28:29], 0x3fc99999999952cc
	v_fmaak_f64 v[28:29], v[26:27], v[28:29], 0xbfd5555555555523
	s_delay_alu instid0(VALU_DEP_1) | instskip(SKIP_2) | instid1(VALU_DEP_3)
	v_mul_f64_e32 v[26:27], v[26:27], v[28:29]
	v_add_f64_e64 v[28:29], v[52:53], -v[54:55]
	v_add_f64_e64 v[30:31], v[56:57], -v[32:33]
	v_fmac_f64_e32 v[22:23], v[22:23], v[26:27]
	s_delay_alu instid0(VALU_DEP_3) | instskip(NEXT) | instid1(VALU_DEP_3)
	v_add_f64_e32 v[18:19], v[18:19], v[28:29]
	v_add_f64_e64 v[24:25], v[24:25], -v[30:31]
	s_delay_alu instid0(VALU_DEP_3) | instskip(NEXT) | instid1(VALU_DEP_2)
	v_add_f64_e64 v[26:27], -v[22:23], s[40:41]
	v_add_f64_e32 v[18:19], v[18:19], v[24:25]
	s_delay_alu instid0(VALU_DEP_2) | instskip(SKIP_1) | instid1(VALU_DEP_2)
	v_dual_cndmask_b32 v23, v23, v27, s6 :: v_dual_cndmask_b32 v22, v22, v26, s6
	v_dual_cndmask_b32 v27, 0x54442d18, v68 :: v_dual_ashrrev_i32 v26, 31, v7
	v_add_f64_e64 v[24:25], -v[22:23], s[42:43]
	s_delay_alu instid0(VALU_DEP_2) | instskip(NEXT) | instid1(VALU_DEP_2)
	v_and_b32_e32 v28, 0x54442d18, v26
	v_dual_add_f64 v[18:19], v[56:57], v[18:19] :: v_dual_cndmask_b32 v22, v22, v24, vcc_lo
	s_delay_alu instid0(VALU_DEP_3) | instskip(NEXT) | instid1(VALU_DEP_2)
	v_cndmask_b32_e32 v20, v23, v25, vcc_lo
                                        ; implicit-def: $vgpr24_vgpr25
	v_dual_mul_f64 v[6:7], 0.5, v[18:19] :: v_dual_cndmask_b32 v22, v22, v28, s7
	v_cndmask_b32_e32 v18, 0x3fe921fb, v69, vcc_lo
	v_and_b32_e32 v19, 0x400921fb, v26
	s_and_b32 vcc_lo, s10, s11
	s_delay_alu instid0(VALU_DEP_2) | instskip(NEXT) | instid1(VALU_DEP_2)
	v_bfi_b32 v18, 0x7fffffff, v18, v9
	v_cndmask_b32_e64 v19, v20, v19, s7
	v_cndmask_b32_e32 v20, v22, v27, vcc_lo
                                        ; implicit-def: $vgpr22_vgpr23
	s_delay_alu instid0(VALU_DEP_2)
	v_cndmask_b32_e32 v21, v19, v18, vcc_lo
	v_cndmask_b32_e64 v19, 0xfff00000, v7, s8
	v_cndmask_b32_e64 v18, 0, v6, s8
.LBB173_21:                             ;   in Loop: Header=BB173_4 Depth=1
	s_and_not1_saveexec_b32 s57, s9
	s_cbranch_execz .LBB173_25
; %bb.22:                               ;   in Loop: Header=BB173_4 Depth=1
	v_and_b32_e32 v37, 0x7ffffff8, v23
	v_and_b32_e32 v21, 0x7ffffff8, v25
	v_dual_mov_b32 v20, v36 :: v_dual_mov_b32 v26, v36
	s_delay_alu instid0(VALU_DEP_3) | instskip(SKIP_1) | instid1(VALU_DEP_2)
	v_dual_add_f64 v[18:19], v[22:23], -v[36:37] :: v_dual_mov_b32 v28, v36
	s_mov_b32 s58, 0
	v_add_f64_e64 v[22:23], v[24:25], -v[20:21]
	v_add_f64_e32 v[56:57], v[20:21], v[20:21]
	s_delay_alu instid0(VALU_DEP_3) | instskip(NEXT) | instid1(VALU_DEP_3)
	v_dual_mul_f64 v[24:25], v[20:21], v[20:21] :: v_dual_bitop2_b32 v27, -8, v19 bitop3:0x40
	v_dual_add_f64 v[30:31], v[36:37], v[36:37] :: v_dual_bitop2_b32 v29, -8, v23 bitop3:0x40
	s_delay_alu instid0(VALU_DEP_2) | instskip(SKIP_1) | instid1(VALU_DEP_3)
	v_add_f64_e64 v[58:59], v[18:19], -v[26:27]
	v_add_f64_e32 v[62:63], v[26:27], v[26:27]
	v_add_f64_e64 v[60:61], v[22:23], -v[28:29]
	v_add_f64_e32 v[64:65], v[28:29], v[28:29]
	v_mul_f64_e32 v[18:19], v[36:37], v[36:37]
	v_mul_f64_e32 v[22:23], v[56:57], v[28:29]
	;; [unrolled: 1-line block ×11, first 2 shown]
.LBB173_23:                             ;   Parent Loop BB173_4 Depth=1
                                        ; =>  This Inner Loop Header: Depth=2
	v_cmp_nlt_f64_e32 vcc_lo, v[18:19], v[24:25]
	v_dual_cndmask_b32 v61, v19, v25 :: v_dual_cndmask_b32 v60, v18, v24
	v_dual_cndmask_b32 v19, v25, v19 :: v_dual_cndmask_b32 v18, v24, v18
	s_delay_alu instid0(VALU_DEP_2) | instskip(NEXT) | instid1(VALU_DEP_1)
	v_cmp_nlt_f64_e64 s7, v[60:61], v[54:55]
	v_dual_cndmask_b32 v63, v61, v55, s7 :: v_dual_cndmask_b32 v62, v60, v54, s7
	v_dual_cndmask_b32 v25, v55, v61, s7 :: v_dual_cndmask_b32 v24, v54, v60, s7
	s_and_b32 s7, vcc_lo, s7
	s_delay_alu instid0(VALU_DEP_2) | instskip(NEXT) | instid1(VALU_DEP_1)
	v_cmp_nlt_f64_e64 s8, v[62:63], v[22:23]
	v_dual_cndmask_b32 v65, v63, v23, s8 :: v_dual_cndmask_b32 v64, v62, v22, s8
	v_dual_cndmask_b32 v55, v23, v63, s8 :: v_dual_cndmask_b32 v54, v22, v62, s8
	s_delay_alu instid0(VALU_DEP_2) | instskip(NEXT) | instid1(VALU_DEP_1)
	v_cmp_nlt_f64_e64 s9, v[64:65], v[52:53]
	v_dual_cndmask_b32 v67, v65, v53, s9 :: v_dual_cndmask_b32 v66, v64, v52, s9
	v_dual_cndmask_b32 v23, v53, v65, s9 :: v_dual_cndmask_b32 v22, v52, v64, s9
	s_and_b32 s8, s8, s9
	s_delay_alu instid0(VALU_DEP_2) | instskip(NEXT) | instid1(VALU_DEP_1)
	v_cmp_nlt_f64_e64 s10, v[66:67], v[20:21]
	v_dual_cndmask_b32 v71, v67, v21, s10 :: v_dual_cndmask_b32 v70, v66, v20, s10
	v_dual_cndmask_b32 v53, v21, v67, s10 :: v_dual_cndmask_b32 v52, v20, v66, s10
	s_delay_alu instid0(VALU_DEP_2) | instskip(NEXT) | instid1(VALU_DEP_1)
	v_cmp_nlt_f64_e64 s11, v[70:71], v[32:33]
	v_dual_cndmask_b32 v73, v71, v33, s11 :: v_dual_cndmask_b32 v72, v70, v32, s11
	s_and_b32 s9, s10, s11
	v_dual_cndmask_b32 v21, v33, v71, s11 :: v_dual_cndmask_b32 v20, v32, v70, s11
	s_delay_alu instid0(VALU_DEP_2) | instskip(NEXT) | instid1(VALU_DEP_1)
	v_cmp_nlt_f64_e64 s12, v[72:73], v[30:31]
	v_dual_cndmask_b32 v75, v73, v31, s12 :: v_dual_cndmask_b32 v74, v72, v30, s12
	s_and_b32 s9, s9, s12
	;; [unrolled: 5-line block ×6, first 2 shown]
	v_dual_cndmask_b32 v57, v59, v81, s16 :: v_dual_cndmask_b32 v56, v58, v80, s16
	s_and_b32 s8, s9, s8
	s_delay_alu instid0(VALU_DEP_2) | instskip(SKIP_1) | instid1(SALU_CYCLE_1)
	v_mov_b64_e32 v[58:59], v[60:61]
	s_and_b32 s7, s8, s7
	s_and_b32 s7, exec_lo, s7
	s_delay_alu instid0(SALU_CYCLE_1) | instskip(NEXT) | instid1(SALU_CYCLE_1)
	s_or_b32 s58, s7, s58
	s_and_not1_b32 exec_lo, exec_lo, s58
	s_cbranch_execnz .LBB173_23
; %bb.24:                               ;   in Loop: Header=BB173_4 Depth=1
	s_or_b32 exec_lo, exec_lo, s58
	v_add_f64_e32 v[18:19], -1.0, v[18:19]
	v_cmp_eq_f64_e64 s7, 0, v[8:9]
	v_cmp_class_f64_e64 s11, v[6:7], 0x204
	v_cmp_class_f64_e64 s10, v[8:9], 0x204
	s_delay_alu instid0(VALU_DEP_4) | instskip(NEXT) | instid1(VALU_DEP_1)
	v_add_f64_e32 v[18:19], v[18:19], v[24:25]
	v_add_f64_e32 v[18:19], v[18:19], v[54:55]
	s_delay_alu instid0(VALU_DEP_1) | instskip(NEXT) | instid1(VALU_DEP_1)
	v_add_f64_e32 v[18:19], v[18:19], v[22:23]
	v_add_f64_e32 v[18:19], v[18:19], v[52:53]
	s_delay_alu instid0(VALU_DEP_1) | instskip(NEXT) | instid1(VALU_DEP_1)
	;; [unrolled: 3-line block ×5, first 2 shown]
	v_add_f64_e32 v[22:23], v[60:61], v[18:19]
	v_add_f64_e32 v[18:19], 1.0, v[22:23]
	v_cmp_nge_f64_e64 s8, -1.0, v[22:23]
	v_cmp_neq_f64_e64 s9, 0x7ff00000, v[22:23]
	s_delay_alu instid0(VALU_DEP_3) | instskip(SKIP_2) | instid1(VALU_DEP_3)
	v_frexp_mant_f64_e32 v[20:21], v[18:19]
	v_frexp_exp_i32_f64_e32 v26, v[18:19]
	v_add_f64_e32 v[24:25], -1.0, v[18:19]
	v_cmp_gt_f64_e32 vcc_lo, s[30:31], v[20:21]
	s_delay_alu instid0(VALU_DEP_2) | instskip(SKIP_2) | instid1(VALU_DEP_3)
	v_add_f64_e64 v[20:21], v[24:25], -v[18:19]
	v_add_f64_e64 v[24:25], v[22:23], -v[24:25]
	v_subrev_co_ci_u32_e64 v37, null, 0, v26, vcc_lo
	v_add_f64_e32 v[20:21], 1.0, v[20:21]
	s_delay_alu instid0(VALU_DEP_2) | instskip(NEXT) | instid1(VALU_DEP_1)
	v_sub_nc_u32_e32 v28, 0, v37
	v_ldexp_f64 v[18:19], v[18:19], v28
	s_delay_alu instid0(VALU_DEP_3) | instskip(NEXT) | instid1(VALU_DEP_2)
	v_add_f64_e32 v[20:21], v[24:25], v[20:21]
	v_add_f64_e32 v[26:27], 1.0, v[18:19]
	v_add_f64_e32 v[32:33], -1.0, v[18:19]
	s_delay_alu instid0(VALU_DEP_3) | instskip(NEXT) | instid1(VALU_DEP_3)
	v_ldexp_f64 v[20:21], v[20:21], v28
	v_add_f64_e32 v[24:25], -1.0, v[26:27]
	s_delay_alu instid0(VALU_DEP_3) | instskip(NEXT) | instid1(VALU_DEP_2)
	v_add_f64_e32 v[52:53], 1.0, v[32:33]
	v_add_f64_e64 v[24:25], v[18:19], -v[24:25]
	s_delay_alu instid0(VALU_DEP_2) | instskip(NEXT) | instid1(VALU_DEP_2)
	v_add_f64_e64 v[18:19], v[18:19], -v[52:53]
	v_add_f64_e32 v[24:25], v[20:21], v[24:25]
	s_delay_alu instid0(VALU_DEP_2) | instskip(NEXT) | instid1(VALU_DEP_2)
	v_add_f64_e32 v[18:19], v[20:21], v[18:19]
	v_add_f64_e32 v[28:29], v[26:27], v[24:25]
	s_delay_alu instid0(VALU_DEP_2) | instskip(NEXT) | instid1(VALU_DEP_2)
	v_add_f64_e32 v[52:53], v[32:33], v[18:19]
	v_rcp_f64_e32 v[30:31], v[28:29]
	v_add_f64_e64 v[26:27], v[28:29], -v[26:27]
	s_delay_alu instid0(VALU_DEP_2) | instskip(NEXT) | instid1(VALU_DEP_2)
	v_add_f64_e64 v[32:33], v[52:53], -v[32:33]
	v_add_f64_e64 v[24:25], v[24:25], -v[26:27]
	s_delay_alu instid0(VALU_DEP_2) | instskip(NEXT) | instid1(TRANS32_DEP_1)
	v_add_f64_e64 v[18:19], v[18:19], -v[32:33]
	v_fma_f64 v[54:55], -v[28:29], v[30:31], 1.0
	s_delay_alu instid0(VALU_DEP_1) | instskip(NEXT) | instid1(VALU_DEP_1)
	v_fmac_f64_e32 v[30:31], v[54:55], v[30:31]
	v_fma_f64 v[20:21], -v[28:29], v[30:31], 1.0
	s_delay_alu instid0(VALU_DEP_1) | instskip(NEXT) | instid1(VALU_DEP_1)
	v_fmac_f64_e32 v[30:31], v[20:21], v[30:31]
	v_mul_f64_e32 v[20:21], v[52:53], v[30:31]
	s_delay_alu instid0(VALU_DEP_1) | instskip(NEXT) | instid1(VALU_DEP_1)
	v_mul_f64_e32 v[54:55], v[28:29], v[20:21]
	v_fma_f64 v[26:27], v[20:21], v[28:29], -v[54:55]
	s_delay_alu instid0(VALU_DEP_1) | instskip(NEXT) | instid1(VALU_DEP_1)
	v_fmac_f64_e32 v[26:27], v[20:21], v[24:25]
	v_add_f64_e32 v[56:57], v[54:55], v[26:27]
	s_delay_alu instid0(VALU_DEP_1) | instskip(SKIP_1) | instid1(VALU_DEP_2)
	v_add_f64_e64 v[58:59], v[52:53], -v[56:57]
	v_add_f64_e64 v[32:33], v[56:57], -v[54:55]
	;; [unrolled: 1-line block ×3, first 2 shown]
	s_delay_alu instid0(VALU_DEP_2) | instskip(NEXT) | instid1(VALU_DEP_2)
	v_add_f64_e64 v[26:27], v[32:33], -v[26:27]
	v_add_f64_e64 v[52:53], v[52:53], -v[56:57]
	s_delay_alu instid0(VALU_DEP_1) | instskip(NEXT) | instid1(VALU_DEP_1)
	v_add_f64_e32 v[18:19], v[18:19], v[52:53]
	v_add_f64_e32 v[18:19], v[26:27], v[18:19]
	s_delay_alu instid0(VALU_DEP_1) | instskip(NEXT) | instid1(VALU_DEP_1)
	v_add_f64_e32 v[26:27], v[58:59], v[18:19]
	v_mul_f64_e32 v[32:33], v[30:31], v[26:27]
	v_add_f64_e64 v[56:57], v[58:59], -v[26:27]
	s_delay_alu instid0(VALU_DEP_2) | instskip(NEXT) | instid1(VALU_DEP_2)
	v_mul_f64_e32 v[52:53], v[28:29], v[32:33]
	v_add_f64_e32 v[18:19], v[18:19], v[56:57]
	s_delay_alu instid0(VALU_DEP_2) | instskip(NEXT) | instid1(VALU_DEP_1)
	v_fma_f64 v[28:29], v[32:33], v[28:29], -v[52:53]
	v_fmac_f64_e32 v[28:29], v[32:33], v[24:25]
	s_delay_alu instid0(VALU_DEP_1) | instskip(NEXT) | instid1(VALU_DEP_1)
	v_add_f64_e32 v[24:25], v[52:53], v[28:29]
	v_add_f64_e64 v[54:55], v[26:27], -v[24:25]
	v_add_f64_e64 v[52:53], v[24:25], -v[52:53]
	s_delay_alu instid0(VALU_DEP_2) | instskip(NEXT) | instid1(VALU_DEP_1)
	v_add_f64_e64 v[26:27], v[26:27], -v[54:55]
	v_add_f64_e64 v[24:25], v[26:27], -v[24:25]
	s_delay_alu instid0(VALU_DEP_3) | instskip(SKIP_1) | instid1(VALU_DEP_3)
	v_add_f64_e64 v[26:27], v[52:53], -v[28:29]
	v_max_num_f64_e64 v[28:29], |v[6:7]|, |v[6:7]|
	v_add_f64_e32 v[18:19], v[18:19], v[24:25]
	v_add_f64_e32 v[24:25], v[20:21], v[32:33]
	s_delay_alu instid0(VALU_DEP_2) | instskip(NEXT) | instid1(VALU_DEP_2)
	v_add_f64_e32 v[18:19], v[26:27], v[18:19]
	v_add_f64_e64 v[20:21], v[24:25], -v[20:21]
	v_max_num_f64_e64 v[26:27], |v[8:9]|, |v[8:9]|
	s_delay_alu instid0(VALU_DEP_3) | instskip(NEXT) | instid1(VALU_DEP_3)
	v_add_f64_e32 v[18:19], v[54:55], v[18:19]
	v_add_f64_e64 v[20:21], v[32:33], -v[20:21]
	s_delay_alu instid0(VALU_DEP_2) | instskip(NEXT) | instid1(VALU_DEP_1)
	v_mul_f64_e32 v[18:19], v[30:31], v[18:19]
	v_add_f64_e32 v[18:19], v[20:21], v[18:19]
	v_max_num_f64_e32 v[20:21], v[28:29], v[26:27]
	v_min_num_f64_e32 v[26:27], v[28:29], v[26:27]
	s_delay_alu instid0(VALU_DEP_3) | instskip(NEXT) | instid1(VALU_DEP_2)
	v_add_f64_e32 v[28:29], v[24:25], v[18:19]
	v_div_scale_f64 v[30:31], null, v[20:21], v[20:21], v[26:27]
	s_delay_alu instid0(VALU_DEP_2) | instskip(SKIP_1) | instid1(VALU_DEP_3)
	v_mul_f64_e32 v[32:33], v[28:29], v[28:29]
	v_add_f64_e64 v[24:25], v[28:29], -v[24:25]
	v_rcp_f64_e32 v[52:53], v[30:31]
	s_delay_alu instid0(VALU_DEP_2) | instskip(SKIP_1) | instid1(VALU_DEP_3)
	v_fmamk_f64 v[54:55], v[32:33], 0x3fc3ab76bf559e2b, v[40:41]
	v_mul_f64_e32 v[56:57], v[28:29], v[32:33]
	v_add_f64_e64 v[18:19], v[18:19], -v[24:25]
	s_delay_alu instid0(VALU_DEP_3) | instskip(NEXT) | instid1(TRANS32_DEP_1)
	v_fmaak_f64 v[54:55], v[32:33], v[54:55], 0x3fc7474dd7f4df2e
	v_fma_f64 v[58:59], -v[30:31], v[52:53], 1.0
	s_delay_alu instid0(VALU_DEP_2) | instskip(NEXT) | instid1(VALU_DEP_1)
	v_fmaak_f64 v[54:55], v[32:33], v[54:55], 0x3fcc71c016291751
	v_fmaak_f64 v[54:55], v[32:33], v[54:55], 0x3fd249249b27acf1
	s_delay_alu instid0(VALU_DEP_1) | instskip(SKIP_1) | instid1(VALU_DEP_2)
	v_fmaak_f64 v[54:55], v[32:33], v[54:55], 0x3fd99999998ef7b6
	v_ldexp_f64 v[18:19], v[18:19], 1
	v_fmaak_f64 v[32:33], v[32:33], v[54:55], 0x3fe5555555555780
	v_ldexp_f64 v[54:55], v[28:29], 1
	v_fmac_f64_e32 v[52:53], v[52:53], v[58:59]
	s_delay_alu instid0(VALU_DEP_3) | instskip(SKIP_1) | instid1(VALU_DEP_3)
	v_mul_f64_e32 v[32:33], v[56:57], v[32:33]
	v_cvt_f64_i32_e32 v[56:57], v37
	v_fma_f64 v[58:59], -v[30:31], v[52:53], 1.0
	s_delay_alu instid0(VALU_DEP_3) | instskip(NEXT) | instid1(VALU_DEP_3)
	v_add_f64_e32 v[28:29], v[54:55], v[32:33]
	v_mul_f64_e32 v[60:61], 0x3fe62e42fefa39ef, v[56:57]
	s_delay_alu instid0(VALU_DEP_3) | instskip(NEXT) | instid1(VALU_DEP_3)
	v_fmac_f64_e32 v[52:53], v[52:53], v[58:59]
	v_add_f64_e64 v[24:25], v[28:29], -v[54:55]
	v_div_scale_f64 v[54:55], vcc_lo, v[26:27], v[20:21], v[26:27]
	s_delay_alu instid0(VALU_DEP_4) | instskip(NEXT) | instid1(VALU_DEP_3)
	v_fma_f64 v[58:59], v[56:57], s[34:35], -v[60:61]
	v_add_f64_e64 v[24:25], v[32:33], -v[24:25]
	s_delay_alu instid0(VALU_DEP_3) | instskip(NEXT) | instid1(VALU_DEP_3)
	v_mul_f64_e32 v[32:33], v[54:55], v[52:53]
	v_fmac_f64_e32 v[58:59], 0x3c7abc9e3b39803f, v[56:57]
	s_delay_alu instid0(VALU_DEP_3) | instskip(NEXT) | instid1(VALU_DEP_3)
	v_add_f64_e32 v[18:19], v[18:19], v[24:25]
	v_fma_f64 v[24:25], -v[30:31], v[32:33], v[54:55]
	s_delay_alu instid0(VALU_DEP_3) | instskip(NEXT) | instid1(VALU_DEP_3)
	v_add_f64_e32 v[30:31], v[60:61], v[58:59]
	v_add_f64_e32 v[54:55], v[28:29], v[18:19]
	s_delay_alu instid0(VALU_DEP_3) | instskip(SKIP_1) | instid1(VALU_DEP_4)
	v_div_fmas_f64 v[24:25], v[24:25], v[52:53], v[32:33]
	v_cmp_gt_i32_e32 vcc_lo, 0, v7
	v_add_f64_e64 v[52:53], v[30:31], -v[60:61]
	v_cndmask_b32_e32 v6, 0x3fe921fb, v69, vcc_lo
	s_delay_alu instid0(VALU_DEP_1) | instskip(SKIP_4) | instid1(VALU_DEP_4)
	v_bfi_b32 v6, 0x7fffffff, v6, v9
	v_add_f64_e32 v[32:33], v[30:31], v[54:55]
	v_div_fixup_f64 v[20:21], v[24:25], v[20:21], v[26:27]
	v_add_f64_e64 v[28:29], v[54:55], -v[28:29]
	v_add_f64_e64 v[52:53], v[58:59], -v[52:53]
	;; [unrolled: 1-line block ×3, first 2 shown]
	s_delay_alu instid0(VALU_DEP_4) | instskip(NEXT) | instid1(VALU_DEP_4)
	v_mul_f64_e32 v[26:27], v[20:21], v[20:21]
	v_add_f64_e64 v[18:19], v[18:19], -v[28:29]
	s_delay_alu instid0(VALU_DEP_3) | instskip(NEXT) | instid1(VALU_DEP_3)
	v_add_f64_e64 v[56:57], v[32:33], -v[24:25]
	v_fmamk_f64 v[60:61], v[26:27], 0x3eeba404b5e68a13, v[42:43]
	v_add_f64_e64 v[24:25], v[54:55], -v[24:25]
	s_delay_alu instid0(VALU_DEP_4) | instskip(NEXT) | instid1(VALU_DEP_3)
	v_add_f64_e32 v[54:55], v[52:53], v[18:19]
	v_fmaak_f64 v[60:61], v[26:27], v[60:61], 0x3f4b2bb069efb384
	v_add_f64_e64 v[28:29], v[30:31], -v[56:57]
	s_delay_alu instid0(VALU_DEP_2) | instskip(NEXT) | instid1(VALU_DEP_1)
	v_fmaak_f64 v[30:31], v[26:27], v[60:61], 0xbf67952daf56de9b
	v_fmaak_f64 v[30:31], v[26:27], v[30:31], 0x3f7d6d43a595c56f
	s_delay_alu instid0(VALU_DEP_1) | instskip(NEXT) | instid1(VALU_DEP_1)
	v_fmaak_f64 v[30:31], v[26:27], v[30:31], 0xbf8c6ea4a57d9582
	v_fmaak_f64 v[30:31], v[26:27], v[30:31], 0x3f967e295f08b19f
	s_delay_alu instid0(VALU_DEP_1) | instskip(SKIP_1) | instid1(VALU_DEP_2)
	v_fmaak_f64 v[30:31], v[26:27], v[30:31], 0xbf9e9ae6fc27006a
	v_add_f64_e32 v[24:25], v[24:25], v[28:29]
	v_fmaak_f64 v[28:29], v[26:27], v[30:31], 0x3fa2c15b5711927a
	v_add_f64_e64 v[30:31], v[54:55], -v[52:53]
	s_delay_alu instid0(VALU_DEP_2) | instskip(NEXT) | instid1(VALU_DEP_1)
	v_fmaak_f64 v[28:29], v[26:27], v[28:29], 0xbfa59976e82d3ff0
	v_fmaak_f64 v[28:29], v[26:27], v[28:29], 0x3fa82d5d6ef28734
	s_delay_alu instid0(VALU_DEP_1) | instskip(NEXT) | instid1(VALU_DEP_1)
	v_fmaak_f64 v[28:29], v[26:27], v[28:29], 0xbfaae5ce6a214619
	v_fmaak_f64 v[28:29], v[26:27], v[28:29], 0x3fae1bb48427b883
	v_add_f64_e32 v[24:25], v[54:55], v[24:25]
	v_add_f64_e64 v[54:55], v[54:55], -v[30:31]
	v_add_f64_e64 v[18:19], v[18:19], -v[30:31]
	s_delay_alu instid0(VALU_DEP_4) | instskip(NEXT) | instid1(VALU_DEP_1)
	v_fmaak_f64 v[28:29], v[26:27], v[28:29], 0xbfb110e48b207f05
	v_fmaak_f64 v[28:29], v[26:27], v[28:29], 0x3fb3b13657b87036
	s_delay_alu instid0(VALU_DEP_1) | instskip(NEXT) | instid1(VALU_DEP_1)
	v_fmaak_f64 v[28:29], v[26:27], v[28:29], 0xbfb745d119378e4f
	v_fmaak_f64 v[28:29], v[26:27], v[28:29], 0x3fbc71c717e1913c
	v_add_f64_e32 v[56:57], v[32:33], v[24:25]
	s_delay_alu instid0(VALU_DEP_2) | instskip(NEXT) | instid1(VALU_DEP_1)
	v_fmaak_f64 v[28:29], v[26:27], v[28:29], 0xbfc2492492376b7d
	v_fmaak_f64 v[28:29], v[26:27], v[28:29], 0x3fc99999999952cc
	s_delay_alu instid0(VALU_DEP_1) | instskip(NEXT) | instid1(VALU_DEP_1)
	v_fmaak_f64 v[28:29], v[26:27], v[28:29], 0xbfd5555555555523
	v_mul_f64_e32 v[26:27], v[26:27], v[28:29]
	v_add_f64_e64 v[28:29], v[52:53], -v[54:55]
	v_add_f64_e64 v[30:31], v[56:57], -v[32:33]
	s_delay_alu instid0(VALU_DEP_3) | instskip(NEXT) | instid1(VALU_DEP_3)
	v_fmac_f64_e32 v[20:21], v[20:21], v[26:27]
	v_add_f64_e32 v[18:19], v[18:19], v[28:29]
	s_delay_alu instid0(VALU_DEP_3) | instskip(NEXT) | instid1(VALU_DEP_3)
	v_add_f64_e64 v[24:25], v[24:25], -v[30:31]
	v_add_f64_e64 v[26:27], -v[20:21], s[40:41]
	s_delay_alu instid0(VALU_DEP_1) | instskip(NEXT) | instid1(VALU_DEP_2)
	v_dual_add_f64 v[18:19], v[18:19], v[24:25] :: v_dual_cndmask_b32 v21, v21, v27, s6
	v_dual_cndmask_b32 v20, v20, v26, s6 :: v_dual_ashrrev_i32 v26, 31, v7
	v_cndmask_b32_e32 v27, 0x54442d18, v68, vcc_lo
	s_delay_alu instid0(VALU_DEP_2) | instskip(NEXT) | instid1(VALU_DEP_3)
	v_add_f64_e64 v[24:25], -v[20:21], s[42:43]
	v_and_b32_e32 v28, 0x54442d18, v26
	v_and_b32_e32 v7, 0x400921fb, v26
	v_add_f64_e32 v[18:19], v[56:57], v[18:19]
	s_delay_alu instid0(VALU_DEP_4) | instskip(SKIP_1) | instid1(VALU_DEP_2)
	v_dual_cndmask_b32 v20, v20, v24 :: v_dual_cndmask_b32 v21, v21, v25
	v_cmp_ngt_f64_e32 vcc_lo, -1.0, v[22:23]
	v_dual_mul_f64 v[18:19], 0.5, v[18:19] :: v_dual_cndmask_b32 v20, v20, v28, s7
	s_delay_alu instid0(VALU_DEP_3)
	v_cndmask_b32_e64 v7, v21, v7, s7
	s_and_b32 s7, s8, s9
	s_delay_alu instid0(VALU_DEP_2) | instid1(SALU_CYCLE_1)
	v_cndmask_b32_e64 v18, 0, v18, s7
	v_cmp_neq_f64_e64 s7, -1.0, v[22:23]
	s_delay_alu instid0(VALU_DEP_4) | instskip(NEXT) | instid1(VALU_DEP_1)
	v_cndmask_b32_e64 v19, 0x7ff00000, v19, s9
	v_cndmask_b32_e32 v19, 0x7ff80000, v19, vcc_lo
	s_and_b32 vcc_lo, s10, s11
	v_dual_cndmask_b32 v21, v7, v6 :: v_dual_cndmask_b32 v20, v20, v27
	s_delay_alu instid0(VALU_DEP_2)
	v_cndmask_b32_e64 v19, 0xfff00000, v19, s7
.LBB173_25:                             ;   in Loop: Header=BB173_4 Depth=1
	s_or_b32 exec_lo, exec_lo, s57
.LBB173_26:                             ;   in Loop: Header=BB173_4 Depth=1
	s_delay_alu instid0(SALU_CYCLE_1)
	s_or_b32 exec_lo, exec_lo, s56
.LBB173_27:                             ;   in Loop: Header=BB173_4 Depth=1
	s_and_not1_saveexec_b32 s9, s55
	s_cbranch_execz .LBB173_29
; %bb.28:                               ;   in Loop: Header=BB173_4 Depth=1
	v_max_num_f64_e64 v[18:19], |v[8:9]|, |v[8:9]|
	v_max_num_f64_e64 v[20:21], |v[6:7]|, |v[6:7]|
	v_cmp_class_f64_e64 s10, v[6:7], 0x204
	v_cmp_class_f64_e64 s11, v[8:9], 0x204
	v_cmp_eq_f64_e64 s8, 0, v[8:9]
	s_delay_alu instid0(VALU_DEP_4) | instskip(SKIP_2) | instid1(VALU_DEP_2)
	v_max_num_f64_e32 v[22:23], v[20:21], v[18:19]
	v_min_num_f64_e32 v[18:19], v[20:21], v[18:19]
	s_or_b32 s7, s11, s10
	v_frexp_exp_i32_f64_e32 v32, v[22:23]
	s_delay_alu instid0(VALU_DEP_1) | instskip(NEXT) | instid1(VALU_DEP_1)
	v_sub_nc_u32_e32 v26, 0, v32
	v_ldexp_f64 v[24:25], |v[8:9]|, v26
	v_ldexp_f64 v[26:27], |v[6:7]|, v26
	s_delay_alu instid0(VALU_DEP_2) | instskip(NEXT) | instid1(VALU_DEP_1)
	v_mul_f64_e32 v[24:25], v[24:25], v[24:25]
	v_fmac_f64_e32 v[24:25], v[26:27], v[26:27]
	s_delay_alu instid0(VALU_DEP_1) | instskip(SKIP_1) | instid1(TRANS32_DEP_1)
	v_rsq_f64_e32 v[26:27], v[24:25]
	v_cmp_eq_f64_e32 vcc_lo, 0, v[24:25]
	v_mul_f64_e32 v[28:29], v[24:25], v[26:27]
	v_mul_f64_e32 v[26:27], 0.5, v[26:27]
	s_delay_alu instid0(VALU_DEP_1) | instskip(NEXT) | instid1(VALU_DEP_1)
	v_fma_f64 v[30:31], -v[26:27], v[28:29], 0.5
	v_fmac_f64_e32 v[28:29], v[28:29], v[30:31]
	v_fmac_f64_e32 v[26:27], v[26:27], v[30:31]
	s_delay_alu instid0(VALU_DEP_2) | instskip(NEXT) | instid1(VALU_DEP_1)
	v_fma_f64 v[30:31], -v[28:29], v[28:29], v[24:25]
	v_fmac_f64_e32 v[28:29], v[30:31], v[26:27]
	s_delay_alu instid0(VALU_DEP_1) | instskip(NEXT) | instid1(VALU_DEP_1)
	v_dual_cndmask_b32 v25, v29, v25 :: v_dual_cndmask_b32 v24, v28, v24
	v_ldexp_f64 v[24:25], v[24:25], v32
	s_delay_alu instid0(VALU_DEP_1) | instskip(NEXT) | instid1(VALU_DEP_2)
	v_cndmask_b32_e64 v25, v25, 0x7ff00000, s7
	v_cndmask_b32_e64 v24, v24, 0, s7
	s_delay_alu instid0(VALU_DEP_1) | instskip(SKIP_1) | instid1(VALU_DEP_2)
	v_frexp_mant_f64_e32 v[26:27], v[24:25]
	v_cmp_class_f64_e64 s7, v[24:25], 0x204
	v_cmp_gt_f64_e32 vcc_lo, s[30:31], v[26:27]
	v_cndmask_b32_e64 v6, 0, 1, vcc_lo
	s_delay_alu instid0(VALU_DEP_1) | instskip(SKIP_1) | instid1(VALU_DEP_2)
	v_ldexp_f64 v[26:27], v[26:27], v6
	v_frexp_exp_i32_f64_e32 v6, v[24:25]
	v_add_f64_e32 v[28:29], 1.0, v[26:27]
	v_add_f64_e32 v[52:53], -1.0, v[26:27]
	s_delay_alu instid0(VALU_DEP_3) | instskip(SKIP_1) | instid1(VALU_DEP_4)
	v_subrev_co_ci_u32_e64 v6, null, 0, v6, vcc_lo
	v_div_scale_f64 v[60:61], vcc_lo, v[18:19], v[22:23], v[18:19]
	v_rcp_f64_e32 v[30:31], v[28:29]
	v_add_f64_e32 v[54:55], -1.0, v[28:29]
	s_delay_alu instid0(VALU_DEP_1) | instskip(NEXT) | instid1(TRANS32_DEP_1)
	v_add_f64_e64 v[26:27], v[26:27], -v[54:55]
	v_fma_f64 v[32:33], -v[28:29], v[30:31], 1.0
	s_delay_alu instid0(VALU_DEP_1) | instskip(NEXT) | instid1(VALU_DEP_1)
	v_fmac_f64_e32 v[30:31], v[32:33], v[30:31]
	v_fma_f64 v[32:33], -v[28:29], v[30:31], 1.0
	s_delay_alu instid0(VALU_DEP_1) | instskip(NEXT) | instid1(VALU_DEP_1)
	v_fmac_f64_e32 v[30:31], v[32:33], v[30:31]
	v_mul_f64_e32 v[32:33], v[52:53], v[30:31]
	s_delay_alu instid0(VALU_DEP_1) | instskip(NEXT) | instid1(VALU_DEP_1)
	v_mul_f64_e32 v[56:57], v[28:29], v[32:33]
	v_fma_f64 v[28:29], v[32:33], v[28:29], -v[56:57]
	s_delay_alu instid0(VALU_DEP_1) | instskip(NEXT) | instid1(VALU_DEP_1)
	v_fmac_f64_e32 v[28:29], v[32:33], v[26:27]
	v_add_f64_e32 v[26:27], v[56:57], v[28:29]
	s_delay_alu instid0(VALU_DEP_1) | instskip(SKIP_1) | instid1(VALU_DEP_2)
	v_add_f64_e64 v[54:55], v[52:53], -v[26:27]
	v_add_f64_e64 v[56:57], v[26:27], -v[56:57]
	;; [unrolled: 1-line block ×3, first 2 shown]
	s_delay_alu instid0(VALU_DEP_2) | instskip(NEXT) | instid1(VALU_DEP_2)
	v_add_f64_e64 v[28:29], v[56:57], -v[28:29]
	v_add_f64_e64 v[26:27], v[52:53], -v[26:27]
	s_delay_alu instid0(VALU_DEP_1) | instskip(NEXT) | instid1(VALU_DEP_1)
	v_add_f64_e32 v[26:27], v[28:29], v[26:27]
	v_add_f64_e32 v[26:27], v[54:55], v[26:27]
	s_delay_alu instid0(VALU_DEP_1) | instskip(SKIP_1) | instid1(VALU_DEP_2)
	v_mul_f64_e32 v[20:21], v[30:31], v[26:27]
	v_div_scale_f64 v[26:27], null, v[22:23], v[22:23], v[18:19]
	v_add_f64_e32 v[28:29], v[32:33], v[20:21]
	s_delay_alu instid0(VALU_DEP_2) | instskip(NEXT) | instid1(VALU_DEP_1)
	v_rcp_f64_e32 v[30:31], v[26:27]
	v_mul_f64_e32 v[52:53], v[28:29], v[28:29]
	s_delay_alu instid0(TRANS32_DEP_1) | instskip(NEXT) | instid1(VALU_DEP_2)
	v_fma_f64 v[56:57], -v[26:27], v[30:31], 1.0
	v_fmamk_f64 v[54:55], v[52:53], 0x3fc3ab76bf559e2b, v[40:41]
	v_mul_f64_e32 v[58:59], v[28:29], v[52:53]
	s_delay_alu instid0(VALU_DEP_3) | instskip(NEXT) | instid1(VALU_DEP_3)
	v_fmac_f64_e32 v[30:31], v[30:31], v[56:57]
	v_fmaak_f64 v[54:55], v[52:53], v[54:55], 0x3fc7474dd7f4df2e
	s_delay_alu instid0(VALU_DEP_1) | instskip(NEXT) | instid1(VALU_DEP_1)
	v_fmaak_f64 v[54:55], v[52:53], v[54:55], 0x3fcc71c016291751
	v_fmaak_f64 v[54:55], v[52:53], v[54:55], 0x3fd249249b27acf1
	s_delay_alu instid0(VALU_DEP_1) | instskip(NEXT) | instid1(VALU_DEP_1)
	v_fmaak_f64 v[54:55], v[52:53], v[54:55], 0x3fd99999998ef7b6
	v_fmaak_f64 v[52:53], v[52:53], v[54:55], 0x3fe5555555555780
	v_ldexp_f64 v[54:55], v[28:29], 1
	v_add_f64_e64 v[28:29], v[28:29], -v[32:33]
	v_fma_f64 v[56:57], -v[26:27], v[30:31], 1.0
	s_delay_alu instid0(VALU_DEP_4) | instskip(SKIP_1) | instid1(VALU_DEP_4)
	v_mul_f64_e32 v[52:53], v[58:59], v[52:53]
	v_cvt_f64_i32_e32 v[58:59], v6
	v_add_f64_e64 v[20:21], v[20:21], -v[28:29]
	s_delay_alu instid0(VALU_DEP_4) | instskip(NEXT) | instid1(VALU_DEP_4)
	v_fmac_f64_e32 v[30:31], v[30:31], v[56:57]
	v_add_f64_e32 v[32:33], v[54:55], v[52:53]
	s_delay_alu instid0(VALU_DEP_4) | instskip(NEXT) | instid1(VALU_DEP_4)
	v_mul_f64_e32 v[56:57], 0x3fe62e42fefa39ef, v[58:59]
	v_ldexp_f64 v[20:21], v[20:21], 1
	s_delay_alu instid0(VALU_DEP_3) | instskip(SKIP_1) | instid1(VALU_DEP_4)
	v_add_f64_e64 v[28:29], v[32:33], -v[54:55]
	v_mul_f64_e32 v[54:55], v[60:61], v[30:31]
	v_fma_f64 v[62:63], v[58:59], s[34:35], -v[56:57]
	s_delay_alu instid0(VALU_DEP_3) | instskip(NEXT) | instid1(VALU_DEP_3)
	v_add_f64_e64 v[28:29], v[52:53], -v[28:29]
	v_fma_f64 v[26:27], -v[26:27], v[54:55], v[60:61]
	s_delay_alu instid0(VALU_DEP_3) | instskip(NEXT) | instid1(VALU_DEP_3)
	v_fmac_f64_e32 v[62:63], 0x3c7abc9e3b39803f, v[58:59]
	v_add_f64_e32 v[20:21], v[20:21], v[28:29]
	s_delay_alu instid0(VALU_DEP_3) | instskip(NEXT) | instid1(VALU_DEP_3)
	v_div_fmas_f64 v[26:27], v[26:27], v[30:31], v[54:55]
	v_add_f64_e32 v[28:29], v[56:57], v[62:63]
	v_cmp_gt_i32_e32 vcc_lo, 0, v7
	s_delay_alu instid0(VALU_DEP_4) | instskip(NEXT) | instid1(VALU_DEP_4)
	v_add_f64_e32 v[30:31], v[32:33], v[20:21]
	v_div_fixup_f64 v[18:19], v[26:27], v[22:23], v[18:19]
	s_delay_alu instid0(VALU_DEP_4) | instskip(NEXT) | instid1(VALU_DEP_3)
	v_add_f64_e64 v[56:57], v[28:29], -v[56:57]
	v_add_f64_e32 v[22:23], v[28:29], v[30:31]
	s_delay_alu instid0(VALU_DEP_3) | instskip(SKIP_1) | instid1(VALU_DEP_4)
	v_mul_f64_e32 v[26:27], v[18:19], v[18:19]
	v_add_f64_e64 v[32:33], v[30:31], -v[32:33]
	v_add_f64_e64 v[56:57], v[62:63], -v[56:57]
	s_delay_alu instid0(VALU_DEP_4) | instskip(NEXT) | instid1(VALU_DEP_4)
	v_add_f64_e64 v[52:53], v[22:23], -v[28:29]
	v_fmamk_f64 v[54:55], v[26:27], 0x3eeba404b5e68a13, v[42:43]
	s_delay_alu instid0(VALU_DEP_4) | instskip(NEXT) | instid1(VALU_DEP_2)
	v_add_f64_e64 v[20:21], v[20:21], -v[32:33]
	v_fmaak_f64 v[54:55], v[26:27], v[54:55], 0x3f4b2bb069efb384
	s_delay_alu instid0(VALU_DEP_1) | instskip(NEXT) | instid1(VALU_DEP_1)
	v_fmaak_f64 v[54:55], v[26:27], v[54:55], 0xbf67952daf56de9b
	v_fmaak_f64 v[54:55], v[26:27], v[54:55], 0x3f7d6d43a595c56f
	s_delay_alu instid0(VALU_DEP_1) | instskip(SKIP_3) | instid1(VALU_DEP_4)
	v_fmaak_f64 v[54:55], v[26:27], v[54:55], 0xbf8c6ea4a57d9582
	v_add_f64_e64 v[58:59], v[22:23], -v[52:53]
	v_add_f64_e64 v[30:31], v[30:31], -v[52:53]
	v_add_f64_e32 v[52:53], v[56:57], v[20:21]
	v_fmaak_f64 v[54:55], v[26:27], v[54:55], 0x3f967e295f08b19f
	s_delay_alu instid0(VALU_DEP_1) | instskip(NEXT) | instid1(VALU_DEP_1)
	v_fmaak_f64 v[32:33], v[26:27], v[54:55], 0xbf9e9ae6fc27006a
	v_fmaak_f64 v[32:33], v[26:27], v[32:33], 0x3fa2c15b5711927a
	s_delay_alu instid0(VALU_DEP_1) | instskip(NEXT) | instid1(VALU_DEP_1)
	v_fmaak_f64 v[32:33], v[26:27], v[32:33], 0xbfa59976e82d3ff0
	v_fmaak_f64 v[32:33], v[26:27], v[32:33], 0x3fa82d5d6ef28734
	v_add_f64_e64 v[28:29], v[28:29], -v[58:59]
	s_delay_alu instid0(VALU_DEP_2) | instskip(NEXT) | instid1(VALU_DEP_2)
	v_fmaak_f64 v[32:33], v[26:27], v[32:33], 0xbfaae5ce6a214619
	v_add_f64_e32 v[28:29], v[30:31], v[28:29]
	s_delay_alu instid0(VALU_DEP_2) | instskip(SKIP_1) | instid1(VALU_DEP_2)
	v_fmaak_f64 v[30:31], v[26:27], v[32:33], 0x3fae1bb48427b883
	v_add_f64_e64 v[32:33], v[52:53], -v[56:57]
	v_fmaak_f64 v[30:31], v[26:27], v[30:31], 0xbfb110e48b207f05
	s_delay_alu instid0(VALU_DEP_1) | instskip(NEXT) | instid1(VALU_DEP_1)
	v_fmaak_f64 v[30:31], v[26:27], v[30:31], 0x3fb3b13657b87036
	v_fmaak_f64 v[30:31], v[26:27], v[30:31], 0xbfb745d119378e4f
	s_delay_alu instid0(VALU_DEP_1) | instskip(SKIP_2) | instid1(VALU_DEP_3)
	v_fmaak_f64 v[30:31], v[26:27], v[30:31], 0x3fbc71c717e1913c
	v_add_f64_e32 v[28:29], v[52:53], v[28:29]
	v_add_f64_e64 v[20:21], v[20:21], -v[32:33]
	v_fmaak_f64 v[30:31], v[26:27], v[30:31], 0xbfc2492492376b7d
	s_delay_alu instid0(VALU_DEP_1) | instskip(NEXT) | instid1(VALU_DEP_1)
	v_fmaak_f64 v[30:31], v[26:27], v[30:31], 0x3fc99999999952cc
	v_fmaak_f64 v[30:31], v[26:27], v[30:31], 0xbfd5555555555523
	s_delay_alu instid0(VALU_DEP_1) | instskip(SKIP_2) | instid1(VALU_DEP_3)
	v_mul_f64_e32 v[26:27], v[26:27], v[30:31]
	v_add_f64_e64 v[30:31], v[52:53], -v[32:33]
	v_add_f64_e32 v[52:53], v[22:23], v[28:29]
	v_fmac_f64_e32 v[18:19], v[18:19], v[26:27]
	s_delay_alu instid0(VALU_DEP_3) | instskip(NEXT) | instid1(VALU_DEP_3)
	v_add_f64_e64 v[26:27], v[56:57], -v[30:31]
	v_add_f64_e64 v[22:23], v[52:53], -v[22:23]
	s_delay_alu instid0(VALU_DEP_3) | instskip(NEXT) | instid1(VALU_DEP_3)
	v_add_f64_e64 v[30:31], -v[18:19], s[40:41]
	v_add_f64_e32 v[20:21], v[20:21], v[26:27]
	v_dual_cndmask_b32 v27, 0x54442d18, v68 :: v_dual_ashrrev_i32 v26, 31, v7
	s_delay_alu instid0(VALU_DEP_4) | instskip(NEXT) | instid1(VALU_DEP_2)
	v_add_f64_e64 v[22:23], v[28:29], -v[22:23]
	v_and_b32_e32 v28, 0x54442d18, v26
	v_dual_cndmask_b32 v19, v19, v31, s6 :: v_dual_cndmask_b32 v18, v18, v30, s6
	s_delay_alu instid0(VALU_DEP_3) | instskip(NEXT) | instid1(VALU_DEP_2)
	v_add_f64_e32 v[20:21], v[20:21], v[22:23]
	v_add_f64_e64 v[22:23], -v[18:19], s[42:43]
	s_delay_alu instid0(VALU_DEP_1) | instskip(SKIP_1) | instid1(VALU_DEP_3)
	v_dual_add_f64 v[6:7], v[52:53], v[20:21] :: v_dual_cndmask_b32 v18, v18, v22, vcc_lo
	v_cndmask_b32_e32 v20, 0x3fe921fb, v69, vcc_lo
	v_cndmask_b32_e32 v19, v19, v23, vcc_lo
	v_cmp_ngt_f64_e32 vcc_lo, 0, v[24:25]
	v_and_b32_e32 v21, 0x400921fb, v26
	v_cndmask_b32_e64 v22, v18, v28, s8
	v_bfi_b32 v20, 0x7fffffff, v20, v9
	s_delay_alu instid0(VALU_DEP_3) | instskip(SKIP_2) | instid1(VALU_DEP_2)
	v_dual_cndmask_b32 v18, v19, v21, s8 :: v_dual_cndmask_b32 v6, v6, v24, s7
	v_cndmask_b32_e64 v7, v7, v25, s7
	v_cmp_nge_f64_e64 s7, 0, v[24:25]
	v_cndmask_b32_e32 v7, 0x7ff80000, v7, vcc_lo
	s_and_b32 vcc_lo, s11, s10
	v_cndmask_b32_e32 v21, v18, v20, vcc_lo
	v_dual_cndmask_b32 v20, v22, v27, vcc_lo :: v_dual_cndmask_b32 v18, 0, v6, s7
	v_cmp_neq_f64_e64 s7, 0, v[24:25]
	s_delay_alu instid0(VALU_DEP_1)
	v_cndmask_b32_e64 v19, 0xfff00000, v7, s7
.LBB173_29:                             ;   in Loop: Header=BB173_4 Depth=1
	s_or_b32 exec_lo, exec_lo, s9
                                        ; implicit-def: $vgpr24_vgpr25
.LBB173_30:                             ;   in Loop: Header=BB173_4 Depth=1
	s_and_not1_saveexec_b32 s9, s54
	s_cbranch_execz .LBB173_36
; %bb.31:                               ;   in Loop: Header=BB173_4 Depth=1
                                        ; implicit-def: $vgpr18_vgpr19
	s_mov_b32 s7, exec_lo
	v_cmpx_ngt_f64_e32 s[46:47], v[24:25]
	s_xor_b32 s10, exec_lo, s7
	s_cbranch_execz .LBB173_33
; %bb.32:                               ;   in Loop: Header=BB173_4 Depth=1
	v_mul_f64_e32 v[18:19], v[24:25], v[24:25]
	v_cmp_eq_f64_e64 s7, 0, v[8:9]
	v_cmp_class_f64_e64 s11, v[8:9], 0x204
	v_cmp_class_f64_e64 s12, v[6:7], 0x204
	s_delay_alu instid0(VALU_DEP_4) | instskip(NEXT) | instid1(VALU_DEP_1)
	v_add_f64_e32 v[20:21], 1.0, v[18:19]
	v_frexp_mant_f64_e32 v[22:23], v[20:21]
	v_frexp_exp_i32_f64_e32 v26, v[20:21]
	s_delay_alu instid0(VALU_DEP_2) | instskip(NEXT) | instid1(VALU_DEP_2)
	v_cmp_gt_f64_e32 vcc_lo, s[30:31], v[22:23]
	v_subrev_co_ci_u32_e64 v37, null, 0, v26, vcc_lo
	s_delay_alu instid0(VALU_DEP_1) | instskip(SKIP_1) | instid1(VALU_DEP_1)
	v_sub_nc_u32_e32 v28, 0, v37
	v_add_f64_e32 v[24:25], -1.0, v[20:21]
	v_add_f64_e64 v[22:23], v[24:25], -v[20:21]
	s_delay_alu instid0(VALU_DEP_3) | instskip(SKIP_1) | instid1(VALU_DEP_3)
	v_ldexp_f64 v[20:21], v[20:21], v28
	v_add_f64_e64 v[24:25], v[18:19], -v[24:25]
	v_add_f64_e32 v[22:23], 1.0, v[22:23]
	s_delay_alu instid0(VALU_DEP_3) | instskip(SKIP_1) | instid1(VALU_DEP_3)
	v_add_f64_e32 v[26:27], 1.0, v[20:21]
	v_add_f64_e32 v[32:33], -1.0, v[20:21]
	v_add_f64_e32 v[22:23], v[24:25], v[22:23]
	s_delay_alu instid0(VALU_DEP_3) | instskip(NEXT) | instid1(VALU_DEP_3)
	v_add_f64_e32 v[24:25], -1.0, v[26:27]
	v_add_f64_e32 v[52:53], 1.0, v[32:33]
	s_delay_alu instid0(VALU_DEP_3) | instskip(NEXT) | instid1(VALU_DEP_3)
	v_ldexp_f64 v[22:23], v[22:23], v28
	v_add_f64_e64 v[24:25], v[20:21], -v[24:25]
	s_delay_alu instid0(VALU_DEP_3) | instskip(NEXT) | instid1(VALU_DEP_2)
	v_add_f64_e64 v[20:21], v[20:21], -v[52:53]
	v_add_f64_e32 v[24:25], v[22:23], v[24:25]
	s_delay_alu instid0(VALU_DEP_2) | instskip(NEXT) | instid1(VALU_DEP_2)
	v_add_f64_e32 v[20:21], v[22:23], v[20:21]
	v_add_f64_e32 v[28:29], v[26:27], v[24:25]
	s_delay_alu instid0(VALU_DEP_2) | instskip(NEXT) | instid1(VALU_DEP_2)
	v_add_f64_e32 v[52:53], v[32:33], v[20:21]
	v_rcp_f64_e32 v[30:31], v[28:29]
	v_add_f64_e64 v[26:27], v[26:27], -v[28:29]
	s_delay_alu instid0(VALU_DEP_2) | instskip(NEXT) | instid1(VALU_DEP_2)
	v_add_f64_e64 v[32:33], v[32:33], -v[52:53]
	v_add_f64_e32 v[24:25], v[24:25], v[26:27]
	s_delay_alu instid0(VALU_DEP_2) | instskip(NEXT) | instid1(TRANS32_DEP_1)
	v_add_f64_e32 v[20:21], v[20:21], v[32:33]
	v_fma_f64 v[54:55], -v[28:29], v[30:31], 1.0
	s_delay_alu instid0(VALU_DEP_1) | instskip(NEXT) | instid1(VALU_DEP_1)
	v_fmac_f64_e32 v[30:31], v[54:55], v[30:31]
	v_fma_f64 v[22:23], -v[28:29], v[30:31], 1.0
	s_delay_alu instid0(VALU_DEP_1) | instskip(NEXT) | instid1(VALU_DEP_1)
	v_fmac_f64_e32 v[30:31], v[22:23], v[30:31]
	v_mul_f64_e32 v[22:23], v[52:53], v[30:31]
	s_delay_alu instid0(VALU_DEP_1) | instskip(NEXT) | instid1(VALU_DEP_1)
	v_mul_f64_e32 v[54:55], v[28:29], v[22:23]
	v_fma_f64 v[26:27], v[22:23], v[28:29], -v[54:55]
	s_delay_alu instid0(VALU_DEP_1) | instskip(NEXT) | instid1(VALU_DEP_1)
	v_fmac_f64_e32 v[26:27], v[22:23], v[24:25]
	v_add_f64_e32 v[56:57], v[54:55], v[26:27]
	s_delay_alu instid0(VALU_DEP_1) | instskip(SKIP_1) | instid1(VALU_DEP_2)
	v_add_f64_e64 v[58:59], v[52:53], -v[56:57]
	v_add_f64_e64 v[32:33], v[56:57], -v[54:55]
	;; [unrolled: 1-line block ×3, first 2 shown]
	s_delay_alu instid0(VALU_DEP_2) | instskip(NEXT) | instid1(VALU_DEP_2)
	v_add_f64_e64 v[26:27], v[32:33], -v[26:27]
	v_add_f64_e64 v[52:53], v[52:53], -v[56:57]
	s_delay_alu instid0(VALU_DEP_1) | instskip(NEXT) | instid1(VALU_DEP_1)
	v_add_f64_e32 v[20:21], v[20:21], v[52:53]
	v_add_f64_e32 v[20:21], v[26:27], v[20:21]
	s_delay_alu instid0(VALU_DEP_1) | instskip(NEXT) | instid1(VALU_DEP_1)
	v_add_f64_e32 v[26:27], v[58:59], v[20:21]
	v_mul_f64_e32 v[32:33], v[30:31], v[26:27]
	v_add_f64_e64 v[56:57], v[58:59], -v[26:27]
	s_delay_alu instid0(VALU_DEP_2) | instskip(NEXT) | instid1(VALU_DEP_2)
	v_mul_f64_e32 v[52:53], v[28:29], v[32:33]
	v_add_f64_e32 v[20:21], v[20:21], v[56:57]
	s_delay_alu instid0(VALU_DEP_2) | instskip(NEXT) | instid1(VALU_DEP_1)
	v_fma_f64 v[28:29], v[32:33], v[28:29], -v[52:53]
	v_fmac_f64_e32 v[28:29], v[32:33], v[24:25]
	s_delay_alu instid0(VALU_DEP_1) | instskip(NEXT) | instid1(VALU_DEP_1)
	v_add_f64_e32 v[24:25], v[52:53], v[28:29]
	v_add_f64_e64 v[54:55], v[26:27], -v[24:25]
	v_add_f64_e64 v[52:53], v[24:25], -v[52:53]
	s_delay_alu instid0(VALU_DEP_2) | instskip(NEXT) | instid1(VALU_DEP_1)
	v_add_f64_e64 v[26:27], v[26:27], -v[54:55]
	v_add_f64_e64 v[24:25], v[26:27], -v[24:25]
	s_delay_alu instid0(VALU_DEP_3) | instskip(SKIP_1) | instid1(VALU_DEP_3)
	v_add_f64_e64 v[26:27], v[52:53], -v[28:29]
	v_max_num_f64_e64 v[28:29], |v[6:7]|, |v[6:7]|
	v_add_f64_e32 v[20:21], v[20:21], v[24:25]
	v_add_f64_e32 v[24:25], v[22:23], v[32:33]
	s_delay_alu instid0(VALU_DEP_2) | instskip(NEXT) | instid1(VALU_DEP_2)
	v_add_f64_e32 v[20:21], v[26:27], v[20:21]
	v_add_f64_e64 v[22:23], v[24:25], -v[22:23]
	v_max_num_f64_e64 v[26:27], |v[8:9]|, |v[8:9]|
	s_delay_alu instid0(VALU_DEP_3) | instskip(NEXT) | instid1(VALU_DEP_3)
	v_add_f64_e32 v[20:21], v[54:55], v[20:21]
	v_add_f64_e64 v[22:23], v[32:33], -v[22:23]
	s_delay_alu instid0(VALU_DEP_2) | instskip(NEXT) | instid1(VALU_DEP_1)
	v_mul_f64_e32 v[20:21], v[30:31], v[20:21]
	v_add_f64_e32 v[20:21], v[22:23], v[20:21]
	v_max_num_f64_e32 v[22:23], v[28:29], v[26:27]
	v_min_num_f64_e32 v[26:27], v[28:29], v[26:27]
	s_delay_alu instid0(VALU_DEP_3) | instskip(NEXT) | instid1(VALU_DEP_2)
	v_add_f64_e32 v[28:29], v[24:25], v[20:21]
	v_div_scale_f64 v[30:31], null, v[22:23], v[22:23], v[26:27]
	s_delay_alu instid0(VALU_DEP_2) | instskip(SKIP_1) | instid1(VALU_DEP_3)
	v_mul_f64_e32 v[32:33], v[28:29], v[28:29]
	v_add_f64_e64 v[24:25], v[28:29], -v[24:25]
	v_rcp_f64_e32 v[52:53], v[30:31]
	s_delay_alu instid0(VALU_DEP_2) | instskip(SKIP_1) | instid1(VALU_DEP_3)
	v_fmamk_f64 v[54:55], v[32:33], 0x3fc3ab76bf559e2b, v[40:41]
	v_mul_f64_e32 v[56:57], v[28:29], v[32:33]
	v_add_f64_e64 v[20:21], v[20:21], -v[24:25]
	s_delay_alu instid0(VALU_DEP_3) | instskip(NEXT) | instid1(TRANS32_DEP_1)
	v_fmaak_f64 v[54:55], v[32:33], v[54:55], 0x3fc7474dd7f4df2e
	v_fma_f64 v[58:59], -v[30:31], v[52:53], 1.0
	s_delay_alu instid0(VALU_DEP_2) | instskip(NEXT) | instid1(VALU_DEP_1)
	v_fmaak_f64 v[54:55], v[32:33], v[54:55], 0x3fcc71c016291751
	v_fmaak_f64 v[54:55], v[32:33], v[54:55], 0x3fd249249b27acf1
	s_delay_alu instid0(VALU_DEP_1) | instskip(SKIP_1) | instid1(VALU_DEP_2)
	v_fmaak_f64 v[54:55], v[32:33], v[54:55], 0x3fd99999998ef7b6
	v_ldexp_f64 v[20:21], v[20:21], 1
	v_fmaak_f64 v[32:33], v[32:33], v[54:55], 0x3fe5555555555780
	v_ldexp_f64 v[54:55], v[28:29], 1
	v_fmac_f64_e32 v[52:53], v[52:53], v[58:59]
	s_delay_alu instid0(VALU_DEP_3) | instskip(SKIP_1) | instid1(VALU_DEP_3)
	v_mul_f64_e32 v[32:33], v[56:57], v[32:33]
	v_cvt_f64_i32_e32 v[56:57], v37
	v_fma_f64 v[58:59], -v[30:31], v[52:53], 1.0
	s_delay_alu instid0(VALU_DEP_3) | instskip(NEXT) | instid1(VALU_DEP_3)
	v_add_f64_e32 v[28:29], v[54:55], v[32:33]
	v_mul_f64_e32 v[60:61], 0x3fe62e42fefa39ef, v[56:57]
	s_delay_alu instid0(VALU_DEP_3) | instskip(NEXT) | instid1(VALU_DEP_3)
	v_fmac_f64_e32 v[52:53], v[52:53], v[58:59]
	v_add_f64_e64 v[24:25], v[28:29], -v[54:55]
	v_div_scale_f64 v[54:55], vcc_lo, v[26:27], v[22:23], v[26:27]
	s_delay_alu instid0(VALU_DEP_4) | instskip(NEXT) | instid1(VALU_DEP_3)
	v_fma_f64 v[58:59], v[56:57], s[34:35], -v[60:61]
	v_add_f64_e64 v[24:25], v[32:33], -v[24:25]
	s_delay_alu instid0(VALU_DEP_3) | instskip(NEXT) | instid1(VALU_DEP_3)
	v_mul_f64_e32 v[32:33], v[54:55], v[52:53]
	v_fmac_f64_e32 v[58:59], 0x3c7abc9e3b39803f, v[56:57]
	s_delay_alu instid0(VALU_DEP_3) | instskip(NEXT) | instid1(VALU_DEP_3)
	v_add_f64_e32 v[20:21], v[20:21], v[24:25]
	v_fma_f64 v[24:25], -v[30:31], v[32:33], v[54:55]
	s_delay_alu instid0(VALU_DEP_3) | instskip(NEXT) | instid1(VALU_DEP_3)
	v_add_f64_e32 v[30:31], v[60:61], v[58:59]
	v_add_f64_e32 v[54:55], v[28:29], v[20:21]
	s_delay_alu instid0(VALU_DEP_3) | instskip(SKIP_1) | instid1(VALU_DEP_4)
	v_div_fmas_f64 v[24:25], v[24:25], v[52:53], v[32:33]
	v_cmp_gt_i32_e32 vcc_lo, 0, v7
	v_add_f64_e64 v[52:53], v[30:31], -v[60:61]
	s_delay_alu instid0(VALU_DEP_4) | instskip(NEXT) | instid1(VALU_DEP_4)
	v_add_f64_e32 v[32:33], v[30:31], v[54:55]
	v_div_fixup_f64 v[22:23], v[24:25], v[22:23], v[26:27]
	v_add_f64_e64 v[28:29], v[54:55], -v[28:29]
	s_delay_alu instid0(VALU_DEP_4) | instskip(NEXT) | instid1(VALU_DEP_4)
	v_add_f64_e64 v[52:53], v[58:59], -v[52:53]
	v_add_f64_e64 v[24:25], v[32:33], -v[30:31]
	s_delay_alu instid0(VALU_DEP_4) | instskip(NEXT) | instid1(VALU_DEP_4)
	v_mul_f64_e32 v[26:27], v[22:23], v[22:23]
	v_add_f64_e64 v[20:21], v[20:21], -v[28:29]
	s_delay_alu instid0(VALU_DEP_3) | instskip(NEXT) | instid1(VALU_DEP_3)
	v_add_f64_e64 v[56:57], v[32:33], -v[24:25]
	v_fmamk_f64 v[60:61], v[26:27], 0x3eeba404b5e68a13, v[42:43]
	v_add_f64_e64 v[24:25], v[54:55], -v[24:25]
	s_delay_alu instid0(VALU_DEP_4) | instskip(NEXT) | instid1(VALU_DEP_3)
	v_add_f64_e32 v[54:55], v[52:53], v[20:21]
	v_fmaak_f64 v[60:61], v[26:27], v[60:61], 0x3f4b2bb069efb384
	s_delay_alu instid0(VALU_DEP_1) | instskip(SKIP_1) | instid1(VALU_DEP_2)
	v_fmaak_f64 v[60:61], v[26:27], v[60:61], 0xbf67952daf56de9b
	v_add_f64_e64 v[28:29], v[30:31], -v[56:57]
	v_fmaak_f64 v[30:31], v[26:27], v[60:61], 0x3f7d6d43a595c56f
	s_delay_alu instid0(VALU_DEP_1) | instskip(NEXT) | instid1(VALU_DEP_1)
	v_fmaak_f64 v[30:31], v[26:27], v[30:31], 0xbf8c6ea4a57d9582
	v_fmaak_f64 v[30:31], v[26:27], v[30:31], 0x3f967e295f08b19f
	s_delay_alu instid0(VALU_DEP_1) | instskip(NEXT) | instid1(VALU_DEP_1)
	v_fmaak_f64 v[30:31], v[26:27], v[30:31], 0xbf9e9ae6fc27006a
	v_fmaak_f64 v[30:31], v[26:27], v[30:31], 0x3fa2c15b5711927a
	v_add_f64_e32 v[24:25], v[24:25], v[28:29]
	s_delay_alu instid0(VALU_DEP_2) | instskip(SKIP_1) | instid1(VALU_DEP_2)
	v_fmaak_f64 v[28:29], v[26:27], v[30:31], 0xbfa59976e82d3ff0
	v_add_f64_e64 v[30:31], v[54:55], -v[52:53]
	v_fmaak_f64 v[28:29], v[26:27], v[28:29], 0x3fa82d5d6ef28734
	s_delay_alu instid0(VALU_DEP_1) | instskip(NEXT) | instid1(VALU_DEP_1)
	v_fmaak_f64 v[28:29], v[26:27], v[28:29], 0xbfaae5ce6a214619
	v_fmaak_f64 v[28:29], v[26:27], v[28:29], 0x3fae1bb48427b883
	s_delay_alu instid0(VALU_DEP_1) | instskip(SKIP_3) | instid1(VALU_DEP_4)
	v_fmaak_f64 v[28:29], v[26:27], v[28:29], 0xbfb110e48b207f05
	v_add_f64_e32 v[24:25], v[54:55], v[24:25]
	v_add_f64_e64 v[54:55], v[54:55], -v[30:31]
	v_add_f64_e64 v[20:21], v[20:21], -v[30:31]
	v_fmaak_f64 v[28:29], v[26:27], v[28:29], 0x3fb3b13657b87036
	s_delay_alu instid0(VALU_DEP_1) | instskip(NEXT) | instid1(VALU_DEP_1)
	v_fmaak_f64 v[28:29], v[26:27], v[28:29], 0xbfb745d119378e4f
	v_fmaak_f64 v[28:29], v[26:27], v[28:29], 0x3fbc71c717e1913c
	s_delay_alu instid0(VALU_DEP_1) | instskip(SKIP_1) | instid1(VALU_DEP_2)
	v_fmaak_f64 v[28:29], v[26:27], v[28:29], 0xbfc2492492376b7d
	v_add_f64_e32 v[56:57], v[32:33], v[24:25]
	v_fmaak_f64 v[28:29], v[26:27], v[28:29], 0x3fc99999999952cc
	s_delay_alu instid0(VALU_DEP_1) | instskip(NEXT) | instid1(VALU_DEP_1)
	v_fmaak_f64 v[28:29], v[26:27], v[28:29], 0xbfd5555555555523
	v_mul_f64_e32 v[26:27], v[26:27], v[28:29]
	v_add_f64_e64 v[28:29], v[52:53], -v[54:55]
	v_add_f64_e64 v[30:31], v[56:57], -v[32:33]
	s_delay_alu instid0(VALU_DEP_3) | instskip(NEXT) | instid1(VALU_DEP_3)
	v_fmac_f64_e32 v[22:23], v[22:23], v[26:27]
	v_add_f64_e32 v[20:21], v[20:21], v[28:29]
	s_delay_alu instid0(VALU_DEP_3) | instskip(NEXT) | instid1(VALU_DEP_3)
	v_add_f64_e64 v[24:25], v[24:25], -v[30:31]
	v_add_f64_e64 v[26:27], -v[22:23], s[40:41]
	s_delay_alu instid0(VALU_DEP_1) | instskip(NEXT) | instid1(VALU_DEP_2)
	v_dual_add_f64 v[20:21], v[20:21], v[24:25] :: v_dual_cndmask_b32 v23, v23, v27, s6
	v_dual_cndmask_b32 v22, v22, v26, s6 :: v_dual_ashrrev_i32 v26, 31, v7
	v_cmp_neq_f64_e64 s8, 0x7ff00000, v[18:19]
	v_cndmask_b32_e32 v18, 0x3fe921fb, v69, vcc_lo
	v_cndmask_b32_e32 v27, 0x54442d18, v68, vcc_lo
	s_delay_alu instid0(VALU_DEP_4)
	v_add_f64_e64 v[24:25], -v[22:23], s[42:43]
	v_and_b32_e32 v28, 0x54442d18, v26
	v_and_b32_e32 v19, 0x400921fb, v26
	v_bfi_b32 v18, 0x7fffffff, v18, v9
	v_add_f64_e32 v[20:21], v[56:57], v[20:21]
	v_cndmask_b32_e32 v22, v22, v24, vcc_lo
	s_delay_alu instid0(VALU_DEP_1) | instskip(NEXT) | instid1(VALU_DEP_3)
	v_cndmask_b32_e64 v22, v22, v28, s7
	v_mul_f64_e32 v[6:7], 0.5, v[20:21]
	v_cndmask_b32_e32 v20, v23, v25, vcc_lo
	s_and_b32 vcc_lo, s11, s12
                                        ; implicit-def: $vgpr24_vgpr25
	s_delay_alu instid0(VALU_DEP_1) | instskip(NEXT) | instid1(VALU_DEP_1)
	v_cndmask_b32_e64 v19, v20, v19, s7
	v_dual_cndmask_b32 v20, v22, v27 :: v_dual_cndmask_b32 v21, v19, v18
	s_delay_alu instid0(VALU_DEP_4)
	v_cndmask_b32_e64 v19, 0x7ff00000, v7, s8
	v_cndmask_b32_e64 v18, 0, v6, s8
.LBB173_33:                             ;   in Loop: Header=BB173_4 Depth=1
	s_and_not1_saveexec_b32 s8, s10
	s_cbranch_execz .LBB173_35
; %bb.34:                               ;   in Loop: Header=BB173_4 Depth=1
	v_max_num_f64_e64 v[18:19], |v[8:9]|, |v[8:9]|
	v_max_num_f64_e64 v[20:21], |v[6:7]|, |v[6:7]|
	v_cmp_eq_f64_e64 s7, 0, v[8:9]
	v_cmp_class_f64_e64 s10, v[8:9], 0x204
	v_cmp_class_f64_e64 s11, v[6:7], 0x204
	s_delay_alu instid0(VALU_DEP_4) | instskip(SKIP_1) | instid1(VALU_DEP_1)
	v_max_num_f64_e32 v[22:23], v[20:21], v[18:19]
	v_min_num_f64_e32 v[18:19], v[20:21], v[18:19]
	v_div_scale_f64 v[20:21], null, v[22:23], v[22:23], v[18:19]
	v_div_scale_f64 v[30:31], vcc_lo, v[18:19], v[22:23], v[18:19]
	s_delay_alu instid0(VALU_DEP_2) | instskip(SKIP_1) | instid1(TRANS32_DEP_1)
	v_rcp_f64_e32 v[26:27], v[20:21]
	v_nop
	v_fma_f64 v[28:29], -v[20:21], v[26:27], 1.0
	s_delay_alu instid0(VALU_DEP_1) | instskip(NEXT) | instid1(VALU_DEP_1)
	v_fmac_f64_e32 v[26:27], v[26:27], v[28:29]
	v_fma_f64 v[28:29], -v[20:21], v[26:27], 1.0
	s_delay_alu instid0(VALU_DEP_1) | instskip(NEXT) | instid1(VALU_DEP_1)
	v_fmac_f64_e32 v[26:27], v[26:27], v[28:29]
	v_mul_f64_e32 v[28:29], v[30:31], v[26:27]
	s_delay_alu instid0(VALU_DEP_1) | instskip(NEXT) | instid1(VALU_DEP_1)
	v_fma_f64 v[20:21], -v[20:21], v[28:29], v[30:31]
	v_div_fmas_f64 v[20:21], v[20:21], v[26:27], v[28:29]
	v_cmp_gt_i32_e32 vcc_lo, 0, v7
	v_ashrrev_i32_e32 v26, 31, v7
	v_cndmask_b32_e32 v6, 0x3fe921fb, v69, vcc_lo
	s_delay_alu instid0(VALU_DEP_2) | instskip(SKIP_2) | instid1(VALU_DEP_4)
	v_and_b32_e32 v28, 0x54442d18, v26
	v_and_b32_e32 v7, 0x400921fb, v26
	v_cndmask_b32_e32 v27, 0x54442d18, v68, vcc_lo
	v_bfi_b32 v6, 0x7fffffff, v6, v9
	v_div_fixup_f64 v[18:19], v[20:21], v[22:23], v[18:19]
	s_delay_alu instid0(VALU_DEP_1) | instskip(NEXT) | instid1(VALU_DEP_1)
	v_mul_f64_e32 v[20:21], v[18:19], v[18:19]
	v_fmamk_f64 v[22:23], v[20:21], 0x3eeba404b5e68a13, v[42:43]
	s_delay_alu instid0(VALU_DEP_1) | instskip(NEXT) | instid1(VALU_DEP_1)
	v_fmaak_f64 v[22:23], v[20:21], v[22:23], 0x3f4b2bb069efb384
	v_fmaak_f64 v[22:23], v[20:21], v[22:23], 0xbf67952daf56de9b
	s_delay_alu instid0(VALU_DEP_1) | instskip(NEXT) | instid1(VALU_DEP_1)
	v_fmaak_f64 v[22:23], v[20:21], v[22:23], 0x3f7d6d43a595c56f
	v_fmaak_f64 v[22:23], v[20:21], v[22:23], 0xbf8c6ea4a57d9582
	;; [unrolled: 3-line block ×9, first 2 shown]
	s_delay_alu instid0(VALU_DEP_1) | instskip(NEXT) | instid1(VALU_DEP_1)
	v_mul_f64_e32 v[20:21], v[20:21], v[22:23]
	v_fmac_f64_e32 v[18:19], v[18:19], v[20:21]
	s_delay_alu instid0(VALU_DEP_1) | instskip(NEXT) | instid1(VALU_DEP_1)
	v_add_f64_e64 v[20:21], -v[18:19], s[40:41]
	v_dual_cndmask_b32 v21, v19, v21, s6 :: v_dual_cndmask_b32 v20, v18, v20, s6
	v_mul_f64_e32 v[18:19], 0.5, v[24:25]
	s_delay_alu instid0(VALU_DEP_1) | instskip(NEXT) | instid1(VALU_DEP_3)
	v_mul_f64_e32 v[18:19], v[24:25], v[18:19]
	v_add_f64_e64 v[22:23], -v[20:21], s[42:43]
	s_delay_alu instid0(VALU_DEP_1) | instskip(SKIP_1) | instid1(VALU_DEP_1)
	v_dual_cndmask_b32 v20, v20, v22 :: v_dual_cndmask_b32 v21, v21, v23
	s_and_b32 vcc_lo, s10, s11
	v_dual_cndmask_b32 v20, v20, v28, s7 :: v_dual_cndmask_b32 v7, v21, v7, s7
	s_delay_alu instid0(VALU_DEP_1)
	v_dual_cndmask_b32 v20, v20, v27 :: v_dual_cndmask_b32 v21, v7, v6
.LBB173_35:                             ;   in Loop: Header=BB173_4 Depth=1
	s_or_b32 exec_lo, exec_lo, s8
.LBB173_36:                             ;   in Loop: Header=BB173_4 Depth=1
	s_delay_alu instid0(SALU_CYCLE_1)
	s_or_b32 exec_lo, exec_lo, s9
.LBB173_37:                             ;   in Loop: Header=BB173_4 Depth=1
	s_and_not1_saveexec_b32 s8, s33
	s_cbranch_execz .LBB173_39
; %bb.38:                               ;   in Loop: Header=BB173_4 Depth=1
	v_div_scale_f64 v[18:19], null, s[48:49], s[48:49], v[6:7]
	v_div_scale_f64 v[20:21], null, s[48:49], s[48:49], v[8:9]
	v_div_scale_f64 v[30:31], vcc_lo, v[6:7], s[48:49], v[6:7]
	s_delay_alu instid0(VALU_DEP_3) | instskip(NEXT) | instid1(VALU_DEP_2)
	v_rcp_f64_e32 v[22:23], v[18:19]
	v_rcp_f64_e32 v[24:25], v[20:21]
	s_delay_alu instid0(TRANS32_DEP_2) | instskip(NEXT) | instid1(TRANS32_DEP_1)
	v_fma_f64 v[26:27], -v[18:19], v[22:23], 1.0
	v_fma_f64 v[28:29], -v[20:21], v[24:25], 1.0
	s_delay_alu instid0(VALU_DEP_2) | instskip(NEXT) | instid1(VALU_DEP_2)
	v_fmac_f64_e32 v[22:23], v[22:23], v[26:27]
	v_fmac_f64_e32 v[24:25], v[24:25], v[28:29]
	s_delay_alu instid0(VALU_DEP_2) | instskip(NEXT) | instid1(VALU_DEP_2)
	v_fma_f64 v[26:27], -v[18:19], v[22:23], 1.0
	v_fma_f64 v[28:29], -v[20:21], v[24:25], 1.0
	s_delay_alu instid0(VALU_DEP_2) | instskip(SKIP_1) | instid1(VALU_DEP_3)
	v_fmac_f64_e32 v[22:23], v[22:23], v[26:27]
	v_div_scale_f64 v[26:27], s7, v[8:9], s[48:49], v[8:9]
	v_fmac_f64_e32 v[24:25], v[24:25], v[28:29]
	s_delay_alu instid0(VALU_DEP_3) | instskip(NEXT) | instid1(VALU_DEP_2)
	v_mul_f64_e32 v[28:29], v[30:31], v[22:23]
	v_mul_f64_e32 v[32:33], v[26:27], v[24:25]
	s_delay_alu instid0(VALU_DEP_2) | instskip(NEXT) | instid1(VALU_DEP_2)
	v_fma_f64 v[18:19], -v[18:19], v[28:29], v[30:31]
	v_fma_f64 v[20:21], -v[20:21], v[32:33], v[26:27]
	s_delay_alu instid0(VALU_DEP_2) | instskip(SKIP_1) | instid1(VALU_DEP_2)
	v_div_fmas_f64 v[18:19], v[18:19], v[22:23], v[28:29]
	s_mov_b32 vcc_lo, s7
	v_div_fmas_f64 v[20:21], v[20:21], v[24:25], v[32:33]
	s_delay_alu instid0(VALU_DEP_2) | instskip(NEXT) | instid1(VALU_DEP_2)
	v_div_fixup_f64 v[18:19], v[18:19], s[48:49], v[6:7]
	v_div_fixup_f64 v[20:21], v[20:21], s[48:49], v[8:9]
	s_delay_alu instid0(VALU_DEP_2) | instskip(NEXT) | instid1(VALU_DEP_2)
	v_cmp_class_f64_e64 s7, v[18:19], 0x204
	v_max_num_f64_e64 v[22:23], |v[18:19]|, |v[20:21]|
	v_cmp_class_f64_e64 s9, v[20:21], 0x204
	s_delay_alu instid0(VALU_DEP_2) | instskip(SKIP_2) | instid1(VALU_DEP_2)
	v_frexp_exp_i32_f64_e32 v30, v[22:23]
	s_or_b32 s7, s9, s7
	v_cmp_class_f64_e64 s9, v[6:7], 0x204
	v_sub_nc_u32_e32 v24, 0, v30
	s_delay_alu instid0(VALU_DEP_1) | instskip(SKIP_1) | instid1(VALU_DEP_2)
	v_ldexp_f64 v[22:23], |v[20:21]|, v24
	v_ldexp_f64 v[24:25], |v[18:19]|, v24
	v_mul_f64_e32 v[22:23], v[22:23], v[22:23]
	s_delay_alu instid0(VALU_DEP_1) | instskip(NEXT) | instid1(VALU_DEP_1)
	v_fmac_f64_e32 v[22:23], v[24:25], v[24:25]
	v_rsq_f64_e32 v[24:25], v[22:23]
	v_cmp_eq_f64_e32 vcc_lo, 0, v[22:23]
	s_delay_alu instid0(TRANS32_DEP_1) | instskip(SKIP_1) | instid1(VALU_DEP_1)
	v_mul_f64_e32 v[26:27], v[22:23], v[24:25]
	v_mul_f64_e32 v[24:25], 0.5, v[24:25]
	v_fma_f64 v[28:29], -v[24:25], v[26:27], 0.5
	s_delay_alu instid0(VALU_DEP_1) | instskip(SKIP_1) | instid1(VALU_DEP_2)
	v_fmac_f64_e32 v[26:27], v[26:27], v[28:29]
	v_fmac_f64_e32 v[24:25], v[24:25], v[28:29]
	v_fma_f64 v[28:29], -v[26:27], v[26:27], v[22:23]
	s_delay_alu instid0(VALU_DEP_1) | instskip(NEXT) | instid1(VALU_DEP_1)
	v_fmac_f64_e32 v[26:27], v[28:29], v[24:25]
	v_dual_cndmask_b32 v23, v27, v23 :: v_dual_cndmask_b32 v22, v26, v22
	v_cmp_o_f64_e32 vcc_lo, v[18:19], v[20:21]
	s_delay_alu instid0(VALU_DEP_2) | instskip(NEXT) | instid1(VALU_DEP_1)
	v_ldexp_f64 v[22:23], v[22:23], v30
	v_cndmask_b32_e32 v18, 0, v22, vcc_lo
	s_delay_alu instid0(VALU_DEP_2) | instskip(NEXT) | instid1(VALU_DEP_2)
	v_cndmask_b32_e32 v19, 0x7ff80000, v23, vcc_lo
	v_cndmask_b32_e64 v22, v18, 0, s7
	s_delay_alu instid0(VALU_DEP_2) | instskip(SKIP_1) | instid1(VALU_DEP_2)
	v_cndmask_b32_e64 v23, v19, 0x7ff00000, s7
	v_cmp_class_f64_e64 s7, v[8:9], 0x204
	v_frexp_mant_f64_e32 v[18:19], v[22:23]
	v_frexp_exp_i32_f64_e32 v37, v[22:23]
	s_delay_alu instid0(VALU_DEP_2) | instskip(SKIP_1) | instid1(VALU_DEP_3)
	v_cmp_gt_f64_e32 vcc_lo, s[30:31], v[18:19]
	v_cndmask_b32_e64 v20, 0, 1, vcc_lo
	v_subrev_co_ci_u32_e64 v37, null, 0, v37, vcc_lo
	s_delay_alu instid0(VALU_DEP_2) | instskip(NEXT) | instid1(VALU_DEP_1)
	v_ldexp_f64 v[18:19], v[18:19], v20
	v_add_f64_e32 v[20:21], 1.0, v[18:19]
	v_add_f64_e32 v[28:29], -1.0, v[18:19]
	s_delay_alu instid0(VALU_DEP_2) | instskip(SKIP_1) | instid1(VALU_DEP_1)
	v_rcp_f64_e32 v[24:25], v[20:21]
	v_add_f64_e32 v[30:31], -1.0, v[20:21]
	v_add_f64_e64 v[18:19], v[18:19], -v[30:31]
	s_delay_alu instid0(TRANS32_DEP_1) | instskip(NEXT) | instid1(VALU_DEP_1)
	v_fma_f64 v[26:27], -v[20:21], v[24:25], 1.0
	v_fmac_f64_e32 v[24:25], v[26:27], v[24:25]
	s_delay_alu instid0(VALU_DEP_1) | instskip(NEXT) | instid1(VALU_DEP_1)
	v_fma_f64 v[26:27], -v[20:21], v[24:25], 1.0
	v_fmac_f64_e32 v[24:25], v[26:27], v[24:25]
	s_delay_alu instid0(VALU_DEP_1) | instskip(NEXT) | instid1(VALU_DEP_1)
	v_mul_f64_e32 v[26:27], v[28:29], v[24:25]
	v_mul_f64_e32 v[32:33], v[20:21], v[26:27]
	s_delay_alu instid0(VALU_DEP_1) | instskip(NEXT) | instid1(VALU_DEP_1)
	v_fma_f64 v[20:21], v[26:27], v[20:21], -v[32:33]
	v_fmac_f64_e32 v[20:21], v[26:27], v[18:19]
	s_delay_alu instid0(VALU_DEP_1) | instskip(NEXT) | instid1(VALU_DEP_1)
	v_add_f64_e32 v[18:19], v[32:33], v[20:21]
	v_add_f64_e64 v[30:31], v[28:29], -v[18:19]
	v_add_f64_e64 v[32:33], v[18:19], -v[32:33]
	s_delay_alu instid0(VALU_DEP_2) | instskip(NEXT) | instid1(VALU_DEP_2)
	v_add_f64_e64 v[28:29], v[28:29], -v[30:31]
	v_add_f64_e64 v[20:21], v[32:33], -v[20:21]
	s_delay_alu instid0(VALU_DEP_2) | instskip(SKIP_1) | instid1(VALU_DEP_2)
	v_add_f64_e64 v[18:19], v[28:29], -v[18:19]
	v_max_num_f64_e64 v[28:29], |v[6:7]|, |v[6:7]|
	v_add_f64_e32 v[18:19], v[20:21], v[18:19]
	v_max_num_f64_e64 v[20:21], |v[8:9]|, |v[8:9]|
	s_delay_alu instid0(VALU_DEP_2) | instskip(NEXT) | instid1(VALU_DEP_1)
	v_add_f64_e32 v[18:19], v[30:31], v[18:19]
	v_mul_f64_e32 v[18:19], v[24:25], v[18:19]
	s_delay_alu instid0(VALU_DEP_3) | instskip(SKIP_1) | instid1(VALU_DEP_3)
	v_max_num_f64_e32 v[24:25], v[28:29], v[20:21]
	v_min_num_f64_e32 v[20:21], v[28:29], v[20:21]
	v_add_f64_e32 v[28:29], v[26:27], v[18:19]
	s_delay_alu instid0(VALU_DEP_2) | instskip(NEXT) | instid1(VALU_DEP_2)
	v_div_scale_f64 v[30:31], null, v[24:25], v[24:25], v[20:21]
	v_mul_f64_e32 v[32:33], v[28:29], v[28:29]
	v_add_f64_e64 v[26:27], v[28:29], -v[26:27]
	s_delay_alu instid0(VALU_DEP_3) | instskip(NEXT) | instid1(VALU_DEP_2)
	v_rcp_f64_e32 v[52:53], v[30:31]
	v_fmamk_f64 v[54:55], v[32:33], 0x3fc3ab76bf559e2b, v[40:41]
	v_mul_f64_e32 v[56:57], v[28:29], v[32:33]
	s_delay_alu instid0(VALU_DEP_3) | instskip(NEXT) | instid1(VALU_DEP_3)
	v_add_f64_e64 v[18:19], v[18:19], -v[26:27]
	v_fmaak_f64 v[54:55], v[32:33], v[54:55], 0x3fc7474dd7f4df2e
	s_delay_alu instid0(TRANS32_DEP_1) | instskip(NEXT) | instid1(VALU_DEP_2)
	v_fma_f64 v[58:59], -v[30:31], v[52:53], 1.0
	v_fmaak_f64 v[54:55], v[32:33], v[54:55], 0x3fcc71c016291751
	s_delay_alu instid0(VALU_DEP_1) | instskip(NEXT) | instid1(VALU_DEP_1)
	v_fmaak_f64 v[54:55], v[32:33], v[54:55], 0x3fd249249b27acf1
	v_fmaak_f64 v[54:55], v[32:33], v[54:55], 0x3fd99999998ef7b6
	v_ldexp_f64 v[18:19], v[18:19], 1
	s_delay_alu instid0(VALU_DEP_2) | instskip(SKIP_2) | instid1(VALU_DEP_3)
	v_fmaak_f64 v[32:33], v[32:33], v[54:55], 0x3fe5555555555780
	v_ldexp_f64 v[54:55], v[28:29], 1
	v_fmac_f64_e32 v[52:53], v[52:53], v[58:59]
	v_mul_f64_e32 v[32:33], v[56:57], v[32:33]
	v_cvt_f64_i32_e32 v[56:57], v37
	s_delay_alu instid0(VALU_DEP_3) | instskip(NEXT) | instid1(VALU_DEP_3)
	v_fma_f64 v[58:59], -v[30:31], v[52:53], 1.0
	v_add_f64_e32 v[28:29], v[54:55], v[32:33]
	s_delay_alu instid0(VALU_DEP_3) | instskip(NEXT) | instid1(VALU_DEP_3)
	v_mul_f64_e32 v[60:61], 0x3fe62e42fefa39ef, v[56:57]
	v_fmac_f64_e32 v[52:53], v[52:53], v[58:59]
	s_delay_alu instid0(VALU_DEP_3) | instskip(SKIP_1) | instid1(VALU_DEP_4)
	v_add_f64_e64 v[26:27], v[28:29], -v[54:55]
	v_div_scale_f64 v[54:55], vcc_lo, v[20:21], v[24:25], v[20:21]
	v_fma_f64 v[58:59], v[56:57], s[34:35], -v[60:61]
	s_delay_alu instid0(VALU_DEP_3) | instskip(NEXT) | instid1(VALU_DEP_3)
	v_add_f64_e64 v[26:27], v[32:33], -v[26:27]
	v_mul_f64_e32 v[32:33], v[54:55], v[52:53]
	s_delay_alu instid0(VALU_DEP_3) | instskip(NEXT) | instid1(VALU_DEP_3)
	v_fmac_f64_e32 v[58:59], 0x3c7abc9e3b39803f, v[56:57]
	v_add_f64_e32 v[18:19], v[18:19], v[26:27]
	s_delay_alu instid0(VALU_DEP_3) | instskip(NEXT) | instid1(VALU_DEP_3)
	v_fma_f64 v[26:27], -v[30:31], v[32:33], v[54:55]
	v_add_f64_e32 v[30:31], v[60:61], v[58:59]
	s_delay_alu instid0(VALU_DEP_3) | instskip(NEXT) | instid1(VALU_DEP_3)
	v_add_f64_e32 v[54:55], v[28:29], v[18:19]
	v_div_fmas_f64 v[26:27], v[26:27], v[52:53], v[32:33]
	v_cmp_class_f64_e64 vcc_lo, v[22:23], 0x204
	s_delay_alu instid0(VALU_DEP_4) | instskip(NEXT) | instid1(VALU_DEP_4)
	v_add_f64_e64 v[52:53], v[30:31], -v[60:61]
	v_add_f64_e32 v[32:33], v[30:31], v[54:55]
	s_delay_alu instid0(VALU_DEP_4) | instskip(SKIP_1) | instid1(VALU_DEP_4)
	v_div_fixup_f64 v[20:21], v[26:27], v[24:25], v[20:21]
	v_add_f64_e64 v[28:29], v[54:55], -v[28:29]
	v_add_f64_e64 v[52:53], v[58:59], -v[52:53]
	s_delay_alu instid0(VALU_DEP_4) | instskip(NEXT) | instid1(VALU_DEP_4)
	v_add_f64_e64 v[24:25], v[32:33], -v[30:31]
	v_mul_f64_e32 v[26:27], v[20:21], v[20:21]
	s_delay_alu instid0(VALU_DEP_4) | instskip(NEXT) | instid1(VALU_DEP_3)
	v_add_f64_e64 v[18:19], v[18:19], -v[28:29]
	v_add_f64_e64 v[56:57], v[32:33], -v[24:25]
	s_delay_alu instid0(VALU_DEP_3) | instskip(SKIP_1) | instid1(VALU_DEP_4)
	v_fmamk_f64 v[60:61], v[26:27], 0x3eeba404b5e68a13, v[42:43]
	v_add_f64_e64 v[24:25], v[54:55], -v[24:25]
	v_add_f64_e32 v[54:55], v[52:53], v[18:19]
	s_delay_alu instid0(VALU_DEP_3) | instskip(SKIP_1) | instid1(VALU_DEP_2)
	v_fmaak_f64 v[60:61], v[26:27], v[60:61], 0x3f4b2bb069efb384
	v_add_f64_e64 v[28:29], v[30:31], -v[56:57]
	v_fmaak_f64 v[30:31], v[26:27], v[60:61], 0xbf67952daf56de9b
	s_delay_alu instid0(VALU_DEP_1) | instskip(NEXT) | instid1(VALU_DEP_1)
	v_fmaak_f64 v[30:31], v[26:27], v[30:31], 0x3f7d6d43a595c56f
	v_fmaak_f64 v[30:31], v[26:27], v[30:31], 0xbf8c6ea4a57d9582
	s_delay_alu instid0(VALU_DEP_1) | instskip(SKIP_1) | instid1(VALU_DEP_2)
	v_fmaak_f64 v[30:31], v[26:27], v[30:31], 0x3f967e295f08b19f
	v_add_f64_e32 v[24:25], v[24:25], v[28:29]
	v_fmaak_f64 v[28:29], v[26:27], v[30:31], 0xbf9e9ae6fc27006a
	v_add_f64_e64 v[30:31], v[54:55], -v[52:53]
	s_delay_alu instid0(VALU_DEP_2) | instskip(NEXT) | instid1(VALU_DEP_1)
	v_fmaak_f64 v[28:29], v[26:27], v[28:29], 0x3fa2c15b5711927a
	v_fmaak_f64 v[28:29], v[26:27], v[28:29], 0xbfa59976e82d3ff0
	s_delay_alu instid0(VALU_DEP_1) | instskip(NEXT) | instid1(VALU_DEP_1)
	v_fmaak_f64 v[28:29], v[26:27], v[28:29], 0x3fa82d5d6ef28734
	v_fmaak_f64 v[28:29], v[26:27], v[28:29], 0xbfaae5ce6a214619
	v_add_f64_e32 v[24:25], v[54:55], v[24:25]
	v_add_f64_e64 v[54:55], v[54:55], -v[30:31]
	v_add_f64_e64 v[18:19], v[18:19], -v[30:31]
	s_delay_alu instid0(VALU_DEP_4) | instskip(NEXT) | instid1(VALU_DEP_1)
	v_fmaak_f64 v[28:29], v[26:27], v[28:29], 0x3fae1bb48427b883
	v_fmaak_f64 v[28:29], v[26:27], v[28:29], 0xbfb110e48b207f05
	s_delay_alu instid0(VALU_DEP_1) | instskip(NEXT) | instid1(VALU_DEP_1)
	v_fmaak_f64 v[28:29], v[26:27], v[28:29], 0x3fb3b13657b87036
	v_fmaak_f64 v[28:29], v[26:27], v[28:29], 0xbfb745d119378e4f
	s_delay_alu instid0(VALU_DEP_1) | instskip(SKIP_1) | instid1(VALU_DEP_2)
	v_fmaak_f64 v[28:29], v[26:27], v[28:29], 0x3fbc71c717e1913c
	v_add_f64_e32 v[56:57], v[32:33], v[24:25]
	v_fmaak_f64 v[28:29], v[26:27], v[28:29], 0xbfc2492492376b7d
	s_delay_alu instid0(VALU_DEP_1) | instskip(NEXT) | instid1(VALU_DEP_1)
	v_fmaak_f64 v[28:29], v[26:27], v[28:29], 0x3fc99999999952cc
	v_fmaak_f64 v[28:29], v[26:27], v[28:29], 0xbfd5555555555523
	s_delay_alu instid0(VALU_DEP_1) | instskip(SKIP_2) | instid1(VALU_DEP_3)
	v_mul_f64_e32 v[26:27], v[26:27], v[28:29]
	v_add_f64_e64 v[28:29], v[52:53], -v[54:55]
	v_add_f64_e64 v[30:31], v[56:57], -v[32:33]
	v_fmac_f64_e32 v[20:21], v[20:21], v[26:27]
	s_delay_alu instid0(VALU_DEP_3) | instskip(NEXT) | instid1(VALU_DEP_3)
	v_add_f64_e32 v[18:19], v[18:19], v[28:29]
	v_add_f64_e64 v[24:25], v[24:25], -v[30:31]
	s_delay_alu instid0(VALU_DEP_3) | instskip(NEXT) | instid1(VALU_DEP_1)
	v_add_f64_e64 v[26:27], -v[20:21], s[40:41]
	v_dual_add_f64 v[18:19], v[18:19], v[24:25] :: v_dual_cndmask_b32 v21, v21, v27, s6
	s_delay_alu instid0(VALU_DEP_2) | instskip(SKIP_2) | instid1(VALU_DEP_4)
	v_cndmask_b32_e64 v20, v20, v26, s6
	v_cmp_gt_i32_e64 s6, 0, v7
	v_ashrrev_i32_e32 v26, 31, v7
	v_add_f64_e32 v[18:19], v[56:57], v[18:19]
	s_delay_alu instid0(VALU_DEP_4) | instskip(NEXT) | instid1(VALU_DEP_4)
	v_add_f64_e64 v[24:25], -v[20:21], s[42:43]
	v_cndmask_b32_e64 v27, 0x54442d18, v68, s6
	v_cndmask_b32_e64 v6, 0x3fe921fb, v69, s6
	v_and_b32_e32 v28, 0x54442d18, v26
	v_and_b32_e32 v7, 0x400921fb, v26
	s_delay_alu instid0(VALU_DEP_3) | instskip(SKIP_4) | instid1(VALU_DEP_2)
	v_bfi_b32 v6, 0x7fffffff, v6, v9
	v_dual_cndmask_b32 v19, v19, v23 :: v_dual_cndmask_b32 v18, v18, v22
	v_cmp_eq_f64_e32 vcc_lo, 0, v[8:9]
	v_dual_cndmask_b32 v20, v20, v24, s6 :: v_dual_cndmask_b32 v21, v21, v25, s6
	v_cmp_nge_f64_e64 s6, 0, v[22:23]
	v_dual_add_f64 v[18:19], 1.0, v[18:19] :: v_dual_cndmask_b32 v20, v20, v28, vcc_lo
	s_delay_alu instid0(VALU_DEP_3) | instskip(SKIP_1) | instid1(VALU_DEP_3)
	v_cndmask_b32_e32 v7, v21, v7, vcc_lo
	v_cmp_ngt_f64_e32 vcc_lo, 0, v[22:23]
	v_cndmask_b32_e64 v18, 0, v18, s6
	v_cmp_neq_f64_e64 s6, 0, v[22:23]
	v_cndmask_b32_e32 v19, 0x7ff80000, v19, vcc_lo
	s_and_b32 vcc_lo, s7, s9
	v_dual_cndmask_b32 v21, v7, v6 :: v_dual_cndmask_b32 v20, v20, v27
	s_delay_alu instid0(VALU_DEP_2)
	v_cndmask_b32_e64 v19, 0xfff00000, v19, s6
.LBB173_39:                             ;   in Loop: Header=BB173_4 Depth=1
	s_or_b32 exec_lo, exec_lo, s8
.LBB173_40:                             ;   in Loop: Header=BB173_4 Depth=1
	s_and_not1_saveexec_b32 s6, s17
	s_cbranch_execz .LBB173_46
; %bb.41:                               ;   in Loop: Header=BB173_4 Depth=1
	v_cmp_ngt_f64_e64 s7, 0x20000000, |v[6:7]|
	v_cmp_ngt_f64_e64 s8, 0x20000000, |v[8:9]|
                                        ; implicit-def: $vgpr22_vgpr23
	s_or_b32 s7, s8, s7
	s_delay_alu instid0(SALU_CYCLE_1) | instskip(NEXT) | instid1(SALU_CYCLE_1)
	s_and_saveexec_b32 s8, s7
	s_xor_b32 s7, exec_lo, s8
	s_cbranch_execz .LBB173_43
; %bb.42:                               ;   in Loop: Header=BB173_4 Depth=1
	v_mul_f64_e32 v[22:23], v[6:7], v[6:7]
	s_delay_alu instid0(VALU_DEP_1)
	v_fmac_f64_e32 v[22:23], v[8:9], v[8:9]
.LBB173_43:                             ;   in Loop: Header=BB173_4 Depth=1
	s_and_not1_saveexec_b32 s7, s7
	s_cbranch_execz .LBB173_45
; %bb.44:                               ;   in Loop: Header=BB173_4 Depth=1
	v_mul_f64_e32 v[6:7], 4.0, v[6:7]
	v_mul_f64_e32 v[18:19], 4.0, v[8:9]
	s_delay_alu instid0(VALU_DEP_2) | instskip(NEXT) | instid1(VALU_DEP_1)
	v_mul_f64_e32 v[6:7], v[6:7], v[6:7]
	v_fmac_f64_e32 v[6:7], v[18:19], v[18:19]
	s_delay_alu instid0(VALU_DEP_1)
	v_ldexp_f64 v[22:23], v[6:7], -4
.LBB173_45:                             ;   in Loop: Header=BB173_4 Depth=1
	s_or_b32 exec_lo, exec_lo, s7
	s_delay_alu instid0(VALU_DEP_1) | instskip(NEXT) | instid1(VALU_DEP_1)
	v_frexp_mant_f64_e32 v[6:7], v[22:23]
	v_cmp_gt_f64_e32 vcc_lo, s[30:31], v[6:7]
	v_cndmask_b32_e64 v8, 0, 1, vcc_lo
	s_delay_alu instid0(VALU_DEP_1) | instskip(SKIP_1) | instid1(VALU_DEP_2)
	v_ldexp_f64 v[6:7], v[6:7], v8
	v_frexp_exp_i32_f64_e32 v8, v[22:23]
	v_add_f64_e32 v[18:19], 1.0, v[6:7]
	v_add_f64_e32 v[26:27], -1.0, v[6:7]
	s_delay_alu instid0(VALU_DEP_3) | instskip(SKIP_1) | instid1(VALU_DEP_4)
	v_subrev_co_ci_u32_e64 v8, null, 0, v8, vcc_lo
	v_cmp_class_f64_e64 vcc_lo, v[22:23], 0x204
	v_rcp_f64_e32 v[20:21], v[18:19]
	v_add_f64_e32 v[28:29], -1.0, v[18:19]
	s_delay_alu instid0(VALU_DEP_1) | instskip(NEXT) | instid1(TRANS32_DEP_1)
	v_add_f64_e64 v[6:7], v[6:7], -v[28:29]
	v_fma_f64 v[24:25], -v[18:19], v[20:21], 1.0
	s_delay_alu instid0(VALU_DEP_1) | instskip(NEXT) | instid1(VALU_DEP_1)
	v_fmac_f64_e32 v[20:21], v[24:25], v[20:21]
	v_fma_f64 v[24:25], -v[18:19], v[20:21], 1.0
	s_delay_alu instid0(VALU_DEP_1) | instskip(NEXT) | instid1(VALU_DEP_1)
	v_fmac_f64_e32 v[20:21], v[24:25], v[20:21]
	v_mul_f64_e32 v[24:25], v[26:27], v[20:21]
	s_delay_alu instid0(VALU_DEP_1) | instskip(NEXT) | instid1(VALU_DEP_1)
	v_mul_f64_e32 v[30:31], v[18:19], v[24:25]
	v_fma_f64 v[18:19], v[24:25], v[18:19], -v[30:31]
	s_delay_alu instid0(VALU_DEP_1) | instskip(NEXT) | instid1(VALU_DEP_1)
	v_fmac_f64_e32 v[18:19], v[24:25], v[6:7]
	v_add_f64_e32 v[6:7], v[30:31], v[18:19]
	s_delay_alu instid0(VALU_DEP_1) | instskip(SKIP_1) | instid1(VALU_DEP_2)
	v_add_f64_e64 v[28:29], v[26:27], -v[6:7]
	v_add_f64_e64 v[30:31], v[6:7], -v[30:31]
	;; [unrolled: 1-line block ×3, first 2 shown]
	s_delay_alu instid0(VALU_DEP_2) | instskip(NEXT) | instid1(VALU_DEP_2)
	v_add_f64_e64 v[18:19], v[30:31], -v[18:19]
	v_add_f64_e64 v[6:7], v[26:27], -v[6:7]
	s_delay_alu instid0(VALU_DEP_1) | instskip(NEXT) | instid1(VALU_DEP_1)
	v_add_f64_e32 v[6:7], v[18:19], v[6:7]
	v_add_f64_e32 v[6:7], v[28:29], v[6:7]
	s_delay_alu instid0(VALU_DEP_1) | instskip(NEXT) | instid1(VALU_DEP_1)
	v_mul_f64_e32 v[6:7], v[20:21], v[6:7]
	v_add_f64_e32 v[18:19], v[24:25], v[6:7]
	s_delay_alu instid0(VALU_DEP_1) | instskip(NEXT) | instid1(VALU_DEP_1)
	v_mul_f64_e32 v[20:21], v[18:19], v[18:19]
	v_fmamk_f64 v[26:27], v[20:21], 0x3fc3ab76bf559e2b, v[40:41]
	v_mul_f64_e32 v[28:29], v[18:19], v[20:21]
	s_delay_alu instid0(VALU_DEP_2) | instskip(NEXT) | instid1(VALU_DEP_1)
	v_fmaak_f64 v[26:27], v[20:21], v[26:27], 0x3fc7474dd7f4df2e
	v_fmaak_f64 v[26:27], v[20:21], v[26:27], 0x3fcc71c016291751
	s_delay_alu instid0(VALU_DEP_1) | instskip(NEXT) | instid1(VALU_DEP_1)
	v_fmaak_f64 v[26:27], v[20:21], v[26:27], 0x3fd249249b27acf1
	v_fmaak_f64 v[26:27], v[20:21], v[26:27], 0x3fd99999998ef7b6
	s_delay_alu instid0(VALU_DEP_1) | instskip(SKIP_2) | instid1(VALU_DEP_3)
	v_fmaak_f64 v[20:21], v[20:21], v[26:27], 0x3fe5555555555780
	v_ldexp_f64 v[26:27], v[18:19], 1
	v_add_f64_e64 v[18:19], v[18:19], -v[24:25]
	v_mul_f64_e32 v[20:21], v[28:29], v[20:21]
	v_cvt_f64_i32_e32 v[28:29], v8
	s_delay_alu instid0(VALU_DEP_3) | instskip(NEXT) | instid1(VALU_DEP_3)
	v_add_f64_e64 v[6:7], v[6:7], -v[18:19]
	v_add_f64_e32 v[24:25], v[26:27], v[20:21]
	s_delay_alu instid0(VALU_DEP_3) | instskip(NEXT) | instid1(VALU_DEP_3)
	v_mul_f64_e32 v[30:31], 0x3fe62e42fefa39ef, v[28:29]
	v_ldexp_f64 v[6:7], v[6:7], 1
	s_delay_alu instid0(VALU_DEP_3) | instskip(NEXT) | instid1(VALU_DEP_3)
	v_add_f64_e64 v[18:19], v[24:25], -v[26:27]
	v_fma_f64 v[26:27], v[28:29], s[34:35], -v[30:31]
	s_delay_alu instid0(VALU_DEP_2) | instskip(NEXT) | instid1(VALU_DEP_2)
	v_add_f64_e64 v[18:19], v[20:21], -v[18:19]
	v_fmac_f64_e32 v[26:27], 0x3c7abc9e3b39803f, v[28:29]
	s_delay_alu instid0(VALU_DEP_2) | instskip(NEXT) | instid1(VALU_DEP_2)
	v_add_f64_e32 v[6:7], v[6:7], v[18:19]
	v_add_f64_e32 v[18:19], v[30:31], v[26:27]
	s_delay_alu instid0(VALU_DEP_2) | instskip(NEXT) | instid1(VALU_DEP_2)
	v_add_f64_e32 v[20:21], v[24:25], v[6:7]
	v_add_f64_e64 v[30:31], v[18:19], -v[30:31]
	s_delay_alu instid0(VALU_DEP_2) | instskip(SKIP_1) | instid1(VALU_DEP_3)
	v_add_f64_e32 v[28:29], v[18:19], v[20:21]
	v_add_f64_e64 v[24:25], v[20:21], -v[24:25]
	v_add_f64_e64 v[26:27], v[26:27], -v[30:31]
	s_delay_alu instid0(VALU_DEP_3) | instskip(NEXT) | instid1(VALU_DEP_3)
	v_add_f64_e64 v[32:33], v[28:29], -v[18:19]
	v_add_f64_e64 v[6:7], v[6:7], -v[24:25]
	s_delay_alu instid0(VALU_DEP_2) | instskip(SKIP_1) | instid1(VALU_DEP_3)
	v_add_f64_e64 v[52:53], v[28:29], -v[32:33]
	v_add_f64_e64 v[20:21], v[20:21], -v[32:33]
	v_add_f64_e32 v[24:25], v[26:27], v[6:7]
	s_delay_alu instid0(VALU_DEP_3) | instskip(NEXT) | instid1(VALU_DEP_1)
	v_add_f64_e64 v[18:19], v[18:19], -v[52:53]
	v_add_f64_e32 v[18:19], v[20:21], v[18:19]
	s_delay_alu instid0(VALU_DEP_3) | instskip(NEXT) | instid1(VALU_DEP_2)
	v_add_f64_e64 v[20:21], v[24:25], -v[26:27]
	v_add_f64_e32 v[18:19], v[24:25], v[18:19]
	s_delay_alu instid0(VALU_DEP_2) | instskip(SKIP_1) | instid1(VALU_DEP_3)
	v_add_f64_e64 v[24:25], v[24:25], -v[20:21]
	v_add_f64_e64 v[6:7], v[6:7], -v[20:21]
	v_add_f64_e32 v[30:31], v[28:29], v[18:19]
	s_delay_alu instid0(VALU_DEP_3) | instskip(NEXT) | instid1(VALU_DEP_2)
	v_add_f64_e64 v[20:21], v[26:27], -v[24:25]
	v_add_f64_e64 v[24:25], v[30:31], -v[28:29]
	s_delay_alu instid0(VALU_DEP_2) | instskip(SKIP_1) | instid1(VALU_DEP_3)
	v_add_f64_e32 v[6:7], v[6:7], v[20:21]
	v_mov_b64_e32 v[20:21], 0x7ff8000000000000
	v_add_f64_e64 v[18:19], v[18:19], -v[24:25]
	s_delay_alu instid0(VALU_DEP_1) | instskip(NEXT) | instid1(VALU_DEP_1)
	v_add_f64_e32 v[6:7], v[6:7], v[18:19]
	v_add_f64_e32 v[6:7], v[30:31], v[6:7]
	s_delay_alu instid0(VALU_DEP_1) | instskip(SKIP_1) | instid1(VALU_DEP_2)
	v_dual_cndmask_b32 v6, v6, v22 :: v_dual_cndmask_b32 v7, v7, v23
	v_cmp_ngt_f64_e32 vcc_lo, 0, v[22:23]
	v_cndmask_b32_e32 v7, 0x7ff80000, v7, vcc_lo
	v_cmp_nge_f64_e32 vcc_lo, 0, v[22:23]
	s_delay_alu instid0(VALU_DEP_4) | instskip(SKIP_1) | instid1(VALU_DEP_4)
	v_cndmask_b32_e32 v18, 0, v6, vcc_lo
	v_cmp_neq_f64_e32 vcc_lo, 0, v[22:23]
	v_cndmask_b32_e32 v19, 0xfff00000, v7, vcc_lo
.LBB173_46:                             ;   in Loop: Header=BB173_4 Depth=1
	s_or_b32 exec_lo, exec_lo, s6
                                        ; implicit-def: $vgpr22_vgpr23
	s_delay_alu instid0(SALU_CYCLE_1)
	s_mov_b32 s6, exec_lo
	v_cmpx_o_f64_e32 v[2:3], v[4:5]
	s_xor_b32 s17, exec_lo, s6
	s_cbranch_execz .LBB173_74
; %bb.47:                               ;   in Loop: Header=BB173_4 Depth=1
	v_cmp_lt_f64_e64 s6, |v[2:3]|, |v[4:5]|
	v_and_b32_e32 v8, 0x7fffffff, v3
	v_and_b32_e32 v7, 0x7fffffff, v5
	v_mov_b32_e32 v6, v4
                                        ; implicit-def: $vgpr22_vgpr23
	s_mov_b32 s7, exec_lo
	s_delay_alu instid0(VALU_DEP_2) | instskip(NEXT) | instid1(VALU_DEP_1)
	v_dual_cndmask_b32 v27, v7, v8, s6 :: v_dual_cndmask_b32 v26, v4, v2, s6
	v_cmpx_nlt_f64_e32 s[24:25], v[26:27]
	s_xor_b32 s33, exec_lo, s7
	s_cbranch_execz .LBB173_71
; %bb.48:                               ;   in Loop: Header=BB173_4 Depth=1
	v_dual_cndmask_b32 v29, v8, v7, s6 :: v_dual_cndmask_b32 v28, v2, v6, s6
                                        ; implicit-def: $vgpr22_vgpr23
	s_mov_b32 s7, exec_lo
	s_delay_alu instid0(VALU_DEP_1)
	v_cmpx_neq_f64_e32 1.0, v[28:29]
	s_xor_b32 s54, exec_lo, s7
	s_cbranch_execz .LBB173_64
; %bb.49:                               ;   in Loop: Header=BB173_4 Depth=1
	v_max_num_f64_e32 v[6:7], v[26:27], v[26:27]
	v_max_num_f64_e32 v[22:23], v[28:29], v[28:29]
	s_delay_alu instid0(VALU_DEP_1) | instskip(SKIP_1) | instid1(VALU_DEP_2)
	v_min_num_f64_e32 v[24:25], v[22:23], v[6:7]
	v_max_num_f64_e32 v[6:7], v[22:23], v[6:7]
	v_cmp_ngt_f64_e32 vcc_lo, s[26:27], v[24:25]
	s_delay_alu instid0(VALU_DEP_2) | instskip(SKIP_1) | instid1(SALU_CYCLE_1)
	v_cmp_nlt_f64_e64 s7, s[28:29], v[6:7]
                                        ; implicit-def: $vgpr22_vgpr23
	s_and_b32 s7, s7, vcc_lo
	s_and_saveexec_b32 s8, s7
	s_delay_alu instid0(SALU_CYCLE_1)
	s_xor_b32 s55, exec_lo, s8
	s_cbranch_execz .LBB173_61
; %bb.50:                               ;   in Loop: Header=BB173_4 Depth=1
                                        ; implicit-def: $vgpr22_vgpr23
	s_mov_b32 s7, exec_lo
	v_cmpx_le_f64_e32 1.0, v[28:29]
	s_xor_b32 s10, exec_lo, s7
	s_cbranch_execz .LBB173_52
; %bb.51:                               ;   in Loop: Header=BB173_4 Depth=1
	v_add_f64_e32 v[6:7], -1.0, v[28:29]
	v_add_f64_e32 v[22:23], 1.0, v[28:29]
	v_cmp_eq_f64_e64 s7, 0, v[4:5]
	v_cmp_class_f64_e64 s12, v[2:3], 0x204
	v_cmp_class_f64_e64 s11, v[4:5], 0x204
	s_delay_alu instid0(VALU_DEP_4) | instskip(NEXT) | instid1(VALU_DEP_1)
	v_mul_f64_e32 v[6:7], v[6:7], v[22:23]
	v_fmac_f64_e32 v[6:7], v[26:27], v[26:27]
	s_delay_alu instid0(VALU_DEP_1) | instskip(SKIP_2) | instid1(VALU_DEP_3)
	v_add_f64_e32 v[22:23], 1.0, v[6:7]
	v_cmp_nge_f64_e64 s8, -1.0, v[6:7]
	v_cmp_neq_f64_e64 s9, 0x7ff00000, v[6:7]
	v_frexp_mant_f64_e32 v[24:25], v[22:23]
	v_frexp_exp_i32_f64_e32 v8, v[22:23]
	v_add_f64_e32 v[26:27], -1.0, v[22:23]
	s_delay_alu instid0(VALU_DEP_3) | instskip(NEXT) | instid1(VALU_DEP_2)
	v_cmp_gt_f64_e32 vcc_lo, s[30:31], v[24:25]
	v_add_f64_e64 v[24:25], v[26:27], -v[22:23]
	v_add_f64_e64 v[26:27], v[6:7], -v[26:27]
	v_subrev_co_ci_u32_e64 v8, null, 0, v8, vcc_lo
	s_delay_alu instid0(VALU_DEP_3) | instskip(NEXT) | instid1(VALU_DEP_2)
	v_add_f64_e32 v[24:25], 1.0, v[24:25]
	v_sub_nc_u32_e32 v30, 0, v8
	s_delay_alu instid0(VALU_DEP_1) | instskip(NEXT) | instid1(VALU_DEP_3)
	v_ldexp_f64 v[22:23], v[22:23], v30
	v_add_f64_e32 v[24:25], v[26:27], v[24:25]
	s_delay_alu instid0(VALU_DEP_2) | instskip(SKIP_1) | instid1(VALU_DEP_3)
	v_add_f64_e32 v[28:29], 1.0, v[22:23]
	v_add_f64_e32 v[52:53], -1.0, v[22:23]
	v_ldexp_f64 v[24:25], v[24:25], v30
	s_delay_alu instid0(VALU_DEP_3) | instskip(NEXT) | instid1(VALU_DEP_3)
	v_add_f64_e32 v[26:27], -1.0, v[28:29]
	v_add_f64_e32 v[54:55], 1.0, v[52:53]
	s_delay_alu instid0(VALU_DEP_2) | instskip(NEXT) | instid1(VALU_DEP_2)
	v_add_f64_e64 v[26:27], v[22:23], -v[26:27]
	v_add_f64_e64 v[22:23], v[22:23], -v[54:55]
	s_delay_alu instid0(VALU_DEP_2) | instskip(NEXT) | instid1(VALU_DEP_2)
	v_add_f64_e32 v[26:27], v[24:25], v[26:27]
	v_add_f64_e32 v[22:23], v[24:25], v[22:23]
	s_delay_alu instid0(VALU_DEP_2) | instskip(NEXT) | instid1(VALU_DEP_2)
	v_add_f64_e32 v[30:31], v[28:29], v[26:27]
	v_add_f64_e32 v[54:55], v[52:53], v[22:23]
	s_delay_alu instid0(VALU_DEP_2) | instskip(SKIP_1) | instid1(VALU_DEP_2)
	v_rcp_f64_e32 v[32:33], v[30:31]
	v_add_f64_e64 v[28:29], v[30:31], -v[28:29]
	v_add_f64_e64 v[52:53], v[54:55], -v[52:53]
	s_delay_alu instid0(VALU_DEP_2) | instskip(NEXT) | instid1(VALU_DEP_2)
	v_add_f64_e64 v[26:27], v[26:27], -v[28:29]
	v_add_f64_e64 v[22:23], v[22:23], -v[52:53]
	s_delay_alu instid0(TRANS32_DEP_1) | instskip(NEXT) | instid1(VALU_DEP_1)
	v_fma_f64 v[56:57], -v[30:31], v[32:33], 1.0
	v_fmac_f64_e32 v[32:33], v[56:57], v[32:33]
	s_delay_alu instid0(VALU_DEP_1) | instskip(NEXT) | instid1(VALU_DEP_1)
	v_fma_f64 v[24:25], -v[30:31], v[32:33], 1.0
	v_fmac_f64_e32 v[32:33], v[24:25], v[32:33]
	s_delay_alu instid0(VALU_DEP_1) | instskip(NEXT) | instid1(VALU_DEP_1)
	v_mul_f64_e32 v[24:25], v[54:55], v[32:33]
	v_mul_f64_e32 v[56:57], v[30:31], v[24:25]
	s_delay_alu instid0(VALU_DEP_1) | instskip(NEXT) | instid1(VALU_DEP_1)
	v_fma_f64 v[28:29], v[24:25], v[30:31], -v[56:57]
	v_fmac_f64_e32 v[28:29], v[24:25], v[26:27]
	s_delay_alu instid0(VALU_DEP_1) | instskip(NEXT) | instid1(VALU_DEP_1)
	v_add_f64_e32 v[58:59], v[56:57], v[28:29]
	v_add_f64_e64 v[60:61], v[54:55], -v[58:59]
	v_add_f64_e64 v[52:53], v[58:59], -v[56:57]
	s_delay_alu instid0(VALU_DEP_2) | instskip(NEXT) | instid1(VALU_DEP_2)
	v_add_f64_e64 v[54:55], v[54:55], -v[60:61]
	v_add_f64_e64 v[28:29], v[52:53], -v[28:29]
	s_delay_alu instid0(VALU_DEP_2) | instskip(NEXT) | instid1(VALU_DEP_1)
	v_add_f64_e64 v[54:55], v[54:55], -v[58:59]
	v_add_f64_e32 v[22:23], v[22:23], v[54:55]
	s_delay_alu instid0(VALU_DEP_1) | instskip(NEXT) | instid1(VALU_DEP_1)
	v_add_f64_e32 v[22:23], v[28:29], v[22:23]
	v_add_f64_e32 v[28:29], v[60:61], v[22:23]
	s_delay_alu instid0(VALU_DEP_1) | instskip(SKIP_1) | instid1(VALU_DEP_2)
	v_mul_f64_e32 v[52:53], v[32:33], v[28:29]
	v_add_f64_e64 v[58:59], v[60:61], -v[28:29]
	v_mul_f64_e32 v[54:55], v[30:31], v[52:53]
	s_delay_alu instid0(VALU_DEP_2) | instskip(NEXT) | instid1(VALU_DEP_2)
	v_add_f64_e32 v[22:23], v[22:23], v[58:59]
	v_fma_f64 v[30:31], v[52:53], v[30:31], -v[54:55]
	s_delay_alu instid0(VALU_DEP_1) | instskip(NEXT) | instid1(VALU_DEP_1)
	v_fmac_f64_e32 v[30:31], v[52:53], v[26:27]
	v_add_f64_e32 v[26:27], v[54:55], v[30:31]
	s_delay_alu instid0(VALU_DEP_1) | instskip(SKIP_1) | instid1(VALU_DEP_2)
	v_add_f64_e64 v[56:57], v[28:29], -v[26:27]
	v_add_f64_e64 v[54:55], v[26:27], -v[54:55]
	;; [unrolled: 1-line block ×3, first 2 shown]
	s_delay_alu instid0(VALU_DEP_1) | instskip(NEXT) | instid1(VALU_DEP_3)
	v_add_f64_e64 v[26:27], v[28:29], -v[26:27]
	v_add_f64_e64 v[28:29], v[54:55], -v[30:31]
	v_max_num_f64_e64 v[30:31], |v[2:3]|, |v[2:3]|
	s_delay_alu instid0(VALU_DEP_3) | instskip(SKIP_1) | instid1(VALU_DEP_2)
	v_add_f64_e32 v[22:23], v[22:23], v[26:27]
	v_add_f64_e32 v[26:27], v[24:25], v[52:53]
	;; [unrolled: 1-line block ×3, first 2 shown]
	s_delay_alu instid0(VALU_DEP_2) | instskip(SKIP_1) | instid1(VALU_DEP_3)
	v_add_f64_e64 v[24:25], v[26:27], -v[24:25]
	v_max_num_f64_e64 v[28:29], |v[4:5]|, |v[4:5]|
	v_add_f64_e32 v[22:23], v[56:57], v[22:23]
	s_delay_alu instid0(VALU_DEP_3) | instskip(NEXT) | instid1(VALU_DEP_2)
	v_add_f64_e64 v[24:25], v[52:53], -v[24:25]
	v_mul_f64_e32 v[22:23], v[32:33], v[22:23]
	s_delay_alu instid0(VALU_DEP_1) | instskip(SKIP_2) | instid1(VALU_DEP_3)
	v_add_f64_e32 v[22:23], v[24:25], v[22:23]
	v_max_num_f64_e32 v[24:25], v[30:31], v[28:29]
	v_min_num_f64_e32 v[28:29], v[30:31], v[28:29]
	v_add_f64_e32 v[30:31], v[26:27], v[22:23]
	s_delay_alu instid0(VALU_DEP_2) | instskip(NEXT) | instid1(VALU_DEP_2)
	v_div_scale_f64 v[32:33], null, v[24:25], v[24:25], v[28:29]
	v_mul_f64_e32 v[52:53], v[30:31], v[30:31]
	v_add_f64_e64 v[26:27], v[30:31], -v[26:27]
	s_delay_alu instid0(VALU_DEP_3) | instskip(NEXT) | instid1(VALU_DEP_2)
	v_rcp_f64_e32 v[54:55], v[32:33]
	v_fmamk_f64 v[56:57], v[52:53], 0x3fc3ab76bf559e2b, v[40:41]
	v_mul_f64_e32 v[58:59], v[30:31], v[52:53]
	s_delay_alu instid0(VALU_DEP_3) | instskip(NEXT) | instid1(VALU_DEP_3)
	v_add_f64_e64 v[22:23], v[22:23], -v[26:27]
	v_fmaak_f64 v[56:57], v[52:53], v[56:57], 0x3fc7474dd7f4df2e
	s_delay_alu instid0(TRANS32_DEP_1) | instskip(NEXT) | instid1(VALU_DEP_2)
	v_fma_f64 v[60:61], -v[32:33], v[54:55], 1.0
	v_fmaak_f64 v[56:57], v[52:53], v[56:57], 0x3fcc71c016291751
	s_delay_alu instid0(VALU_DEP_1) | instskip(NEXT) | instid1(VALU_DEP_1)
	v_fmaak_f64 v[56:57], v[52:53], v[56:57], 0x3fd249249b27acf1
	v_fmaak_f64 v[56:57], v[52:53], v[56:57], 0x3fd99999998ef7b6
	v_ldexp_f64 v[22:23], v[22:23], 1
	s_delay_alu instid0(VALU_DEP_2) | instskip(SKIP_2) | instid1(VALU_DEP_3)
	v_fmaak_f64 v[52:53], v[52:53], v[56:57], 0x3fe5555555555780
	v_ldexp_f64 v[56:57], v[30:31], 1
	v_fmac_f64_e32 v[54:55], v[54:55], v[60:61]
	v_mul_f64_e32 v[52:53], v[58:59], v[52:53]
	v_cvt_f64_i32_e32 v[58:59], v8
	v_ashrrev_i32_e32 v8, 31, v3
	s_delay_alu instid0(VALU_DEP_4) | instskip(NEXT) | instid1(VALU_DEP_4)
	v_fma_f64 v[60:61], -v[32:33], v[54:55], 1.0
	v_add_f64_e32 v[30:31], v[56:57], v[52:53]
	s_delay_alu instid0(VALU_DEP_4) | instskip(NEXT) | instid1(VALU_DEP_3)
	v_mul_f64_e32 v[62:63], 0x3fe62e42fefa39ef, v[58:59]
	v_fmac_f64_e32 v[54:55], v[54:55], v[60:61]
	s_delay_alu instid0(VALU_DEP_3) | instskip(SKIP_1) | instid1(VALU_DEP_4)
	v_add_f64_e64 v[26:27], v[30:31], -v[56:57]
	v_div_scale_f64 v[56:57], vcc_lo, v[28:29], v[24:25], v[28:29]
	v_fma_f64 v[60:61], v[58:59], s[34:35], -v[62:63]
	s_delay_alu instid0(VALU_DEP_3) | instskip(NEXT) | instid1(VALU_DEP_3)
	v_add_f64_e64 v[26:27], v[52:53], -v[26:27]
	v_mul_f64_e32 v[52:53], v[56:57], v[54:55]
	s_delay_alu instid0(VALU_DEP_3) | instskip(NEXT) | instid1(VALU_DEP_3)
	v_fmac_f64_e32 v[60:61], 0x3c7abc9e3b39803f, v[58:59]
	v_add_f64_e32 v[22:23], v[22:23], v[26:27]
	s_delay_alu instid0(VALU_DEP_3) | instskip(NEXT) | instid1(VALU_DEP_3)
	v_fma_f64 v[26:27], -v[32:33], v[52:53], v[56:57]
	v_add_f64_e32 v[32:33], v[62:63], v[60:61]
	s_delay_alu instid0(VALU_DEP_3) | instskip(NEXT) | instid1(VALU_DEP_3)
	v_add_f64_e32 v[56:57], v[30:31], v[22:23]
	v_div_fmas_f64 v[26:27], v[26:27], v[54:55], v[52:53]
	v_cmp_gt_i32_e32 vcc_lo, 0, v3
	s_delay_alu instid0(VALU_DEP_4) | instskip(SKIP_2) | instid1(VALU_DEP_1)
	v_add_f64_e64 v[54:55], v[32:33], -v[62:63]
	v_and_b32_e32 v3, 0x400921fb, v8
	v_cndmask_b32_e32 v2, 0x3fe921fb, v69, vcc_lo
	v_bfi_b32 v2, 0x7fffffff, v2, v5
	v_add_f64_e32 v[52:53], v[32:33], v[56:57]
	v_div_fixup_f64 v[24:25], v[26:27], v[24:25], v[28:29]
	v_add_f64_e64 v[30:31], v[56:57], -v[30:31]
	v_add_f64_e64 v[54:55], v[60:61], -v[54:55]
	s_delay_alu instid0(VALU_DEP_4) | instskip(NEXT) | instid1(VALU_DEP_4)
	v_add_f64_e64 v[26:27], v[52:53], -v[32:33]
	v_mul_f64_e32 v[28:29], v[24:25], v[24:25]
	s_delay_alu instid0(VALU_DEP_4) | instskip(NEXT) | instid1(VALU_DEP_3)
	v_add_f64_e64 v[22:23], v[22:23], -v[30:31]
	v_add_f64_e64 v[58:59], v[52:53], -v[26:27]
	s_delay_alu instid0(VALU_DEP_3) | instskip(SKIP_1) | instid1(VALU_DEP_4)
	v_fmamk_f64 v[62:63], v[28:29], 0x3eeba404b5e68a13, v[42:43]
	v_add_f64_e64 v[26:27], v[56:57], -v[26:27]
	v_add_f64_e32 v[56:57], v[54:55], v[22:23]
	s_delay_alu instid0(VALU_DEP_3) | instskip(SKIP_1) | instid1(VALU_DEP_2)
	v_fmaak_f64 v[62:63], v[28:29], v[62:63], 0x3f4b2bb069efb384
	v_add_f64_e64 v[30:31], v[32:33], -v[58:59]
	v_fmaak_f64 v[32:33], v[28:29], v[62:63], 0xbf67952daf56de9b
	s_delay_alu instid0(VALU_DEP_1) | instskip(NEXT) | instid1(VALU_DEP_1)
	v_fmaak_f64 v[32:33], v[28:29], v[32:33], 0x3f7d6d43a595c56f
	v_fmaak_f64 v[32:33], v[28:29], v[32:33], 0xbf8c6ea4a57d9582
	s_delay_alu instid0(VALU_DEP_1) | instskip(NEXT) | instid1(VALU_DEP_1)
	v_fmaak_f64 v[32:33], v[28:29], v[32:33], 0x3f967e295f08b19f
	v_fmaak_f64 v[32:33], v[28:29], v[32:33], 0xbf9e9ae6fc27006a
	v_add_f64_e32 v[26:27], v[26:27], v[30:31]
	s_delay_alu instid0(VALU_DEP_2) | instskip(SKIP_1) | instid1(VALU_DEP_2)
	v_fmaak_f64 v[30:31], v[28:29], v[32:33], 0x3fa2c15b5711927a
	v_add_f64_e64 v[32:33], v[56:57], -v[54:55]
	v_fmaak_f64 v[30:31], v[28:29], v[30:31], 0xbfa59976e82d3ff0
	s_delay_alu instid0(VALU_DEP_1) | instskip(NEXT) | instid1(VALU_DEP_1)
	v_fmaak_f64 v[30:31], v[28:29], v[30:31], 0x3fa82d5d6ef28734
	v_fmaak_f64 v[30:31], v[28:29], v[30:31], 0xbfaae5ce6a214619
	s_delay_alu instid0(VALU_DEP_1) | instskip(SKIP_3) | instid1(VALU_DEP_4)
	v_fmaak_f64 v[30:31], v[28:29], v[30:31], 0x3fae1bb48427b883
	v_add_f64_e32 v[26:27], v[56:57], v[26:27]
	v_add_f64_e64 v[56:57], v[56:57], -v[32:33]
	v_add_f64_e64 v[22:23], v[22:23], -v[32:33]
	v_fmaak_f64 v[30:31], v[28:29], v[30:31], 0xbfb110e48b207f05
	s_delay_alu instid0(VALU_DEP_1) | instskip(NEXT) | instid1(VALU_DEP_1)
	v_fmaak_f64 v[30:31], v[28:29], v[30:31], 0x3fb3b13657b87036
	v_fmaak_f64 v[30:31], v[28:29], v[30:31], 0xbfb745d119378e4f
	s_delay_alu instid0(VALU_DEP_1) | instskip(SKIP_1) | instid1(VALU_DEP_2)
	v_fmaak_f64 v[30:31], v[28:29], v[30:31], 0x3fbc71c717e1913c
	v_add_f64_e32 v[58:59], v[52:53], v[26:27]
	v_fmaak_f64 v[30:31], v[28:29], v[30:31], 0xbfc2492492376b7d
	s_delay_alu instid0(VALU_DEP_1) | instskip(NEXT) | instid1(VALU_DEP_1)
	v_fmaak_f64 v[30:31], v[28:29], v[30:31], 0x3fc99999999952cc
	v_fmaak_f64 v[30:31], v[28:29], v[30:31], 0xbfd5555555555523
	s_delay_alu instid0(VALU_DEP_1) | instskip(SKIP_2) | instid1(VALU_DEP_3)
	v_mul_f64_e32 v[28:29], v[28:29], v[30:31]
	v_add_f64_e64 v[30:31], v[54:55], -v[56:57]
	v_add_f64_e64 v[32:33], v[58:59], -v[52:53]
	v_fmac_f64_e32 v[24:25], v[24:25], v[28:29]
	s_delay_alu instid0(VALU_DEP_3) | instskip(NEXT) | instid1(VALU_DEP_3)
	v_add_f64_e32 v[22:23], v[22:23], v[30:31]
	v_add_f64_e64 v[26:27], v[26:27], -v[32:33]
	s_delay_alu instid0(VALU_DEP_3) | instskip(NEXT) | instid1(VALU_DEP_1)
	v_add_f64_e64 v[28:29], -v[24:25], s[40:41]
	v_dual_add_f64 v[22:23], v[22:23], v[26:27] :: v_dual_cndmask_b32 v25, v25, v29, s6
	s_delay_alu instid0(VALU_DEP_2) | instskip(SKIP_2) | instid1(VALU_DEP_3)
	v_cndmask_b32_e64 v24, v24, v28, s6
	v_and_b32_e32 v29, 0x54442d18, v8
	v_cndmask_b32_e32 v28, 0x54442d18, v68, vcc_lo
	v_add_f64_e64 v[26:27], -v[24:25], s[42:43]
	v_add_f64_e32 v[22:23], v[58:59], v[22:23]
	s_delay_alu instid0(VALU_DEP_2) | instskip(SKIP_1) | instid1(VALU_DEP_3)
	v_dual_cndmask_b32 v24, v24, v26, vcc_lo :: v_dual_cndmask_b32 v8, v25, v27, vcc_lo
	v_cmp_ngt_f64_e32 vcc_lo, -1.0, v[6:7]
	v_mul_f64_e32 v[22:23], 0.5, v[22:23]
                                        ; implicit-def: $vgpr26_vgpr27
	s_delay_alu instid0(VALU_DEP_3) | instskip(NEXT) | instid1(VALU_DEP_4)
	v_cndmask_b32_e64 v24, v24, v29, s7
	v_cndmask_b32_e64 v3, v8, v3, s7
	s_and_b32 s7, s8, s9
	s_delay_alu instid0(VALU_DEP_3) | instid1(SALU_CYCLE_1)
	v_cndmask_b32_e64 v22, 0, v22, s7
	v_cmp_neq_f64_e64 s7, -1.0, v[6:7]
	v_cndmask_b32_e64 v23, 0x7ff00000, v23, s9
	s_delay_alu instid0(VALU_DEP_1) | instskip(SKIP_2) | instid1(VALU_DEP_2)
	v_cndmask_b32_e32 v8, 0x7ff80000, v23, vcc_lo
	s_and_b32 vcc_lo, s11, s12
	v_dual_cndmask_b32 v25, v3, v2 :: v_dual_cndmask_b32 v24, v24, v28
                                        ; implicit-def: $vgpr28_vgpr29
	v_cndmask_b32_e64 v23, 0xfff00000, v8, s7
.LBB173_52:                             ;   in Loop: Header=BB173_4 Depth=1
	s_and_not1_saveexec_b32 s56, s10
	s_cbranch_execz .LBB173_60
; %bb.53:                               ;   in Loop: Header=BB173_4 Depth=1
	v_mul_f64_e32 v[6:7], v[26:27], v[26:27]
                                        ; implicit-def: $vgpr22_vgpr23
	s_mov_b32 s7, exec_lo
	s_delay_alu instid0(VALU_DEP_1) | instskip(NEXT) | instid1(VALU_DEP_1)
	v_fmac_f64_e32 v[6:7], v[28:29], v[28:29]
	v_cmpx_ge_f64_e32 s[44:45], v[6:7]
	s_xor_b32 s9, exec_lo, s7
	s_cbranch_execz .LBB173_55
; %bb.54:                               ;   in Loop: Header=BB173_4 Depth=1
	v_frexp_mant_f64_e32 v[22:23], v[6:7]
	v_cmp_neq_f64_e64 s8, 0, v[6:7]
	v_cmp_eq_f64_e64 s7, 0, v[4:5]
	v_cmp_class_f64_e64 s10, v[4:5], 0x204
	v_cmp_class_f64_e64 s11, v[2:3], 0x204
	v_cmp_gt_f64_e32 vcc_lo, s[30:31], v[22:23]
	v_cndmask_b32_e64 v8, 0, 1, vcc_lo
	s_delay_alu instid0(VALU_DEP_1) | instskip(SKIP_1) | instid1(VALU_DEP_2)
	v_ldexp_f64 v[22:23], v[22:23], v8
	v_frexp_exp_i32_f64_e32 v8, v[6:7]
	v_add_f64_e32 v[24:25], 1.0, v[22:23]
	v_add_f64_e32 v[30:31], -1.0, v[22:23]
	s_delay_alu instid0(VALU_DEP_3) | instskip(NEXT) | instid1(VALU_DEP_3)
	v_subrev_co_ci_u32_e64 v8, null, 0, v8, vcc_lo
	v_rcp_f64_e32 v[26:27], v[24:25]
	v_add_f64_e32 v[32:33], -1.0, v[24:25]
	s_delay_alu instid0(VALU_DEP_1) | instskip(NEXT) | instid1(TRANS32_DEP_1)
	v_add_f64_e64 v[22:23], v[22:23], -v[32:33]
	v_fma_f64 v[28:29], -v[24:25], v[26:27], 1.0
	s_delay_alu instid0(VALU_DEP_1) | instskip(NEXT) | instid1(VALU_DEP_1)
	v_fmac_f64_e32 v[26:27], v[28:29], v[26:27]
	v_fma_f64 v[28:29], -v[24:25], v[26:27], 1.0
	s_delay_alu instid0(VALU_DEP_1) | instskip(NEXT) | instid1(VALU_DEP_1)
	v_fmac_f64_e32 v[26:27], v[28:29], v[26:27]
	v_mul_f64_e32 v[28:29], v[30:31], v[26:27]
	s_delay_alu instid0(VALU_DEP_1) | instskip(NEXT) | instid1(VALU_DEP_1)
	v_mul_f64_e32 v[52:53], v[24:25], v[28:29]
	v_fma_f64 v[24:25], v[28:29], v[24:25], -v[52:53]
	s_delay_alu instid0(VALU_DEP_1) | instskip(NEXT) | instid1(VALU_DEP_1)
	v_fmac_f64_e32 v[24:25], v[28:29], v[22:23]
	v_add_f64_e32 v[22:23], v[52:53], v[24:25]
	s_delay_alu instid0(VALU_DEP_1) | instskip(SKIP_1) | instid1(VALU_DEP_2)
	v_add_f64_e64 v[32:33], v[30:31], -v[22:23]
	v_add_f64_e64 v[52:53], v[22:23], -v[52:53]
	;; [unrolled: 1-line block ×3, first 2 shown]
	s_delay_alu instid0(VALU_DEP_2) | instskip(NEXT) | instid1(VALU_DEP_2)
	v_add_f64_e64 v[24:25], v[52:53], -v[24:25]
	v_add_f64_e64 v[22:23], v[30:31], -v[22:23]
	v_max_num_f64_e64 v[30:31], |v[2:3]|, |v[2:3]|
	s_delay_alu instid0(VALU_DEP_2) | instskip(SKIP_1) | instid1(VALU_DEP_2)
	v_add_f64_e32 v[22:23], v[24:25], v[22:23]
	v_max_num_f64_e64 v[24:25], |v[4:5]|, |v[4:5]|
	v_add_f64_e32 v[22:23], v[32:33], v[22:23]
	s_delay_alu instid0(VALU_DEP_1) | instskip(NEXT) | instid1(VALU_DEP_3)
	v_mul_f64_e32 v[22:23], v[26:27], v[22:23]
	v_max_num_f64_e32 v[26:27], v[30:31], v[24:25]
	v_min_num_f64_e32 v[24:25], v[30:31], v[24:25]
	s_delay_alu instid0(VALU_DEP_3) | instskip(NEXT) | instid1(VALU_DEP_2)
	v_add_f64_e32 v[30:31], v[28:29], v[22:23]
	v_div_scale_f64 v[32:33], null, v[26:27], v[26:27], v[24:25]
	s_delay_alu instid0(VALU_DEP_2) | instskip(SKIP_1) | instid1(VALU_DEP_3)
	v_mul_f64_e32 v[52:53], v[30:31], v[30:31]
	v_add_f64_e64 v[28:29], v[30:31], -v[28:29]
	v_rcp_f64_e32 v[54:55], v[32:33]
	s_delay_alu instid0(VALU_DEP_2) | instskip(SKIP_1) | instid1(VALU_DEP_3)
	v_fmamk_f64 v[56:57], v[52:53], 0x3fc3ab76bf559e2b, v[40:41]
	v_mul_f64_e32 v[58:59], v[30:31], v[52:53]
	v_add_f64_e64 v[22:23], v[22:23], -v[28:29]
	s_delay_alu instid0(VALU_DEP_3) | instskip(NEXT) | instid1(TRANS32_DEP_1)
	v_fmaak_f64 v[56:57], v[52:53], v[56:57], 0x3fc7474dd7f4df2e
	v_fma_f64 v[60:61], -v[32:33], v[54:55], 1.0
	s_delay_alu instid0(VALU_DEP_2) | instskip(NEXT) | instid1(VALU_DEP_1)
	v_fmaak_f64 v[56:57], v[52:53], v[56:57], 0x3fcc71c016291751
	v_fmaak_f64 v[56:57], v[52:53], v[56:57], 0x3fd249249b27acf1
	s_delay_alu instid0(VALU_DEP_1) | instskip(SKIP_1) | instid1(VALU_DEP_2)
	v_fmaak_f64 v[56:57], v[52:53], v[56:57], 0x3fd99999998ef7b6
	v_ldexp_f64 v[22:23], v[22:23], 1
	v_fmaak_f64 v[52:53], v[52:53], v[56:57], 0x3fe5555555555780
	v_ldexp_f64 v[56:57], v[30:31], 1
	v_fmac_f64_e32 v[54:55], v[54:55], v[60:61]
	s_delay_alu instid0(VALU_DEP_3) | instskip(SKIP_2) | instid1(VALU_DEP_1)
	v_mul_f64_e32 v[52:53], v[58:59], v[52:53]
	v_cvt_f64_i32_e32 v[58:59], v8
	v_ashrrev_i32_e32 v8, 31, v3
	v_and_b32_e32 v7, 0x400921fb, v8
	v_fma_f64 v[60:61], -v[32:33], v[54:55], 1.0
	v_add_f64_e32 v[30:31], v[56:57], v[52:53]
	v_mul_f64_e32 v[62:63], 0x3fe62e42fefa39ef, v[58:59]
	s_delay_alu instid0(VALU_DEP_3) | instskip(NEXT) | instid1(VALU_DEP_3)
	v_fmac_f64_e32 v[54:55], v[54:55], v[60:61]
	v_add_f64_e64 v[28:29], v[30:31], -v[56:57]
	v_div_scale_f64 v[56:57], vcc_lo, v[24:25], v[26:27], v[24:25]
	s_delay_alu instid0(VALU_DEP_4) | instskip(NEXT) | instid1(VALU_DEP_3)
	v_fma_f64 v[60:61], v[58:59], s[34:35], -v[62:63]
	v_add_f64_e64 v[28:29], v[52:53], -v[28:29]
	s_delay_alu instid0(VALU_DEP_3) | instskip(NEXT) | instid1(VALU_DEP_3)
	v_mul_f64_e32 v[52:53], v[56:57], v[54:55]
	v_fmac_f64_e32 v[60:61], 0x3c7abc9e3b39803f, v[58:59]
	s_delay_alu instid0(VALU_DEP_3) | instskip(NEXT) | instid1(VALU_DEP_3)
	v_add_f64_e32 v[22:23], v[22:23], v[28:29]
	v_fma_f64 v[28:29], -v[32:33], v[52:53], v[56:57]
	s_delay_alu instid0(VALU_DEP_3) | instskip(NEXT) | instid1(VALU_DEP_3)
	v_add_f64_e32 v[32:33], v[62:63], v[60:61]
	v_add_f64_e32 v[56:57], v[30:31], v[22:23]
	s_delay_alu instid0(VALU_DEP_3) | instskip(SKIP_1) | instid1(VALU_DEP_4)
	v_div_fmas_f64 v[28:29], v[28:29], v[54:55], v[52:53]
	v_cmp_gt_i32_e32 vcc_lo, 0, v3
	v_add_f64_e64 v[54:55], v[32:33], -v[62:63]
	v_cndmask_b32_e32 v6, 0x3fe921fb, v69, vcc_lo
	s_delay_alu instid0(VALU_DEP_1) | instskip(SKIP_4) | instid1(VALU_DEP_4)
	v_bfi_b32 v6, 0x7fffffff, v6, v5
	v_add_f64_e32 v[52:53], v[32:33], v[56:57]
	v_div_fixup_f64 v[24:25], v[28:29], v[26:27], v[24:25]
	v_add_f64_e64 v[30:31], v[56:57], -v[30:31]
	v_add_f64_e64 v[54:55], v[60:61], -v[54:55]
	;; [unrolled: 1-line block ×3, first 2 shown]
	s_delay_alu instid0(VALU_DEP_4) | instskip(NEXT) | instid1(VALU_DEP_4)
	v_mul_f64_e32 v[28:29], v[24:25], v[24:25]
	v_add_f64_e64 v[22:23], v[22:23], -v[30:31]
	s_delay_alu instid0(VALU_DEP_3) | instskip(NEXT) | instid1(VALU_DEP_3)
	v_add_f64_e64 v[58:59], v[52:53], -v[26:27]
	v_fmamk_f64 v[62:63], v[28:29], 0x3eeba404b5e68a13, v[42:43]
	v_add_f64_e64 v[26:27], v[56:57], -v[26:27]
	s_delay_alu instid0(VALU_DEP_4) | instskip(NEXT) | instid1(VALU_DEP_3)
	v_add_f64_e32 v[56:57], v[54:55], v[22:23]
	v_fmaak_f64 v[62:63], v[28:29], v[62:63], 0x3f4b2bb069efb384
	s_delay_alu instid0(VALU_DEP_1) | instskip(SKIP_1) | instid1(VALU_DEP_2)
	v_fmaak_f64 v[62:63], v[28:29], v[62:63], 0xbf67952daf56de9b
	v_add_f64_e64 v[30:31], v[32:33], -v[58:59]
	v_fmaak_f64 v[32:33], v[28:29], v[62:63], 0x3f7d6d43a595c56f
	s_delay_alu instid0(VALU_DEP_1) | instskip(NEXT) | instid1(VALU_DEP_1)
	v_fmaak_f64 v[32:33], v[28:29], v[32:33], 0xbf8c6ea4a57d9582
	v_fmaak_f64 v[32:33], v[28:29], v[32:33], 0x3f967e295f08b19f
	s_delay_alu instid0(VALU_DEP_1) | instskip(NEXT) | instid1(VALU_DEP_1)
	v_fmaak_f64 v[32:33], v[28:29], v[32:33], 0xbf9e9ae6fc27006a
	v_fmaak_f64 v[32:33], v[28:29], v[32:33], 0x3fa2c15b5711927a
	v_add_f64_e32 v[26:27], v[26:27], v[30:31]
	s_delay_alu instid0(VALU_DEP_2) | instskip(SKIP_1) | instid1(VALU_DEP_2)
	v_fmaak_f64 v[30:31], v[28:29], v[32:33], 0xbfa59976e82d3ff0
	v_add_f64_e64 v[32:33], v[56:57], -v[54:55]
	v_fmaak_f64 v[30:31], v[28:29], v[30:31], 0x3fa82d5d6ef28734
	s_delay_alu instid0(VALU_DEP_1) | instskip(NEXT) | instid1(VALU_DEP_1)
	v_fmaak_f64 v[30:31], v[28:29], v[30:31], 0xbfaae5ce6a214619
	v_fmaak_f64 v[30:31], v[28:29], v[30:31], 0x3fae1bb48427b883
	s_delay_alu instid0(VALU_DEP_1) | instskip(SKIP_3) | instid1(VALU_DEP_4)
	v_fmaak_f64 v[30:31], v[28:29], v[30:31], 0xbfb110e48b207f05
	v_add_f64_e32 v[26:27], v[56:57], v[26:27]
	v_add_f64_e64 v[56:57], v[56:57], -v[32:33]
	v_add_f64_e64 v[22:23], v[22:23], -v[32:33]
	v_fmaak_f64 v[30:31], v[28:29], v[30:31], 0x3fb3b13657b87036
	s_delay_alu instid0(VALU_DEP_1) | instskip(NEXT) | instid1(VALU_DEP_1)
	v_fmaak_f64 v[30:31], v[28:29], v[30:31], 0xbfb745d119378e4f
	v_fmaak_f64 v[30:31], v[28:29], v[30:31], 0x3fbc71c717e1913c
	s_delay_alu instid0(VALU_DEP_1) | instskip(SKIP_1) | instid1(VALU_DEP_2)
	v_fmaak_f64 v[30:31], v[28:29], v[30:31], 0xbfc2492492376b7d
	v_add_f64_e32 v[58:59], v[52:53], v[26:27]
	v_fmaak_f64 v[30:31], v[28:29], v[30:31], 0x3fc99999999952cc
	s_delay_alu instid0(VALU_DEP_1) | instskip(NEXT) | instid1(VALU_DEP_1)
	v_fmaak_f64 v[30:31], v[28:29], v[30:31], 0xbfd5555555555523
	v_mul_f64_e32 v[28:29], v[28:29], v[30:31]
	v_add_f64_e64 v[30:31], v[54:55], -v[56:57]
	v_add_f64_e64 v[32:33], v[58:59], -v[52:53]
	s_delay_alu instid0(VALU_DEP_3) | instskip(NEXT) | instid1(VALU_DEP_3)
	v_fmac_f64_e32 v[24:25], v[24:25], v[28:29]
	v_add_f64_e32 v[22:23], v[22:23], v[30:31]
	s_delay_alu instid0(VALU_DEP_3) | instskip(NEXT) | instid1(VALU_DEP_3)
	v_add_f64_e64 v[26:27], v[26:27], -v[32:33]
	v_add_f64_e64 v[28:29], -v[24:25], s[40:41]
	s_delay_alu instid0(VALU_DEP_1) | instskip(NEXT) | instid1(VALU_DEP_2)
	v_dual_add_f64 v[22:23], v[22:23], v[26:27] :: v_dual_cndmask_b32 v25, v25, v29, s6
	v_cndmask_b32_e64 v24, v24, v28, s6
	v_and_b32_e32 v29, 0x54442d18, v8
	v_cndmask_b32_e32 v28, 0x54442d18, v68, vcc_lo
	s_delay_alu instid0(VALU_DEP_3) | instskip(SKIP_1) | instid1(VALU_DEP_2)
	v_add_f64_e64 v[26:27], -v[24:25], s[42:43]
	v_add_f64_e32 v[22:23], v[58:59], v[22:23]
	v_dual_cndmask_b32 v24, v24, v26, vcc_lo :: v_dual_cndmask_b32 v8, v25, v27, vcc_lo
	s_and_b32 vcc_lo, s10, s11
                                        ; implicit-def: $vgpr26_vgpr27
	s_delay_alu instid0(VALU_DEP_1) | instskip(NEXT) | instid1(VALU_DEP_2)
	v_cndmask_b32_e64 v24, v24, v29, s7
	v_cndmask_b32_e64 v7, v8, v7, s7
	s_delay_alu instid0(VALU_DEP_2) | instskip(NEXT) | instid1(VALU_DEP_2)
	v_dual_mul_f64 v[2:3], 0.5, v[22:23] :: v_dual_cndmask_b32 v24, v24, v28, vcc_lo
	v_cndmask_b32_e32 v25, v7, v6, vcc_lo
                                        ; implicit-def: $vgpr28_vgpr29
	s_delay_alu instid0(VALU_DEP_2) | instskip(NEXT) | instid1(VALU_DEP_3)
	v_cndmask_b32_e64 v23, 0xfff00000, v3, s8
	v_cndmask_b32_e64 v22, 0, v2, s8
.LBB173_55:                             ;   in Loop: Header=BB173_4 Depth=1
	s_and_not1_saveexec_b32 s57, s9
	s_cbranch_execz .LBB173_59
; %bb.56:                               ;   in Loop: Header=BB173_4 Depth=1
	v_and_b32_e32 v37, 0x7ffffff8, v29
	v_and_b32_e32 v23, 0x7ffffff8, v27
	v_mov_b32_e32 v22, v36
	s_mov_b32 s58, 0
	v_mov_b32_e32 v30, v36
	v_add_f64_e64 v[6:7], v[28:29], -v[36:37]
	s_delay_alu instid0(VALU_DEP_3)
	v_dual_add_f64 v[24:25], v[26:27], -v[22:23] :: v_dual_mov_b32 v28, v36
	v_add_f64_e32 v[32:33], v[36:37], v[36:37]
	v_mul_f64_e32 v[26:27], v[22:23], v[22:23]
	v_add_f64_e32 v[58:59], v[22:23], v[22:23]
	v_and_b32_e32 v29, -8, v7
	v_and_b32_e32 v31, -8, v25
	s_delay_alu instid0(VALU_DEP_2) | instskip(SKIP_1) | instid1(VALU_DEP_3)
	v_add_f64_e64 v[60:61], v[6:7], -v[28:29]
	v_add_f64_e32 v[64:65], v[28:29], v[28:29]
	v_add_f64_e64 v[62:63], v[24:25], -v[30:31]
	v_add_f64_e32 v[66:67], v[30:31], v[30:31]
	v_mul_f64_e32 v[6:7], v[36:37], v[36:37]
	v_mul_f64_e32 v[56:57], v[32:33], v[28:29]
	;; [unrolled: 1-line block ×11, first 2 shown]
.LBB173_57:                             ;   Parent Loop BB173_4 Depth=1
                                        ; =>  This Inner Loop Header: Depth=2
	v_cmp_nlt_f64_e32 vcc_lo, v[6:7], v[26:27]
	v_dual_cndmask_b32 v63, v7, v27 :: v_dual_cndmask_b32 v62, v6, v26
	v_dual_cndmask_b32 v7, v27, v7 :: v_dual_cndmask_b32 v6, v26, v6
	s_delay_alu instid0(VALU_DEP_2) | instskip(NEXT) | instid1(VALU_DEP_1)
	v_cmp_nlt_f64_e64 s7, v[62:63], v[56:57]
	v_dual_cndmask_b32 v65, v63, v57, s7 :: v_dual_cndmask_b32 v64, v62, v56, s7
	v_dual_cndmask_b32 v27, v57, v63, s7 :: v_dual_cndmask_b32 v26, v56, v62, s7
	s_and_b32 s7, vcc_lo, s7
	s_delay_alu instid0(VALU_DEP_2) | instskip(NEXT) | instid1(VALU_DEP_1)
	v_cmp_nlt_f64_e64 s8, v[64:65], v[24:25]
	v_dual_cndmask_b32 v67, v65, v25, s8 :: v_dual_cndmask_b32 v66, v64, v24, s8
	v_dual_cndmask_b32 v57, v25, v65, s8 :: v_dual_cndmask_b32 v56, v24, v64, s8
	s_delay_alu instid0(VALU_DEP_2) | instskip(NEXT) | instid1(VALU_DEP_1)
	v_cmp_nlt_f64_e64 s9, v[66:67], v[54:55]
	v_dual_cndmask_b32 v71, v67, v55, s9 :: v_dual_cndmask_b32 v70, v66, v54, s9
	v_dual_cndmask_b32 v25, v55, v67, s9 :: v_dual_cndmask_b32 v24, v54, v66, s9
	s_and_b32 s8, s8, s9
	s_delay_alu instid0(VALU_DEP_2) | instskip(NEXT) | instid1(VALU_DEP_1)
	v_cmp_nlt_f64_e64 s10, v[70:71], v[22:23]
	v_dual_cndmask_b32 v73, v71, v23, s10 :: v_dual_cndmask_b32 v72, v70, v22, s10
	v_dual_cndmask_b32 v55, v23, v71, s10 :: v_dual_cndmask_b32 v54, v22, v70, s10
	s_delay_alu instid0(VALU_DEP_2) | instskip(NEXT) | instid1(VALU_DEP_1)
	v_cmp_nlt_f64_e64 s11, v[72:73], v[52:53]
	v_dual_cndmask_b32 v75, v73, v53, s11 :: v_dual_cndmask_b32 v74, v72, v52, s11
	s_and_b32 s9, s10, s11
	v_dual_cndmask_b32 v23, v53, v73, s11 :: v_dual_cndmask_b32 v22, v52, v72, s11
	s_delay_alu instid0(VALU_DEP_2) | instskip(NEXT) | instid1(VALU_DEP_1)
	v_cmp_nlt_f64_e64 s12, v[74:75], v[32:33]
	v_dual_cndmask_b32 v77, v75, v33, s12 :: v_dual_cndmask_b32 v76, v74, v32, s12
	s_and_b32 s9, s9, s12
	;; [unrolled: 5-line block ×6, first 2 shown]
	v_dual_cndmask_b32 v59, v61, v83, s16 :: v_dual_cndmask_b32 v58, v60, v82, s16
	s_and_b32 s8, s9, s8
	s_delay_alu instid0(VALU_DEP_2) | instskip(SKIP_1) | instid1(SALU_CYCLE_1)
	v_mov_b64_e32 v[60:61], v[62:63]
	s_and_b32 s7, s8, s7
	s_and_b32 s7, exec_lo, s7
	s_delay_alu instid0(SALU_CYCLE_1) | instskip(NEXT) | instid1(SALU_CYCLE_1)
	s_or_b32 s58, s7, s58
	s_and_not1_b32 exec_lo, exec_lo, s58
	s_cbranch_execnz .LBB173_57
; %bb.58:                               ;   in Loop: Header=BB173_4 Depth=1
	s_or_b32 exec_lo, exec_lo, s58
	v_add_f64_e32 v[6:7], -1.0, v[6:7]
	v_cmp_eq_f64_e64 s7, 0, v[4:5]
	v_cmp_class_f64_e64 s11, v[2:3], 0x204
	v_cmp_class_f64_e64 s10, v[4:5], 0x204
	s_delay_alu instid0(VALU_DEP_4) | instskip(NEXT) | instid1(VALU_DEP_1)
	v_add_f64_e32 v[6:7], v[6:7], v[26:27]
	v_add_f64_e32 v[6:7], v[6:7], v[56:57]
	s_delay_alu instid0(VALU_DEP_1) | instskip(NEXT) | instid1(VALU_DEP_1)
	v_add_f64_e32 v[6:7], v[6:7], v[24:25]
	v_add_f64_e32 v[6:7], v[6:7], v[54:55]
	s_delay_alu instid0(VALU_DEP_1) | instskip(NEXT) | instid1(VALU_DEP_1)
	;; [unrolled: 3-line block ×5, first 2 shown]
	v_add_f64_e32 v[6:7], v[62:63], v[6:7]
	v_add_f64_e32 v[22:23], 1.0, v[6:7]
	v_cmp_nge_f64_e64 s8, -1.0, v[6:7]
	v_cmp_neq_f64_e64 s9, 0x7ff00000, v[6:7]
	s_delay_alu instid0(VALU_DEP_3) | instskip(SKIP_2) | instid1(VALU_DEP_3)
	v_frexp_mant_f64_e32 v[24:25], v[22:23]
	v_frexp_exp_i32_f64_e32 v8, v[22:23]
	v_add_f64_e32 v[26:27], -1.0, v[22:23]
	v_cmp_gt_f64_e32 vcc_lo, s[30:31], v[24:25]
	s_delay_alu instid0(VALU_DEP_2) | instskip(SKIP_2) | instid1(VALU_DEP_3)
	v_add_f64_e64 v[24:25], v[26:27], -v[22:23]
	v_add_f64_e64 v[26:27], v[6:7], -v[26:27]
	v_subrev_co_ci_u32_e64 v8, null, 0, v8, vcc_lo
	v_add_f64_e32 v[24:25], 1.0, v[24:25]
	s_delay_alu instid0(VALU_DEP_2) | instskip(NEXT) | instid1(VALU_DEP_1)
	v_sub_nc_u32_e32 v30, 0, v8
	v_ldexp_f64 v[22:23], v[22:23], v30
	s_delay_alu instid0(VALU_DEP_3) | instskip(NEXT) | instid1(VALU_DEP_2)
	v_add_f64_e32 v[24:25], v[26:27], v[24:25]
	v_add_f64_e32 v[28:29], 1.0, v[22:23]
	v_add_f64_e32 v[52:53], -1.0, v[22:23]
	s_delay_alu instid0(VALU_DEP_3) | instskip(NEXT) | instid1(VALU_DEP_3)
	v_ldexp_f64 v[24:25], v[24:25], v30
	v_add_f64_e32 v[26:27], -1.0, v[28:29]
	s_delay_alu instid0(VALU_DEP_3) | instskip(NEXT) | instid1(VALU_DEP_2)
	v_add_f64_e32 v[54:55], 1.0, v[52:53]
	v_add_f64_e64 v[26:27], v[22:23], -v[26:27]
	s_delay_alu instid0(VALU_DEP_2) | instskip(NEXT) | instid1(VALU_DEP_2)
	v_add_f64_e64 v[22:23], v[22:23], -v[54:55]
	v_add_f64_e32 v[26:27], v[24:25], v[26:27]
	s_delay_alu instid0(VALU_DEP_2) | instskip(NEXT) | instid1(VALU_DEP_2)
	v_add_f64_e32 v[22:23], v[24:25], v[22:23]
	v_add_f64_e32 v[30:31], v[28:29], v[26:27]
	s_delay_alu instid0(VALU_DEP_2) | instskip(NEXT) | instid1(VALU_DEP_2)
	v_add_f64_e32 v[54:55], v[52:53], v[22:23]
	v_rcp_f64_e32 v[32:33], v[30:31]
	v_add_f64_e64 v[28:29], v[30:31], -v[28:29]
	s_delay_alu instid0(VALU_DEP_2) | instskip(NEXT) | instid1(VALU_DEP_2)
	v_add_f64_e64 v[52:53], v[54:55], -v[52:53]
	v_add_f64_e64 v[26:27], v[26:27], -v[28:29]
	s_delay_alu instid0(VALU_DEP_2) | instskip(NEXT) | instid1(TRANS32_DEP_1)
	v_add_f64_e64 v[22:23], v[22:23], -v[52:53]
	v_fma_f64 v[56:57], -v[30:31], v[32:33], 1.0
	s_delay_alu instid0(VALU_DEP_1) | instskip(NEXT) | instid1(VALU_DEP_1)
	v_fmac_f64_e32 v[32:33], v[56:57], v[32:33]
	v_fma_f64 v[24:25], -v[30:31], v[32:33], 1.0
	s_delay_alu instid0(VALU_DEP_1) | instskip(NEXT) | instid1(VALU_DEP_1)
	v_fmac_f64_e32 v[32:33], v[24:25], v[32:33]
	v_mul_f64_e32 v[24:25], v[54:55], v[32:33]
	s_delay_alu instid0(VALU_DEP_1) | instskip(NEXT) | instid1(VALU_DEP_1)
	v_mul_f64_e32 v[56:57], v[30:31], v[24:25]
	v_fma_f64 v[28:29], v[24:25], v[30:31], -v[56:57]
	s_delay_alu instid0(VALU_DEP_1) | instskip(NEXT) | instid1(VALU_DEP_1)
	v_fmac_f64_e32 v[28:29], v[24:25], v[26:27]
	v_add_f64_e32 v[58:59], v[56:57], v[28:29]
	s_delay_alu instid0(VALU_DEP_1) | instskip(SKIP_1) | instid1(VALU_DEP_2)
	v_add_f64_e64 v[60:61], v[54:55], -v[58:59]
	v_add_f64_e64 v[52:53], v[58:59], -v[56:57]
	v_add_f64_e64 v[54:55], v[54:55], -v[60:61]
	s_delay_alu instid0(VALU_DEP_2) | instskip(NEXT) | instid1(VALU_DEP_2)
	v_add_f64_e64 v[28:29], v[52:53], -v[28:29]
	v_add_f64_e64 v[54:55], v[54:55], -v[58:59]
	s_delay_alu instid0(VALU_DEP_1) | instskip(NEXT) | instid1(VALU_DEP_1)
	v_add_f64_e32 v[22:23], v[22:23], v[54:55]
	v_add_f64_e32 v[22:23], v[28:29], v[22:23]
	s_delay_alu instid0(VALU_DEP_1) | instskip(NEXT) | instid1(VALU_DEP_1)
	v_add_f64_e32 v[28:29], v[60:61], v[22:23]
	v_mul_f64_e32 v[52:53], v[32:33], v[28:29]
	v_add_f64_e64 v[58:59], v[60:61], -v[28:29]
	s_delay_alu instid0(VALU_DEP_2) | instskip(NEXT) | instid1(VALU_DEP_2)
	v_mul_f64_e32 v[54:55], v[30:31], v[52:53]
	v_add_f64_e32 v[22:23], v[22:23], v[58:59]
	s_delay_alu instid0(VALU_DEP_2) | instskip(NEXT) | instid1(VALU_DEP_1)
	v_fma_f64 v[30:31], v[52:53], v[30:31], -v[54:55]
	v_fmac_f64_e32 v[30:31], v[52:53], v[26:27]
	s_delay_alu instid0(VALU_DEP_1) | instskip(NEXT) | instid1(VALU_DEP_1)
	v_add_f64_e32 v[26:27], v[54:55], v[30:31]
	v_add_f64_e64 v[56:57], v[28:29], -v[26:27]
	v_add_f64_e64 v[54:55], v[26:27], -v[54:55]
	s_delay_alu instid0(VALU_DEP_2) | instskip(NEXT) | instid1(VALU_DEP_1)
	v_add_f64_e64 v[28:29], v[28:29], -v[56:57]
	v_add_f64_e64 v[26:27], v[28:29], -v[26:27]
	s_delay_alu instid0(VALU_DEP_3) | instskip(SKIP_1) | instid1(VALU_DEP_3)
	v_add_f64_e64 v[28:29], v[54:55], -v[30:31]
	v_max_num_f64_e64 v[30:31], |v[2:3]|, |v[2:3]|
	v_add_f64_e32 v[22:23], v[22:23], v[26:27]
	v_add_f64_e32 v[26:27], v[24:25], v[52:53]
	s_delay_alu instid0(VALU_DEP_2) | instskip(NEXT) | instid1(VALU_DEP_2)
	v_add_f64_e32 v[22:23], v[28:29], v[22:23]
	v_add_f64_e64 v[24:25], v[26:27], -v[24:25]
	v_max_num_f64_e64 v[28:29], |v[4:5]|, |v[4:5]|
	s_delay_alu instid0(VALU_DEP_3) | instskip(NEXT) | instid1(VALU_DEP_3)
	v_add_f64_e32 v[22:23], v[56:57], v[22:23]
	v_add_f64_e64 v[24:25], v[52:53], -v[24:25]
	s_delay_alu instid0(VALU_DEP_2) | instskip(NEXT) | instid1(VALU_DEP_1)
	v_mul_f64_e32 v[22:23], v[32:33], v[22:23]
	v_add_f64_e32 v[22:23], v[24:25], v[22:23]
	v_max_num_f64_e32 v[24:25], v[30:31], v[28:29]
	v_min_num_f64_e32 v[28:29], v[30:31], v[28:29]
	s_delay_alu instid0(VALU_DEP_3) | instskip(NEXT) | instid1(VALU_DEP_2)
	v_add_f64_e32 v[30:31], v[26:27], v[22:23]
	v_div_scale_f64 v[32:33], null, v[24:25], v[24:25], v[28:29]
	s_delay_alu instid0(VALU_DEP_2) | instskip(SKIP_1) | instid1(VALU_DEP_3)
	v_mul_f64_e32 v[52:53], v[30:31], v[30:31]
	v_add_f64_e64 v[26:27], v[30:31], -v[26:27]
	v_rcp_f64_e32 v[54:55], v[32:33]
	s_delay_alu instid0(VALU_DEP_2) | instskip(SKIP_1) | instid1(VALU_DEP_3)
	v_fmamk_f64 v[56:57], v[52:53], 0x3fc3ab76bf559e2b, v[40:41]
	v_mul_f64_e32 v[58:59], v[30:31], v[52:53]
	v_add_f64_e64 v[22:23], v[22:23], -v[26:27]
	s_delay_alu instid0(VALU_DEP_3) | instskip(NEXT) | instid1(TRANS32_DEP_1)
	v_fmaak_f64 v[56:57], v[52:53], v[56:57], 0x3fc7474dd7f4df2e
	v_fma_f64 v[60:61], -v[32:33], v[54:55], 1.0
	s_delay_alu instid0(VALU_DEP_2) | instskip(NEXT) | instid1(VALU_DEP_1)
	v_fmaak_f64 v[56:57], v[52:53], v[56:57], 0x3fcc71c016291751
	v_fmaak_f64 v[56:57], v[52:53], v[56:57], 0x3fd249249b27acf1
	s_delay_alu instid0(VALU_DEP_1) | instskip(SKIP_1) | instid1(VALU_DEP_2)
	v_fmaak_f64 v[56:57], v[52:53], v[56:57], 0x3fd99999998ef7b6
	v_ldexp_f64 v[22:23], v[22:23], 1
	v_fmaak_f64 v[52:53], v[52:53], v[56:57], 0x3fe5555555555780
	v_ldexp_f64 v[56:57], v[30:31], 1
	v_fmac_f64_e32 v[54:55], v[54:55], v[60:61]
	s_delay_alu instid0(VALU_DEP_3) | instskip(SKIP_2) | instid1(VALU_DEP_4)
	v_mul_f64_e32 v[52:53], v[58:59], v[52:53]
	v_cvt_f64_i32_e32 v[58:59], v8
	v_ashrrev_i32_e32 v8, 31, v3
	v_fma_f64 v[60:61], -v[32:33], v[54:55], 1.0
	s_delay_alu instid0(VALU_DEP_4) | instskip(NEXT) | instid1(VALU_DEP_4)
	v_add_f64_e32 v[30:31], v[56:57], v[52:53]
	v_mul_f64_e32 v[62:63], 0x3fe62e42fefa39ef, v[58:59]
	s_delay_alu instid0(VALU_DEP_3) | instskip(NEXT) | instid1(VALU_DEP_3)
	v_fmac_f64_e32 v[54:55], v[54:55], v[60:61]
	v_add_f64_e64 v[26:27], v[30:31], -v[56:57]
	v_div_scale_f64 v[56:57], vcc_lo, v[28:29], v[24:25], v[28:29]
	s_delay_alu instid0(VALU_DEP_4) | instskip(NEXT) | instid1(VALU_DEP_3)
	v_fma_f64 v[60:61], v[58:59], s[34:35], -v[62:63]
	v_add_f64_e64 v[26:27], v[52:53], -v[26:27]
	s_delay_alu instid0(VALU_DEP_3) | instskip(NEXT) | instid1(VALU_DEP_3)
	v_mul_f64_e32 v[52:53], v[56:57], v[54:55]
	v_fmac_f64_e32 v[60:61], 0x3c7abc9e3b39803f, v[58:59]
	s_delay_alu instid0(VALU_DEP_3) | instskip(NEXT) | instid1(VALU_DEP_3)
	v_add_f64_e32 v[22:23], v[22:23], v[26:27]
	v_fma_f64 v[26:27], -v[32:33], v[52:53], v[56:57]
	s_delay_alu instid0(VALU_DEP_3) | instskip(NEXT) | instid1(VALU_DEP_3)
	v_add_f64_e32 v[32:33], v[62:63], v[60:61]
	v_add_f64_e32 v[56:57], v[30:31], v[22:23]
	s_delay_alu instid0(VALU_DEP_3) | instskip(SKIP_1) | instid1(VALU_DEP_4)
	v_div_fmas_f64 v[26:27], v[26:27], v[54:55], v[52:53]
	v_cmp_gt_i32_e32 vcc_lo, 0, v3
	v_add_f64_e64 v[54:55], v[32:33], -v[62:63]
	v_and_b32_e32 v3, 0x400921fb, v8
	v_cndmask_b32_e32 v2, 0x3fe921fb, v69, vcc_lo
	s_delay_alu instid0(VALU_DEP_1) | instskip(SKIP_4) | instid1(VALU_DEP_4)
	v_bfi_b32 v2, 0x7fffffff, v2, v5
	v_add_f64_e32 v[52:53], v[32:33], v[56:57]
	v_div_fixup_f64 v[24:25], v[26:27], v[24:25], v[28:29]
	v_add_f64_e64 v[30:31], v[56:57], -v[30:31]
	v_add_f64_e64 v[54:55], v[60:61], -v[54:55]
	v_add_f64_e64 v[26:27], v[52:53], -v[32:33]
	s_delay_alu instid0(VALU_DEP_4) | instskip(NEXT) | instid1(VALU_DEP_4)
	v_mul_f64_e32 v[28:29], v[24:25], v[24:25]
	v_add_f64_e64 v[22:23], v[22:23], -v[30:31]
	s_delay_alu instid0(VALU_DEP_3) | instskip(NEXT) | instid1(VALU_DEP_3)
	v_add_f64_e64 v[58:59], v[52:53], -v[26:27]
	v_fmamk_f64 v[62:63], v[28:29], 0x3eeba404b5e68a13, v[42:43]
	v_add_f64_e64 v[26:27], v[56:57], -v[26:27]
	s_delay_alu instid0(VALU_DEP_4) | instskip(NEXT) | instid1(VALU_DEP_3)
	v_add_f64_e32 v[56:57], v[54:55], v[22:23]
	v_fmaak_f64 v[62:63], v[28:29], v[62:63], 0x3f4b2bb069efb384
	v_add_f64_e64 v[30:31], v[32:33], -v[58:59]
	s_delay_alu instid0(VALU_DEP_2) | instskip(NEXT) | instid1(VALU_DEP_1)
	v_fmaak_f64 v[32:33], v[28:29], v[62:63], 0xbf67952daf56de9b
	v_fmaak_f64 v[32:33], v[28:29], v[32:33], 0x3f7d6d43a595c56f
	s_delay_alu instid0(VALU_DEP_1) | instskip(NEXT) | instid1(VALU_DEP_1)
	v_fmaak_f64 v[32:33], v[28:29], v[32:33], 0xbf8c6ea4a57d9582
	v_fmaak_f64 v[32:33], v[28:29], v[32:33], 0x3f967e295f08b19f
	s_delay_alu instid0(VALU_DEP_1) | instskip(SKIP_1) | instid1(VALU_DEP_2)
	v_fmaak_f64 v[32:33], v[28:29], v[32:33], 0xbf9e9ae6fc27006a
	v_add_f64_e32 v[26:27], v[26:27], v[30:31]
	v_fmaak_f64 v[30:31], v[28:29], v[32:33], 0x3fa2c15b5711927a
	v_add_f64_e64 v[32:33], v[56:57], -v[54:55]
	s_delay_alu instid0(VALU_DEP_2) | instskip(NEXT) | instid1(VALU_DEP_1)
	v_fmaak_f64 v[30:31], v[28:29], v[30:31], 0xbfa59976e82d3ff0
	v_fmaak_f64 v[30:31], v[28:29], v[30:31], 0x3fa82d5d6ef28734
	s_delay_alu instid0(VALU_DEP_1) | instskip(NEXT) | instid1(VALU_DEP_1)
	v_fmaak_f64 v[30:31], v[28:29], v[30:31], 0xbfaae5ce6a214619
	v_fmaak_f64 v[30:31], v[28:29], v[30:31], 0x3fae1bb48427b883
	v_add_f64_e32 v[26:27], v[56:57], v[26:27]
	v_add_f64_e64 v[56:57], v[56:57], -v[32:33]
	v_add_f64_e64 v[22:23], v[22:23], -v[32:33]
	s_delay_alu instid0(VALU_DEP_4) | instskip(NEXT) | instid1(VALU_DEP_1)
	v_fmaak_f64 v[30:31], v[28:29], v[30:31], 0xbfb110e48b207f05
	v_fmaak_f64 v[30:31], v[28:29], v[30:31], 0x3fb3b13657b87036
	s_delay_alu instid0(VALU_DEP_1) | instskip(NEXT) | instid1(VALU_DEP_1)
	v_fmaak_f64 v[30:31], v[28:29], v[30:31], 0xbfb745d119378e4f
	v_fmaak_f64 v[30:31], v[28:29], v[30:31], 0x3fbc71c717e1913c
	v_add_f64_e32 v[58:59], v[52:53], v[26:27]
	s_delay_alu instid0(VALU_DEP_2) | instskip(NEXT) | instid1(VALU_DEP_1)
	v_fmaak_f64 v[30:31], v[28:29], v[30:31], 0xbfc2492492376b7d
	v_fmaak_f64 v[30:31], v[28:29], v[30:31], 0x3fc99999999952cc
	s_delay_alu instid0(VALU_DEP_1) | instskip(NEXT) | instid1(VALU_DEP_1)
	v_fmaak_f64 v[30:31], v[28:29], v[30:31], 0xbfd5555555555523
	v_mul_f64_e32 v[28:29], v[28:29], v[30:31]
	v_add_f64_e64 v[30:31], v[54:55], -v[56:57]
	v_add_f64_e64 v[32:33], v[58:59], -v[52:53]
	s_delay_alu instid0(VALU_DEP_3) | instskip(NEXT) | instid1(VALU_DEP_3)
	v_fmac_f64_e32 v[24:25], v[24:25], v[28:29]
	v_add_f64_e32 v[22:23], v[22:23], v[30:31]
	s_delay_alu instid0(VALU_DEP_3) | instskip(NEXT) | instid1(VALU_DEP_3)
	v_add_f64_e64 v[26:27], v[26:27], -v[32:33]
	v_add_f64_e64 v[28:29], -v[24:25], s[40:41]
	s_delay_alu instid0(VALU_DEP_1) | instskip(NEXT) | instid1(VALU_DEP_2)
	v_dual_add_f64 v[22:23], v[22:23], v[26:27] :: v_dual_cndmask_b32 v25, v25, v29, s6
	v_cndmask_b32_e64 v24, v24, v28, s6
	v_and_b32_e32 v29, 0x54442d18, v8
	v_cndmask_b32_e32 v28, 0x54442d18, v68, vcc_lo
	s_delay_alu instid0(VALU_DEP_3) | instskip(SKIP_1) | instid1(VALU_DEP_2)
	v_add_f64_e64 v[26:27], -v[24:25], s[42:43]
	v_add_f64_e32 v[22:23], v[58:59], v[22:23]
	v_dual_cndmask_b32 v24, v24, v26, vcc_lo :: v_dual_cndmask_b32 v8, v25, v27, vcc_lo
	v_cmp_ngt_f64_e32 vcc_lo, -1.0, v[6:7]
	s_delay_alu instid0(VALU_DEP_2) | instskip(NEXT) | instid1(VALU_DEP_3)
	v_dual_mul_f64 v[22:23], 0.5, v[22:23] :: v_dual_cndmask_b32 v24, v24, v29, s7
	v_cndmask_b32_e64 v3, v8, v3, s7
	s_and_b32 s7, s8, s9
	s_delay_alu instid0(VALU_DEP_2) | instid1(SALU_CYCLE_1)
	v_cndmask_b32_e64 v22, 0, v22, s7
	v_cmp_neq_f64_e64 s7, -1.0, v[6:7]
	s_delay_alu instid0(VALU_DEP_4) | instskip(NEXT) | instid1(VALU_DEP_1)
	v_cndmask_b32_e64 v23, 0x7ff00000, v23, s9
	v_cndmask_b32_e32 v8, 0x7ff80000, v23, vcc_lo
	s_and_b32 vcc_lo, s10, s11
	v_dual_cndmask_b32 v25, v3, v2 :: v_dual_cndmask_b32 v24, v24, v28
	s_delay_alu instid0(VALU_DEP_2)
	v_cndmask_b32_e64 v23, 0xfff00000, v8, s7
.LBB173_59:                             ;   in Loop: Header=BB173_4 Depth=1
	s_or_b32 exec_lo, exec_lo, s57
.LBB173_60:                             ;   in Loop: Header=BB173_4 Depth=1
	s_delay_alu instid0(SALU_CYCLE_1)
	s_or_b32 exec_lo, exec_lo, s56
.LBB173_61:                             ;   in Loop: Header=BB173_4 Depth=1
	s_and_not1_saveexec_b32 s9, s55
	s_cbranch_execz .LBB173_63
; %bb.62:                               ;   in Loop: Header=BB173_4 Depth=1
	v_max_num_f64_e64 v[6:7], |v[4:5]|, |v[4:5]|
	v_max_num_f64_e64 v[22:23], |v[2:3]|, |v[2:3]|
	v_cmp_class_f64_e64 s10, v[2:3], 0x204
	v_cmp_class_f64_e64 s11, v[4:5], 0x204
	v_cmp_eq_f64_e64 s8, 0, v[4:5]
	s_delay_alu instid0(VALU_DEP_4) | instskip(SKIP_2) | instid1(VALU_DEP_2)
	v_max_num_f64_e32 v[24:25], v[22:23], v[6:7]
	v_min_num_f64_e32 v[6:7], v[22:23], v[6:7]
	s_or_b32 s7, s11, s10
	v_frexp_exp_i32_f64_e32 v8, v[24:25]
	s_delay_alu instid0(VALU_DEP_1) | instskip(NEXT) | instid1(VALU_DEP_1)
	v_sub_nc_u32_e32 v28, 0, v8
	v_ldexp_f64 v[26:27], |v[4:5]|, v28
	v_ldexp_f64 v[28:29], |v[2:3]|, v28
	s_delay_alu instid0(VALU_DEP_2) | instskip(NEXT) | instid1(VALU_DEP_1)
	v_mul_f64_e32 v[26:27], v[26:27], v[26:27]
	v_fmac_f64_e32 v[26:27], v[28:29], v[28:29]
	s_delay_alu instid0(VALU_DEP_1) | instskip(SKIP_1) | instid1(TRANS32_DEP_1)
	v_rsq_f64_e32 v[28:29], v[26:27]
	v_cmp_eq_f64_e32 vcc_lo, 0, v[26:27]
	v_mul_f64_e32 v[30:31], v[26:27], v[28:29]
	v_mul_f64_e32 v[28:29], 0.5, v[28:29]
	s_delay_alu instid0(VALU_DEP_1) | instskip(NEXT) | instid1(VALU_DEP_1)
	v_fma_f64 v[32:33], -v[28:29], v[30:31], 0.5
	v_fmac_f64_e32 v[30:31], v[30:31], v[32:33]
	v_fmac_f64_e32 v[28:29], v[28:29], v[32:33]
	s_delay_alu instid0(VALU_DEP_2) | instskip(NEXT) | instid1(VALU_DEP_1)
	v_fma_f64 v[32:33], -v[30:31], v[30:31], v[26:27]
	v_fmac_f64_e32 v[30:31], v[32:33], v[28:29]
	s_delay_alu instid0(VALU_DEP_1) | instskip(NEXT) | instid1(VALU_DEP_1)
	v_dual_cndmask_b32 v27, v31, v27 :: v_dual_cndmask_b32 v26, v30, v26
	v_ldexp_f64 v[26:27], v[26:27], v8
	v_ashrrev_i32_e32 v8, 31, v3
	s_delay_alu instid0(VALU_DEP_2) | instskip(NEXT) | instid1(VALU_DEP_3)
	v_cndmask_b32_e64 v27, v27, 0x7ff00000, s7
	v_cndmask_b32_e64 v26, v26, 0, s7
	s_delay_alu instid0(VALU_DEP_1) | instskip(SKIP_1) | instid1(VALU_DEP_2)
	v_frexp_mant_f64_e32 v[28:29], v[26:27]
	v_cmp_class_f64_e64 s7, v[26:27], 0x204
	v_cmp_gt_f64_e32 vcc_lo, s[30:31], v[28:29]
	v_cndmask_b32_e64 v2, 0, 1, vcc_lo
	s_delay_alu instid0(VALU_DEP_1) | instskip(SKIP_1) | instid1(VALU_DEP_2)
	v_ldexp_f64 v[28:29], v[28:29], v2
	v_frexp_exp_i32_f64_e32 v2, v[26:27]
	v_add_f64_e32 v[30:31], 1.0, v[28:29]
	v_add_f64_e32 v[54:55], -1.0, v[28:29]
	s_delay_alu instid0(VALU_DEP_3) | instskip(SKIP_1) | instid1(VALU_DEP_4)
	v_subrev_co_ci_u32_e64 v2, null, 0, v2, vcc_lo
	v_div_scale_f64 v[62:63], vcc_lo, v[6:7], v[24:25], v[6:7]
	v_rcp_f64_e32 v[32:33], v[30:31]
	v_add_f64_e32 v[56:57], -1.0, v[30:31]
	s_delay_alu instid0(VALU_DEP_1) | instskip(NEXT) | instid1(TRANS32_DEP_1)
	v_add_f64_e64 v[28:29], v[28:29], -v[56:57]
	v_fma_f64 v[52:53], -v[30:31], v[32:33], 1.0
	s_delay_alu instid0(VALU_DEP_1) | instskip(NEXT) | instid1(VALU_DEP_1)
	v_fmac_f64_e32 v[32:33], v[52:53], v[32:33]
	v_fma_f64 v[52:53], -v[30:31], v[32:33], 1.0
	s_delay_alu instid0(VALU_DEP_1) | instskip(NEXT) | instid1(VALU_DEP_1)
	v_fmac_f64_e32 v[32:33], v[52:53], v[32:33]
	v_mul_f64_e32 v[52:53], v[54:55], v[32:33]
	s_delay_alu instid0(VALU_DEP_1) | instskip(NEXT) | instid1(VALU_DEP_1)
	v_mul_f64_e32 v[58:59], v[30:31], v[52:53]
	v_fma_f64 v[30:31], v[52:53], v[30:31], -v[58:59]
	s_delay_alu instid0(VALU_DEP_1) | instskip(NEXT) | instid1(VALU_DEP_1)
	v_fmac_f64_e32 v[30:31], v[52:53], v[28:29]
	v_add_f64_e32 v[28:29], v[58:59], v[30:31]
	s_delay_alu instid0(VALU_DEP_1) | instskip(SKIP_1) | instid1(VALU_DEP_2)
	v_add_f64_e64 v[56:57], v[54:55], -v[28:29]
	v_add_f64_e64 v[58:59], v[28:29], -v[58:59]
	;; [unrolled: 1-line block ×3, first 2 shown]
	s_delay_alu instid0(VALU_DEP_2) | instskip(NEXT) | instid1(VALU_DEP_2)
	v_add_f64_e64 v[30:31], v[58:59], -v[30:31]
	v_add_f64_e64 v[28:29], v[54:55], -v[28:29]
	s_delay_alu instid0(VALU_DEP_1) | instskip(NEXT) | instid1(VALU_DEP_1)
	v_add_f64_e32 v[28:29], v[30:31], v[28:29]
	v_add_f64_e32 v[28:29], v[56:57], v[28:29]
	s_delay_alu instid0(VALU_DEP_1) | instskip(SKIP_1) | instid1(VALU_DEP_2)
	v_mul_f64_e32 v[22:23], v[32:33], v[28:29]
	v_div_scale_f64 v[28:29], null, v[24:25], v[24:25], v[6:7]
	v_add_f64_e32 v[30:31], v[52:53], v[22:23]
	s_delay_alu instid0(VALU_DEP_2) | instskip(NEXT) | instid1(VALU_DEP_1)
	v_rcp_f64_e32 v[32:33], v[28:29]
	v_mul_f64_e32 v[54:55], v[30:31], v[30:31]
	s_delay_alu instid0(TRANS32_DEP_1) | instskip(NEXT) | instid1(VALU_DEP_2)
	v_fma_f64 v[58:59], -v[28:29], v[32:33], 1.0
	v_fmamk_f64 v[56:57], v[54:55], 0x3fc3ab76bf559e2b, v[40:41]
	v_mul_f64_e32 v[60:61], v[30:31], v[54:55]
	s_delay_alu instid0(VALU_DEP_3) | instskip(NEXT) | instid1(VALU_DEP_3)
	v_fmac_f64_e32 v[32:33], v[32:33], v[58:59]
	v_fmaak_f64 v[56:57], v[54:55], v[56:57], 0x3fc7474dd7f4df2e
	s_delay_alu instid0(VALU_DEP_1) | instskip(NEXT) | instid1(VALU_DEP_1)
	v_fmaak_f64 v[56:57], v[54:55], v[56:57], 0x3fcc71c016291751
	v_fmaak_f64 v[56:57], v[54:55], v[56:57], 0x3fd249249b27acf1
	s_delay_alu instid0(VALU_DEP_1) | instskip(NEXT) | instid1(VALU_DEP_1)
	v_fmaak_f64 v[56:57], v[54:55], v[56:57], 0x3fd99999998ef7b6
	v_fmaak_f64 v[54:55], v[54:55], v[56:57], 0x3fe5555555555780
	v_ldexp_f64 v[56:57], v[30:31], 1
	v_add_f64_e64 v[30:31], v[30:31], -v[52:53]
	v_fma_f64 v[58:59], -v[28:29], v[32:33], 1.0
	s_delay_alu instid0(VALU_DEP_4) | instskip(SKIP_1) | instid1(VALU_DEP_4)
	v_mul_f64_e32 v[54:55], v[60:61], v[54:55]
	v_cvt_f64_i32_e32 v[60:61], v2
	v_add_f64_e64 v[22:23], v[22:23], -v[30:31]
	s_delay_alu instid0(VALU_DEP_4) | instskip(NEXT) | instid1(VALU_DEP_4)
	v_fmac_f64_e32 v[32:33], v[32:33], v[58:59]
	v_add_f64_e32 v[52:53], v[56:57], v[54:55]
	s_delay_alu instid0(VALU_DEP_4) | instskip(NEXT) | instid1(VALU_DEP_4)
	v_mul_f64_e32 v[58:59], 0x3fe62e42fefa39ef, v[60:61]
	v_ldexp_f64 v[22:23], v[22:23], 1
	s_delay_alu instid0(VALU_DEP_3) | instskip(SKIP_1) | instid1(VALU_DEP_4)
	v_add_f64_e64 v[30:31], v[52:53], -v[56:57]
	v_mul_f64_e32 v[56:57], v[62:63], v[32:33]
	v_fma_f64 v[64:65], v[60:61], s[34:35], -v[58:59]
	s_delay_alu instid0(VALU_DEP_3) | instskip(NEXT) | instid1(VALU_DEP_3)
	v_add_f64_e64 v[30:31], v[54:55], -v[30:31]
	v_fma_f64 v[28:29], -v[28:29], v[56:57], v[62:63]
	s_delay_alu instid0(VALU_DEP_3) | instskip(NEXT) | instid1(VALU_DEP_3)
	v_fmac_f64_e32 v[64:65], 0x3c7abc9e3b39803f, v[60:61]
	v_add_f64_e32 v[22:23], v[22:23], v[30:31]
	s_delay_alu instid0(VALU_DEP_3) | instskip(NEXT) | instid1(VALU_DEP_3)
	v_div_fmas_f64 v[28:29], v[28:29], v[32:33], v[56:57]
	v_add_f64_e32 v[30:31], v[58:59], v[64:65]
	v_cmp_gt_i32_e32 vcc_lo, 0, v3
	s_delay_alu instid0(VALU_DEP_4) | instskip(NEXT) | instid1(VALU_DEP_4)
	v_add_f64_e32 v[32:33], v[52:53], v[22:23]
	v_div_fixup_f64 v[6:7], v[28:29], v[24:25], v[6:7]
	s_delay_alu instid0(VALU_DEP_4) | instskip(NEXT) | instid1(VALU_DEP_3)
	v_add_f64_e64 v[58:59], v[30:31], -v[58:59]
	v_add_f64_e32 v[24:25], v[30:31], v[32:33]
	s_delay_alu instid0(VALU_DEP_3) | instskip(SKIP_1) | instid1(VALU_DEP_4)
	v_mul_f64_e32 v[28:29], v[6:7], v[6:7]
	v_add_f64_e64 v[52:53], v[32:33], -v[52:53]
	v_add_f64_e64 v[58:59], v[64:65], -v[58:59]
	s_delay_alu instid0(VALU_DEP_4) | instskip(NEXT) | instid1(VALU_DEP_4)
	v_add_f64_e64 v[54:55], v[24:25], -v[30:31]
	v_fmamk_f64 v[56:57], v[28:29], 0x3eeba404b5e68a13, v[42:43]
	s_delay_alu instid0(VALU_DEP_4) | instskip(NEXT) | instid1(VALU_DEP_2)
	v_add_f64_e64 v[22:23], v[22:23], -v[52:53]
	v_fmaak_f64 v[56:57], v[28:29], v[56:57], 0x3f4b2bb069efb384
	s_delay_alu instid0(VALU_DEP_1) | instskip(NEXT) | instid1(VALU_DEP_1)
	v_fmaak_f64 v[56:57], v[28:29], v[56:57], 0xbf67952daf56de9b
	v_fmaak_f64 v[56:57], v[28:29], v[56:57], 0x3f7d6d43a595c56f
	s_delay_alu instid0(VALU_DEP_1) | instskip(SKIP_3) | instid1(VALU_DEP_4)
	v_fmaak_f64 v[56:57], v[28:29], v[56:57], 0xbf8c6ea4a57d9582
	v_add_f64_e64 v[60:61], v[24:25], -v[54:55]
	v_add_f64_e64 v[32:33], v[32:33], -v[54:55]
	v_add_f64_e32 v[54:55], v[58:59], v[22:23]
	v_fmaak_f64 v[56:57], v[28:29], v[56:57], 0x3f967e295f08b19f
	s_delay_alu instid0(VALU_DEP_1) | instskip(NEXT) | instid1(VALU_DEP_1)
	v_fmaak_f64 v[52:53], v[28:29], v[56:57], 0xbf9e9ae6fc27006a
	v_fmaak_f64 v[52:53], v[28:29], v[52:53], 0x3fa2c15b5711927a
	s_delay_alu instid0(VALU_DEP_1) | instskip(NEXT) | instid1(VALU_DEP_1)
	v_fmaak_f64 v[52:53], v[28:29], v[52:53], 0xbfa59976e82d3ff0
	v_fmaak_f64 v[52:53], v[28:29], v[52:53], 0x3fa82d5d6ef28734
	v_add_f64_e64 v[30:31], v[30:31], -v[60:61]
	s_delay_alu instid0(VALU_DEP_2) | instskip(NEXT) | instid1(VALU_DEP_2)
	v_fmaak_f64 v[52:53], v[28:29], v[52:53], 0xbfaae5ce6a214619
	v_add_f64_e32 v[30:31], v[32:33], v[30:31]
	s_delay_alu instid0(VALU_DEP_2) | instskip(SKIP_1) | instid1(VALU_DEP_2)
	v_fmaak_f64 v[32:33], v[28:29], v[52:53], 0x3fae1bb48427b883
	v_add_f64_e64 v[52:53], v[54:55], -v[58:59]
	v_fmaak_f64 v[32:33], v[28:29], v[32:33], 0xbfb110e48b207f05
	s_delay_alu instid0(VALU_DEP_1) | instskip(NEXT) | instid1(VALU_DEP_1)
	v_fmaak_f64 v[32:33], v[28:29], v[32:33], 0x3fb3b13657b87036
	v_fmaak_f64 v[32:33], v[28:29], v[32:33], 0xbfb745d119378e4f
	s_delay_alu instid0(VALU_DEP_1) | instskip(SKIP_2) | instid1(VALU_DEP_3)
	v_fmaak_f64 v[32:33], v[28:29], v[32:33], 0x3fbc71c717e1913c
	v_add_f64_e32 v[30:31], v[54:55], v[30:31]
	v_add_f64_e64 v[22:23], v[22:23], -v[52:53]
	v_fmaak_f64 v[32:33], v[28:29], v[32:33], 0xbfc2492492376b7d
	s_delay_alu instid0(VALU_DEP_1) | instskip(NEXT) | instid1(VALU_DEP_1)
	v_fmaak_f64 v[32:33], v[28:29], v[32:33], 0x3fc99999999952cc
	v_fmaak_f64 v[32:33], v[28:29], v[32:33], 0xbfd5555555555523
	s_delay_alu instid0(VALU_DEP_1) | instskip(SKIP_2) | instid1(VALU_DEP_3)
	v_mul_f64_e32 v[28:29], v[28:29], v[32:33]
	v_add_f64_e64 v[32:33], v[54:55], -v[52:53]
	v_add_f64_e32 v[54:55], v[24:25], v[30:31]
	v_fmac_f64_e32 v[6:7], v[6:7], v[28:29]
	s_delay_alu instid0(VALU_DEP_3) | instskip(NEXT) | instid1(VALU_DEP_3)
	v_add_f64_e64 v[28:29], v[58:59], -v[32:33]
	v_add_f64_e64 v[24:25], v[54:55], -v[24:25]
	s_delay_alu instid0(VALU_DEP_3) | instskip(NEXT) | instid1(VALU_DEP_3)
	v_add_f64_e64 v[32:33], -v[6:7], s[40:41]
	v_add_f64_e32 v[22:23], v[22:23], v[28:29]
	v_cndmask_b32_e32 v28, 0x54442d18, v68, vcc_lo
	v_and_b32_e32 v29, 0x54442d18, v8
	v_and_b32_e32 v8, 0x400921fb, v8
	v_add_f64_e64 v[24:25], v[30:31], -v[24:25]
	v_dual_cndmask_b32 v7, v7, v33, s6 :: v_dual_cndmask_b32 v6, v6, v32, s6
	s_delay_alu instid0(VALU_DEP_2) | instskip(NEXT) | instid1(VALU_DEP_2)
	v_add_f64_e32 v[22:23], v[22:23], v[24:25]
	v_add_f64_e64 v[24:25], -v[6:7], s[42:43]
	s_delay_alu instid0(VALU_DEP_2) | instskip(NEXT) | instid1(VALU_DEP_2)
	v_add_f64_e32 v[2:3], v[54:55], v[22:23]
	v_cndmask_b32_e32 v6, v6, v24, vcc_lo
	v_cndmask_b32_e32 v22, 0x3fe921fb, v69, vcc_lo
	s_delay_alu instid0(VALU_DEP_4) | instskip(SKIP_1) | instid1(VALU_DEP_4)
	v_cndmask_b32_e32 v7, v7, v25, vcc_lo
	v_cmp_ngt_f64_e32 vcc_lo, 0, v[26:27]
	v_cndmask_b32_e64 v6, v6, v29, s8
	s_delay_alu instid0(VALU_DEP_4) | instskip(NEXT) | instid1(VALU_DEP_4)
	v_bfi_b32 v22, 0x7fffffff, v22, v5
	v_dual_cndmask_b32 v7, v7, v8, s8 :: v_dual_cndmask_b32 v2, v2, v26, s7
	v_cndmask_b32_e64 v3, v3, v27, s7
	v_cmp_nge_f64_e64 s7, 0, v[26:27]
	s_delay_alu instid0(VALU_DEP_2) | instskip(SKIP_4) | instid1(VALU_DEP_1)
	v_cndmask_b32_e32 v3, 0x7ff80000, v3, vcc_lo
	s_and_b32 vcc_lo, s11, s10
	v_dual_cndmask_b32 v25, v7, v22 :: v_dual_cndmask_b32 v24, v6, v28
	v_cndmask_b32_e64 v22, 0, v2, s7
	v_cmp_neq_f64_e64 s7, 0, v[26:27]
	v_cndmask_b32_e64 v23, 0xfff00000, v3, s7
.LBB173_63:                             ;   in Loop: Header=BB173_4 Depth=1
	s_or_b32 exec_lo, exec_lo, s9
                                        ; implicit-def: $vgpr26_vgpr27
.LBB173_64:                             ;   in Loop: Header=BB173_4 Depth=1
	s_and_not1_saveexec_b32 s9, s54
	s_cbranch_execz .LBB173_70
; %bb.65:                               ;   in Loop: Header=BB173_4 Depth=1
                                        ; implicit-def: $vgpr22_vgpr23
	s_mov_b32 s7, exec_lo
	v_cmpx_ngt_f64_e32 s[46:47], v[26:27]
	s_xor_b32 s10, exec_lo, s7
	s_cbranch_execz .LBB173_67
; %bb.66:                               ;   in Loop: Header=BB173_4 Depth=1
	v_mul_f64_e32 v[6:7], v[26:27], v[26:27]
	v_cmp_eq_f64_e64 s7, 0, v[4:5]
	v_cmp_class_f64_e64 s11, v[4:5], 0x204
	v_cmp_class_f64_e64 s12, v[2:3], 0x204
	s_delay_alu instid0(VALU_DEP_4) | instskip(NEXT) | instid1(VALU_DEP_1)
	v_add_f64_e32 v[22:23], 1.0, v[6:7]
	v_frexp_mant_f64_e32 v[24:25], v[22:23]
	v_frexp_exp_i32_f64_e32 v8, v[22:23]
	v_add_f64_e32 v[26:27], -1.0, v[22:23]
	s_delay_alu instid0(VALU_DEP_3) | instskip(NEXT) | instid1(VALU_DEP_2)
	v_cmp_gt_f64_e32 vcc_lo, s[30:31], v[24:25]
	v_add_f64_e64 v[24:25], v[26:27], -v[22:23]
	s_delay_alu instid0(VALU_DEP_4) | instskip(NEXT) | instid1(VALU_DEP_2)
	v_subrev_co_ci_u32_e64 v8, null, 0, v8, vcc_lo
	v_add_f64_e32 v[24:25], 1.0, v[24:25]
	s_delay_alu instid0(VALU_DEP_2) | instskip(SKIP_1) | instid1(VALU_DEP_2)
	v_dual_add_f64 v[26:27], v[6:7], -v[26:27] :: v_dual_sub_nc_u32 v30, 0, v8
	v_cmp_neq_f64_e64 s8, 0x7ff00000, v[6:7]
	v_ldexp_f64 v[22:23], v[22:23], v30
	s_delay_alu instid0(VALU_DEP_3) | instskip(NEXT) | instid1(VALU_DEP_2)
	v_add_f64_e32 v[24:25], v[26:27], v[24:25]
	v_add_f64_e32 v[28:29], 1.0, v[22:23]
	v_add_f64_e32 v[52:53], -1.0, v[22:23]
	s_delay_alu instid0(VALU_DEP_3) | instskip(NEXT) | instid1(VALU_DEP_3)
	v_ldexp_f64 v[24:25], v[24:25], v30
	v_add_f64_e32 v[26:27], -1.0, v[28:29]
	s_delay_alu instid0(VALU_DEP_3) | instskip(NEXT) | instid1(VALU_DEP_2)
	v_add_f64_e32 v[54:55], 1.0, v[52:53]
	v_add_f64_e64 v[26:27], v[22:23], -v[26:27]
	s_delay_alu instid0(VALU_DEP_2) | instskip(NEXT) | instid1(VALU_DEP_2)
	v_add_f64_e64 v[22:23], v[22:23], -v[54:55]
	v_add_f64_e32 v[26:27], v[24:25], v[26:27]
	s_delay_alu instid0(VALU_DEP_2) | instskip(NEXT) | instid1(VALU_DEP_2)
	v_add_f64_e32 v[22:23], v[24:25], v[22:23]
	v_add_f64_e32 v[30:31], v[28:29], v[26:27]
	s_delay_alu instid0(VALU_DEP_2) | instskip(NEXT) | instid1(VALU_DEP_2)
	v_add_f64_e32 v[54:55], v[52:53], v[22:23]
	v_rcp_f64_e32 v[32:33], v[30:31]
	v_add_f64_e64 v[28:29], v[28:29], -v[30:31]
	s_delay_alu instid0(VALU_DEP_2) | instskip(NEXT) | instid1(VALU_DEP_2)
	v_add_f64_e64 v[52:53], v[52:53], -v[54:55]
	v_add_f64_e32 v[26:27], v[26:27], v[28:29]
	s_delay_alu instid0(VALU_DEP_2) | instskip(NEXT) | instid1(TRANS32_DEP_1)
	v_add_f64_e32 v[22:23], v[22:23], v[52:53]
	v_fma_f64 v[56:57], -v[30:31], v[32:33], 1.0
	s_delay_alu instid0(VALU_DEP_1) | instskip(NEXT) | instid1(VALU_DEP_1)
	v_fmac_f64_e32 v[32:33], v[56:57], v[32:33]
	v_fma_f64 v[24:25], -v[30:31], v[32:33], 1.0
	s_delay_alu instid0(VALU_DEP_1) | instskip(NEXT) | instid1(VALU_DEP_1)
	v_fmac_f64_e32 v[32:33], v[24:25], v[32:33]
	v_mul_f64_e32 v[24:25], v[54:55], v[32:33]
	s_delay_alu instid0(VALU_DEP_1) | instskip(NEXT) | instid1(VALU_DEP_1)
	v_mul_f64_e32 v[56:57], v[30:31], v[24:25]
	v_fma_f64 v[28:29], v[24:25], v[30:31], -v[56:57]
	s_delay_alu instid0(VALU_DEP_1) | instskip(NEXT) | instid1(VALU_DEP_1)
	v_fmac_f64_e32 v[28:29], v[24:25], v[26:27]
	v_add_f64_e32 v[58:59], v[56:57], v[28:29]
	s_delay_alu instid0(VALU_DEP_1) | instskip(SKIP_1) | instid1(VALU_DEP_2)
	v_add_f64_e64 v[60:61], v[54:55], -v[58:59]
	v_add_f64_e64 v[52:53], v[58:59], -v[56:57]
	v_add_f64_e64 v[54:55], v[54:55], -v[60:61]
	s_delay_alu instid0(VALU_DEP_2) | instskip(NEXT) | instid1(VALU_DEP_2)
	v_add_f64_e64 v[28:29], v[52:53], -v[28:29]
	v_add_f64_e64 v[54:55], v[54:55], -v[58:59]
	s_delay_alu instid0(VALU_DEP_1) | instskip(NEXT) | instid1(VALU_DEP_1)
	v_add_f64_e32 v[22:23], v[22:23], v[54:55]
	v_add_f64_e32 v[22:23], v[28:29], v[22:23]
	s_delay_alu instid0(VALU_DEP_1) | instskip(NEXT) | instid1(VALU_DEP_1)
	v_add_f64_e32 v[28:29], v[60:61], v[22:23]
	v_mul_f64_e32 v[52:53], v[32:33], v[28:29]
	v_add_f64_e64 v[58:59], v[60:61], -v[28:29]
	s_delay_alu instid0(VALU_DEP_2) | instskip(NEXT) | instid1(VALU_DEP_2)
	v_mul_f64_e32 v[54:55], v[30:31], v[52:53]
	v_add_f64_e32 v[22:23], v[22:23], v[58:59]
	s_delay_alu instid0(VALU_DEP_2) | instskip(NEXT) | instid1(VALU_DEP_1)
	v_fma_f64 v[30:31], v[52:53], v[30:31], -v[54:55]
	v_fmac_f64_e32 v[30:31], v[52:53], v[26:27]
	s_delay_alu instid0(VALU_DEP_1) | instskip(NEXT) | instid1(VALU_DEP_1)
	v_add_f64_e32 v[26:27], v[54:55], v[30:31]
	v_add_f64_e64 v[56:57], v[28:29], -v[26:27]
	v_add_f64_e64 v[54:55], v[26:27], -v[54:55]
	s_delay_alu instid0(VALU_DEP_2) | instskip(NEXT) | instid1(VALU_DEP_1)
	v_add_f64_e64 v[28:29], v[28:29], -v[56:57]
	v_add_f64_e64 v[26:27], v[28:29], -v[26:27]
	s_delay_alu instid0(VALU_DEP_3) | instskip(SKIP_1) | instid1(VALU_DEP_3)
	v_add_f64_e64 v[28:29], v[54:55], -v[30:31]
	v_max_num_f64_e64 v[30:31], |v[2:3]|, |v[2:3]|
	v_add_f64_e32 v[22:23], v[22:23], v[26:27]
	v_add_f64_e32 v[26:27], v[24:25], v[52:53]
	s_delay_alu instid0(VALU_DEP_2) | instskip(NEXT) | instid1(VALU_DEP_2)
	v_add_f64_e32 v[22:23], v[28:29], v[22:23]
	v_add_f64_e64 v[24:25], v[26:27], -v[24:25]
	v_max_num_f64_e64 v[28:29], |v[4:5]|, |v[4:5]|
	s_delay_alu instid0(VALU_DEP_3) | instskip(NEXT) | instid1(VALU_DEP_3)
	v_add_f64_e32 v[22:23], v[56:57], v[22:23]
	v_add_f64_e64 v[24:25], v[52:53], -v[24:25]
	s_delay_alu instid0(VALU_DEP_2) | instskip(NEXT) | instid1(VALU_DEP_1)
	v_mul_f64_e32 v[22:23], v[32:33], v[22:23]
	v_add_f64_e32 v[22:23], v[24:25], v[22:23]
	v_max_num_f64_e32 v[24:25], v[30:31], v[28:29]
	v_min_num_f64_e32 v[28:29], v[30:31], v[28:29]
	s_delay_alu instid0(VALU_DEP_3) | instskip(NEXT) | instid1(VALU_DEP_2)
	v_add_f64_e32 v[30:31], v[26:27], v[22:23]
	v_div_scale_f64 v[32:33], null, v[24:25], v[24:25], v[28:29]
	s_delay_alu instid0(VALU_DEP_2) | instskip(SKIP_1) | instid1(VALU_DEP_3)
	v_mul_f64_e32 v[52:53], v[30:31], v[30:31]
	v_add_f64_e64 v[26:27], v[30:31], -v[26:27]
	v_rcp_f64_e32 v[54:55], v[32:33]
	s_delay_alu instid0(VALU_DEP_2) | instskip(SKIP_1) | instid1(VALU_DEP_3)
	v_fmamk_f64 v[56:57], v[52:53], 0x3fc3ab76bf559e2b, v[40:41]
	v_mul_f64_e32 v[58:59], v[30:31], v[52:53]
	v_add_f64_e64 v[22:23], v[22:23], -v[26:27]
	s_delay_alu instid0(VALU_DEP_3) | instskip(NEXT) | instid1(TRANS32_DEP_1)
	v_fmaak_f64 v[56:57], v[52:53], v[56:57], 0x3fc7474dd7f4df2e
	v_fma_f64 v[60:61], -v[32:33], v[54:55], 1.0
	s_delay_alu instid0(VALU_DEP_2) | instskip(NEXT) | instid1(VALU_DEP_1)
	v_fmaak_f64 v[56:57], v[52:53], v[56:57], 0x3fcc71c016291751
	v_fmaak_f64 v[56:57], v[52:53], v[56:57], 0x3fd249249b27acf1
	s_delay_alu instid0(VALU_DEP_1) | instskip(SKIP_1) | instid1(VALU_DEP_2)
	v_fmaak_f64 v[56:57], v[52:53], v[56:57], 0x3fd99999998ef7b6
	v_ldexp_f64 v[22:23], v[22:23], 1
	v_fmaak_f64 v[52:53], v[52:53], v[56:57], 0x3fe5555555555780
	v_ldexp_f64 v[56:57], v[30:31], 1
	v_fmac_f64_e32 v[54:55], v[54:55], v[60:61]
	s_delay_alu instid0(VALU_DEP_3) | instskip(SKIP_2) | instid1(VALU_DEP_1)
	v_mul_f64_e32 v[52:53], v[58:59], v[52:53]
	v_cvt_f64_i32_e32 v[58:59], v8
	v_ashrrev_i32_e32 v8, 31, v3
	v_and_b32_e32 v7, 0x400921fb, v8
	v_fma_f64 v[60:61], -v[32:33], v[54:55], 1.0
	v_add_f64_e32 v[30:31], v[56:57], v[52:53]
	v_mul_f64_e32 v[62:63], 0x3fe62e42fefa39ef, v[58:59]
	s_delay_alu instid0(VALU_DEP_3) | instskip(NEXT) | instid1(VALU_DEP_3)
	v_fmac_f64_e32 v[54:55], v[54:55], v[60:61]
	v_add_f64_e64 v[26:27], v[30:31], -v[56:57]
	v_div_scale_f64 v[56:57], vcc_lo, v[28:29], v[24:25], v[28:29]
	s_delay_alu instid0(VALU_DEP_4) | instskip(NEXT) | instid1(VALU_DEP_3)
	v_fma_f64 v[60:61], v[58:59], s[34:35], -v[62:63]
	v_add_f64_e64 v[26:27], v[52:53], -v[26:27]
	s_delay_alu instid0(VALU_DEP_3) | instskip(NEXT) | instid1(VALU_DEP_3)
	v_mul_f64_e32 v[52:53], v[56:57], v[54:55]
	v_fmac_f64_e32 v[60:61], 0x3c7abc9e3b39803f, v[58:59]
	s_delay_alu instid0(VALU_DEP_3) | instskip(NEXT) | instid1(VALU_DEP_3)
	v_add_f64_e32 v[22:23], v[22:23], v[26:27]
	v_fma_f64 v[26:27], -v[32:33], v[52:53], v[56:57]
	s_delay_alu instid0(VALU_DEP_3) | instskip(NEXT) | instid1(VALU_DEP_3)
	v_add_f64_e32 v[32:33], v[62:63], v[60:61]
	v_add_f64_e32 v[56:57], v[30:31], v[22:23]
	s_delay_alu instid0(VALU_DEP_3) | instskip(SKIP_1) | instid1(VALU_DEP_4)
	v_div_fmas_f64 v[26:27], v[26:27], v[54:55], v[52:53]
	v_cmp_gt_i32_e32 vcc_lo, 0, v3
	v_add_f64_e64 v[54:55], v[32:33], -v[62:63]
	v_cndmask_b32_e32 v6, 0x3fe921fb, v69, vcc_lo
	s_delay_alu instid0(VALU_DEP_1) | instskip(SKIP_4) | instid1(VALU_DEP_4)
	v_bfi_b32 v6, 0x7fffffff, v6, v5
	v_add_f64_e32 v[52:53], v[32:33], v[56:57]
	v_div_fixup_f64 v[24:25], v[26:27], v[24:25], v[28:29]
	v_add_f64_e64 v[30:31], v[56:57], -v[30:31]
	v_add_f64_e64 v[54:55], v[60:61], -v[54:55]
	;; [unrolled: 1-line block ×3, first 2 shown]
	s_delay_alu instid0(VALU_DEP_4) | instskip(NEXT) | instid1(VALU_DEP_4)
	v_mul_f64_e32 v[28:29], v[24:25], v[24:25]
	v_add_f64_e64 v[22:23], v[22:23], -v[30:31]
	s_delay_alu instid0(VALU_DEP_3) | instskip(NEXT) | instid1(VALU_DEP_3)
	v_add_f64_e64 v[58:59], v[52:53], -v[26:27]
	v_fmamk_f64 v[62:63], v[28:29], 0x3eeba404b5e68a13, v[42:43]
	v_add_f64_e64 v[26:27], v[56:57], -v[26:27]
	s_delay_alu instid0(VALU_DEP_4) | instskip(NEXT) | instid1(VALU_DEP_3)
	v_add_f64_e32 v[56:57], v[54:55], v[22:23]
	v_fmaak_f64 v[62:63], v[28:29], v[62:63], 0x3f4b2bb069efb384
	s_delay_alu instid0(VALU_DEP_1) | instskip(SKIP_1) | instid1(VALU_DEP_2)
	v_fmaak_f64 v[62:63], v[28:29], v[62:63], 0xbf67952daf56de9b
	v_add_f64_e64 v[30:31], v[32:33], -v[58:59]
	v_fmaak_f64 v[32:33], v[28:29], v[62:63], 0x3f7d6d43a595c56f
	s_delay_alu instid0(VALU_DEP_1) | instskip(NEXT) | instid1(VALU_DEP_1)
	v_fmaak_f64 v[32:33], v[28:29], v[32:33], 0xbf8c6ea4a57d9582
	v_fmaak_f64 v[32:33], v[28:29], v[32:33], 0x3f967e295f08b19f
	s_delay_alu instid0(VALU_DEP_1) | instskip(NEXT) | instid1(VALU_DEP_1)
	v_fmaak_f64 v[32:33], v[28:29], v[32:33], 0xbf9e9ae6fc27006a
	v_fmaak_f64 v[32:33], v[28:29], v[32:33], 0x3fa2c15b5711927a
	v_add_f64_e32 v[26:27], v[26:27], v[30:31]
	s_delay_alu instid0(VALU_DEP_2) | instskip(SKIP_1) | instid1(VALU_DEP_2)
	v_fmaak_f64 v[30:31], v[28:29], v[32:33], 0xbfa59976e82d3ff0
	v_add_f64_e64 v[32:33], v[56:57], -v[54:55]
	v_fmaak_f64 v[30:31], v[28:29], v[30:31], 0x3fa82d5d6ef28734
	s_delay_alu instid0(VALU_DEP_1) | instskip(NEXT) | instid1(VALU_DEP_1)
	v_fmaak_f64 v[30:31], v[28:29], v[30:31], 0xbfaae5ce6a214619
	v_fmaak_f64 v[30:31], v[28:29], v[30:31], 0x3fae1bb48427b883
	s_delay_alu instid0(VALU_DEP_1) | instskip(SKIP_3) | instid1(VALU_DEP_4)
	v_fmaak_f64 v[30:31], v[28:29], v[30:31], 0xbfb110e48b207f05
	v_add_f64_e32 v[26:27], v[56:57], v[26:27]
	v_add_f64_e64 v[56:57], v[56:57], -v[32:33]
	v_add_f64_e64 v[22:23], v[22:23], -v[32:33]
	v_fmaak_f64 v[30:31], v[28:29], v[30:31], 0x3fb3b13657b87036
	s_delay_alu instid0(VALU_DEP_1) | instskip(NEXT) | instid1(VALU_DEP_1)
	v_fmaak_f64 v[30:31], v[28:29], v[30:31], 0xbfb745d119378e4f
	v_fmaak_f64 v[30:31], v[28:29], v[30:31], 0x3fbc71c717e1913c
	s_delay_alu instid0(VALU_DEP_1) | instskip(SKIP_1) | instid1(VALU_DEP_2)
	v_fmaak_f64 v[30:31], v[28:29], v[30:31], 0xbfc2492492376b7d
	v_add_f64_e32 v[58:59], v[52:53], v[26:27]
	v_fmaak_f64 v[30:31], v[28:29], v[30:31], 0x3fc99999999952cc
	s_delay_alu instid0(VALU_DEP_1) | instskip(NEXT) | instid1(VALU_DEP_1)
	v_fmaak_f64 v[30:31], v[28:29], v[30:31], 0xbfd5555555555523
	v_mul_f64_e32 v[28:29], v[28:29], v[30:31]
	v_add_f64_e64 v[30:31], v[54:55], -v[56:57]
	v_add_f64_e64 v[32:33], v[58:59], -v[52:53]
	s_delay_alu instid0(VALU_DEP_3) | instskip(NEXT) | instid1(VALU_DEP_3)
	v_fmac_f64_e32 v[24:25], v[24:25], v[28:29]
	v_add_f64_e32 v[22:23], v[22:23], v[30:31]
	s_delay_alu instid0(VALU_DEP_3) | instskip(NEXT) | instid1(VALU_DEP_3)
	v_add_f64_e64 v[26:27], v[26:27], -v[32:33]
	v_add_f64_e64 v[28:29], -v[24:25], s[40:41]
	s_delay_alu instid0(VALU_DEP_1) | instskip(NEXT) | instid1(VALU_DEP_2)
	v_dual_add_f64 v[22:23], v[22:23], v[26:27] :: v_dual_cndmask_b32 v25, v25, v29, s6
	v_cndmask_b32_e64 v24, v24, v28, s6
	v_and_b32_e32 v29, 0x54442d18, v8
	v_cndmask_b32_e32 v28, 0x54442d18, v68, vcc_lo
	s_delay_alu instid0(VALU_DEP_3) | instskip(SKIP_1) | instid1(VALU_DEP_2)
	v_add_f64_e64 v[26:27], -v[24:25], s[42:43]
	v_add_f64_e32 v[22:23], v[58:59], v[22:23]
	v_dual_cndmask_b32 v24, v24, v26, vcc_lo :: v_dual_cndmask_b32 v8, v25, v27, vcc_lo
	s_and_b32 vcc_lo, s11, s12
                                        ; implicit-def: $vgpr26_vgpr27
	s_delay_alu instid0(VALU_DEP_1) | instskip(NEXT) | instid1(VALU_DEP_2)
	v_cndmask_b32_e64 v24, v24, v29, s7
	v_cndmask_b32_e64 v7, v8, v7, s7
	s_delay_alu instid0(VALU_DEP_2) | instskip(NEXT) | instid1(VALU_DEP_2)
	v_dual_mul_f64 v[2:3], 0.5, v[22:23] :: v_dual_cndmask_b32 v24, v24, v28, vcc_lo
	v_cndmask_b32_e32 v25, v7, v6, vcc_lo
	s_delay_alu instid0(VALU_DEP_2) | instskip(NEXT) | instid1(VALU_DEP_3)
	v_cndmask_b32_e64 v23, 0x7ff00000, v3, s8
	v_cndmask_b32_e64 v22, 0, v2, s8
.LBB173_67:                             ;   in Loop: Header=BB173_4 Depth=1
	s_and_not1_saveexec_b32 s8, s10
	s_cbranch_execz .LBB173_69
; %bb.68:                               ;   in Loop: Header=BB173_4 Depth=1
	v_max_num_f64_e64 v[6:7], |v[4:5]|, |v[4:5]|
	v_max_num_f64_e64 v[22:23], |v[2:3]|, |v[2:3]|
	v_cmp_eq_f64_e64 s7, 0, v[4:5]
	v_cmp_class_f64_e64 s10, v[4:5], 0x204
	v_cmp_class_f64_e64 s11, v[2:3], 0x204
	v_ashrrev_i32_e32 v8, 31, v3
	v_max_num_f64_e32 v[24:25], v[22:23], v[6:7]
	v_min_num_f64_e32 v[6:7], v[22:23], v[6:7]
	s_delay_alu instid0(VALU_DEP_1) | instskip(SKIP_1) | instid1(VALU_DEP_2)
	v_div_scale_f64 v[22:23], null, v[24:25], v[24:25], v[6:7]
	v_div_scale_f64 v[32:33], vcc_lo, v[6:7], v[24:25], v[6:7]
	v_rcp_f64_e32 v[28:29], v[22:23]
	v_nop
	s_delay_alu instid0(TRANS32_DEP_1) | instskip(NEXT) | instid1(VALU_DEP_1)
	v_fma_f64 v[30:31], -v[22:23], v[28:29], 1.0
	v_fmac_f64_e32 v[28:29], v[28:29], v[30:31]
	s_delay_alu instid0(VALU_DEP_1) | instskip(NEXT) | instid1(VALU_DEP_1)
	v_fma_f64 v[30:31], -v[22:23], v[28:29], 1.0
	v_fmac_f64_e32 v[28:29], v[28:29], v[30:31]
	s_delay_alu instid0(VALU_DEP_1) | instskip(NEXT) | instid1(VALU_DEP_1)
	v_mul_f64_e32 v[30:31], v[32:33], v[28:29]
	v_fma_f64 v[22:23], -v[22:23], v[30:31], v[32:33]
	s_delay_alu instid0(VALU_DEP_1)
	v_div_fmas_f64 v[22:23], v[22:23], v[28:29], v[30:31]
	v_cmp_gt_i32_e32 vcc_lo, 0, v3
	v_and_b32_e32 v29, 0x54442d18, v8
	v_and_b32_e32 v3, 0x400921fb, v8
	v_cndmask_b32_e32 v2, 0x3fe921fb, v69, vcc_lo
	v_cndmask_b32_e32 v28, 0x54442d18, v68, vcc_lo
	s_delay_alu instid0(VALU_DEP_2) | instskip(SKIP_1) | instid1(VALU_DEP_1)
	v_bfi_b32 v2, 0x7fffffff, v2, v5
	v_div_fixup_f64 v[6:7], v[22:23], v[24:25], v[6:7]
	v_mul_f64_e32 v[22:23], v[6:7], v[6:7]
	s_delay_alu instid0(VALU_DEP_1) | instskip(NEXT) | instid1(VALU_DEP_1)
	v_fmamk_f64 v[24:25], v[22:23], 0x3eeba404b5e68a13, v[42:43]
	v_fmaak_f64 v[24:25], v[22:23], v[24:25], 0x3f4b2bb069efb384
	s_delay_alu instid0(VALU_DEP_1) | instskip(NEXT) | instid1(VALU_DEP_1)
	v_fmaak_f64 v[24:25], v[22:23], v[24:25], 0xbf67952daf56de9b
	v_fmaak_f64 v[24:25], v[22:23], v[24:25], 0x3f7d6d43a595c56f
	s_delay_alu instid0(VALU_DEP_1) | instskip(NEXT) | instid1(VALU_DEP_1)
	v_fmaak_f64 v[24:25], v[22:23], v[24:25], 0xbf8c6ea4a57d9582
	v_fmaak_f64 v[24:25], v[22:23], v[24:25], 0x3f967e295f08b19f
	s_delay_alu instid0(VALU_DEP_1) | instskip(NEXT) | instid1(VALU_DEP_1)
	v_fmaak_f64 v[24:25], v[22:23], v[24:25], 0xbf9e9ae6fc27006a
	v_fmaak_f64 v[24:25], v[22:23], v[24:25], 0x3fa2c15b5711927a
	s_delay_alu instid0(VALU_DEP_1) | instskip(NEXT) | instid1(VALU_DEP_1)
	v_fmaak_f64 v[24:25], v[22:23], v[24:25], 0xbfa59976e82d3ff0
	v_fmaak_f64 v[24:25], v[22:23], v[24:25], 0x3fa82d5d6ef28734
	s_delay_alu instid0(VALU_DEP_1) | instskip(NEXT) | instid1(VALU_DEP_1)
	v_fmaak_f64 v[24:25], v[22:23], v[24:25], 0xbfaae5ce6a214619
	v_fmaak_f64 v[24:25], v[22:23], v[24:25], 0x3fae1bb48427b883
	s_delay_alu instid0(VALU_DEP_1) | instskip(NEXT) | instid1(VALU_DEP_1)
	v_fmaak_f64 v[24:25], v[22:23], v[24:25], 0xbfb110e48b207f05
	v_fmaak_f64 v[24:25], v[22:23], v[24:25], 0x3fb3b13657b87036
	s_delay_alu instid0(VALU_DEP_1) | instskip(NEXT) | instid1(VALU_DEP_1)
	v_fmaak_f64 v[24:25], v[22:23], v[24:25], 0xbfb745d119378e4f
	v_fmaak_f64 v[24:25], v[22:23], v[24:25], 0x3fbc71c717e1913c
	s_delay_alu instid0(VALU_DEP_1) | instskip(NEXT) | instid1(VALU_DEP_1)
	v_fmaak_f64 v[24:25], v[22:23], v[24:25], 0xbfc2492492376b7d
	v_fmaak_f64 v[24:25], v[22:23], v[24:25], 0x3fc99999999952cc
	s_delay_alu instid0(VALU_DEP_1) | instskip(NEXT) | instid1(VALU_DEP_1)
	v_fmaak_f64 v[24:25], v[22:23], v[24:25], 0xbfd5555555555523
	v_mul_f64_e32 v[22:23], v[22:23], v[24:25]
	s_delay_alu instid0(VALU_DEP_1) | instskip(NEXT) | instid1(VALU_DEP_1)
	v_fmac_f64_e32 v[6:7], v[6:7], v[22:23]
	v_add_f64_e64 v[22:23], -v[6:7], s[40:41]
	s_delay_alu instid0(VALU_DEP_1) | instskip(NEXT) | instid1(VALU_DEP_1)
	v_dual_cndmask_b32 v7, v7, v23, s6 :: v_dual_cndmask_b32 v6, v6, v22, s6
	v_add_f64_e64 v[24:25], -v[6:7], s[42:43]
	s_delay_alu instid0(VALU_DEP_1) | instskip(NEXT) | instid1(VALU_DEP_2)
	v_dual_mul_f64 v[22:23], 0.5, v[26:27] :: v_dual_cndmask_b32 v7, v7, v25, vcc_lo
	v_cndmask_b32_e32 v6, v6, v24, vcc_lo
	s_and_b32 vcc_lo, s10, s11
	s_delay_alu instid0(VALU_DEP_1) | instskip(NEXT) | instid1(VALU_DEP_1)
	v_dual_cndmask_b32 v3, v7, v3, s7 :: v_dual_cndmask_b32 v6, v6, v29, s7
	v_dual_cndmask_b32 v25, v3, v2 :: v_dual_cndmask_b32 v24, v6, v28
	s_delay_alu instid0(VALU_DEP_4)
	v_mul_f64_e32 v[22:23], v[26:27], v[22:23]
.LBB173_69:                             ;   in Loop: Header=BB173_4 Depth=1
	s_or_b32 exec_lo, exec_lo, s8
.LBB173_70:                             ;   in Loop: Header=BB173_4 Depth=1
	s_delay_alu instid0(SALU_CYCLE_1)
	s_or_b32 exec_lo, exec_lo, s9
.LBB173_71:                             ;   in Loop: Header=BB173_4 Depth=1
	s_and_not1_saveexec_b32 s8, s33
	s_cbranch_execz .LBB173_73
; %bb.72:                               ;   in Loop: Header=BB173_4 Depth=1
	v_div_scale_f64 v[6:7], null, s[48:49], s[48:49], v[2:3]
	v_div_scale_f64 v[22:23], null, s[48:49], s[48:49], v[4:5]
	v_div_scale_f64 v[32:33], vcc_lo, v[2:3], s[48:49], v[2:3]
	s_delay_alu instid0(VALU_DEP_3) | instskip(NEXT) | instid1(VALU_DEP_2)
	v_rcp_f64_e32 v[24:25], v[6:7]
	v_rcp_f64_e32 v[26:27], v[22:23]
	s_delay_alu instid0(TRANS32_DEP_2) | instskip(NEXT) | instid1(TRANS32_DEP_1)
	v_fma_f64 v[28:29], -v[6:7], v[24:25], 1.0
	v_fma_f64 v[30:31], -v[22:23], v[26:27], 1.0
	s_delay_alu instid0(VALU_DEP_2) | instskip(NEXT) | instid1(VALU_DEP_2)
	v_fmac_f64_e32 v[24:25], v[24:25], v[28:29]
	v_fmac_f64_e32 v[26:27], v[26:27], v[30:31]
	s_delay_alu instid0(VALU_DEP_2) | instskip(NEXT) | instid1(VALU_DEP_2)
	v_fma_f64 v[28:29], -v[6:7], v[24:25], 1.0
	v_fma_f64 v[30:31], -v[22:23], v[26:27], 1.0
	s_delay_alu instid0(VALU_DEP_2) | instskip(SKIP_1) | instid1(VALU_DEP_3)
	v_fmac_f64_e32 v[24:25], v[24:25], v[28:29]
	v_div_scale_f64 v[28:29], s7, v[4:5], s[48:49], v[4:5]
	v_fmac_f64_e32 v[26:27], v[26:27], v[30:31]
	s_delay_alu instid0(VALU_DEP_3) | instskip(NEXT) | instid1(VALU_DEP_2)
	v_mul_f64_e32 v[30:31], v[32:33], v[24:25]
	v_mul_f64_e32 v[52:53], v[28:29], v[26:27]
	s_delay_alu instid0(VALU_DEP_2) | instskip(NEXT) | instid1(VALU_DEP_2)
	v_fma_f64 v[6:7], -v[6:7], v[30:31], v[32:33]
	v_fma_f64 v[22:23], -v[22:23], v[52:53], v[28:29]
	s_delay_alu instid0(VALU_DEP_2) | instskip(SKIP_1) | instid1(VALU_DEP_2)
	v_div_fmas_f64 v[6:7], v[6:7], v[24:25], v[30:31]
	s_mov_b32 vcc_lo, s7
	v_div_fmas_f64 v[22:23], v[22:23], v[26:27], v[52:53]
	s_delay_alu instid0(VALU_DEP_2) | instskip(NEXT) | instid1(VALU_DEP_2)
	v_div_fixup_f64 v[6:7], v[6:7], s[48:49], v[2:3]
	v_div_fixup_f64 v[22:23], v[22:23], s[48:49], v[4:5]
	s_delay_alu instid0(VALU_DEP_2) | instskip(NEXT) | instid1(VALU_DEP_2)
	v_cmp_class_f64_e64 s7, v[6:7], 0x204
	v_max_num_f64_e64 v[24:25], |v[6:7]|, |v[22:23]|
	v_cmp_class_f64_e64 s9, v[22:23], 0x204
	s_delay_alu instid0(VALU_DEP_2) | instskip(SKIP_2) | instid1(VALU_DEP_2)
	v_frexp_exp_i32_f64_e32 v8, v[24:25]
	s_or_b32 s7, s9, s7
	v_cmp_class_f64_e64 s9, v[2:3], 0x204
	v_sub_nc_u32_e32 v26, 0, v8
	s_delay_alu instid0(VALU_DEP_1) | instskip(SKIP_1) | instid1(VALU_DEP_2)
	v_ldexp_f64 v[24:25], |v[22:23]|, v26
	v_ldexp_f64 v[26:27], |v[6:7]|, v26
	v_mul_f64_e32 v[24:25], v[24:25], v[24:25]
	s_delay_alu instid0(VALU_DEP_1) | instskip(NEXT) | instid1(VALU_DEP_1)
	v_fmac_f64_e32 v[24:25], v[26:27], v[26:27]
	v_rsq_f64_e32 v[26:27], v[24:25]
	v_cmp_eq_f64_e32 vcc_lo, 0, v[24:25]
	s_delay_alu instid0(TRANS32_DEP_1) | instskip(SKIP_1) | instid1(VALU_DEP_1)
	v_mul_f64_e32 v[28:29], v[24:25], v[26:27]
	v_mul_f64_e32 v[26:27], 0.5, v[26:27]
	v_fma_f64 v[30:31], -v[26:27], v[28:29], 0.5
	s_delay_alu instid0(VALU_DEP_1) | instskip(SKIP_1) | instid1(VALU_DEP_2)
	v_fmac_f64_e32 v[28:29], v[28:29], v[30:31]
	v_fmac_f64_e32 v[26:27], v[26:27], v[30:31]
	v_fma_f64 v[30:31], -v[28:29], v[28:29], v[24:25]
	s_delay_alu instid0(VALU_DEP_1) | instskip(NEXT) | instid1(VALU_DEP_1)
	v_fmac_f64_e32 v[28:29], v[30:31], v[26:27]
	v_dual_cndmask_b32 v25, v29, v25 :: v_dual_cndmask_b32 v24, v28, v24
	v_cmp_o_f64_e32 vcc_lo, v[6:7], v[22:23]
	s_delay_alu instid0(VALU_DEP_2) | instskip(NEXT) | instid1(VALU_DEP_1)
	v_ldexp_f64 v[24:25], v[24:25], v8
	v_cndmask_b32_e32 v6, 0, v24, vcc_lo
	s_delay_alu instid0(VALU_DEP_2) | instskip(NEXT) | instid1(VALU_DEP_2)
	v_cndmask_b32_e32 v7, 0x7ff80000, v25, vcc_lo
	v_cndmask_b32_e64 v6, v6, 0, s7
	s_delay_alu instid0(VALU_DEP_2) | instskip(SKIP_1) | instid1(VALU_DEP_2)
	v_cndmask_b32_e64 v7, v7, 0x7ff00000, s7
	v_cmp_class_f64_e64 s7, v[4:5], 0x204
	v_frexp_mant_f64_e32 v[22:23], v[6:7]
	s_delay_alu instid0(VALU_DEP_1) | instskip(SKIP_1) | instid1(VALU_DEP_1)
	v_cmp_gt_f64_e32 vcc_lo, s[30:31], v[22:23]
	v_cndmask_b32_e64 v8, 0, 1, vcc_lo
	v_ldexp_f64 v[22:23], v[22:23], v8
	v_frexp_exp_i32_f64_e32 v8, v[6:7]
	s_delay_alu instid0(VALU_DEP_2) | instskip(SKIP_1) | instid1(VALU_DEP_3)
	v_add_f64_e32 v[24:25], 1.0, v[22:23]
	v_add_f64_e32 v[30:31], -1.0, v[22:23]
	v_subrev_co_ci_u32_e64 v8, null, 0, v8, vcc_lo
	s_delay_alu instid0(VALU_DEP_3) | instskip(SKIP_1) | instid1(VALU_DEP_1)
	v_rcp_f64_e32 v[26:27], v[24:25]
	v_add_f64_e32 v[32:33], -1.0, v[24:25]
	v_add_f64_e64 v[22:23], v[22:23], -v[32:33]
	s_delay_alu instid0(TRANS32_DEP_1) | instskip(NEXT) | instid1(VALU_DEP_1)
	v_fma_f64 v[28:29], -v[24:25], v[26:27], 1.0
	v_fmac_f64_e32 v[26:27], v[28:29], v[26:27]
	s_delay_alu instid0(VALU_DEP_1) | instskip(NEXT) | instid1(VALU_DEP_1)
	v_fma_f64 v[28:29], -v[24:25], v[26:27], 1.0
	v_fmac_f64_e32 v[26:27], v[28:29], v[26:27]
	s_delay_alu instid0(VALU_DEP_1) | instskip(NEXT) | instid1(VALU_DEP_1)
	v_mul_f64_e32 v[28:29], v[30:31], v[26:27]
	v_mul_f64_e32 v[52:53], v[24:25], v[28:29]
	s_delay_alu instid0(VALU_DEP_1) | instskip(NEXT) | instid1(VALU_DEP_1)
	v_fma_f64 v[24:25], v[28:29], v[24:25], -v[52:53]
	v_fmac_f64_e32 v[24:25], v[28:29], v[22:23]
	s_delay_alu instid0(VALU_DEP_1) | instskip(NEXT) | instid1(VALU_DEP_1)
	v_add_f64_e32 v[22:23], v[52:53], v[24:25]
	v_add_f64_e64 v[32:33], v[30:31], -v[22:23]
	v_add_f64_e64 v[52:53], v[22:23], -v[52:53]
	s_delay_alu instid0(VALU_DEP_2) | instskip(NEXT) | instid1(VALU_DEP_2)
	v_add_f64_e64 v[30:31], v[30:31], -v[32:33]
	v_add_f64_e64 v[24:25], v[52:53], -v[24:25]
	s_delay_alu instid0(VALU_DEP_2) | instskip(SKIP_1) | instid1(VALU_DEP_2)
	v_add_f64_e64 v[22:23], v[30:31], -v[22:23]
	v_max_num_f64_e64 v[30:31], |v[2:3]|, |v[2:3]|
	v_add_f64_e32 v[22:23], v[24:25], v[22:23]
	v_max_num_f64_e64 v[24:25], |v[4:5]|, |v[4:5]|
	s_delay_alu instid0(VALU_DEP_2) | instskip(NEXT) | instid1(VALU_DEP_1)
	v_add_f64_e32 v[22:23], v[32:33], v[22:23]
	v_mul_f64_e32 v[22:23], v[26:27], v[22:23]
	s_delay_alu instid0(VALU_DEP_3) | instskip(SKIP_1) | instid1(VALU_DEP_3)
	v_max_num_f64_e32 v[26:27], v[30:31], v[24:25]
	v_min_num_f64_e32 v[24:25], v[30:31], v[24:25]
	v_add_f64_e32 v[30:31], v[28:29], v[22:23]
	s_delay_alu instid0(VALU_DEP_2) | instskip(NEXT) | instid1(VALU_DEP_2)
	v_div_scale_f64 v[32:33], null, v[26:27], v[26:27], v[24:25]
	v_mul_f64_e32 v[52:53], v[30:31], v[30:31]
	v_add_f64_e64 v[28:29], v[30:31], -v[28:29]
	s_delay_alu instid0(VALU_DEP_3) | instskip(NEXT) | instid1(VALU_DEP_2)
	v_rcp_f64_e32 v[54:55], v[32:33]
	v_fmamk_f64 v[56:57], v[52:53], 0x3fc3ab76bf559e2b, v[40:41]
	v_mul_f64_e32 v[58:59], v[30:31], v[52:53]
	s_delay_alu instid0(VALU_DEP_3) | instskip(NEXT) | instid1(VALU_DEP_3)
	v_add_f64_e64 v[22:23], v[22:23], -v[28:29]
	v_fmaak_f64 v[56:57], v[52:53], v[56:57], 0x3fc7474dd7f4df2e
	s_delay_alu instid0(TRANS32_DEP_1) | instskip(NEXT) | instid1(VALU_DEP_2)
	v_fma_f64 v[60:61], -v[32:33], v[54:55], 1.0
	v_fmaak_f64 v[56:57], v[52:53], v[56:57], 0x3fcc71c016291751
	s_delay_alu instid0(VALU_DEP_1) | instskip(NEXT) | instid1(VALU_DEP_1)
	v_fmaak_f64 v[56:57], v[52:53], v[56:57], 0x3fd249249b27acf1
	v_fmaak_f64 v[56:57], v[52:53], v[56:57], 0x3fd99999998ef7b6
	v_ldexp_f64 v[22:23], v[22:23], 1
	s_delay_alu instid0(VALU_DEP_2) | instskip(SKIP_2) | instid1(VALU_DEP_3)
	v_fmaak_f64 v[52:53], v[52:53], v[56:57], 0x3fe5555555555780
	v_ldexp_f64 v[56:57], v[30:31], 1
	v_fmac_f64_e32 v[54:55], v[54:55], v[60:61]
	v_mul_f64_e32 v[52:53], v[58:59], v[52:53]
	v_cvt_f64_i32_e32 v[58:59], v8
	v_ashrrev_i32_e32 v8, 31, v3
	s_delay_alu instid0(VALU_DEP_4) | instskip(NEXT) | instid1(VALU_DEP_4)
	v_fma_f64 v[60:61], -v[32:33], v[54:55], 1.0
	v_add_f64_e32 v[30:31], v[56:57], v[52:53]
	s_delay_alu instid0(VALU_DEP_4) | instskip(NEXT) | instid1(VALU_DEP_3)
	v_mul_f64_e32 v[62:63], 0x3fe62e42fefa39ef, v[58:59]
	v_fmac_f64_e32 v[54:55], v[54:55], v[60:61]
	s_delay_alu instid0(VALU_DEP_3) | instskip(SKIP_1) | instid1(VALU_DEP_4)
	v_add_f64_e64 v[28:29], v[30:31], -v[56:57]
	v_div_scale_f64 v[56:57], vcc_lo, v[24:25], v[26:27], v[24:25]
	v_fma_f64 v[60:61], v[58:59], s[34:35], -v[62:63]
	s_delay_alu instid0(VALU_DEP_3) | instskip(NEXT) | instid1(VALU_DEP_3)
	v_add_f64_e64 v[28:29], v[52:53], -v[28:29]
	v_mul_f64_e32 v[52:53], v[56:57], v[54:55]
	s_delay_alu instid0(VALU_DEP_3) | instskip(NEXT) | instid1(VALU_DEP_3)
	v_fmac_f64_e32 v[60:61], 0x3c7abc9e3b39803f, v[58:59]
	v_add_f64_e32 v[22:23], v[22:23], v[28:29]
	s_delay_alu instid0(VALU_DEP_3) | instskip(NEXT) | instid1(VALU_DEP_3)
	v_fma_f64 v[28:29], -v[32:33], v[52:53], v[56:57]
	v_add_f64_e32 v[32:33], v[62:63], v[60:61]
	s_delay_alu instid0(VALU_DEP_3) | instskip(NEXT) | instid1(VALU_DEP_3)
	v_add_f64_e32 v[56:57], v[30:31], v[22:23]
	v_div_fmas_f64 v[28:29], v[28:29], v[54:55], v[52:53]
	v_cmp_class_f64_e64 vcc_lo, v[6:7], 0x204
	s_delay_alu instid0(VALU_DEP_4) | instskip(NEXT) | instid1(VALU_DEP_4)
	v_add_f64_e64 v[54:55], v[32:33], -v[62:63]
	v_add_f64_e32 v[52:53], v[32:33], v[56:57]
	s_delay_alu instid0(VALU_DEP_4) | instskip(SKIP_1) | instid1(VALU_DEP_4)
	v_div_fixup_f64 v[24:25], v[28:29], v[26:27], v[24:25]
	v_add_f64_e64 v[30:31], v[56:57], -v[30:31]
	v_add_f64_e64 v[54:55], v[60:61], -v[54:55]
	s_delay_alu instid0(VALU_DEP_4) | instskip(NEXT) | instid1(VALU_DEP_4)
	v_add_f64_e64 v[26:27], v[52:53], -v[32:33]
	v_mul_f64_e32 v[28:29], v[24:25], v[24:25]
	s_delay_alu instid0(VALU_DEP_4) | instskip(NEXT) | instid1(VALU_DEP_3)
	v_add_f64_e64 v[22:23], v[22:23], -v[30:31]
	v_add_f64_e64 v[58:59], v[52:53], -v[26:27]
	s_delay_alu instid0(VALU_DEP_3) | instskip(SKIP_1) | instid1(VALU_DEP_4)
	v_fmamk_f64 v[62:63], v[28:29], 0x3eeba404b5e68a13, v[42:43]
	v_add_f64_e64 v[26:27], v[56:57], -v[26:27]
	v_add_f64_e32 v[56:57], v[54:55], v[22:23]
	s_delay_alu instid0(VALU_DEP_3) | instskip(SKIP_1) | instid1(VALU_DEP_2)
	v_fmaak_f64 v[62:63], v[28:29], v[62:63], 0x3f4b2bb069efb384
	v_add_f64_e64 v[30:31], v[32:33], -v[58:59]
	v_fmaak_f64 v[32:33], v[28:29], v[62:63], 0xbf67952daf56de9b
	s_delay_alu instid0(VALU_DEP_1) | instskip(NEXT) | instid1(VALU_DEP_1)
	v_fmaak_f64 v[32:33], v[28:29], v[32:33], 0x3f7d6d43a595c56f
	v_fmaak_f64 v[32:33], v[28:29], v[32:33], 0xbf8c6ea4a57d9582
	s_delay_alu instid0(VALU_DEP_1) | instskip(SKIP_1) | instid1(VALU_DEP_2)
	v_fmaak_f64 v[32:33], v[28:29], v[32:33], 0x3f967e295f08b19f
	v_add_f64_e32 v[26:27], v[26:27], v[30:31]
	v_fmaak_f64 v[30:31], v[28:29], v[32:33], 0xbf9e9ae6fc27006a
	v_add_f64_e64 v[32:33], v[56:57], -v[54:55]
	s_delay_alu instid0(VALU_DEP_2) | instskip(NEXT) | instid1(VALU_DEP_1)
	v_fmaak_f64 v[30:31], v[28:29], v[30:31], 0x3fa2c15b5711927a
	v_fmaak_f64 v[30:31], v[28:29], v[30:31], 0xbfa59976e82d3ff0
	s_delay_alu instid0(VALU_DEP_1) | instskip(NEXT) | instid1(VALU_DEP_1)
	v_fmaak_f64 v[30:31], v[28:29], v[30:31], 0x3fa82d5d6ef28734
	v_fmaak_f64 v[30:31], v[28:29], v[30:31], 0xbfaae5ce6a214619
	v_add_f64_e32 v[26:27], v[56:57], v[26:27]
	v_add_f64_e64 v[56:57], v[56:57], -v[32:33]
	v_add_f64_e64 v[22:23], v[22:23], -v[32:33]
	s_delay_alu instid0(VALU_DEP_4) | instskip(NEXT) | instid1(VALU_DEP_1)
	v_fmaak_f64 v[30:31], v[28:29], v[30:31], 0x3fae1bb48427b883
	v_fmaak_f64 v[30:31], v[28:29], v[30:31], 0xbfb110e48b207f05
	s_delay_alu instid0(VALU_DEP_1) | instskip(NEXT) | instid1(VALU_DEP_1)
	v_fmaak_f64 v[30:31], v[28:29], v[30:31], 0x3fb3b13657b87036
	v_fmaak_f64 v[30:31], v[28:29], v[30:31], 0xbfb745d119378e4f
	s_delay_alu instid0(VALU_DEP_1) | instskip(SKIP_1) | instid1(VALU_DEP_2)
	v_fmaak_f64 v[30:31], v[28:29], v[30:31], 0x3fbc71c717e1913c
	v_add_f64_e32 v[58:59], v[52:53], v[26:27]
	v_fmaak_f64 v[30:31], v[28:29], v[30:31], 0xbfc2492492376b7d
	s_delay_alu instid0(VALU_DEP_1) | instskip(NEXT) | instid1(VALU_DEP_1)
	v_fmaak_f64 v[30:31], v[28:29], v[30:31], 0x3fc99999999952cc
	v_fmaak_f64 v[30:31], v[28:29], v[30:31], 0xbfd5555555555523
	s_delay_alu instid0(VALU_DEP_1) | instskip(SKIP_2) | instid1(VALU_DEP_3)
	v_mul_f64_e32 v[28:29], v[28:29], v[30:31]
	v_add_f64_e64 v[30:31], v[54:55], -v[56:57]
	v_add_f64_e64 v[32:33], v[58:59], -v[52:53]
	v_fmac_f64_e32 v[24:25], v[24:25], v[28:29]
	s_delay_alu instid0(VALU_DEP_3) | instskip(NEXT) | instid1(VALU_DEP_3)
	v_add_f64_e32 v[22:23], v[22:23], v[30:31]
	v_add_f64_e64 v[26:27], v[26:27], -v[32:33]
	s_delay_alu instid0(VALU_DEP_3) | instskip(NEXT) | instid1(VALU_DEP_1)
	v_add_f64_e64 v[28:29], -v[24:25], s[40:41]
	v_dual_add_f64 v[22:23], v[22:23], v[26:27] :: v_dual_cndmask_b32 v25, v25, v29, s6
	s_delay_alu instid0(VALU_DEP_2)
	v_cndmask_b32_e64 v24, v24, v28, s6
	v_cmp_gt_i32_e64 s6, 0, v3
	v_and_b32_e32 v29, 0x54442d18, v8
	v_and_b32_e32 v3, 0x400921fb, v8
	v_add_f64_e32 v[22:23], v[58:59], v[22:23]
	v_add_f64_e64 v[26:27], -v[24:25], s[42:43]
	v_cndmask_b32_e64 v28, 0x54442d18, v68, s6
	v_cndmask_b32_e64 v2, 0x3fe921fb, v69, s6
	s_delay_alu instid0(VALU_DEP_1) | instskip(SKIP_4) | instid1(VALU_DEP_2)
	v_bfi_b32 v2, 0x7fffffff, v2, v5
	v_dual_cndmask_b32 v23, v23, v7 :: v_dual_cndmask_b32 v22, v22, v6
	v_cmp_eq_f64_e32 vcc_lo, 0, v[4:5]
	v_dual_cndmask_b32 v24, v24, v26, s6 :: v_dual_cndmask_b32 v8, v25, v27, s6
	v_cmp_nge_f64_e64 s6, 0, v[6:7]
	v_dual_add_f64 v[22:23], 1.0, v[22:23] :: v_dual_cndmask_b32 v24, v24, v29, vcc_lo
	s_delay_alu instid0(VALU_DEP_3) | instskip(SKIP_1) | instid1(VALU_DEP_3)
	v_cndmask_b32_e32 v3, v8, v3, vcc_lo
	v_cmp_ngt_f64_e32 vcc_lo, 0, v[6:7]
	v_cndmask_b32_e64 v22, 0, v22, s6
	v_cmp_neq_f64_e64 s6, 0, v[6:7]
	v_cndmask_b32_e32 v8, 0x7ff80000, v23, vcc_lo
	s_and_b32 vcc_lo, s7, s9
	v_dual_cndmask_b32 v25, v3, v2 :: v_dual_cndmask_b32 v24, v24, v28
	s_delay_alu instid0(VALU_DEP_2)
	v_cndmask_b32_e64 v23, 0xfff00000, v8, s6
.LBB173_73:                             ;   in Loop: Header=BB173_4 Depth=1
	s_or_b32 exec_lo, exec_lo, s8
.LBB173_74:                             ;   in Loop: Header=BB173_4 Depth=1
	s_and_not1_saveexec_b32 s6, s17
	s_cbranch_execz .LBB173_80
; %bb.75:                               ;   in Loop: Header=BB173_4 Depth=1
	v_cmp_ngt_f64_e64 s7, 0x20000000, |v[2:3]|
	v_cmp_ngt_f64_e64 s8, 0x20000000, |v[4:5]|
                                        ; implicit-def: $vgpr6_vgpr7
	s_or_b32 s7, s8, s7
	s_delay_alu instid0(SALU_CYCLE_1) | instskip(NEXT) | instid1(SALU_CYCLE_1)
	s_and_saveexec_b32 s8, s7
	s_xor_b32 s7, exec_lo, s8
	s_cbranch_execz .LBB173_77
; %bb.76:                               ;   in Loop: Header=BB173_4 Depth=1
	v_mul_f64_e32 v[6:7], v[2:3], v[2:3]
	s_delay_alu instid0(VALU_DEP_1)
	v_fmac_f64_e32 v[6:7], v[4:5], v[4:5]
.LBB173_77:                             ;   in Loop: Header=BB173_4 Depth=1
	s_and_not1_saveexec_b32 s7, s7
	s_cbranch_execz .LBB173_79
; %bb.78:                               ;   in Loop: Header=BB173_4 Depth=1
	v_mul_f64_e32 v[2:3], 4.0, v[2:3]
	v_mul_f64_e32 v[6:7], 4.0, v[4:5]
	s_delay_alu instid0(VALU_DEP_2) | instskip(NEXT) | instid1(VALU_DEP_1)
	v_mul_f64_e32 v[2:3], v[2:3], v[2:3]
	v_fmac_f64_e32 v[2:3], v[6:7], v[6:7]
	s_delay_alu instid0(VALU_DEP_1)
	v_ldexp_f64 v[6:7], v[2:3], -4
.LBB173_79:                             ;   in Loop: Header=BB173_4 Depth=1
	s_or_b32 exec_lo, exec_lo, s7
	s_delay_alu instid0(VALU_DEP_1) | instskip(NEXT) | instid1(VALU_DEP_1)
	v_frexp_mant_f64_e32 v[2:3], v[6:7]
	v_cmp_gt_f64_e32 vcc_lo, s[30:31], v[2:3]
	v_cndmask_b32_e64 v4, 0, 1, vcc_lo
	s_delay_alu instid0(VALU_DEP_1) | instskip(SKIP_1) | instid1(VALU_DEP_2)
	v_ldexp_f64 v[2:3], v[2:3], v4
	v_frexp_exp_i32_f64_e32 v4, v[6:7]
	v_add_f64_e32 v[22:23], 1.0, v[2:3]
	v_add_f64_e32 v[28:29], -1.0, v[2:3]
	s_delay_alu instid0(VALU_DEP_3) | instskip(SKIP_1) | instid1(VALU_DEP_4)
	v_subrev_co_ci_u32_e64 v4, null, 0, v4, vcc_lo
	v_cmp_class_f64_e64 vcc_lo, v[6:7], 0x204
	v_rcp_f64_e32 v[24:25], v[22:23]
	v_add_f64_e32 v[30:31], -1.0, v[22:23]
	s_delay_alu instid0(VALU_DEP_1) | instskip(NEXT) | instid1(TRANS32_DEP_1)
	v_add_f64_e64 v[2:3], v[2:3], -v[30:31]
	v_fma_f64 v[26:27], -v[22:23], v[24:25], 1.0
	s_delay_alu instid0(VALU_DEP_1) | instskip(NEXT) | instid1(VALU_DEP_1)
	v_fmac_f64_e32 v[24:25], v[26:27], v[24:25]
	v_fma_f64 v[26:27], -v[22:23], v[24:25], 1.0
	s_delay_alu instid0(VALU_DEP_1) | instskip(NEXT) | instid1(VALU_DEP_1)
	v_fmac_f64_e32 v[24:25], v[26:27], v[24:25]
	v_mul_f64_e32 v[26:27], v[28:29], v[24:25]
	s_delay_alu instid0(VALU_DEP_1) | instskip(NEXT) | instid1(VALU_DEP_1)
	v_mul_f64_e32 v[32:33], v[22:23], v[26:27]
	v_fma_f64 v[22:23], v[26:27], v[22:23], -v[32:33]
	s_delay_alu instid0(VALU_DEP_1) | instskip(NEXT) | instid1(VALU_DEP_1)
	v_fmac_f64_e32 v[22:23], v[26:27], v[2:3]
	v_add_f64_e32 v[2:3], v[32:33], v[22:23]
	s_delay_alu instid0(VALU_DEP_1) | instskip(SKIP_1) | instid1(VALU_DEP_2)
	v_add_f64_e64 v[30:31], v[28:29], -v[2:3]
	v_add_f64_e64 v[32:33], v[2:3], -v[32:33]
	;; [unrolled: 1-line block ×3, first 2 shown]
	s_delay_alu instid0(VALU_DEP_2) | instskip(NEXT) | instid1(VALU_DEP_2)
	v_add_f64_e64 v[22:23], v[32:33], -v[22:23]
	v_add_f64_e64 v[2:3], v[28:29], -v[2:3]
	s_delay_alu instid0(VALU_DEP_1) | instskip(NEXT) | instid1(VALU_DEP_1)
	v_add_f64_e32 v[2:3], v[22:23], v[2:3]
	v_add_f64_e32 v[2:3], v[30:31], v[2:3]
	s_delay_alu instid0(VALU_DEP_1) | instskip(NEXT) | instid1(VALU_DEP_1)
	v_mul_f64_e32 v[2:3], v[24:25], v[2:3]
	v_add_f64_e32 v[22:23], v[26:27], v[2:3]
	s_delay_alu instid0(VALU_DEP_1) | instskip(NEXT) | instid1(VALU_DEP_1)
	v_mul_f64_e32 v[24:25], v[22:23], v[22:23]
	v_fmamk_f64 v[28:29], v[24:25], 0x3fc3ab76bf559e2b, v[40:41]
	v_mul_f64_e32 v[30:31], v[22:23], v[24:25]
	s_delay_alu instid0(VALU_DEP_2) | instskip(NEXT) | instid1(VALU_DEP_1)
	v_fmaak_f64 v[28:29], v[24:25], v[28:29], 0x3fc7474dd7f4df2e
	v_fmaak_f64 v[28:29], v[24:25], v[28:29], 0x3fcc71c016291751
	s_delay_alu instid0(VALU_DEP_1) | instskip(NEXT) | instid1(VALU_DEP_1)
	v_fmaak_f64 v[28:29], v[24:25], v[28:29], 0x3fd249249b27acf1
	v_fmaak_f64 v[28:29], v[24:25], v[28:29], 0x3fd99999998ef7b6
	s_delay_alu instid0(VALU_DEP_1) | instskip(SKIP_2) | instid1(VALU_DEP_3)
	v_fmaak_f64 v[24:25], v[24:25], v[28:29], 0x3fe5555555555780
	v_ldexp_f64 v[28:29], v[22:23], 1
	v_add_f64_e64 v[22:23], v[22:23], -v[26:27]
	v_mul_f64_e32 v[24:25], v[30:31], v[24:25]
	v_cvt_f64_i32_e32 v[30:31], v4
	s_delay_alu instid0(VALU_DEP_3) | instskip(NEXT) | instid1(VALU_DEP_3)
	v_add_f64_e64 v[2:3], v[2:3], -v[22:23]
	v_add_f64_e32 v[26:27], v[28:29], v[24:25]
	s_delay_alu instid0(VALU_DEP_3) | instskip(NEXT) | instid1(VALU_DEP_3)
	v_mul_f64_e32 v[32:33], 0x3fe62e42fefa39ef, v[30:31]
	v_ldexp_f64 v[2:3], v[2:3], 1
	s_delay_alu instid0(VALU_DEP_3) | instskip(NEXT) | instid1(VALU_DEP_3)
	v_add_f64_e64 v[22:23], v[26:27], -v[28:29]
	v_fma_f64 v[28:29], v[30:31], s[34:35], -v[32:33]
	s_delay_alu instid0(VALU_DEP_2) | instskip(NEXT) | instid1(VALU_DEP_2)
	v_add_f64_e64 v[22:23], v[24:25], -v[22:23]
	v_fmac_f64_e32 v[28:29], 0x3c7abc9e3b39803f, v[30:31]
	s_delay_alu instid0(VALU_DEP_2) | instskip(NEXT) | instid1(VALU_DEP_2)
	v_add_f64_e32 v[2:3], v[2:3], v[22:23]
	v_add_f64_e32 v[22:23], v[32:33], v[28:29]
	s_delay_alu instid0(VALU_DEP_2) | instskip(NEXT) | instid1(VALU_DEP_2)
	v_add_f64_e32 v[24:25], v[26:27], v[2:3]
	v_add_f64_e64 v[32:33], v[22:23], -v[32:33]
	s_delay_alu instid0(VALU_DEP_2) | instskip(SKIP_1) | instid1(VALU_DEP_3)
	v_add_f64_e32 v[30:31], v[22:23], v[24:25]
	v_add_f64_e64 v[26:27], v[24:25], -v[26:27]
	v_add_f64_e64 v[28:29], v[28:29], -v[32:33]
	s_delay_alu instid0(VALU_DEP_3) | instskip(NEXT) | instid1(VALU_DEP_3)
	v_add_f64_e64 v[52:53], v[30:31], -v[22:23]
	v_add_f64_e64 v[2:3], v[2:3], -v[26:27]
	s_delay_alu instid0(VALU_DEP_2) | instskip(SKIP_1) | instid1(VALU_DEP_3)
	v_add_f64_e64 v[54:55], v[30:31], -v[52:53]
	v_add_f64_e64 v[24:25], v[24:25], -v[52:53]
	v_add_f64_e32 v[26:27], v[28:29], v[2:3]
	s_delay_alu instid0(VALU_DEP_3) | instskip(NEXT) | instid1(VALU_DEP_1)
	v_add_f64_e64 v[22:23], v[22:23], -v[54:55]
	v_add_f64_e32 v[22:23], v[24:25], v[22:23]
	s_delay_alu instid0(VALU_DEP_3) | instskip(NEXT) | instid1(VALU_DEP_2)
	v_add_f64_e64 v[24:25], v[26:27], -v[28:29]
	v_add_f64_e32 v[22:23], v[26:27], v[22:23]
	s_delay_alu instid0(VALU_DEP_2) | instskip(SKIP_1) | instid1(VALU_DEP_3)
	v_add_f64_e64 v[26:27], v[26:27], -v[24:25]
	v_add_f64_e64 v[2:3], v[2:3], -v[24:25]
	v_add_f64_e32 v[32:33], v[30:31], v[22:23]
	s_delay_alu instid0(VALU_DEP_3) | instskip(NEXT) | instid1(VALU_DEP_2)
	v_add_f64_e64 v[24:25], v[28:29], -v[26:27]
	v_add_f64_e64 v[26:27], v[32:33], -v[30:31]
	s_delay_alu instid0(VALU_DEP_2) | instskip(SKIP_1) | instid1(VALU_DEP_3)
	v_add_f64_e32 v[2:3], v[2:3], v[24:25]
	v_mov_b64_e32 v[24:25], 0x7ff8000000000000
	v_add_f64_e64 v[22:23], v[22:23], -v[26:27]
	s_delay_alu instid0(VALU_DEP_1) | instskip(NEXT) | instid1(VALU_DEP_1)
	v_add_f64_e32 v[2:3], v[2:3], v[22:23]
	v_add_f64_e32 v[2:3], v[32:33], v[2:3]
	s_delay_alu instid0(VALU_DEP_1) | instskip(SKIP_1) | instid1(VALU_DEP_2)
	v_dual_cndmask_b32 v2, v2, v6 :: v_dual_cndmask_b32 v3, v3, v7
	v_cmp_ngt_f64_e32 vcc_lo, 0, v[6:7]
	v_cndmask_b32_e32 v3, 0x7ff80000, v3, vcc_lo
	v_cmp_nge_f64_e32 vcc_lo, 0, v[6:7]
	s_delay_alu instid0(VALU_DEP_4) | instskip(SKIP_1) | instid1(VALU_DEP_4)
	v_cndmask_b32_e32 v22, 0, v2, vcc_lo
	v_cmp_neq_f64_e32 vcc_lo, 0, v[6:7]
	v_cndmask_b32_e32 v23, 0xfff00000, v3, vcc_lo
.LBB173_80:                             ;   in Loop: Header=BB173_4 Depth=1
	s_or_b32 exec_lo, exec_lo, s6
                                        ; implicit-def: $vgpr26_vgpr27
	s_delay_alu instid0(SALU_CYCLE_1)
	s_mov_b32 s6, exec_lo
	v_cmpx_o_f64_e32 v[14:15], v[16:17]
	s_xor_b32 s17, exec_lo, s6
	s_cbranch_execz .LBB173_108
; %bb.81:                               ;   in Loop: Header=BB173_4 Depth=1
	v_cmp_lt_f64_e64 s6, |v[14:15]|, |v[16:17]|
	v_and_b32_e32 v4, 0x7fffffff, v15
	v_and_b32_e32 v3, 0x7fffffff, v17
	v_mov_b32_e32 v2, v16
                                        ; implicit-def: $vgpr26_vgpr27
	s_mov_b32 s7, exec_lo
	s_delay_alu instid0(VALU_DEP_2) | instskip(NEXT) | instid1(VALU_DEP_1)
	v_dual_cndmask_b32 v7, v3, v4, s6 :: v_dual_cndmask_b32 v6, v16, v14, s6
	v_cmpx_nlt_f64_e32 s[24:25], v[6:7]
	s_xor_b32 s33, exec_lo, s7
	s_cbranch_execz .LBB173_105
; %bb.82:                               ;   in Loop: Header=BB173_4 Depth=1
	v_dual_cndmask_b32 v31, v4, v3, s6 :: v_dual_cndmask_b32 v30, v14, v2, s6
                                        ; implicit-def: $vgpr26_vgpr27
	s_mov_b32 s7, exec_lo
	s_delay_alu instid0(VALU_DEP_1)
	v_cmpx_neq_f64_e32 1.0, v[30:31]
	s_xor_b32 s54, exec_lo, s7
	s_cbranch_execz .LBB173_98
; %bb.83:                               ;   in Loop: Header=BB173_4 Depth=1
	v_max_num_f64_e32 v[2:3], v[6:7], v[6:7]
	v_max_num_f64_e32 v[26:27], v[30:31], v[30:31]
	s_delay_alu instid0(VALU_DEP_1) | instskip(SKIP_1) | instid1(VALU_DEP_2)
	v_min_num_f64_e32 v[28:29], v[26:27], v[2:3]
	v_max_num_f64_e32 v[2:3], v[26:27], v[2:3]
	v_cmp_ngt_f64_e32 vcc_lo, s[26:27], v[28:29]
	s_delay_alu instid0(VALU_DEP_2) | instskip(SKIP_1) | instid1(SALU_CYCLE_1)
	v_cmp_nlt_f64_e64 s7, s[28:29], v[2:3]
                                        ; implicit-def: $vgpr26_vgpr27
	s_and_b32 s7, s7, vcc_lo
	s_and_saveexec_b32 s8, s7
	s_delay_alu instid0(SALU_CYCLE_1)
	s_xor_b32 s55, exec_lo, s8
	s_cbranch_execz .LBB173_95
; %bb.84:                               ;   in Loop: Header=BB173_4 Depth=1
                                        ; implicit-def: $vgpr26_vgpr27
	s_mov_b32 s7, exec_lo
	v_cmpx_le_f64_e32 1.0, v[30:31]
	s_xor_b32 s10, exec_lo, s7
	s_cbranch_execz .LBB173_86
; %bb.85:                               ;   in Loop: Header=BB173_4 Depth=1
	v_add_f64_e32 v[2:3], -1.0, v[30:31]
	v_cmp_eq_f64_e64 s7, 0, v[16:17]
	v_add_f64_e32 v[26:27], 1.0, v[30:31]
	v_cmp_class_f64_e64 s12, v[14:15], 0x204
	v_cmp_class_f64_e64 s11, v[16:17], 0x204
	s_delay_alu instid0(VALU_DEP_3) | instskip(NEXT) | instid1(VALU_DEP_1)
	v_mul_f64_e32 v[2:3], v[2:3], v[26:27]
	v_fmac_f64_e32 v[2:3], v[6:7], v[6:7]
	s_delay_alu instid0(VALU_DEP_1) | instskip(SKIP_2) | instid1(VALU_DEP_3)
	v_add_f64_e32 v[6:7], 1.0, v[2:3]
	v_cmp_nge_f64_e64 s8, -1.0, v[2:3]
	v_cmp_neq_f64_e64 s9, 0x7ff00000, v[2:3]
	v_frexp_mant_f64_e32 v[26:27], v[6:7]
	v_frexp_exp_i32_f64_e32 v4, v[6:7]
	v_add_f64_e32 v[28:29], -1.0, v[6:7]
	s_delay_alu instid0(VALU_DEP_3) | instskip(NEXT) | instid1(VALU_DEP_2)
	v_cmp_gt_f64_e32 vcc_lo, s[30:31], v[26:27]
	v_add_f64_e64 v[26:27], v[28:29], -v[6:7]
	v_add_f64_e64 v[28:29], v[2:3], -v[28:29]
	v_subrev_co_ci_u32_e64 v4, null, 0, v4, vcc_lo
	s_delay_alu instid0(VALU_DEP_1) | instskip(NEXT) | instid1(VALU_DEP_1)
	v_dual_add_f64 v[26:27], 1.0, v[26:27] :: v_dual_sub_nc_u32 v8, 0, v4
	v_ldexp_f64 v[6:7], v[6:7], v8
	s_delay_alu instid0(VALU_DEP_2) | instskip(NEXT) | instid1(VALU_DEP_2)
	v_add_f64_e32 v[26:27], v[28:29], v[26:27]
	v_add_f64_e32 v[30:31], 1.0, v[6:7]
	v_add_f64_e32 v[54:55], -1.0, v[6:7]
	s_delay_alu instid0(VALU_DEP_3) | instskip(NEXT) | instid1(VALU_DEP_3)
	v_ldexp_f64 v[26:27], v[26:27], v8
	v_add_f64_e32 v[28:29], -1.0, v[30:31]
	s_delay_alu instid0(VALU_DEP_3) | instskip(NEXT) | instid1(VALU_DEP_2)
	v_add_f64_e32 v[56:57], 1.0, v[54:55]
	v_add_f64_e64 v[28:29], v[6:7], -v[28:29]
	s_delay_alu instid0(VALU_DEP_2) | instskip(NEXT) | instid1(VALU_DEP_2)
	v_add_f64_e64 v[6:7], v[6:7], -v[56:57]
	v_add_f64_e32 v[28:29], v[26:27], v[28:29]
	s_delay_alu instid0(VALU_DEP_2) | instskip(NEXT) | instid1(VALU_DEP_2)
	v_add_f64_e32 v[6:7], v[26:27], v[6:7]
	v_add_f64_e32 v[32:33], v[30:31], v[28:29]
	s_delay_alu instid0(VALU_DEP_2) | instskip(NEXT) | instid1(VALU_DEP_2)
	v_add_f64_e32 v[56:57], v[54:55], v[6:7]
	v_rcp_f64_e32 v[52:53], v[32:33]
	v_add_f64_e64 v[30:31], v[32:33], -v[30:31]
	s_delay_alu instid0(VALU_DEP_2) | instskip(NEXT) | instid1(VALU_DEP_2)
	v_add_f64_e64 v[54:55], v[56:57], -v[54:55]
	v_add_f64_e64 v[28:29], v[28:29], -v[30:31]
	s_delay_alu instid0(VALU_DEP_2) | instskip(NEXT) | instid1(TRANS32_DEP_1)
	v_add_f64_e64 v[6:7], v[6:7], -v[54:55]
	v_fma_f64 v[58:59], -v[32:33], v[52:53], 1.0
	s_delay_alu instid0(VALU_DEP_1) | instskip(NEXT) | instid1(VALU_DEP_1)
	v_fmac_f64_e32 v[52:53], v[58:59], v[52:53]
	v_fma_f64 v[26:27], -v[32:33], v[52:53], 1.0
	s_delay_alu instid0(VALU_DEP_1) | instskip(NEXT) | instid1(VALU_DEP_1)
	v_fmac_f64_e32 v[52:53], v[26:27], v[52:53]
	v_mul_f64_e32 v[26:27], v[56:57], v[52:53]
	s_delay_alu instid0(VALU_DEP_1) | instskip(NEXT) | instid1(VALU_DEP_1)
	v_mul_f64_e32 v[58:59], v[32:33], v[26:27]
	v_fma_f64 v[30:31], v[26:27], v[32:33], -v[58:59]
	s_delay_alu instid0(VALU_DEP_1) | instskip(NEXT) | instid1(VALU_DEP_1)
	v_fmac_f64_e32 v[30:31], v[26:27], v[28:29]
	v_add_f64_e32 v[60:61], v[58:59], v[30:31]
	s_delay_alu instid0(VALU_DEP_1) | instskip(SKIP_1) | instid1(VALU_DEP_2)
	v_add_f64_e64 v[62:63], v[56:57], -v[60:61]
	v_add_f64_e64 v[54:55], v[60:61], -v[58:59]
	;; [unrolled: 1-line block ×3, first 2 shown]
	s_delay_alu instid0(VALU_DEP_2) | instskip(NEXT) | instid1(VALU_DEP_2)
	v_add_f64_e64 v[30:31], v[54:55], -v[30:31]
	v_add_f64_e64 v[56:57], v[56:57], -v[60:61]
	s_delay_alu instid0(VALU_DEP_1) | instskip(NEXT) | instid1(VALU_DEP_1)
	v_add_f64_e32 v[6:7], v[6:7], v[56:57]
	v_add_f64_e32 v[6:7], v[30:31], v[6:7]
	s_delay_alu instid0(VALU_DEP_1) | instskip(NEXT) | instid1(VALU_DEP_1)
	v_add_f64_e32 v[30:31], v[62:63], v[6:7]
	v_mul_f64_e32 v[54:55], v[52:53], v[30:31]
	v_add_f64_e64 v[60:61], v[62:63], -v[30:31]
	s_delay_alu instid0(VALU_DEP_2) | instskip(NEXT) | instid1(VALU_DEP_2)
	v_mul_f64_e32 v[56:57], v[32:33], v[54:55]
	v_add_f64_e32 v[6:7], v[6:7], v[60:61]
	s_delay_alu instid0(VALU_DEP_2) | instskip(NEXT) | instid1(VALU_DEP_1)
	v_fma_f64 v[32:33], v[54:55], v[32:33], -v[56:57]
	v_fmac_f64_e32 v[32:33], v[54:55], v[28:29]
	s_delay_alu instid0(VALU_DEP_1) | instskip(NEXT) | instid1(VALU_DEP_1)
	v_add_f64_e32 v[28:29], v[56:57], v[32:33]
	v_add_f64_e64 v[58:59], v[30:31], -v[28:29]
	v_add_f64_e64 v[56:57], v[28:29], -v[56:57]
	s_delay_alu instid0(VALU_DEP_2) | instskip(NEXT) | instid1(VALU_DEP_1)
	v_add_f64_e64 v[30:31], v[30:31], -v[58:59]
	v_add_f64_e64 v[28:29], v[30:31], -v[28:29]
	s_delay_alu instid0(VALU_DEP_3) | instskip(SKIP_1) | instid1(VALU_DEP_3)
	v_add_f64_e64 v[30:31], v[56:57], -v[32:33]
	v_max_num_f64_e64 v[32:33], |v[14:15]|, |v[14:15]|
	v_add_f64_e32 v[6:7], v[6:7], v[28:29]
	v_add_f64_e32 v[28:29], v[26:27], v[54:55]
	s_delay_alu instid0(VALU_DEP_2) | instskip(NEXT) | instid1(VALU_DEP_2)
	v_add_f64_e32 v[6:7], v[30:31], v[6:7]
	v_add_f64_e64 v[26:27], v[28:29], -v[26:27]
	v_max_num_f64_e64 v[30:31], |v[16:17]|, |v[16:17]|
	s_delay_alu instid0(VALU_DEP_3) | instskip(NEXT) | instid1(VALU_DEP_3)
	v_add_f64_e32 v[6:7], v[58:59], v[6:7]
	v_add_f64_e64 v[26:27], v[54:55], -v[26:27]
	s_delay_alu instid0(VALU_DEP_2) | instskip(NEXT) | instid1(VALU_DEP_1)
	v_mul_f64_e32 v[6:7], v[52:53], v[6:7]
	v_add_f64_e32 v[6:7], v[26:27], v[6:7]
	v_max_num_f64_e32 v[26:27], v[32:33], v[30:31]
	v_min_num_f64_e32 v[30:31], v[32:33], v[30:31]
	s_delay_alu instid0(VALU_DEP_3) | instskip(NEXT) | instid1(VALU_DEP_2)
	v_add_f64_e32 v[32:33], v[28:29], v[6:7]
	v_div_scale_f64 v[52:53], null, v[26:27], v[26:27], v[30:31]
	s_delay_alu instid0(VALU_DEP_2) | instskip(SKIP_1) | instid1(VALU_DEP_3)
	v_mul_f64_e32 v[54:55], v[32:33], v[32:33]
	v_add_f64_e64 v[28:29], v[32:33], -v[28:29]
	v_rcp_f64_e32 v[56:57], v[52:53]
	s_delay_alu instid0(VALU_DEP_2) | instskip(SKIP_1) | instid1(VALU_DEP_3)
	v_fmamk_f64 v[58:59], v[54:55], 0x3fc3ab76bf559e2b, v[40:41]
	v_mul_f64_e32 v[60:61], v[32:33], v[54:55]
	v_add_f64_e64 v[6:7], v[6:7], -v[28:29]
	s_delay_alu instid0(VALU_DEP_3) | instskip(NEXT) | instid1(TRANS32_DEP_1)
	v_fmaak_f64 v[58:59], v[54:55], v[58:59], 0x3fc7474dd7f4df2e
	v_fma_f64 v[62:63], -v[52:53], v[56:57], 1.0
	s_delay_alu instid0(VALU_DEP_2) | instskip(NEXT) | instid1(VALU_DEP_1)
	v_fmaak_f64 v[58:59], v[54:55], v[58:59], 0x3fcc71c016291751
	v_fmaak_f64 v[58:59], v[54:55], v[58:59], 0x3fd249249b27acf1
	s_delay_alu instid0(VALU_DEP_1) | instskip(SKIP_1) | instid1(VALU_DEP_2)
	v_fmaak_f64 v[58:59], v[54:55], v[58:59], 0x3fd99999998ef7b6
	v_ldexp_f64 v[6:7], v[6:7], 1
	v_fmaak_f64 v[54:55], v[54:55], v[58:59], 0x3fe5555555555780
	v_ldexp_f64 v[58:59], v[32:33], 1
	v_fmac_f64_e32 v[56:57], v[56:57], v[62:63]
	s_delay_alu instid0(VALU_DEP_3) | instskip(SKIP_2) | instid1(VALU_DEP_4)
	v_mul_f64_e32 v[54:55], v[60:61], v[54:55]
	v_cvt_f64_i32_e32 v[60:61], v4
	v_ashrrev_i32_e32 v4, 31, v15
	v_fma_f64 v[62:63], -v[52:53], v[56:57], 1.0
	s_delay_alu instid0(VALU_DEP_4) | instskip(NEXT) | instid1(VALU_DEP_4)
	v_add_f64_e32 v[32:33], v[58:59], v[54:55]
	v_mul_f64_e32 v[64:65], 0x3fe62e42fefa39ef, v[60:61]
	s_delay_alu instid0(VALU_DEP_3) | instskip(NEXT) | instid1(VALU_DEP_3)
	v_fmac_f64_e32 v[56:57], v[56:57], v[62:63]
	v_add_f64_e64 v[28:29], v[32:33], -v[58:59]
	v_div_scale_f64 v[58:59], vcc_lo, v[30:31], v[26:27], v[30:31]
	s_delay_alu instid0(VALU_DEP_4) | instskip(NEXT) | instid1(VALU_DEP_3)
	v_fma_f64 v[62:63], v[60:61], s[34:35], -v[64:65]
	v_add_f64_e64 v[28:29], v[54:55], -v[28:29]
	s_delay_alu instid0(VALU_DEP_3) | instskip(NEXT) | instid1(VALU_DEP_3)
	v_mul_f64_e32 v[54:55], v[58:59], v[56:57]
	v_fmac_f64_e32 v[62:63], 0x3c7abc9e3b39803f, v[60:61]
	s_delay_alu instid0(VALU_DEP_3) | instskip(NEXT) | instid1(VALU_DEP_3)
	v_add_f64_e32 v[6:7], v[6:7], v[28:29]
	v_fma_f64 v[28:29], -v[52:53], v[54:55], v[58:59]
	s_delay_alu instid0(VALU_DEP_3) | instskip(NEXT) | instid1(VALU_DEP_3)
	v_add_f64_e32 v[52:53], v[64:65], v[62:63]
	v_add_f64_e32 v[58:59], v[32:33], v[6:7]
	s_delay_alu instid0(VALU_DEP_3) | instskip(SKIP_1) | instid1(VALU_DEP_4)
	v_div_fmas_f64 v[28:29], v[28:29], v[56:57], v[54:55]
	v_cmp_gt_i32_e32 vcc_lo, 0, v15
	v_add_f64_e64 v[56:57], v[52:53], -v[64:65]
	v_cndmask_b32_e32 v8, 0x54442d18, v68, vcc_lo
	v_cndmask_b32_e32 v14, 0x3fe921fb, v69, vcc_lo
	s_delay_alu instid0(VALU_DEP_1) | instskip(SKIP_4) | instid1(VALU_DEP_4)
	v_bfi_b32 v14, 0x7fffffff, v14, v17
	v_add_f64_e32 v[54:55], v[52:53], v[58:59]
	v_div_fixup_f64 v[26:27], v[28:29], v[26:27], v[30:31]
	v_add_f64_e64 v[32:33], v[58:59], -v[32:33]
	v_add_f64_e64 v[56:57], v[62:63], -v[56:57]
	;; [unrolled: 1-line block ×3, first 2 shown]
	s_delay_alu instid0(VALU_DEP_4) | instskip(NEXT) | instid1(VALU_DEP_4)
	v_mul_f64_e32 v[30:31], v[26:27], v[26:27]
	v_add_f64_e64 v[6:7], v[6:7], -v[32:33]
	s_delay_alu instid0(VALU_DEP_3) | instskip(NEXT) | instid1(VALU_DEP_3)
	v_add_f64_e64 v[60:61], v[54:55], -v[28:29]
	v_fmamk_f64 v[64:65], v[30:31], 0x3eeba404b5e68a13, v[42:43]
	v_add_f64_e64 v[28:29], v[58:59], -v[28:29]
	s_delay_alu instid0(VALU_DEP_4) | instskip(NEXT) | instid1(VALU_DEP_3)
	v_add_f64_e32 v[58:59], v[56:57], v[6:7]
	v_fmaak_f64 v[64:65], v[30:31], v[64:65], 0x3f4b2bb069efb384
	v_add_f64_e64 v[32:33], v[52:53], -v[60:61]
	s_delay_alu instid0(VALU_DEP_2) | instskip(NEXT) | instid1(VALU_DEP_1)
	v_fmaak_f64 v[52:53], v[30:31], v[64:65], 0xbf67952daf56de9b
	v_fmaak_f64 v[52:53], v[30:31], v[52:53], 0x3f7d6d43a595c56f
	s_delay_alu instid0(VALU_DEP_1) | instskip(NEXT) | instid1(VALU_DEP_1)
	v_fmaak_f64 v[52:53], v[30:31], v[52:53], 0xbf8c6ea4a57d9582
	v_fmaak_f64 v[52:53], v[30:31], v[52:53], 0x3f967e295f08b19f
	s_delay_alu instid0(VALU_DEP_1) | instskip(SKIP_1) | instid1(VALU_DEP_2)
	v_fmaak_f64 v[52:53], v[30:31], v[52:53], 0xbf9e9ae6fc27006a
	v_add_f64_e32 v[28:29], v[28:29], v[32:33]
	v_fmaak_f64 v[32:33], v[30:31], v[52:53], 0x3fa2c15b5711927a
	v_add_f64_e64 v[52:53], v[58:59], -v[56:57]
	s_delay_alu instid0(VALU_DEP_2) | instskip(NEXT) | instid1(VALU_DEP_1)
	v_fmaak_f64 v[32:33], v[30:31], v[32:33], 0xbfa59976e82d3ff0
	v_fmaak_f64 v[32:33], v[30:31], v[32:33], 0x3fa82d5d6ef28734
	s_delay_alu instid0(VALU_DEP_1) | instskip(NEXT) | instid1(VALU_DEP_1)
	v_fmaak_f64 v[32:33], v[30:31], v[32:33], 0xbfaae5ce6a214619
	v_fmaak_f64 v[32:33], v[30:31], v[32:33], 0x3fae1bb48427b883
	v_add_f64_e32 v[28:29], v[58:59], v[28:29]
	v_add_f64_e64 v[58:59], v[58:59], -v[52:53]
	v_add_f64_e64 v[6:7], v[6:7], -v[52:53]
	s_delay_alu instid0(VALU_DEP_4) | instskip(NEXT) | instid1(VALU_DEP_1)
	v_fmaak_f64 v[32:33], v[30:31], v[32:33], 0xbfb110e48b207f05
	v_fmaak_f64 v[32:33], v[30:31], v[32:33], 0x3fb3b13657b87036
	s_delay_alu instid0(VALU_DEP_1) | instskip(NEXT) | instid1(VALU_DEP_1)
	v_fmaak_f64 v[32:33], v[30:31], v[32:33], 0xbfb745d119378e4f
	v_fmaak_f64 v[32:33], v[30:31], v[32:33], 0x3fbc71c717e1913c
	v_add_f64_e32 v[60:61], v[54:55], v[28:29]
	s_delay_alu instid0(VALU_DEP_2) | instskip(NEXT) | instid1(VALU_DEP_1)
	v_fmaak_f64 v[32:33], v[30:31], v[32:33], 0xbfc2492492376b7d
	v_fmaak_f64 v[32:33], v[30:31], v[32:33], 0x3fc99999999952cc
	s_delay_alu instid0(VALU_DEP_1) | instskip(NEXT) | instid1(VALU_DEP_1)
	v_fmaak_f64 v[32:33], v[30:31], v[32:33], 0xbfd5555555555523
	v_mul_f64_e32 v[30:31], v[30:31], v[32:33]
	v_add_f64_e64 v[32:33], v[56:57], -v[58:59]
	v_add_f64_e64 v[52:53], v[60:61], -v[54:55]
	s_delay_alu instid0(VALU_DEP_3) | instskip(NEXT) | instid1(VALU_DEP_3)
	v_fmac_f64_e32 v[26:27], v[26:27], v[30:31]
	v_add_f64_e32 v[6:7], v[6:7], v[32:33]
	s_delay_alu instid0(VALU_DEP_3) | instskip(NEXT) | instid1(VALU_DEP_3)
	v_add_f64_e64 v[28:29], v[28:29], -v[52:53]
	v_add_f64_e64 v[30:31], -v[26:27], s[40:41]
	s_delay_alu instid0(VALU_DEP_2) | instskip(NEXT) | instid1(VALU_DEP_2)
	v_add_f64_e32 v[6:7], v[6:7], v[28:29]
	v_dual_cndmask_b32 v27, v27, v31, s6 :: v_dual_cndmask_b32 v26, v26, v30, s6
	v_and_b32_e32 v30, 0x54442d18, v4
	v_and_b32_e32 v4, 0x400921fb, v4
	s_delay_alu instid0(VALU_DEP_3) | instskip(NEXT) | instid1(VALU_DEP_1)
	v_add_f64_e64 v[28:29], -v[26:27], s[42:43]
	v_dual_add_f64 v[6:7], v[60:61], v[6:7] :: v_dual_cndmask_b32 v26, v26, v28, vcc_lo
	s_delay_alu instid0(VALU_DEP_2) | instskip(SKIP_1) | instid1(VALU_DEP_3)
	v_cndmask_b32_e32 v15, v27, v29, vcc_lo
	v_cmp_ngt_f64_e32 vcc_lo, -1.0, v[2:3]
	v_mul_f64_e32 v[6:7], 0.5, v[6:7]
	s_delay_alu instid0(VALU_DEP_3)
	v_dual_cndmask_b32 v28, v26, v30, s7 :: v_dual_cndmask_b32 v4, v15, v4, s7
	s_and_b32 s7, s8, s9
                                        ; implicit-def: $vgpr30_vgpr31
	s_delay_alu instid0(VALU_DEP_2) | instid1(SALU_CYCLE_1)
	v_cndmask_b32_e64 v26, 0, v6, s7
	v_cmp_neq_f64_e64 s7, -1.0, v[2:3]
	s_delay_alu instid0(VALU_DEP_4) | instskip(NEXT) | instid1(VALU_DEP_1)
	v_cndmask_b32_e64 v7, 0x7ff00000, v7, s9
	v_cndmask_b32_e32 v7, 0x7ff80000, v7, vcc_lo
	s_and_b32 vcc_lo, s11, s12
	v_cndmask_b32_e32 v29, v4, v14, vcc_lo
	v_cndmask_b32_e32 v28, v28, v8, vcc_lo
	s_delay_alu instid0(VALU_DEP_3)
	v_cndmask_b32_e64 v27, 0xfff00000, v7, s7
                                        ; implicit-def: $vgpr6_vgpr7
.LBB173_86:                             ;   in Loop: Header=BB173_4 Depth=1
	s_and_not1_saveexec_b32 s56, s10
	s_cbranch_execz .LBB173_94
; %bb.87:                               ;   in Loop: Header=BB173_4 Depth=1
	v_mul_f64_e32 v[2:3], v[6:7], v[6:7]
                                        ; implicit-def: $vgpr26_vgpr27
	s_mov_b32 s7, exec_lo
	s_delay_alu instid0(VALU_DEP_1) | instskip(NEXT) | instid1(VALU_DEP_1)
	v_fmac_f64_e32 v[2:3], v[30:31], v[30:31]
	v_cmpx_ge_f64_e32 s[44:45], v[2:3]
	s_xor_b32 s9, exec_lo, s7
	s_cbranch_execz .LBB173_89
; %bb.88:                               ;   in Loop: Header=BB173_4 Depth=1
	v_frexp_mant_f64_e32 v[6:7], v[2:3]
	v_cmp_eq_f64_e64 s7, 0, v[16:17]
	v_cmp_neq_f64_e64 s8, 0, v[2:3]
	v_cmp_class_f64_e64 s10, v[16:17], 0x204
	v_cmp_class_f64_e64 s11, v[14:15], 0x204
	v_cmp_gt_f64_e32 vcc_lo, s[30:31], v[6:7]
	v_cndmask_b32_e64 v4, 0, 1, vcc_lo
	s_delay_alu instid0(VALU_DEP_1) | instskip(SKIP_1) | instid1(VALU_DEP_2)
	v_ldexp_f64 v[6:7], v[6:7], v4
	v_frexp_exp_i32_f64_e32 v4, v[2:3]
	v_add_f64_e32 v[26:27], 1.0, v[6:7]
	v_add_f64_e32 v[32:33], -1.0, v[6:7]
	s_delay_alu instid0(VALU_DEP_3) | instskip(NEXT) | instid1(VALU_DEP_3)
	v_subrev_co_ci_u32_e64 v4, null, 0, v4, vcc_lo
	v_rcp_f64_e32 v[28:29], v[26:27]
	v_add_f64_e32 v[52:53], -1.0, v[26:27]
	s_delay_alu instid0(VALU_DEP_1) | instskip(NEXT) | instid1(TRANS32_DEP_1)
	v_add_f64_e64 v[6:7], v[6:7], -v[52:53]
	v_fma_f64 v[30:31], -v[26:27], v[28:29], 1.0
	s_delay_alu instid0(VALU_DEP_1) | instskip(NEXT) | instid1(VALU_DEP_1)
	v_fmac_f64_e32 v[28:29], v[30:31], v[28:29]
	v_fma_f64 v[30:31], -v[26:27], v[28:29], 1.0
	s_delay_alu instid0(VALU_DEP_1) | instskip(NEXT) | instid1(VALU_DEP_1)
	v_fmac_f64_e32 v[28:29], v[30:31], v[28:29]
	v_mul_f64_e32 v[30:31], v[32:33], v[28:29]
	s_delay_alu instid0(VALU_DEP_1) | instskip(NEXT) | instid1(VALU_DEP_1)
	v_mul_f64_e32 v[54:55], v[26:27], v[30:31]
	v_fma_f64 v[26:27], v[30:31], v[26:27], -v[54:55]
	s_delay_alu instid0(VALU_DEP_1) | instskip(NEXT) | instid1(VALU_DEP_1)
	v_fmac_f64_e32 v[26:27], v[30:31], v[6:7]
	v_add_f64_e32 v[6:7], v[54:55], v[26:27]
	s_delay_alu instid0(VALU_DEP_1) | instskip(SKIP_1) | instid1(VALU_DEP_2)
	v_add_f64_e64 v[52:53], v[32:33], -v[6:7]
	v_add_f64_e64 v[54:55], v[6:7], -v[54:55]
	v_add_f64_e64 v[32:33], v[32:33], -v[52:53]
	s_delay_alu instid0(VALU_DEP_2) | instskip(NEXT) | instid1(VALU_DEP_2)
	v_add_f64_e64 v[26:27], v[54:55], -v[26:27]
	v_add_f64_e64 v[6:7], v[32:33], -v[6:7]
	v_max_num_f64_e64 v[32:33], |v[14:15]|, |v[14:15]|
	s_delay_alu instid0(VALU_DEP_2) | instskip(SKIP_1) | instid1(VALU_DEP_2)
	v_add_f64_e32 v[6:7], v[26:27], v[6:7]
	v_max_num_f64_e64 v[26:27], |v[16:17]|, |v[16:17]|
	v_add_f64_e32 v[6:7], v[52:53], v[6:7]
	s_delay_alu instid0(VALU_DEP_1) | instskip(NEXT) | instid1(VALU_DEP_3)
	v_mul_f64_e32 v[6:7], v[28:29], v[6:7]
	v_max_num_f64_e32 v[28:29], v[32:33], v[26:27]
	v_min_num_f64_e32 v[26:27], v[32:33], v[26:27]
	s_delay_alu instid0(VALU_DEP_3) | instskip(NEXT) | instid1(VALU_DEP_2)
	v_add_f64_e32 v[32:33], v[30:31], v[6:7]
	v_div_scale_f64 v[52:53], null, v[28:29], v[28:29], v[26:27]
	s_delay_alu instid0(VALU_DEP_2) | instskip(NEXT) | instid1(VALU_DEP_2)
	v_mul_f64_e32 v[54:55], v[32:33], v[32:33]
	v_rcp_f64_e32 v[56:57], v[52:53]
	s_delay_alu instid0(VALU_DEP_1) | instskip(SKIP_1) | instid1(VALU_DEP_2)
	v_fmamk_f64 v[58:59], v[54:55], 0x3fc3ab76bf559e2b, v[40:41]
	v_mul_f64_e32 v[60:61], v[32:33], v[54:55]
	v_fmaak_f64 v[58:59], v[54:55], v[58:59], 0x3fc7474dd7f4df2e
	s_delay_alu instid0(TRANS32_DEP_1) | instskip(NEXT) | instid1(VALU_DEP_2)
	v_fma_f64 v[62:63], -v[52:53], v[56:57], 1.0
	v_fmaak_f64 v[58:59], v[54:55], v[58:59], 0x3fcc71c016291751
	s_delay_alu instid0(VALU_DEP_1) | instskip(NEXT) | instid1(VALU_DEP_1)
	v_fmaak_f64 v[58:59], v[54:55], v[58:59], 0x3fd249249b27acf1
	v_fmaak_f64 v[58:59], v[54:55], v[58:59], 0x3fd99999998ef7b6
	s_delay_alu instid0(VALU_DEP_1) | instskip(SKIP_2) | instid1(VALU_DEP_3)
	v_fmaak_f64 v[54:55], v[54:55], v[58:59], 0x3fe5555555555780
	v_ldexp_f64 v[58:59], v[32:33], 1
	v_fmac_f64_e32 v[56:57], v[56:57], v[62:63]
	v_mul_f64_e32 v[54:55], v[60:61], v[54:55]
	v_cvt_f64_i32_e32 v[60:61], v4
	v_ashrrev_i32_e32 v4, 31, v15
	v_add_f64_e64 v[30:31], v[32:33], -v[30:31]
	s_delay_alu instid0(VALU_DEP_2) | instskip(SKIP_4) | instid1(VALU_DEP_4)
	v_and_b32_e32 v3, 0x400921fb, v4
	v_fma_f64 v[62:63], -v[52:53], v[56:57], 1.0
	v_add_f64_e32 v[32:33], v[58:59], v[54:55]
	v_mul_f64_e32 v[64:65], 0x3fe62e42fefa39ef, v[60:61]
	v_add_f64_e64 v[6:7], v[6:7], -v[30:31]
	v_fmac_f64_e32 v[56:57], v[56:57], v[62:63]
	s_delay_alu instid0(VALU_DEP_4) | instskip(SKIP_3) | instid1(VALU_DEP_4)
	v_add_f64_e64 v[30:31], v[32:33], -v[58:59]
	v_div_scale_f64 v[58:59], vcc_lo, v[26:27], v[28:29], v[26:27]
	v_fma_f64 v[62:63], v[60:61], s[34:35], -v[64:65]
	v_ldexp_f64 v[6:7], v[6:7], 1
	v_add_f64_e64 v[30:31], v[54:55], -v[30:31]
	s_delay_alu instid0(VALU_DEP_4) | instskip(NEXT) | instid1(VALU_DEP_4)
	v_mul_f64_e32 v[54:55], v[58:59], v[56:57]
	v_fmac_f64_e32 v[62:63], 0x3c7abc9e3b39803f, v[60:61]
	s_delay_alu instid0(VALU_DEP_3) | instskip(NEXT) | instid1(VALU_DEP_3)
	v_add_f64_e32 v[6:7], v[6:7], v[30:31]
	v_fma_f64 v[30:31], -v[52:53], v[54:55], v[58:59]
	s_delay_alu instid0(VALU_DEP_3) | instskip(NEXT) | instid1(VALU_DEP_3)
	v_add_f64_e32 v[52:53], v[64:65], v[62:63]
	v_add_f64_e32 v[58:59], v[32:33], v[6:7]
	s_delay_alu instid0(VALU_DEP_3) | instskip(SKIP_1) | instid1(VALU_DEP_4)
	v_div_fmas_f64 v[30:31], v[30:31], v[56:57], v[54:55]
	v_cmp_gt_i32_e32 vcc_lo, 0, v15
	v_add_f64_e64 v[56:57], v[52:53], -v[64:65]
	v_cndmask_b32_e32 v2, 0x3fe921fb, v69, vcc_lo
	v_cndmask_b32_e32 v8, 0x54442d18, v68, vcc_lo
	s_delay_alu instid0(VALU_DEP_2) | instskip(SKIP_4) | instid1(VALU_DEP_4)
	v_bfi_b32 v2, 0x7fffffff, v2, v17
	v_add_f64_e32 v[54:55], v[52:53], v[58:59]
	v_div_fixup_f64 v[26:27], v[30:31], v[28:29], v[26:27]
	v_add_f64_e64 v[32:33], v[58:59], -v[32:33]
	v_add_f64_e64 v[56:57], v[62:63], -v[56:57]
	;; [unrolled: 1-line block ×3, first 2 shown]
	s_delay_alu instid0(VALU_DEP_4) | instskip(NEXT) | instid1(VALU_DEP_4)
	v_mul_f64_e32 v[30:31], v[26:27], v[26:27]
	v_add_f64_e64 v[6:7], v[6:7], -v[32:33]
	s_delay_alu instid0(VALU_DEP_3) | instskip(NEXT) | instid1(VALU_DEP_3)
	v_add_f64_e64 v[60:61], v[54:55], -v[28:29]
	v_fmamk_f64 v[64:65], v[30:31], 0x3eeba404b5e68a13, v[42:43]
	v_add_f64_e64 v[28:29], v[58:59], -v[28:29]
	s_delay_alu instid0(VALU_DEP_4) | instskip(NEXT) | instid1(VALU_DEP_3)
	v_add_f64_e32 v[58:59], v[56:57], v[6:7]
	v_fmaak_f64 v[64:65], v[30:31], v[64:65], 0x3f4b2bb069efb384
	s_delay_alu instid0(VALU_DEP_1) | instskip(SKIP_1) | instid1(VALU_DEP_2)
	v_fmaak_f64 v[64:65], v[30:31], v[64:65], 0xbf67952daf56de9b
	v_add_f64_e64 v[32:33], v[52:53], -v[60:61]
	v_fmaak_f64 v[52:53], v[30:31], v[64:65], 0x3f7d6d43a595c56f
	s_delay_alu instid0(VALU_DEP_1) | instskip(NEXT) | instid1(VALU_DEP_1)
	v_fmaak_f64 v[52:53], v[30:31], v[52:53], 0xbf8c6ea4a57d9582
	v_fmaak_f64 v[52:53], v[30:31], v[52:53], 0x3f967e295f08b19f
	s_delay_alu instid0(VALU_DEP_1) | instskip(NEXT) | instid1(VALU_DEP_1)
	v_fmaak_f64 v[52:53], v[30:31], v[52:53], 0xbf9e9ae6fc27006a
	v_fmaak_f64 v[52:53], v[30:31], v[52:53], 0x3fa2c15b5711927a
	v_add_f64_e32 v[28:29], v[28:29], v[32:33]
	s_delay_alu instid0(VALU_DEP_2) | instskip(SKIP_1) | instid1(VALU_DEP_2)
	v_fmaak_f64 v[32:33], v[30:31], v[52:53], 0xbfa59976e82d3ff0
	v_add_f64_e64 v[52:53], v[58:59], -v[56:57]
	v_fmaak_f64 v[32:33], v[30:31], v[32:33], 0x3fa82d5d6ef28734
	s_delay_alu instid0(VALU_DEP_1) | instskip(NEXT) | instid1(VALU_DEP_1)
	v_fmaak_f64 v[32:33], v[30:31], v[32:33], 0xbfaae5ce6a214619
	v_fmaak_f64 v[32:33], v[30:31], v[32:33], 0x3fae1bb48427b883
	s_delay_alu instid0(VALU_DEP_1) | instskip(SKIP_3) | instid1(VALU_DEP_4)
	v_fmaak_f64 v[32:33], v[30:31], v[32:33], 0xbfb110e48b207f05
	v_add_f64_e32 v[28:29], v[58:59], v[28:29]
	v_add_f64_e64 v[58:59], v[58:59], -v[52:53]
	v_add_f64_e64 v[6:7], v[6:7], -v[52:53]
	v_fmaak_f64 v[32:33], v[30:31], v[32:33], 0x3fb3b13657b87036
	s_delay_alu instid0(VALU_DEP_1) | instskip(NEXT) | instid1(VALU_DEP_1)
	v_fmaak_f64 v[32:33], v[30:31], v[32:33], 0xbfb745d119378e4f
	v_fmaak_f64 v[32:33], v[30:31], v[32:33], 0x3fbc71c717e1913c
	s_delay_alu instid0(VALU_DEP_1) | instskip(SKIP_1) | instid1(VALU_DEP_2)
	v_fmaak_f64 v[32:33], v[30:31], v[32:33], 0xbfc2492492376b7d
	v_add_f64_e32 v[60:61], v[54:55], v[28:29]
	v_fmaak_f64 v[32:33], v[30:31], v[32:33], 0x3fc99999999952cc
	s_delay_alu instid0(VALU_DEP_1) | instskip(NEXT) | instid1(VALU_DEP_1)
	v_fmaak_f64 v[32:33], v[30:31], v[32:33], 0xbfd5555555555523
	v_mul_f64_e32 v[30:31], v[30:31], v[32:33]
	v_add_f64_e64 v[32:33], v[56:57], -v[58:59]
	v_add_f64_e64 v[52:53], v[60:61], -v[54:55]
	s_delay_alu instid0(VALU_DEP_3) | instskip(NEXT) | instid1(VALU_DEP_3)
	v_fmac_f64_e32 v[26:27], v[26:27], v[30:31]
	v_add_f64_e32 v[6:7], v[6:7], v[32:33]
	s_delay_alu instid0(VALU_DEP_3) | instskip(NEXT) | instid1(VALU_DEP_3)
	v_add_f64_e64 v[28:29], v[28:29], -v[52:53]
	v_add_f64_e64 v[30:31], -v[26:27], s[40:41]
	s_delay_alu instid0(VALU_DEP_2) | instskip(NEXT) | instid1(VALU_DEP_2)
	v_add_f64_e32 v[6:7], v[6:7], v[28:29]
	v_dual_cndmask_b32 v27, v27, v31, s6 :: v_dual_cndmask_b32 v26, v26, v30, s6
	v_and_b32_e32 v30, 0x54442d18, v4
	s_delay_alu instid0(VALU_DEP_2) | instskip(NEXT) | instid1(VALU_DEP_1)
	v_add_f64_e64 v[28:29], -v[26:27], s[42:43]
	v_dual_add_f64 v[6:7], v[60:61], v[6:7] :: v_dual_cndmask_b32 v26, v26, v28, vcc_lo
	s_delay_alu instid0(VALU_DEP_2) | instskip(SKIP_1) | instid1(VALU_DEP_1)
	v_cndmask_b32_e32 v4, v27, v29, vcc_lo
	s_and_b32 vcc_lo, s10, s11
	v_dual_cndmask_b32 v14, v26, v30, s7 :: v_dual_cndmask_b32 v3, v4, v3, s7
                                        ; implicit-def: $vgpr30_vgpr31
	s_delay_alu instid0(VALU_DEP_1) | instskip(NEXT) | instid1(VALU_DEP_2)
	v_dual_mul_f64 v[6:7], 0.5, v[6:7] :: v_dual_cndmask_b32 v28, v14, v8, vcc_lo
	v_cndmask_b32_e32 v29, v3, v2, vcc_lo
	s_delay_alu instid0(VALU_DEP_2) | instskip(NEXT) | instid1(VALU_DEP_3)
	v_cndmask_b32_e64 v27, 0xfff00000, v7, s8
	v_cndmask_b32_e64 v26, 0, v6, s8
                                        ; implicit-def: $vgpr6_vgpr7
.LBB173_89:                             ;   in Loop: Header=BB173_4 Depth=1
	s_and_not1_saveexec_b32 s57, s9
	s_cbranch_execz .LBB173_93
; %bb.90:                               ;   in Loop: Header=BB173_4 Depth=1
	v_and_b32_e32 v37, 0x7ffffff8, v31
	v_and_b32_e32 v27, 0x7ffffff8, v7
	v_mov_b32_e32 v26, v36
	s_mov_b32 s58, 0
	s_delay_alu instid0(VALU_DEP_3) | instskip(NEXT) | instid1(VALU_DEP_2)
	v_dual_add_f64 v[2:3], v[30:31], -v[36:37] :: v_dual_mov_b32 v30, v36
	v_dual_add_f64 v[6:7], v[6:7], -v[26:27] :: v_dual_mov_b32 v32, v36
	v_add_f64_e32 v[52:53], v[36:37], v[36:37]
	v_add_f64_e32 v[60:61], v[26:27], v[26:27]
	v_mul_f64_e32 v[28:29], v[26:27], v[26:27]
	v_and_b32_e32 v31, -8, v3
	v_and_b32_e32 v33, -8, v7
	s_delay_alu instid0(VALU_DEP_2) | instskip(SKIP_1) | instid1(VALU_DEP_3)
	v_add_f64_e64 v[62:63], v[2:3], -v[30:31]
	v_add_f64_e32 v[66:67], v[30:31], v[30:31]
	v_add_f64_e64 v[64:65], v[6:7], -v[32:33]
	v_add_f64_e32 v[70:71], v[32:33], v[32:33]
	v_mul_f64_e32 v[2:3], v[36:37], v[36:37]
	v_mul_f64_e32 v[58:59], v[52:53], v[30:31]
	;; [unrolled: 1-line block ×11, first 2 shown]
.LBB173_91:                             ;   Parent Loop BB173_4 Depth=1
                                        ; =>  This Inner Loop Header: Depth=2
	v_cmp_nlt_f64_e32 vcc_lo, v[2:3], v[28:29]
	v_dual_cndmask_b32 v65, v3, v29 :: v_dual_cndmask_b32 v64, v2, v28
	v_dual_cndmask_b32 v3, v29, v3 :: v_dual_cndmask_b32 v2, v28, v2
	s_delay_alu instid0(VALU_DEP_2) | instskip(NEXT) | instid1(VALU_DEP_1)
	v_cmp_nlt_f64_e64 s7, v[64:65], v[58:59]
	v_dual_cndmask_b32 v67, v65, v59, s7 :: v_dual_cndmask_b32 v66, v64, v58, s7
	v_dual_cndmask_b32 v29, v59, v65, s7 :: v_dual_cndmask_b32 v28, v58, v64, s7
	s_and_b32 s7, vcc_lo, s7
	s_delay_alu instid0(VALU_DEP_2) | instskip(NEXT) | instid1(VALU_DEP_1)
	v_cmp_nlt_f64_e64 s8, v[66:67], v[26:27]
	v_dual_cndmask_b32 v71, v67, v27, s8 :: v_dual_cndmask_b32 v70, v66, v26, s8
	v_dual_cndmask_b32 v59, v27, v67, s8 :: v_dual_cndmask_b32 v58, v26, v66, s8
	s_delay_alu instid0(VALU_DEP_2) | instskip(NEXT) | instid1(VALU_DEP_1)
	v_cmp_nlt_f64_e64 s9, v[70:71], v[56:57]
	v_dual_cndmask_b32 v73, v71, v57, s9 :: v_dual_cndmask_b32 v72, v70, v56, s9
	v_dual_cndmask_b32 v27, v57, v71, s9 :: v_dual_cndmask_b32 v26, v56, v70, s9
	s_and_b32 s8, s8, s9
	s_delay_alu instid0(VALU_DEP_2) | instskip(NEXT) | instid1(VALU_DEP_1)
	v_cmp_nlt_f64_e64 s10, v[72:73], v[6:7]
	v_dual_cndmask_b32 v75, v73, v7, s10 :: v_dual_cndmask_b32 v74, v72, v6, s10
	v_dual_cndmask_b32 v57, v7, v73, s10 :: v_dual_cndmask_b32 v56, v6, v72, s10
	s_delay_alu instid0(VALU_DEP_2) | instskip(NEXT) | instid1(VALU_DEP_1)
	v_cmp_nlt_f64_e64 s11, v[74:75], v[54:55]
	v_dual_cndmask_b32 v77, v75, v55, s11 :: v_dual_cndmask_b32 v76, v74, v54, s11
	s_and_b32 s9, s10, s11
	v_dual_cndmask_b32 v7, v55, v75, s11 :: v_dual_cndmask_b32 v6, v54, v74, s11
	s_delay_alu instid0(VALU_DEP_2) | instskip(NEXT) | instid1(VALU_DEP_1)
	v_cmp_nlt_f64_e64 s12, v[76:77], v[52:53]
	v_dual_cndmask_b32 v79, v77, v53, s12 :: v_dual_cndmask_b32 v78, v76, v52, s12
	s_and_b32 s9, s9, s12
	;; [unrolled: 5-line block ×6, first 2 shown]
	v_dual_cndmask_b32 v61, v63, v85, s16 :: v_dual_cndmask_b32 v60, v62, v84, s16
	s_and_b32 s8, s9, s8
	s_delay_alu instid0(VALU_DEP_2) | instskip(SKIP_1) | instid1(SALU_CYCLE_1)
	v_mov_b64_e32 v[62:63], v[64:65]
	s_and_b32 s7, s8, s7
	s_and_b32 s7, exec_lo, s7
	s_delay_alu instid0(SALU_CYCLE_1) | instskip(NEXT) | instid1(SALU_CYCLE_1)
	s_or_b32 s58, s7, s58
	s_and_not1_b32 exec_lo, exec_lo, s58
	s_cbranch_execnz .LBB173_91
; %bb.92:                               ;   in Loop: Header=BB173_4 Depth=1
	s_or_b32 exec_lo, exec_lo, s58
	v_add_f64_e32 v[2:3], -1.0, v[2:3]
	v_cmp_eq_f64_e64 s7, 0, v[16:17]
	v_cmp_class_f64_e64 s11, v[14:15], 0x204
	v_cmp_class_f64_e64 s10, v[16:17], 0x204
	s_delay_alu instid0(VALU_DEP_4) | instskip(NEXT) | instid1(VALU_DEP_1)
	v_add_f64_e32 v[2:3], v[2:3], v[28:29]
	v_add_f64_e32 v[2:3], v[2:3], v[58:59]
	s_delay_alu instid0(VALU_DEP_1) | instskip(NEXT) | instid1(VALU_DEP_1)
	v_add_f64_e32 v[2:3], v[2:3], v[26:27]
	v_add_f64_e32 v[2:3], v[2:3], v[56:57]
	s_delay_alu instid0(VALU_DEP_1) | instskip(NEXT) | instid1(VALU_DEP_1)
	;; [unrolled: 3-line block ×5, first 2 shown]
	v_add_f64_e32 v[2:3], v[64:65], v[2:3]
	v_add_f64_e32 v[6:7], 1.0, v[2:3]
	s_delay_alu instid0(VALU_DEP_1) | instskip(SKIP_2) | instid1(VALU_DEP_3)
	v_frexp_mant_f64_e32 v[26:27], v[6:7]
	v_frexp_exp_i32_f64_e32 v4, v[6:7]
	v_add_f64_e32 v[28:29], -1.0, v[6:7]
	v_cmp_gt_f64_e32 vcc_lo, s[30:31], v[26:27]
	s_delay_alu instid0(VALU_DEP_2) | instskip(SKIP_2) | instid1(VALU_DEP_1)
	v_add_f64_e64 v[26:27], v[28:29], -v[6:7]
	v_add_f64_e64 v[28:29], v[2:3], -v[28:29]
	v_subrev_co_ci_u32_e64 v4, null, 0, v4, vcc_lo
	v_dual_add_f64 v[26:27], 1.0, v[26:27] :: v_dual_sub_nc_u32 v8, 0, v4
	s_delay_alu instid0(VALU_DEP_1) | instskip(NEXT) | instid1(VALU_DEP_2)
	v_ldexp_f64 v[6:7], v[6:7], v8
	v_add_f64_e32 v[26:27], v[28:29], v[26:27]
	s_delay_alu instid0(VALU_DEP_2) | instskip(SKIP_1) | instid1(VALU_DEP_3)
	v_add_f64_e32 v[30:31], 1.0, v[6:7]
	v_add_f64_e32 v[54:55], -1.0, v[6:7]
	v_ldexp_f64 v[26:27], v[26:27], v8
	s_delay_alu instid0(VALU_DEP_3) | instskip(NEXT) | instid1(VALU_DEP_3)
	v_add_f64_e32 v[28:29], -1.0, v[30:31]
	v_add_f64_e32 v[56:57], 1.0, v[54:55]
	s_delay_alu instid0(VALU_DEP_2) | instskip(NEXT) | instid1(VALU_DEP_2)
	v_add_f64_e64 v[28:29], v[6:7], -v[28:29]
	v_add_f64_e64 v[6:7], v[6:7], -v[56:57]
	s_delay_alu instid0(VALU_DEP_2) | instskip(NEXT) | instid1(VALU_DEP_2)
	v_add_f64_e32 v[28:29], v[26:27], v[28:29]
	v_add_f64_e32 v[6:7], v[26:27], v[6:7]
	s_delay_alu instid0(VALU_DEP_2) | instskip(NEXT) | instid1(VALU_DEP_2)
	v_add_f64_e32 v[32:33], v[30:31], v[28:29]
	v_add_f64_e32 v[56:57], v[54:55], v[6:7]
	s_delay_alu instid0(VALU_DEP_2) | instskip(SKIP_1) | instid1(VALU_DEP_2)
	v_rcp_f64_e32 v[52:53], v[32:33]
	v_add_f64_e64 v[30:31], v[32:33], -v[30:31]
	v_add_f64_e64 v[54:55], v[56:57], -v[54:55]
	s_delay_alu instid0(VALU_DEP_2) | instskip(NEXT) | instid1(VALU_DEP_2)
	v_add_f64_e64 v[28:29], v[28:29], -v[30:31]
	v_add_f64_e64 v[6:7], v[6:7], -v[54:55]
	s_delay_alu instid0(TRANS32_DEP_1) | instskip(NEXT) | instid1(VALU_DEP_1)
	v_fma_f64 v[58:59], -v[32:33], v[52:53], 1.0
	v_fmac_f64_e32 v[52:53], v[58:59], v[52:53]
	s_delay_alu instid0(VALU_DEP_1) | instskip(NEXT) | instid1(VALU_DEP_1)
	v_fma_f64 v[26:27], -v[32:33], v[52:53], 1.0
	v_fmac_f64_e32 v[52:53], v[26:27], v[52:53]
	s_delay_alu instid0(VALU_DEP_1) | instskip(NEXT) | instid1(VALU_DEP_1)
	v_mul_f64_e32 v[26:27], v[56:57], v[52:53]
	v_mul_f64_e32 v[58:59], v[32:33], v[26:27]
	s_delay_alu instid0(VALU_DEP_1) | instskip(NEXT) | instid1(VALU_DEP_1)
	v_fma_f64 v[30:31], v[26:27], v[32:33], -v[58:59]
	v_fmac_f64_e32 v[30:31], v[26:27], v[28:29]
	s_delay_alu instid0(VALU_DEP_1) | instskip(NEXT) | instid1(VALU_DEP_1)
	v_add_f64_e32 v[60:61], v[58:59], v[30:31]
	v_add_f64_e64 v[62:63], v[56:57], -v[60:61]
	v_add_f64_e64 v[54:55], v[60:61], -v[58:59]
	s_delay_alu instid0(VALU_DEP_2) | instskip(NEXT) | instid1(VALU_DEP_2)
	v_add_f64_e64 v[56:57], v[56:57], -v[62:63]
	v_add_f64_e64 v[30:31], v[54:55], -v[30:31]
	s_delay_alu instid0(VALU_DEP_2) | instskip(NEXT) | instid1(VALU_DEP_1)
	v_add_f64_e64 v[56:57], v[56:57], -v[60:61]
	v_add_f64_e32 v[6:7], v[6:7], v[56:57]
	s_delay_alu instid0(VALU_DEP_1) | instskip(NEXT) | instid1(VALU_DEP_1)
	v_add_f64_e32 v[6:7], v[30:31], v[6:7]
	v_add_f64_e32 v[30:31], v[62:63], v[6:7]
	s_delay_alu instid0(VALU_DEP_1) | instskip(SKIP_1) | instid1(VALU_DEP_2)
	v_mul_f64_e32 v[54:55], v[52:53], v[30:31]
	v_add_f64_e64 v[60:61], v[62:63], -v[30:31]
	v_mul_f64_e32 v[56:57], v[32:33], v[54:55]
	s_delay_alu instid0(VALU_DEP_2) | instskip(NEXT) | instid1(VALU_DEP_2)
	v_add_f64_e32 v[6:7], v[6:7], v[60:61]
	v_fma_f64 v[32:33], v[54:55], v[32:33], -v[56:57]
	s_delay_alu instid0(VALU_DEP_1) | instskip(NEXT) | instid1(VALU_DEP_1)
	v_fmac_f64_e32 v[32:33], v[54:55], v[28:29]
	v_add_f64_e32 v[28:29], v[56:57], v[32:33]
	s_delay_alu instid0(VALU_DEP_1) | instskip(SKIP_1) | instid1(VALU_DEP_2)
	v_add_f64_e64 v[58:59], v[30:31], -v[28:29]
	v_add_f64_e64 v[56:57], v[28:29], -v[56:57]
	;; [unrolled: 1-line block ×3, first 2 shown]
	s_delay_alu instid0(VALU_DEP_1) | instskip(NEXT) | instid1(VALU_DEP_3)
	v_add_f64_e64 v[28:29], v[30:31], -v[28:29]
	v_add_f64_e64 v[30:31], v[56:57], -v[32:33]
	v_max_num_f64_e64 v[32:33], |v[14:15]|, |v[14:15]|
	s_delay_alu instid0(VALU_DEP_3) | instskip(SKIP_1) | instid1(VALU_DEP_2)
	v_add_f64_e32 v[6:7], v[6:7], v[28:29]
	v_add_f64_e32 v[28:29], v[26:27], v[54:55]
	;; [unrolled: 1-line block ×3, first 2 shown]
	s_delay_alu instid0(VALU_DEP_2) | instskip(SKIP_1) | instid1(VALU_DEP_3)
	v_add_f64_e64 v[26:27], v[28:29], -v[26:27]
	v_max_num_f64_e64 v[30:31], |v[16:17]|, |v[16:17]|
	v_add_f64_e32 v[6:7], v[58:59], v[6:7]
	s_delay_alu instid0(VALU_DEP_3) | instskip(NEXT) | instid1(VALU_DEP_2)
	v_add_f64_e64 v[26:27], v[54:55], -v[26:27]
	v_mul_f64_e32 v[6:7], v[52:53], v[6:7]
	s_delay_alu instid0(VALU_DEP_1) | instskip(SKIP_2) | instid1(VALU_DEP_3)
	v_add_f64_e32 v[6:7], v[26:27], v[6:7]
	v_max_num_f64_e32 v[26:27], v[32:33], v[30:31]
	v_min_num_f64_e32 v[30:31], v[32:33], v[30:31]
	v_add_f64_e32 v[32:33], v[28:29], v[6:7]
	s_delay_alu instid0(VALU_DEP_2) | instskip(NEXT) | instid1(VALU_DEP_2)
	v_div_scale_f64 v[52:53], null, v[26:27], v[26:27], v[30:31]
	v_mul_f64_e32 v[54:55], v[32:33], v[32:33]
	v_add_f64_e64 v[28:29], v[32:33], -v[28:29]
	s_delay_alu instid0(VALU_DEP_3) | instskip(NEXT) | instid1(VALU_DEP_2)
	v_rcp_f64_e32 v[56:57], v[52:53]
	v_fmamk_f64 v[58:59], v[54:55], 0x3fc3ab76bf559e2b, v[40:41]
	v_mul_f64_e32 v[60:61], v[32:33], v[54:55]
	s_delay_alu instid0(VALU_DEP_3) | instskip(NEXT) | instid1(VALU_DEP_3)
	v_add_f64_e64 v[6:7], v[6:7], -v[28:29]
	v_fmaak_f64 v[58:59], v[54:55], v[58:59], 0x3fc7474dd7f4df2e
	s_delay_alu instid0(TRANS32_DEP_1) | instskip(NEXT) | instid1(VALU_DEP_2)
	v_fma_f64 v[62:63], -v[52:53], v[56:57], 1.0
	v_fmaak_f64 v[58:59], v[54:55], v[58:59], 0x3fcc71c016291751
	s_delay_alu instid0(VALU_DEP_1) | instskip(NEXT) | instid1(VALU_DEP_1)
	v_fmaak_f64 v[58:59], v[54:55], v[58:59], 0x3fd249249b27acf1
	v_fmaak_f64 v[58:59], v[54:55], v[58:59], 0x3fd99999998ef7b6
	v_ldexp_f64 v[6:7], v[6:7], 1
	s_delay_alu instid0(VALU_DEP_2) | instskip(SKIP_2) | instid1(VALU_DEP_3)
	v_fmaak_f64 v[54:55], v[54:55], v[58:59], 0x3fe5555555555780
	v_ldexp_f64 v[58:59], v[32:33], 1
	v_fmac_f64_e32 v[56:57], v[56:57], v[62:63]
	v_mul_f64_e32 v[54:55], v[60:61], v[54:55]
	v_cvt_f64_i32_e32 v[60:61], v4
	v_ashrrev_i32_e32 v4, 31, v15
	s_delay_alu instid0(VALU_DEP_4) | instskip(NEXT) | instid1(VALU_DEP_4)
	v_fma_f64 v[62:63], -v[52:53], v[56:57], 1.0
	v_add_f64_e32 v[32:33], v[58:59], v[54:55]
	s_delay_alu instid0(VALU_DEP_4) | instskip(NEXT) | instid1(VALU_DEP_3)
	v_mul_f64_e32 v[64:65], 0x3fe62e42fefa39ef, v[60:61]
	v_fmac_f64_e32 v[56:57], v[56:57], v[62:63]
	s_delay_alu instid0(VALU_DEP_3) | instskip(SKIP_1) | instid1(VALU_DEP_4)
	v_add_f64_e64 v[28:29], v[32:33], -v[58:59]
	v_div_scale_f64 v[58:59], vcc_lo, v[30:31], v[26:27], v[30:31]
	v_fma_f64 v[62:63], v[60:61], s[34:35], -v[64:65]
	s_delay_alu instid0(VALU_DEP_3) | instskip(NEXT) | instid1(VALU_DEP_3)
	v_add_f64_e64 v[28:29], v[54:55], -v[28:29]
	v_mul_f64_e32 v[54:55], v[58:59], v[56:57]
	s_delay_alu instid0(VALU_DEP_3) | instskip(NEXT) | instid1(VALU_DEP_3)
	v_fmac_f64_e32 v[62:63], 0x3c7abc9e3b39803f, v[60:61]
	v_add_f64_e32 v[6:7], v[6:7], v[28:29]
	s_delay_alu instid0(VALU_DEP_3) | instskip(NEXT) | instid1(VALU_DEP_3)
	v_fma_f64 v[28:29], -v[52:53], v[54:55], v[58:59]
	v_add_f64_e32 v[52:53], v[64:65], v[62:63]
	s_delay_alu instid0(VALU_DEP_3) | instskip(NEXT) | instid1(VALU_DEP_3)
	v_add_f64_e32 v[58:59], v[32:33], v[6:7]
	v_div_fmas_f64 v[28:29], v[28:29], v[56:57], v[54:55]
	v_cmp_gt_i32_e32 vcc_lo, 0, v15
	s_delay_alu instid0(VALU_DEP_4) | instskip(SKIP_2) | instid1(VALU_DEP_1)
	v_add_f64_e64 v[56:57], v[52:53], -v[64:65]
	v_cndmask_b32_e32 v8, 0x54442d18, v68, vcc_lo
	v_cndmask_b32_e32 v14, 0x3fe921fb, v69, vcc_lo
	v_bfi_b32 v14, 0x7fffffff, v14, v17
	v_add_f64_e32 v[54:55], v[52:53], v[58:59]
	v_div_fixup_f64 v[26:27], v[28:29], v[26:27], v[30:31]
	v_add_f64_e64 v[32:33], v[58:59], -v[32:33]
	v_add_f64_e64 v[56:57], v[62:63], -v[56:57]
	s_delay_alu instid0(VALU_DEP_4) | instskip(NEXT) | instid1(VALU_DEP_4)
	v_add_f64_e64 v[28:29], v[54:55], -v[52:53]
	v_mul_f64_e32 v[30:31], v[26:27], v[26:27]
	s_delay_alu instid0(VALU_DEP_4) | instskip(NEXT) | instid1(VALU_DEP_3)
	v_add_f64_e64 v[6:7], v[6:7], -v[32:33]
	v_add_f64_e64 v[60:61], v[54:55], -v[28:29]
	s_delay_alu instid0(VALU_DEP_3) | instskip(SKIP_1) | instid1(VALU_DEP_4)
	v_fmamk_f64 v[64:65], v[30:31], 0x3eeba404b5e68a13, v[42:43]
	v_add_f64_e64 v[28:29], v[58:59], -v[28:29]
	v_add_f64_e32 v[58:59], v[56:57], v[6:7]
	s_delay_alu instid0(VALU_DEP_3) | instskip(SKIP_1) | instid1(VALU_DEP_2)
	v_fmaak_f64 v[64:65], v[30:31], v[64:65], 0x3f4b2bb069efb384
	v_add_f64_e64 v[32:33], v[52:53], -v[60:61]
	v_fmaak_f64 v[52:53], v[30:31], v[64:65], 0xbf67952daf56de9b
	s_delay_alu instid0(VALU_DEP_1) | instskip(NEXT) | instid1(VALU_DEP_1)
	v_fmaak_f64 v[52:53], v[30:31], v[52:53], 0x3f7d6d43a595c56f
	v_fmaak_f64 v[52:53], v[30:31], v[52:53], 0xbf8c6ea4a57d9582
	s_delay_alu instid0(VALU_DEP_1) | instskip(NEXT) | instid1(VALU_DEP_1)
	v_fmaak_f64 v[52:53], v[30:31], v[52:53], 0x3f967e295f08b19f
	v_fmaak_f64 v[52:53], v[30:31], v[52:53], 0xbf9e9ae6fc27006a
	v_add_f64_e32 v[28:29], v[28:29], v[32:33]
	s_delay_alu instid0(VALU_DEP_2) | instskip(SKIP_1) | instid1(VALU_DEP_2)
	v_fmaak_f64 v[32:33], v[30:31], v[52:53], 0x3fa2c15b5711927a
	v_add_f64_e64 v[52:53], v[58:59], -v[56:57]
	v_fmaak_f64 v[32:33], v[30:31], v[32:33], 0xbfa59976e82d3ff0
	s_delay_alu instid0(VALU_DEP_1) | instskip(NEXT) | instid1(VALU_DEP_1)
	v_fmaak_f64 v[32:33], v[30:31], v[32:33], 0x3fa82d5d6ef28734
	v_fmaak_f64 v[32:33], v[30:31], v[32:33], 0xbfaae5ce6a214619
	s_delay_alu instid0(VALU_DEP_1) | instskip(SKIP_3) | instid1(VALU_DEP_4)
	v_fmaak_f64 v[32:33], v[30:31], v[32:33], 0x3fae1bb48427b883
	v_add_f64_e32 v[28:29], v[58:59], v[28:29]
	v_add_f64_e64 v[58:59], v[58:59], -v[52:53]
	v_add_f64_e64 v[6:7], v[6:7], -v[52:53]
	v_fmaak_f64 v[32:33], v[30:31], v[32:33], 0xbfb110e48b207f05
	s_delay_alu instid0(VALU_DEP_1) | instskip(NEXT) | instid1(VALU_DEP_1)
	v_fmaak_f64 v[32:33], v[30:31], v[32:33], 0x3fb3b13657b87036
	v_fmaak_f64 v[32:33], v[30:31], v[32:33], 0xbfb745d119378e4f
	s_delay_alu instid0(VALU_DEP_1) | instskip(SKIP_1) | instid1(VALU_DEP_2)
	v_fmaak_f64 v[32:33], v[30:31], v[32:33], 0x3fbc71c717e1913c
	v_add_f64_e32 v[60:61], v[54:55], v[28:29]
	v_fmaak_f64 v[32:33], v[30:31], v[32:33], 0xbfc2492492376b7d
	s_delay_alu instid0(VALU_DEP_1) | instskip(NEXT) | instid1(VALU_DEP_1)
	v_fmaak_f64 v[32:33], v[30:31], v[32:33], 0x3fc99999999952cc
	v_fmaak_f64 v[32:33], v[30:31], v[32:33], 0xbfd5555555555523
	s_delay_alu instid0(VALU_DEP_1) | instskip(SKIP_2) | instid1(VALU_DEP_3)
	v_mul_f64_e32 v[30:31], v[30:31], v[32:33]
	v_add_f64_e64 v[32:33], v[56:57], -v[58:59]
	v_add_f64_e64 v[52:53], v[60:61], -v[54:55]
	v_fmac_f64_e32 v[26:27], v[26:27], v[30:31]
	s_delay_alu instid0(VALU_DEP_3) | instskip(NEXT) | instid1(VALU_DEP_3)
	v_add_f64_e32 v[6:7], v[6:7], v[32:33]
	v_add_f64_e64 v[28:29], v[28:29], -v[52:53]
	s_delay_alu instid0(VALU_DEP_3) | instskip(NEXT) | instid1(VALU_DEP_2)
	v_add_f64_e64 v[30:31], -v[26:27], s[40:41]
	v_add_f64_e32 v[6:7], v[6:7], v[28:29]
	s_delay_alu instid0(VALU_DEP_2) | instskip(SKIP_2) | instid1(VALU_DEP_3)
	v_dual_cndmask_b32 v27, v27, v31, s6 :: v_dual_cndmask_b32 v26, v26, v30, s6
	v_and_b32_e32 v30, 0x54442d18, v4
	v_and_b32_e32 v4, 0x400921fb, v4
	v_add_f64_e64 v[28:29], -v[26:27], s[42:43]
	s_delay_alu instid0(VALU_DEP_1) | instskip(SKIP_2) | instid1(VALU_DEP_3)
	v_dual_add_f64 v[6:7], v[60:61], v[6:7] :: v_dual_cndmask_b32 v26, v26, v28, vcc_lo
	v_cmp_nge_f64_e64 s8, -1.0, v[2:3]
	v_cmp_neq_f64_e64 s9, 0x7ff00000, v[2:3]
	v_dual_mul_f64 v[6:7], 0.5, v[6:7] :: v_dual_cndmask_b32 v15, v27, v29, vcc_lo
	v_cmp_ngt_f64_e32 vcc_lo, -1.0, v[2:3]
	s_delay_alu instid0(VALU_DEP_2) | instskip(SKIP_1) | instid1(VALU_DEP_3)
	v_dual_cndmask_b32 v28, v26, v30, s7 :: v_dual_cndmask_b32 v4, v15, v4, s7
	s_and_b32 s7, s8, s9
	v_cndmask_b32_e64 v7, 0x7ff00000, v7, s9
	s_delay_alu instid0(VALU_DEP_4) | instskip(SKIP_1) | instid1(VALU_DEP_3)
	v_cndmask_b32_e64 v26, 0, v6, s7
	v_cmp_neq_f64_e64 s7, -1.0, v[2:3]
	v_cndmask_b32_e32 v7, 0x7ff80000, v7, vcc_lo
	s_and_b32 vcc_lo, s10, s11
	v_cndmask_b32_e32 v29, v4, v14, vcc_lo
	v_cndmask_b32_e32 v28, v28, v8, vcc_lo
	s_delay_alu instid0(VALU_DEP_3)
	v_cndmask_b32_e64 v27, 0xfff00000, v7, s7
.LBB173_93:                             ;   in Loop: Header=BB173_4 Depth=1
	s_or_b32 exec_lo, exec_lo, s57
.LBB173_94:                             ;   in Loop: Header=BB173_4 Depth=1
	s_delay_alu instid0(SALU_CYCLE_1)
	s_or_b32 exec_lo, exec_lo, s56
.LBB173_95:                             ;   in Loop: Header=BB173_4 Depth=1
	s_and_not1_saveexec_b32 s9, s55
	s_cbranch_execz .LBB173_97
; %bb.96:                               ;   in Loop: Header=BB173_4 Depth=1
	v_max_num_f64_e64 v[2:3], |v[16:17]|, |v[16:17]|
	v_max_num_f64_e64 v[6:7], |v[14:15]|, |v[14:15]|
	v_cmp_class_f64_e64 s10, v[14:15], 0x204
	v_cmp_class_f64_e64 s11, v[16:17], 0x204
	v_cmp_eq_f64_e64 s8, 0, v[16:17]
	s_delay_alu instid0(VALU_DEP_4) | instskip(SKIP_2) | instid1(VALU_DEP_2)
	v_max_num_f64_e32 v[26:27], v[6:7], v[2:3]
	v_min_num_f64_e32 v[2:3], v[6:7], v[2:3]
	s_or_b32 s7, s11, s10
	v_frexp_exp_i32_f64_e32 v4, v[26:27]
	s_delay_alu instid0(VALU_DEP_1) | instskip(NEXT) | instid1(VALU_DEP_1)
	v_sub_nc_u32_e32 v8, 0, v4
	v_ldexp_f64 v[28:29], |v[16:17]|, v8
	v_ldexp_f64 v[30:31], |v[14:15]|, v8
	s_delay_alu instid0(VALU_DEP_2) | instskip(NEXT) | instid1(VALU_DEP_1)
	v_mul_f64_e32 v[28:29], v[28:29], v[28:29]
	v_fmac_f64_e32 v[28:29], v[30:31], v[30:31]
	s_delay_alu instid0(VALU_DEP_1) | instskip(SKIP_1) | instid1(TRANS32_DEP_1)
	v_rsq_f64_e32 v[30:31], v[28:29]
	v_cmp_eq_f64_e32 vcc_lo, 0, v[28:29]
	v_mul_f64_e32 v[32:33], v[28:29], v[30:31]
	v_mul_f64_e32 v[30:31], 0.5, v[30:31]
	s_delay_alu instid0(VALU_DEP_1) | instskip(NEXT) | instid1(VALU_DEP_1)
	v_fma_f64 v[52:53], -v[30:31], v[32:33], 0.5
	v_fmac_f64_e32 v[32:33], v[32:33], v[52:53]
	v_fmac_f64_e32 v[30:31], v[30:31], v[52:53]
	s_delay_alu instid0(VALU_DEP_2) | instskip(NEXT) | instid1(VALU_DEP_1)
	v_fma_f64 v[52:53], -v[32:33], v[32:33], v[28:29]
	v_fmac_f64_e32 v[32:33], v[52:53], v[30:31]
	s_delay_alu instid0(VALU_DEP_1) | instskip(NEXT) | instid1(VALU_DEP_1)
	v_dual_cndmask_b32 v29, v33, v29 :: v_dual_cndmask_b32 v28, v32, v28
	v_ldexp_f64 v[28:29], v[28:29], v4
	s_delay_alu instid0(VALU_DEP_1) | instskip(NEXT) | instid1(VALU_DEP_2)
	v_cndmask_b32_e64 v31, v29, 0x7ff00000, s7
	v_cndmask_b32_e64 v30, v28, 0, s7
	s_delay_alu instid0(VALU_DEP_1) | instskip(SKIP_1) | instid1(VALU_DEP_2)
	v_frexp_mant_f64_e32 v[28:29], v[30:31]
	v_cmp_class_f64_e64 s7, v[30:31], 0x204
	v_cmp_gt_f64_e32 vcc_lo, s[30:31], v[28:29]
	v_cndmask_b32_e64 v4, 0, 1, vcc_lo
	s_delay_alu instid0(VALU_DEP_1) | instskip(SKIP_1) | instid1(VALU_DEP_2)
	v_ldexp_f64 v[28:29], v[28:29], v4
	v_frexp_exp_i32_f64_e32 v4, v[30:31]
	v_add_f64_e32 v[32:33], 1.0, v[28:29]
	v_add_f64_e32 v[56:57], -1.0, v[28:29]
	s_delay_alu instid0(VALU_DEP_3) | instskip(SKIP_1) | instid1(VALU_DEP_4)
	v_subrev_co_ci_u32_e64 v4, null, 0, v4, vcc_lo
	v_div_scale_f64 v[64:65], vcc_lo, v[2:3], v[26:27], v[2:3]
	v_rcp_f64_e32 v[52:53], v[32:33]
	v_add_f64_e32 v[58:59], -1.0, v[32:33]
	s_delay_alu instid0(VALU_DEP_1) | instskip(NEXT) | instid1(TRANS32_DEP_1)
	v_add_f64_e64 v[28:29], v[28:29], -v[58:59]
	v_fma_f64 v[54:55], -v[32:33], v[52:53], 1.0
	s_delay_alu instid0(VALU_DEP_1) | instskip(NEXT) | instid1(VALU_DEP_1)
	v_fmac_f64_e32 v[52:53], v[54:55], v[52:53]
	v_fma_f64 v[54:55], -v[32:33], v[52:53], 1.0
	s_delay_alu instid0(VALU_DEP_1) | instskip(NEXT) | instid1(VALU_DEP_1)
	v_fmac_f64_e32 v[52:53], v[54:55], v[52:53]
	v_mul_f64_e32 v[54:55], v[56:57], v[52:53]
	s_delay_alu instid0(VALU_DEP_1) | instskip(NEXT) | instid1(VALU_DEP_1)
	v_mul_f64_e32 v[60:61], v[32:33], v[54:55]
	v_fma_f64 v[32:33], v[54:55], v[32:33], -v[60:61]
	s_delay_alu instid0(VALU_DEP_1) | instskip(NEXT) | instid1(VALU_DEP_1)
	v_fmac_f64_e32 v[32:33], v[54:55], v[28:29]
	v_add_f64_e32 v[28:29], v[60:61], v[32:33]
	s_delay_alu instid0(VALU_DEP_1) | instskip(SKIP_1) | instid1(VALU_DEP_2)
	v_add_f64_e64 v[58:59], v[56:57], -v[28:29]
	v_add_f64_e64 v[60:61], v[28:29], -v[60:61]
	;; [unrolled: 1-line block ×3, first 2 shown]
	s_delay_alu instid0(VALU_DEP_2) | instskip(NEXT) | instid1(VALU_DEP_2)
	v_add_f64_e64 v[32:33], v[60:61], -v[32:33]
	v_add_f64_e64 v[28:29], v[56:57], -v[28:29]
	s_delay_alu instid0(VALU_DEP_1) | instskip(NEXT) | instid1(VALU_DEP_1)
	v_add_f64_e32 v[28:29], v[32:33], v[28:29]
	v_add_f64_e32 v[28:29], v[58:59], v[28:29]
	s_delay_alu instid0(VALU_DEP_1) | instskip(SKIP_1) | instid1(VALU_DEP_2)
	v_mul_f64_e32 v[6:7], v[52:53], v[28:29]
	v_div_scale_f64 v[28:29], null, v[26:27], v[26:27], v[2:3]
	v_add_f64_e32 v[32:33], v[54:55], v[6:7]
	s_delay_alu instid0(VALU_DEP_2) | instskip(NEXT) | instid1(VALU_DEP_1)
	v_rcp_f64_e32 v[52:53], v[28:29]
	v_mul_f64_e32 v[56:57], v[32:33], v[32:33]
	s_delay_alu instid0(TRANS32_DEP_1) | instskip(NEXT) | instid1(VALU_DEP_2)
	v_fma_f64 v[60:61], -v[28:29], v[52:53], 1.0
	v_fmamk_f64 v[58:59], v[56:57], 0x3fc3ab76bf559e2b, v[40:41]
	v_mul_f64_e32 v[62:63], v[32:33], v[56:57]
	s_delay_alu instid0(VALU_DEP_3) | instskip(NEXT) | instid1(VALU_DEP_3)
	v_fmac_f64_e32 v[52:53], v[52:53], v[60:61]
	v_fmaak_f64 v[58:59], v[56:57], v[58:59], 0x3fc7474dd7f4df2e
	s_delay_alu instid0(VALU_DEP_1) | instskip(NEXT) | instid1(VALU_DEP_1)
	v_fmaak_f64 v[58:59], v[56:57], v[58:59], 0x3fcc71c016291751
	v_fmaak_f64 v[58:59], v[56:57], v[58:59], 0x3fd249249b27acf1
	s_delay_alu instid0(VALU_DEP_1) | instskip(NEXT) | instid1(VALU_DEP_1)
	v_fmaak_f64 v[58:59], v[56:57], v[58:59], 0x3fd99999998ef7b6
	v_fmaak_f64 v[56:57], v[56:57], v[58:59], 0x3fe5555555555780
	v_ldexp_f64 v[58:59], v[32:33], 1
	v_add_f64_e64 v[32:33], v[32:33], -v[54:55]
	v_fma_f64 v[60:61], -v[28:29], v[52:53], 1.0
	s_delay_alu instid0(VALU_DEP_4) | instskip(SKIP_2) | instid1(VALU_DEP_1)
	v_mul_f64_e32 v[56:57], v[62:63], v[56:57]
	v_cvt_f64_i32_e32 v[62:63], v4
	v_ashrrev_i32_e32 v4, 31, v15
	v_and_b32_e32 v14, 0x54442d18, v4
	v_and_b32_e32 v4, 0x400921fb, v4
	v_add_f64_e64 v[6:7], v[6:7], -v[32:33]
	v_fmac_f64_e32 v[52:53], v[52:53], v[60:61]
	v_add_f64_e32 v[54:55], v[58:59], v[56:57]
	v_mul_f64_e32 v[60:61], 0x3fe62e42fefa39ef, v[62:63]
	s_delay_alu instid0(VALU_DEP_4) | instskip(NEXT) | instid1(VALU_DEP_3)
	v_ldexp_f64 v[6:7], v[6:7], 1
	v_add_f64_e64 v[32:33], v[54:55], -v[58:59]
	v_mul_f64_e32 v[58:59], v[64:65], v[52:53]
	s_delay_alu instid0(VALU_DEP_4) | instskip(NEXT) | instid1(VALU_DEP_3)
	v_fma_f64 v[66:67], v[62:63], s[34:35], -v[60:61]
	v_add_f64_e64 v[32:33], v[56:57], -v[32:33]
	s_delay_alu instid0(VALU_DEP_3) | instskip(NEXT) | instid1(VALU_DEP_3)
	v_fma_f64 v[28:29], -v[28:29], v[58:59], v[64:65]
	v_fmac_f64_e32 v[66:67], 0x3c7abc9e3b39803f, v[62:63]
	s_delay_alu instid0(VALU_DEP_3) | instskip(NEXT) | instid1(VALU_DEP_3)
	v_add_f64_e32 v[6:7], v[6:7], v[32:33]
	v_div_fmas_f64 v[28:29], v[28:29], v[52:53], v[58:59]
	s_delay_alu instid0(VALU_DEP_3) | instskip(SKIP_3) | instid1(VALU_DEP_1)
	v_add_f64_e32 v[32:33], v[60:61], v[66:67]
	v_cmp_gt_i32_e32 vcc_lo, 0, v15
	v_cndmask_b32_e32 v8, 0x54442d18, v68, vcc_lo
	v_cndmask_b32_e32 v15, 0x3fe921fb, v69, vcc_lo
	v_bfi_b32 v15, 0x7fffffff, v15, v17
	v_add_f64_e32 v[52:53], v[54:55], v[6:7]
	v_div_fixup_f64 v[2:3], v[28:29], v[26:27], v[2:3]
	v_add_f64_e64 v[60:61], v[32:33], -v[60:61]
	s_delay_alu instid0(VALU_DEP_3) | instskip(NEXT) | instid1(VALU_DEP_3)
	v_add_f64_e32 v[26:27], v[32:33], v[52:53]
	v_mul_f64_e32 v[28:29], v[2:3], v[2:3]
	v_add_f64_e64 v[54:55], v[52:53], -v[54:55]
	s_delay_alu instid0(VALU_DEP_4) | instskip(NEXT) | instid1(VALU_DEP_4)
	v_add_f64_e64 v[60:61], v[66:67], -v[60:61]
	v_add_f64_e64 v[56:57], v[26:27], -v[32:33]
	s_delay_alu instid0(VALU_DEP_4) | instskip(NEXT) | instid1(VALU_DEP_4)
	v_fmamk_f64 v[58:59], v[28:29], 0x3eeba404b5e68a13, v[42:43]
	v_add_f64_e64 v[6:7], v[6:7], -v[54:55]
	s_delay_alu instid0(VALU_DEP_2) | instskip(NEXT) | instid1(VALU_DEP_1)
	v_fmaak_f64 v[58:59], v[28:29], v[58:59], 0x3f4b2bb069efb384
	v_fmaak_f64 v[58:59], v[28:29], v[58:59], 0xbf67952daf56de9b
	s_delay_alu instid0(VALU_DEP_1) | instskip(NEXT) | instid1(VALU_DEP_1)
	v_fmaak_f64 v[58:59], v[28:29], v[58:59], 0x3f7d6d43a595c56f
	v_fmaak_f64 v[58:59], v[28:29], v[58:59], 0xbf8c6ea4a57d9582
	v_add_f64_e64 v[62:63], v[26:27], -v[56:57]
	v_add_f64_e64 v[52:53], v[52:53], -v[56:57]
	v_add_f64_e32 v[56:57], v[60:61], v[6:7]
	s_delay_alu instid0(VALU_DEP_4) | instskip(NEXT) | instid1(VALU_DEP_1)
	v_fmaak_f64 v[58:59], v[28:29], v[58:59], 0x3f967e295f08b19f
	v_fmaak_f64 v[54:55], v[28:29], v[58:59], 0xbf9e9ae6fc27006a
	s_delay_alu instid0(VALU_DEP_1) | instskip(NEXT) | instid1(VALU_DEP_1)
	v_fmaak_f64 v[54:55], v[28:29], v[54:55], 0x3fa2c15b5711927a
	v_fmaak_f64 v[54:55], v[28:29], v[54:55], 0xbfa59976e82d3ff0
	s_delay_alu instid0(VALU_DEP_1) | instskip(SKIP_1) | instid1(VALU_DEP_2)
	v_fmaak_f64 v[54:55], v[28:29], v[54:55], 0x3fa82d5d6ef28734
	v_add_f64_e64 v[32:33], v[32:33], -v[62:63]
	v_fmaak_f64 v[54:55], v[28:29], v[54:55], 0xbfaae5ce6a214619
	s_delay_alu instid0(VALU_DEP_2) | instskip(NEXT) | instid1(VALU_DEP_2)
	v_add_f64_e32 v[32:33], v[52:53], v[32:33]
	v_fmaak_f64 v[52:53], v[28:29], v[54:55], 0x3fae1bb48427b883
	v_add_f64_e64 v[54:55], v[56:57], -v[60:61]
	s_delay_alu instid0(VALU_DEP_2) | instskip(NEXT) | instid1(VALU_DEP_1)
	v_fmaak_f64 v[52:53], v[28:29], v[52:53], 0xbfb110e48b207f05
	v_fmaak_f64 v[52:53], v[28:29], v[52:53], 0x3fb3b13657b87036
	s_delay_alu instid0(VALU_DEP_1) | instskip(NEXT) | instid1(VALU_DEP_1)
	v_fmaak_f64 v[52:53], v[28:29], v[52:53], 0xbfb745d119378e4f
	v_fmaak_f64 v[52:53], v[28:29], v[52:53], 0x3fbc71c717e1913c
	v_add_f64_e32 v[32:33], v[56:57], v[32:33]
	v_add_f64_e64 v[6:7], v[6:7], -v[54:55]
	s_delay_alu instid0(VALU_DEP_3) | instskip(NEXT) | instid1(VALU_DEP_1)
	v_fmaak_f64 v[52:53], v[28:29], v[52:53], 0xbfc2492492376b7d
	v_fmaak_f64 v[52:53], v[28:29], v[52:53], 0x3fc99999999952cc
	s_delay_alu instid0(VALU_DEP_1) | instskip(NEXT) | instid1(VALU_DEP_1)
	v_fmaak_f64 v[52:53], v[28:29], v[52:53], 0xbfd5555555555523
	v_mul_f64_e32 v[28:29], v[28:29], v[52:53]
	v_add_f64_e64 v[52:53], v[56:57], -v[54:55]
	v_add_f64_e32 v[56:57], v[26:27], v[32:33]
	s_delay_alu instid0(VALU_DEP_3) | instskip(NEXT) | instid1(VALU_DEP_3)
	v_fmac_f64_e32 v[2:3], v[2:3], v[28:29]
	v_add_f64_e64 v[28:29], v[60:61], -v[52:53]
	s_delay_alu instid0(VALU_DEP_3) | instskip(NEXT) | instid1(VALU_DEP_3)
	v_add_f64_e64 v[26:27], v[56:57], -v[26:27]
	v_add_f64_e64 v[52:53], -v[2:3], s[40:41]
	s_delay_alu instid0(VALU_DEP_3) | instskip(NEXT) | instid1(VALU_DEP_2)
	v_add_f64_e32 v[6:7], v[6:7], v[28:29]
	v_dual_add_f64 v[26:27], v[32:33], -v[26:27] :: v_dual_cndmask_b32 v3, v3, v53, s6
	s_delay_alu instid0(VALU_DEP_3) | instskip(NEXT) | instid1(VALU_DEP_2)
	v_cndmask_b32_e64 v2, v2, v52, s6
	v_add_f64_e32 v[6:7], v[6:7], v[26:27]
	s_delay_alu instid0(VALU_DEP_2) | instskip(NEXT) | instid1(VALU_DEP_2)
	v_add_f64_e64 v[26:27], -v[2:3], s[42:43]
	v_add_f64_e32 v[6:7], v[56:57], v[6:7]
	s_delay_alu instid0(VALU_DEP_2) | instskip(SKIP_1) | instid1(VALU_DEP_2)
	v_dual_cndmask_b32 v2, v2, v26 :: v_dual_cndmask_b32 v3, v3, v27
	v_cmp_ngt_f64_e32 vcc_lo, 0, v[30:31]
	v_dual_cndmask_b32 v2, v2, v14, s8 :: v_dual_cndmask_b32 v3, v3, v4, s8
	s_delay_alu instid0(VALU_DEP_4) | instskip(SKIP_1) | instid1(VALU_DEP_2)
	v_dual_cndmask_b32 v6, v6, v30, s7 :: v_dual_cndmask_b32 v7, v7, v31, s7
	v_cmp_nge_f64_e64 s7, 0, v[30:31]
	v_cndmask_b32_e32 v4, 0x7ff80000, v7, vcc_lo
	s_and_b32 vcc_lo, s11, s10
	v_dual_cndmask_b32 v29, v3, v15 :: v_dual_cndmask_b32 v28, v2, v8
	v_cndmask_b32_e64 v26, 0, v6, s7
	v_cmp_neq_f64_e64 s7, 0, v[30:31]
	s_delay_alu instid0(VALU_DEP_1)
	v_cndmask_b32_e64 v27, 0xfff00000, v4, s7
.LBB173_97:                             ;   in Loop: Header=BB173_4 Depth=1
	s_or_b32 exec_lo, exec_lo, s9
                                        ; implicit-def: $vgpr6_vgpr7
.LBB173_98:                             ;   in Loop: Header=BB173_4 Depth=1
	s_and_not1_saveexec_b32 s9, s54
	s_cbranch_execz .LBB173_104
; %bb.99:                               ;   in Loop: Header=BB173_4 Depth=1
                                        ; implicit-def: $vgpr26_vgpr27
	s_mov_b32 s7, exec_lo
	v_cmpx_ngt_f64_e32 s[46:47], v[6:7]
	s_xor_b32 s10, exec_lo, s7
	s_cbranch_execz .LBB173_101
; %bb.100:                              ;   in Loop: Header=BB173_4 Depth=1
	v_mul_f64_e32 v[2:3], v[6:7], v[6:7]
	v_cmp_eq_f64_e64 s7, 0, v[16:17]
	v_cmp_class_f64_e64 s11, v[16:17], 0x204
	v_cmp_class_f64_e64 s12, v[14:15], 0x204
	s_delay_alu instid0(VALU_DEP_4) | instskip(NEXT) | instid1(VALU_DEP_1)
	v_add_f64_e32 v[6:7], 1.0, v[2:3]
	v_frexp_mant_f64_e32 v[26:27], v[6:7]
	v_frexp_exp_i32_f64_e32 v4, v[6:7]
	v_add_f64_e32 v[28:29], -1.0, v[6:7]
	s_delay_alu instid0(VALU_DEP_3) | instskip(NEXT) | instid1(VALU_DEP_2)
	v_cmp_gt_f64_e32 vcc_lo, s[30:31], v[26:27]
	v_add_f64_e64 v[26:27], v[28:29], -v[6:7]
	s_delay_alu instid0(VALU_DEP_4) | instskip(NEXT) | instid1(VALU_DEP_1)
	v_subrev_co_ci_u32_e64 v4, null, 0, v4, vcc_lo
	v_dual_add_f64 v[26:27], 1.0, v[26:27] :: v_dual_sub_nc_u32 v8, 0, v4
	v_add_f64_e64 v[28:29], v[2:3], -v[28:29]
	v_cmp_neq_f64_e64 s8, 0x7ff00000, v[2:3]
	s_delay_alu instid0(VALU_DEP_3) | instskip(NEXT) | instid1(VALU_DEP_3)
	v_ldexp_f64 v[6:7], v[6:7], v8
	v_add_f64_e32 v[26:27], v[28:29], v[26:27]
	s_delay_alu instid0(VALU_DEP_2) | instskip(SKIP_1) | instid1(VALU_DEP_3)
	v_add_f64_e32 v[30:31], 1.0, v[6:7]
	v_add_f64_e32 v[54:55], -1.0, v[6:7]
	v_ldexp_f64 v[26:27], v[26:27], v8
	s_delay_alu instid0(VALU_DEP_3) | instskip(NEXT) | instid1(VALU_DEP_3)
	v_add_f64_e32 v[28:29], -1.0, v[30:31]
	v_add_f64_e32 v[56:57], 1.0, v[54:55]
	s_delay_alu instid0(VALU_DEP_2) | instskip(NEXT) | instid1(VALU_DEP_2)
	v_add_f64_e64 v[28:29], v[6:7], -v[28:29]
	v_add_f64_e64 v[6:7], v[6:7], -v[56:57]
	s_delay_alu instid0(VALU_DEP_2) | instskip(NEXT) | instid1(VALU_DEP_2)
	v_add_f64_e32 v[28:29], v[26:27], v[28:29]
	v_add_f64_e32 v[6:7], v[26:27], v[6:7]
	s_delay_alu instid0(VALU_DEP_2) | instskip(NEXT) | instid1(VALU_DEP_2)
	v_add_f64_e32 v[32:33], v[30:31], v[28:29]
	v_add_f64_e32 v[56:57], v[54:55], v[6:7]
	s_delay_alu instid0(VALU_DEP_2) | instskip(SKIP_1) | instid1(VALU_DEP_2)
	v_rcp_f64_e32 v[52:53], v[32:33]
	v_add_f64_e64 v[30:31], v[30:31], -v[32:33]
	v_add_f64_e64 v[54:55], v[54:55], -v[56:57]
	s_delay_alu instid0(VALU_DEP_2) | instskip(NEXT) | instid1(VALU_DEP_2)
	v_add_f64_e32 v[28:29], v[28:29], v[30:31]
	v_add_f64_e32 v[6:7], v[6:7], v[54:55]
	s_delay_alu instid0(TRANS32_DEP_1) | instskip(NEXT) | instid1(VALU_DEP_1)
	v_fma_f64 v[58:59], -v[32:33], v[52:53], 1.0
	v_fmac_f64_e32 v[52:53], v[58:59], v[52:53]
	s_delay_alu instid0(VALU_DEP_1) | instskip(NEXT) | instid1(VALU_DEP_1)
	v_fma_f64 v[26:27], -v[32:33], v[52:53], 1.0
	v_fmac_f64_e32 v[52:53], v[26:27], v[52:53]
	s_delay_alu instid0(VALU_DEP_1) | instskip(NEXT) | instid1(VALU_DEP_1)
	v_mul_f64_e32 v[26:27], v[56:57], v[52:53]
	v_mul_f64_e32 v[58:59], v[32:33], v[26:27]
	s_delay_alu instid0(VALU_DEP_1) | instskip(NEXT) | instid1(VALU_DEP_1)
	v_fma_f64 v[30:31], v[26:27], v[32:33], -v[58:59]
	v_fmac_f64_e32 v[30:31], v[26:27], v[28:29]
	s_delay_alu instid0(VALU_DEP_1) | instskip(NEXT) | instid1(VALU_DEP_1)
	v_add_f64_e32 v[60:61], v[58:59], v[30:31]
	v_add_f64_e64 v[62:63], v[56:57], -v[60:61]
	v_add_f64_e64 v[54:55], v[60:61], -v[58:59]
	s_delay_alu instid0(VALU_DEP_2) | instskip(NEXT) | instid1(VALU_DEP_2)
	v_add_f64_e64 v[56:57], v[56:57], -v[62:63]
	v_add_f64_e64 v[30:31], v[54:55], -v[30:31]
	s_delay_alu instid0(VALU_DEP_2) | instskip(NEXT) | instid1(VALU_DEP_1)
	v_add_f64_e64 v[56:57], v[56:57], -v[60:61]
	v_add_f64_e32 v[6:7], v[6:7], v[56:57]
	s_delay_alu instid0(VALU_DEP_1) | instskip(NEXT) | instid1(VALU_DEP_1)
	v_add_f64_e32 v[6:7], v[30:31], v[6:7]
	v_add_f64_e32 v[30:31], v[62:63], v[6:7]
	s_delay_alu instid0(VALU_DEP_1) | instskip(SKIP_1) | instid1(VALU_DEP_2)
	v_mul_f64_e32 v[54:55], v[52:53], v[30:31]
	v_add_f64_e64 v[60:61], v[62:63], -v[30:31]
	v_mul_f64_e32 v[56:57], v[32:33], v[54:55]
	s_delay_alu instid0(VALU_DEP_2) | instskip(NEXT) | instid1(VALU_DEP_2)
	v_add_f64_e32 v[6:7], v[6:7], v[60:61]
	v_fma_f64 v[32:33], v[54:55], v[32:33], -v[56:57]
	s_delay_alu instid0(VALU_DEP_1) | instskip(NEXT) | instid1(VALU_DEP_1)
	v_fmac_f64_e32 v[32:33], v[54:55], v[28:29]
	v_add_f64_e32 v[28:29], v[56:57], v[32:33]
	s_delay_alu instid0(VALU_DEP_1) | instskip(SKIP_1) | instid1(VALU_DEP_2)
	v_add_f64_e64 v[58:59], v[30:31], -v[28:29]
	v_add_f64_e64 v[56:57], v[28:29], -v[56:57]
	;; [unrolled: 1-line block ×3, first 2 shown]
	s_delay_alu instid0(VALU_DEP_1) | instskip(NEXT) | instid1(VALU_DEP_3)
	v_add_f64_e64 v[28:29], v[30:31], -v[28:29]
	v_add_f64_e64 v[30:31], v[56:57], -v[32:33]
	v_max_num_f64_e64 v[32:33], |v[14:15]|, |v[14:15]|
	s_delay_alu instid0(VALU_DEP_3) | instskip(SKIP_1) | instid1(VALU_DEP_2)
	v_add_f64_e32 v[6:7], v[6:7], v[28:29]
	v_add_f64_e32 v[28:29], v[26:27], v[54:55]
	;; [unrolled: 1-line block ×3, first 2 shown]
	s_delay_alu instid0(VALU_DEP_2) | instskip(SKIP_1) | instid1(VALU_DEP_3)
	v_add_f64_e64 v[26:27], v[28:29], -v[26:27]
	v_max_num_f64_e64 v[30:31], |v[16:17]|, |v[16:17]|
	v_add_f64_e32 v[6:7], v[58:59], v[6:7]
	s_delay_alu instid0(VALU_DEP_3) | instskip(NEXT) | instid1(VALU_DEP_2)
	v_add_f64_e64 v[26:27], v[54:55], -v[26:27]
	v_mul_f64_e32 v[6:7], v[52:53], v[6:7]
	s_delay_alu instid0(VALU_DEP_1) | instskip(SKIP_2) | instid1(VALU_DEP_3)
	v_add_f64_e32 v[6:7], v[26:27], v[6:7]
	v_max_num_f64_e32 v[26:27], v[32:33], v[30:31]
	v_min_num_f64_e32 v[30:31], v[32:33], v[30:31]
	v_add_f64_e32 v[32:33], v[28:29], v[6:7]
	s_delay_alu instid0(VALU_DEP_2) | instskip(NEXT) | instid1(VALU_DEP_2)
	v_div_scale_f64 v[52:53], null, v[26:27], v[26:27], v[30:31]
	v_mul_f64_e32 v[54:55], v[32:33], v[32:33]
	v_add_f64_e64 v[28:29], v[32:33], -v[28:29]
	s_delay_alu instid0(VALU_DEP_3) | instskip(NEXT) | instid1(VALU_DEP_2)
	v_rcp_f64_e32 v[56:57], v[52:53]
	v_fmamk_f64 v[58:59], v[54:55], 0x3fc3ab76bf559e2b, v[40:41]
	v_mul_f64_e32 v[60:61], v[32:33], v[54:55]
	s_delay_alu instid0(VALU_DEP_3) | instskip(NEXT) | instid1(VALU_DEP_3)
	v_add_f64_e64 v[6:7], v[6:7], -v[28:29]
	v_fmaak_f64 v[58:59], v[54:55], v[58:59], 0x3fc7474dd7f4df2e
	s_delay_alu instid0(TRANS32_DEP_1) | instskip(NEXT) | instid1(VALU_DEP_2)
	v_fma_f64 v[62:63], -v[52:53], v[56:57], 1.0
	v_fmaak_f64 v[58:59], v[54:55], v[58:59], 0x3fcc71c016291751
	s_delay_alu instid0(VALU_DEP_1) | instskip(NEXT) | instid1(VALU_DEP_1)
	v_fmaak_f64 v[58:59], v[54:55], v[58:59], 0x3fd249249b27acf1
	v_fmaak_f64 v[58:59], v[54:55], v[58:59], 0x3fd99999998ef7b6
	v_ldexp_f64 v[6:7], v[6:7], 1
	s_delay_alu instid0(VALU_DEP_2) | instskip(SKIP_2) | instid1(VALU_DEP_3)
	v_fmaak_f64 v[54:55], v[54:55], v[58:59], 0x3fe5555555555780
	v_ldexp_f64 v[58:59], v[32:33], 1
	v_fmac_f64_e32 v[56:57], v[56:57], v[62:63]
	v_mul_f64_e32 v[54:55], v[60:61], v[54:55]
	v_cvt_f64_i32_e32 v[60:61], v4
	v_ashrrev_i32_e32 v4, 31, v15
	s_delay_alu instid0(VALU_DEP_1) | instskip(SKIP_3) | instid1(VALU_DEP_3)
	v_and_b32_e32 v3, 0x400921fb, v4
	v_fma_f64 v[62:63], -v[52:53], v[56:57], 1.0
	v_add_f64_e32 v[32:33], v[58:59], v[54:55]
	v_mul_f64_e32 v[64:65], 0x3fe62e42fefa39ef, v[60:61]
	v_fmac_f64_e32 v[56:57], v[56:57], v[62:63]
	s_delay_alu instid0(VALU_DEP_3) | instskip(SKIP_1) | instid1(VALU_DEP_4)
	v_add_f64_e64 v[28:29], v[32:33], -v[58:59]
	v_div_scale_f64 v[58:59], vcc_lo, v[30:31], v[26:27], v[30:31]
	v_fma_f64 v[62:63], v[60:61], s[34:35], -v[64:65]
	s_delay_alu instid0(VALU_DEP_3) | instskip(NEXT) | instid1(VALU_DEP_3)
	v_add_f64_e64 v[28:29], v[54:55], -v[28:29]
	v_mul_f64_e32 v[54:55], v[58:59], v[56:57]
	s_delay_alu instid0(VALU_DEP_3) | instskip(NEXT) | instid1(VALU_DEP_3)
	v_fmac_f64_e32 v[62:63], 0x3c7abc9e3b39803f, v[60:61]
	v_add_f64_e32 v[6:7], v[6:7], v[28:29]
	s_delay_alu instid0(VALU_DEP_3) | instskip(NEXT) | instid1(VALU_DEP_3)
	v_fma_f64 v[28:29], -v[52:53], v[54:55], v[58:59]
	v_add_f64_e32 v[52:53], v[64:65], v[62:63]
	s_delay_alu instid0(VALU_DEP_3) | instskip(NEXT) | instid1(VALU_DEP_3)
	v_add_f64_e32 v[58:59], v[32:33], v[6:7]
	v_div_fmas_f64 v[28:29], v[28:29], v[56:57], v[54:55]
	v_cmp_gt_i32_e32 vcc_lo, 0, v15
	s_delay_alu instid0(VALU_DEP_4) | instskip(SKIP_2) | instid1(VALU_DEP_2)
	v_add_f64_e64 v[56:57], v[52:53], -v[64:65]
	v_cndmask_b32_e32 v2, 0x3fe921fb, v69, vcc_lo
	v_cndmask_b32_e32 v8, 0x54442d18, v68, vcc_lo
	v_bfi_b32 v2, 0x7fffffff, v2, v17
	v_add_f64_e32 v[54:55], v[52:53], v[58:59]
	v_div_fixup_f64 v[26:27], v[28:29], v[26:27], v[30:31]
	v_add_f64_e64 v[32:33], v[58:59], -v[32:33]
	v_add_f64_e64 v[56:57], v[62:63], -v[56:57]
	s_delay_alu instid0(VALU_DEP_4) | instskip(NEXT) | instid1(VALU_DEP_4)
	v_add_f64_e64 v[28:29], v[54:55], -v[52:53]
	v_mul_f64_e32 v[30:31], v[26:27], v[26:27]
	s_delay_alu instid0(VALU_DEP_4) | instskip(NEXT) | instid1(VALU_DEP_3)
	v_add_f64_e64 v[6:7], v[6:7], -v[32:33]
	v_add_f64_e64 v[60:61], v[54:55], -v[28:29]
	s_delay_alu instid0(VALU_DEP_3) | instskip(SKIP_1) | instid1(VALU_DEP_4)
	v_fmamk_f64 v[64:65], v[30:31], 0x3eeba404b5e68a13, v[42:43]
	v_add_f64_e64 v[28:29], v[58:59], -v[28:29]
	v_add_f64_e32 v[58:59], v[56:57], v[6:7]
	s_delay_alu instid0(VALU_DEP_3) | instskip(NEXT) | instid1(VALU_DEP_1)
	v_fmaak_f64 v[64:65], v[30:31], v[64:65], 0x3f4b2bb069efb384
	v_fmaak_f64 v[64:65], v[30:31], v[64:65], 0xbf67952daf56de9b
	v_add_f64_e64 v[32:33], v[52:53], -v[60:61]
	s_delay_alu instid0(VALU_DEP_2) | instskip(NEXT) | instid1(VALU_DEP_1)
	v_fmaak_f64 v[52:53], v[30:31], v[64:65], 0x3f7d6d43a595c56f
	v_fmaak_f64 v[52:53], v[30:31], v[52:53], 0xbf8c6ea4a57d9582
	s_delay_alu instid0(VALU_DEP_1) | instskip(NEXT) | instid1(VALU_DEP_1)
	v_fmaak_f64 v[52:53], v[30:31], v[52:53], 0x3f967e295f08b19f
	v_fmaak_f64 v[52:53], v[30:31], v[52:53], 0xbf9e9ae6fc27006a
	s_delay_alu instid0(VALU_DEP_1) | instskip(SKIP_1) | instid1(VALU_DEP_2)
	v_fmaak_f64 v[52:53], v[30:31], v[52:53], 0x3fa2c15b5711927a
	v_add_f64_e32 v[28:29], v[28:29], v[32:33]
	v_fmaak_f64 v[32:33], v[30:31], v[52:53], 0xbfa59976e82d3ff0
	v_add_f64_e64 v[52:53], v[58:59], -v[56:57]
	s_delay_alu instid0(VALU_DEP_2) | instskip(NEXT) | instid1(VALU_DEP_1)
	v_fmaak_f64 v[32:33], v[30:31], v[32:33], 0x3fa82d5d6ef28734
	v_fmaak_f64 v[32:33], v[30:31], v[32:33], 0xbfaae5ce6a214619
	s_delay_alu instid0(VALU_DEP_1) | instskip(NEXT) | instid1(VALU_DEP_1)
	v_fmaak_f64 v[32:33], v[30:31], v[32:33], 0x3fae1bb48427b883
	v_fmaak_f64 v[32:33], v[30:31], v[32:33], 0xbfb110e48b207f05
	v_add_f64_e32 v[28:29], v[58:59], v[28:29]
	v_add_f64_e64 v[58:59], v[58:59], -v[52:53]
	v_add_f64_e64 v[6:7], v[6:7], -v[52:53]
	s_delay_alu instid0(VALU_DEP_4) | instskip(NEXT) | instid1(VALU_DEP_1)
	v_fmaak_f64 v[32:33], v[30:31], v[32:33], 0x3fb3b13657b87036
	v_fmaak_f64 v[32:33], v[30:31], v[32:33], 0xbfb745d119378e4f
	s_delay_alu instid0(VALU_DEP_1) | instskip(NEXT) | instid1(VALU_DEP_1)
	v_fmaak_f64 v[32:33], v[30:31], v[32:33], 0x3fbc71c717e1913c
	v_fmaak_f64 v[32:33], v[30:31], v[32:33], 0xbfc2492492376b7d
	v_add_f64_e32 v[60:61], v[54:55], v[28:29]
	s_delay_alu instid0(VALU_DEP_2) | instskip(NEXT) | instid1(VALU_DEP_1)
	v_fmaak_f64 v[32:33], v[30:31], v[32:33], 0x3fc99999999952cc
	v_fmaak_f64 v[32:33], v[30:31], v[32:33], 0xbfd5555555555523
	s_delay_alu instid0(VALU_DEP_1) | instskip(SKIP_2) | instid1(VALU_DEP_3)
	v_mul_f64_e32 v[30:31], v[30:31], v[32:33]
	v_add_f64_e64 v[32:33], v[56:57], -v[58:59]
	v_add_f64_e64 v[52:53], v[60:61], -v[54:55]
	v_fmac_f64_e32 v[26:27], v[26:27], v[30:31]
	s_delay_alu instid0(VALU_DEP_3) | instskip(NEXT) | instid1(VALU_DEP_3)
	v_add_f64_e32 v[6:7], v[6:7], v[32:33]
	v_add_f64_e64 v[28:29], v[28:29], -v[52:53]
	s_delay_alu instid0(VALU_DEP_3) | instskip(NEXT) | instid1(VALU_DEP_2)
	v_add_f64_e64 v[30:31], -v[26:27], s[40:41]
	v_add_f64_e32 v[6:7], v[6:7], v[28:29]
	s_delay_alu instid0(VALU_DEP_2) | instskip(SKIP_1) | instid1(VALU_DEP_2)
	v_dual_cndmask_b32 v27, v27, v31, s6 :: v_dual_cndmask_b32 v26, v26, v30, s6
	v_and_b32_e32 v30, 0x54442d18, v4
	v_add_f64_e64 v[28:29], -v[26:27], s[42:43]
	s_delay_alu instid0(VALU_DEP_1) | instskip(NEXT) | instid1(VALU_DEP_2)
	v_dual_add_f64 v[6:7], v[60:61], v[6:7] :: v_dual_cndmask_b32 v26, v26, v28, vcc_lo
	v_cndmask_b32_e32 v4, v27, v29, vcc_lo
	s_and_b32 vcc_lo, s11, s12
	s_delay_alu instid0(VALU_DEP_1) | instskip(NEXT) | instid1(VALU_DEP_1)
	v_dual_cndmask_b32 v14, v26, v30, s7 :: v_dual_cndmask_b32 v3, v4, v3, s7
	v_dual_mul_f64 v[6:7], 0.5, v[6:7] :: v_dual_cndmask_b32 v28, v14, v8, vcc_lo
	s_delay_alu instid0(VALU_DEP_2) | instskip(NEXT) | instid1(VALU_DEP_2)
	v_cndmask_b32_e32 v29, v3, v2, vcc_lo
	v_cndmask_b32_e64 v27, 0x7ff00000, v7, s8
	s_delay_alu instid0(VALU_DEP_3)
	v_cndmask_b32_e64 v26, 0, v6, s8
                                        ; implicit-def: $vgpr6_vgpr7
.LBB173_101:                            ;   in Loop: Header=BB173_4 Depth=1
	s_and_not1_saveexec_b32 s8, s10
	s_cbranch_execz .LBB173_103
; %bb.102:                              ;   in Loop: Header=BB173_4 Depth=1
	v_max_num_f64_e64 v[2:3], |v[16:17]|, |v[16:17]|
	v_max_num_f64_e64 v[26:27], |v[14:15]|, |v[14:15]|
	v_cmp_eq_f64_e64 s7, 0, v[16:17]
	v_cmp_class_f64_e64 s10, v[16:17], 0x204
	v_cmp_class_f64_e64 s11, v[14:15], 0x204
	v_ashrrev_i32_e32 v4, 31, v15
	v_max_num_f64_e32 v[28:29], v[26:27], v[2:3]
	v_min_num_f64_e32 v[2:3], v[26:27], v[2:3]
	s_delay_alu instid0(VALU_DEP_1) | instskip(SKIP_1) | instid1(VALU_DEP_2)
	v_div_scale_f64 v[26:27], null, v[28:29], v[28:29], v[2:3]
	v_div_scale_f64 v[52:53], vcc_lo, v[2:3], v[28:29], v[2:3]
	v_rcp_f64_e32 v[30:31], v[26:27]
	v_nop
	s_delay_alu instid0(TRANS32_DEP_1) | instskip(NEXT) | instid1(VALU_DEP_1)
	v_fma_f64 v[32:33], -v[26:27], v[30:31], 1.0
	v_fmac_f64_e32 v[30:31], v[30:31], v[32:33]
	s_delay_alu instid0(VALU_DEP_1) | instskip(NEXT) | instid1(VALU_DEP_1)
	v_fma_f64 v[32:33], -v[26:27], v[30:31], 1.0
	v_fmac_f64_e32 v[30:31], v[30:31], v[32:33]
	s_delay_alu instid0(VALU_DEP_1) | instskip(NEXT) | instid1(VALU_DEP_1)
	v_mul_f64_e32 v[32:33], v[52:53], v[30:31]
	v_fma_f64 v[26:27], -v[26:27], v[32:33], v[52:53]
	s_delay_alu instid0(VALU_DEP_1)
	v_div_fmas_f64 v[26:27], v[26:27], v[30:31], v[32:33]
	v_cmp_gt_i32_e32 vcc_lo, 0, v15
	v_and_b32_e32 v30, 0x54442d18, v4
	v_and_b32_e32 v4, 0x400921fb, v4
	v_cndmask_b32_e32 v8, 0x54442d18, v68, vcc_lo
	v_div_fixup_f64 v[2:3], v[26:27], v[28:29], v[2:3]
	s_delay_alu instid0(VALU_DEP_1) | instskip(NEXT) | instid1(VALU_DEP_1)
	v_mul_f64_e32 v[26:27], v[2:3], v[2:3]
	v_fmamk_f64 v[28:29], v[26:27], 0x3eeba404b5e68a13, v[42:43]
	s_delay_alu instid0(VALU_DEP_1) | instskip(NEXT) | instid1(VALU_DEP_1)
	v_fmaak_f64 v[28:29], v[26:27], v[28:29], 0x3f4b2bb069efb384
	v_fmaak_f64 v[28:29], v[26:27], v[28:29], 0xbf67952daf56de9b
	s_delay_alu instid0(VALU_DEP_1) | instskip(NEXT) | instid1(VALU_DEP_1)
	v_fmaak_f64 v[28:29], v[26:27], v[28:29], 0x3f7d6d43a595c56f
	v_fmaak_f64 v[28:29], v[26:27], v[28:29], 0xbf8c6ea4a57d9582
	;; [unrolled: 3-line block ×9, first 2 shown]
	s_delay_alu instid0(VALU_DEP_1) | instskip(NEXT) | instid1(VALU_DEP_1)
	v_mul_f64_e32 v[26:27], v[26:27], v[28:29]
	v_fmac_f64_e32 v[2:3], v[2:3], v[26:27]
	s_delay_alu instid0(VALU_DEP_1) | instskip(NEXT) | instid1(VALU_DEP_1)
	v_add_f64_e64 v[26:27], -v[2:3], s[40:41]
	v_dual_cndmask_b32 v3, v3, v27, s6 :: v_dual_cndmask_b32 v2, v2, v26, s6
	s_delay_alu instid0(VALU_DEP_1) | instskip(NEXT) | instid1(VALU_DEP_1)
	v_add_f64_e64 v[28:29], -v[2:3], s[42:43]
	v_dual_mul_f64 v[26:27], 0.5, v[6:7] :: v_dual_cndmask_b32 v3, v3, v29, vcc_lo
	s_delay_alu instid0(VALU_DEP_1) | instskip(NEXT) | instid1(VALU_DEP_3)
	v_mul_f64_e32 v[26:27], v[6:7], v[26:27]
	v_cndmask_b32_e32 v2, v2, v28, vcc_lo
	v_cndmask_b32_e32 v6, 0x3fe921fb, v69, vcc_lo
	s_and_b32 vcc_lo, s10, s11
	s_delay_alu instid0(VALU_DEP_2) | instskip(NEXT) | instid1(VALU_DEP_2)
	v_dual_cndmask_b32 v3, v3, v4, s7 :: v_dual_cndmask_b32 v2, v2, v30, s7
	v_bfi_b32 v6, 0x7fffffff, v6, v17
	s_delay_alu instid0(VALU_DEP_1)
	v_dual_cndmask_b32 v28, v2, v8 :: v_dual_cndmask_b32 v29, v3, v6
.LBB173_103:                            ;   in Loop: Header=BB173_4 Depth=1
	s_or_b32 exec_lo, exec_lo, s8
.LBB173_104:                            ;   in Loop: Header=BB173_4 Depth=1
	s_delay_alu instid0(SALU_CYCLE_1)
	s_or_b32 exec_lo, exec_lo, s9
.LBB173_105:                            ;   in Loop: Header=BB173_4 Depth=1
	s_and_not1_saveexec_b32 s8, s33
	s_cbranch_execz .LBB173_107
; %bb.106:                              ;   in Loop: Header=BB173_4 Depth=1
	v_div_scale_f64 v[2:3], null, s[48:49], s[48:49], v[14:15]
	v_div_scale_f64 v[6:7], null, s[48:49], s[48:49], v[16:17]
	v_div_scale_f64 v[52:53], vcc_lo, v[14:15], s[48:49], v[14:15]
	s_delay_alu instid0(VALU_DEP_3) | instskip(NEXT) | instid1(VALU_DEP_2)
	v_rcp_f64_e32 v[26:27], v[2:3]
	v_rcp_f64_e32 v[28:29], v[6:7]
	s_delay_alu instid0(TRANS32_DEP_2) | instskip(NEXT) | instid1(TRANS32_DEP_1)
	v_fma_f64 v[30:31], -v[2:3], v[26:27], 1.0
	v_fma_f64 v[32:33], -v[6:7], v[28:29], 1.0
	s_delay_alu instid0(VALU_DEP_2) | instskip(NEXT) | instid1(VALU_DEP_2)
	v_fmac_f64_e32 v[26:27], v[26:27], v[30:31]
	v_fmac_f64_e32 v[28:29], v[28:29], v[32:33]
	s_delay_alu instid0(VALU_DEP_2) | instskip(NEXT) | instid1(VALU_DEP_2)
	v_fma_f64 v[30:31], -v[2:3], v[26:27], 1.0
	v_fma_f64 v[32:33], -v[6:7], v[28:29], 1.0
	s_delay_alu instid0(VALU_DEP_2) | instskip(SKIP_1) | instid1(VALU_DEP_3)
	v_fmac_f64_e32 v[26:27], v[26:27], v[30:31]
	v_div_scale_f64 v[30:31], s7, v[16:17], s[48:49], v[16:17]
	v_fmac_f64_e32 v[28:29], v[28:29], v[32:33]
	s_delay_alu instid0(VALU_DEP_3) | instskip(NEXT) | instid1(VALU_DEP_2)
	v_mul_f64_e32 v[32:33], v[52:53], v[26:27]
	v_mul_f64_e32 v[54:55], v[30:31], v[28:29]
	s_delay_alu instid0(VALU_DEP_2) | instskip(NEXT) | instid1(VALU_DEP_2)
	v_fma_f64 v[2:3], -v[2:3], v[32:33], v[52:53]
	v_fma_f64 v[6:7], -v[6:7], v[54:55], v[30:31]
	s_delay_alu instid0(VALU_DEP_2) | instskip(SKIP_1) | instid1(VALU_DEP_2)
	v_div_fmas_f64 v[2:3], v[2:3], v[26:27], v[32:33]
	s_mov_b32 vcc_lo, s7
	v_div_fmas_f64 v[6:7], v[6:7], v[28:29], v[54:55]
	s_delay_alu instid0(VALU_DEP_2) | instskip(NEXT) | instid1(VALU_DEP_2)
	v_div_fixup_f64 v[2:3], v[2:3], s[48:49], v[14:15]
	v_div_fixup_f64 v[6:7], v[6:7], s[48:49], v[16:17]
	s_delay_alu instid0(VALU_DEP_2) | instskip(NEXT) | instid1(VALU_DEP_2)
	v_cmp_class_f64_e64 s7, v[2:3], 0x204
	v_max_num_f64_e64 v[26:27], |v[2:3]|, |v[6:7]|
	v_cmp_class_f64_e64 s9, v[6:7], 0x204
	s_delay_alu instid0(VALU_DEP_2) | instskip(SKIP_2) | instid1(VALU_DEP_2)
	v_frexp_exp_i32_f64_e32 v4, v[26:27]
	s_or_b32 s7, s9, s7
	v_cmp_class_f64_e64 s9, v[14:15], 0x204
	v_sub_nc_u32_e32 v8, 0, v4
	s_delay_alu instid0(VALU_DEP_1) | instskip(SKIP_1) | instid1(VALU_DEP_2)
	v_ldexp_f64 v[26:27], |v[6:7]|, v8
	v_ldexp_f64 v[28:29], |v[2:3]|, v8
	v_mul_f64_e32 v[26:27], v[26:27], v[26:27]
	s_delay_alu instid0(VALU_DEP_1) | instskip(NEXT) | instid1(VALU_DEP_1)
	v_fmac_f64_e32 v[26:27], v[28:29], v[28:29]
	v_rsq_f64_e32 v[28:29], v[26:27]
	v_cmp_eq_f64_e32 vcc_lo, 0, v[26:27]
	s_delay_alu instid0(TRANS32_DEP_1) | instskip(SKIP_1) | instid1(VALU_DEP_1)
	v_mul_f64_e32 v[30:31], v[26:27], v[28:29]
	v_mul_f64_e32 v[28:29], 0.5, v[28:29]
	v_fma_f64 v[32:33], -v[28:29], v[30:31], 0.5
	s_delay_alu instid0(VALU_DEP_1) | instskip(SKIP_1) | instid1(VALU_DEP_2)
	v_fmac_f64_e32 v[30:31], v[30:31], v[32:33]
	v_fmac_f64_e32 v[28:29], v[28:29], v[32:33]
	v_fma_f64 v[32:33], -v[30:31], v[30:31], v[26:27]
	s_delay_alu instid0(VALU_DEP_1) | instskip(NEXT) | instid1(VALU_DEP_1)
	v_fmac_f64_e32 v[30:31], v[32:33], v[28:29]
	v_dual_cndmask_b32 v27, v31, v27 :: v_dual_cndmask_b32 v26, v30, v26
	v_cmp_o_f64_e32 vcc_lo, v[2:3], v[6:7]
	s_delay_alu instid0(VALU_DEP_2) | instskip(NEXT) | instid1(VALU_DEP_1)
	v_ldexp_f64 v[26:27], v[26:27], v4
	v_cndmask_b32_e32 v2, 0, v26, vcc_lo
	s_delay_alu instid0(VALU_DEP_2) | instskip(NEXT) | instid1(VALU_DEP_2)
	v_cndmask_b32_e32 v3, 0x7ff80000, v27, vcc_lo
	v_cndmask_b32_e64 v2, v2, 0, s7
	s_delay_alu instid0(VALU_DEP_2) | instskip(SKIP_1) | instid1(VALU_DEP_2)
	v_cndmask_b32_e64 v3, v3, 0x7ff00000, s7
	v_cmp_class_f64_e64 s7, v[16:17], 0x204
	v_frexp_mant_f64_e32 v[6:7], v[2:3]
	s_delay_alu instid0(VALU_DEP_1) | instskip(SKIP_1) | instid1(VALU_DEP_1)
	v_cmp_gt_f64_e32 vcc_lo, s[30:31], v[6:7]
	v_cndmask_b32_e64 v4, 0, 1, vcc_lo
	v_ldexp_f64 v[6:7], v[6:7], v4
	v_frexp_exp_i32_f64_e32 v4, v[2:3]
	s_delay_alu instid0(VALU_DEP_2) | instskip(SKIP_1) | instid1(VALU_DEP_3)
	v_add_f64_e32 v[26:27], 1.0, v[6:7]
	v_add_f64_e32 v[32:33], -1.0, v[6:7]
	v_subrev_co_ci_u32_e64 v4, null, 0, v4, vcc_lo
	s_delay_alu instid0(VALU_DEP_3) | instskip(SKIP_1) | instid1(VALU_DEP_1)
	v_rcp_f64_e32 v[28:29], v[26:27]
	v_add_f64_e32 v[52:53], -1.0, v[26:27]
	v_add_f64_e64 v[6:7], v[6:7], -v[52:53]
	s_delay_alu instid0(TRANS32_DEP_1) | instskip(NEXT) | instid1(VALU_DEP_1)
	v_fma_f64 v[30:31], -v[26:27], v[28:29], 1.0
	v_fmac_f64_e32 v[28:29], v[30:31], v[28:29]
	s_delay_alu instid0(VALU_DEP_1) | instskip(NEXT) | instid1(VALU_DEP_1)
	v_fma_f64 v[30:31], -v[26:27], v[28:29], 1.0
	v_fmac_f64_e32 v[28:29], v[30:31], v[28:29]
	s_delay_alu instid0(VALU_DEP_1) | instskip(NEXT) | instid1(VALU_DEP_1)
	v_mul_f64_e32 v[30:31], v[32:33], v[28:29]
	v_mul_f64_e32 v[54:55], v[26:27], v[30:31]
	s_delay_alu instid0(VALU_DEP_1) | instskip(NEXT) | instid1(VALU_DEP_1)
	v_fma_f64 v[26:27], v[30:31], v[26:27], -v[54:55]
	v_fmac_f64_e32 v[26:27], v[30:31], v[6:7]
	s_delay_alu instid0(VALU_DEP_1) | instskip(NEXT) | instid1(VALU_DEP_1)
	v_add_f64_e32 v[6:7], v[54:55], v[26:27]
	v_add_f64_e64 v[52:53], v[32:33], -v[6:7]
	v_add_f64_e64 v[54:55], v[6:7], -v[54:55]
	s_delay_alu instid0(VALU_DEP_2) | instskip(NEXT) | instid1(VALU_DEP_2)
	v_add_f64_e64 v[32:33], v[32:33], -v[52:53]
	v_add_f64_e64 v[26:27], v[54:55], -v[26:27]
	s_delay_alu instid0(VALU_DEP_2) | instskip(SKIP_1) | instid1(VALU_DEP_2)
	v_add_f64_e64 v[6:7], v[32:33], -v[6:7]
	v_max_num_f64_e64 v[32:33], |v[14:15]|, |v[14:15]|
	v_add_f64_e32 v[6:7], v[26:27], v[6:7]
	v_max_num_f64_e64 v[26:27], |v[16:17]|, |v[16:17]|
	s_delay_alu instid0(VALU_DEP_2) | instskip(NEXT) | instid1(VALU_DEP_1)
	v_add_f64_e32 v[6:7], v[52:53], v[6:7]
	v_mul_f64_e32 v[6:7], v[28:29], v[6:7]
	s_delay_alu instid0(VALU_DEP_3) | instskip(SKIP_1) | instid1(VALU_DEP_3)
	v_max_num_f64_e32 v[28:29], v[32:33], v[26:27]
	v_min_num_f64_e32 v[26:27], v[32:33], v[26:27]
	v_add_f64_e32 v[32:33], v[30:31], v[6:7]
	s_delay_alu instid0(VALU_DEP_2) | instskip(NEXT) | instid1(VALU_DEP_2)
	v_div_scale_f64 v[52:53], null, v[28:29], v[28:29], v[26:27]
	v_mul_f64_e32 v[54:55], v[32:33], v[32:33]
	v_add_f64_e64 v[30:31], v[32:33], -v[30:31]
	s_delay_alu instid0(VALU_DEP_3) | instskip(NEXT) | instid1(VALU_DEP_2)
	v_rcp_f64_e32 v[56:57], v[52:53]
	v_fmamk_f64 v[58:59], v[54:55], 0x3fc3ab76bf559e2b, v[40:41]
	v_mul_f64_e32 v[60:61], v[32:33], v[54:55]
	s_delay_alu instid0(VALU_DEP_3) | instskip(NEXT) | instid1(VALU_DEP_3)
	v_add_f64_e64 v[6:7], v[6:7], -v[30:31]
	v_fmaak_f64 v[58:59], v[54:55], v[58:59], 0x3fc7474dd7f4df2e
	s_delay_alu instid0(TRANS32_DEP_1) | instskip(NEXT) | instid1(VALU_DEP_2)
	v_fma_f64 v[62:63], -v[52:53], v[56:57], 1.0
	v_fmaak_f64 v[58:59], v[54:55], v[58:59], 0x3fcc71c016291751
	s_delay_alu instid0(VALU_DEP_1) | instskip(NEXT) | instid1(VALU_DEP_1)
	v_fmaak_f64 v[58:59], v[54:55], v[58:59], 0x3fd249249b27acf1
	v_fmaak_f64 v[58:59], v[54:55], v[58:59], 0x3fd99999998ef7b6
	v_ldexp_f64 v[6:7], v[6:7], 1
	s_delay_alu instid0(VALU_DEP_2) | instskip(SKIP_2) | instid1(VALU_DEP_3)
	v_fmaak_f64 v[54:55], v[54:55], v[58:59], 0x3fe5555555555780
	v_ldexp_f64 v[58:59], v[32:33], 1
	v_fmac_f64_e32 v[56:57], v[56:57], v[62:63]
	v_mul_f64_e32 v[54:55], v[60:61], v[54:55]
	v_cvt_f64_i32_e32 v[60:61], v4
	v_ashrrev_i32_e32 v4, 31, v15
	s_delay_alu instid0(VALU_DEP_4) | instskip(NEXT) | instid1(VALU_DEP_4)
	v_fma_f64 v[62:63], -v[52:53], v[56:57], 1.0
	v_add_f64_e32 v[32:33], v[58:59], v[54:55]
	s_delay_alu instid0(VALU_DEP_4) | instskip(NEXT) | instid1(VALU_DEP_3)
	v_mul_f64_e32 v[64:65], 0x3fe62e42fefa39ef, v[60:61]
	v_fmac_f64_e32 v[56:57], v[56:57], v[62:63]
	s_delay_alu instid0(VALU_DEP_3) | instskip(SKIP_1) | instid1(VALU_DEP_4)
	v_add_f64_e64 v[30:31], v[32:33], -v[58:59]
	v_div_scale_f64 v[58:59], vcc_lo, v[26:27], v[28:29], v[26:27]
	v_fma_f64 v[62:63], v[60:61], s[34:35], -v[64:65]
	s_delay_alu instid0(VALU_DEP_3) | instskip(NEXT) | instid1(VALU_DEP_3)
	v_add_f64_e64 v[30:31], v[54:55], -v[30:31]
	v_mul_f64_e32 v[54:55], v[58:59], v[56:57]
	s_delay_alu instid0(VALU_DEP_3) | instskip(NEXT) | instid1(VALU_DEP_3)
	v_fmac_f64_e32 v[62:63], 0x3c7abc9e3b39803f, v[60:61]
	v_add_f64_e32 v[6:7], v[6:7], v[30:31]
	s_delay_alu instid0(VALU_DEP_3) | instskip(NEXT) | instid1(VALU_DEP_3)
	v_fma_f64 v[30:31], -v[52:53], v[54:55], v[58:59]
	v_add_f64_e32 v[52:53], v[64:65], v[62:63]
	s_delay_alu instid0(VALU_DEP_3) | instskip(NEXT) | instid1(VALU_DEP_3)
	v_add_f64_e32 v[58:59], v[32:33], v[6:7]
	v_div_fmas_f64 v[30:31], v[30:31], v[56:57], v[54:55]
	v_cmp_class_f64_e64 vcc_lo, v[2:3], 0x204
	s_delay_alu instid0(VALU_DEP_4) | instskip(NEXT) | instid1(VALU_DEP_4)
	v_add_f64_e64 v[56:57], v[52:53], -v[64:65]
	v_add_f64_e32 v[54:55], v[52:53], v[58:59]
	s_delay_alu instid0(VALU_DEP_4) | instskip(SKIP_1) | instid1(VALU_DEP_4)
	v_div_fixup_f64 v[26:27], v[30:31], v[28:29], v[26:27]
	v_add_f64_e64 v[32:33], v[58:59], -v[32:33]
	v_add_f64_e64 v[56:57], v[62:63], -v[56:57]
	s_delay_alu instid0(VALU_DEP_4) | instskip(NEXT) | instid1(VALU_DEP_4)
	v_add_f64_e64 v[28:29], v[54:55], -v[52:53]
	v_mul_f64_e32 v[30:31], v[26:27], v[26:27]
	s_delay_alu instid0(VALU_DEP_4) | instskip(NEXT) | instid1(VALU_DEP_3)
	v_add_f64_e64 v[6:7], v[6:7], -v[32:33]
	v_add_f64_e64 v[60:61], v[54:55], -v[28:29]
	s_delay_alu instid0(VALU_DEP_3) | instskip(SKIP_1) | instid1(VALU_DEP_4)
	v_fmamk_f64 v[64:65], v[30:31], 0x3eeba404b5e68a13, v[42:43]
	v_add_f64_e64 v[28:29], v[58:59], -v[28:29]
	v_add_f64_e32 v[58:59], v[56:57], v[6:7]
	s_delay_alu instid0(VALU_DEP_3) | instskip(SKIP_1) | instid1(VALU_DEP_2)
	v_fmaak_f64 v[64:65], v[30:31], v[64:65], 0x3f4b2bb069efb384
	v_add_f64_e64 v[32:33], v[52:53], -v[60:61]
	v_fmaak_f64 v[52:53], v[30:31], v[64:65], 0xbf67952daf56de9b
	s_delay_alu instid0(VALU_DEP_1) | instskip(NEXT) | instid1(VALU_DEP_1)
	v_fmaak_f64 v[52:53], v[30:31], v[52:53], 0x3f7d6d43a595c56f
	v_fmaak_f64 v[52:53], v[30:31], v[52:53], 0xbf8c6ea4a57d9582
	s_delay_alu instid0(VALU_DEP_1) | instskip(SKIP_1) | instid1(VALU_DEP_2)
	v_fmaak_f64 v[52:53], v[30:31], v[52:53], 0x3f967e295f08b19f
	v_add_f64_e32 v[28:29], v[28:29], v[32:33]
	v_fmaak_f64 v[32:33], v[30:31], v[52:53], 0xbf9e9ae6fc27006a
	v_add_f64_e64 v[52:53], v[58:59], -v[56:57]
	s_delay_alu instid0(VALU_DEP_2) | instskip(NEXT) | instid1(VALU_DEP_1)
	v_fmaak_f64 v[32:33], v[30:31], v[32:33], 0x3fa2c15b5711927a
	v_fmaak_f64 v[32:33], v[30:31], v[32:33], 0xbfa59976e82d3ff0
	s_delay_alu instid0(VALU_DEP_1) | instskip(NEXT) | instid1(VALU_DEP_1)
	v_fmaak_f64 v[32:33], v[30:31], v[32:33], 0x3fa82d5d6ef28734
	v_fmaak_f64 v[32:33], v[30:31], v[32:33], 0xbfaae5ce6a214619
	v_add_f64_e32 v[28:29], v[58:59], v[28:29]
	v_add_f64_e64 v[58:59], v[58:59], -v[52:53]
	v_add_f64_e64 v[6:7], v[6:7], -v[52:53]
	s_delay_alu instid0(VALU_DEP_4) | instskip(NEXT) | instid1(VALU_DEP_1)
	v_fmaak_f64 v[32:33], v[30:31], v[32:33], 0x3fae1bb48427b883
	v_fmaak_f64 v[32:33], v[30:31], v[32:33], 0xbfb110e48b207f05
	s_delay_alu instid0(VALU_DEP_1) | instskip(NEXT) | instid1(VALU_DEP_1)
	v_fmaak_f64 v[32:33], v[30:31], v[32:33], 0x3fb3b13657b87036
	v_fmaak_f64 v[32:33], v[30:31], v[32:33], 0xbfb745d119378e4f
	s_delay_alu instid0(VALU_DEP_1) | instskip(SKIP_1) | instid1(VALU_DEP_2)
	v_fmaak_f64 v[32:33], v[30:31], v[32:33], 0x3fbc71c717e1913c
	v_add_f64_e32 v[60:61], v[54:55], v[28:29]
	v_fmaak_f64 v[32:33], v[30:31], v[32:33], 0xbfc2492492376b7d
	s_delay_alu instid0(VALU_DEP_1) | instskip(NEXT) | instid1(VALU_DEP_1)
	v_fmaak_f64 v[32:33], v[30:31], v[32:33], 0x3fc99999999952cc
	v_fmaak_f64 v[32:33], v[30:31], v[32:33], 0xbfd5555555555523
	s_delay_alu instid0(VALU_DEP_1) | instskip(SKIP_2) | instid1(VALU_DEP_3)
	v_mul_f64_e32 v[30:31], v[30:31], v[32:33]
	v_add_f64_e64 v[32:33], v[56:57], -v[58:59]
	v_add_f64_e64 v[52:53], v[60:61], -v[54:55]
	v_fmac_f64_e32 v[26:27], v[26:27], v[30:31]
	s_delay_alu instid0(VALU_DEP_3) | instskip(NEXT) | instid1(VALU_DEP_3)
	v_add_f64_e32 v[6:7], v[6:7], v[32:33]
	v_add_f64_e64 v[28:29], v[28:29], -v[52:53]
	s_delay_alu instid0(VALU_DEP_3) | instskip(NEXT) | instid1(VALU_DEP_2)
	v_add_f64_e64 v[30:31], -v[26:27], s[40:41]
	v_add_f64_e32 v[6:7], v[6:7], v[28:29]
	s_delay_alu instid0(VALU_DEP_2)
	v_dual_cndmask_b32 v27, v27, v31, s6 :: v_dual_cndmask_b32 v26, v26, v30, s6
	v_cmp_gt_i32_e64 s6, 0, v15
	v_and_b32_e32 v30, 0x54442d18, v4
	v_and_b32_e32 v4, 0x400921fb, v4
	v_add_f64_e32 v[6:7], v[60:61], v[6:7]
	v_add_f64_e64 v[28:29], -v[26:27], s[42:43]
	v_cndmask_b32_e64 v8, 0x54442d18, v68, s6
	v_cndmask_b32_e64 v14, 0x3fe921fb, v69, s6
	s_delay_alu instid0(VALU_DEP_1) | instskip(SKIP_4) | instid1(VALU_DEP_4)
	v_bfi_b32 v14, 0x7fffffff, v14, v17
	v_dual_cndmask_b32 v7, v7, v3 :: v_dual_cndmask_b32 v6, v6, v2
	v_cmp_eq_f64_e32 vcc_lo, 0, v[16:17]
	v_dual_cndmask_b32 v26, v26, v28, s6 :: v_dual_cndmask_b32 v15, v27, v29, s6
	v_cmp_nge_f64_e64 s6, 0, v[2:3]
	v_add_f64_e32 v[6:7], 1.0, v[6:7]
	s_delay_alu instid0(VALU_DEP_3) | instskip(SKIP_1) | instid1(VALU_DEP_3)
	v_dual_cndmask_b32 v28, v26, v30, vcc_lo :: v_dual_cndmask_b32 v4, v15, v4, vcc_lo
	v_cmp_ngt_f64_e32 vcc_lo, 0, v[2:3]
	v_cndmask_b32_e64 v26, 0, v6, s6
	v_cmp_neq_f64_e64 s6, 0, v[2:3]
	v_cndmask_b32_e32 v7, 0x7ff80000, v7, vcc_lo
	s_and_b32 vcc_lo, s7, s9
	v_cndmask_b32_e32 v29, v4, v14, vcc_lo
	v_cndmask_b32_e32 v28, v28, v8, vcc_lo
	s_delay_alu instid0(VALU_DEP_3)
	v_cndmask_b32_e64 v27, 0xfff00000, v7, s6
.LBB173_107:                            ;   in Loop: Header=BB173_4 Depth=1
	s_or_b32 exec_lo, exec_lo, s8
.LBB173_108:                            ;   in Loop: Header=BB173_4 Depth=1
	s_and_not1_saveexec_b32 s6, s17
	s_cbranch_execz .LBB173_114
; %bb.109:                              ;   in Loop: Header=BB173_4 Depth=1
	v_cmp_ngt_f64_e64 s7, 0x20000000, |v[14:15]|
	v_cmp_ngt_f64_e64 s8, 0x20000000, |v[16:17]|
                                        ; implicit-def: $vgpr2_vgpr3
	s_or_b32 s7, s8, s7
	s_delay_alu instid0(SALU_CYCLE_1) | instskip(NEXT) | instid1(SALU_CYCLE_1)
	s_and_saveexec_b32 s8, s7
	s_xor_b32 s7, exec_lo, s8
	s_cbranch_execz .LBB173_111
; %bb.110:                              ;   in Loop: Header=BB173_4 Depth=1
	v_mul_f64_e32 v[2:3], v[14:15], v[14:15]
	s_delay_alu instid0(VALU_DEP_1)
	v_fmac_f64_e32 v[2:3], v[16:17], v[16:17]
.LBB173_111:                            ;   in Loop: Header=BB173_4 Depth=1
	s_and_not1_saveexec_b32 s7, s7
	s_cbranch_execz .LBB173_113
; %bb.112:                              ;   in Loop: Header=BB173_4 Depth=1
	v_mul_f64_e32 v[2:3], 4.0, v[14:15]
	v_mul_f64_e32 v[6:7], 4.0, v[16:17]
	s_delay_alu instid0(VALU_DEP_2) | instskip(NEXT) | instid1(VALU_DEP_1)
	v_mul_f64_e32 v[2:3], v[2:3], v[2:3]
	v_fmac_f64_e32 v[2:3], v[6:7], v[6:7]
	s_delay_alu instid0(VALU_DEP_1)
	v_ldexp_f64 v[2:3], v[2:3], -4
.LBB173_113:                            ;   in Loop: Header=BB173_4 Depth=1
	s_or_b32 exec_lo, exec_lo, s7
	s_delay_alu instid0(VALU_DEP_1) | instskip(NEXT) | instid1(VALU_DEP_1)
	v_frexp_mant_f64_e32 v[6:7], v[2:3]
	v_cmp_gt_f64_e32 vcc_lo, s[30:31], v[6:7]
	v_cndmask_b32_e64 v4, 0, 1, vcc_lo
	s_delay_alu instid0(VALU_DEP_1) | instskip(SKIP_1) | instid1(VALU_DEP_2)
	v_ldexp_f64 v[6:7], v[6:7], v4
	v_frexp_exp_i32_f64_e32 v4, v[2:3]
	v_add_f64_e32 v[14:15], 1.0, v[6:7]
	v_add_f64_e32 v[30:31], -1.0, v[6:7]
	s_delay_alu instid0(VALU_DEP_3) | instskip(SKIP_1) | instid1(VALU_DEP_4)
	v_subrev_co_ci_u32_e64 v4, null, 0, v4, vcc_lo
	v_cmp_class_f64_e64 vcc_lo, v[2:3], 0x204
	v_rcp_f64_e32 v[26:27], v[14:15]
	v_add_f64_e32 v[32:33], -1.0, v[14:15]
	s_delay_alu instid0(VALU_DEP_1) | instskip(NEXT) | instid1(TRANS32_DEP_1)
	v_add_f64_e64 v[6:7], v[6:7], -v[32:33]
	v_fma_f64 v[28:29], -v[14:15], v[26:27], 1.0
	s_delay_alu instid0(VALU_DEP_1) | instskip(NEXT) | instid1(VALU_DEP_1)
	v_fmac_f64_e32 v[26:27], v[28:29], v[26:27]
	v_fma_f64 v[28:29], -v[14:15], v[26:27], 1.0
	s_delay_alu instid0(VALU_DEP_1) | instskip(NEXT) | instid1(VALU_DEP_1)
	v_fmac_f64_e32 v[26:27], v[28:29], v[26:27]
	v_mul_f64_e32 v[28:29], v[30:31], v[26:27]
	s_delay_alu instid0(VALU_DEP_1) | instskip(NEXT) | instid1(VALU_DEP_1)
	v_mul_f64_e32 v[52:53], v[14:15], v[28:29]
	v_fma_f64 v[14:15], v[28:29], v[14:15], -v[52:53]
	s_delay_alu instid0(VALU_DEP_1) | instskip(NEXT) | instid1(VALU_DEP_1)
	v_fmac_f64_e32 v[14:15], v[28:29], v[6:7]
	v_add_f64_e32 v[6:7], v[52:53], v[14:15]
	s_delay_alu instid0(VALU_DEP_1) | instskip(SKIP_1) | instid1(VALU_DEP_2)
	v_add_f64_e64 v[32:33], v[30:31], -v[6:7]
	v_add_f64_e64 v[52:53], v[6:7], -v[52:53]
	;; [unrolled: 1-line block ×3, first 2 shown]
	s_delay_alu instid0(VALU_DEP_2) | instskip(NEXT) | instid1(VALU_DEP_2)
	v_add_f64_e64 v[14:15], v[52:53], -v[14:15]
	v_add_f64_e64 v[6:7], v[30:31], -v[6:7]
	s_delay_alu instid0(VALU_DEP_1) | instskip(NEXT) | instid1(VALU_DEP_1)
	v_add_f64_e32 v[6:7], v[14:15], v[6:7]
	v_add_f64_e32 v[6:7], v[32:33], v[6:7]
	s_delay_alu instid0(VALU_DEP_1) | instskip(NEXT) | instid1(VALU_DEP_1)
	v_mul_f64_e32 v[6:7], v[26:27], v[6:7]
	v_add_f64_e32 v[14:15], v[28:29], v[6:7]
	s_delay_alu instid0(VALU_DEP_1) | instskip(NEXT) | instid1(VALU_DEP_1)
	v_mul_f64_e32 v[26:27], v[14:15], v[14:15]
	v_fmamk_f64 v[30:31], v[26:27], 0x3fc3ab76bf559e2b, v[40:41]
	v_mul_f64_e32 v[32:33], v[14:15], v[26:27]
	s_delay_alu instid0(VALU_DEP_2) | instskip(NEXT) | instid1(VALU_DEP_1)
	v_fmaak_f64 v[30:31], v[26:27], v[30:31], 0x3fc7474dd7f4df2e
	v_fmaak_f64 v[30:31], v[26:27], v[30:31], 0x3fcc71c016291751
	s_delay_alu instid0(VALU_DEP_1) | instskip(NEXT) | instid1(VALU_DEP_1)
	v_fmaak_f64 v[30:31], v[26:27], v[30:31], 0x3fd249249b27acf1
	v_fmaak_f64 v[30:31], v[26:27], v[30:31], 0x3fd99999998ef7b6
	s_delay_alu instid0(VALU_DEP_1) | instskip(SKIP_2) | instid1(VALU_DEP_3)
	v_fmaak_f64 v[26:27], v[26:27], v[30:31], 0x3fe5555555555780
	v_ldexp_f64 v[30:31], v[14:15], 1
	v_add_f64_e64 v[14:15], v[14:15], -v[28:29]
	v_mul_f64_e32 v[26:27], v[32:33], v[26:27]
	v_cvt_f64_i32_e32 v[32:33], v4
	s_delay_alu instid0(VALU_DEP_3) | instskip(NEXT) | instid1(VALU_DEP_3)
	v_add_f64_e64 v[6:7], v[6:7], -v[14:15]
	v_add_f64_e32 v[28:29], v[30:31], v[26:27]
	s_delay_alu instid0(VALU_DEP_3) | instskip(NEXT) | instid1(VALU_DEP_3)
	v_mul_f64_e32 v[52:53], 0x3fe62e42fefa39ef, v[32:33]
	v_ldexp_f64 v[6:7], v[6:7], 1
	s_delay_alu instid0(VALU_DEP_3) | instskip(NEXT) | instid1(VALU_DEP_3)
	v_add_f64_e64 v[14:15], v[28:29], -v[30:31]
	v_fma_f64 v[30:31], v[32:33], s[34:35], -v[52:53]
	s_delay_alu instid0(VALU_DEP_2) | instskip(NEXT) | instid1(VALU_DEP_2)
	v_add_f64_e64 v[14:15], v[26:27], -v[14:15]
	v_fmac_f64_e32 v[30:31], 0x3c7abc9e3b39803f, v[32:33]
	s_delay_alu instid0(VALU_DEP_2) | instskip(NEXT) | instid1(VALU_DEP_2)
	v_add_f64_e32 v[6:7], v[6:7], v[14:15]
	v_add_f64_e32 v[14:15], v[52:53], v[30:31]
	s_delay_alu instid0(VALU_DEP_2) | instskip(NEXT) | instid1(VALU_DEP_2)
	v_add_f64_e32 v[26:27], v[28:29], v[6:7]
	v_add_f64_e64 v[52:53], v[14:15], -v[52:53]
	s_delay_alu instid0(VALU_DEP_2) | instskip(SKIP_1) | instid1(VALU_DEP_3)
	v_add_f64_e32 v[32:33], v[14:15], v[26:27]
	v_add_f64_e64 v[28:29], v[26:27], -v[28:29]
	v_add_f64_e64 v[30:31], v[30:31], -v[52:53]
	s_delay_alu instid0(VALU_DEP_3) | instskip(NEXT) | instid1(VALU_DEP_3)
	v_add_f64_e64 v[54:55], v[32:33], -v[14:15]
	v_add_f64_e64 v[6:7], v[6:7], -v[28:29]
	s_delay_alu instid0(VALU_DEP_2) | instskip(SKIP_1) | instid1(VALU_DEP_3)
	v_add_f64_e64 v[56:57], v[32:33], -v[54:55]
	v_add_f64_e64 v[26:27], v[26:27], -v[54:55]
	v_add_f64_e32 v[28:29], v[30:31], v[6:7]
	s_delay_alu instid0(VALU_DEP_3) | instskip(NEXT) | instid1(VALU_DEP_1)
	v_add_f64_e64 v[14:15], v[14:15], -v[56:57]
	v_add_f64_e32 v[14:15], v[26:27], v[14:15]
	s_delay_alu instid0(VALU_DEP_3) | instskip(NEXT) | instid1(VALU_DEP_2)
	v_add_f64_e64 v[26:27], v[28:29], -v[30:31]
	v_add_f64_e32 v[14:15], v[28:29], v[14:15]
	s_delay_alu instid0(VALU_DEP_2) | instskip(SKIP_1) | instid1(VALU_DEP_3)
	v_add_f64_e64 v[28:29], v[28:29], -v[26:27]
	v_add_f64_e64 v[6:7], v[6:7], -v[26:27]
	v_add_f64_e32 v[52:53], v[32:33], v[14:15]
	s_delay_alu instid0(VALU_DEP_3) | instskip(NEXT) | instid1(VALU_DEP_2)
	v_add_f64_e64 v[26:27], v[30:31], -v[28:29]
	v_add_f64_e64 v[28:29], v[52:53], -v[32:33]
	s_delay_alu instid0(VALU_DEP_2) | instskip(NEXT) | instid1(VALU_DEP_2)
	v_add_f64_e32 v[6:7], v[6:7], v[26:27]
	v_add_f64_e64 v[14:15], v[14:15], -v[28:29]
	v_mov_b64_e32 v[28:29], 0x7ff8000000000000
	s_delay_alu instid0(VALU_DEP_2) | instskip(NEXT) | instid1(VALU_DEP_1)
	v_add_f64_e32 v[6:7], v[6:7], v[14:15]
	v_add_f64_e32 v[6:7], v[52:53], v[6:7]
	s_delay_alu instid0(VALU_DEP_1) | instskip(SKIP_1) | instid1(VALU_DEP_2)
	v_dual_cndmask_b32 v4, v6, v2, vcc_lo :: v_dual_cndmask_b32 v6, v7, v3, vcc_lo
	v_cmp_ngt_f64_e32 vcc_lo, 0, v[2:3]
	v_cndmask_b32_e32 v6, 0x7ff80000, v6, vcc_lo
	v_cmp_nge_f64_e32 vcc_lo, 0, v[2:3]
	s_delay_alu instid0(VALU_DEP_4) | instskip(SKIP_1) | instid1(VALU_DEP_4)
	v_cndmask_b32_e32 v26, 0, v4, vcc_lo
	v_cmp_neq_f64_e32 vcc_lo, 0, v[2:3]
	v_cndmask_b32_e32 v27, 0xfff00000, v6, vcc_lo
.LBB173_114:                            ;   in Loop: Header=BB173_4 Depth=1
	s_or_b32 exec_lo, exec_lo, s6
                                        ; implicit-def: $vgpr30_vgpr31
	s_delay_alu instid0(SALU_CYCLE_1)
	s_mov_b32 s6, exec_lo
	v_cmpx_o_f64_e32 v[10:11], v[12:13]
	s_xor_b32 s17, exec_lo, s6
	s_cbranch_execnz .LBB173_120
; %bb.115:                              ;   in Loop: Header=BB173_4 Depth=1
	s_and_not1_saveexec_b32 s6, s17
	s_cbranch_execnz .LBB173_147
.LBB173_116:                            ;   in Loop: Header=BB173_4 Depth=1
	s_or_b32 exec_lo, exec_lo, s6
	s_and_saveexec_b32 s6, s2
	s_delay_alu instid0(SALU_CYCLE_1)
	s_xor_b32 s2, exec_lo, s6
	s_cbranch_execnz .LBB173_152
.LBB173_117:                            ;   in Loop: Header=BB173_4 Depth=1
	s_or_b32 exec_lo, exec_lo, s2
	s_and_saveexec_b32 s2, s3
	s_cbranch_execnz .LBB173_153
.LBB173_118:                            ;   in Loop: Header=BB173_4 Depth=1
	s_or_b32 exec_lo, exec_lo, s2
	s_and_saveexec_b32 s2, s4
	s_cbranch_execnz .LBB173_154
.LBB173_119:                            ;   in Loop: Header=BB173_4 Depth=1
	s_or_b32 exec_lo, exec_lo, s2
	s_and_saveexec_b32 s2, s5
	s_cbranch_execz .LBB173_3
	s_branch .LBB173_155
.LBB173_120:                            ;   in Loop: Header=BB173_4 Depth=1
	v_cmp_lt_f64_e64 s6, |v[10:11]|, |v[12:13]|
	v_and_b32_e32 v4, 0x7fffffff, v11
	v_and_b32_e32 v3, 0x7fffffff, v13
	v_mov_b32_e32 v2, v12
                                        ; implicit-def: $vgpr30_vgpr31
	s_mov_b32 s7, exec_lo
	s_delay_alu instid0(VALU_DEP_2) | instskip(NEXT) | instid1(VALU_DEP_1)
	v_dual_cndmask_b32 v7, v3, v4, s6 :: v_dual_cndmask_b32 v6, v12, v10, s6
	v_cmpx_nlt_f64_e32 s[24:25], v[6:7]
	s_xor_b32 s33, exec_lo, s7
	s_cbranch_execz .LBB173_144
; %bb.121:                              ;   in Loop: Header=BB173_4 Depth=1
	v_dual_cndmask_b32 v15, v4, v3, s6 :: v_dual_cndmask_b32 v14, v10, v2, s6
                                        ; implicit-def: $vgpr30_vgpr31
	s_mov_b32 s7, exec_lo
	s_delay_alu instid0(VALU_DEP_1)
	v_cmpx_neq_f64_e32 1.0, v[14:15]
	s_xor_b32 s54, exec_lo, s7
	s_cbranch_execz .LBB173_137
; %bb.122:                              ;   in Loop: Header=BB173_4 Depth=1
	v_max_num_f64_e32 v[2:3], v[6:7], v[6:7]
	v_max_num_f64_e32 v[30:31], v[14:15], v[14:15]
	s_delay_alu instid0(VALU_DEP_1) | instskip(SKIP_1) | instid1(VALU_DEP_2)
	v_min_num_f64_e32 v[32:33], v[30:31], v[2:3]
	v_max_num_f64_e32 v[2:3], v[30:31], v[2:3]
	v_cmp_ngt_f64_e32 vcc_lo, s[26:27], v[32:33]
	s_delay_alu instid0(VALU_DEP_2) | instskip(SKIP_1) | instid1(SALU_CYCLE_1)
	v_cmp_nlt_f64_e64 s7, s[28:29], v[2:3]
                                        ; implicit-def: $vgpr30_vgpr31
	s_and_b32 s7, s7, vcc_lo
	s_and_saveexec_b32 s8, s7
	s_delay_alu instid0(SALU_CYCLE_1)
	s_xor_b32 s55, exec_lo, s8
	s_cbranch_execz .LBB173_134
; %bb.123:                              ;   in Loop: Header=BB173_4 Depth=1
                                        ; implicit-def: $vgpr30_vgpr31
	s_mov_b32 s7, exec_lo
	v_cmpx_le_f64_e32 1.0, v[14:15]
	s_xor_b32 s10, exec_lo, s7
	s_cbranch_execz .LBB173_125
; %bb.124:                              ;   in Loop: Header=BB173_4 Depth=1
	v_add_f64_e32 v[2:3], -1.0, v[14:15]
	v_cmp_eq_f64_e64 s7, 0, v[12:13]
	v_add_f64_e32 v[14:15], 1.0, v[14:15]
	v_cmp_class_f64_e64 s12, v[10:11], 0x204
	v_cmp_class_f64_e64 s11, v[12:13], 0x204
	s_delay_alu instid0(VALU_DEP_3) | instskip(NEXT) | instid1(VALU_DEP_1)
	v_mul_f64_e32 v[2:3], v[2:3], v[14:15]
	v_fmac_f64_e32 v[2:3], v[6:7], v[6:7]
	s_delay_alu instid0(VALU_DEP_1) | instskip(SKIP_2) | instid1(VALU_DEP_3)
	v_add_f64_e32 v[6:7], 1.0, v[2:3]
	v_cmp_nge_f64_e64 s8, -1.0, v[2:3]
	v_cmp_neq_f64_e64 s9, 0x7ff00000, v[2:3]
	v_frexp_mant_f64_e32 v[14:15], v[6:7]
	v_frexp_exp_i32_f64_e32 v4, v[6:7]
	v_add_f64_e32 v[30:31], -1.0, v[6:7]
	s_delay_alu instid0(VALU_DEP_3) | instskip(NEXT) | instid1(VALU_DEP_2)
	v_cmp_gt_f64_e32 vcc_lo, s[30:31], v[14:15]
	v_add_f64_e64 v[14:15], v[30:31], -v[6:7]
	v_add_f64_e64 v[30:31], v[2:3], -v[30:31]
	v_subrev_co_ci_u32_e64 v4, null, 0, v4, vcc_lo
	s_delay_alu instid0(VALU_DEP_1) | instskip(NEXT) | instid1(VALU_DEP_1)
	v_dual_add_f64 v[14:15], 1.0, v[14:15] :: v_dual_sub_nc_u32 v8, 0, v4
	v_ldexp_f64 v[6:7], v[6:7], v8
	s_delay_alu instid0(VALU_DEP_2) | instskip(NEXT) | instid1(VALU_DEP_2)
	v_add_f64_e32 v[14:15], v[30:31], v[14:15]
	v_add_f64_e32 v[32:33], 1.0, v[6:7]
	v_add_f64_e32 v[56:57], -1.0, v[6:7]
	s_delay_alu instid0(VALU_DEP_3) | instskip(NEXT) | instid1(VALU_DEP_3)
	v_ldexp_f64 v[14:15], v[14:15], v8
	v_add_f64_e32 v[30:31], -1.0, v[32:33]
	s_delay_alu instid0(VALU_DEP_3) | instskip(NEXT) | instid1(VALU_DEP_2)
	v_add_f64_e32 v[58:59], 1.0, v[56:57]
	v_add_f64_e64 v[30:31], v[6:7], -v[30:31]
	s_delay_alu instid0(VALU_DEP_2) | instskip(NEXT) | instid1(VALU_DEP_2)
	v_add_f64_e64 v[6:7], v[6:7], -v[58:59]
	v_add_f64_e32 v[30:31], v[14:15], v[30:31]
	s_delay_alu instid0(VALU_DEP_2) | instskip(NEXT) | instid1(VALU_DEP_2)
	v_add_f64_e32 v[6:7], v[14:15], v[6:7]
	v_add_f64_e32 v[52:53], v[32:33], v[30:31]
	s_delay_alu instid0(VALU_DEP_2) | instskip(NEXT) | instid1(VALU_DEP_2)
	v_add_f64_e32 v[58:59], v[56:57], v[6:7]
	v_rcp_f64_e32 v[54:55], v[52:53]
	v_add_f64_e64 v[32:33], v[52:53], -v[32:33]
	s_delay_alu instid0(VALU_DEP_2) | instskip(NEXT) | instid1(VALU_DEP_2)
	v_add_f64_e64 v[56:57], v[58:59], -v[56:57]
	v_add_f64_e64 v[30:31], v[30:31], -v[32:33]
	s_delay_alu instid0(VALU_DEP_2) | instskip(NEXT) | instid1(TRANS32_DEP_1)
	v_add_f64_e64 v[6:7], v[6:7], -v[56:57]
	v_fma_f64 v[60:61], -v[52:53], v[54:55], 1.0
	s_delay_alu instid0(VALU_DEP_1) | instskip(NEXT) | instid1(VALU_DEP_1)
	v_fmac_f64_e32 v[54:55], v[60:61], v[54:55]
	v_fma_f64 v[14:15], -v[52:53], v[54:55], 1.0
	s_delay_alu instid0(VALU_DEP_1) | instskip(NEXT) | instid1(VALU_DEP_1)
	v_fmac_f64_e32 v[54:55], v[14:15], v[54:55]
	v_mul_f64_e32 v[14:15], v[58:59], v[54:55]
	s_delay_alu instid0(VALU_DEP_1) | instskip(NEXT) | instid1(VALU_DEP_1)
	v_mul_f64_e32 v[60:61], v[52:53], v[14:15]
	v_fma_f64 v[32:33], v[14:15], v[52:53], -v[60:61]
	s_delay_alu instid0(VALU_DEP_1) | instskip(NEXT) | instid1(VALU_DEP_1)
	v_fmac_f64_e32 v[32:33], v[14:15], v[30:31]
	v_add_f64_e32 v[62:63], v[60:61], v[32:33]
	s_delay_alu instid0(VALU_DEP_1) | instskip(SKIP_1) | instid1(VALU_DEP_2)
	v_add_f64_e64 v[64:65], v[58:59], -v[62:63]
	v_add_f64_e64 v[56:57], v[62:63], -v[60:61]
	;; [unrolled: 1-line block ×3, first 2 shown]
	s_delay_alu instid0(VALU_DEP_2) | instskip(NEXT) | instid1(VALU_DEP_2)
	v_add_f64_e64 v[32:33], v[56:57], -v[32:33]
	v_add_f64_e64 v[58:59], v[58:59], -v[62:63]
	s_delay_alu instid0(VALU_DEP_1) | instskip(NEXT) | instid1(VALU_DEP_1)
	v_add_f64_e32 v[6:7], v[6:7], v[58:59]
	v_add_f64_e32 v[6:7], v[32:33], v[6:7]
	s_delay_alu instid0(VALU_DEP_1) | instskip(NEXT) | instid1(VALU_DEP_1)
	v_add_f64_e32 v[32:33], v[64:65], v[6:7]
	v_mul_f64_e32 v[56:57], v[54:55], v[32:33]
	v_add_f64_e64 v[62:63], v[64:65], -v[32:33]
	s_delay_alu instid0(VALU_DEP_2) | instskip(NEXT) | instid1(VALU_DEP_2)
	v_mul_f64_e32 v[58:59], v[52:53], v[56:57]
	v_add_f64_e32 v[6:7], v[6:7], v[62:63]
	s_delay_alu instid0(VALU_DEP_2) | instskip(NEXT) | instid1(VALU_DEP_1)
	v_fma_f64 v[52:53], v[56:57], v[52:53], -v[58:59]
	v_fmac_f64_e32 v[52:53], v[56:57], v[30:31]
	s_delay_alu instid0(VALU_DEP_1) | instskip(NEXT) | instid1(VALU_DEP_1)
	v_add_f64_e32 v[30:31], v[58:59], v[52:53]
	v_add_f64_e64 v[60:61], v[32:33], -v[30:31]
	v_add_f64_e64 v[58:59], v[30:31], -v[58:59]
	s_delay_alu instid0(VALU_DEP_2) | instskip(NEXT) | instid1(VALU_DEP_1)
	v_add_f64_e64 v[32:33], v[32:33], -v[60:61]
	v_add_f64_e64 v[30:31], v[32:33], -v[30:31]
	s_delay_alu instid0(VALU_DEP_3) | instskip(SKIP_1) | instid1(VALU_DEP_3)
	v_add_f64_e64 v[32:33], v[58:59], -v[52:53]
	v_max_num_f64_e64 v[52:53], |v[10:11]|, |v[10:11]|
	v_add_f64_e32 v[6:7], v[6:7], v[30:31]
	v_add_f64_e32 v[30:31], v[14:15], v[56:57]
	s_delay_alu instid0(VALU_DEP_2) | instskip(NEXT) | instid1(VALU_DEP_2)
	v_add_f64_e32 v[6:7], v[32:33], v[6:7]
	v_add_f64_e64 v[14:15], v[30:31], -v[14:15]
	v_max_num_f64_e64 v[32:33], |v[12:13]|, |v[12:13]|
	s_delay_alu instid0(VALU_DEP_3) | instskip(NEXT) | instid1(VALU_DEP_3)
	v_add_f64_e32 v[6:7], v[60:61], v[6:7]
	v_add_f64_e64 v[14:15], v[56:57], -v[14:15]
	s_delay_alu instid0(VALU_DEP_2) | instskip(NEXT) | instid1(VALU_DEP_1)
	v_mul_f64_e32 v[6:7], v[54:55], v[6:7]
	v_add_f64_e32 v[6:7], v[14:15], v[6:7]
	v_max_num_f64_e32 v[14:15], v[52:53], v[32:33]
	v_min_num_f64_e32 v[32:33], v[52:53], v[32:33]
	s_delay_alu instid0(VALU_DEP_3) | instskip(NEXT) | instid1(VALU_DEP_2)
	v_add_f64_e32 v[52:53], v[30:31], v[6:7]
	v_div_scale_f64 v[54:55], null, v[14:15], v[14:15], v[32:33]
	s_delay_alu instid0(VALU_DEP_2) | instskip(SKIP_1) | instid1(VALU_DEP_3)
	v_mul_f64_e32 v[56:57], v[52:53], v[52:53]
	v_add_f64_e64 v[30:31], v[52:53], -v[30:31]
	v_rcp_f64_e32 v[58:59], v[54:55]
	s_delay_alu instid0(VALU_DEP_2) | instskip(SKIP_1) | instid1(VALU_DEP_3)
	v_fmamk_f64 v[60:61], v[56:57], 0x3fc3ab76bf559e2b, v[40:41]
	v_mul_f64_e32 v[62:63], v[52:53], v[56:57]
	v_add_f64_e64 v[6:7], v[6:7], -v[30:31]
	s_delay_alu instid0(VALU_DEP_3) | instskip(NEXT) | instid1(TRANS32_DEP_1)
	v_fmaak_f64 v[60:61], v[56:57], v[60:61], 0x3fc7474dd7f4df2e
	v_fma_f64 v[64:65], -v[54:55], v[58:59], 1.0
	s_delay_alu instid0(VALU_DEP_2) | instskip(NEXT) | instid1(VALU_DEP_1)
	v_fmaak_f64 v[60:61], v[56:57], v[60:61], 0x3fcc71c016291751
	v_fmaak_f64 v[60:61], v[56:57], v[60:61], 0x3fd249249b27acf1
	s_delay_alu instid0(VALU_DEP_1) | instskip(SKIP_1) | instid1(VALU_DEP_2)
	v_fmaak_f64 v[60:61], v[56:57], v[60:61], 0x3fd99999998ef7b6
	v_ldexp_f64 v[6:7], v[6:7], 1
	v_fmaak_f64 v[56:57], v[56:57], v[60:61], 0x3fe5555555555780
	v_ldexp_f64 v[60:61], v[52:53], 1
	v_fmac_f64_e32 v[58:59], v[58:59], v[64:65]
	s_delay_alu instid0(VALU_DEP_3) | instskip(SKIP_2) | instid1(VALU_DEP_1)
	v_mul_f64_e32 v[56:57], v[62:63], v[56:57]
	v_cvt_f64_i32_e32 v[62:63], v4
	v_ashrrev_i32_e32 v4, 31, v11
	v_and_b32_e32 v16, 0x54442d18, v4
	v_and_b32_e32 v4, 0x400921fb, v4
	v_fma_f64 v[64:65], -v[54:55], v[58:59], 1.0
	v_add_f64_e32 v[52:53], v[60:61], v[56:57]
	v_mul_f64_e32 v[66:67], 0x3fe62e42fefa39ef, v[62:63]
	s_delay_alu instid0(VALU_DEP_3) | instskip(NEXT) | instid1(VALU_DEP_3)
	v_fmac_f64_e32 v[58:59], v[58:59], v[64:65]
	v_add_f64_e64 v[30:31], v[52:53], -v[60:61]
	v_div_scale_f64 v[60:61], vcc_lo, v[32:33], v[14:15], v[32:33]
	s_delay_alu instid0(VALU_DEP_4) | instskip(NEXT) | instid1(VALU_DEP_3)
	v_fma_f64 v[64:65], v[62:63], s[34:35], -v[66:67]
	v_add_f64_e64 v[30:31], v[56:57], -v[30:31]
	s_delay_alu instid0(VALU_DEP_3) | instskip(NEXT) | instid1(VALU_DEP_3)
	v_mul_f64_e32 v[56:57], v[60:61], v[58:59]
	v_fmac_f64_e32 v[64:65], 0x3c7abc9e3b39803f, v[62:63]
	s_delay_alu instid0(VALU_DEP_3) | instskip(NEXT) | instid1(VALU_DEP_3)
	v_add_f64_e32 v[6:7], v[6:7], v[30:31]
	v_fma_f64 v[30:31], -v[54:55], v[56:57], v[60:61]
	s_delay_alu instid0(VALU_DEP_3) | instskip(NEXT) | instid1(VALU_DEP_3)
	v_add_f64_e32 v[54:55], v[66:67], v[64:65]
	v_add_f64_e32 v[60:61], v[52:53], v[6:7]
	s_delay_alu instid0(VALU_DEP_3) | instskip(SKIP_1) | instid1(VALU_DEP_4)
	v_div_fmas_f64 v[30:31], v[30:31], v[58:59], v[56:57]
	v_cmp_gt_i32_e32 vcc_lo, 0, v11
	v_add_f64_e64 v[58:59], v[54:55], -v[66:67]
	v_cndmask_b32_e32 v8, 0x54442d18, v68, vcc_lo
	v_cndmask_b32_e32 v10, 0x3fe921fb, v69, vcc_lo
	s_delay_alu instid0(VALU_DEP_1) | instskip(SKIP_4) | instid1(VALU_DEP_4)
	v_bfi_b32 v10, 0x7fffffff, v10, v13
	v_add_f64_e32 v[56:57], v[54:55], v[60:61]
	v_div_fixup_f64 v[14:15], v[30:31], v[14:15], v[32:33]
	v_add_f64_e64 v[52:53], v[60:61], -v[52:53]
	v_add_f64_e64 v[58:59], v[64:65], -v[58:59]
	;; [unrolled: 1-line block ×3, first 2 shown]
	s_delay_alu instid0(VALU_DEP_4) | instskip(NEXT) | instid1(VALU_DEP_4)
	v_mul_f64_e32 v[32:33], v[14:15], v[14:15]
	v_add_f64_e64 v[6:7], v[6:7], -v[52:53]
	s_delay_alu instid0(VALU_DEP_3) | instskip(NEXT) | instid1(VALU_DEP_3)
	v_add_f64_e64 v[62:63], v[56:57], -v[30:31]
	v_fmamk_f64 v[66:67], v[32:33], 0x3eeba404b5e68a13, v[42:43]
	v_add_f64_e64 v[30:31], v[60:61], -v[30:31]
	s_delay_alu instid0(VALU_DEP_4) | instskip(NEXT) | instid1(VALU_DEP_3)
	v_add_f64_e32 v[60:61], v[58:59], v[6:7]
	v_fmaak_f64 v[66:67], v[32:33], v[66:67], 0x3f4b2bb069efb384
	v_add_f64_e64 v[52:53], v[54:55], -v[62:63]
	s_delay_alu instid0(VALU_DEP_2) | instskip(NEXT) | instid1(VALU_DEP_1)
	v_fmaak_f64 v[54:55], v[32:33], v[66:67], 0xbf67952daf56de9b
	v_fmaak_f64 v[54:55], v[32:33], v[54:55], 0x3f7d6d43a595c56f
	s_delay_alu instid0(VALU_DEP_1) | instskip(NEXT) | instid1(VALU_DEP_1)
	v_fmaak_f64 v[54:55], v[32:33], v[54:55], 0xbf8c6ea4a57d9582
	v_fmaak_f64 v[54:55], v[32:33], v[54:55], 0x3f967e295f08b19f
	s_delay_alu instid0(VALU_DEP_1) | instskip(SKIP_1) | instid1(VALU_DEP_2)
	v_fmaak_f64 v[54:55], v[32:33], v[54:55], 0xbf9e9ae6fc27006a
	v_add_f64_e32 v[30:31], v[30:31], v[52:53]
	v_fmaak_f64 v[52:53], v[32:33], v[54:55], 0x3fa2c15b5711927a
	v_add_f64_e64 v[54:55], v[60:61], -v[58:59]
	s_delay_alu instid0(VALU_DEP_2) | instskip(NEXT) | instid1(VALU_DEP_1)
	v_fmaak_f64 v[52:53], v[32:33], v[52:53], 0xbfa59976e82d3ff0
	v_fmaak_f64 v[52:53], v[32:33], v[52:53], 0x3fa82d5d6ef28734
	s_delay_alu instid0(VALU_DEP_1) | instskip(NEXT) | instid1(VALU_DEP_1)
	v_fmaak_f64 v[52:53], v[32:33], v[52:53], 0xbfaae5ce6a214619
	v_fmaak_f64 v[52:53], v[32:33], v[52:53], 0x3fae1bb48427b883
	v_add_f64_e32 v[30:31], v[60:61], v[30:31]
	v_add_f64_e64 v[60:61], v[60:61], -v[54:55]
	v_add_f64_e64 v[6:7], v[6:7], -v[54:55]
	s_delay_alu instid0(VALU_DEP_4) | instskip(NEXT) | instid1(VALU_DEP_1)
	v_fmaak_f64 v[52:53], v[32:33], v[52:53], 0xbfb110e48b207f05
	v_fmaak_f64 v[52:53], v[32:33], v[52:53], 0x3fb3b13657b87036
	s_delay_alu instid0(VALU_DEP_1) | instskip(NEXT) | instid1(VALU_DEP_1)
	v_fmaak_f64 v[52:53], v[32:33], v[52:53], 0xbfb745d119378e4f
	v_fmaak_f64 v[52:53], v[32:33], v[52:53], 0x3fbc71c717e1913c
	v_add_f64_e32 v[62:63], v[56:57], v[30:31]
	s_delay_alu instid0(VALU_DEP_2) | instskip(NEXT) | instid1(VALU_DEP_1)
	v_fmaak_f64 v[52:53], v[32:33], v[52:53], 0xbfc2492492376b7d
	v_fmaak_f64 v[52:53], v[32:33], v[52:53], 0x3fc99999999952cc
	s_delay_alu instid0(VALU_DEP_1) | instskip(NEXT) | instid1(VALU_DEP_1)
	v_fmaak_f64 v[52:53], v[32:33], v[52:53], 0xbfd5555555555523
	v_mul_f64_e32 v[32:33], v[32:33], v[52:53]
	v_add_f64_e64 v[52:53], v[58:59], -v[60:61]
	v_add_f64_e64 v[54:55], v[62:63], -v[56:57]
	s_delay_alu instid0(VALU_DEP_3) | instskip(NEXT) | instid1(VALU_DEP_3)
	v_fmac_f64_e32 v[14:15], v[14:15], v[32:33]
	v_add_f64_e32 v[6:7], v[6:7], v[52:53]
	s_delay_alu instid0(VALU_DEP_3) | instskip(NEXT) | instid1(VALU_DEP_3)
	v_add_f64_e64 v[30:31], v[30:31], -v[54:55]
	v_add_f64_e64 v[32:33], -v[14:15], s[40:41]
	s_delay_alu instid0(VALU_DEP_2) | instskip(NEXT) | instid1(VALU_DEP_2)
	v_add_f64_e32 v[6:7], v[6:7], v[30:31]
	v_dual_cndmask_b32 v15, v15, v33, s6 :: v_dual_cndmask_b32 v14, v14, v32, s6
	s_delay_alu instid0(VALU_DEP_1) | instskip(NEXT) | instid1(VALU_DEP_3)
	v_add_f64_e64 v[30:31], -v[14:15], s[42:43]
	v_add_f64_e32 v[6:7], v[62:63], v[6:7]
	s_delay_alu instid0(VALU_DEP_2) | instskip(SKIP_1) | instid1(VALU_DEP_2)
	v_dual_cndmask_b32 v14, v14, v30 :: v_dual_cndmask_b32 v11, v15, v31
	v_cmp_ngt_f64_e32 vcc_lo, -1.0, v[2:3]
	v_dual_mul_f64 v[6:7], 0.5, v[6:7] :: v_dual_cndmask_b32 v14, v14, v16, s7
	s_delay_alu instid0(VALU_DEP_3)
	v_cndmask_b32_e64 v4, v11, v4, s7
	s_and_b32 s7, s8, s9
	s_delay_alu instid0(VALU_DEP_2) | instid1(SALU_CYCLE_1)
	v_cndmask_b32_e64 v30, 0, v6, s7
	v_cmp_neq_f64_e64 s7, -1.0, v[2:3]
	s_delay_alu instid0(VALU_DEP_4) | instskip(NEXT) | instid1(VALU_DEP_1)
	v_cndmask_b32_e64 v7, 0x7ff00000, v7, s9
	v_cndmask_b32_e32 v7, 0x7ff80000, v7, vcc_lo
	s_and_b32 vcc_lo, s11, s12
	v_dual_cndmask_b32 v33, v4, v10 :: v_dual_cndmask_b32 v32, v14, v8
                                        ; implicit-def: $vgpr14_vgpr15
	s_delay_alu instid0(VALU_DEP_2)
	v_cndmask_b32_e64 v31, 0xfff00000, v7, s7
                                        ; implicit-def: $vgpr6_vgpr7
.LBB173_125:                            ;   in Loop: Header=BB173_4 Depth=1
	s_and_not1_saveexec_b32 s56, s10
	s_cbranch_execz .LBB173_133
; %bb.126:                              ;   in Loop: Header=BB173_4 Depth=1
	v_mul_f64_e32 v[2:3], v[6:7], v[6:7]
                                        ; implicit-def: $vgpr30_vgpr31
	s_mov_b32 s7, exec_lo
	s_delay_alu instid0(VALU_DEP_1) | instskip(NEXT) | instid1(VALU_DEP_1)
	v_fmac_f64_e32 v[2:3], v[14:15], v[14:15]
	v_cmpx_ge_f64_e32 s[44:45], v[2:3]
	s_xor_b32 s9, exec_lo, s7
	s_cbranch_execz .LBB173_128
; %bb.127:                              ;   in Loop: Header=BB173_4 Depth=1
	v_frexp_mant_f64_e32 v[6:7], v[2:3]
	v_cmp_eq_f64_e64 s7, 0, v[12:13]
	v_cmp_neq_f64_e64 s8, 0, v[2:3]
	v_cmp_class_f64_e64 s10, v[12:13], 0x204
	v_cmp_class_f64_e64 s11, v[10:11], 0x204
	v_cmp_gt_f64_e32 vcc_lo, s[30:31], v[6:7]
	v_cndmask_b32_e64 v4, 0, 1, vcc_lo
	s_delay_alu instid0(VALU_DEP_1) | instskip(SKIP_1) | instid1(VALU_DEP_2)
	v_ldexp_f64 v[6:7], v[6:7], v4
	v_frexp_exp_i32_f64_e32 v4, v[2:3]
	v_add_f64_e32 v[14:15], 1.0, v[6:7]
	v_add_f64_e32 v[52:53], -1.0, v[6:7]
	s_delay_alu instid0(VALU_DEP_3) | instskip(NEXT) | instid1(VALU_DEP_3)
	v_subrev_co_ci_u32_e64 v4, null, 0, v4, vcc_lo
	v_rcp_f64_e32 v[30:31], v[14:15]
	v_add_f64_e32 v[54:55], -1.0, v[14:15]
	s_delay_alu instid0(VALU_DEP_1) | instskip(NEXT) | instid1(TRANS32_DEP_1)
	v_add_f64_e64 v[6:7], v[6:7], -v[54:55]
	v_fma_f64 v[32:33], -v[14:15], v[30:31], 1.0
	s_delay_alu instid0(VALU_DEP_1) | instskip(NEXT) | instid1(VALU_DEP_1)
	v_fmac_f64_e32 v[30:31], v[32:33], v[30:31]
	v_fma_f64 v[32:33], -v[14:15], v[30:31], 1.0
	s_delay_alu instid0(VALU_DEP_1) | instskip(NEXT) | instid1(VALU_DEP_1)
	v_fmac_f64_e32 v[30:31], v[32:33], v[30:31]
	v_mul_f64_e32 v[32:33], v[52:53], v[30:31]
	s_delay_alu instid0(VALU_DEP_1) | instskip(NEXT) | instid1(VALU_DEP_1)
	v_mul_f64_e32 v[56:57], v[14:15], v[32:33]
	v_fma_f64 v[14:15], v[32:33], v[14:15], -v[56:57]
	s_delay_alu instid0(VALU_DEP_1) | instskip(NEXT) | instid1(VALU_DEP_1)
	v_fmac_f64_e32 v[14:15], v[32:33], v[6:7]
	v_add_f64_e32 v[6:7], v[56:57], v[14:15]
	s_delay_alu instid0(VALU_DEP_1) | instskip(SKIP_1) | instid1(VALU_DEP_2)
	v_add_f64_e64 v[54:55], v[52:53], -v[6:7]
	v_add_f64_e64 v[56:57], v[6:7], -v[56:57]
	;; [unrolled: 1-line block ×3, first 2 shown]
	s_delay_alu instid0(VALU_DEP_2) | instskip(NEXT) | instid1(VALU_DEP_2)
	v_add_f64_e64 v[14:15], v[56:57], -v[14:15]
	v_add_f64_e64 v[6:7], v[52:53], -v[6:7]
	v_max_num_f64_e64 v[52:53], |v[10:11]|, |v[10:11]|
	s_delay_alu instid0(VALU_DEP_2) | instskip(SKIP_1) | instid1(VALU_DEP_2)
	v_add_f64_e32 v[6:7], v[14:15], v[6:7]
	v_max_num_f64_e64 v[14:15], |v[12:13]|, |v[12:13]|
	v_add_f64_e32 v[6:7], v[54:55], v[6:7]
	s_delay_alu instid0(VALU_DEP_1) | instskip(NEXT) | instid1(VALU_DEP_3)
	v_mul_f64_e32 v[6:7], v[30:31], v[6:7]
	v_max_num_f64_e32 v[30:31], v[52:53], v[14:15]
	v_min_num_f64_e32 v[14:15], v[52:53], v[14:15]
	s_delay_alu instid0(VALU_DEP_3) | instskip(NEXT) | instid1(VALU_DEP_2)
	v_add_f64_e32 v[52:53], v[32:33], v[6:7]
	v_div_scale_f64 v[54:55], null, v[30:31], v[30:31], v[14:15]
	s_delay_alu instid0(VALU_DEP_2) | instskip(SKIP_1) | instid1(VALU_DEP_3)
	v_mul_f64_e32 v[56:57], v[52:53], v[52:53]
	v_add_f64_e64 v[32:33], v[52:53], -v[32:33]
	v_rcp_f64_e32 v[58:59], v[54:55]
	s_delay_alu instid0(VALU_DEP_2) | instskip(SKIP_1) | instid1(VALU_DEP_3)
	v_fmamk_f64 v[60:61], v[56:57], 0x3fc3ab76bf559e2b, v[40:41]
	v_mul_f64_e32 v[62:63], v[52:53], v[56:57]
	v_add_f64_e64 v[6:7], v[6:7], -v[32:33]
	s_delay_alu instid0(VALU_DEP_3) | instskip(NEXT) | instid1(TRANS32_DEP_1)
	v_fmaak_f64 v[60:61], v[56:57], v[60:61], 0x3fc7474dd7f4df2e
	v_fma_f64 v[64:65], -v[54:55], v[58:59], 1.0
	s_delay_alu instid0(VALU_DEP_2) | instskip(NEXT) | instid1(VALU_DEP_1)
	v_fmaak_f64 v[60:61], v[56:57], v[60:61], 0x3fcc71c016291751
	v_fmaak_f64 v[60:61], v[56:57], v[60:61], 0x3fd249249b27acf1
	s_delay_alu instid0(VALU_DEP_1) | instskip(SKIP_1) | instid1(VALU_DEP_2)
	v_fmaak_f64 v[60:61], v[56:57], v[60:61], 0x3fd99999998ef7b6
	v_ldexp_f64 v[6:7], v[6:7], 1
	v_fmaak_f64 v[56:57], v[56:57], v[60:61], 0x3fe5555555555780
	v_ldexp_f64 v[60:61], v[52:53], 1
	v_fmac_f64_e32 v[58:59], v[58:59], v[64:65]
	s_delay_alu instid0(VALU_DEP_3) | instskip(SKIP_2) | instid1(VALU_DEP_1)
	v_mul_f64_e32 v[56:57], v[62:63], v[56:57]
	v_cvt_f64_i32_e32 v[62:63], v4
	v_ashrrev_i32_e32 v4, 31, v11
	v_and_b32_e32 v16, 0x54442d18, v4
	v_and_b32_e32 v3, 0x400921fb, v4
	v_fma_f64 v[64:65], -v[54:55], v[58:59], 1.0
	v_add_f64_e32 v[52:53], v[60:61], v[56:57]
	v_mul_f64_e32 v[66:67], 0x3fe62e42fefa39ef, v[62:63]
	s_delay_alu instid0(VALU_DEP_3) | instskip(NEXT) | instid1(VALU_DEP_3)
	v_fmac_f64_e32 v[58:59], v[58:59], v[64:65]
	v_add_f64_e64 v[32:33], v[52:53], -v[60:61]
	v_div_scale_f64 v[60:61], vcc_lo, v[14:15], v[30:31], v[14:15]
	s_delay_alu instid0(VALU_DEP_4) | instskip(NEXT) | instid1(VALU_DEP_3)
	v_fma_f64 v[64:65], v[62:63], s[34:35], -v[66:67]
	v_add_f64_e64 v[32:33], v[56:57], -v[32:33]
	s_delay_alu instid0(VALU_DEP_3) | instskip(NEXT) | instid1(VALU_DEP_3)
	v_mul_f64_e32 v[56:57], v[60:61], v[58:59]
	v_fmac_f64_e32 v[64:65], 0x3c7abc9e3b39803f, v[62:63]
	s_delay_alu instid0(VALU_DEP_3) | instskip(NEXT) | instid1(VALU_DEP_3)
	v_add_f64_e32 v[6:7], v[6:7], v[32:33]
	v_fma_f64 v[32:33], -v[54:55], v[56:57], v[60:61]
	s_delay_alu instid0(VALU_DEP_3) | instskip(NEXT) | instid1(VALU_DEP_3)
	v_add_f64_e32 v[54:55], v[66:67], v[64:65]
	v_add_f64_e32 v[60:61], v[52:53], v[6:7]
	s_delay_alu instid0(VALU_DEP_3) | instskip(SKIP_1) | instid1(VALU_DEP_4)
	v_div_fmas_f64 v[32:33], v[32:33], v[58:59], v[56:57]
	v_cmp_gt_i32_e32 vcc_lo, 0, v11
	v_add_f64_e64 v[58:59], v[54:55], -v[66:67]
	v_cndmask_b32_e32 v2, 0x3fe921fb, v69, vcc_lo
	v_cndmask_b32_e32 v8, 0x54442d18, v68, vcc_lo
	s_delay_alu instid0(VALU_DEP_2) | instskip(SKIP_4) | instid1(VALU_DEP_4)
	v_bfi_b32 v2, 0x7fffffff, v2, v13
	v_add_f64_e32 v[56:57], v[54:55], v[60:61]
	v_div_fixup_f64 v[14:15], v[32:33], v[30:31], v[14:15]
	v_add_f64_e64 v[52:53], v[60:61], -v[52:53]
	v_add_f64_e64 v[58:59], v[64:65], -v[58:59]
	;; [unrolled: 1-line block ×3, first 2 shown]
	s_delay_alu instid0(VALU_DEP_4) | instskip(NEXT) | instid1(VALU_DEP_4)
	v_mul_f64_e32 v[32:33], v[14:15], v[14:15]
	v_add_f64_e64 v[6:7], v[6:7], -v[52:53]
	s_delay_alu instid0(VALU_DEP_3) | instskip(NEXT) | instid1(VALU_DEP_3)
	v_add_f64_e64 v[62:63], v[56:57], -v[30:31]
	v_fmamk_f64 v[66:67], v[32:33], 0x3eeba404b5e68a13, v[42:43]
	v_add_f64_e64 v[30:31], v[60:61], -v[30:31]
	s_delay_alu instid0(VALU_DEP_4) | instskip(NEXT) | instid1(VALU_DEP_3)
	v_add_f64_e32 v[60:61], v[58:59], v[6:7]
	v_fmaak_f64 v[66:67], v[32:33], v[66:67], 0x3f4b2bb069efb384
	s_delay_alu instid0(VALU_DEP_1) | instskip(SKIP_1) | instid1(VALU_DEP_2)
	v_fmaak_f64 v[66:67], v[32:33], v[66:67], 0xbf67952daf56de9b
	v_add_f64_e64 v[52:53], v[54:55], -v[62:63]
	v_fmaak_f64 v[54:55], v[32:33], v[66:67], 0x3f7d6d43a595c56f
	s_delay_alu instid0(VALU_DEP_1) | instskip(NEXT) | instid1(VALU_DEP_1)
	v_fmaak_f64 v[54:55], v[32:33], v[54:55], 0xbf8c6ea4a57d9582
	v_fmaak_f64 v[54:55], v[32:33], v[54:55], 0x3f967e295f08b19f
	s_delay_alu instid0(VALU_DEP_1) | instskip(NEXT) | instid1(VALU_DEP_1)
	v_fmaak_f64 v[54:55], v[32:33], v[54:55], 0xbf9e9ae6fc27006a
	v_fmaak_f64 v[54:55], v[32:33], v[54:55], 0x3fa2c15b5711927a
	v_add_f64_e32 v[30:31], v[30:31], v[52:53]
	s_delay_alu instid0(VALU_DEP_2) | instskip(SKIP_1) | instid1(VALU_DEP_2)
	v_fmaak_f64 v[52:53], v[32:33], v[54:55], 0xbfa59976e82d3ff0
	v_add_f64_e64 v[54:55], v[60:61], -v[58:59]
	v_fmaak_f64 v[52:53], v[32:33], v[52:53], 0x3fa82d5d6ef28734
	s_delay_alu instid0(VALU_DEP_1) | instskip(NEXT) | instid1(VALU_DEP_1)
	v_fmaak_f64 v[52:53], v[32:33], v[52:53], 0xbfaae5ce6a214619
	v_fmaak_f64 v[52:53], v[32:33], v[52:53], 0x3fae1bb48427b883
	s_delay_alu instid0(VALU_DEP_1) | instskip(SKIP_3) | instid1(VALU_DEP_4)
	v_fmaak_f64 v[52:53], v[32:33], v[52:53], 0xbfb110e48b207f05
	v_add_f64_e32 v[30:31], v[60:61], v[30:31]
	v_add_f64_e64 v[60:61], v[60:61], -v[54:55]
	v_add_f64_e64 v[6:7], v[6:7], -v[54:55]
	v_fmaak_f64 v[52:53], v[32:33], v[52:53], 0x3fb3b13657b87036
	s_delay_alu instid0(VALU_DEP_1) | instskip(NEXT) | instid1(VALU_DEP_1)
	v_fmaak_f64 v[52:53], v[32:33], v[52:53], 0xbfb745d119378e4f
	v_fmaak_f64 v[52:53], v[32:33], v[52:53], 0x3fbc71c717e1913c
	s_delay_alu instid0(VALU_DEP_1) | instskip(SKIP_1) | instid1(VALU_DEP_2)
	v_fmaak_f64 v[52:53], v[32:33], v[52:53], 0xbfc2492492376b7d
	v_add_f64_e32 v[62:63], v[56:57], v[30:31]
	v_fmaak_f64 v[52:53], v[32:33], v[52:53], 0x3fc99999999952cc
	s_delay_alu instid0(VALU_DEP_1) | instskip(NEXT) | instid1(VALU_DEP_1)
	v_fmaak_f64 v[52:53], v[32:33], v[52:53], 0xbfd5555555555523
	v_mul_f64_e32 v[32:33], v[32:33], v[52:53]
	v_add_f64_e64 v[52:53], v[58:59], -v[60:61]
	v_add_f64_e64 v[54:55], v[62:63], -v[56:57]
	s_delay_alu instid0(VALU_DEP_3) | instskip(NEXT) | instid1(VALU_DEP_3)
	v_fmac_f64_e32 v[14:15], v[14:15], v[32:33]
	v_add_f64_e32 v[6:7], v[6:7], v[52:53]
	s_delay_alu instid0(VALU_DEP_3) | instskip(NEXT) | instid1(VALU_DEP_3)
	v_add_f64_e64 v[30:31], v[30:31], -v[54:55]
	v_add_f64_e64 v[32:33], -v[14:15], s[40:41]
	s_delay_alu instid0(VALU_DEP_2) | instskip(NEXT) | instid1(VALU_DEP_2)
	v_add_f64_e32 v[6:7], v[6:7], v[30:31]
	v_dual_cndmask_b32 v15, v15, v33, s6 :: v_dual_cndmask_b32 v14, v14, v32, s6
	s_delay_alu instid0(VALU_DEP_1) | instskip(NEXT) | instid1(VALU_DEP_3)
	v_add_f64_e64 v[30:31], -v[14:15], s[42:43]
	v_add_f64_e32 v[6:7], v[62:63], v[6:7]
	s_delay_alu instid0(VALU_DEP_2) | instskip(SKIP_1) | instid1(VALU_DEP_1)
	v_dual_cndmask_b32 v14, v14, v30, vcc_lo :: v_dual_cndmask_b32 v4, v15, v31, vcc_lo
	s_and_b32 vcc_lo, s10, s11
	v_dual_cndmask_b32 v10, v14, v16, s7 :: v_dual_cndmask_b32 v3, v4, v3, s7
                                        ; implicit-def: $vgpr14_vgpr15
	s_delay_alu instid0(VALU_DEP_1) | instskip(NEXT) | instid1(VALU_DEP_2)
	v_dual_mul_f64 v[6:7], 0.5, v[6:7] :: v_dual_cndmask_b32 v32, v10, v8, vcc_lo
	v_cndmask_b32_e32 v33, v3, v2, vcc_lo
	s_delay_alu instid0(VALU_DEP_2) | instskip(NEXT) | instid1(VALU_DEP_3)
	v_cndmask_b32_e64 v31, 0xfff00000, v7, s8
	v_cndmask_b32_e64 v30, 0, v6, s8
                                        ; implicit-def: $vgpr6_vgpr7
.LBB173_128:                            ;   in Loop: Header=BB173_4 Depth=1
	s_and_not1_saveexec_b32 s57, s9
	s_cbranch_execz .LBB173_132
; %bb.129:                              ;   in Loop: Header=BB173_4 Depth=1
	v_and_b32_e32 v37, 0x7ffffff8, v15
	v_and_b32_e32 v31, 0x7ffffff8, v7
	v_mov_b32_e32 v30, v36
	s_mov_b32 s58, 0
	s_delay_alu instid0(VALU_DEP_3) | instskip(NEXT) | instid1(VALU_DEP_2)
	v_dual_add_f64 v[2:3], v[14:15], -v[36:37] :: v_dual_mov_b32 v32, v36
	v_dual_add_f64 v[6:7], v[6:7], -v[30:31] :: v_dual_mov_b32 v52, v36
	v_add_f64_e32 v[54:55], v[36:37], v[36:37]
	v_add_f64_e32 v[62:63], v[30:31], v[30:31]
	v_mul_f64_e32 v[30:31], v[30:31], v[30:31]
	v_and_b32_e32 v33, -8, v3
	s_delay_alu instid0(VALU_DEP_1) | instskip(SKIP_1) | instid1(VALU_DEP_2)
	v_dual_add_f64 v[64:65], v[2:3], -v[32:33] :: v_dual_bitop2_b32 v53, -8, v7 bitop3:0x40
	v_add_f64_e32 v[70:71], v[32:33], v[32:33]
	v_add_f64_e64 v[66:67], v[6:7], -v[52:53]
	v_add_f64_e32 v[72:73], v[52:53], v[52:53]
	v_mul_f64_e32 v[2:3], v[36:37], v[36:37]
	v_mul_f64_e32 v[60:61], v[54:55], v[32:33]
	;; [unrolled: 1-line block ×11, first 2 shown]
.LBB173_130:                            ;   Parent Loop BB173_4 Depth=1
                                        ; =>  This Inner Loop Header: Depth=2
	v_cmp_nlt_f64_e32 vcc_lo, v[2:3], v[30:31]
	v_dual_cndmask_b32 v67, v3, v31 :: v_dual_cndmask_b32 v66, v2, v30
	v_dual_cndmask_b32 v3, v31, v3 :: v_dual_cndmask_b32 v2, v30, v2
	s_delay_alu instid0(VALU_DEP_2) | instskip(NEXT) | instid1(VALU_DEP_1)
	v_cmp_nlt_f64_e64 s7, v[66:67], v[60:61]
	v_dual_cndmask_b32 v71, v67, v61, s7 :: v_dual_cndmask_b32 v70, v66, v60, s7
	v_dual_cndmask_b32 v31, v61, v67, s7 :: v_dual_cndmask_b32 v30, v60, v66, s7
	s_and_b32 s7, vcc_lo, s7
	s_delay_alu instid0(VALU_DEP_2) | instskip(NEXT) | instid1(VALU_DEP_1)
	v_cmp_nlt_f64_e64 s8, v[70:71], v[14:15]
	v_dual_cndmask_b32 v73, v71, v15, s8 :: v_dual_cndmask_b32 v72, v70, v14, s8
	v_dual_cndmask_b32 v61, v15, v71, s8 :: v_dual_cndmask_b32 v60, v14, v70, s8
	s_delay_alu instid0(VALU_DEP_2) | instskip(NEXT) | instid1(VALU_DEP_1)
	v_cmp_nlt_f64_e64 s9, v[72:73], v[58:59]
	v_dual_cndmask_b32 v75, v73, v59, s9 :: v_dual_cndmask_b32 v74, v72, v58, s9
	v_dual_cndmask_b32 v15, v59, v73, s9 :: v_dual_cndmask_b32 v14, v58, v72, s9
	s_and_b32 s8, s8, s9
	s_delay_alu instid0(VALU_DEP_2) | instskip(NEXT) | instid1(VALU_DEP_1)
	v_cmp_nlt_f64_e64 s10, v[74:75], v[6:7]
	v_dual_cndmask_b32 v77, v75, v7, s10 :: v_dual_cndmask_b32 v76, v74, v6, s10
	v_dual_cndmask_b32 v59, v7, v75, s10 :: v_dual_cndmask_b32 v58, v6, v74, s10
	s_delay_alu instid0(VALU_DEP_2) | instskip(NEXT) | instid1(VALU_DEP_1)
	v_cmp_nlt_f64_e64 s11, v[76:77], v[56:57]
	v_dual_cndmask_b32 v79, v77, v57, s11 :: v_dual_cndmask_b32 v78, v76, v56, s11
	s_and_b32 s9, s10, s11
	v_dual_cndmask_b32 v7, v57, v77, s11 :: v_dual_cndmask_b32 v6, v56, v76, s11
	s_delay_alu instid0(VALU_DEP_2) | instskip(NEXT) | instid1(VALU_DEP_1)
	v_cmp_nlt_f64_e64 s12, v[78:79], v[54:55]
	v_dual_cndmask_b32 v81, v79, v55, s12 :: v_dual_cndmask_b32 v80, v78, v54, s12
	s_and_b32 s9, s9, s12
	;; [unrolled: 5-line block ×6, first 2 shown]
	v_dual_cndmask_b32 v63, v65, v87, s16 :: v_dual_cndmask_b32 v62, v64, v86, s16
	s_and_b32 s8, s9, s8
	s_delay_alu instid0(VALU_DEP_2) | instskip(SKIP_1) | instid1(SALU_CYCLE_1)
	v_mov_b64_e32 v[64:65], v[66:67]
	s_and_b32 s7, s8, s7
	s_and_b32 s7, exec_lo, s7
	s_delay_alu instid0(SALU_CYCLE_1) | instskip(NEXT) | instid1(SALU_CYCLE_1)
	s_or_b32 s58, s7, s58
	s_and_not1_b32 exec_lo, exec_lo, s58
	s_cbranch_execnz .LBB173_130
; %bb.131:                              ;   in Loop: Header=BB173_4 Depth=1
	s_or_b32 exec_lo, exec_lo, s58
	v_add_f64_e32 v[2:3], -1.0, v[2:3]
	v_cmp_eq_f64_e64 s7, 0, v[12:13]
	v_cmp_class_f64_e64 s11, v[10:11], 0x204
	v_cmp_class_f64_e64 s10, v[12:13], 0x204
	s_delay_alu instid0(VALU_DEP_4) | instskip(NEXT) | instid1(VALU_DEP_1)
	v_add_f64_e32 v[2:3], v[2:3], v[30:31]
	v_add_f64_e32 v[2:3], v[2:3], v[60:61]
	s_delay_alu instid0(VALU_DEP_1) | instskip(NEXT) | instid1(VALU_DEP_1)
	v_add_f64_e32 v[2:3], v[2:3], v[14:15]
	v_add_f64_e32 v[2:3], v[2:3], v[58:59]
	s_delay_alu instid0(VALU_DEP_1) | instskip(NEXT) | instid1(VALU_DEP_1)
	;; [unrolled: 3-line block ×5, first 2 shown]
	v_add_f64_e32 v[2:3], v[66:67], v[2:3]
	v_add_f64_e32 v[6:7], 1.0, v[2:3]
	v_cmp_nge_f64_e64 s8, -1.0, v[2:3]
	v_cmp_neq_f64_e64 s9, 0x7ff00000, v[2:3]
	s_delay_alu instid0(VALU_DEP_3) | instskip(SKIP_2) | instid1(VALU_DEP_3)
	v_frexp_mant_f64_e32 v[14:15], v[6:7]
	v_frexp_exp_i32_f64_e32 v4, v[6:7]
	v_add_f64_e32 v[30:31], -1.0, v[6:7]
	v_cmp_gt_f64_e32 vcc_lo, s[30:31], v[14:15]
	s_delay_alu instid0(VALU_DEP_2) | instskip(SKIP_2) | instid1(VALU_DEP_1)
	v_add_f64_e64 v[14:15], v[30:31], -v[6:7]
	v_add_f64_e64 v[30:31], v[2:3], -v[30:31]
	v_subrev_co_ci_u32_e64 v4, null, 0, v4, vcc_lo
	v_dual_add_f64 v[14:15], 1.0, v[14:15] :: v_dual_sub_nc_u32 v8, 0, v4
	s_delay_alu instid0(VALU_DEP_1) | instskip(NEXT) | instid1(VALU_DEP_2)
	v_ldexp_f64 v[6:7], v[6:7], v8
	v_add_f64_e32 v[14:15], v[30:31], v[14:15]
	s_delay_alu instid0(VALU_DEP_2) | instskip(SKIP_1) | instid1(VALU_DEP_3)
	v_add_f64_e32 v[32:33], 1.0, v[6:7]
	v_add_f64_e32 v[56:57], -1.0, v[6:7]
	v_ldexp_f64 v[14:15], v[14:15], v8
	s_delay_alu instid0(VALU_DEP_3) | instskip(NEXT) | instid1(VALU_DEP_3)
	v_add_f64_e32 v[30:31], -1.0, v[32:33]
	v_add_f64_e32 v[58:59], 1.0, v[56:57]
	s_delay_alu instid0(VALU_DEP_2) | instskip(NEXT) | instid1(VALU_DEP_2)
	v_add_f64_e64 v[30:31], v[6:7], -v[30:31]
	v_add_f64_e64 v[6:7], v[6:7], -v[58:59]
	s_delay_alu instid0(VALU_DEP_2) | instskip(NEXT) | instid1(VALU_DEP_2)
	v_add_f64_e32 v[30:31], v[14:15], v[30:31]
	v_add_f64_e32 v[6:7], v[14:15], v[6:7]
	s_delay_alu instid0(VALU_DEP_2) | instskip(NEXT) | instid1(VALU_DEP_2)
	v_add_f64_e32 v[52:53], v[32:33], v[30:31]
	v_add_f64_e32 v[58:59], v[56:57], v[6:7]
	s_delay_alu instid0(VALU_DEP_2) | instskip(SKIP_1) | instid1(VALU_DEP_2)
	v_rcp_f64_e32 v[54:55], v[52:53]
	v_add_f64_e64 v[32:33], v[52:53], -v[32:33]
	v_add_f64_e64 v[56:57], v[58:59], -v[56:57]
	s_delay_alu instid0(VALU_DEP_2) | instskip(NEXT) | instid1(VALU_DEP_2)
	v_add_f64_e64 v[30:31], v[30:31], -v[32:33]
	v_add_f64_e64 v[6:7], v[6:7], -v[56:57]
	s_delay_alu instid0(TRANS32_DEP_1) | instskip(NEXT) | instid1(VALU_DEP_1)
	v_fma_f64 v[60:61], -v[52:53], v[54:55], 1.0
	v_fmac_f64_e32 v[54:55], v[60:61], v[54:55]
	s_delay_alu instid0(VALU_DEP_1) | instskip(NEXT) | instid1(VALU_DEP_1)
	v_fma_f64 v[14:15], -v[52:53], v[54:55], 1.0
	v_fmac_f64_e32 v[54:55], v[14:15], v[54:55]
	s_delay_alu instid0(VALU_DEP_1) | instskip(NEXT) | instid1(VALU_DEP_1)
	v_mul_f64_e32 v[14:15], v[58:59], v[54:55]
	v_mul_f64_e32 v[60:61], v[52:53], v[14:15]
	s_delay_alu instid0(VALU_DEP_1) | instskip(NEXT) | instid1(VALU_DEP_1)
	v_fma_f64 v[32:33], v[14:15], v[52:53], -v[60:61]
	v_fmac_f64_e32 v[32:33], v[14:15], v[30:31]
	s_delay_alu instid0(VALU_DEP_1) | instskip(NEXT) | instid1(VALU_DEP_1)
	v_add_f64_e32 v[62:63], v[60:61], v[32:33]
	v_add_f64_e64 v[64:65], v[58:59], -v[62:63]
	v_add_f64_e64 v[56:57], v[62:63], -v[60:61]
	s_delay_alu instid0(VALU_DEP_2) | instskip(NEXT) | instid1(VALU_DEP_2)
	v_add_f64_e64 v[58:59], v[58:59], -v[64:65]
	v_add_f64_e64 v[32:33], v[56:57], -v[32:33]
	s_delay_alu instid0(VALU_DEP_2) | instskip(NEXT) | instid1(VALU_DEP_1)
	v_add_f64_e64 v[58:59], v[58:59], -v[62:63]
	v_add_f64_e32 v[6:7], v[6:7], v[58:59]
	s_delay_alu instid0(VALU_DEP_1) | instskip(NEXT) | instid1(VALU_DEP_1)
	v_add_f64_e32 v[6:7], v[32:33], v[6:7]
	v_add_f64_e32 v[32:33], v[64:65], v[6:7]
	s_delay_alu instid0(VALU_DEP_1) | instskip(SKIP_1) | instid1(VALU_DEP_2)
	v_mul_f64_e32 v[56:57], v[54:55], v[32:33]
	v_add_f64_e64 v[62:63], v[64:65], -v[32:33]
	v_mul_f64_e32 v[58:59], v[52:53], v[56:57]
	s_delay_alu instid0(VALU_DEP_2) | instskip(NEXT) | instid1(VALU_DEP_2)
	v_add_f64_e32 v[6:7], v[6:7], v[62:63]
	v_fma_f64 v[52:53], v[56:57], v[52:53], -v[58:59]
	s_delay_alu instid0(VALU_DEP_1) | instskip(NEXT) | instid1(VALU_DEP_1)
	v_fmac_f64_e32 v[52:53], v[56:57], v[30:31]
	v_add_f64_e32 v[30:31], v[58:59], v[52:53]
	s_delay_alu instid0(VALU_DEP_1) | instskip(SKIP_1) | instid1(VALU_DEP_2)
	v_add_f64_e64 v[60:61], v[32:33], -v[30:31]
	v_add_f64_e64 v[58:59], v[30:31], -v[58:59]
	;; [unrolled: 1-line block ×3, first 2 shown]
	s_delay_alu instid0(VALU_DEP_1) | instskip(NEXT) | instid1(VALU_DEP_3)
	v_add_f64_e64 v[30:31], v[32:33], -v[30:31]
	v_add_f64_e64 v[32:33], v[58:59], -v[52:53]
	v_max_num_f64_e64 v[52:53], |v[10:11]|, |v[10:11]|
	s_delay_alu instid0(VALU_DEP_3) | instskip(SKIP_1) | instid1(VALU_DEP_2)
	v_add_f64_e32 v[6:7], v[6:7], v[30:31]
	v_add_f64_e32 v[30:31], v[14:15], v[56:57]
	;; [unrolled: 1-line block ×3, first 2 shown]
	s_delay_alu instid0(VALU_DEP_2) | instskip(SKIP_1) | instid1(VALU_DEP_3)
	v_add_f64_e64 v[14:15], v[30:31], -v[14:15]
	v_max_num_f64_e64 v[32:33], |v[12:13]|, |v[12:13]|
	v_add_f64_e32 v[6:7], v[60:61], v[6:7]
	s_delay_alu instid0(VALU_DEP_3) | instskip(NEXT) | instid1(VALU_DEP_2)
	v_add_f64_e64 v[14:15], v[56:57], -v[14:15]
	v_mul_f64_e32 v[6:7], v[54:55], v[6:7]
	s_delay_alu instid0(VALU_DEP_1) | instskip(SKIP_2) | instid1(VALU_DEP_3)
	v_add_f64_e32 v[6:7], v[14:15], v[6:7]
	v_max_num_f64_e32 v[14:15], v[52:53], v[32:33]
	v_min_num_f64_e32 v[32:33], v[52:53], v[32:33]
	v_add_f64_e32 v[52:53], v[30:31], v[6:7]
	s_delay_alu instid0(VALU_DEP_2) | instskip(NEXT) | instid1(VALU_DEP_2)
	v_div_scale_f64 v[54:55], null, v[14:15], v[14:15], v[32:33]
	v_mul_f64_e32 v[56:57], v[52:53], v[52:53]
	v_add_f64_e64 v[30:31], v[52:53], -v[30:31]
	s_delay_alu instid0(VALU_DEP_3) | instskip(NEXT) | instid1(VALU_DEP_2)
	v_rcp_f64_e32 v[58:59], v[54:55]
	v_fmamk_f64 v[60:61], v[56:57], 0x3fc3ab76bf559e2b, v[40:41]
	v_mul_f64_e32 v[62:63], v[52:53], v[56:57]
	s_delay_alu instid0(VALU_DEP_3) | instskip(NEXT) | instid1(VALU_DEP_3)
	v_add_f64_e64 v[6:7], v[6:7], -v[30:31]
	v_fmaak_f64 v[60:61], v[56:57], v[60:61], 0x3fc7474dd7f4df2e
	s_delay_alu instid0(TRANS32_DEP_1) | instskip(NEXT) | instid1(VALU_DEP_2)
	v_fma_f64 v[64:65], -v[54:55], v[58:59], 1.0
	v_fmaak_f64 v[60:61], v[56:57], v[60:61], 0x3fcc71c016291751
	s_delay_alu instid0(VALU_DEP_1) | instskip(NEXT) | instid1(VALU_DEP_1)
	v_fmaak_f64 v[60:61], v[56:57], v[60:61], 0x3fd249249b27acf1
	v_fmaak_f64 v[60:61], v[56:57], v[60:61], 0x3fd99999998ef7b6
	v_ldexp_f64 v[6:7], v[6:7], 1
	s_delay_alu instid0(VALU_DEP_2) | instskip(SKIP_2) | instid1(VALU_DEP_3)
	v_fmaak_f64 v[56:57], v[56:57], v[60:61], 0x3fe5555555555780
	v_ldexp_f64 v[60:61], v[52:53], 1
	v_fmac_f64_e32 v[58:59], v[58:59], v[64:65]
	v_mul_f64_e32 v[56:57], v[62:63], v[56:57]
	v_cvt_f64_i32_e32 v[62:63], v4
	v_ashrrev_i32_e32 v4, 31, v11
	s_delay_alu instid0(VALU_DEP_1) | instskip(SKIP_4) | instid1(VALU_DEP_3)
	v_and_b32_e32 v16, 0x54442d18, v4
	v_and_b32_e32 v4, 0x400921fb, v4
	v_fma_f64 v[64:65], -v[54:55], v[58:59], 1.0
	v_add_f64_e32 v[52:53], v[60:61], v[56:57]
	v_mul_f64_e32 v[66:67], 0x3fe62e42fefa39ef, v[62:63]
	v_fmac_f64_e32 v[58:59], v[58:59], v[64:65]
	s_delay_alu instid0(VALU_DEP_3) | instskip(SKIP_1) | instid1(VALU_DEP_4)
	v_add_f64_e64 v[30:31], v[52:53], -v[60:61]
	v_div_scale_f64 v[60:61], vcc_lo, v[32:33], v[14:15], v[32:33]
	v_fma_f64 v[64:65], v[62:63], s[34:35], -v[66:67]
	s_delay_alu instid0(VALU_DEP_3) | instskip(NEXT) | instid1(VALU_DEP_3)
	v_add_f64_e64 v[30:31], v[56:57], -v[30:31]
	v_mul_f64_e32 v[56:57], v[60:61], v[58:59]
	s_delay_alu instid0(VALU_DEP_3) | instskip(NEXT) | instid1(VALU_DEP_3)
	v_fmac_f64_e32 v[64:65], 0x3c7abc9e3b39803f, v[62:63]
	v_add_f64_e32 v[6:7], v[6:7], v[30:31]
	s_delay_alu instid0(VALU_DEP_3) | instskip(NEXT) | instid1(VALU_DEP_3)
	v_fma_f64 v[30:31], -v[54:55], v[56:57], v[60:61]
	v_add_f64_e32 v[54:55], v[66:67], v[64:65]
	s_delay_alu instid0(VALU_DEP_3) | instskip(NEXT) | instid1(VALU_DEP_3)
	v_add_f64_e32 v[60:61], v[52:53], v[6:7]
	v_div_fmas_f64 v[30:31], v[30:31], v[58:59], v[56:57]
	v_cmp_gt_i32_e32 vcc_lo, 0, v11
	s_delay_alu instid0(VALU_DEP_4) | instskip(SKIP_2) | instid1(VALU_DEP_1)
	v_add_f64_e64 v[58:59], v[54:55], -v[66:67]
	v_cndmask_b32_e32 v8, 0x54442d18, v68, vcc_lo
	v_cndmask_b32_e32 v10, 0x3fe921fb, v69, vcc_lo
	v_bfi_b32 v10, 0x7fffffff, v10, v13
	v_add_f64_e32 v[56:57], v[54:55], v[60:61]
	v_div_fixup_f64 v[14:15], v[30:31], v[14:15], v[32:33]
	v_add_f64_e64 v[52:53], v[60:61], -v[52:53]
	v_add_f64_e64 v[58:59], v[64:65], -v[58:59]
	s_delay_alu instid0(VALU_DEP_4) | instskip(NEXT) | instid1(VALU_DEP_4)
	v_add_f64_e64 v[30:31], v[56:57], -v[54:55]
	v_mul_f64_e32 v[32:33], v[14:15], v[14:15]
	s_delay_alu instid0(VALU_DEP_4) | instskip(NEXT) | instid1(VALU_DEP_3)
	v_add_f64_e64 v[6:7], v[6:7], -v[52:53]
	v_add_f64_e64 v[62:63], v[56:57], -v[30:31]
	s_delay_alu instid0(VALU_DEP_3) | instskip(SKIP_1) | instid1(VALU_DEP_4)
	v_fmamk_f64 v[66:67], v[32:33], 0x3eeba404b5e68a13, v[42:43]
	v_add_f64_e64 v[30:31], v[60:61], -v[30:31]
	v_add_f64_e32 v[60:61], v[58:59], v[6:7]
	s_delay_alu instid0(VALU_DEP_3) | instskip(SKIP_1) | instid1(VALU_DEP_2)
	v_fmaak_f64 v[66:67], v[32:33], v[66:67], 0x3f4b2bb069efb384
	v_add_f64_e64 v[52:53], v[54:55], -v[62:63]
	v_fmaak_f64 v[54:55], v[32:33], v[66:67], 0xbf67952daf56de9b
	s_delay_alu instid0(VALU_DEP_1) | instskip(NEXT) | instid1(VALU_DEP_1)
	v_fmaak_f64 v[54:55], v[32:33], v[54:55], 0x3f7d6d43a595c56f
	v_fmaak_f64 v[54:55], v[32:33], v[54:55], 0xbf8c6ea4a57d9582
	s_delay_alu instid0(VALU_DEP_1) | instskip(NEXT) | instid1(VALU_DEP_1)
	v_fmaak_f64 v[54:55], v[32:33], v[54:55], 0x3f967e295f08b19f
	v_fmaak_f64 v[54:55], v[32:33], v[54:55], 0xbf9e9ae6fc27006a
	v_add_f64_e32 v[30:31], v[30:31], v[52:53]
	s_delay_alu instid0(VALU_DEP_2) | instskip(SKIP_1) | instid1(VALU_DEP_2)
	v_fmaak_f64 v[52:53], v[32:33], v[54:55], 0x3fa2c15b5711927a
	v_add_f64_e64 v[54:55], v[60:61], -v[58:59]
	v_fmaak_f64 v[52:53], v[32:33], v[52:53], 0xbfa59976e82d3ff0
	s_delay_alu instid0(VALU_DEP_1) | instskip(NEXT) | instid1(VALU_DEP_1)
	v_fmaak_f64 v[52:53], v[32:33], v[52:53], 0x3fa82d5d6ef28734
	v_fmaak_f64 v[52:53], v[32:33], v[52:53], 0xbfaae5ce6a214619
	s_delay_alu instid0(VALU_DEP_1) | instskip(SKIP_3) | instid1(VALU_DEP_4)
	v_fmaak_f64 v[52:53], v[32:33], v[52:53], 0x3fae1bb48427b883
	v_add_f64_e32 v[30:31], v[60:61], v[30:31]
	v_add_f64_e64 v[60:61], v[60:61], -v[54:55]
	v_add_f64_e64 v[6:7], v[6:7], -v[54:55]
	v_fmaak_f64 v[52:53], v[32:33], v[52:53], 0xbfb110e48b207f05
	s_delay_alu instid0(VALU_DEP_1) | instskip(NEXT) | instid1(VALU_DEP_1)
	v_fmaak_f64 v[52:53], v[32:33], v[52:53], 0x3fb3b13657b87036
	v_fmaak_f64 v[52:53], v[32:33], v[52:53], 0xbfb745d119378e4f
	s_delay_alu instid0(VALU_DEP_1) | instskip(SKIP_1) | instid1(VALU_DEP_2)
	v_fmaak_f64 v[52:53], v[32:33], v[52:53], 0x3fbc71c717e1913c
	v_add_f64_e32 v[62:63], v[56:57], v[30:31]
	v_fmaak_f64 v[52:53], v[32:33], v[52:53], 0xbfc2492492376b7d
	s_delay_alu instid0(VALU_DEP_1) | instskip(NEXT) | instid1(VALU_DEP_1)
	v_fmaak_f64 v[52:53], v[32:33], v[52:53], 0x3fc99999999952cc
	v_fmaak_f64 v[52:53], v[32:33], v[52:53], 0xbfd5555555555523
	s_delay_alu instid0(VALU_DEP_1) | instskip(SKIP_2) | instid1(VALU_DEP_3)
	v_mul_f64_e32 v[32:33], v[32:33], v[52:53]
	v_add_f64_e64 v[52:53], v[58:59], -v[60:61]
	v_add_f64_e64 v[54:55], v[62:63], -v[56:57]
	v_fmac_f64_e32 v[14:15], v[14:15], v[32:33]
	s_delay_alu instid0(VALU_DEP_3) | instskip(NEXT) | instid1(VALU_DEP_3)
	v_add_f64_e32 v[6:7], v[6:7], v[52:53]
	v_add_f64_e64 v[30:31], v[30:31], -v[54:55]
	s_delay_alu instid0(VALU_DEP_3) | instskip(NEXT) | instid1(VALU_DEP_2)
	v_add_f64_e64 v[32:33], -v[14:15], s[40:41]
	v_add_f64_e32 v[6:7], v[6:7], v[30:31]
	s_delay_alu instid0(VALU_DEP_2) | instskip(NEXT) | instid1(VALU_DEP_1)
	v_dual_cndmask_b32 v15, v15, v33, s6 :: v_dual_cndmask_b32 v14, v14, v32, s6
	v_add_f64_e64 v[30:31], -v[14:15], s[42:43]
	s_delay_alu instid0(VALU_DEP_3) | instskip(NEXT) | instid1(VALU_DEP_2)
	v_add_f64_e32 v[6:7], v[62:63], v[6:7]
	v_dual_cndmask_b32 v14, v14, v30 :: v_dual_cndmask_b32 v11, v15, v31
	v_cmp_ngt_f64_e32 vcc_lo, -1.0, v[2:3]
	s_delay_alu instid0(VALU_DEP_2) | instskip(NEXT) | instid1(VALU_DEP_3)
	v_dual_mul_f64 v[6:7], 0.5, v[6:7] :: v_dual_cndmask_b32 v14, v14, v16, s7
	v_cndmask_b32_e64 v4, v11, v4, s7
	s_and_b32 s7, s8, s9
	s_delay_alu instid0(VALU_DEP_2) | instid1(SALU_CYCLE_1)
	v_cndmask_b32_e64 v30, 0, v6, s7
	v_cmp_neq_f64_e64 s7, -1.0, v[2:3]
	s_delay_alu instid0(VALU_DEP_4) | instskip(NEXT) | instid1(VALU_DEP_1)
	v_cndmask_b32_e64 v7, 0x7ff00000, v7, s9
	v_cndmask_b32_e32 v7, 0x7ff80000, v7, vcc_lo
	s_and_b32 vcc_lo, s10, s11
	v_dual_cndmask_b32 v33, v4, v10 :: v_dual_cndmask_b32 v32, v14, v8
	s_delay_alu instid0(VALU_DEP_2)
	v_cndmask_b32_e64 v31, 0xfff00000, v7, s7
.LBB173_132:                            ;   in Loop: Header=BB173_4 Depth=1
	s_or_b32 exec_lo, exec_lo, s57
.LBB173_133:                            ;   in Loop: Header=BB173_4 Depth=1
	s_delay_alu instid0(SALU_CYCLE_1)
	s_or_b32 exec_lo, exec_lo, s56
.LBB173_134:                            ;   in Loop: Header=BB173_4 Depth=1
	s_and_not1_saveexec_b32 s9, s55
	s_cbranch_execz .LBB173_136
; %bb.135:                              ;   in Loop: Header=BB173_4 Depth=1
	v_max_num_f64_e64 v[2:3], |v[12:13]|, |v[12:13]|
	v_max_num_f64_e64 v[6:7], |v[10:11]|, |v[10:11]|
	v_cmp_class_f64_e64 s10, v[10:11], 0x204
	v_cmp_class_f64_e64 s11, v[12:13], 0x204
	v_cmp_eq_f64_e64 s8, 0, v[12:13]
	s_delay_alu instid0(VALU_DEP_4) | instskip(SKIP_2) | instid1(VALU_DEP_2)
	v_max_num_f64_e32 v[14:15], v[6:7], v[2:3]
	v_min_num_f64_e32 v[2:3], v[6:7], v[2:3]
	s_or_b32 s7, s11, s10
	v_frexp_exp_i32_f64_e32 v4, v[14:15]
	s_delay_alu instid0(VALU_DEP_1) | instskip(NEXT) | instid1(VALU_DEP_1)
	v_sub_nc_u32_e32 v8, 0, v4
	v_ldexp_f64 v[30:31], |v[12:13]|, v8
	v_ldexp_f64 v[32:33], |v[10:11]|, v8
	s_delay_alu instid0(VALU_DEP_2) | instskip(NEXT) | instid1(VALU_DEP_1)
	v_mul_f64_e32 v[30:31], v[30:31], v[30:31]
	v_fmac_f64_e32 v[30:31], v[32:33], v[32:33]
	s_delay_alu instid0(VALU_DEP_1) | instskip(SKIP_1) | instid1(TRANS32_DEP_1)
	v_rsq_f64_e32 v[32:33], v[30:31]
	v_cmp_eq_f64_e32 vcc_lo, 0, v[30:31]
	v_mul_f64_e32 v[52:53], v[30:31], v[32:33]
	v_mul_f64_e32 v[32:33], 0.5, v[32:33]
	s_delay_alu instid0(VALU_DEP_1) | instskip(NEXT) | instid1(VALU_DEP_1)
	v_fma_f64 v[54:55], -v[32:33], v[52:53], 0.5
	v_fmac_f64_e32 v[52:53], v[52:53], v[54:55]
	v_fmac_f64_e32 v[32:33], v[32:33], v[54:55]
	s_delay_alu instid0(VALU_DEP_2) | instskip(NEXT) | instid1(VALU_DEP_1)
	v_fma_f64 v[54:55], -v[52:53], v[52:53], v[30:31]
	v_fmac_f64_e32 v[52:53], v[54:55], v[32:33]
	s_delay_alu instid0(VALU_DEP_1) | instskip(NEXT) | instid1(VALU_DEP_1)
	v_dual_cndmask_b32 v31, v53, v31 :: v_dual_cndmask_b32 v30, v52, v30
	v_ldexp_f64 v[30:31], v[30:31], v4
	s_delay_alu instid0(VALU_DEP_1) | instskip(NEXT) | instid1(VALU_DEP_2)
	v_cndmask_b32_e64 v53, v31, 0x7ff00000, s7
	v_cndmask_b32_e64 v52, v30, 0, s7
	s_delay_alu instid0(VALU_DEP_1) | instskip(SKIP_1) | instid1(VALU_DEP_2)
	v_frexp_mant_f64_e32 v[30:31], v[52:53]
	v_cmp_class_f64_e64 s7, v[52:53], 0x204
	v_cmp_gt_f64_e32 vcc_lo, s[30:31], v[30:31]
	v_cndmask_b32_e64 v4, 0, 1, vcc_lo
	s_delay_alu instid0(VALU_DEP_1) | instskip(SKIP_1) | instid1(VALU_DEP_2)
	v_ldexp_f64 v[30:31], v[30:31], v4
	v_frexp_exp_i32_f64_e32 v4, v[52:53]
	v_add_f64_e32 v[32:33], 1.0, v[30:31]
	v_add_f64_e32 v[58:59], -1.0, v[30:31]
	s_delay_alu instid0(VALU_DEP_3) | instskip(SKIP_1) | instid1(VALU_DEP_4)
	v_subrev_co_ci_u32_e64 v4, null, 0, v4, vcc_lo
	v_div_scale_f64 v[66:67], vcc_lo, v[2:3], v[14:15], v[2:3]
	v_rcp_f64_e32 v[54:55], v[32:33]
	v_add_f64_e32 v[60:61], -1.0, v[32:33]
	s_delay_alu instid0(VALU_DEP_1) | instskip(NEXT) | instid1(TRANS32_DEP_1)
	v_add_f64_e64 v[30:31], v[30:31], -v[60:61]
	v_fma_f64 v[56:57], -v[32:33], v[54:55], 1.0
	s_delay_alu instid0(VALU_DEP_1) | instskip(NEXT) | instid1(VALU_DEP_1)
	v_fmac_f64_e32 v[54:55], v[56:57], v[54:55]
	v_fma_f64 v[56:57], -v[32:33], v[54:55], 1.0
	s_delay_alu instid0(VALU_DEP_1) | instskip(NEXT) | instid1(VALU_DEP_1)
	v_fmac_f64_e32 v[54:55], v[56:57], v[54:55]
	v_mul_f64_e32 v[56:57], v[58:59], v[54:55]
	s_delay_alu instid0(VALU_DEP_1) | instskip(NEXT) | instid1(VALU_DEP_1)
	v_mul_f64_e32 v[62:63], v[32:33], v[56:57]
	v_fma_f64 v[32:33], v[56:57], v[32:33], -v[62:63]
	s_delay_alu instid0(VALU_DEP_1) | instskip(NEXT) | instid1(VALU_DEP_1)
	v_fmac_f64_e32 v[32:33], v[56:57], v[30:31]
	v_add_f64_e32 v[30:31], v[62:63], v[32:33]
	s_delay_alu instid0(VALU_DEP_1) | instskip(SKIP_1) | instid1(VALU_DEP_2)
	v_add_f64_e64 v[60:61], v[58:59], -v[30:31]
	v_add_f64_e64 v[62:63], v[30:31], -v[62:63]
	;; [unrolled: 1-line block ×3, first 2 shown]
	s_delay_alu instid0(VALU_DEP_2) | instskip(NEXT) | instid1(VALU_DEP_2)
	v_add_f64_e64 v[32:33], v[62:63], -v[32:33]
	v_add_f64_e64 v[30:31], v[58:59], -v[30:31]
	s_delay_alu instid0(VALU_DEP_1) | instskip(NEXT) | instid1(VALU_DEP_1)
	v_add_f64_e32 v[30:31], v[32:33], v[30:31]
	v_add_f64_e32 v[30:31], v[60:61], v[30:31]
	s_delay_alu instid0(VALU_DEP_1) | instskip(SKIP_1) | instid1(VALU_DEP_2)
	v_mul_f64_e32 v[6:7], v[54:55], v[30:31]
	v_div_scale_f64 v[30:31], null, v[14:15], v[14:15], v[2:3]
	v_add_f64_e32 v[32:33], v[56:57], v[6:7]
	s_delay_alu instid0(VALU_DEP_2) | instskip(NEXT) | instid1(VALU_DEP_1)
	v_rcp_f64_e32 v[54:55], v[30:31]
	v_mul_f64_e32 v[58:59], v[32:33], v[32:33]
	s_delay_alu instid0(TRANS32_DEP_1) | instskip(NEXT) | instid1(VALU_DEP_2)
	v_fma_f64 v[62:63], -v[30:31], v[54:55], 1.0
	v_fmamk_f64 v[60:61], v[58:59], 0x3fc3ab76bf559e2b, v[40:41]
	v_mul_f64_e32 v[64:65], v[32:33], v[58:59]
	s_delay_alu instid0(VALU_DEP_3) | instskip(NEXT) | instid1(VALU_DEP_3)
	v_fmac_f64_e32 v[54:55], v[54:55], v[62:63]
	v_fmaak_f64 v[60:61], v[58:59], v[60:61], 0x3fc7474dd7f4df2e
	s_delay_alu instid0(VALU_DEP_1) | instskip(NEXT) | instid1(VALU_DEP_1)
	v_fmaak_f64 v[60:61], v[58:59], v[60:61], 0x3fcc71c016291751
	v_fmaak_f64 v[60:61], v[58:59], v[60:61], 0x3fd249249b27acf1
	s_delay_alu instid0(VALU_DEP_1) | instskip(NEXT) | instid1(VALU_DEP_1)
	v_fmaak_f64 v[60:61], v[58:59], v[60:61], 0x3fd99999998ef7b6
	v_fmaak_f64 v[58:59], v[58:59], v[60:61], 0x3fe5555555555780
	v_ldexp_f64 v[60:61], v[32:33], 1
	v_fma_f64 v[62:63], -v[30:31], v[54:55], 1.0
	s_delay_alu instid0(VALU_DEP_3) | instskip(SKIP_2) | instid1(VALU_DEP_1)
	v_mul_f64_e32 v[58:59], v[64:65], v[58:59]
	v_cvt_f64_i32_e32 v[64:65], v4
	v_ashrrev_i32_e32 v4, 31, v11
	v_and_b32_e32 v10, 0x54442d18, v4
	v_add_f64_e64 v[32:33], v[32:33], -v[56:57]
	v_and_b32_e32 v4, 0x400921fb, v4
	v_fmac_f64_e32 v[54:55], v[54:55], v[62:63]
	v_add_f64_e32 v[56:57], v[60:61], v[58:59]
	v_mul_f64_e32 v[62:63], 0x3fe62e42fefa39ef, v[64:65]
	v_add_f64_e64 v[6:7], v[6:7], -v[32:33]
	s_delay_alu instid0(VALU_DEP_3) | instskip(SKIP_1) | instid1(VALU_DEP_4)
	v_add_f64_e64 v[32:33], v[56:57], -v[60:61]
	v_mul_f64_e32 v[60:61], v[66:67], v[54:55]
	v_fma_f64 v[70:71], v[64:65], s[34:35], -v[62:63]
	s_delay_alu instid0(VALU_DEP_4) | instskip(NEXT) | instid1(VALU_DEP_4)
	v_ldexp_f64 v[6:7], v[6:7], 1
	v_add_f64_e64 v[32:33], v[58:59], -v[32:33]
	s_delay_alu instid0(VALU_DEP_4) | instskip(NEXT) | instid1(VALU_DEP_4)
	v_fma_f64 v[30:31], -v[30:31], v[60:61], v[66:67]
	v_fmac_f64_e32 v[70:71], 0x3c7abc9e3b39803f, v[64:65]
	s_delay_alu instid0(VALU_DEP_3) | instskip(NEXT) | instid1(VALU_DEP_3)
	v_add_f64_e32 v[6:7], v[6:7], v[32:33]
	v_div_fmas_f64 v[30:31], v[30:31], v[54:55], v[60:61]
	s_delay_alu instid0(VALU_DEP_3) | instskip(SKIP_3) | instid1(VALU_DEP_1)
	v_add_f64_e32 v[32:33], v[62:63], v[70:71]
	v_cmp_gt_i32_e32 vcc_lo, 0, v11
	v_cndmask_b32_e32 v8, 0x54442d18, v68, vcc_lo
	v_cndmask_b32_e32 v11, 0x3fe921fb, v69, vcc_lo
	v_bfi_b32 v11, 0x7fffffff, v11, v13
	v_add_f64_e32 v[54:55], v[56:57], v[6:7]
	v_div_fixup_f64 v[2:3], v[30:31], v[14:15], v[2:3]
	v_add_f64_e64 v[62:63], v[32:33], -v[62:63]
	s_delay_alu instid0(VALU_DEP_3) | instskip(NEXT) | instid1(VALU_DEP_3)
	v_add_f64_e32 v[14:15], v[32:33], v[54:55]
	v_mul_f64_e32 v[30:31], v[2:3], v[2:3]
	v_add_f64_e64 v[56:57], v[54:55], -v[56:57]
	s_delay_alu instid0(VALU_DEP_4) | instskip(NEXT) | instid1(VALU_DEP_4)
	v_add_f64_e64 v[62:63], v[70:71], -v[62:63]
	v_add_f64_e64 v[58:59], v[14:15], -v[32:33]
	s_delay_alu instid0(VALU_DEP_4) | instskip(NEXT) | instid1(VALU_DEP_4)
	v_fmamk_f64 v[60:61], v[30:31], 0x3eeba404b5e68a13, v[42:43]
	v_add_f64_e64 v[6:7], v[6:7], -v[56:57]
	s_delay_alu instid0(VALU_DEP_2) | instskip(NEXT) | instid1(VALU_DEP_1)
	v_fmaak_f64 v[60:61], v[30:31], v[60:61], 0x3f4b2bb069efb384
	v_fmaak_f64 v[60:61], v[30:31], v[60:61], 0xbf67952daf56de9b
	s_delay_alu instid0(VALU_DEP_1) | instskip(NEXT) | instid1(VALU_DEP_1)
	v_fmaak_f64 v[60:61], v[30:31], v[60:61], 0x3f7d6d43a595c56f
	v_fmaak_f64 v[60:61], v[30:31], v[60:61], 0xbf8c6ea4a57d9582
	v_add_f64_e64 v[64:65], v[14:15], -v[58:59]
	v_add_f64_e64 v[54:55], v[54:55], -v[58:59]
	v_add_f64_e32 v[58:59], v[62:63], v[6:7]
	s_delay_alu instid0(VALU_DEP_4) | instskip(NEXT) | instid1(VALU_DEP_1)
	v_fmaak_f64 v[60:61], v[30:31], v[60:61], 0x3f967e295f08b19f
	v_fmaak_f64 v[56:57], v[30:31], v[60:61], 0xbf9e9ae6fc27006a
	s_delay_alu instid0(VALU_DEP_1) | instskip(NEXT) | instid1(VALU_DEP_1)
	v_fmaak_f64 v[56:57], v[30:31], v[56:57], 0x3fa2c15b5711927a
	v_fmaak_f64 v[56:57], v[30:31], v[56:57], 0xbfa59976e82d3ff0
	s_delay_alu instid0(VALU_DEP_1) | instskip(SKIP_1) | instid1(VALU_DEP_2)
	v_fmaak_f64 v[56:57], v[30:31], v[56:57], 0x3fa82d5d6ef28734
	v_add_f64_e64 v[32:33], v[32:33], -v[64:65]
	v_fmaak_f64 v[56:57], v[30:31], v[56:57], 0xbfaae5ce6a214619
	s_delay_alu instid0(VALU_DEP_2) | instskip(NEXT) | instid1(VALU_DEP_2)
	v_add_f64_e32 v[32:33], v[54:55], v[32:33]
	v_fmaak_f64 v[54:55], v[30:31], v[56:57], 0x3fae1bb48427b883
	v_add_f64_e64 v[56:57], v[58:59], -v[62:63]
	s_delay_alu instid0(VALU_DEP_2) | instskip(NEXT) | instid1(VALU_DEP_1)
	v_fmaak_f64 v[54:55], v[30:31], v[54:55], 0xbfb110e48b207f05
	v_fmaak_f64 v[54:55], v[30:31], v[54:55], 0x3fb3b13657b87036
	s_delay_alu instid0(VALU_DEP_1) | instskip(NEXT) | instid1(VALU_DEP_1)
	v_fmaak_f64 v[54:55], v[30:31], v[54:55], 0xbfb745d119378e4f
	v_fmaak_f64 v[54:55], v[30:31], v[54:55], 0x3fbc71c717e1913c
	v_add_f64_e32 v[32:33], v[58:59], v[32:33]
	v_add_f64_e64 v[6:7], v[6:7], -v[56:57]
	s_delay_alu instid0(VALU_DEP_3) | instskip(NEXT) | instid1(VALU_DEP_1)
	v_fmaak_f64 v[54:55], v[30:31], v[54:55], 0xbfc2492492376b7d
	v_fmaak_f64 v[54:55], v[30:31], v[54:55], 0x3fc99999999952cc
	s_delay_alu instid0(VALU_DEP_1) | instskip(NEXT) | instid1(VALU_DEP_1)
	v_fmaak_f64 v[54:55], v[30:31], v[54:55], 0xbfd5555555555523
	v_mul_f64_e32 v[30:31], v[30:31], v[54:55]
	v_add_f64_e64 v[54:55], v[58:59], -v[56:57]
	v_add_f64_e32 v[58:59], v[14:15], v[32:33]
	s_delay_alu instid0(VALU_DEP_3) | instskip(NEXT) | instid1(VALU_DEP_3)
	v_fmac_f64_e32 v[2:3], v[2:3], v[30:31]
	v_add_f64_e64 v[30:31], v[62:63], -v[54:55]
	s_delay_alu instid0(VALU_DEP_3) | instskip(NEXT) | instid1(VALU_DEP_3)
	v_add_f64_e64 v[14:15], v[58:59], -v[14:15]
	v_add_f64_e64 v[54:55], -v[2:3], s[40:41]
	s_delay_alu instid0(VALU_DEP_3) | instskip(NEXT) | instid1(VALU_DEP_3)
	v_add_f64_e32 v[6:7], v[6:7], v[30:31]
	v_add_f64_e64 v[14:15], v[32:33], -v[14:15]
	s_delay_alu instid0(VALU_DEP_3) | instskip(NEXT) | instid1(VALU_DEP_2)
	v_dual_cndmask_b32 v3, v3, v55, s6 :: v_dual_cndmask_b32 v2, v2, v54, s6
	v_add_f64_e32 v[6:7], v[6:7], v[14:15]
	s_delay_alu instid0(VALU_DEP_2) | instskip(NEXT) | instid1(VALU_DEP_2)
	v_add_f64_e64 v[14:15], -v[2:3], s[42:43]
	v_add_f64_e32 v[6:7], v[58:59], v[6:7]
	s_delay_alu instid0(VALU_DEP_2) | instskip(SKIP_1) | instid1(VALU_DEP_2)
	v_dual_cndmask_b32 v2, v2, v14 :: v_dual_cndmask_b32 v3, v3, v15
	v_cmp_ngt_f64_e32 vcc_lo, 0, v[52:53]
	v_dual_cndmask_b32 v2, v2, v10, s8 :: v_dual_cndmask_b32 v3, v3, v4, s8
	s_delay_alu instid0(VALU_DEP_4) | instskip(SKIP_1) | instid1(VALU_DEP_2)
	v_dual_cndmask_b32 v6, v6, v52, s7 :: v_dual_cndmask_b32 v7, v7, v53, s7
	v_cmp_nge_f64_e64 s7, 0, v[52:53]
	v_cndmask_b32_e32 v4, 0x7ff80000, v7, vcc_lo
	s_and_b32 vcc_lo, s11, s10
	v_dual_cndmask_b32 v33, v3, v11 :: v_dual_cndmask_b32 v32, v2, v8
	v_cndmask_b32_e64 v30, 0, v6, s7
	v_cmp_neq_f64_e64 s7, 0, v[52:53]
	s_delay_alu instid0(VALU_DEP_1)
	v_cndmask_b32_e64 v31, 0xfff00000, v4, s7
.LBB173_136:                            ;   in Loop: Header=BB173_4 Depth=1
	s_or_b32 exec_lo, exec_lo, s9
                                        ; implicit-def: $vgpr6_vgpr7
.LBB173_137:                            ;   in Loop: Header=BB173_4 Depth=1
	s_and_not1_saveexec_b32 s9, s54
	s_cbranch_execz .LBB173_143
; %bb.138:                              ;   in Loop: Header=BB173_4 Depth=1
                                        ; implicit-def: $vgpr30_vgpr31
	s_mov_b32 s7, exec_lo
	v_cmpx_ngt_f64_e32 s[46:47], v[6:7]
	s_xor_b32 s10, exec_lo, s7
	s_cbranch_execz .LBB173_140
; %bb.139:                              ;   in Loop: Header=BB173_4 Depth=1
	v_mul_f64_e32 v[2:3], v[6:7], v[6:7]
	v_cmp_eq_f64_e64 s7, 0, v[12:13]
	v_cmp_class_f64_e64 s11, v[12:13], 0x204
	v_cmp_class_f64_e64 s12, v[10:11], 0x204
	s_delay_alu instid0(VALU_DEP_4) | instskip(NEXT) | instid1(VALU_DEP_1)
	v_add_f64_e32 v[6:7], 1.0, v[2:3]
	v_frexp_mant_f64_e32 v[14:15], v[6:7]
	v_frexp_exp_i32_f64_e32 v4, v[6:7]
	v_add_f64_e32 v[30:31], -1.0, v[6:7]
	s_delay_alu instid0(VALU_DEP_3) | instskip(NEXT) | instid1(VALU_DEP_2)
	v_cmp_gt_f64_e32 vcc_lo, s[30:31], v[14:15]
	v_add_f64_e64 v[14:15], v[30:31], -v[6:7]
	s_delay_alu instid0(VALU_DEP_4) | instskip(NEXT) | instid1(VALU_DEP_1)
	v_subrev_co_ci_u32_e64 v4, null, 0, v4, vcc_lo
	v_dual_add_f64 v[14:15], 1.0, v[14:15] :: v_dual_sub_nc_u32 v8, 0, v4
	v_add_f64_e64 v[30:31], v[2:3], -v[30:31]
	v_cmp_neq_f64_e64 s8, 0x7ff00000, v[2:3]
	s_delay_alu instid0(VALU_DEP_3) | instskip(NEXT) | instid1(VALU_DEP_3)
	v_ldexp_f64 v[6:7], v[6:7], v8
	v_add_f64_e32 v[14:15], v[30:31], v[14:15]
	s_delay_alu instid0(VALU_DEP_2) | instskip(SKIP_1) | instid1(VALU_DEP_3)
	v_add_f64_e32 v[32:33], 1.0, v[6:7]
	v_add_f64_e32 v[56:57], -1.0, v[6:7]
	v_ldexp_f64 v[14:15], v[14:15], v8
	s_delay_alu instid0(VALU_DEP_3) | instskip(NEXT) | instid1(VALU_DEP_3)
	v_add_f64_e32 v[30:31], -1.0, v[32:33]
	v_add_f64_e32 v[58:59], 1.0, v[56:57]
	s_delay_alu instid0(VALU_DEP_2) | instskip(NEXT) | instid1(VALU_DEP_2)
	v_add_f64_e64 v[30:31], v[6:7], -v[30:31]
	v_add_f64_e64 v[6:7], v[6:7], -v[58:59]
	s_delay_alu instid0(VALU_DEP_2) | instskip(NEXT) | instid1(VALU_DEP_2)
	v_add_f64_e32 v[30:31], v[14:15], v[30:31]
	v_add_f64_e32 v[6:7], v[14:15], v[6:7]
	s_delay_alu instid0(VALU_DEP_2) | instskip(NEXT) | instid1(VALU_DEP_2)
	v_add_f64_e32 v[52:53], v[32:33], v[30:31]
	v_add_f64_e32 v[58:59], v[56:57], v[6:7]
	s_delay_alu instid0(VALU_DEP_2) | instskip(SKIP_1) | instid1(VALU_DEP_2)
	v_rcp_f64_e32 v[54:55], v[52:53]
	v_add_f64_e64 v[32:33], v[32:33], -v[52:53]
	v_add_f64_e64 v[56:57], v[56:57], -v[58:59]
	s_delay_alu instid0(VALU_DEP_2) | instskip(NEXT) | instid1(VALU_DEP_2)
	v_add_f64_e32 v[30:31], v[30:31], v[32:33]
	v_add_f64_e32 v[6:7], v[6:7], v[56:57]
	s_delay_alu instid0(TRANS32_DEP_1) | instskip(NEXT) | instid1(VALU_DEP_1)
	v_fma_f64 v[60:61], -v[52:53], v[54:55], 1.0
	v_fmac_f64_e32 v[54:55], v[60:61], v[54:55]
	s_delay_alu instid0(VALU_DEP_1) | instskip(NEXT) | instid1(VALU_DEP_1)
	v_fma_f64 v[14:15], -v[52:53], v[54:55], 1.0
	v_fmac_f64_e32 v[54:55], v[14:15], v[54:55]
	s_delay_alu instid0(VALU_DEP_1) | instskip(NEXT) | instid1(VALU_DEP_1)
	v_mul_f64_e32 v[14:15], v[58:59], v[54:55]
	v_mul_f64_e32 v[60:61], v[52:53], v[14:15]
	s_delay_alu instid0(VALU_DEP_1) | instskip(NEXT) | instid1(VALU_DEP_1)
	v_fma_f64 v[32:33], v[14:15], v[52:53], -v[60:61]
	v_fmac_f64_e32 v[32:33], v[14:15], v[30:31]
	s_delay_alu instid0(VALU_DEP_1) | instskip(NEXT) | instid1(VALU_DEP_1)
	v_add_f64_e32 v[62:63], v[60:61], v[32:33]
	v_add_f64_e64 v[64:65], v[58:59], -v[62:63]
	v_add_f64_e64 v[56:57], v[62:63], -v[60:61]
	s_delay_alu instid0(VALU_DEP_2) | instskip(NEXT) | instid1(VALU_DEP_2)
	v_add_f64_e64 v[58:59], v[58:59], -v[64:65]
	v_add_f64_e64 v[32:33], v[56:57], -v[32:33]
	s_delay_alu instid0(VALU_DEP_2) | instskip(NEXT) | instid1(VALU_DEP_1)
	v_add_f64_e64 v[58:59], v[58:59], -v[62:63]
	v_add_f64_e32 v[6:7], v[6:7], v[58:59]
	s_delay_alu instid0(VALU_DEP_1) | instskip(NEXT) | instid1(VALU_DEP_1)
	v_add_f64_e32 v[6:7], v[32:33], v[6:7]
	v_add_f64_e32 v[32:33], v[64:65], v[6:7]
	s_delay_alu instid0(VALU_DEP_1) | instskip(SKIP_1) | instid1(VALU_DEP_2)
	v_mul_f64_e32 v[56:57], v[54:55], v[32:33]
	v_add_f64_e64 v[62:63], v[64:65], -v[32:33]
	v_mul_f64_e32 v[58:59], v[52:53], v[56:57]
	s_delay_alu instid0(VALU_DEP_2) | instskip(NEXT) | instid1(VALU_DEP_2)
	v_add_f64_e32 v[6:7], v[6:7], v[62:63]
	v_fma_f64 v[52:53], v[56:57], v[52:53], -v[58:59]
	s_delay_alu instid0(VALU_DEP_1) | instskip(NEXT) | instid1(VALU_DEP_1)
	v_fmac_f64_e32 v[52:53], v[56:57], v[30:31]
	v_add_f64_e32 v[30:31], v[58:59], v[52:53]
	s_delay_alu instid0(VALU_DEP_1) | instskip(SKIP_1) | instid1(VALU_DEP_2)
	v_add_f64_e64 v[60:61], v[32:33], -v[30:31]
	v_add_f64_e64 v[58:59], v[30:31], -v[58:59]
	;; [unrolled: 1-line block ×3, first 2 shown]
	s_delay_alu instid0(VALU_DEP_1) | instskip(NEXT) | instid1(VALU_DEP_3)
	v_add_f64_e64 v[30:31], v[32:33], -v[30:31]
	v_add_f64_e64 v[32:33], v[58:59], -v[52:53]
	v_max_num_f64_e64 v[52:53], |v[10:11]|, |v[10:11]|
	s_delay_alu instid0(VALU_DEP_3) | instskip(SKIP_1) | instid1(VALU_DEP_2)
	v_add_f64_e32 v[6:7], v[6:7], v[30:31]
	v_add_f64_e32 v[30:31], v[14:15], v[56:57]
	;; [unrolled: 1-line block ×3, first 2 shown]
	s_delay_alu instid0(VALU_DEP_2) | instskip(SKIP_1) | instid1(VALU_DEP_3)
	v_add_f64_e64 v[14:15], v[30:31], -v[14:15]
	v_max_num_f64_e64 v[32:33], |v[12:13]|, |v[12:13]|
	v_add_f64_e32 v[6:7], v[60:61], v[6:7]
	s_delay_alu instid0(VALU_DEP_3) | instskip(NEXT) | instid1(VALU_DEP_2)
	v_add_f64_e64 v[14:15], v[56:57], -v[14:15]
	v_mul_f64_e32 v[6:7], v[54:55], v[6:7]
	s_delay_alu instid0(VALU_DEP_1) | instskip(SKIP_2) | instid1(VALU_DEP_3)
	v_add_f64_e32 v[6:7], v[14:15], v[6:7]
	v_max_num_f64_e32 v[14:15], v[52:53], v[32:33]
	v_min_num_f64_e32 v[32:33], v[52:53], v[32:33]
	v_add_f64_e32 v[52:53], v[30:31], v[6:7]
	s_delay_alu instid0(VALU_DEP_2) | instskip(NEXT) | instid1(VALU_DEP_2)
	v_div_scale_f64 v[54:55], null, v[14:15], v[14:15], v[32:33]
	v_mul_f64_e32 v[56:57], v[52:53], v[52:53]
	v_add_f64_e64 v[30:31], v[52:53], -v[30:31]
	s_delay_alu instid0(VALU_DEP_3) | instskip(NEXT) | instid1(VALU_DEP_2)
	v_rcp_f64_e32 v[58:59], v[54:55]
	v_fmamk_f64 v[60:61], v[56:57], 0x3fc3ab76bf559e2b, v[40:41]
	v_mul_f64_e32 v[62:63], v[52:53], v[56:57]
	s_delay_alu instid0(VALU_DEP_3) | instskip(NEXT) | instid1(VALU_DEP_3)
	v_add_f64_e64 v[6:7], v[6:7], -v[30:31]
	v_fmaak_f64 v[60:61], v[56:57], v[60:61], 0x3fc7474dd7f4df2e
	s_delay_alu instid0(TRANS32_DEP_1) | instskip(NEXT) | instid1(VALU_DEP_2)
	v_fma_f64 v[64:65], -v[54:55], v[58:59], 1.0
	v_fmaak_f64 v[60:61], v[56:57], v[60:61], 0x3fcc71c016291751
	s_delay_alu instid0(VALU_DEP_1) | instskip(NEXT) | instid1(VALU_DEP_1)
	v_fmaak_f64 v[60:61], v[56:57], v[60:61], 0x3fd249249b27acf1
	v_fmaak_f64 v[60:61], v[56:57], v[60:61], 0x3fd99999998ef7b6
	v_ldexp_f64 v[6:7], v[6:7], 1
	s_delay_alu instid0(VALU_DEP_2) | instskip(SKIP_2) | instid1(VALU_DEP_3)
	v_fmaak_f64 v[56:57], v[56:57], v[60:61], 0x3fe5555555555780
	v_ldexp_f64 v[60:61], v[52:53], 1
	v_fmac_f64_e32 v[58:59], v[58:59], v[64:65]
	v_mul_f64_e32 v[56:57], v[62:63], v[56:57]
	v_cvt_f64_i32_e32 v[62:63], v4
	v_ashrrev_i32_e32 v4, 31, v11
	s_delay_alu instid0(VALU_DEP_1) | instskip(SKIP_4) | instid1(VALU_DEP_3)
	v_and_b32_e32 v16, 0x54442d18, v4
	v_and_b32_e32 v3, 0x400921fb, v4
	v_fma_f64 v[64:65], -v[54:55], v[58:59], 1.0
	v_add_f64_e32 v[52:53], v[60:61], v[56:57]
	v_mul_f64_e32 v[66:67], 0x3fe62e42fefa39ef, v[62:63]
	v_fmac_f64_e32 v[58:59], v[58:59], v[64:65]
	s_delay_alu instid0(VALU_DEP_3) | instskip(SKIP_1) | instid1(VALU_DEP_4)
	v_add_f64_e64 v[30:31], v[52:53], -v[60:61]
	v_div_scale_f64 v[60:61], vcc_lo, v[32:33], v[14:15], v[32:33]
	v_fma_f64 v[64:65], v[62:63], s[34:35], -v[66:67]
	s_delay_alu instid0(VALU_DEP_3) | instskip(NEXT) | instid1(VALU_DEP_3)
	v_add_f64_e64 v[30:31], v[56:57], -v[30:31]
	v_mul_f64_e32 v[56:57], v[60:61], v[58:59]
	s_delay_alu instid0(VALU_DEP_3) | instskip(NEXT) | instid1(VALU_DEP_3)
	v_fmac_f64_e32 v[64:65], 0x3c7abc9e3b39803f, v[62:63]
	v_add_f64_e32 v[6:7], v[6:7], v[30:31]
	s_delay_alu instid0(VALU_DEP_3) | instskip(NEXT) | instid1(VALU_DEP_3)
	v_fma_f64 v[30:31], -v[54:55], v[56:57], v[60:61]
	v_add_f64_e32 v[54:55], v[66:67], v[64:65]
	s_delay_alu instid0(VALU_DEP_3) | instskip(NEXT) | instid1(VALU_DEP_3)
	v_add_f64_e32 v[60:61], v[52:53], v[6:7]
	v_div_fmas_f64 v[30:31], v[30:31], v[58:59], v[56:57]
	v_cmp_gt_i32_e32 vcc_lo, 0, v11
	s_delay_alu instid0(VALU_DEP_4) | instskip(SKIP_2) | instid1(VALU_DEP_2)
	v_add_f64_e64 v[58:59], v[54:55], -v[66:67]
	v_cndmask_b32_e32 v2, 0x3fe921fb, v69, vcc_lo
	v_cndmask_b32_e32 v8, 0x54442d18, v68, vcc_lo
	v_bfi_b32 v2, 0x7fffffff, v2, v13
	v_add_f64_e32 v[56:57], v[54:55], v[60:61]
	v_div_fixup_f64 v[14:15], v[30:31], v[14:15], v[32:33]
	v_add_f64_e64 v[52:53], v[60:61], -v[52:53]
	v_add_f64_e64 v[58:59], v[64:65], -v[58:59]
	s_delay_alu instid0(VALU_DEP_4) | instskip(NEXT) | instid1(VALU_DEP_4)
	v_add_f64_e64 v[30:31], v[56:57], -v[54:55]
	v_mul_f64_e32 v[32:33], v[14:15], v[14:15]
	s_delay_alu instid0(VALU_DEP_4) | instskip(NEXT) | instid1(VALU_DEP_3)
	v_add_f64_e64 v[6:7], v[6:7], -v[52:53]
	v_add_f64_e64 v[62:63], v[56:57], -v[30:31]
	s_delay_alu instid0(VALU_DEP_3) | instskip(SKIP_1) | instid1(VALU_DEP_4)
	v_fmamk_f64 v[66:67], v[32:33], 0x3eeba404b5e68a13, v[42:43]
	v_add_f64_e64 v[30:31], v[60:61], -v[30:31]
	v_add_f64_e32 v[60:61], v[58:59], v[6:7]
	s_delay_alu instid0(VALU_DEP_3) | instskip(NEXT) | instid1(VALU_DEP_1)
	v_fmaak_f64 v[66:67], v[32:33], v[66:67], 0x3f4b2bb069efb384
	v_fmaak_f64 v[66:67], v[32:33], v[66:67], 0xbf67952daf56de9b
	v_add_f64_e64 v[52:53], v[54:55], -v[62:63]
	s_delay_alu instid0(VALU_DEP_2) | instskip(NEXT) | instid1(VALU_DEP_1)
	v_fmaak_f64 v[54:55], v[32:33], v[66:67], 0x3f7d6d43a595c56f
	v_fmaak_f64 v[54:55], v[32:33], v[54:55], 0xbf8c6ea4a57d9582
	s_delay_alu instid0(VALU_DEP_1) | instskip(NEXT) | instid1(VALU_DEP_1)
	v_fmaak_f64 v[54:55], v[32:33], v[54:55], 0x3f967e295f08b19f
	v_fmaak_f64 v[54:55], v[32:33], v[54:55], 0xbf9e9ae6fc27006a
	s_delay_alu instid0(VALU_DEP_1) | instskip(SKIP_1) | instid1(VALU_DEP_2)
	v_fmaak_f64 v[54:55], v[32:33], v[54:55], 0x3fa2c15b5711927a
	v_add_f64_e32 v[30:31], v[30:31], v[52:53]
	v_fmaak_f64 v[52:53], v[32:33], v[54:55], 0xbfa59976e82d3ff0
	v_add_f64_e64 v[54:55], v[60:61], -v[58:59]
	s_delay_alu instid0(VALU_DEP_2) | instskip(NEXT) | instid1(VALU_DEP_1)
	v_fmaak_f64 v[52:53], v[32:33], v[52:53], 0x3fa82d5d6ef28734
	v_fmaak_f64 v[52:53], v[32:33], v[52:53], 0xbfaae5ce6a214619
	s_delay_alu instid0(VALU_DEP_1) | instskip(NEXT) | instid1(VALU_DEP_1)
	v_fmaak_f64 v[52:53], v[32:33], v[52:53], 0x3fae1bb48427b883
	v_fmaak_f64 v[52:53], v[32:33], v[52:53], 0xbfb110e48b207f05
	v_add_f64_e32 v[30:31], v[60:61], v[30:31]
	v_add_f64_e64 v[60:61], v[60:61], -v[54:55]
	v_add_f64_e64 v[6:7], v[6:7], -v[54:55]
	s_delay_alu instid0(VALU_DEP_4) | instskip(NEXT) | instid1(VALU_DEP_1)
	v_fmaak_f64 v[52:53], v[32:33], v[52:53], 0x3fb3b13657b87036
	v_fmaak_f64 v[52:53], v[32:33], v[52:53], 0xbfb745d119378e4f
	s_delay_alu instid0(VALU_DEP_1) | instskip(NEXT) | instid1(VALU_DEP_1)
	v_fmaak_f64 v[52:53], v[32:33], v[52:53], 0x3fbc71c717e1913c
	v_fmaak_f64 v[52:53], v[32:33], v[52:53], 0xbfc2492492376b7d
	v_add_f64_e32 v[62:63], v[56:57], v[30:31]
	s_delay_alu instid0(VALU_DEP_2) | instskip(NEXT) | instid1(VALU_DEP_1)
	v_fmaak_f64 v[52:53], v[32:33], v[52:53], 0x3fc99999999952cc
	v_fmaak_f64 v[52:53], v[32:33], v[52:53], 0xbfd5555555555523
	s_delay_alu instid0(VALU_DEP_1) | instskip(SKIP_2) | instid1(VALU_DEP_3)
	v_mul_f64_e32 v[32:33], v[32:33], v[52:53]
	v_add_f64_e64 v[52:53], v[58:59], -v[60:61]
	v_add_f64_e64 v[54:55], v[62:63], -v[56:57]
	v_fmac_f64_e32 v[14:15], v[14:15], v[32:33]
	s_delay_alu instid0(VALU_DEP_3) | instskip(NEXT) | instid1(VALU_DEP_3)
	v_add_f64_e32 v[6:7], v[6:7], v[52:53]
	v_add_f64_e64 v[30:31], v[30:31], -v[54:55]
	s_delay_alu instid0(VALU_DEP_3) | instskip(NEXT) | instid1(VALU_DEP_2)
	v_add_f64_e64 v[32:33], -v[14:15], s[40:41]
	v_add_f64_e32 v[6:7], v[6:7], v[30:31]
	s_delay_alu instid0(VALU_DEP_2) | instskip(NEXT) | instid1(VALU_DEP_1)
	v_dual_cndmask_b32 v15, v15, v33, s6 :: v_dual_cndmask_b32 v14, v14, v32, s6
	v_add_f64_e64 v[30:31], -v[14:15], s[42:43]
	s_delay_alu instid0(VALU_DEP_3) | instskip(NEXT) | instid1(VALU_DEP_2)
	v_add_f64_e32 v[6:7], v[62:63], v[6:7]
	v_dual_cndmask_b32 v14, v14, v30, vcc_lo :: v_dual_cndmask_b32 v4, v15, v31, vcc_lo
	s_and_b32 vcc_lo, s11, s12
	s_delay_alu instid0(VALU_DEP_1) | instskip(NEXT) | instid1(VALU_DEP_1)
	v_dual_cndmask_b32 v10, v14, v16, s7 :: v_dual_cndmask_b32 v3, v4, v3, s7
	v_dual_mul_f64 v[6:7], 0.5, v[6:7] :: v_dual_cndmask_b32 v32, v10, v8, vcc_lo
	s_delay_alu instid0(VALU_DEP_2) | instskip(NEXT) | instid1(VALU_DEP_2)
	v_cndmask_b32_e32 v33, v3, v2, vcc_lo
	v_cndmask_b32_e64 v31, 0x7ff00000, v7, s8
	s_delay_alu instid0(VALU_DEP_3)
	v_cndmask_b32_e64 v30, 0, v6, s8
                                        ; implicit-def: $vgpr6_vgpr7
.LBB173_140:                            ;   in Loop: Header=BB173_4 Depth=1
	s_and_not1_saveexec_b32 s8, s10
	s_cbranch_execz .LBB173_142
; %bb.141:                              ;   in Loop: Header=BB173_4 Depth=1
	v_max_num_f64_e64 v[2:3], |v[12:13]|, |v[12:13]|
	v_max_num_f64_e64 v[14:15], |v[10:11]|, |v[10:11]|
	v_cmp_eq_f64_e64 s7, 0, v[12:13]
	v_cmp_class_f64_e64 s10, v[12:13], 0x204
	v_cmp_class_f64_e64 s11, v[10:11], 0x204
	v_ashrrev_i32_e32 v4, 31, v11
	s_delay_alu instid0(VALU_DEP_1) | instskip(SKIP_3) | instid1(VALU_DEP_1)
	v_and_b32_e32 v16, 0x54442d18, v4
	v_and_b32_e32 v4, 0x400921fb, v4
	v_max_num_f64_e32 v[30:31], v[14:15], v[2:3]
	v_min_num_f64_e32 v[2:3], v[14:15], v[2:3]
	v_div_scale_f64 v[14:15], null, v[30:31], v[30:31], v[2:3]
	v_div_scale_f64 v[54:55], vcc_lo, v[2:3], v[30:31], v[2:3]
	s_delay_alu instid0(VALU_DEP_2) | instskip(SKIP_1) | instid1(TRANS32_DEP_1)
	v_rcp_f64_e32 v[32:33], v[14:15]
	v_nop
	v_fma_f64 v[52:53], -v[14:15], v[32:33], 1.0
	s_delay_alu instid0(VALU_DEP_1) | instskip(NEXT) | instid1(VALU_DEP_1)
	v_fmac_f64_e32 v[32:33], v[32:33], v[52:53]
	v_fma_f64 v[52:53], -v[14:15], v[32:33], 1.0
	s_delay_alu instid0(VALU_DEP_1) | instskip(NEXT) | instid1(VALU_DEP_1)
	v_fmac_f64_e32 v[32:33], v[32:33], v[52:53]
	v_mul_f64_e32 v[52:53], v[54:55], v[32:33]
	s_delay_alu instid0(VALU_DEP_1) | instskip(NEXT) | instid1(VALU_DEP_1)
	v_fma_f64 v[14:15], -v[14:15], v[52:53], v[54:55]
	v_div_fmas_f64 v[14:15], v[14:15], v[32:33], v[52:53]
	v_cmp_gt_i32_e32 vcc_lo, 0, v11
	v_cndmask_b32_e32 v8, 0x54442d18, v68, vcc_lo
	s_delay_alu instid0(VALU_DEP_3) | instskip(NEXT) | instid1(VALU_DEP_1)
	v_div_fixup_f64 v[2:3], v[14:15], v[30:31], v[2:3]
	v_mul_f64_e32 v[14:15], v[2:3], v[2:3]
	s_delay_alu instid0(VALU_DEP_1) | instskip(NEXT) | instid1(VALU_DEP_1)
	v_fmamk_f64 v[30:31], v[14:15], 0x3eeba404b5e68a13, v[42:43]
	v_fmaak_f64 v[30:31], v[14:15], v[30:31], 0x3f4b2bb069efb384
	s_delay_alu instid0(VALU_DEP_1) | instskip(NEXT) | instid1(VALU_DEP_1)
	v_fmaak_f64 v[30:31], v[14:15], v[30:31], 0xbf67952daf56de9b
	v_fmaak_f64 v[30:31], v[14:15], v[30:31], 0x3f7d6d43a595c56f
	s_delay_alu instid0(VALU_DEP_1) | instskip(NEXT) | instid1(VALU_DEP_1)
	v_fmaak_f64 v[30:31], v[14:15], v[30:31], 0xbf8c6ea4a57d9582
	;; [unrolled: 3-line block ×9, first 2 shown]
	v_mul_f64_e32 v[14:15], v[14:15], v[30:31]
	s_delay_alu instid0(VALU_DEP_1) | instskip(NEXT) | instid1(VALU_DEP_1)
	v_fmac_f64_e32 v[2:3], v[2:3], v[14:15]
	v_add_f64_e64 v[14:15], -v[2:3], s[40:41]
	s_delay_alu instid0(VALU_DEP_1) | instskip(NEXT) | instid1(VALU_DEP_1)
	v_dual_cndmask_b32 v3, v3, v15, s6 :: v_dual_cndmask_b32 v2, v2, v14, s6
	v_add_f64_e64 v[14:15], -v[2:3], s[42:43]
	s_delay_alu instid0(VALU_DEP_1) | instskip(NEXT) | instid1(VALU_DEP_1)
	v_dual_cndmask_b32 v2, v2, v14 :: v_dual_cndmask_b32 v3, v3, v15
	v_dual_mul_f64 v[30:31], 0.5, v[6:7] :: v_dual_cndmask_b32 v2, v2, v16, s7
	s_delay_alu instid0(VALU_DEP_2) | instskip(NEXT) | instid1(VALU_DEP_2)
	v_cndmask_b32_e64 v3, v3, v4, s7
	v_mul_f64_e32 v[30:31], v[6:7], v[30:31]
	v_cndmask_b32_e32 v6, 0x3fe921fb, v69, vcc_lo
	s_and_b32 vcc_lo, s10, s11
	v_cndmask_b32_e32 v32, v2, v8, vcc_lo
	s_delay_alu instid0(VALU_DEP_2) | instskip(NEXT) | instid1(VALU_DEP_1)
	v_bfi_b32 v6, 0x7fffffff, v6, v13
	v_cndmask_b32_e32 v33, v3, v6, vcc_lo
.LBB173_142:                            ;   in Loop: Header=BB173_4 Depth=1
	s_or_b32 exec_lo, exec_lo, s8
.LBB173_143:                            ;   in Loop: Header=BB173_4 Depth=1
	s_delay_alu instid0(SALU_CYCLE_1)
	s_or_b32 exec_lo, exec_lo, s9
.LBB173_144:                            ;   in Loop: Header=BB173_4 Depth=1
	s_and_not1_saveexec_b32 s8, s33
	s_cbranch_execz .LBB173_146
; %bb.145:                              ;   in Loop: Header=BB173_4 Depth=1
	v_div_scale_f64 v[2:3], null, s[48:49], s[48:49], v[10:11]
	v_div_scale_f64 v[6:7], null, s[48:49], s[48:49], v[12:13]
	v_div_scale_f64 v[54:55], vcc_lo, v[10:11], s[48:49], v[10:11]
	s_delay_alu instid0(VALU_DEP_3) | instskip(NEXT) | instid1(VALU_DEP_2)
	v_rcp_f64_e32 v[14:15], v[2:3]
	v_rcp_f64_e32 v[30:31], v[6:7]
	s_delay_alu instid0(TRANS32_DEP_2) | instskip(NEXT) | instid1(TRANS32_DEP_1)
	v_fma_f64 v[32:33], -v[2:3], v[14:15], 1.0
	v_fma_f64 v[52:53], -v[6:7], v[30:31], 1.0
	s_delay_alu instid0(VALU_DEP_2) | instskip(NEXT) | instid1(VALU_DEP_2)
	v_fmac_f64_e32 v[14:15], v[14:15], v[32:33]
	v_fmac_f64_e32 v[30:31], v[30:31], v[52:53]
	s_delay_alu instid0(VALU_DEP_2) | instskip(NEXT) | instid1(VALU_DEP_2)
	v_fma_f64 v[32:33], -v[2:3], v[14:15], 1.0
	v_fma_f64 v[52:53], -v[6:7], v[30:31], 1.0
	s_delay_alu instid0(VALU_DEP_2) | instskip(SKIP_1) | instid1(VALU_DEP_3)
	v_fmac_f64_e32 v[14:15], v[14:15], v[32:33]
	v_div_scale_f64 v[32:33], s7, v[12:13], s[48:49], v[12:13]
	v_fmac_f64_e32 v[30:31], v[30:31], v[52:53]
	s_delay_alu instid0(VALU_DEP_3) | instskip(NEXT) | instid1(VALU_DEP_2)
	v_mul_f64_e32 v[52:53], v[54:55], v[14:15]
	v_mul_f64_e32 v[56:57], v[32:33], v[30:31]
	s_delay_alu instid0(VALU_DEP_2) | instskip(NEXT) | instid1(VALU_DEP_2)
	v_fma_f64 v[2:3], -v[2:3], v[52:53], v[54:55]
	v_fma_f64 v[6:7], -v[6:7], v[56:57], v[32:33]
	s_delay_alu instid0(VALU_DEP_2) | instskip(SKIP_1) | instid1(VALU_DEP_2)
	v_div_fmas_f64 v[2:3], v[2:3], v[14:15], v[52:53]
	s_mov_b32 vcc_lo, s7
	v_div_fmas_f64 v[6:7], v[6:7], v[30:31], v[56:57]
	s_delay_alu instid0(VALU_DEP_2) | instskip(NEXT) | instid1(VALU_DEP_2)
	v_div_fixup_f64 v[2:3], v[2:3], s[48:49], v[10:11]
	v_div_fixup_f64 v[6:7], v[6:7], s[48:49], v[12:13]
	s_delay_alu instid0(VALU_DEP_2) | instskip(NEXT) | instid1(VALU_DEP_2)
	v_cmp_class_f64_e64 s7, v[2:3], 0x204
	v_max_num_f64_e64 v[14:15], |v[2:3]|, |v[6:7]|
	v_cmp_class_f64_e64 s9, v[6:7], 0x204
	s_delay_alu instid0(VALU_DEP_2) | instskip(SKIP_2) | instid1(VALU_DEP_2)
	v_frexp_exp_i32_f64_e32 v4, v[14:15]
	s_or_b32 s7, s9, s7
	v_cmp_class_f64_e64 s9, v[10:11], 0x204
	v_sub_nc_u32_e32 v8, 0, v4
	s_delay_alu instid0(VALU_DEP_1) | instskip(SKIP_1) | instid1(VALU_DEP_2)
	v_ldexp_f64 v[14:15], |v[6:7]|, v8
	v_ldexp_f64 v[30:31], |v[2:3]|, v8
	v_mul_f64_e32 v[14:15], v[14:15], v[14:15]
	s_delay_alu instid0(VALU_DEP_1) | instskip(NEXT) | instid1(VALU_DEP_1)
	v_fmac_f64_e32 v[14:15], v[30:31], v[30:31]
	v_rsq_f64_e32 v[30:31], v[14:15]
	v_cmp_eq_f64_e32 vcc_lo, 0, v[14:15]
	s_delay_alu instid0(TRANS32_DEP_1) | instskip(SKIP_1) | instid1(VALU_DEP_1)
	v_mul_f64_e32 v[32:33], v[14:15], v[30:31]
	v_mul_f64_e32 v[30:31], 0.5, v[30:31]
	v_fma_f64 v[52:53], -v[30:31], v[32:33], 0.5
	s_delay_alu instid0(VALU_DEP_1) | instskip(SKIP_1) | instid1(VALU_DEP_2)
	v_fmac_f64_e32 v[32:33], v[32:33], v[52:53]
	v_fmac_f64_e32 v[30:31], v[30:31], v[52:53]
	v_fma_f64 v[52:53], -v[32:33], v[32:33], v[14:15]
	s_delay_alu instid0(VALU_DEP_1) | instskip(NEXT) | instid1(VALU_DEP_1)
	v_fmac_f64_e32 v[32:33], v[52:53], v[30:31]
	v_dual_cndmask_b32 v15, v33, v15 :: v_dual_cndmask_b32 v14, v32, v14
	v_cmp_o_f64_e32 vcc_lo, v[2:3], v[6:7]
	s_delay_alu instid0(VALU_DEP_2) | instskip(NEXT) | instid1(VALU_DEP_1)
	v_ldexp_f64 v[14:15], v[14:15], v4
	v_cndmask_b32_e32 v2, 0, v14, vcc_lo
	s_delay_alu instid0(VALU_DEP_2) | instskip(NEXT) | instid1(VALU_DEP_2)
	v_cndmask_b32_e32 v3, 0x7ff80000, v15, vcc_lo
	v_cndmask_b32_e64 v2, v2, 0, s7
	s_delay_alu instid0(VALU_DEP_2) | instskip(SKIP_1) | instid1(VALU_DEP_2)
	v_cndmask_b32_e64 v3, v3, 0x7ff00000, s7
	v_cmp_class_f64_e64 s7, v[12:13], 0x204
	v_frexp_mant_f64_e32 v[6:7], v[2:3]
	s_delay_alu instid0(VALU_DEP_1) | instskip(SKIP_1) | instid1(VALU_DEP_1)
	v_cmp_gt_f64_e32 vcc_lo, s[30:31], v[6:7]
	v_cndmask_b32_e64 v4, 0, 1, vcc_lo
	v_ldexp_f64 v[6:7], v[6:7], v4
	v_frexp_exp_i32_f64_e32 v4, v[2:3]
	s_delay_alu instid0(VALU_DEP_2) | instskip(SKIP_1) | instid1(VALU_DEP_3)
	v_add_f64_e32 v[14:15], 1.0, v[6:7]
	v_add_f64_e32 v[52:53], -1.0, v[6:7]
	v_subrev_co_ci_u32_e64 v4, null, 0, v4, vcc_lo
	s_delay_alu instid0(VALU_DEP_3) | instskip(SKIP_1) | instid1(VALU_DEP_1)
	v_rcp_f64_e32 v[30:31], v[14:15]
	v_add_f64_e32 v[54:55], -1.0, v[14:15]
	v_add_f64_e64 v[6:7], v[6:7], -v[54:55]
	s_delay_alu instid0(TRANS32_DEP_1) | instskip(NEXT) | instid1(VALU_DEP_1)
	v_fma_f64 v[32:33], -v[14:15], v[30:31], 1.0
	v_fmac_f64_e32 v[30:31], v[32:33], v[30:31]
	s_delay_alu instid0(VALU_DEP_1) | instskip(NEXT) | instid1(VALU_DEP_1)
	v_fma_f64 v[32:33], -v[14:15], v[30:31], 1.0
	v_fmac_f64_e32 v[30:31], v[32:33], v[30:31]
	s_delay_alu instid0(VALU_DEP_1) | instskip(NEXT) | instid1(VALU_DEP_1)
	v_mul_f64_e32 v[32:33], v[52:53], v[30:31]
	v_mul_f64_e32 v[56:57], v[14:15], v[32:33]
	s_delay_alu instid0(VALU_DEP_1) | instskip(NEXT) | instid1(VALU_DEP_1)
	v_fma_f64 v[14:15], v[32:33], v[14:15], -v[56:57]
	v_fmac_f64_e32 v[14:15], v[32:33], v[6:7]
	s_delay_alu instid0(VALU_DEP_1) | instskip(NEXT) | instid1(VALU_DEP_1)
	v_add_f64_e32 v[6:7], v[56:57], v[14:15]
	v_add_f64_e64 v[54:55], v[52:53], -v[6:7]
	v_add_f64_e64 v[56:57], v[6:7], -v[56:57]
	s_delay_alu instid0(VALU_DEP_2) | instskip(NEXT) | instid1(VALU_DEP_2)
	v_add_f64_e64 v[52:53], v[52:53], -v[54:55]
	v_add_f64_e64 v[14:15], v[56:57], -v[14:15]
	s_delay_alu instid0(VALU_DEP_2) | instskip(SKIP_1) | instid1(VALU_DEP_2)
	v_add_f64_e64 v[6:7], v[52:53], -v[6:7]
	v_max_num_f64_e64 v[52:53], |v[10:11]|, |v[10:11]|
	v_add_f64_e32 v[6:7], v[14:15], v[6:7]
	v_max_num_f64_e64 v[14:15], |v[12:13]|, |v[12:13]|
	s_delay_alu instid0(VALU_DEP_2) | instskip(NEXT) | instid1(VALU_DEP_1)
	v_add_f64_e32 v[6:7], v[54:55], v[6:7]
	v_mul_f64_e32 v[6:7], v[30:31], v[6:7]
	s_delay_alu instid0(VALU_DEP_3) | instskip(SKIP_1) | instid1(VALU_DEP_3)
	v_max_num_f64_e32 v[30:31], v[52:53], v[14:15]
	v_min_num_f64_e32 v[14:15], v[52:53], v[14:15]
	v_add_f64_e32 v[52:53], v[32:33], v[6:7]
	s_delay_alu instid0(VALU_DEP_2) | instskip(NEXT) | instid1(VALU_DEP_2)
	v_div_scale_f64 v[54:55], null, v[30:31], v[30:31], v[14:15]
	v_mul_f64_e32 v[56:57], v[52:53], v[52:53]
	v_add_f64_e64 v[32:33], v[52:53], -v[32:33]
	s_delay_alu instid0(VALU_DEP_3) | instskip(NEXT) | instid1(VALU_DEP_2)
	v_rcp_f64_e32 v[58:59], v[54:55]
	v_fmamk_f64 v[60:61], v[56:57], 0x3fc3ab76bf559e2b, v[40:41]
	v_mul_f64_e32 v[62:63], v[52:53], v[56:57]
	s_delay_alu instid0(VALU_DEP_3) | instskip(NEXT) | instid1(VALU_DEP_3)
	v_add_f64_e64 v[6:7], v[6:7], -v[32:33]
	v_fmaak_f64 v[60:61], v[56:57], v[60:61], 0x3fc7474dd7f4df2e
	s_delay_alu instid0(TRANS32_DEP_1) | instskip(NEXT) | instid1(VALU_DEP_2)
	v_fma_f64 v[64:65], -v[54:55], v[58:59], 1.0
	v_fmaak_f64 v[60:61], v[56:57], v[60:61], 0x3fcc71c016291751
	s_delay_alu instid0(VALU_DEP_1) | instskip(NEXT) | instid1(VALU_DEP_1)
	v_fmaak_f64 v[60:61], v[56:57], v[60:61], 0x3fd249249b27acf1
	v_fmaak_f64 v[60:61], v[56:57], v[60:61], 0x3fd99999998ef7b6
	v_ldexp_f64 v[6:7], v[6:7], 1
	s_delay_alu instid0(VALU_DEP_2) | instskip(SKIP_2) | instid1(VALU_DEP_3)
	v_fmaak_f64 v[56:57], v[56:57], v[60:61], 0x3fe5555555555780
	v_ldexp_f64 v[60:61], v[52:53], 1
	v_fmac_f64_e32 v[58:59], v[58:59], v[64:65]
	v_mul_f64_e32 v[56:57], v[62:63], v[56:57]
	v_cvt_f64_i32_e32 v[62:63], v4
	v_ashrrev_i32_e32 v4, 31, v11
	s_delay_alu instid0(VALU_DEP_1) | instskip(SKIP_4) | instid1(VALU_DEP_3)
	v_and_b32_e32 v16, 0x54442d18, v4
	v_and_b32_e32 v4, 0x400921fb, v4
	v_fma_f64 v[64:65], -v[54:55], v[58:59], 1.0
	v_add_f64_e32 v[52:53], v[60:61], v[56:57]
	v_mul_f64_e32 v[66:67], 0x3fe62e42fefa39ef, v[62:63]
	v_fmac_f64_e32 v[58:59], v[58:59], v[64:65]
	s_delay_alu instid0(VALU_DEP_3) | instskip(SKIP_1) | instid1(VALU_DEP_4)
	v_add_f64_e64 v[32:33], v[52:53], -v[60:61]
	v_div_scale_f64 v[60:61], vcc_lo, v[14:15], v[30:31], v[14:15]
	v_fma_f64 v[64:65], v[62:63], s[34:35], -v[66:67]
	s_delay_alu instid0(VALU_DEP_3) | instskip(NEXT) | instid1(VALU_DEP_3)
	v_add_f64_e64 v[32:33], v[56:57], -v[32:33]
	v_mul_f64_e32 v[56:57], v[60:61], v[58:59]
	s_delay_alu instid0(VALU_DEP_3) | instskip(NEXT) | instid1(VALU_DEP_3)
	v_fmac_f64_e32 v[64:65], 0x3c7abc9e3b39803f, v[62:63]
	v_add_f64_e32 v[6:7], v[6:7], v[32:33]
	s_delay_alu instid0(VALU_DEP_3) | instskip(NEXT) | instid1(VALU_DEP_3)
	v_fma_f64 v[32:33], -v[54:55], v[56:57], v[60:61]
	v_add_f64_e32 v[54:55], v[66:67], v[64:65]
	s_delay_alu instid0(VALU_DEP_3) | instskip(NEXT) | instid1(VALU_DEP_3)
	v_add_f64_e32 v[60:61], v[52:53], v[6:7]
	v_div_fmas_f64 v[32:33], v[32:33], v[58:59], v[56:57]
	v_cmp_class_f64_e64 vcc_lo, v[2:3], 0x204
	s_delay_alu instid0(VALU_DEP_4) | instskip(NEXT) | instid1(VALU_DEP_4)
	v_add_f64_e64 v[58:59], v[54:55], -v[66:67]
	v_add_f64_e32 v[56:57], v[54:55], v[60:61]
	s_delay_alu instid0(VALU_DEP_4) | instskip(SKIP_1) | instid1(VALU_DEP_4)
	v_div_fixup_f64 v[14:15], v[32:33], v[30:31], v[14:15]
	v_add_f64_e64 v[52:53], v[60:61], -v[52:53]
	v_add_f64_e64 v[58:59], v[64:65], -v[58:59]
	s_delay_alu instid0(VALU_DEP_4) | instskip(NEXT) | instid1(VALU_DEP_4)
	v_add_f64_e64 v[30:31], v[56:57], -v[54:55]
	v_mul_f64_e32 v[32:33], v[14:15], v[14:15]
	s_delay_alu instid0(VALU_DEP_4) | instskip(NEXT) | instid1(VALU_DEP_3)
	v_add_f64_e64 v[6:7], v[6:7], -v[52:53]
	v_add_f64_e64 v[62:63], v[56:57], -v[30:31]
	s_delay_alu instid0(VALU_DEP_3) | instskip(SKIP_1) | instid1(VALU_DEP_4)
	v_fmamk_f64 v[66:67], v[32:33], 0x3eeba404b5e68a13, v[42:43]
	v_add_f64_e64 v[30:31], v[60:61], -v[30:31]
	v_add_f64_e32 v[60:61], v[58:59], v[6:7]
	s_delay_alu instid0(VALU_DEP_3) | instskip(SKIP_1) | instid1(VALU_DEP_2)
	v_fmaak_f64 v[66:67], v[32:33], v[66:67], 0x3f4b2bb069efb384
	v_add_f64_e64 v[52:53], v[54:55], -v[62:63]
	v_fmaak_f64 v[54:55], v[32:33], v[66:67], 0xbf67952daf56de9b
	s_delay_alu instid0(VALU_DEP_1) | instskip(NEXT) | instid1(VALU_DEP_1)
	v_fmaak_f64 v[54:55], v[32:33], v[54:55], 0x3f7d6d43a595c56f
	v_fmaak_f64 v[54:55], v[32:33], v[54:55], 0xbf8c6ea4a57d9582
	s_delay_alu instid0(VALU_DEP_1) | instskip(SKIP_1) | instid1(VALU_DEP_2)
	v_fmaak_f64 v[54:55], v[32:33], v[54:55], 0x3f967e295f08b19f
	v_add_f64_e32 v[30:31], v[30:31], v[52:53]
	v_fmaak_f64 v[52:53], v[32:33], v[54:55], 0xbf9e9ae6fc27006a
	v_add_f64_e64 v[54:55], v[60:61], -v[58:59]
	s_delay_alu instid0(VALU_DEP_2) | instskip(NEXT) | instid1(VALU_DEP_1)
	v_fmaak_f64 v[52:53], v[32:33], v[52:53], 0x3fa2c15b5711927a
	v_fmaak_f64 v[52:53], v[32:33], v[52:53], 0xbfa59976e82d3ff0
	s_delay_alu instid0(VALU_DEP_1) | instskip(NEXT) | instid1(VALU_DEP_1)
	v_fmaak_f64 v[52:53], v[32:33], v[52:53], 0x3fa82d5d6ef28734
	v_fmaak_f64 v[52:53], v[32:33], v[52:53], 0xbfaae5ce6a214619
	v_add_f64_e32 v[30:31], v[60:61], v[30:31]
	v_add_f64_e64 v[60:61], v[60:61], -v[54:55]
	v_add_f64_e64 v[6:7], v[6:7], -v[54:55]
	s_delay_alu instid0(VALU_DEP_4) | instskip(NEXT) | instid1(VALU_DEP_1)
	v_fmaak_f64 v[52:53], v[32:33], v[52:53], 0x3fae1bb48427b883
	v_fmaak_f64 v[52:53], v[32:33], v[52:53], 0xbfb110e48b207f05
	s_delay_alu instid0(VALU_DEP_1) | instskip(NEXT) | instid1(VALU_DEP_1)
	v_fmaak_f64 v[52:53], v[32:33], v[52:53], 0x3fb3b13657b87036
	v_fmaak_f64 v[52:53], v[32:33], v[52:53], 0xbfb745d119378e4f
	s_delay_alu instid0(VALU_DEP_1) | instskip(SKIP_1) | instid1(VALU_DEP_2)
	v_fmaak_f64 v[52:53], v[32:33], v[52:53], 0x3fbc71c717e1913c
	v_add_f64_e32 v[62:63], v[56:57], v[30:31]
	v_fmaak_f64 v[52:53], v[32:33], v[52:53], 0xbfc2492492376b7d
	s_delay_alu instid0(VALU_DEP_1) | instskip(NEXT) | instid1(VALU_DEP_1)
	v_fmaak_f64 v[52:53], v[32:33], v[52:53], 0x3fc99999999952cc
	v_fmaak_f64 v[52:53], v[32:33], v[52:53], 0xbfd5555555555523
	s_delay_alu instid0(VALU_DEP_1) | instskip(SKIP_2) | instid1(VALU_DEP_3)
	v_mul_f64_e32 v[32:33], v[32:33], v[52:53]
	v_add_f64_e64 v[52:53], v[58:59], -v[60:61]
	v_add_f64_e64 v[54:55], v[62:63], -v[56:57]
	v_fmac_f64_e32 v[14:15], v[14:15], v[32:33]
	s_delay_alu instid0(VALU_DEP_3) | instskip(NEXT) | instid1(VALU_DEP_3)
	v_add_f64_e32 v[6:7], v[6:7], v[52:53]
	v_add_f64_e64 v[30:31], v[30:31], -v[54:55]
	s_delay_alu instid0(VALU_DEP_3) | instskip(NEXT) | instid1(VALU_DEP_2)
	v_add_f64_e64 v[32:33], -v[14:15], s[40:41]
	v_add_f64_e32 v[6:7], v[6:7], v[30:31]
	s_delay_alu instid0(VALU_DEP_2) | instskip(SKIP_1) | instid1(VALU_DEP_3)
	v_dual_cndmask_b32 v15, v15, v33, s6 :: v_dual_cndmask_b32 v14, v14, v32, s6
	v_cmp_gt_i32_e64 s6, 0, v11
	v_add_f64_e32 v[6:7], v[62:63], v[6:7]
	s_delay_alu instid0(VALU_DEP_3) | instskip(NEXT) | instid1(VALU_DEP_3)
	v_add_f64_e64 v[30:31], -v[14:15], s[42:43]
	v_cndmask_b32_e64 v8, 0x54442d18, v68, s6
	v_cndmask_b32_e64 v10, 0x3fe921fb, v69, s6
	s_delay_alu instid0(VALU_DEP_1) | instskip(SKIP_4) | instid1(VALU_DEP_2)
	v_bfi_b32 v10, 0x7fffffff, v10, v13
	v_dual_cndmask_b32 v7, v7, v3 :: v_dual_cndmask_b32 v6, v6, v2
	v_cmp_eq_f64_e32 vcc_lo, 0, v[12:13]
	v_dual_cndmask_b32 v14, v14, v30, s6 :: v_dual_cndmask_b32 v11, v15, v31, s6
	v_cmp_nge_f64_e64 s6, 0, v[2:3]
	v_dual_add_f64 v[6:7], 1.0, v[6:7] :: v_dual_cndmask_b32 v14, v14, v16, vcc_lo
	s_delay_alu instid0(VALU_DEP_3) | instskip(SKIP_1) | instid1(VALU_DEP_3)
	v_cndmask_b32_e32 v4, v11, v4, vcc_lo
	v_cmp_ngt_f64_e32 vcc_lo, 0, v[2:3]
	v_cndmask_b32_e64 v30, 0, v6, s6
	v_cmp_neq_f64_e64 s6, 0, v[2:3]
	v_cndmask_b32_e32 v7, 0x7ff80000, v7, vcc_lo
	s_and_b32 vcc_lo, s7, s9
	v_dual_cndmask_b32 v33, v4, v10 :: v_dual_cndmask_b32 v32, v14, v8
	s_delay_alu instid0(VALU_DEP_2)
	v_cndmask_b32_e64 v31, 0xfff00000, v7, s6
.LBB173_146:                            ;   in Loop: Header=BB173_4 Depth=1
	s_or_b32 exec_lo, exec_lo, s8
	s_and_not1_saveexec_b32 s6, s17
	s_cbranch_execz .LBB173_116
.LBB173_147:                            ;   in Loop: Header=BB173_4 Depth=1
	v_cmp_ngt_f64_e64 s7, 0x20000000, |v[10:11]|
	v_cmp_ngt_f64_e64 s8, 0x20000000, |v[12:13]|
                                        ; implicit-def: $vgpr2_vgpr3
	s_or_b32 s7, s8, s7
	s_delay_alu instid0(SALU_CYCLE_1) | instskip(NEXT) | instid1(SALU_CYCLE_1)
	s_and_saveexec_b32 s8, s7
	s_xor_b32 s7, exec_lo, s8
	s_cbranch_execz .LBB173_149
; %bb.148:                              ;   in Loop: Header=BB173_4 Depth=1
	v_mul_f64_e32 v[2:3], v[10:11], v[10:11]
	s_delay_alu instid0(VALU_DEP_1)
	v_fmac_f64_e32 v[2:3], v[12:13], v[12:13]
.LBB173_149:                            ;   in Loop: Header=BB173_4 Depth=1
	s_and_not1_saveexec_b32 s7, s7
	s_cbranch_execz .LBB173_151
; %bb.150:                              ;   in Loop: Header=BB173_4 Depth=1
	v_mul_f64_e32 v[2:3], 4.0, v[10:11]
	v_mul_f64_e32 v[6:7], 4.0, v[12:13]
	s_delay_alu instid0(VALU_DEP_2) | instskip(NEXT) | instid1(VALU_DEP_1)
	v_mul_f64_e32 v[2:3], v[2:3], v[2:3]
	v_fmac_f64_e32 v[2:3], v[6:7], v[6:7]
	s_delay_alu instid0(VALU_DEP_1)
	v_ldexp_f64 v[2:3], v[2:3], -4
.LBB173_151:                            ;   in Loop: Header=BB173_4 Depth=1
	s_or_b32 exec_lo, exec_lo, s7
	s_delay_alu instid0(VALU_DEP_1) | instskip(NEXT) | instid1(VALU_DEP_1)
	v_frexp_mant_f64_e32 v[6:7], v[2:3]
	v_cmp_gt_f64_e32 vcc_lo, s[30:31], v[6:7]
	v_cndmask_b32_e64 v4, 0, 1, vcc_lo
	s_delay_alu instid0(VALU_DEP_1) | instskip(SKIP_1) | instid1(VALU_DEP_2)
	v_ldexp_f64 v[6:7], v[6:7], v4
	v_frexp_exp_i32_f64_e32 v4, v[2:3]
	v_add_f64_e32 v[10:11], 1.0, v[6:7]
	v_add_f64_e32 v[32:33], -1.0, v[6:7]
	s_delay_alu instid0(VALU_DEP_3) | instskip(SKIP_1) | instid1(VALU_DEP_4)
	v_subrev_co_ci_u32_e64 v4, null, 0, v4, vcc_lo
	v_cmp_class_f64_e64 vcc_lo, v[2:3], 0x204
	v_rcp_f64_e32 v[14:15], v[10:11]
	v_add_f64_e32 v[52:53], -1.0, v[10:11]
	s_delay_alu instid0(VALU_DEP_1) | instskip(NEXT) | instid1(TRANS32_DEP_1)
	v_add_f64_e64 v[6:7], v[6:7], -v[52:53]
	v_fma_f64 v[30:31], -v[10:11], v[14:15], 1.0
	s_delay_alu instid0(VALU_DEP_1) | instskip(NEXT) | instid1(VALU_DEP_1)
	v_fmac_f64_e32 v[14:15], v[30:31], v[14:15]
	v_fma_f64 v[30:31], -v[10:11], v[14:15], 1.0
	s_delay_alu instid0(VALU_DEP_1) | instskip(NEXT) | instid1(VALU_DEP_1)
	v_fmac_f64_e32 v[14:15], v[30:31], v[14:15]
	v_mul_f64_e32 v[30:31], v[32:33], v[14:15]
	s_delay_alu instid0(VALU_DEP_1) | instskip(NEXT) | instid1(VALU_DEP_1)
	v_mul_f64_e32 v[54:55], v[10:11], v[30:31]
	v_fma_f64 v[10:11], v[30:31], v[10:11], -v[54:55]
	s_delay_alu instid0(VALU_DEP_1) | instskip(NEXT) | instid1(VALU_DEP_1)
	v_fmac_f64_e32 v[10:11], v[30:31], v[6:7]
	v_add_f64_e32 v[6:7], v[54:55], v[10:11]
	s_delay_alu instid0(VALU_DEP_1) | instskip(SKIP_1) | instid1(VALU_DEP_2)
	v_add_f64_e64 v[52:53], v[32:33], -v[6:7]
	v_add_f64_e64 v[54:55], v[6:7], -v[54:55]
	;; [unrolled: 1-line block ×3, first 2 shown]
	s_delay_alu instid0(VALU_DEP_2) | instskip(NEXT) | instid1(VALU_DEP_2)
	v_add_f64_e64 v[10:11], v[54:55], -v[10:11]
	v_add_f64_e64 v[6:7], v[32:33], -v[6:7]
	s_delay_alu instid0(VALU_DEP_1) | instskip(NEXT) | instid1(VALU_DEP_1)
	v_add_f64_e32 v[6:7], v[10:11], v[6:7]
	v_add_f64_e32 v[6:7], v[52:53], v[6:7]
	s_delay_alu instid0(VALU_DEP_1) | instskip(NEXT) | instid1(VALU_DEP_1)
	v_mul_f64_e32 v[6:7], v[14:15], v[6:7]
	v_add_f64_e32 v[10:11], v[30:31], v[6:7]
	s_delay_alu instid0(VALU_DEP_1) | instskip(NEXT) | instid1(VALU_DEP_1)
	v_mul_f64_e32 v[14:15], v[10:11], v[10:11]
	v_fmamk_f64 v[32:33], v[14:15], 0x3fc3ab76bf559e2b, v[40:41]
	v_mul_f64_e32 v[52:53], v[10:11], v[14:15]
	s_delay_alu instid0(VALU_DEP_2) | instskip(NEXT) | instid1(VALU_DEP_1)
	v_fmaak_f64 v[32:33], v[14:15], v[32:33], 0x3fc7474dd7f4df2e
	v_fmaak_f64 v[32:33], v[14:15], v[32:33], 0x3fcc71c016291751
	s_delay_alu instid0(VALU_DEP_1) | instskip(NEXT) | instid1(VALU_DEP_1)
	v_fmaak_f64 v[32:33], v[14:15], v[32:33], 0x3fd249249b27acf1
	v_fmaak_f64 v[32:33], v[14:15], v[32:33], 0x3fd99999998ef7b6
	s_delay_alu instid0(VALU_DEP_1) | instskip(SKIP_2) | instid1(VALU_DEP_3)
	v_fmaak_f64 v[14:15], v[14:15], v[32:33], 0x3fe5555555555780
	v_ldexp_f64 v[32:33], v[10:11], 1
	v_add_f64_e64 v[10:11], v[10:11], -v[30:31]
	v_mul_f64_e32 v[14:15], v[52:53], v[14:15]
	v_cvt_f64_i32_e32 v[52:53], v4
	s_delay_alu instid0(VALU_DEP_3) | instskip(NEXT) | instid1(VALU_DEP_3)
	v_add_f64_e64 v[6:7], v[6:7], -v[10:11]
	v_add_f64_e32 v[30:31], v[32:33], v[14:15]
	s_delay_alu instid0(VALU_DEP_3) | instskip(NEXT) | instid1(VALU_DEP_3)
	v_mul_f64_e32 v[54:55], 0x3fe62e42fefa39ef, v[52:53]
	v_ldexp_f64 v[6:7], v[6:7], 1
	s_delay_alu instid0(VALU_DEP_3) | instskip(NEXT) | instid1(VALU_DEP_3)
	v_add_f64_e64 v[10:11], v[30:31], -v[32:33]
	v_fma_f64 v[32:33], v[52:53], s[34:35], -v[54:55]
	s_delay_alu instid0(VALU_DEP_2) | instskip(NEXT) | instid1(VALU_DEP_2)
	v_add_f64_e64 v[10:11], v[14:15], -v[10:11]
	v_fmac_f64_e32 v[32:33], 0x3c7abc9e3b39803f, v[52:53]
	s_delay_alu instid0(VALU_DEP_2) | instskip(NEXT) | instid1(VALU_DEP_2)
	v_add_f64_e32 v[6:7], v[6:7], v[10:11]
	v_add_f64_e32 v[10:11], v[54:55], v[32:33]
	s_delay_alu instid0(VALU_DEP_2) | instskip(NEXT) | instid1(VALU_DEP_2)
	v_add_f64_e32 v[14:15], v[30:31], v[6:7]
	v_add_f64_e64 v[54:55], v[10:11], -v[54:55]
	s_delay_alu instid0(VALU_DEP_2) | instskip(SKIP_1) | instid1(VALU_DEP_3)
	v_add_f64_e32 v[52:53], v[10:11], v[14:15]
	v_add_f64_e64 v[30:31], v[14:15], -v[30:31]
	v_add_f64_e64 v[32:33], v[32:33], -v[54:55]
	s_delay_alu instid0(VALU_DEP_3) | instskip(NEXT) | instid1(VALU_DEP_3)
	v_add_f64_e64 v[56:57], v[52:53], -v[10:11]
	v_add_f64_e64 v[6:7], v[6:7], -v[30:31]
	s_delay_alu instid0(VALU_DEP_2) | instskip(SKIP_1) | instid1(VALU_DEP_3)
	v_add_f64_e64 v[58:59], v[52:53], -v[56:57]
	v_add_f64_e64 v[14:15], v[14:15], -v[56:57]
	v_add_f64_e32 v[30:31], v[32:33], v[6:7]
	s_delay_alu instid0(VALU_DEP_3) | instskip(NEXT) | instid1(VALU_DEP_1)
	v_add_f64_e64 v[10:11], v[10:11], -v[58:59]
	v_add_f64_e32 v[10:11], v[14:15], v[10:11]
	s_delay_alu instid0(VALU_DEP_3) | instskip(NEXT) | instid1(VALU_DEP_2)
	v_add_f64_e64 v[14:15], v[30:31], -v[32:33]
	v_add_f64_e32 v[10:11], v[30:31], v[10:11]
	s_delay_alu instid0(VALU_DEP_2) | instskip(SKIP_1) | instid1(VALU_DEP_3)
	v_add_f64_e64 v[30:31], v[30:31], -v[14:15]
	v_add_f64_e64 v[6:7], v[6:7], -v[14:15]
	v_add_f64_e32 v[54:55], v[52:53], v[10:11]
	s_delay_alu instid0(VALU_DEP_3) | instskip(SKIP_1) | instid1(VALU_DEP_3)
	v_add_f64_e64 v[14:15], v[32:33], -v[30:31]
	v_mov_b64_e32 v[32:33], 0x7ff8000000000000
	v_add_f64_e64 v[30:31], v[54:55], -v[52:53]
	s_delay_alu instid0(VALU_DEP_3) | instskip(NEXT) | instid1(VALU_DEP_2)
	v_add_f64_e32 v[6:7], v[6:7], v[14:15]
	v_add_f64_e64 v[10:11], v[10:11], -v[30:31]
	s_delay_alu instid0(VALU_DEP_1) | instskip(NEXT) | instid1(VALU_DEP_1)
	v_add_f64_e32 v[6:7], v[6:7], v[10:11]
	v_add_f64_e32 v[6:7], v[54:55], v[6:7]
	s_delay_alu instid0(VALU_DEP_1) | instskip(SKIP_1) | instid1(VALU_DEP_2)
	v_dual_cndmask_b32 v4, v6, v2, vcc_lo :: v_dual_cndmask_b32 v6, v7, v3, vcc_lo
	v_cmp_ngt_f64_e32 vcc_lo, 0, v[2:3]
	v_cndmask_b32_e32 v6, 0x7ff80000, v6, vcc_lo
	v_cmp_nge_f64_e32 vcc_lo, 0, v[2:3]
	s_delay_alu instid0(VALU_DEP_4) | instskip(SKIP_1) | instid1(VALU_DEP_4)
	v_cndmask_b32_e32 v30, 0, v4, vcc_lo
	v_cmp_neq_f64_e32 vcc_lo, 0, v[2:3]
	v_cndmask_b32_e32 v31, 0xfff00000, v6, vcc_lo
	s_or_b32 exec_lo, exec_lo, s6
	s_and_saveexec_b32 s6, s2
	s_delay_alu instid0(SALU_CYCLE_1)
	s_xor_b32 s2, exec_lo, s6
	s_cbranch_execz .LBB173_117
.LBB173_152:                            ;   in Loop: Header=BB173_4 Depth=1
	v_bfi_b32 v21, 0x7fffffff, v21, v9
	global_store_b128 v[44:45], v[18:21], off
	s_wait_xcnt 0x0
	s_or_b32 exec_lo, exec_lo, s2
	s_and_saveexec_b32 s2, s3
	s_cbranch_execz .LBB173_118
.LBB173_153:                            ;   in Loop: Header=BB173_4 Depth=1
	v_bfi_b32 v25, 0x7fffffff, v25, v5
	global_store_b128 v[46:47], v[22:25], off
	s_wait_xcnt 0x0
	s_or_b32 exec_lo, exec_lo, s2
	s_and_saveexec_b32 s2, s4
	s_cbranch_execz .LBB173_119
.LBB173_154:                            ;   in Loop: Header=BB173_4 Depth=1
	v_bfi_b32 v29, 0x7fffffff, v29, v17
	global_store_b128 v[48:49], v[26:29], off
	s_wait_xcnt 0x0
	s_or_b32 exec_lo, exec_lo, s2
	s_and_saveexec_b32 s2, s5
	s_cbranch_execz .LBB173_3
.LBB173_155:                            ;   in Loop: Header=BB173_4 Depth=1
	v_bfi_b32 v33, 0x7fffffff, v33, v13
	global_store_b128 v[50:51], v[30:33], off
	s_branch .LBB173_3
.LBB173_156:
	s_cbranch_execz .LBB173_158
	s_branch .LBB173_297
.LBB173_157:
.LBB173_158:
	v_min_i64 v[34:35], 0x10000, s[20:21]
	v_dual_mov_b32 v36, 0 :: v_dual_lshlrev_b32 v2, 2, v0
	s_mov_b32 s2, exec_lo
	s_delay_alu instid0(VALU_DEP_1) | instskip(NEXT) | instid1(VALU_DEP_1)
	v_mov_b32_e32 v3, v36
	v_cmpx_lt_i64_e64 v[2:3], v[34:35]
	s_cbranch_execz .LBB173_297
; %bb.159:
	s_load_b32 s0, s[0:1], 0xd3c
	v_mov_b64_e32 v[38:39], 0x3fc385386b47b09a
	v_mov_b64_e32 v[40:41], 0xbf23e260bd3237f4
	v_dual_mov_b32 v1, v36 :: v_dual_mov_b32 v60, 0x7f3321d2
	v_mov_b32_e32 v61, 0x4002d97c
	s_mov_b32 s37, 0
	s_mov_b64 s[12:13], 0x7fd1ccf385ebc8a0
	s_mov_b64 s[14:15], 0x358dee7a4ad4b81f
	;; [unrolled: 1-line block ×10, first 2 shown]
	s_mov_b32 s11, s37
                                        ; implicit-def: $vgpr2_vgpr3
                                        ; implicit-def: $vgpr2_vgpr3
	;; [unrolled: 1-line block ×23, first 2 shown]
	s_wait_kmcnt 0x0
	s_and_b32 s36, s0, 0xffff
	s_branch .LBB173_162
.LBB173_160:                            ;   in Loop: Header=BB173_162 Depth=1
	s_or_b32 exec_lo, exec_lo, s1
	s_delay_alu instid0(VALU_DEP_1) | instskip(NEXT) | instid1(VALU_DEP_1)
	v_frexp_mant_f64_e32 v[2:3], v[6:7]
	v_cmp_gt_f64_e32 vcc_lo, s[20:21], v[2:3]
	v_cndmask_b32_e64 v4, 0, 1, vcc_lo
	s_delay_alu instid0(VALU_DEP_1) | instskip(SKIP_1) | instid1(VALU_DEP_2)
	v_ldexp_f64 v[2:3], v[2:3], v4
	v_frexp_exp_i32_f64_e32 v4, v[6:7]
	v_add_f64_e32 v[10:11], 1.0, v[2:3]
	v_add_f64_e32 v[32:33], -1.0, v[2:3]
	s_delay_alu instid0(VALU_DEP_3) | instskip(SKIP_1) | instid1(VALU_DEP_4)
	v_subrev_co_ci_u32_e64 v4, null, 0, v4, vcc_lo
	v_cmp_class_f64_e64 vcc_lo, v[6:7], 0x204
	v_rcp_f64_e32 v[14:15], v[10:11]
	v_add_f64_e32 v[44:45], -1.0, v[10:11]
	s_delay_alu instid0(VALU_DEP_1) | instskip(NEXT) | instid1(TRANS32_DEP_1)
	v_add_f64_e64 v[2:3], v[2:3], -v[44:45]
	v_fma_f64 v[30:31], -v[10:11], v[14:15], 1.0
	s_delay_alu instid0(VALU_DEP_1) | instskip(NEXT) | instid1(VALU_DEP_1)
	v_fmac_f64_e32 v[14:15], v[30:31], v[14:15]
	v_fma_f64 v[30:31], -v[10:11], v[14:15], 1.0
	s_delay_alu instid0(VALU_DEP_1) | instskip(NEXT) | instid1(VALU_DEP_1)
	v_fmac_f64_e32 v[14:15], v[30:31], v[14:15]
	v_mul_f64_e32 v[30:31], v[32:33], v[14:15]
	s_delay_alu instid0(VALU_DEP_1) | instskip(NEXT) | instid1(VALU_DEP_1)
	v_mul_f64_e32 v[46:47], v[10:11], v[30:31]
	v_fma_f64 v[10:11], v[30:31], v[10:11], -v[46:47]
	s_delay_alu instid0(VALU_DEP_1) | instskip(NEXT) | instid1(VALU_DEP_1)
	v_fmac_f64_e32 v[10:11], v[30:31], v[2:3]
	v_add_f64_e32 v[2:3], v[46:47], v[10:11]
	s_delay_alu instid0(VALU_DEP_1) | instskip(SKIP_1) | instid1(VALU_DEP_2)
	v_add_f64_e64 v[44:45], v[32:33], -v[2:3]
	v_add_f64_e64 v[46:47], v[2:3], -v[46:47]
	v_add_f64_e64 v[32:33], v[32:33], -v[44:45]
	s_delay_alu instid0(VALU_DEP_2) | instskip(NEXT) | instid1(VALU_DEP_2)
	v_add_f64_e64 v[10:11], v[46:47], -v[10:11]
	v_add_f64_e64 v[2:3], v[32:33], -v[2:3]
	s_delay_alu instid0(VALU_DEP_1) | instskip(NEXT) | instid1(VALU_DEP_1)
	v_add_f64_e32 v[2:3], v[10:11], v[2:3]
	v_add_f64_e32 v[2:3], v[44:45], v[2:3]
	s_delay_alu instid0(VALU_DEP_1) | instskip(NEXT) | instid1(VALU_DEP_1)
	v_mul_f64_e32 v[2:3], v[14:15], v[2:3]
	v_add_f64_e32 v[10:11], v[30:31], v[2:3]
	s_delay_alu instid0(VALU_DEP_1) | instskip(NEXT) | instid1(VALU_DEP_1)
	v_mul_f64_e32 v[14:15], v[10:11], v[10:11]
	v_fmamk_f64 v[32:33], v[14:15], 0x3fc3ab76bf559e2b, v[38:39]
	v_mul_f64_e32 v[44:45], v[10:11], v[14:15]
	s_delay_alu instid0(VALU_DEP_2) | instskip(NEXT) | instid1(VALU_DEP_1)
	v_fmaak_f64 v[32:33], v[14:15], v[32:33], 0x3fc7474dd7f4df2e
	v_fmaak_f64 v[32:33], v[14:15], v[32:33], 0x3fcc71c016291751
	s_delay_alu instid0(VALU_DEP_1) | instskip(NEXT) | instid1(VALU_DEP_1)
	v_fmaak_f64 v[32:33], v[14:15], v[32:33], 0x3fd249249b27acf1
	v_fmaak_f64 v[32:33], v[14:15], v[32:33], 0x3fd99999998ef7b6
	s_delay_alu instid0(VALU_DEP_1) | instskip(SKIP_2) | instid1(VALU_DEP_3)
	v_fmaak_f64 v[14:15], v[14:15], v[32:33], 0x3fe5555555555780
	v_ldexp_f64 v[32:33], v[10:11], 1
	v_add_f64_e64 v[10:11], v[10:11], -v[30:31]
	v_mul_f64_e32 v[14:15], v[44:45], v[14:15]
	v_cvt_f64_i32_e32 v[44:45], v4
	s_delay_alu instid0(VALU_DEP_3) | instskip(NEXT) | instid1(VALU_DEP_3)
	v_add_f64_e64 v[2:3], v[2:3], -v[10:11]
	v_add_f64_e32 v[30:31], v[32:33], v[14:15]
	s_delay_alu instid0(VALU_DEP_3) | instskip(NEXT) | instid1(VALU_DEP_3)
	v_mul_f64_e32 v[46:47], 0x3fe62e42fefa39ef, v[44:45]
	v_ldexp_f64 v[2:3], v[2:3], 1
	s_delay_alu instid0(VALU_DEP_3) | instskip(NEXT) | instid1(VALU_DEP_3)
	v_add_f64_e64 v[10:11], v[30:31], -v[32:33]
	v_fma_f64 v[32:33], v[44:45], s[22:23], -v[46:47]
	s_delay_alu instid0(VALU_DEP_2) | instskip(NEXT) | instid1(VALU_DEP_2)
	v_add_f64_e64 v[10:11], v[14:15], -v[10:11]
	v_fmac_f64_e32 v[32:33], 0x3c7abc9e3b39803f, v[44:45]
	s_delay_alu instid0(VALU_DEP_2) | instskip(NEXT) | instid1(VALU_DEP_2)
	v_add_f64_e32 v[2:3], v[2:3], v[10:11]
	v_add_f64_e32 v[10:11], v[46:47], v[32:33]
	s_delay_alu instid0(VALU_DEP_2) | instskip(NEXT) | instid1(VALU_DEP_2)
	v_add_f64_e32 v[14:15], v[30:31], v[2:3]
	v_add_f64_e64 v[46:47], v[10:11], -v[46:47]
	s_delay_alu instid0(VALU_DEP_2) | instskip(SKIP_1) | instid1(VALU_DEP_3)
	v_add_f64_e32 v[44:45], v[10:11], v[14:15]
	v_add_f64_e64 v[30:31], v[14:15], -v[30:31]
	v_add_f64_e64 v[32:33], v[32:33], -v[46:47]
	s_delay_alu instid0(VALU_DEP_3) | instskip(NEXT) | instid1(VALU_DEP_3)
	v_add_f64_e64 v[48:49], v[44:45], -v[10:11]
	v_add_f64_e64 v[2:3], v[2:3], -v[30:31]
	s_delay_alu instid0(VALU_DEP_2) | instskip(SKIP_1) | instid1(VALU_DEP_3)
	v_add_f64_e64 v[50:51], v[44:45], -v[48:49]
	v_add_f64_e64 v[14:15], v[14:15], -v[48:49]
	v_add_f64_e32 v[30:31], v[32:33], v[2:3]
	s_delay_alu instid0(VALU_DEP_3) | instskip(NEXT) | instid1(VALU_DEP_1)
	v_add_f64_e64 v[10:11], v[10:11], -v[50:51]
	v_add_f64_e32 v[10:11], v[14:15], v[10:11]
	s_delay_alu instid0(VALU_DEP_3) | instskip(NEXT) | instid1(VALU_DEP_2)
	v_add_f64_e64 v[14:15], v[30:31], -v[32:33]
	v_add_f64_e32 v[10:11], v[30:31], v[10:11]
	s_delay_alu instid0(VALU_DEP_2) | instskip(SKIP_1) | instid1(VALU_DEP_3)
	v_add_f64_e64 v[30:31], v[30:31], -v[14:15]
	v_add_f64_e64 v[2:3], v[2:3], -v[14:15]
	v_add_f64_e32 v[46:47], v[44:45], v[10:11]
	s_delay_alu instid0(VALU_DEP_3) | instskip(SKIP_1) | instid1(VALU_DEP_3)
	v_add_f64_e64 v[14:15], v[32:33], -v[30:31]
	v_mov_b64_e32 v[32:33], 0x7ff8000000000000
	v_add_f64_e64 v[30:31], v[46:47], -v[44:45]
	s_delay_alu instid0(VALU_DEP_3) | instskip(NEXT) | instid1(VALU_DEP_2)
	v_add_f64_e32 v[2:3], v[2:3], v[14:15]
	v_add_f64_e64 v[10:11], v[10:11], -v[30:31]
	s_delay_alu instid0(VALU_DEP_1) | instskip(NEXT) | instid1(VALU_DEP_1)
	v_add_f64_e32 v[2:3], v[2:3], v[10:11]
	v_add_f64_e32 v[2:3], v[46:47], v[2:3]
	s_delay_alu instid0(VALU_DEP_1) | instskip(SKIP_1) | instid1(VALU_DEP_2)
	v_dual_cndmask_b32 v2, v2, v6 :: v_dual_cndmask_b32 v3, v3, v7
	v_cmp_ngt_f64_e32 vcc_lo, 0, v[6:7]
	v_cndmask_b32_e32 v3, 0x7ff80000, v3, vcc_lo
	v_cmp_nge_f64_e32 vcc_lo, 0, v[6:7]
	s_delay_alu instid0(VALU_DEP_4) | instskip(SKIP_1) | instid1(VALU_DEP_4)
	v_cndmask_b32_e32 v30, 0, v2, vcc_lo
	v_cmp_neq_f64_e32 vcc_lo, 0, v[6:7]
	v_cndmask_b32_e32 v31, 0xfff00000, v3, vcc_lo
.LBB173_161:                            ;   in Loop: Header=BB173_162 Depth=1
	s_or_b32 exec_lo, exec_lo, s0
	v_add_nc_u64_e32 v[0:1], s[36:37], v[0:1]
	v_bfi_b32 v21, 0x7fffffff, v21, v17
	v_bfi_b32 v29, 0x7fffffff, v29, v13
	;; [unrolled: 1-line block ×4, first 2 shown]
	s_clause 0x1
	global_store_b128 v[42:43], v[18:21], off
	global_store_b128 v[42:43], v[22:25], off offset:16
	v_lshlrev_b64_e32 v[2:3], 2, v[0:1]
	s_clause 0x1
	global_store_b128 v[42:43], v[26:29], off offset:32
	global_store_b128 v[42:43], v[30:33], off offset:48
	v_cmp_ge_i64_e32 vcc_lo, v[2:3], v[34:35]
	s_or_b32 s11, vcc_lo, s11
	s_wait_xcnt 0x0
	s_and_not1_b32 exec_lo, exec_lo, s11
	s_cbranch_execz .LBB173_297
.LBB173_162:                            ; =>This Loop Header: Depth=1
                                        ;     Child Loop BB173_173 Depth 2
                                        ;     Child Loop BB173_207 Depth 2
	;; [unrolled: 1-line block ×4, first 2 shown]
	v_lshlrev_b64_e32 v[2:3], 6, v[0:1]
                                        ; implicit-def: $vgpr18_vgpr19
	s_mov_b32 s0, exec_lo
	s_delay_alu instid0(VALU_DEP_1)
	v_add_nc_u64_e32 v[42:43], s[18:19], v[2:3]
	s_clause 0x3
	global_load_b128 v[14:17], v[42:43], off
	global_load_b128 v[6:9], v[42:43], off offset:16
	global_load_b128 v[2:5], v[42:43], off offset:48
	;; [unrolled: 1-line block ×3, first 2 shown]
	s_wait_loadcnt 0x3
	s_wait_xcnt 0x0
	v_cmpx_o_f64_e32 v[14:15], v[16:17]
	s_xor_b32 s33, exec_lo, s0
	s_cbranch_execz .LBB173_190
; %bb.163:                              ;   in Loop: Header=BB173_162 Depth=1
	v_cmp_lt_f64_e64 s0, |v[14:15]|, |v[16:17]|
	v_and_b32_e32 v22, 0x7fffffff, v15
	v_and_b32_e32 v21, 0x7fffffff, v17
                                        ; implicit-def: $vgpr18_vgpr19
	s_mov_b32 s1, exec_lo
	s_delay_alu instid0(VALU_DEP_1) | instskip(SKIP_1) | instid1(VALU_DEP_1)
	v_dual_mov_b32 v20, v16 :: v_dual_cndmask_b32 v25, v21, v22, s0
	v_cndmask_b32_e64 v24, v16, v14, s0
	v_cmpx_nlt_f64_e32 s[12:13], v[24:25]
	s_xor_b32 s38, exec_lo, s1
	s_cbranch_execz .LBB173_187
; %bb.164:                              ;   in Loop: Header=BB173_162 Depth=1
	v_cndmask_b32_e64 v23, v22, v21, s0
	v_cndmask_b32_e64 v22, v14, v20, s0
                                        ; implicit-def: $vgpr18_vgpr19
	s_mov_b32 s1, exec_lo
	s_delay_alu instid0(VALU_DEP_1)
	v_cmpx_neq_f64_e32 1.0, v[22:23]
	s_xor_b32 s39, exec_lo, s1
	s_cbranch_execz .LBB173_180
; %bb.165:                              ;   in Loop: Header=BB173_162 Depth=1
	v_max_num_f64_e32 v[18:19], v[24:25], v[24:25]
	v_max_num_f64_e32 v[20:21], v[22:23], v[22:23]
	s_delay_alu instid0(VALU_DEP_1) | instskip(SKIP_1) | instid1(VALU_DEP_2)
	v_min_num_f64_e32 v[26:27], v[20:21], v[18:19]
	v_max_num_f64_e32 v[18:19], v[20:21], v[18:19]
	v_cmp_ngt_f64_e32 vcc_lo, s[14:15], v[26:27]
	s_delay_alu instid0(VALU_DEP_2) | instskip(SKIP_1) | instid1(SALU_CYCLE_1)
	v_cmp_nlt_f64_e64 s1, s[16:17], v[18:19]
                                        ; implicit-def: $vgpr18_vgpr19
	s_and_b32 s1, s1, vcc_lo
	s_and_saveexec_b32 s2, s1
	s_delay_alu instid0(SALU_CYCLE_1)
	s_xor_b32 s40, exec_lo, s2
	s_cbranch_execz .LBB173_177
; %bb.166:                              ;   in Loop: Header=BB173_162 Depth=1
                                        ; implicit-def: $vgpr18_vgpr19
	s_mov_b32 s1, exec_lo
	v_cmpx_le_f64_e32 1.0, v[22:23]
	s_xor_b32 s4, exec_lo, s1
	s_cbranch_execz .LBB173_168
; %bb.167:                              ;   in Loop: Header=BB173_162 Depth=1
	v_add_f64_e32 v[18:19], -1.0, v[22:23]
	v_add_f64_e32 v[20:21], 1.0, v[22:23]
	v_cmp_eq_f64_e64 s1, 0, v[16:17]
	v_cmp_class_f64_e64 s6, v[14:15], 0x204
	v_cmp_class_f64_e64 s5, v[16:17], 0x204
	s_delay_alu instid0(VALU_DEP_4) | instskip(NEXT) | instid1(VALU_DEP_1)
	v_mul_f64_e32 v[22:23], v[18:19], v[20:21]
	v_fmac_f64_e32 v[22:23], v[24:25], v[24:25]
	s_delay_alu instid0(VALU_DEP_1) | instskip(SKIP_2) | instid1(VALU_DEP_3)
	v_add_f64_e32 v[18:19], 1.0, v[22:23]
	v_cmp_nge_f64_e64 s2, -1.0, v[22:23]
	v_cmp_neq_f64_e64 s3, 0x7ff00000, v[22:23]
	v_frexp_mant_f64_e32 v[20:21], v[18:19]
	v_frexp_exp_i32_f64_e32 v26, v[18:19]
	v_add_f64_e32 v[24:25], -1.0, v[18:19]
	s_delay_alu instid0(VALU_DEP_3) | instskip(NEXT) | instid1(VALU_DEP_2)
	v_cmp_gt_f64_e32 vcc_lo, s[20:21], v[20:21]
	v_add_f64_e64 v[20:21], v[24:25], -v[18:19]
	v_add_f64_e64 v[24:25], v[22:23], -v[24:25]
	v_subrev_co_ci_u32_e64 v37, null, 0, v26, vcc_lo
	s_delay_alu instid0(VALU_DEP_3) | instskip(NEXT) | instid1(VALU_DEP_2)
	v_add_f64_e32 v[20:21], 1.0, v[20:21]
	v_sub_nc_u32_e32 v28, 0, v37
	s_delay_alu instid0(VALU_DEP_1) | instskip(NEXT) | instid1(VALU_DEP_3)
	v_ldexp_f64 v[18:19], v[18:19], v28
	v_add_f64_e32 v[20:21], v[24:25], v[20:21]
	s_delay_alu instid0(VALU_DEP_2) | instskip(SKIP_1) | instid1(VALU_DEP_3)
	v_add_f64_e32 v[26:27], 1.0, v[18:19]
	v_add_f64_e32 v[32:33], -1.0, v[18:19]
	v_ldexp_f64 v[20:21], v[20:21], v28
	s_delay_alu instid0(VALU_DEP_3) | instskip(NEXT) | instid1(VALU_DEP_3)
	v_add_f64_e32 v[24:25], -1.0, v[26:27]
	v_add_f64_e32 v[44:45], 1.0, v[32:33]
	s_delay_alu instid0(VALU_DEP_2) | instskip(NEXT) | instid1(VALU_DEP_2)
	v_add_f64_e64 v[24:25], v[18:19], -v[24:25]
	v_add_f64_e64 v[18:19], v[18:19], -v[44:45]
	s_delay_alu instid0(VALU_DEP_2) | instskip(NEXT) | instid1(VALU_DEP_2)
	v_add_f64_e32 v[24:25], v[20:21], v[24:25]
	v_add_f64_e32 v[18:19], v[20:21], v[18:19]
	s_delay_alu instid0(VALU_DEP_2) | instskip(NEXT) | instid1(VALU_DEP_2)
	v_add_f64_e32 v[28:29], v[26:27], v[24:25]
	v_add_f64_e32 v[44:45], v[32:33], v[18:19]
	s_delay_alu instid0(VALU_DEP_2) | instskip(SKIP_1) | instid1(VALU_DEP_2)
	v_rcp_f64_e32 v[30:31], v[28:29]
	v_add_f64_e64 v[26:27], v[28:29], -v[26:27]
	v_add_f64_e64 v[32:33], v[44:45], -v[32:33]
	s_delay_alu instid0(VALU_DEP_2) | instskip(NEXT) | instid1(VALU_DEP_2)
	v_add_f64_e64 v[24:25], v[24:25], -v[26:27]
	v_add_f64_e64 v[18:19], v[18:19], -v[32:33]
	s_delay_alu instid0(TRANS32_DEP_1) | instskip(NEXT) | instid1(VALU_DEP_1)
	v_fma_f64 v[46:47], -v[28:29], v[30:31], 1.0
	v_fmac_f64_e32 v[30:31], v[46:47], v[30:31]
	s_delay_alu instid0(VALU_DEP_1) | instskip(NEXT) | instid1(VALU_DEP_1)
	v_fma_f64 v[20:21], -v[28:29], v[30:31], 1.0
	v_fmac_f64_e32 v[30:31], v[20:21], v[30:31]
	s_delay_alu instid0(VALU_DEP_1) | instskip(NEXT) | instid1(VALU_DEP_1)
	v_mul_f64_e32 v[20:21], v[44:45], v[30:31]
	v_mul_f64_e32 v[46:47], v[28:29], v[20:21]
	s_delay_alu instid0(VALU_DEP_1) | instskip(NEXT) | instid1(VALU_DEP_1)
	v_fma_f64 v[26:27], v[20:21], v[28:29], -v[46:47]
	v_fmac_f64_e32 v[26:27], v[20:21], v[24:25]
	s_delay_alu instid0(VALU_DEP_1) | instskip(NEXT) | instid1(VALU_DEP_1)
	v_add_f64_e32 v[48:49], v[46:47], v[26:27]
	v_add_f64_e64 v[50:51], v[44:45], -v[48:49]
	v_add_f64_e64 v[32:33], v[48:49], -v[46:47]
	s_delay_alu instid0(VALU_DEP_2) | instskip(NEXT) | instid1(VALU_DEP_2)
	v_add_f64_e64 v[44:45], v[44:45], -v[50:51]
	v_add_f64_e64 v[26:27], v[32:33], -v[26:27]
	s_delay_alu instid0(VALU_DEP_2) | instskip(NEXT) | instid1(VALU_DEP_1)
	v_add_f64_e64 v[44:45], v[44:45], -v[48:49]
	v_add_f64_e32 v[18:19], v[18:19], v[44:45]
	s_delay_alu instid0(VALU_DEP_1) | instskip(NEXT) | instid1(VALU_DEP_1)
	v_add_f64_e32 v[18:19], v[26:27], v[18:19]
	v_add_f64_e32 v[26:27], v[50:51], v[18:19]
	s_delay_alu instid0(VALU_DEP_1) | instskip(SKIP_1) | instid1(VALU_DEP_2)
	v_mul_f64_e32 v[32:33], v[30:31], v[26:27]
	v_add_f64_e64 v[48:49], v[50:51], -v[26:27]
	v_mul_f64_e32 v[44:45], v[28:29], v[32:33]
	s_delay_alu instid0(VALU_DEP_2) | instskip(NEXT) | instid1(VALU_DEP_2)
	v_add_f64_e32 v[18:19], v[18:19], v[48:49]
	v_fma_f64 v[28:29], v[32:33], v[28:29], -v[44:45]
	s_delay_alu instid0(VALU_DEP_1) | instskip(NEXT) | instid1(VALU_DEP_1)
	v_fmac_f64_e32 v[28:29], v[32:33], v[24:25]
	v_add_f64_e32 v[24:25], v[44:45], v[28:29]
	s_delay_alu instid0(VALU_DEP_1) | instskip(SKIP_1) | instid1(VALU_DEP_2)
	v_add_f64_e64 v[46:47], v[26:27], -v[24:25]
	v_add_f64_e64 v[44:45], v[24:25], -v[44:45]
	;; [unrolled: 1-line block ×3, first 2 shown]
	s_delay_alu instid0(VALU_DEP_1) | instskip(NEXT) | instid1(VALU_DEP_3)
	v_add_f64_e64 v[24:25], v[26:27], -v[24:25]
	v_add_f64_e64 v[26:27], v[44:45], -v[28:29]
	v_max_num_f64_e64 v[28:29], |v[14:15]|, |v[14:15]|
	s_delay_alu instid0(VALU_DEP_3) | instskip(SKIP_1) | instid1(VALU_DEP_2)
	v_add_f64_e32 v[18:19], v[18:19], v[24:25]
	v_add_f64_e32 v[24:25], v[20:21], v[32:33]
	;; [unrolled: 1-line block ×3, first 2 shown]
	s_delay_alu instid0(VALU_DEP_2) | instskip(SKIP_1) | instid1(VALU_DEP_3)
	v_add_f64_e64 v[20:21], v[24:25], -v[20:21]
	v_max_num_f64_e64 v[26:27], |v[16:17]|, |v[16:17]|
	v_add_f64_e32 v[18:19], v[46:47], v[18:19]
	s_delay_alu instid0(VALU_DEP_3) | instskip(NEXT) | instid1(VALU_DEP_2)
	v_add_f64_e64 v[20:21], v[32:33], -v[20:21]
	v_mul_f64_e32 v[18:19], v[30:31], v[18:19]
	s_delay_alu instid0(VALU_DEP_1) | instskip(SKIP_2) | instid1(VALU_DEP_3)
	v_add_f64_e32 v[18:19], v[20:21], v[18:19]
	v_max_num_f64_e32 v[20:21], v[28:29], v[26:27]
	v_min_num_f64_e32 v[26:27], v[28:29], v[26:27]
	v_add_f64_e32 v[28:29], v[24:25], v[18:19]
	s_delay_alu instid0(VALU_DEP_2) | instskip(NEXT) | instid1(VALU_DEP_2)
	v_div_scale_f64 v[30:31], null, v[20:21], v[20:21], v[26:27]
	v_mul_f64_e32 v[32:33], v[28:29], v[28:29]
	v_add_f64_e64 v[24:25], v[28:29], -v[24:25]
	s_delay_alu instid0(VALU_DEP_3) | instskip(NEXT) | instid1(VALU_DEP_2)
	v_rcp_f64_e32 v[44:45], v[30:31]
	v_fmamk_f64 v[46:47], v[32:33], 0x3fc3ab76bf559e2b, v[38:39]
	v_mul_f64_e32 v[48:49], v[28:29], v[32:33]
	s_delay_alu instid0(VALU_DEP_3) | instskip(NEXT) | instid1(VALU_DEP_3)
	v_add_f64_e64 v[18:19], v[18:19], -v[24:25]
	v_fmaak_f64 v[46:47], v[32:33], v[46:47], 0x3fc7474dd7f4df2e
	s_delay_alu instid0(TRANS32_DEP_1) | instskip(NEXT) | instid1(VALU_DEP_2)
	v_fma_f64 v[50:51], -v[30:31], v[44:45], 1.0
	v_fmaak_f64 v[46:47], v[32:33], v[46:47], 0x3fcc71c016291751
	s_delay_alu instid0(VALU_DEP_1) | instskip(NEXT) | instid1(VALU_DEP_1)
	v_fmaak_f64 v[46:47], v[32:33], v[46:47], 0x3fd249249b27acf1
	v_fmaak_f64 v[46:47], v[32:33], v[46:47], 0x3fd99999998ef7b6
	v_ldexp_f64 v[18:19], v[18:19], 1
	s_delay_alu instid0(VALU_DEP_2) | instskip(SKIP_2) | instid1(VALU_DEP_3)
	v_fmaak_f64 v[32:33], v[32:33], v[46:47], 0x3fe5555555555780
	v_ldexp_f64 v[46:47], v[28:29], 1
	v_fmac_f64_e32 v[44:45], v[44:45], v[50:51]
	v_mul_f64_e32 v[32:33], v[48:49], v[32:33]
	v_cvt_f64_i32_e32 v[48:49], v37
	s_delay_alu instid0(VALU_DEP_3) | instskip(NEXT) | instid1(VALU_DEP_3)
	v_fma_f64 v[50:51], -v[30:31], v[44:45], 1.0
	v_add_f64_e32 v[28:29], v[46:47], v[32:33]
	s_delay_alu instid0(VALU_DEP_3) | instskip(NEXT) | instid1(VALU_DEP_3)
	v_mul_f64_e32 v[52:53], 0x3fe62e42fefa39ef, v[48:49]
	v_fmac_f64_e32 v[44:45], v[44:45], v[50:51]
	s_delay_alu instid0(VALU_DEP_3) | instskip(SKIP_1) | instid1(VALU_DEP_4)
	v_add_f64_e64 v[24:25], v[28:29], -v[46:47]
	v_div_scale_f64 v[46:47], vcc_lo, v[26:27], v[20:21], v[26:27]
	v_fma_f64 v[50:51], v[48:49], s[22:23], -v[52:53]
	s_delay_alu instid0(VALU_DEP_3) | instskip(NEXT) | instid1(VALU_DEP_3)
	v_add_f64_e64 v[24:25], v[32:33], -v[24:25]
	v_mul_f64_e32 v[32:33], v[46:47], v[44:45]
	s_delay_alu instid0(VALU_DEP_3) | instskip(NEXT) | instid1(VALU_DEP_3)
	v_fmac_f64_e32 v[50:51], 0x3c7abc9e3b39803f, v[48:49]
	v_add_f64_e32 v[18:19], v[18:19], v[24:25]
	s_delay_alu instid0(VALU_DEP_3) | instskip(NEXT) | instid1(VALU_DEP_3)
	v_fma_f64 v[24:25], -v[30:31], v[32:33], v[46:47]
	v_add_f64_e32 v[30:31], v[52:53], v[50:51]
	s_delay_alu instid0(VALU_DEP_3) | instskip(NEXT) | instid1(VALU_DEP_3)
	v_add_f64_e32 v[46:47], v[28:29], v[18:19]
	v_div_fmas_f64 v[24:25], v[24:25], v[44:45], v[32:33]
	v_cmp_gt_i32_e32 vcc_lo, 0, v15
	s_delay_alu instid0(VALU_DEP_4) | instskip(SKIP_1) | instid1(VALU_DEP_1)
	v_add_f64_e64 v[44:45], v[30:31], -v[52:53]
	v_cndmask_b32_e32 v14, 0x3fe921fb, v61, vcc_lo
	v_bfi_b32 v14, 0x7fffffff, v14, v17
	v_add_f64_e32 v[32:33], v[30:31], v[46:47]
	v_div_fixup_f64 v[20:21], v[24:25], v[20:21], v[26:27]
	v_add_f64_e64 v[28:29], v[46:47], -v[28:29]
	v_add_f64_e64 v[44:45], v[50:51], -v[44:45]
	s_delay_alu instid0(VALU_DEP_4) | instskip(NEXT) | instid1(VALU_DEP_4)
	v_add_f64_e64 v[24:25], v[32:33], -v[30:31]
	v_mul_f64_e32 v[26:27], v[20:21], v[20:21]
	s_delay_alu instid0(VALU_DEP_4) | instskip(NEXT) | instid1(VALU_DEP_3)
	v_add_f64_e64 v[18:19], v[18:19], -v[28:29]
	v_add_f64_e64 v[48:49], v[32:33], -v[24:25]
	s_delay_alu instid0(VALU_DEP_3) | instskip(SKIP_1) | instid1(VALU_DEP_4)
	v_fmamk_f64 v[52:53], v[26:27], 0x3eeba404b5e68a13, v[40:41]
	v_add_f64_e64 v[24:25], v[46:47], -v[24:25]
	v_add_f64_e32 v[46:47], v[44:45], v[18:19]
	s_delay_alu instid0(VALU_DEP_3) | instskip(SKIP_1) | instid1(VALU_DEP_2)
	v_fmaak_f64 v[52:53], v[26:27], v[52:53], 0x3f4b2bb069efb384
	v_add_f64_e64 v[28:29], v[30:31], -v[48:49]
	v_fmaak_f64 v[30:31], v[26:27], v[52:53], 0xbf67952daf56de9b
	s_delay_alu instid0(VALU_DEP_1) | instskip(NEXT) | instid1(VALU_DEP_1)
	v_fmaak_f64 v[30:31], v[26:27], v[30:31], 0x3f7d6d43a595c56f
	v_fmaak_f64 v[30:31], v[26:27], v[30:31], 0xbf8c6ea4a57d9582
	s_delay_alu instid0(VALU_DEP_1) | instskip(NEXT) | instid1(VALU_DEP_1)
	v_fmaak_f64 v[30:31], v[26:27], v[30:31], 0x3f967e295f08b19f
	v_fmaak_f64 v[30:31], v[26:27], v[30:31], 0xbf9e9ae6fc27006a
	v_add_f64_e32 v[24:25], v[24:25], v[28:29]
	s_delay_alu instid0(VALU_DEP_2) | instskip(SKIP_1) | instid1(VALU_DEP_2)
	v_fmaak_f64 v[28:29], v[26:27], v[30:31], 0x3fa2c15b5711927a
	v_add_f64_e64 v[30:31], v[46:47], -v[44:45]
	v_fmaak_f64 v[28:29], v[26:27], v[28:29], 0xbfa59976e82d3ff0
	s_delay_alu instid0(VALU_DEP_1) | instskip(NEXT) | instid1(VALU_DEP_1)
	v_fmaak_f64 v[28:29], v[26:27], v[28:29], 0x3fa82d5d6ef28734
	v_fmaak_f64 v[28:29], v[26:27], v[28:29], 0xbfaae5ce6a214619
	s_delay_alu instid0(VALU_DEP_1) | instskip(SKIP_3) | instid1(VALU_DEP_4)
	v_fmaak_f64 v[28:29], v[26:27], v[28:29], 0x3fae1bb48427b883
	v_add_f64_e32 v[24:25], v[46:47], v[24:25]
	v_add_f64_e64 v[46:47], v[46:47], -v[30:31]
	v_add_f64_e64 v[18:19], v[18:19], -v[30:31]
	v_fmaak_f64 v[28:29], v[26:27], v[28:29], 0xbfb110e48b207f05
	s_delay_alu instid0(VALU_DEP_1) | instskip(NEXT) | instid1(VALU_DEP_1)
	v_fmaak_f64 v[28:29], v[26:27], v[28:29], 0x3fb3b13657b87036
	v_fmaak_f64 v[28:29], v[26:27], v[28:29], 0xbfb745d119378e4f
	s_delay_alu instid0(VALU_DEP_1) | instskip(SKIP_1) | instid1(VALU_DEP_2)
	v_fmaak_f64 v[28:29], v[26:27], v[28:29], 0x3fbc71c717e1913c
	v_add_f64_e32 v[48:49], v[32:33], v[24:25]
	v_fmaak_f64 v[28:29], v[26:27], v[28:29], 0xbfc2492492376b7d
	s_delay_alu instid0(VALU_DEP_1) | instskip(NEXT) | instid1(VALU_DEP_1)
	v_fmaak_f64 v[28:29], v[26:27], v[28:29], 0x3fc99999999952cc
	v_fmaak_f64 v[28:29], v[26:27], v[28:29], 0xbfd5555555555523
	s_delay_alu instid0(VALU_DEP_1) | instskip(SKIP_2) | instid1(VALU_DEP_3)
	v_mul_f64_e32 v[26:27], v[26:27], v[28:29]
	v_add_f64_e64 v[28:29], v[44:45], -v[46:47]
	v_add_f64_e64 v[30:31], v[48:49], -v[32:33]
	v_fmac_f64_e32 v[20:21], v[20:21], v[26:27]
	s_delay_alu instid0(VALU_DEP_3) | instskip(NEXT) | instid1(VALU_DEP_3)
	v_add_f64_e32 v[18:19], v[18:19], v[28:29]
	v_add_f64_e64 v[24:25], v[24:25], -v[30:31]
	s_delay_alu instid0(VALU_DEP_3) | instskip(NEXT) | instid1(VALU_DEP_1)
	v_add_f64_e64 v[26:27], -v[20:21], s[24:25]
	v_dual_add_f64 v[18:19], v[18:19], v[24:25] :: v_dual_cndmask_b32 v21, v21, v27, s0
	s_delay_alu instid0(VALU_DEP_2) | instskip(SKIP_1) | instid1(VALU_DEP_2)
	v_dual_cndmask_b32 v20, v20, v26, s0 :: v_dual_ashrrev_i32 v26, 31, v15
	v_cndmask_b32_e32 v27, 0x54442d18, v60, vcc_lo
	v_add_f64_e64 v[24:25], -v[20:21], s[26:27]
	s_delay_alu instid0(VALU_DEP_3) | instskip(SKIP_2) | instid1(VALU_DEP_4)
	v_and_b32_e32 v28, 0x54442d18, v26
	v_and_b32_e32 v15, 0x400921fb, v26
	v_add_f64_e32 v[18:19], v[48:49], v[18:19]
	v_dual_cndmask_b32 v20, v20, v24 :: v_dual_cndmask_b32 v21, v21, v25
	v_cmp_ngt_f64_e32 vcc_lo, -1.0, v[22:23]
	s_delay_alu instid0(VALU_DEP_3) | instskip(NEXT) | instid1(VALU_DEP_3)
	v_mul_f64_e32 v[18:19], 0.5, v[18:19]
                                        ; implicit-def: $vgpr24_vgpr25
	v_dual_cndmask_b32 v20, v20, v28, s1 :: v_dual_cndmask_b32 v15, v21, v15, s1
	s_and_b32 s1, s2, s3
	s_delay_alu instid0(VALU_DEP_2) | instid1(SALU_CYCLE_1)
	v_cndmask_b32_e64 v18, 0, v18, s1
	v_cmp_neq_f64_e64 s1, -1.0, v[22:23]
	s_delay_alu instid0(VALU_DEP_4) | instskip(NEXT) | instid1(VALU_DEP_1)
	v_cndmask_b32_e64 v19, 0x7ff00000, v19, s3
                                        ; implicit-def: $vgpr22_vgpr23
	v_cndmask_b32_e32 v19, 0x7ff80000, v19, vcc_lo
	s_and_b32 vcc_lo, s6, s5
	v_dual_cndmask_b32 v21, v15, v14 :: v_dual_cndmask_b32 v20, v20, v27
	s_delay_alu instid0(VALU_DEP_2)
	v_cndmask_b32_e64 v19, 0xfff00000, v19, s1
.LBB173_168:                            ;   in Loop: Header=BB173_162 Depth=1
	s_and_not1_saveexec_b32 s41, s4
	s_cbranch_execz .LBB173_176
; %bb.169:                              ;   in Loop: Header=BB173_162 Depth=1
	v_mul_f64_e32 v[20:21], v[24:25], v[24:25]
                                        ; implicit-def: $vgpr18_vgpr19
	s_mov_b32 s1, exec_lo
	s_delay_alu instid0(VALU_DEP_1) | instskip(NEXT) | instid1(VALU_DEP_1)
	v_fmac_f64_e32 v[20:21], v[22:23], v[22:23]
	v_cmpx_ge_f64_e32 s[28:29], v[20:21]
	s_xor_b32 s3, exec_lo, s1
	s_cbranch_execz .LBB173_171
; %bb.170:                              ;   in Loop: Header=BB173_162 Depth=1
	v_frexp_mant_f64_e32 v[18:19], v[20:21]
	v_cmp_eq_f64_e64 s1, 0, v[16:17]
	v_frexp_exp_i32_f64_e32 v37, v[20:21]
	v_cmp_neq_f64_e64 s2, 0, v[20:21]
	v_cmp_class_f64_e64 s4, v[16:17], 0x204
	v_cmp_class_f64_e64 s5, v[14:15], 0x204
	v_cmp_gt_f64_e32 vcc_lo, s[20:21], v[18:19]
	v_cndmask_b32_e64 v22, 0, 1, vcc_lo
	v_subrev_co_ci_u32_e64 v37, null, 0, v37, vcc_lo
	s_delay_alu instid0(VALU_DEP_2) | instskip(NEXT) | instid1(VALU_DEP_1)
	v_ldexp_f64 v[18:19], v[18:19], v22
	v_add_f64_e32 v[22:23], 1.0, v[18:19]
	v_add_f64_e32 v[28:29], -1.0, v[18:19]
	s_delay_alu instid0(VALU_DEP_2) | instskip(SKIP_1) | instid1(VALU_DEP_1)
	v_rcp_f64_e32 v[24:25], v[22:23]
	v_add_f64_e32 v[30:31], -1.0, v[22:23]
	v_add_f64_e64 v[18:19], v[18:19], -v[30:31]
	s_delay_alu instid0(TRANS32_DEP_1) | instskip(NEXT) | instid1(VALU_DEP_1)
	v_fma_f64 v[26:27], -v[22:23], v[24:25], 1.0
	v_fmac_f64_e32 v[24:25], v[26:27], v[24:25]
	s_delay_alu instid0(VALU_DEP_1) | instskip(NEXT) | instid1(VALU_DEP_1)
	v_fma_f64 v[26:27], -v[22:23], v[24:25], 1.0
	v_fmac_f64_e32 v[24:25], v[26:27], v[24:25]
	s_delay_alu instid0(VALU_DEP_1) | instskip(NEXT) | instid1(VALU_DEP_1)
	v_mul_f64_e32 v[26:27], v[28:29], v[24:25]
	v_mul_f64_e32 v[32:33], v[22:23], v[26:27]
	s_delay_alu instid0(VALU_DEP_1) | instskip(NEXT) | instid1(VALU_DEP_1)
	v_fma_f64 v[22:23], v[26:27], v[22:23], -v[32:33]
	v_fmac_f64_e32 v[22:23], v[26:27], v[18:19]
	s_delay_alu instid0(VALU_DEP_1) | instskip(NEXT) | instid1(VALU_DEP_1)
	v_add_f64_e32 v[18:19], v[32:33], v[22:23]
	v_add_f64_e64 v[30:31], v[28:29], -v[18:19]
	v_add_f64_e64 v[32:33], v[18:19], -v[32:33]
	s_delay_alu instid0(VALU_DEP_2) | instskip(NEXT) | instid1(VALU_DEP_2)
	v_add_f64_e64 v[28:29], v[28:29], -v[30:31]
	v_add_f64_e64 v[22:23], v[32:33], -v[22:23]
	s_delay_alu instid0(VALU_DEP_2) | instskip(SKIP_1) | instid1(VALU_DEP_2)
	v_add_f64_e64 v[18:19], v[28:29], -v[18:19]
	v_max_num_f64_e64 v[28:29], |v[14:15]|, |v[14:15]|
	v_add_f64_e32 v[18:19], v[22:23], v[18:19]
	v_max_num_f64_e64 v[22:23], |v[16:17]|, |v[16:17]|
	s_delay_alu instid0(VALU_DEP_2) | instskip(NEXT) | instid1(VALU_DEP_1)
	v_add_f64_e32 v[18:19], v[30:31], v[18:19]
	v_mul_f64_e32 v[18:19], v[24:25], v[18:19]
	s_delay_alu instid0(VALU_DEP_3) | instskip(SKIP_1) | instid1(VALU_DEP_3)
	v_max_num_f64_e32 v[24:25], v[28:29], v[22:23]
	v_min_num_f64_e32 v[22:23], v[28:29], v[22:23]
	v_add_f64_e32 v[28:29], v[26:27], v[18:19]
	s_delay_alu instid0(VALU_DEP_2) | instskip(NEXT) | instid1(VALU_DEP_2)
	v_div_scale_f64 v[30:31], null, v[24:25], v[24:25], v[22:23]
	v_mul_f64_e32 v[32:33], v[28:29], v[28:29]
	v_add_f64_e64 v[26:27], v[28:29], -v[26:27]
	s_delay_alu instid0(VALU_DEP_3) | instskip(NEXT) | instid1(VALU_DEP_2)
	v_rcp_f64_e32 v[44:45], v[30:31]
	v_fmamk_f64 v[46:47], v[32:33], 0x3fc3ab76bf559e2b, v[38:39]
	v_mul_f64_e32 v[48:49], v[28:29], v[32:33]
	s_delay_alu instid0(VALU_DEP_3) | instskip(NEXT) | instid1(VALU_DEP_3)
	v_add_f64_e64 v[18:19], v[18:19], -v[26:27]
	v_fmaak_f64 v[46:47], v[32:33], v[46:47], 0x3fc7474dd7f4df2e
	s_delay_alu instid0(TRANS32_DEP_1) | instskip(NEXT) | instid1(VALU_DEP_2)
	v_fma_f64 v[50:51], -v[30:31], v[44:45], 1.0
	v_fmaak_f64 v[46:47], v[32:33], v[46:47], 0x3fcc71c016291751
	s_delay_alu instid0(VALU_DEP_1) | instskip(NEXT) | instid1(VALU_DEP_1)
	v_fmaak_f64 v[46:47], v[32:33], v[46:47], 0x3fd249249b27acf1
	v_fmaak_f64 v[46:47], v[32:33], v[46:47], 0x3fd99999998ef7b6
	v_ldexp_f64 v[18:19], v[18:19], 1
	s_delay_alu instid0(VALU_DEP_2) | instskip(SKIP_2) | instid1(VALU_DEP_3)
	v_fmaak_f64 v[32:33], v[32:33], v[46:47], 0x3fe5555555555780
	v_ldexp_f64 v[46:47], v[28:29], 1
	v_fmac_f64_e32 v[44:45], v[44:45], v[50:51]
	v_mul_f64_e32 v[32:33], v[48:49], v[32:33]
	v_cvt_f64_i32_e32 v[48:49], v37
	s_delay_alu instid0(VALU_DEP_3) | instskip(NEXT) | instid1(VALU_DEP_3)
	v_fma_f64 v[50:51], -v[30:31], v[44:45], 1.0
	v_add_f64_e32 v[28:29], v[46:47], v[32:33]
	s_delay_alu instid0(VALU_DEP_3) | instskip(NEXT) | instid1(VALU_DEP_3)
	v_mul_f64_e32 v[52:53], 0x3fe62e42fefa39ef, v[48:49]
	v_fmac_f64_e32 v[44:45], v[44:45], v[50:51]
	s_delay_alu instid0(VALU_DEP_3) | instskip(SKIP_1) | instid1(VALU_DEP_4)
	v_add_f64_e64 v[26:27], v[28:29], -v[46:47]
	v_div_scale_f64 v[46:47], vcc_lo, v[22:23], v[24:25], v[22:23]
	v_fma_f64 v[50:51], v[48:49], s[22:23], -v[52:53]
	s_delay_alu instid0(VALU_DEP_3) | instskip(NEXT) | instid1(VALU_DEP_3)
	v_add_f64_e64 v[26:27], v[32:33], -v[26:27]
	v_mul_f64_e32 v[32:33], v[46:47], v[44:45]
	s_delay_alu instid0(VALU_DEP_3) | instskip(NEXT) | instid1(VALU_DEP_3)
	v_fmac_f64_e32 v[50:51], 0x3c7abc9e3b39803f, v[48:49]
	v_add_f64_e32 v[18:19], v[18:19], v[26:27]
	s_delay_alu instid0(VALU_DEP_3) | instskip(NEXT) | instid1(VALU_DEP_3)
	v_fma_f64 v[26:27], -v[30:31], v[32:33], v[46:47]
	v_add_f64_e32 v[30:31], v[52:53], v[50:51]
	s_delay_alu instid0(VALU_DEP_3) | instskip(NEXT) | instid1(VALU_DEP_3)
	v_add_f64_e32 v[46:47], v[28:29], v[18:19]
	v_div_fmas_f64 v[26:27], v[26:27], v[44:45], v[32:33]
	v_cmp_gt_i32_e32 vcc_lo, 0, v15
	s_delay_alu instid0(VALU_DEP_4) | instskip(NEXT) | instid1(VALU_DEP_4)
	v_add_f64_e64 v[44:45], v[30:31], -v[52:53]
	v_add_f64_e32 v[32:33], v[30:31], v[46:47]
	s_delay_alu instid0(VALU_DEP_4) | instskip(SKIP_1) | instid1(VALU_DEP_4)
	v_div_fixup_f64 v[22:23], v[26:27], v[24:25], v[22:23]
	v_add_f64_e64 v[28:29], v[46:47], -v[28:29]
	v_add_f64_e64 v[44:45], v[50:51], -v[44:45]
	s_delay_alu instid0(VALU_DEP_4) | instskip(NEXT) | instid1(VALU_DEP_4)
	v_add_f64_e64 v[24:25], v[32:33], -v[30:31]
	v_mul_f64_e32 v[26:27], v[22:23], v[22:23]
	s_delay_alu instid0(VALU_DEP_4) | instskip(NEXT) | instid1(VALU_DEP_3)
	v_add_f64_e64 v[18:19], v[18:19], -v[28:29]
	v_add_f64_e64 v[48:49], v[32:33], -v[24:25]
	s_delay_alu instid0(VALU_DEP_3) | instskip(SKIP_1) | instid1(VALU_DEP_4)
	v_fmamk_f64 v[52:53], v[26:27], 0x3eeba404b5e68a13, v[40:41]
	v_add_f64_e64 v[24:25], v[46:47], -v[24:25]
	v_add_f64_e32 v[46:47], v[44:45], v[18:19]
	s_delay_alu instid0(VALU_DEP_3) | instskip(NEXT) | instid1(VALU_DEP_1)
	v_fmaak_f64 v[52:53], v[26:27], v[52:53], 0x3f4b2bb069efb384
	v_fmaak_f64 v[52:53], v[26:27], v[52:53], 0xbf67952daf56de9b
	v_add_f64_e64 v[28:29], v[30:31], -v[48:49]
	s_delay_alu instid0(VALU_DEP_2) | instskip(NEXT) | instid1(VALU_DEP_1)
	v_fmaak_f64 v[30:31], v[26:27], v[52:53], 0x3f7d6d43a595c56f
	v_fmaak_f64 v[30:31], v[26:27], v[30:31], 0xbf8c6ea4a57d9582
	s_delay_alu instid0(VALU_DEP_1) | instskip(NEXT) | instid1(VALU_DEP_1)
	v_fmaak_f64 v[30:31], v[26:27], v[30:31], 0x3f967e295f08b19f
	v_fmaak_f64 v[30:31], v[26:27], v[30:31], 0xbf9e9ae6fc27006a
	s_delay_alu instid0(VALU_DEP_1) | instskip(SKIP_1) | instid1(VALU_DEP_2)
	v_fmaak_f64 v[30:31], v[26:27], v[30:31], 0x3fa2c15b5711927a
	v_add_f64_e32 v[24:25], v[24:25], v[28:29]
	v_fmaak_f64 v[28:29], v[26:27], v[30:31], 0xbfa59976e82d3ff0
	v_add_f64_e64 v[30:31], v[46:47], -v[44:45]
	s_delay_alu instid0(VALU_DEP_2) | instskip(NEXT) | instid1(VALU_DEP_1)
	v_fmaak_f64 v[28:29], v[26:27], v[28:29], 0x3fa82d5d6ef28734
	v_fmaak_f64 v[28:29], v[26:27], v[28:29], 0xbfaae5ce6a214619
	s_delay_alu instid0(VALU_DEP_1) | instskip(NEXT) | instid1(VALU_DEP_1)
	v_fmaak_f64 v[28:29], v[26:27], v[28:29], 0x3fae1bb48427b883
	v_fmaak_f64 v[28:29], v[26:27], v[28:29], 0xbfb110e48b207f05
	v_add_f64_e32 v[24:25], v[46:47], v[24:25]
	v_add_f64_e64 v[46:47], v[46:47], -v[30:31]
	v_add_f64_e64 v[18:19], v[18:19], -v[30:31]
	s_delay_alu instid0(VALU_DEP_4) | instskip(NEXT) | instid1(VALU_DEP_1)
	v_fmaak_f64 v[28:29], v[26:27], v[28:29], 0x3fb3b13657b87036
	v_fmaak_f64 v[28:29], v[26:27], v[28:29], 0xbfb745d119378e4f
	s_delay_alu instid0(VALU_DEP_1) | instskip(NEXT) | instid1(VALU_DEP_1)
	v_fmaak_f64 v[28:29], v[26:27], v[28:29], 0x3fbc71c717e1913c
	v_fmaak_f64 v[28:29], v[26:27], v[28:29], 0xbfc2492492376b7d
	v_add_f64_e32 v[48:49], v[32:33], v[24:25]
	s_delay_alu instid0(VALU_DEP_2) | instskip(NEXT) | instid1(VALU_DEP_1)
	v_fmaak_f64 v[28:29], v[26:27], v[28:29], 0x3fc99999999952cc
	v_fmaak_f64 v[28:29], v[26:27], v[28:29], 0xbfd5555555555523
	s_delay_alu instid0(VALU_DEP_1) | instskip(SKIP_2) | instid1(VALU_DEP_3)
	v_mul_f64_e32 v[26:27], v[26:27], v[28:29]
	v_add_f64_e64 v[28:29], v[44:45], -v[46:47]
	v_add_f64_e64 v[30:31], v[48:49], -v[32:33]
	v_fmac_f64_e32 v[22:23], v[22:23], v[26:27]
	s_delay_alu instid0(VALU_DEP_3) | instskip(NEXT) | instid1(VALU_DEP_3)
	v_add_f64_e32 v[18:19], v[18:19], v[28:29]
	v_add_f64_e64 v[24:25], v[24:25], -v[30:31]
	s_delay_alu instid0(VALU_DEP_3) | instskip(NEXT) | instid1(VALU_DEP_2)
	v_add_f64_e64 v[26:27], -v[22:23], s[24:25]
	v_add_f64_e32 v[18:19], v[18:19], v[24:25]
	s_delay_alu instid0(VALU_DEP_2) | instskip(SKIP_1) | instid1(VALU_DEP_2)
	v_dual_cndmask_b32 v23, v23, v27, s0 :: v_dual_cndmask_b32 v22, v22, v26, s0
	v_dual_cndmask_b32 v27, 0x54442d18, v60 :: v_dual_ashrrev_i32 v26, 31, v15
	v_add_f64_e64 v[24:25], -v[22:23], s[26:27]
	s_delay_alu instid0(VALU_DEP_2) | instskip(NEXT) | instid1(VALU_DEP_2)
	v_and_b32_e32 v28, 0x54442d18, v26
	v_dual_add_f64 v[18:19], v[48:49], v[18:19] :: v_dual_cndmask_b32 v22, v22, v24, vcc_lo
	s_delay_alu instid0(VALU_DEP_3) | instskip(NEXT) | instid1(VALU_DEP_2)
	v_cndmask_b32_e32 v20, v23, v25, vcc_lo
                                        ; implicit-def: $vgpr24_vgpr25
	v_dual_mul_f64 v[14:15], 0.5, v[18:19] :: v_dual_cndmask_b32 v22, v22, v28, s1
	v_cndmask_b32_e32 v18, 0x3fe921fb, v61, vcc_lo
	v_and_b32_e32 v19, 0x400921fb, v26
	s_and_b32 vcc_lo, s5, s4
	s_delay_alu instid0(VALU_DEP_2) | instskip(NEXT) | instid1(VALU_DEP_2)
	v_bfi_b32 v18, 0x7fffffff, v18, v17
	v_cndmask_b32_e64 v19, v20, v19, s1
	v_cndmask_b32_e32 v20, v22, v27, vcc_lo
                                        ; implicit-def: $vgpr22_vgpr23
	s_delay_alu instid0(VALU_DEP_2)
	v_cndmask_b32_e32 v21, v19, v18, vcc_lo
	v_cndmask_b32_e64 v19, 0xfff00000, v15, s2
	v_cndmask_b32_e64 v18, 0, v14, s2
.LBB173_171:                            ;   in Loop: Header=BB173_162 Depth=1
	s_and_not1_saveexec_b32 s42, s3
	s_cbranch_execz .LBB173_175
; %bb.172:                              ;   in Loop: Header=BB173_162 Depth=1
	v_and_b32_e32 v37, 0x7ffffff8, v23
	v_and_b32_e32 v21, 0x7ffffff8, v25
	v_dual_mov_b32 v20, v36 :: v_dual_mov_b32 v26, v36
	s_delay_alu instid0(VALU_DEP_3) | instskip(SKIP_1) | instid1(VALU_DEP_2)
	v_dual_add_f64 v[18:19], v[22:23], -v[36:37] :: v_dual_mov_b32 v28, v36
	s_mov_b32 s43, 0
	v_add_f64_e64 v[22:23], v[24:25], -v[20:21]
	v_add_f64_e32 v[48:49], v[20:21], v[20:21]
	s_delay_alu instid0(VALU_DEP_3) | instskip(NEXT) | instid1(VALU_DEP_3)
	v_dual_mul_f64 v[24:25], v[20:21], v[20:21] :: v_dual_bitop2_b32 v27, -8, v19 bitop3:0x40
	v_dual_add_f64 v[30:31], v[36:37], v[36:37] :: v_dual_bitop2_b32 v29, -8, v23 bitop3:0x40
	s_delay_alu instid0(VALU_DEP_2) | instskip(SKIP_1) | instid1(VALU_DEP_3)
	v_add_f64_e64 v[50:51], v[18:19], -v[26:27]
	v_add_f64_e32 v[54:55], v[26:27], v[26:27]
	v_add_f64_e64 v[52:53], v[22:23], -v[28:29]
	v_add_f64_e32 v[56:57], v[28:29], v[28:29]
	v_mul_f64_e32 v[18:19], v[36:37], v[36:37]
	v_mul_f64_e32 v[22:23], v[48:49], v[28:29]
	;; [unrolled: 1-line block ×11, first 2 shown]
.LBB173_173:                            ;   Parent Loop BB173_162 Depth=1
                                        ; =>  This Inner Loop Header: Depth=2
	v_cmp_nlt_f64_e32 vcc_lo, v[18:19], v[24:25]
	v_dual_cndmask_b32 v53, v19, v25 :: v_dual_cndmask_b32 v52, v18, v24
	v_dual_cndmask_b32 v19, v25, v19 :: v_dual_cndmask_b32 v18, v24, v18
	s_delay_alu instid0(VALU_DEP_2) | instskip(NEXT) | instid1(VALU_DEP_1)
	v_cmp_nlt_f64_e64 s1, v[52:53], v[46:47]
	v_dual_cndmask_b32 v55, v53, v47, s1 :: v_dual_cndmask_b32 v54, v52, v46, s1
	v_dual_cndmask_b32 v25, v47, v53, s1 :: v_dual_cndmask_b32 v24, v46, v52, s1
	s_and_b32 s1, vcc_lo, s1
	s_delay_alu instid0(VALU_DEP_2) | instskip(NEXT) | instid1(VALU_DEP_1)
	v_cmp_nlt_f64_e64 s2, v[54:55], v[22:23]
	v_dual_cndmask_b32 v57, v55, v23, s2 :: v_dual_cndmask_b32 v56, v54, v22, s2
	v_dual_cndmask_b32 v47, v23, v55, s2 :: v_dual_cndmask_b32 v46, v22, v54, s2
	s_delay_alu instid0(VALU_DEP_2) | instskip(NEXT) | instid1(VALU_DEP_1)
	v_cmp_nlt_f64_e64 s3, v[56:57], v[44:45]
	v_dual_cndmask_b32 v59, v57, v45, s3 :: v_dual_cndmask_b32 v58, v56, v44, s3
	v_dual_cndmask_b32 v23, v45, v57, s3 :: v_dual_cndmask_b32 v22, v44, v56, s3
	s_and_b32 s2, s2, s3
	s_delay_alu instid0(VALU_DEP_2) | instskip(NEXT) | instid1(VALU_DEP_1)
	v_cmp_nlt_f64_e64 s4, v[58:59], v[20:21]
	v_dual_cndmask_b32 v63, v59, v21, s4 :: v_dual_cndmask_b32 v62, v58, v20, s4
	v_dual_cndmask_b32 v45, v21, v59, s4 :: v_dual_cndmask_b32 v44, v20, v58, s4
	s_delay_alu instid0(VALU_DEP_2) | instskip(NEXT) | instid1(VALU_DEP_1)
	v_cmp_nlt_f64_e64 s5, v[62:63], v[32:33]
	v_dual_cndmask_b32 v65, v63, v33, s5 :: v_dual_cndmask_b32 v64, v62, v32, s5
	s_and_b32 s3, s4, s5
	v_dual_cndmask_b32 v21, v33, v63, s5 :: v_dual_cndmask_b32 v20, v32, v62, s5
	s_delay_alu instid0(VALU_DEP_2) | instskip(NEXT) | instid1(VALU_DEP_1)
	v_cmp_nlt_f64_e64 s6, v[64:65], v[30:31]
	v_dual_cndmask_b32 v67, v65, v31, s6 :: v_dual_cndmask_b32 v66, v64, v30, s6
	s_and_b32 s3, s3, s6
	;; [unrolled: 5-line block ×6, first 2 shown]
	v_dual_cndmask_b32 v49, v51, v73, s10 :: v_dual_cndmask_b32 v48, v50, v72, s10
	s_and_b32 s2, s3, s2
	s_delay_alu instid0(VALU_DEP_2) | instskip(SKIP_1) | instid1(SALU_CYCLE_1)
	v_mov_b64_e32 v[50:51], v[52:53]
	s_and_b32 s1, s2, s1
	s_and_b32 s1, exec_lo, s1
	s_delay_alu instid0(SALU_CYCLE_1) | instskip(NEXT) | instid1(SALU_CYCLE_1)
	s_or_b32 s43, s1, s43
	s_and_not1_b32 exec_lo, exec_lo, s43
	s_cbranch_execnz .LBB173_173
; %bb.174:                              ;   in Loop: Header=BB173_162 Depth=1
	s_or_b32 exec_lo, exec_lo, s43
	v_add_f64_e32 v[18:19], -1.0, v[18:19]
	v_cmp_eq_f64_e64 s1, 0, v[16:17]
	v_cmp_class_f64_e64 s5, v[14:15], 0x204
	v_cmp_class_f64_e64 s4, v[16:17], 0x204
	s_delay_alu instid0(VALU_DEP_4) | instskip(NEXT) | instid1(VALU_DEP_1)
	v_add_f64_e32 v[18:19], v[18:19], v[24:25]
	v_add_f64_e32 v[18:19], v[18:19], v[46:47]
	s_delay_alu instid0(VALU_DEP_1) | instskip(NEXT) | instid1(VALU_DEP_1)
	v_add_f64_e32 v[18:19], v[18:19], v[22:23]
	v_add_f64_e32 v[18:19], v[18:19], v[44:45]
	s_delay_alu instid0(VALU_DEP_1) | instskip(NEXT) | instid1(VALU_DEP_1)
	;; [unrolled: 3-line block ×5, first 2 shown]
	v_add_f64_e32 v[22:23], v[52:53], v[18:19]
	v_add_f64_e32 v[18:19], 1.0, v[22:23]
	v_cmp_nge_f64_e64 s2, -1.0, v[22:23]
	v_cmp_neq_f64_e64 s3, 0x7ff00000, v[22:23]
	s_delay_alu instid0(VALU_DEP_3) | instskip(SKIP_2) | instid1(VALU_DEP_3)
	v_frexp_mant_f64_e32 v[20:21], v[18:19]
	v_frexp_exp_i32_f64_e32 v26, v[18:19]
	v_add_f64_e32 v[24:25], -1.0, v[18:19]
	v_cmp_gt_f64_e32 vcc_lo, s[20:21], v[20:21]
	s_delay_alu instid0(VALU_DEP_2) | instskip(SKIP_2) | instid1(VALU_DEP_3)
	v_add_f64_e64 v[20:21], v[24:25], -v[18:19]
	v_add_f64_e64 v[24:25], v[22:23], -v[24:25]
	v_subrev_co_ci_u32_e64 v37, null, 0, v26, vcc_lo
	v_add_f64_e32 v[20:21], 1.0, v[20:21]
	s_delay_alu instid0(VALU_DEP_2) | instskip(NEXT) | instid1(VALU_DEP_1)
	v_sub_nc_u32_e32 v28, 0, v37
	v_ldexp_f64 v[18:19], v[18:19], v28
	s_delay_alu instid0(VALU_DEP_3) | instskip(NEXT) | instid1(VALU_DEP_2)
	v_add_f64_e32 v[20:21], v[24:25], v[20:21]
	v_add_f64_e32 v[26:27], 1.0, v[18:19]
	v_add_f64_e32 v[32:33], -1.0, v[18:19]
	s_delay_alu instid0(VALU_DEP_3) | instskip(NEXT) | instid1(VALU_DEP_3)
	v_ldexp_f64 v[20:21], v[20:21], v28
	v_add_f64_e32 v[24:25], -1.0, v[26:27]
	s_delay_alu instid0(VALU_DEP_3) | instskip(NEXT) | instid1(VALU_DEP_2)
	v_add_f64_e32 v[44:45], 1.0, v[32:33]
	v_add_f64_e64 v[24:25], v[18:19], -v[24:25]
	s_delay_alu instid0(VALU_DEP_2) | instskip(NEXT) | instid1(VALU_DEP_2)
	v_add_f64_e64 v[18:19], v[18:19], -v[44:45]
	v_add_f64_e32 v[24:25], v[20:21], v[24:25]
	s_delay_alu instid0(VALU_DEP_2) | instskip(NEXT) | instid1(VALU_DEP_2)
	v_add_f64_e32 v[18:19], v[20:21], v[18:19]
	v_add_f64_e32 v[28:29], v[26:27], v[24:25]
	s_delay_alu instid0(VALU_DEP_2) | instskip(NEXT) | instid1(VALU_DEP_2)
	v_add_f64_e32 v[44:45], v[32:33], v[18:19]
	v_rcp_f64_e32 v[30:31], v[28:29]
	v_add_f64_e64 v[26:27], v[28:29], -v[26:27]
	s_delay_alu instid0(VALU_DEP_2) | instskip(NEXT) | instid1(VALU_DEP_2)
	v_add_f64_e64 v[32:33], v[44:45], -v[32:33]
	v_add_f64_e64 v[24:25], v[24:25], -v[26:27]
	s_delay_alu instid0(VALU_DEP_2) | instskip(NEXT) | instid1(TRANS32_DEP_1)
	v_add_f64_e64 v[18:19], v[18:19], -v[32:33]
	v_fma_f64 v[46:47], -v[28:29], v[30:31], 1.0
	s_delay_alu instid0(VALU_DEP_1) | instskip(NEXT) | instid1(VALU_DEP_1)
	v_fmac_f64_e32 v[30:31], v[46:47], v[30:31]
	v_fma_f64 v[20:21], -v[28:29], v[30:31], 1.0
	s_delay_alu instid0(VALU_DEP_1) | instskip(NEXT) | instid1(VALU_DEP_1)
	v_fmac_f64_e32 v[30:31], v[20:21], v[30:31]
	v_mul_f64_e32 v[20:21], v[44:45], v[30:31]
	s_delay_alu instid0(VALU_DEP_1) | instskip(NEXT) | instid1(VALU_DEP_1)
	v_mul_f64_e32 v[46:47], v[28:29], v[20:21]
	v_fma_f64 v[26:27], v[20:21], v[28:29], -v[46:47]
	s_delay_alu instid0(VALU_DEP_1) | instskip(NEXT) | instid1(VALU_DEP_1)
	v_fmac_f64_e32 v[26:27], v[20:21], v[24:25]
	v_add_f64_e32 v[48:49], v[46:47], v[26:27]
	s_delay_alu instid0(VALU_DEP_1) | instskip(SKIP_1) | instid1(VALU_DEP_2)
	v_add_f64_e64 v[50:51], v[44:45], -v[48:49]
	v_add_f64_e64 v[32:33], v[48:49], -v[46:47]
	;; [unrolled: 1-line block ×3, first 2 shown]
	s_delay_alu instid0(VALU_DEP_2) | instskip(NEXT) | instid1(VALU_DEP_2)
	v_add_f64_e64 v[26:27], v[32:33], -v[26:27]
	v_add_f64_e64 v[44:45], v[44:45], -v[48:49]
	s_delay_alu instid0(VALU_DEP_1) | instskip(NEXT) | instid1(VALU_DEP_1)
	v_add_f64_e32 v[18:19], v[18:19], v[44:45]
	v_add_f64_e32 v[18:19], v[26:27], v[18:19]
	s_delay_alu instid0(VALU_DEP_1) | instskip(NEXT) | instid1(VALU_DEP_1)
	v_add_f64_e32 v[26:27], v[50:51], v[18:19]
	v_mul_f64_e32 v[32:33], v[30:31], v[26:27]
	v_add_f64_e64 v[48:49], v[50:51], -v[26:27]
	s_delay_alu instid0(VALU_DEP_2) | instskip(NEXT) | instid1(VALU_DEP_2)
	v_mul_f64_e32 v[44:45], v[28:29], v[32:33]
	v_add_f64_e32 v[18:19], v[18:19], v[48:49]
	s_delay_alu instid0(VALU_DEP_2) | instskip(NEXT) | instid1(VALU_DEP_1)
	v_fma_f64 v[28:29], v[32:33], v[28:29], -v[44:45]
	v_fmac_f64_e32 v[28:29], v[32:33], v[24:25]
	s_delay_alu instid0(VALU_DEP_1) | instskip(NEXT) | instid1(VALU_DEP_1)
	v_add_f64_e32 v[24:25], v[44:45], v[28:29]
	v_add_f64_e64 v[46:47], v[26:27], -v[24:25]
	v_add_f64_e64 v[44:45], v[24:25], -v[44:45]
	s_delay_alu instid0(VALU_DEP_2) | instskip(NEXT) | instid1(VALU_DEP_1)
	v_add_f64_e64 v[26:27], v[26:27], -v[46:47]
	v_add_f64_e64 v[24:25], v[26:27], -v[24:25]
	s_delay_alu instid0(VALU_DEP_3) | instskip(SKIP_1) | instid1(VALU_DEP_3)
	v_add_f64_e64 v[26:27], v[44:45], -v[28:29]
	v_max_num_f64_e64 v[28:29], |v[14:15]|, |v[14:15]|
	v_add_f64_e32 v[18:19], v[18:19], v[24:25]
	v_add_f64_e32 v[24:25], v[20:21], v[32:33]
	s_delay_alu instid0(VALU_DEP_2) | instskip(NEXT) | instid1(VALU_DEP_2)
	v_add_f64_e32 v[18:19], v[26:27], v[18:19]
	v_add_f64_e64 v[20:21], v[24:25], -v[20:21]
	v_max_num_f64_e64 v[26:27], |v[16:17]|, |v[16:17]|
	s_delay_alu instid0(VALU_DEP_3) | instskip(NEXT) | instid1(VALU_DEP_3)
	v_add_f64_e32 v[18:19], v[46:47], v[18:19]
	v_add_f64_e64 v[20:21], v[32:33], -v[20:21]
	s_delay_alu instid0(VALU_DEP_2) | instskip(NEXT) | instid1(VALU_DEP_1)
	v_mul_f64_e32 v[18:19], v[30:31], v[18:19]
	v_add_f64_e32 v[18:19], v[20:21], v[18:19]
	v_max_num_f64_e32 v[20:21], v[28:29], v[26:27]
	v_min_num_f64_e32 v[26:27], v[28:29], v[26:27]
	s_delay_alu instid0(VALU_DEP_3) | instskip(NEXT) | instid1(VALU_DEP_2)
	v_add_f64_e32 v[28:29], v[24:25], v[18:19]
	v_div_scale_f64 v[30:31], null, v[20:21], v[20:21], v[26:27]
	s_delay_alu instid0(VALU_DEP_2) | instskip(SKIP_1) | instid1(VALU_DEP_3)
	v_mul_f64_e32 v[32:33], v[28:29], v[28:29]
	v_add_f64_e64 v[24:25], v[28:29], -v[24:25]
	v_rcp_f64_e32 v[44:45], v[30:31]
	s_delay_alu instid0(VALU_DEP_2) | instskip(SKIP_1) | instid1(VALU_DEP_3)
	v_fmamk_f64 v[46:47], v[32:33], 0x3fc3ab76bf559e2b, v[38:39]
	v_mul_f64_e32 v[48:49], v[28:29], v[32:33]
	v_add_f64_e64 v[18:19], v[18:19], -v[24:25]
	s_delay_alu instid0(VALU_DEP_3) | instskip(NEXT) | instid1(TRANS32_DEP_1)
	v_fmaak_f64 v[46:47], v[32:33], v[46:47], 0x3fc7474dd7f4df2e
	v_fma_f64 v[50:51], -v[30:31], v[44:45], 1.0
	s_delay_alu instid0(VALU_DEP_2) | instskip(NEXT) | instid1(VALU_DEP_1)
	v_fmaak_f64 v[46:47], v[32:33], v[46:47], 0x3fcc71c016291751
	v_fmaak_f64 v[46:47], v[32:33], v[46:47], 0x3fd249249b27acf1
	s_delay_alu instid0(VALU_DEP_1) | instskip(SKIP_1) | instid1(VALU_DEP_2)
	v_fmaak_f64 v[46:47], v[32:33], v[46:47], 0x3fd99999998ef7b6
	v_ldexp_f64 v[18:19], v[18:19], 1
	v_fmaak_f64 v[32:33], v[32:33], v[46:47], 0x3fe5555555555780
	v_ldexp_f64 v[46:47], v[28:29], 1
	v_fmac_f64_e32 v[44:45], v[44:45], v[50:51]
	s_delay_alu instid0(VALU_DEP_3) | instskip(SKIP_1) | instid1(VALU_DEP_3)
	v_mul_f64_e32 v[32:33], v[48:49], v[32:33]
	v_cvt_f64_i32_e32 v[48:49], v37
	v_fma_f64 v[50:51], -v[30:31], v[44:45], 1.0
	s_delay_alu instid0(VALU_DEP_3) | instskip(NEXT) | instid1(VALU_DEP_3)
	v_add_f64_e32 v[28:29], v[46:47], v[32:33]
	v_mul_f64_e32 v[52:53], 0x3fe62e42fefa39ef, v[48:49]
	s_delay_alu instid0(VALU_DEP_3) | instskip(NEXT) | instid1(VALU_DEP_3)
	v_fmac_f64_e32 v[44:45], v[44:45], v[50:51]
	v_add_f64_e64 v[24:25], v[28:29], -v[46:47]
	v_div_scale_f64 v[46:47], vcc_lo, v[26:27], v[20:21], v[26:27]
	s_delay_alu instid0(VALU_DEP_4) | instskip(NEXT) | instid1(VALU_DEP_3)
	v_fma_f64 v[50:51], v[48:49], s[22:23], -v[52:53]
	v_add_f64_e64 v[24:25], v[32:33], -v[24:25]
	s_delay_alu instid0(VALU_DEP_3) | instskip(NEXT) | instid1(VALU_DEP_3)
	v_mul_f64_e32 v[32:33], v[46:47], v[44:45]
	v_fmac_f64_e32 v[50:51], 0x3c7abc9e3b39803f, v[48:49]
	s_delay_alu instid0(VALU_DEP_3) | instskip(NEXT) | instid1(VALU_DEP_3)
	v_add_f64_e32 v[18:19], v[18:19], v[24:25]
	v_fma_f64 v[24:25], -v[30:31], v[32:33], v[46:47]
	s_delay_alu instid0(VALU_DEP_3) | instskip(NEXT) | instid1(VALU_DEP_3)
	v_add_f64_e32 v[30:31], v[52:53], v[50:51]
	v_add_f64_e32 v[46:47], v[28:29], v[18:19]
	s_delay_alu instid0(VALU_DEP_3) | instskip(SKIP_1) | instid1(VALU_DEP_4)
	v_div_fmas_f64 v[24:25], v[24:25], v[44:45], v[32:33]
	v_cmp_gt_i32_e32 vcc_lo, 0, v15
	v_add_f64_e64 v[44:45], v[30:31], -v[52:53]
	v_cndmask_b32_e32 v14, 0x3fe921fb, v61, vcc_lo
	s_delay_alu instid0(VALU_DEP_1) | instskip(SKIP_4) | instid1(VALU_DEP_4)
	v_bfi_b32 v14, 0x7fffffff, v14, v17
	v_add_f64_e32 v[32:33], v[30:31], v[46:47]
	v_div_fixup_f64 v[20:21], v[24:25], v[20:21], v[26:27]
	v_add_f64_e64 v[28:29], v[46:47], -v[28:29]
	v_add_f64_e64 v[44:45], v[50:51], -v[44:45]
	;; [unrolled: 1-line block ×3, first 2 shown]
	s_delay_alu instid0(VALU_DEP_4) | instskip(NEXT) | instid1(VALU_DEP_4)
	v_mul_f64_e32 v[26:27], v[20:21], v[20:21]
	v_add_f64_e64 v[18:19], v[18:19], -v[28:29]
	s_delay_alu instid0(VALU_DEP_3) | instskip(NEXT) | instid1(VALU_DEP_3)
	v_add_f64_e64 v[48:49], v[32:33], -v[24:25]
	v_fmamk_f64 v[52:53], v[26:27], 0x3eeba404b5e68a13, v[40:41]
	v_add_f64_e64 v[24:25], v[46:47], -v[24:25]
	s_delay_alu instid0(VALU_DEP_4) | instskip(NEXT) | instid1(VALU_DEP_3)
	v_add_f64_e32 v[46:47], v[44:45], v[18:19]
	v_fmaak_f64 v[52:53], v[26:27], v[52:53], 0x3f4b2bb069efb384
	v_add_f64_e64 v[28:29], v[30:31], -v[48:49]
	s_delay_alu instid0(VALU_DEP_2) | instskip(NEXT) | instid1(VALU_DEP_1)
	v_fmaak_f64 v[30:31], v[26:27], v[52:53], 0xbf67952daf56de9b
	v_fmaak_f64 v[30:31], v[26:27], v[30:31], 0x3f7d6d43a595c56f
	s_delay_alu instid0(VALU_DEP_1) | instskip(NEXT) | instid1(VALU_DEP_1)
	v_fmaak_f64 v[30:31], v[26:27], v[30:31], 0xbf8c6ea4a57d9582
	v_fmaak_f64 v[30:31], v[26:27], v[30:31], 0x3f967e295f08b19f
	s_delay_alu instid0(VALU_DEP_1) | instskip(SKIP_1) | instid1(VALU_DEP_2)
	v_fmaak_f64 v[30:31], v[26:27], v[30:31], 0xbf9e9ae6fc27006a
	v_add_f64_e32 v[24:25], v[24:25], v[28:29]
	v_fmaak_f64 v[28:29], v[26:27], v[30:31], 0x3fa2c15b5711927a
	v_add_f64_e64 v[30:31], v[46:47], -v[44:45]
	s_delay_alu instid0(VALU_DEP_2) | instskip(NEXT) | instid1(VALU_DEP_1)
	v_fmaak_f64 v[28:29], v[26:27], v[28:29], 0xbfa59976e82d3ff0
	v_fmaak_f64 v[28:29], v[26:27], v[28:29], 0x3fa82d5d6ef28734
	s_delay_alu instid0(VALU_DEP_1) | instskip(NEXT) | instid1(VALU_DEP_1)
	v_fmaak_f64 v[28:29], v[26:27], v[28:29], 0xbfaae5ce6a214619
	v_fmaak_f64 v[28:29], v[26:27], v[28:29], 0x3fae1bb48427b883
	v_add_f64_e32 v[24:25], v[46:47], v[24:25]
	v_add_f64_e64 v[46:47], v[46:47], -v[30:31]
	v_add_f64_e64 v[18:19], v[18:19], -v[30:31]
	s_delay_alu instid0(VALU_DEP_4) | instskip(NEXT) | instid1(VALU_DEP_1)
	v_fmaak_f64 v[28:29], v[26:27], v[28:29], 0xbfb110e48b207f05
	v_fmaak_f64 v[28:29], v[26:27], v[28:29], 0x3fb3b13657b87036
	s_delay_alu instid0(VALU_DEP_1) | instskip(NEXT) | instid1(VALU_DEP_1)
	v_fmaak_f64 v[28:29], v[26:27], v[28:29], 0xbfb745d119378e4f
	v_fmaak_f64 v[28:29], v[26:27], v[28:29], 0x3fbc71c717e1913c
	v_add_f64_e32 v[48:49], v[32:33], v[24:25]
	s_delay_alu instid0(VALU_DEP_2) | instskip(NEXT) | instid1(VALU_DEP_1)
	v_fmaak_f64 v[28:29], v[26:27], v[28:29], 0xbfc2492492376b7d
	v_fmaak_f64 v[28:29], v[26:27], v[28:29], 0x3fc99999999952cc
	s_delay_alu instid0(VALU_DEP_1) | instskip(NEXT) | instid1(VALU_DEP_1)
	v_fmaak_f64 v[28:29], v[26:27], v[28:29], 0xbfd5555555555523
	v_mul_f64_e32 v[26:27], v[26:27], v[28:29]
	v_add_f64_e64 v[28:29], v[44:45], -v[46:47]
	v_add_f64_e64 v[30:31], v[48:49], -v[32:33]
	s_delay_alu instid0(VALU_DEP_3) | instskip(NEXT) | instid1(VALU_DEP_3)
	v_fmac_f64_e32 v[20:21], v[20:21], v[26:27]
	v_add_f64_e32 v[18:19], v[18:19], v[28:29]
	s_delay_alu instid0(VALU_DEP_3) | instskip(NEXT) | instid1(VALU_DEP_3)
	v_add_f64_e64 v[24:25], v[24:25], -v[30:31]
	v_add_f64_e64 v[26:27], -v[20:21], s[24:25]
	s_delay_alu instid0(VALU_DEP_1) | instskip(NEXT) | instid1(VALU_DEP_2)
	v_dual_add_f64 v[18:19], v[18:19], v[24:25] :: v_dual_cndmask_b32 v21, v21, v27, s0
	v_dual_cndmask_b32 v20, v20, v26, s0 :: v_dual_ashrrev_i32 v26, 31, v15
	v_cndmask_b32_e32 v27, 0x54442d18, v60, vcc_lo
	s_delay_alu instid0(VALU_DEP_2) | instskip(NEXT) | instid1(VALU_DEP_3)
	v_add_f64_e64 v[24:25], -v[20:21], s[26:27]
	v_and_b32_e32 v28, 0x54442d18, v26
	v_and_b32_e32 v15, 0x400921fb, v26
	v_add_f64_e32 v[18:19], v[48:49], v[18:19]
	s_delay_alu instid0(VALU_DEP_4) | instskip(SKIP_1) | instid1(VALU_DEP_2)
	v_dual_cndmask_b32 v20, v20, v24 :: v_dual_cndmask_b32 v21, v21, v25
	v_cmp_ngt_f64_e32 vcc_lo, -1.0, v[22:23]
	v_dual_mul_f64 v[18:19], 0.5, v[18:19] :: v_dual_cndmask_b32 v20, v20, v28, s1
	s_delay_alu instid0(VALU_DEP_3)
	v_cndmask_b32_e64 v15, v21, v15, s1
	s_and_b32 s1, s2, s3
	s_delay_alu instid0(VALU_DEP_2) | instid1(SALU_CYCLE_1)
	v_cndmask_b32_e64 v18, 0, v18, s1
	v_cmp_neq_f64_e64 s1, -1.0, v[22:23]
	s_delay_alu instid0(VALU_DEP_4) | instskip(NEXT) | instid1(VALU_DEP_1)
	v_cndmask_b32_e64 v19, 0x7ff00000, v19, s3
	v_cndmask_b32_e32 v19, 0x7ff80000, v19, vcc_lo
	s_and_b32 vcc_lo, s5, s4
	v_dual_cndmask_b32 v21, v15, v14 :: v_dual_cndmask_b32 v20, v20, v27
	s_delay_alu instid0(VALU_DEP_2)
	v_cndmask_b32_e64 v19, 0xfff00000, v19, s1
.LBB173_175:                            ;   in Loop: Header=BB173_162 Depth=1
	s_or_b32 exec_lo, exec_lo, s42
.LBB173_176:                            ;   in Loop: Header=BB173_162 Depth=1
	s_delay_alu instid0(SALU_CYCLE_1)
	s_or_b32 exec_lo, exec_lo, s41
.LBB173_177:                            ;   in Loop: Header=BB173_162 Depth=1
	s_and_not1_saveexec_b32 s3, s40
	s_cbranch_execz .LBB173_179
; %bb.178:                              ;   in Loop: Header=BB173_162 Depth=1
	v_max_num_f64_e64 v[18:19], |v[16:17]|, |v[16:17]|
	v_max_num_f64_e64 v[20:21], |v[14:15]|, |v[14:15]|
	v_cmp_class_f64_e64 s4, v[14:15], 0x204
	v_cmp_class_f64_e64 s5, v[16:17], 0x204
	v_cmp_eq_f64_e64 s2, 0, v[16:17]
	s_delay_alu instid0(VALU_DEP_4) | instskip(SKIP_2) | instid1(VALU_DEP_2)
	v_max_num_f64_e32 v[22:23], v[20:21], v[18:19]
	v_min_num_f64_e32 v[18:19], v[20:21], v[18:19]
	s_or_b32 s1, s4, s5
	v_frexp_exp_i32_f64_e32 v32, v[22:23]
	s_delay_alu instid0(VALU_DEP_1) | instskip(NEXT) | instid1(VALU_DEP_1)
	v_sub_nc_u32_e32 v26, 0, v32
	v_ldexp_f64 v[24:25], |v[16:17]|, v26
	v_ldexp_f64 v[26:27], |v[14:15]|, v26
	s_delay_alu instid0(VALU_DEP_2) | instskip(NEXT) | instid1(VALU_DEP_1)
	v_mul_f64_e32 v[24:25], v[24:25], v[24:25]
	v_fmac_f64_e32 v[24:25], v[26:27], v[26:27]
	s_delay_alu instid0(VALU_DEP_1) | instskip(SKIP_1) | instid1(TRANS32_DEP_1)
	v_rsq_f64_e32 v[26:27], v[24:25]
	v_cmp_eq_f64_e32 vcc_lo, 0, v[24:25]
	v_mul_f64_e32 v[28:29], v[24:25], v[26:27]
	v_mul_f64_e32 v[26:27], 0.5, v[26:27]
	s_delay_alu instid0(VALU_DEP_1) | instskip(NEXT) | instid1(VALU_DEP_1)
	v_fma_f64 v[30:31], -v[26:27], v[28:29], 0.5
	v_fmac_f64_e32 v[28:29], v[28:29], v[30:31]
	v_fmac_f64_e32 v[26:27], v[26:27], v[30:31]
	s_delay_alu instid0(VALU_DEP_2) | instskip(NEXT) | instid1(VALU_DEP_1)
	v_fma_f64 v[30:31], -v[28:29], v[28:29], v[24:25]
	v_fmac_f64_e32 v[28:29], v[30:31], v[26:27]
	s_delay_alu instid0(VALU_DEP_1) | instskip(NEXT) | instid1(VALU_DEP_1)
	v_dual_cndmask_b32 v25, v29, v25 :: v_dual_cndmask_b32 v24, v28, v24
	v_ldexp_f64 v[24:25], v[24:25], v32
	s_delay_alu instid0(VALU_DEP_1) | instskip(NEXT) | instid1(VALU_DEP_2)
	v_cndmask_b32_e64 v25, v25, 0x7ff00000, s1
	v_cndmask_b32_e64 v24, v24, 0, s1
	s_delay_alu instid0(VALU_DEP_1) | instskip(SKIP_1) | instid1(VALU_DEP_2)
	v_frexp_mant_f64_e32 v[26:27], v[24:25]
	v_cmp_class_f64_e64 s1, v[24:25], 0x204
	v_cmp_gt_f64_e32 vcc_lo, s[20:21], v[26:27]
	v_cndmask_b32_e64 v14, 0, 1, vcc_lo
	s_delay_alu instid0(VALU_DEP_1) | instskip(SKIP_1) | instid1(VALU_DEP_2)
	v_ldexp_f64 v[26:27], v[26:27], v14
	v_frexp_exp_i32_f64_e32 v14, v[24:25]
	v_add_f64_e32 v[28:29], 1.0, v[26:27]
	v_add_f64_e32 v[44:45], -1.0, v[26:27]
	s_delay_alu instid0(VALU_DEP_3) | instskip(SKIP_1) | instid1(VALU_DEP_4)
	v_subrev_co_ci_u32_e64 v14, null, 0, v14, vcc_lo
	v_div_scale_f64 v[52:53], vcc_lo, v[18:19], v[22:23], v[18:19]
	v_rcp_f64_e32 v[30:31], v[28:29]
	v_add_f64_e32 v[46:47], -1.0, v[28:29]
	s_delay_alu instid0(VALU_DEP_1) | instskip(NEXT) | instid1(TRANS32_DEP_1)
	v_add_f64_e64 v[26:27], v[26:27], -v[46:47]
	v_fma_f64 v[32:33], -v[28:29], v[30:31], 1.0
	s_delay_alu instid0(VALU_DEP_1) | instskip(NEXT) | instid1(VALU_DEP_1)
	v_fmac_f64_e32 v[30:31], v[32:33], v[30:31]
	v_fma_f64 v[32:33], -v[28:29], v[30:31], 1.0
	s_delay_alu instid0(VALU_DEP_1) | instskip(NEXT) | instid1(VALU_DEP_1)
	v_fmac_f64_e32 v[30:31], v[32:33], v[30:31]
	v_mul_f64_e32 v[32:33], v[44:45], v[30:31]
	s_delay_alu instid0(VALU_DEP_1) | instskip(NEXT) | instid1(VALU_DEP_1)
	v_mul_f64_e32 v[48:49], v[28:29], v[32:33]
	v_fma_f64 v[28:29], v[32:33], v[28:29], -v[48:49]
	s_delay_alu instid0(VALU_DEP_1) | instskip(NEXT) | instid1(VALU_DEP_1)
	v_fmac_f64_e32 v[28:29], v[32:33], v[26:27]
	v_add_f64_e32 v[26:27], v[48:49], v[28:29]
	s_delay_alu instid0(VALU_DEP_1) | instskip(SKIP_1) | instid1(VALU_DEP_2)
	v_add_f64_e64 v[46:47], v[44:45], -v[26:27]
	v_add_f64_e64 v[48:49], v[26:27], -v[48:49]
	;; [unrolled: 1-line block ×3, first 2 shown]
	s_delay_alu instid0(VALU_DEP_2) | instskip(NEXT) | instid1(VALU_DEP_2)
	v_add_f64_e64 v[28:29], v[48:49], -v[28:29]
	v_add_f64_e64 v[26:27], v[44:45], -v[26:27]
	s_delay_alu instid0(VALU_DEP_1) | instskip(NEXT) | instid1(VALU_DEP_1)
	v_add_f64_e32 v[26:27], v[28:29], v[26:27]
	v_add_f64_e32 v[26:27], v[46:47], v[26:27]
	s_delay_alu instid0(VALU_DEP_1) | instskip(SKIP_1) | instid1(VALU_DEP_2)
	v_mul_f64_e32 v[20:21], v[30:31], v[26:27]
	v_div_scale_f64 v[26:27], null, v[22:23], v[22:23], v[18:19]
	v_add_f64_e32 v[28:29], v[32:33], v[20:21]
	s_delay_alu instid0(VALU_DEP_2) | instskip(NEXT) | instid1(VALU_DEP_1)
	v_rcp_f64_e32 v[30:31], v[26:27]
	v_mul_f64_e32 v[44:45], v[28:29], v[28:29]
	s_delay_alu instid0(TRANS32_DEP_1) | instskip(NEXT) | instid1(VALU_DEP_2)
	v_fma_f64 v[48:49], -v[26:27], v[30:31], 1.0
	v_fmamk_f64 v[46:47], v[44:45], 0x3fc3ab76bf559e2b, v[38:39]
	v_mul_f64_e32 v[50:51], v[28:29], v[44:45]
	s_delay_alu instid0(VALU_DEP_3) | instskip(NEXT) | instid1(VALU_DEP_3)
	v_fmac_f64_e32 v[30:31], v[30:31], v[48:49]
	v_fmaak_f64 v[46:47], v[44:45], v[46:47], 0x3fc7474dd7f4df2e
	s_delay_alu instid0(VALU_DEP_1) | instskip(NEXT) | instid1(VALU_DEP_1)
	v_fmaak_f64 v[46:47], v[44:45], v[46:47], 0x3fcc71c016291751
	v_fmaak_f64 v[46:47], v[44:45], v[46:47], 0x3fd249249b27acf1
	s_delay_alu instid0(VALU_DEP_1) | instskip(NEXT) | instid1(VALU_DEP_1)
	v_fmaak_f64 v[46:47], v[44:45], v[46:47], 0x3fd99999998ef7b6
	v_fmaak_f64 v[44:45], v[44:45], v[46:47], 0x3fe5555555555780
	v_ldexp_f64 v[46:47], v[28:29], 1
	v_add_f64_e64 v[28:29], v[28:29], -v[32:33]
	v_fma_f64 v[48:49], -v[26:27], v[30:31], 1.0
	s_delay_alu instid0(VALU_DEP_4) | instskip(SKIP_1) | instid1(VALU_DEP_4)
	v_mul_f64_e32 v[44:45], v[50:51], v[44:45]
	v_cvt_f64_i32_e32 v[50:51], v14
	v_add_f64_e64 v[20:21], v[20:21], -v[28:29]
	s_delay_alu instid0(VALU_DEP_4) | instskip(NEXT) | instid1(VALU_DEP_4)
	v_fmac_f64_e32 v[30:31], v[30:31], v[48:49]
	v_add_f64_e32 v[32:33], v[46:47], v[44:45]
	s_delay_alu instid0(VALU_DEP_4) | instskip(NEXT) | instid1(VALU_DEP_4)
	v_mul_f64_e32 v[48:49], 0x3fe62e42fefa39ef, v[50:51]
	v_ldexp_f64 v[20:21], v[20:21], 1
	s_delay_alu instid0(VALU_DEP_3) | instskip(SKIP_1) | instid1(VALU_DEP_4)
	v_add_f64_e64 v[28:29], v[32:33], -v[46:47]
	v_mul_f64_e32 v[46:47], v[52:53], v[30:31]
	v_fma_f64 v[54:55], v[50:51], s[22:23], -v[48:49]
	s_delay_alu instid0(VALU_DEP_3) | instskip(NEXT) | instid1(VALU_DEP_3)
	v_add_f64_e64 v[28:29], v[44:45], -v[28:29]
	v_fma_f64 v[26:27], -v[26:27], v[46:47], v[52:53]
	s_delay_alu instid0(VALU_DEP_3) | instskip(NEXT) | instid1(VALU_DEP_3)
	v_fmac_f64_e32 v[54:55], 0x3c7abc9e3b39803f, v[50:51]
	v_add_f64_e32 v[20:21], v[20:21], v[28:29]
	s_delay_alu instid0(VALU_DEP_3) | instskip(NEXT) | instid1(VALU_DEP_3)
	v_div_fmas_f64 v[26:27], v[26:27], v[30:31], v[46:47]
	v_add_f64_e32 v[28:29], v[48:49], v[54:55]
	v_cmp_gt_i32_e32 vcc_lo, 0, v15
	s_delay_alu instid0(VALU_DEP_4) | instskip(NEXT) | instid1(VALU_DEP_4)
	v_add_f64_e32 v[30:31], v[32:33], v[20:21]
	v_div_fixup_f64 v[18:19], v[26:27], v[22:23], v[18:19]
	s_delay_alu instid0(VALU_DEP_4) | instskip(NEXT) | instid1(VALU_DEP_3)
	v_add_f64_e64 v[48:49], v[28:29], -v[48:49]
	v_add_f64_e32 v[22:23], v[28:29], v[30:31]
	s_delay_alu instid0(VALU_DEP_3) | instskip(SKIP_1) | instid1(VALU_DEP_4)
	v_mul_f64_e32 v[26:27], v[18:19], v[18:19]
	v_add_f64_e64 v[32:33], v[30:31], -v[32:33]
	v_add_f64_e64 v[48:49], v[54:55], -v[48:49]
	s_delay_alu instid0(VALU_DEP_4) | instskip(NEXT) | instid1(VALU_DEP_4)
	v_add_f64_e64 v[44:45], v[22:23], -v[28:29]
	v_fmamk_f64 v[46:47], v[26:27], 0x3eeba404b5e68a13, v[40:41]
	s_delay_alu instid0(VALU_DEP_4) | instskip(NEXT) | instid1(VALU_DEP_2)
	v_add_f64_e64 v[20:21], v[20:21], -v[32:33]
	v_fmaak_f64 v[46:47], v[26:27], v[46:47], 0x3f4b2bb069efb384
	s_delay_alu instid0(VALU_DEP_1) | instskip(NEXT) | instid1(VALU_DEP_1)
	v_fmaak_f64 v[46:47], v[26:27], v[46:47], 0xbf67952daf56de9b
	v_fmaak_f64 v[46:47], v[26:27], v[46:47], 0x3f7d6d43a595c56f
	s_delay_alu instid0(VALU_DEP_1) | instskip(SKIP_3) | instid1(VALU_DEP_4)
	v_fmaak_f64 v[46:47], v[26:27], v[46:47], 0xbf8c6ea4a57d9582
	v_add_f64_e64 v[50:51], v[22:23], -v[44:45]
	v_add_f64_e64 v[30:31], v[30:31], -v[44:45]
	v_add_f64_e32 v[44:45], v[48:49], v[20:21]
	v_fmaak_f64 v[46:47], v[26:27], v[46:47], 0x3f967e295f08b19f
	s_delay_alu instid0(VALU_DEP_1) | instskip(NEXT) | instid1(VALU_DEP_1)
	v_fmaak_f64 v[32:33], v[26:27], v[46:47], 0xbf9e9ae6fc27006a
	v_fmaak_f64 v[32:33], v[26:27], v[32:33], 0x3fa2c15b5711927a
	s_delay_alu instid0(VALU_DEP_1) | instskip(NEXT) | instid1(VALU_DEP_1)
	v_fmaak_f64 v[32:33], v[26:27], v[32:33], 0xbfa59976e82d3ff0
	v_fmaak_f64 v[32:33], v[26:27], v[32:33], 0x3fa82d5d6ef28734
	v_add_f64_e64 v[28:29], v[28:29], -v[50:51]
	s_delay_alu instid0(VALU_DEP_2) | instskip(NEXT) | instid1(VALU_DEP_2)
	v_fmaak_f64 v[32:33], v[26:27], v[32:33], 0xbfaae5ce6a214619
	v_add_f64_e32 v[28:29], v[30:31], v[28:29]
	s_delay_alu instid0(VALU_DEP_2) | instskip(SKIP_1) | instid1(VALU_DEP_2)
	v_fmaak_f64 v[30:31], v[26:27], v[32:33], 0x3fae1bb48427b883
	v_add_f64_e64 v[32:33], v[44:45], -v[48:49]
	v_fmaak_f64 v[30:31], v[26:27], v[30:31], 0xbfb110e48b207f05
	s_delay_alu instid0(VALU_DEP_1) | instskip(NEXT) | instid1(VALU_DEP_1)
	v_fmaak_f64 v[30:31], v[26:27], v[30:31], 0x3fb3b13657b87036
	v_fmaak_f64 v[30:31], v[26:27], v[30:31], 0xbfb745d119378e4f
	s_delay_alu instid0(VALU_DEP_1) | instskip(SKIP_2) | instid1(VALU_DEP_3)
	v_fmaak_f64 v[30:31], v[26:27], v[30:31], 0x3fbc71c717e1913c
	v_add_f64_e32 v[28:29], v[44:45], v[28:29]
	v_add_f64_e64 v[20:21], v[20:21], -v[32:33]
	v_fmaak_f64 v[30:31], v[26:27], v[30:31], 0xbfc2492492376b7d
	s_delay_alu instid0(VALU_DEP_1) | instskip(NEXT) | instid1(VALU_DEP_1)
	v_fmaak_f64 v[30:31], v[26:27], v[30:31], 0x3fc99999999952cc
	v_fmaak_f64 v[30:31], v[26:27], v[30:31], 0xbfd5555555555523
	s_delay_alu instid0(VALU_DEP_1) | instskip(SKIP_2) | instid1(VALU_DEP_3)
	v_mul_f64_e32 v[26:27], v[26:27], v[30:31]
	v_add_f64_e64 v[30:31], v[44:45], -v[32:33]
	v_add_f64_e32 v[44:45], v[22:23], v[28:29]
	v_fmac_f64_e32 v[18:19], v[18:19], v[26:27]
	s_delay_alu instid0(VALU_DEP_3) | instskip(NEXT) | instid1(VALU_DEP_3)
	v_add_f64_e64 v[26:27], v[48:49], -v[30:31]
	v_add_f64_e64 v[22:23], v[44:45], -v[22:23]
	s_delay_alu instid0(VALU_DEP_3) | instskip(NEXT) | instid1(VALU_DEP_3)
	v_add_f64_e64 v[30:31], -v[18:19], s[24:25]
	v_add_f64_e32 v[20:21], v[20:21], v[26:27]
	v_dual_cndmask_b32 v27, 0x54442d18, v60 :: v_dual_ashrrev_i32 v26, 31, v15
	s_delay_alu instid0(VALU_DEP_4) | instskip(NEXT) | instid1(VALU_DEP_2)
	v_add_f64_e64 v[22:23], v[28:29], -v[22:23]
	v_and_b32_e32 v28, 0x54442d18, v26
	v_dual_cndmask_b32 v19, v19, v31, s0 :: v_dual_cndmask_b32 v18, v18, v30, s0
	s_delay_alu instid0(VALU_DEP_3) | instskip(NEXT) | instid1(VALU_DEP_2)
	v_add_f64_e32 v[20:21], v[20:21], v[22:23]
	v_add_f64_e64 v[22:23], -v[18:19], s[26:27]
	s_delay_alu instid0(VALU_DEP_1) | instskip(SKIP_1) | instid1(VALU_DEP_3)
	v_dual_add_f64 v[14:15], v[44:45], v[20:21] :: v_dual_cndmask_b32 v18, v18, v22, vcc_lo
	v_cndmask_b32_e32 v20, 0x3fe921fb, v61, vcc_lo
	v_cndmask_b32_e32 v19, v19, v23, vcc_lo
	v_cmp_ngt_f64_e32 vcc_lo, 0, v[24:25]
	v_and_b32_e32 v21, 0x400921fb, v26
	v_cndmask_b32_e64 v22, v18, v28, s2
	v_bfi_b32 v20, 0x7fffffff, v20, v17
	s_delay_alu instid0(VALU_DEP_3) | instskip(SKIP_2) | instid1(VALU_DEP_2)
	v_dual_cndmask_b32 v18, v19, v21, s2 :: v_dual_cndmask_b32 v14, v14, v24, s1
	v_cndmask_b32_e64 v15, v15, v25, s1
	v_cmp_nge_f64_e64 s1, 0, v[24:25]
	v_cndmask_b32_e32 v15, 0x7ff80000, v15, vcc_lo
	s_and_b32 vcc_lo, s4, s5
	v_cndmask_b32_e32 v21, v18, v20, vcc_lo
	v_dual_cndmask_b32 v20, v22, v27, vcc_lo :: v_dual_cndmask_b32 v18, 0, v14, s1
	v_cmp_neq_f64_e64 s1, 0, v[24:25]
	s_delay_alu instid0(VALU_DEP_1)
	v_cndmask_b32_e64 v19, 0xfff00000, v15, s1
.LBB173_179:                            ;   in Loop: Header=BB173_162 Depth=1
	s_or_b32 exec_lo, exec_lo, s3
                                        ; implicit-def: $vgpr24_vgpr25
.LBB173_180:                            ;   in Loop: Header=BB173_162 Depth=1
	s_and_not1_saveexec_b32 s3, s39
	s_cbranch_execz .LBB173_186
; %bb.181:                              ;   in Loop: Header=BB173_162 Depth=1
                                        ; implicit-def: $vgpr18_vgpr19
	s_mov_b32 s1, exec_lo
	v_cmpx_ngt_f64_e32 s[30:31], v[24:25]
	s_xor_b32 s4, exec_lo, s1
	s_cbranch_execz .LBB173_183
; %bb.182:                              ;   in Loop: Header=BB173_162 Depth=1
	v_mul_f64_e32 v[18:19], v[24:25], v[24:25]
	v_cmp_eq_f64_e64 s1, 0, v[16:17]
	v_cmp_class_f64_e64 s5, v[16:17], 0x204
	v_cmp_class_f64_e64 s6, v[14:15], 0x204
	s_delay_alu instid0(VALU_DEP_4) | instskip(NEXT) | instid1(VALU_DEP_1)
	v_add_f64_e32 v[20:21], 1.0, v[18:19]
	v_frexp_mant_f64_e32 v[22:23], v[20:21]
	v_frexp_exp_i32_f64_e32 v26, v[20:21]
	s_delay_alu instid0(VALU_DEP_2) | instskip(NEXT) | instid1(VALU_DEP_2)
	v_cmp_gt_f64_e32 vcc_lo, s[20:21], v[22:23]
	v_subrev_co_ci_u32_e64 v37, null, 0, v26, vcc_lo
	s_delay_alu instid0(VALU_DEP_1) | instskip(SKIP_1) | instid1(VALU_DEP_1)
	v_sub_nc_u32_e32 v28, 0, v37
	v_add_f64_e32 v[24:25], -1.0, v[20:21]
	v_add_f64_e64 v[22:23], v[24:25], -v[20:21]
	s_delay_alu instid0(VALU_DEP_3) | instskip(SKIP_1) | instid1(VALU_DEP_3)
	v_ldexp_f64 v[20:21], v[20:21], v28
	v_add_f64_e64 v[24:25], v[18:19], -v[24:25]
	v_add_f64_e32 v[22:23], 1.0, v[22:23]
	s_delay_alu instid0(VALU_DEP_3) | instskip(SKIP_1) | instid1(VALU_DEP_3)
	v_add_f64_e32 v[26:27], 1.0, v[20:21]
	v_add_f64_e32 v[32:33], -1.0, v[20:21]
	v_add_f64_e32 v[22:23], v[24:25], v[22:23]
	s_delay_alu instid0(VALU_DEP_3) | instskip(NEXT) | instid1(VALU_DEP_3)
	v_add_f64_e32 v[24:25], -1.0, v[26:27]
	v_add_f64_e32 v[44:45], 1.0, v[32:33]
	s_delay_alu instid0(VALU_DEP_3) | instskip(NEXT) | instid1(VALU_DEP_3)
	v_ldexp_f64 v[22:23], v[22:23], v28
	v_add_f64_e64 v[24:25], v[20:21], -v[24:25]
	s_delay_alu instid0(VALU_DEP_3) | instskip(NEXT) | instid1(VALU_DEP_2)
	v_add_f64_e64 v[20:21], v[20:21], -v[44:45]
	v_add_f64_e32 v[24:25], v[22:23], v[24:25]
	s_delay_alu instid0(VALU_DEP_2) | instskip(NEXT) | instid1(VALU_DEP_2)
	v_add_f64_e32 v[20:21], v[22:23], v[20:21]
	v_add_f64_e32 v[28:29], v[26:27], v[24:25]
	s_delay_alu instid0(VALU_DEP_2) | instskip(NEXT) | instid1(VALU_DEP_2)
	v_add_f64_e32 v[44:45], v[32:33], v[20:21]
	v_rcp_f64_e32 v[30:31], v[28:29]
	v_add_f64_e64 v[26:27], v[26:27], -v[28:29]
	s_delay_alu instid0(VALU_DEP_2) | instskip(NEXT) | instid1(VALU_DEP_2)
	v_add_f64_e64 v[32:33], v[32:33], -v[44:45]
	v_add_f64_e32 v[24:25], v[24:25], v[26:27]
	s_delay_alu instid0(VALU_DEP_2) | instskip(NEXT) | instid1(TRANS32_DEP_1)
	v_add_f64_e32 v[20:21], v[20:21], v[32:33]
	v_fma_f64 v[46:47], -v[28:29], v[30:31], 1.0
	s_delay_alu instid0(VALU_DEP_1) | instskip(NEXT) | instid1(VALU_DEP_1)
	v_fmac_f64_e32 v[30:31], v[46:47], v[30:31]
	v_fma_f64 v[22:23], -v[28:29], v[30:31], 1.0
	s_delay_alu instid0(VALU_DEP_1) | instskip(NEXT) | instid1(VALU_DEP_1)
	v_fmac_f64_e32 v[30:31], v[22:23], v[30:31]
	v_mul_f64_e32 v[22:23], v[44:45], v[30:31]
	s_delay_alu instid0(VALU_DEP_1) | instskip(NEXT) | instid1(VALU_DEP_1)
	v_mul_f64_e32 v[46:47], v[28:29], v[22:23]
	v_fma_f64 v[26:27], v[22:23], v[28:29], -v[46:47]
	s_delay_alu instid0(VALU_DEP_1) | instskip(NEXT) | instid1(VALU_DEP_1)
	v_fmac_f64_e32 v[26:27], v[22:23], v[24:25]
	v_add_f64_e32 v[48:49], v[46:47], v[26:27]
	s_delay_alu instid0(VALU_DEP_1) | instskip(SKIP_1) | instid1(VALU_DEP_2)
	v_add_f64_e64 v[50:51], v[44:45], -v[48:49]
	v_add_f64_e64 v[32:33], v[48:49], -v[46:47]
	;; [unrolled: 1-line block ×3, first 2 shown]
	s_delay_alu instid0(VALU_DEP_2) | instskip(NEXT) | instid1(VALU_DEP_2)
	v_add_f64_e64 v[26:27], v[32:33], -v[26:27]
	v_add_f64_e64 v[44:45], v[44:45], -v[48:49]
	s_delay_alu instid0(VALU_DEP_1) | instskip(NEXT) | instid1(VALU_DEP_1)
	v_add_f64_e32 v[20:21], v[20:21], v[44:45]
	v_add_f64_e32 v[20:21], v[26:27], v[20:21]
	s_delay_alu instid0(VALU_DEP_1) | instskip(NEXT) | instid1(VALU_DEP_1)
	v_add_f64_e32 v[26:27], v[50:51], v[20:21]
	v_mul_f64_e32 v[32:33], v[30:31], v[26:27]
	v_add_f64_e64 v[48:49], v[50:51], -v[26:27]
	s_delay_alu instid0(VALU_DEP_2) | instskip(NEXT) | instid1(VALU_DEP_2)
	v_mul_f64_e32 v[44:45], v[28:29], v[32:33]
	v_add_f64_e32 v[20:21], v[20:21], v[48:49]
	s_delay_alu instid0(VALU_DEP_2) | instskip(NEXT) | instid1(VALU_DEP_1)
	v_fma_f64 v[28:29], v[32:33], v[28:29], -v[44:45]
	v_fmac_f64_e32 v[28:29], v[32:33], v[24:25]
	s_delay_alu instid0(VALU_DEP_1) | instskip(NEXT) | instid1(VALU_DEP_1)
	v_add_f64_e32 v[24:25], v[44:45], v[28:29]
	v_add_f64_e64 v[46:47], v[26:27], -v[24:25]
	v_add_f64_e64 v[44:45], v[24:25], -v[44:45]
	s_delay_alu instid0(VALU_DEP_2) | instskip(NEXT) | instid1(VALU_DEP_1)
	v_add_f64_e64 v[26:27], v[26:27], -v[46:47]
	v_add_f64_e64 v[24:25], v[26:27], -v[24:25]
	s_delay_alu instid0(VALU_DEP_3) | instskip(SKIP_1) | instid1(VALU_DEP_3)
	v_add_f64_e64 v[26:27], v[44:45], -v[28:29]
	v_max_num_f64_e64 v[28:29], |v[14:15]|, |v[14:15]|
	v_add_f64_e32 v[20:21], v[20:21], v[24:25]
	v_add_f64_e32 v[24:25], v[22:23], v[32:33]
	s_delay_alu instid0(VALU_DEP_2) | instskip(NEXT) | instid1(VALU_DEP_2)
	v_add_f64_e32 v[20:21], v[26:27], v[20:21]
	v_add_f64_e64 v[22:23], v[24:25], -v[22:23]
	v_max_num_f64_e64 v[26:27], |v[16:17]|, |v[16:17]|
	s_delay_alu instid0(VALU_DEP_3) | instskip(NEXT) | instid1(VALU_DEP_3)
	v_add_f64_e32 v[20:21], v[46:47], v[20:21]
	v_add_f64_e64 v[22:23], v[32:33], -v[22:23]
	s_delay_alu instid0(VALU_DEP_2) | instskip(NEXT) | instid1(VALU_DEP_1)
	v_mul_f64_e32 v[20:21], v[30:31], v[20:21]
	v_add_f64_e32 v[20:21], v[22:23], v[20:21]
	v_max_num_f64_e32 v[22:23], v[28:29], v[26:27]
	v_min_num_f64_e32 v[26:27], v[28:29], v[26:27]
	s_delay_alu instid0(VALU_DEP_3) | instskip(NEXT) | instid1(VALU_DEP_2)
	v_add_f64_e32 v[28:29], v[24:25], v[20:21]
	v_div_scale_f64 v[30:31], null, v[22:23], v[22:23], v[26:27]
	s_delay_alu instid0(VALU_DEP_2) | instskip(SKIP_1) | instid1(VALU_DEP_3)
	v_mul_f64_e32 v[32:33], v[28:29], v[28:29]
	v_add_f64_e64 v[24:25], v[28:29], -v[24:25]
	v_rcp_f64_e32 v[44:45], v[30:31]
	s_delay_alu instid0(VALU_DEP_2) | instskip(SKIP_1) | instid1(VALU_DEP_3)
	v_fmamk_f64 v[46:47], v[32:33], 0x3fc3ab76bf559e2b, v[38:39]
	v_mul_f64_e32 v[48:49], v[28:29], v[32:33]
	v_add_f64_e64 v[20:21], v[20:21], -v[24:25]
	s_delay_alu instid0(VALU_DEP_3) | instskip(NEXT) | instid1(TRANS32_DEP_1)
	v_fmaak_f64 v[46:47], v[32:33], v[46:47], 0x3fc7474dd7f4df2e
	v_fma_f64 v[50:51], -v[30:31], v[44:45], 1.0
	s_delay_alu instid0(VALU_DEP_2) | instskip(NEXT) | instid1(VALU_DEP_1)
	v_fmaak_f64 v[46:47], v[32:33], v[46:47], 0x3fcc71c016291751
	v_fmaak_f64 v[46:47], v[32:33], v[46:47], 0x3fd249249b27acf1
	s_delay_alu instid0(VALU_DEP_1) | instskip(SKIP_1) | instid1(VALU_DEP_2)
	v_fmaak_f64 v[46:47], v[32:33], v[46:47], 0x3fd99999998ef7b6
	v_ldexp_f64 v[20:21], v[20:21], 1
	v_fmaak_f64 v[32:33], v[32:33], v[46:47], 0x3fe5555555555780
	v_ldexp_f64 v[46:47], v[28:29], 1
	v_fmac_f64_e32 v[44:45], v[44:45], v[50:51]
	s_delay_alu instid0(VALU_DEP_3) | instskip(SKIP_1) | instid1(VALU_DEP_3)
	v_mul_f64_e32 v[32:33], v[48:49], v[32:33]
	v_cvt_f64_i32_e32 v[48:49], v37
	v_fma_f64 v[50:51], -v[30:31], v[44:45], 1.0
	s_delay_alu instid0(VALU_DEP_3) | instskip(NEXT) | instid1(VALU_DEP_3)
	v_add_f64_e32 v[28:29], v[46:47], v[32:33]
	v_mul_f64_e32 v[52:53], 0x3fe62e42fefa39ef, v[48:49]
	s_delay_alu instid0(VALU_DEP_3) | instskip(NEXT) | instid1(VALU_DEP_3)
	v_fmac_f64_e32 v[44:45], v[44:45], v[50:51]
	v_add_f64_e64 v[24:25], v[28:29], -v[46:47]
	v_div_scale_f64 v[46:47], vcc_lo, v[26:27], v[22:23], v[26:27]
	s_delay_alu instid0(VALU_DEP_4) | instskip(NEXT) | instid1(VALU_DEP_3)
	v_fma_f64 v[50:51], v[48:49], s[22:23], -v[52:53]
	v_add_f64_e64 v[24:25], v[32:33], -v[24:25]
	s_delay_alu instid0(VALU_DEP_3) | instskip(NEXT) | instid1(VALU_DEP_3)
	v_mul_f64_e32 v[32:33], v[46:47], v[44:45]
	v_fmac_f64_e32 v[50:51], 0x3c7abc9e3b39803f, v[48:49]
	s_delay_alu instid0(VALU_DEP_3) | instskip(NEXT) | instid1(VALU_DEP_3)
	v_add_f64_e32 v[20:21], v[20:21], v[24:25]
	v_fma_f64 v[24:25], -v[30:31], v[32:33], v[46:47]
	s_delay_alu instid0(VALU_DEP_3) | instskip(NEXT) | instid1(VALU_DEP_3)
	v_add_f64_e32 v[30:31], v[52:53], v[50:51]
	v_add_f64_e32 v[46:47], v[28:29], v[20:21]
	s_delay_alu instid0(VALU_DEP_3) | instskip(SKIP_1) | instid1(VALU_DEP_4)
	v_div_fmas_f64 v[24:25], v[24:25], v[44:45], v[32:33]
	v_cmp_gt_i32_e32 vcc_lo, 0, v15
	v_add_f64_e64 v[44:45], v[30:31], -v[52:53]
	s_delay_alu instid0(VALU_DEP_4) | instskip(NEXT) | instid1(VALU_DEP_4)
	v_add_f64_e32 v[32:33], v[30:31], v[46:47]
	v_div_fixup_f64 v[22:23], v[24:25], v[22:23], v[26:27]
	v_add_f64_e64 v[28:29], v[46:47], -v[28:29]
	s_delay_alu instid0(VALU_DEP_4) | instskip(NEXT) | instid1(VALU_DEP_4)
	v_add_f64_e64 v[44:45], v[50:51], -v[44:45]
	v_add_f64_e64 v[24:25], v[32:33], -v[30:31]
	s_delay_alu instid0(VALU_DEP_4) | instskip(NEXT) | instid1(VALU_DEP_4)
	v_mul_f64_e32 v[26:27], v[22:23], v[22:23]
	v_add_f64_e64 v[20:21], v[20:21], -v[28:29]
	s_delay_alu instid0(VALU_DEP_3) | instskip(NEXT) | instid1(VALU_DEP_3)
	v_add_f64_e64 v[48:49], v[32:33], -v[24:25]
	v_fmamk_f64 v[52:53], v[26:27], 0x3eeba404b5e68a13, v[40:41]
	v_add_f64_e64 v[24:25], v[46:47], -v[24:25]
	s_delay_alu instid0(VALU_DEP_4) | instskip(NEXT) | instid1(VALU_DEP_3)
	v_add_f64_e32 v[46:47], v[44:45], v[20:21]
	v_fmaak_f64 v[52:53], v[26:27], v[52:53], 0x3f4b2bb069efb384
	s_delay_alu instid0(VALU_DEP_1) | instskip(SKIP_1) | instid1(VALU_DEP_2)
	v_fmaak_f64 v[52:53], v[26:27], v[52:53], 0xbf67952daf56de9b
	v_add_f64_e64 v[28:29], v[30:31], -v[48:49]
	v_fmaak_f64 v[30:31], v[26:27], v[52:53], 0x3f7d6d43a595c56f
	s_delay_alu instid0(VALU_DEP_1) | instskip(NEXT) | instid1(VALU_DEP_1)
	v_fmaak_f64 v[30:31], v[26:27], v[30:31], 0xbf8c6ea4a57d9582
	v_fmaak_f64 v[30:31], v[26:27], v[30:31], 0x3f967e295f08b19f
	s_delay_alu instid0(VALU_DEP_1) | instskip(NEXT) | instid1(VALU_DEP_1)
	v_fmaak_f64 v[30:31], v[26:27], v[30:31], 0xbf9e9ae6fc27006a
	v_fmaak_f64 v[30:31], v[26:27], v[30:31], 0x3fa2c15b5711927a
	v_add_f64_e32 v[24:25], v[24:25], v[28:29]
	s_delay_alu instid0(VALU_DEP_2) | instskip(SKIP_1) | instid1(VALU_DEP_2)
	v_fmaak_f64 v[28:29], v[26:27], v[30:31], 0xbfa59976e82d3ff0
	v_add_f64_e64 v[30:31], v[46:47], -v[44:45]
	v_fmaak_f64 v[28:29], v[26:27], v[28:29], 0x3fa82d5d6ef28734
	s_delay_alu instid0(VALU_DEP_1) | instskip(NEXT) | instid1(VALU_DEP_1)
	v_fmaak_f64 v[28:29], v[26:27], v[28:29], 0xbfaae5ce6a214619
	v_fmaak_f64 v[28:29], v[26:27], v[28:29], 0x3fae1bb48427b883
	s_delay_alu instid0(VALU_DEP_1) | instskip(SKIP_3) | instid1(VALU_DEP_4)
	v_fmaak_f64 v[28:29], v[26:27], v[28:29], 0xbfb110e48b207f05
	v_add_f64_e32 v[24:25], v[46:47], v[24:25]
	v_add_f64_e64 v[46:47], v[46:47], -v[30:31]
	v_add_f64_e64 v[20:21], v[20:21], -v[30:31]
	v_fmaak_f64 v[28:29], v[26:27], v[28:29], 0x3fb3b13657b87036
	s_delay_alu instid0(VALU_DEP_1) | instskip(NEXT) | instid1(VALU_DEP_1)
	v_fmaak_f64 v[28:29], v[26:27], v[28:29], 0xbfb745d119378e4f
	v_fmaak_f64 v[28:29], v[26:27], v[28:29], 0x3fbc71c717e1913c
	s_delay_alu instid0(VALU_DEP_1) | instskip(SKIP_1) | instid1(VALU_DEP_2)
	v_fmaak_f64 v[28:29], v[26:27], v[28:29], 0xbfc2492492376b7d
	v_add_f64_e32 v[48:49], v[32:33], v[24:25]
	v_fmaak_f64 v[28:29], v[26:27], v[28:29], 0x3fc99999999952cc
	s_delay_alu instid0(VALU_DEP_1) | instskip(NEXT) | instid1(VALU_DEP_1)
	v_fmaak_f64 v[28:29], v[26:27], v[28:29], 0xbfd5555555555523
	v_mul_f64_e32 v[26:27], v[26:27], v[28:29]
	v_add_f64_e64 v[28:29], v[44:45], -v[46:47]
	v_add_f64_e64 v[30:31], v[48:49], -v[32:33]
	s_delay_alu instid0(VALU_DEP_3) | instskip(NEXT) | instid1(VALU_DEP_3)
	v_fmac_f64_e32 v[22:23], v[22:23], v[26:27]
	v_add_f64_e32 v[20:21], v[20:21], v[28:29]
	s_delay_alu instid0(VALU_DEP_3) | instskip(NEXT) | instid1(VALU_DEP_3)
	v_add_f64_e64 v[24:25], v[24:25], -v[30:31]
	v_add_f64_e64 v[26:27], -v[22:23], s[24:25]
	s_delay_alu instid0(VALU_DEP_1) | instskip(NEXT) | instid1(VALU_DEP_2)
	v_dual_add_f64 v[20:21], v[20:21], v[24:25] :: v_dual_cndmask_b32 v23, v23, v27, s0
	v_dual_cndmask_b32 v22, v22, v26, s0 :: v_dual_ashrrev_i32 v26, 31, v15
	v_cmp_neq_f64_e64 s2, 0x7ff00000, v[18:19]
	v_cndmask_b32_e32 v18, 0x3fe921fb, v61, vcc_lo
	v_cndmask_b32_e32 v27, 0x54442d18, v60, vcc_lo
	s_delay_alu instid0(VALU_DEP_4)
	v_add_f64_e64 v[24:25], -v[22:23], s[26:27]
	v_and_b32_e32 v28, 0x54442d18, v26
	v_and_b32_e32 v19, 0x400921fb, v26
	v_bfi_b32 v18, 0x7fffffff, v18, v17
	v_add_f64_e32 v[20:21], v[48:49], v[20:21]
	v_cndmask_b32_e32 v22, v22, v24, vcc_lo
	s_delay_alu instid0(VALU_DEP_1) | instskip(NEXT) | instid1(VALU_DEP_3)
	v_cndmask_b32_e64 v22, v22, v28, s1
	v_mul_f64_e32 v[14:15], 0.5, v[20:21]
	v_cndmask_b32_e32 v20, v23, v25, vcc_lo
	s_and_b32 vcc_lo, s6, s5
                                        ; implicit-def: $vgpr24_vgpr25
	s_delay_alu instid0(VALU_DEP_1) | instskip(NEXT) | instid1(VALU_DEP_1)
	v_cndmask_b32_e64 v19, v20, v19, s1
	v_dual_cndmask_b32 v20, v22, v27 :: v_dual_cndmask_b32 v21, v19, v18
	s_delay_alu instid0(VALU_DEP_4)
	v_cndmask_b32_e64 v19, 0x7ff00000, v15, s2
	v_cndmask_b32_e64 v18, 0, v14, s2
.LBB173_183:                            ;   in Loop: Header=BB173_162 Depth=1
	s_and_not1_saveexec_b32 s2, s4
	s_cbranch_execz .LBB173_185
; %bb.184:                              ;   in Loop: Header=BB173_162 Depth=1
	v_max_num_f64_e64 v[18:19], |v[16:17]|, |v[16:17]|
	v_max_num_f64_e64 v[20:21], |v[14:15]|, |v[14:15]|
	v_cmp_eq_f64_e64 s1, 0, v[16:17]
	v_cmp_class_f64_e64 s4, v[16:17], 0x204
	v_cmp_class_f64_e64 s5, v[14:15], 0x204
	s_delay_alu instid0(VALU_DEP_4) | instskip(SKIP_1) | instid1(VALU_DEP_1)
	v_max_num_f64_e32 v[22:23], v[20:21], v[18:19]
	v_min_num_f64_e32 v[18:19], v[20:21], v[18:19]
	v_div_scale_f64 v[20:21], null, v[22:23], v[22:23], v[18:19]
	v_div_scale_f64 v[30:31], vcc_lo, v[18:19], v[22:23], v[18:19]
	s_delay_alu instid0(VALU_DEP_2) | instskip(SKIP_1) | instid1(TRANS32_DEP_1)
	v_rcp_f64_e32 v[26:27], v[20:21]
	v_nop
	v_fma_f64 v[28:29], -v[20:21], v[26:27], 1.0
	s_delay_alu instid0(VALU_DEP_1) | instskip(NEXT) | instid1(VALU_DEP_1)
	v_fmac_f64_e32 v[26:27], v[26:27], v[28:29]
	v_fma_f64 v[28:29], -v[20:21], v[26:27], 1.0
	s_delay_alu instid0(VALU_DEP_1) | instskip(NEXT) | instid1(VALU_DEP_1)
	v_fmac_f64_e32 v[26:27], v[26:27], v[28:29]
	v_mul_f64_e32 v[28:29], v[30:31], v[26:27]
	s_delay_alu instid0(VALU_DEP_1) | instskip(NEXT) | instid1(VALU_DEP_1)
	v_fma_f64 v[20:21], -v[20:21], v[28:29], v[30:31]
	v_div_fmas_f64 v[20:21], v[20:21], v[26:27], v[28:29]
	v_cmp_gt_i32_e32 vcc_lo, 0, v15
	v_ashrrev_i32_e32 v26, 31, v15
	v_cndmask_b32_e32 v14, 0x3fe921fb, v61, vcc_lo
	s_delay_alu instid0(VALU_DEP_2) | instskip(SKIP_2) | instid1(VALU_DEP_4)
	v_and_b32_e32 v28, 0x54442d18, v26
	v_and_b32_e32 v15, 0x400921fb, v26
	v_cndmask_b32_e32 v27, 0x54442d18, v60, vcc_lo
	v_bfi_b32 v14, 0x7fffffff, v14, v17
	v_div_fixup_f64 v[18:19], v[20:21], v[22:23], v[18:19]
	s_delay_alu instid0(VALU_DEP_1) | instskip(NEXT) | instid1(VALU_DEP_1)
	v_mul_f64_e32 v[20:21], v[18:19], v[18:19]
	v_fmamk_f64 v[22:23], v[20:21], 0x3eeba404b5e68a13, v[40:41]
	s_delay_alu instid0(VALU_DEP_1) | instskip(NEXT) | instid1(VALU_DEP_1)
	v_fmaak_f64 v[22:23], v[20:21], v[22:23], 0x3f4b2bb069efb384
	v_fmaak_f64 v[22:23], v[20:21], v[22:23], 0xbf67952daf56de9b
	s_delay_alu instid0(VALU_DEP_1) | instskip(NEXT) | instid1(VALU_DEP_1)
	v_fmaak_f64 v[22:23], v[20:21], v[22:23], 0x3f7d6d43a595c56f
	v_fmaak_f64 v[22:23], v[20:21], v[22:23], 0xbf8c6ea4a57d9582
	;; [unrolled: 3-line block ×9, first 2 shown]
	s_delay_alu instid0(VALU_DEP_1) | instskip(NEXT) | instid1(VALU_DEP_1)
	v_mul_f64_e32 v[20:21], v[20:21], v[22:23]
	v_fmac_f64_e32 v[18:19], v[18:19], v[20:21]
	s_delay_alu instid0(VALU_DEP_1) | instskip(NEXT) | instid1(VALU_DEP_1)
	v_add_f64_e64 v[20:21], -v[18:19], s[24:25]
	v_dual_cndmask_b32 v21, v19, v21, s0 :: v_dual_cndmask_b32 v20, v18, v20, s0
	v_mul_f64_e32 v[18:19], 0.5, v[24:25]
	s_delay_alu instid0(VALU_DEP_1) | instskip(NEXT) | instid1(VALU_DEP_3)
	v_mul_f64_e32 v[18:19], v[24:25], v[18:19]
	v_add_f64_e64 v[22:23], -v[20:21], s[26:27]
	s_delay_alu instid0(VALU_DEP_1) | instskip(SKIP_1) | instid1(VALU_DEP_1)
	v_dual_cndmask_b32 v20, v20, v22 :: v_dual_cndmask_b32 v21, v21, v23
	s_and_b32 vcc_lo, s5, s4
	v_dual_cndmask_b32 v20, v20, v28, s1 :: v_dual_cndmask_b32 v15, v21, v15, s1
	s_delay_alu instid0(VALU_DEP_1)
	v_dual_cndmask_b32 v20, v20, v27 :: v_dual_cndmask_b32 v21, v15, v14
.LBB173_185:                            ;   in Loop: Header=BB173_162 Depth=1
	s_or_b32 exec_lo, exec_lo, s2
.LBB173_186:                            ;   in Loop: Header=BB173_162 Depth=1
	s_delay_alu instid0(SALU_CYCLE_1)
	s_or_b32 exec_lo, exec_lo, s3
.LBB173_187:                            ;   in Loop: Header=BB173_162 Depth=1
	s_and_not1_saveexec_b32 s2, s38
	s_cbranch_execz .LBB173_189
; %bb.188:                              ;   in Loop: Header=BB173_162 Depth=1
	v_div_scale_f64 v[18:19], null, s[34:35], s[34:35], v[14:15]
	v_div_scale_f64 v[20:21], null, s[34:35], s[34:35], v[16:17]
	v_div_scale_f64 v[30:31], vcc_lo, v[14:15], s[34:35], v[14:15]
	s_delay_alu instid0(VALU_DEP_3) | instskip(NEXT) | instid1(VALU_DEP_2)
	v_rcp_f64_e32 v[22:23], v[18:19]
	v_rcp_f64_e32 v[24:25], v[20:21]
	s_delay_alu instid0(TRANS32_DEP_2) | instskip(NEXT) | instid1(TRANS32_DEP_1)
	v_fma_f64 v[26:27], -v[18:19], v[22:23], 1.0
	v_fma_f64 v[28:29], -v[20:21], v[24:25], 1.0
	s_delay_alu instid0(VALU_DEP_2) | instskip(NEXT) | instid1(VALU_DEP_2)
	v_fmac_f64_e32 v[22:23], v[22:23], v[26:27]
	v_fmac_f64_e32 v[24:25], v[24:25], v[28:29]
	s_delay_alu instid0(VALU_DEP_2) | instskip(NEXT) | instid1(VALU_DEP_2)
	v_fma_f64 v[26:27], -v[18:19], v[22:23], 1.0
	v_fma_f64 v[28:29], -v[20:21], v[24:25], 1.0
	s_delay_alu instid0(VALU_DEP_2) | instskip(SKIP_1) | instid1(VALU_DEP_3)
	v_fmac_f64_e32 v[22:23], v[22:23], v[26:27]
	v_div_scale_f64 v[26:27], s1, v[16:17], s[34:35], v[16:17]
	v_fmac_f64_e32 v[24:25], v[24:25], v[28:29]
	s_delay_alu instid0(VALU_DEP_3) | instskip(NEXT) | instid1(VALU_DEP_2)
	v_mul_f64_e32 v[28:29], v[30:31], v[22:23]
	v_mul_f64_e32 v[32:33], v[26:27], v[24:25]
	s_delay_alu instid0(VALU_DEP_2) | instskip(NEXT) | instid1(VALU_DEP_2)
	v_fma_f64 v[18:19], -v[18:19], v[28:29], v[30:31]
	v_fma_f64 v[20:21], -v[20:21], v[32:33], v[26:27]
	s_delay_alu instid0(VALU_DEP_2) | instskip(SKIP_1) | instid1(VALU_DEP_2)
	v_div_fmas_f64 v[18:19], v[18:19], v[22:23], v[28:29]
	s_mov_b32 vcc_lo, s1
	v_div_fmas_f64 v[20:21], v[20:21], v[24:25], v[32:33]
	s_delay_alu instid0(VALU_DEP_2) | instskip(NEXT) | instid1(VALU_DEP_2)
	v_div_fixup_f64 v[18:19], v[18:19], s[34:35], v[14:15]
	v_div_fixup_f64 v[20:21], v[20:21], s[34:35], v[16:17]
	s_delay_alu instid0(VALU_DEP_2) | instskip(NEXT) | instid1(VALU_DEP_2)
	v_cmp_class_f64_e64 s1, v[18:19], 0x204
	v_max_num_f64_e64 v[22:23], |v[18:19]|, |v[20:21]|
	v_cmp_class_f64_e64 s3, v[20:21], 0x204
	s_delay_alu instid0(VALU_DEP_2) | instskip(SKIP_2) | instid1(VALU_DEP_2)
	v_frexp_exp_i32_f64_e32 v30, v[22:23]
	s_or_b32 s1, s1, s3
	v_cmp_class_f64_e64 s3, v[14:15], 0x204
	v_sub_nc_u32_e32 v24, 0, v30
	s_delay_alu instid0(VALU_DEP_1) | instskip(SKIP_1) | instid1(VALU_DEP_2)
	v_ldexp_f64 v[22:23], |v[20:21]|, v24
	v_ldexp_f64 v[24:25], |v[18:19]|, v24
	v_mul_f64_e32 v[22:23], v[22:23], v[22:23]
	s_delay_alu instid0(VALU_DEP_1) | instskip(NEXT) | instid1(VALU_DEP_1)
	v_fmac_f64_e32 v[22:23], v[24:25], v[24:25]
	v_rsq_f64_e32 v[24:25], v[22:23]
	v_cmp_eq_f64_e32 vcc_lo, 0, v[22:23]
	s_delay_alu instid0(TRANS32_DEP_1) | instskip(SKIP_1) | instid1(VALU_DEP_1)
	v_mul_f64_e32 v[26:27], v[22:23], v[24:25]
	v_mul_f64_e32 v[24:25], 0.5, v[24:25]
	v_fma_f64 v[28:29], -v[24:25], v[26:27], 0.5
	s_delay_alu instid0(VALU_DEP_1) | instskip(SKIP_1) | instid1(VALU_DEP_2)
	v_fmac_f64_e32 v[26:27], v[26:27], v[28:29]
	v_fmac_f64_e32 v[24:25], v[24:25], v[28:29]
	v_fma_f64 v[28:29], -v[26:27], v[26:27], v[22:23]
	s_delay_alu instid0(VALU_DEP_1) | instskip(NEXT) | instid1(VALU_DEP_1)
	v_fmac_f64_e32 v[26:27], v[28:29], v[24:25]
	v_dual_cndmask_b32 v23, v27, v23 :: v_dual_cndmask_b32 v22, v26, v22
	v_cmp_o_f64_e32 vcc_lo, v[18:19], v[20:21]
	s_delay_alu instid0(VALU_DEP_2) | instskip(NEXT) | instid1(VALU_DEP_1)
	v_ldexp_f64 v[22:23], v[22:23], v30
	v_cndmask_b32_e32 v18, 0, v22, vcc_lo
	s_delay_alu instid0(VALU_DEP_2) | instskip(NEXT) | instid1(VALU_DEP_2)
	v_cndmask_b32_e32 v19, 0x7ff80000, v23, vcc_lo
	v_cndmask_b32_e64 v22, v18, 0, s1
	s_delay_alu instid0(VALU_DEP_2) | instskip(SKIP_1) | instid1(VALU_DEP_2)
	v_cndmask_b32_e64 v23, v19, 0x7ff00000, s1
	v_cmp_class_f64_e64 s1, v[16:17], 0x204
	v_frexp_mant_f64_e32 v[18:19], v[22:23]
	v_frexp_exp_i32_f64_e32 v37, v[22:23]
	s_delay_alu instid0(VALU_DEP_2) | instskip(SKIP_1) | instid1(VALU_DEP_3)
	v_cmp_gt_f64_e32 vcc_lo, s[20:21], v[18:19]
	v_cndmask_b32_e64 v20, 0, 1, vcc_lo
	v_subrev_co_ci_u32_e64 v37, null, 0, v37, vcc_lo
	s_delay_alu instid0(VALU_DEP_2) | instskip(NEXT) | instid1(VALU_DEP_1)
	v_ldexp_f64 v[18:19], v[18:19], v20
	v_add_f64_e32 v[20:21], 1.0, v[18:19]
	v_add_f64_e32 v[28:29], -1.0, v[18:19]
	s_delay_alu instid0(VALU_DEP_2) | instskip(SKIP_1) | instid1(VALU_DEP_1)
	v_rcp_f64_e32 v[24:25], v[20:21]
	v_add_f64_e32 v[30:31], -1.0, v[20:21]
	v_add_f64_e64 v[18:19], v[18:19], -v[30:31]
	s_delay_alu instid0(TRANS32_DEP_1) | instskip(NEXT) | instid1(VALU_DEP_1)
	v_fma_f64 v[26:27], -v[20:21], v[24:25], 1.0
	v_fmac_f64_e32 v[24:25], v[26:27], v[24:25]
	s_delay_alu instid0(VALU_DEP_1) | instskip(NEXT) | instid1(VALU_DEP_1)
	v_fma_f64 v[26:27], -v[20:21], v[24:25], 1.0
	v_fmac_f64_e32 v[24:25], v[26:27], v[24:25]
	s_delay_alu instid0(VALU_DEP_1) | instskip(NEXT) | instid1(VALU_DEP_1)
	v_mul_f64_e32 v[26:27], v[28:29], v[24:25]
	v_mul_f64_e32 v[32:33], v[20:21], v[26:27]
	s_delay_alu instid0(VALU_DEP_1) | instskip(NEXT) | instid1(VALU_DEP_1)
	v_fma_f64 v[20:21], v[26:27], v[20:21], -v[32:33]
	v_fmac_f64_e32 v[20:21], v[26:27], v[18:19]
	s_delay_alu instid0(VALU_DEP_1) | instskip(NEXT) | instid1(VALU_DEP_1)
	v_add_f64_e32 v[18:19], v[32:33], v[20:21]
	v_add_f64_e64 v[30:31], v[28:29], -v[18:19]
	v_add_f64_e64 v[32:33], v[18:19], -v[32:33]
	s_delay_alu instid0(VALU_DEP_2) | instskip(NEXT) | instid1(VALU_DEP_2)
	v_add_f64_e64 v[28:29], v[28:29], -v[30:31]
	v_add_f64_e64 v[20:21], v[32:33], -v[20:21]
	s_delay_alu instid0(VALU_DEP_2) | instskip(SKIP_1) | instid1(VALU_DEP_2)
	v_add_f64_e64 v[18:19], v[28:29], -v[18:19]
	v_max_num_f64_e64 v[28:29], |v[14:15]|, |v[14:15]|
	v_add_f64_e32 v[18:19], v[20:21], v[18:19]
	v_max_num_f64_e64 v[20:21], |v[16:17]|, |v[16:17]|
	s_delay_alu instid0(VALU_DEP_2) | instskip(NEXT) | instid1(VALU_DEP_1)
	v_add_f64_e32 v[18:19], v[30:31], v[18:19]
	v_mul_f64_e32 v[18:19], v[24:25], v[18:19]
	s_delay_alu instid0(VALU_DEP_3) | instskip(SKIP_1) | instid1(VALU_DEP_3)
	v_max_num_f64_e32 v[24:25], v[28:29], v[20:21]
	v_min_num_f64_e32 v[20:21], v[28:29], v[20:21]
	v_add_f64_e32 v[28:29], v[26:27], v[18:19]
	s_delay_alu instid0(VALU_DEP_2) | instskip(NEXT) | instid1(VALU_DEP_2)
	v_div_scale_f64 v[30:31], null, v[24:25], v[24:25], v[20:21]
	v_mul_f64_e32 v[32:33], v[28:29], v[28:29]
	v_add_f64_e64 v[26:27], v[28:29], -v[26:27]
	s_delay_alu instid0(VALU_DEP_3) | instskip(NEXT) | instid1(VALU_DEP_2)
	v_rcp_f64_e32 v[44:45], v[30:31]
	v_fmamk_f64 v[46:47], v[32:33], 0x3fc3ab76bf559e2b, v[38:39]
	v_mul_f64_e32 v[48:49], v[28:29], v[32:33]
	s_delay_alu instid0(VALU_DEP_3) | instskip(NEXT) | instid1(VALU_DEP_3)
	v_add_f64_e64 v[18:19], v[18:19], -v[26:27]
	v_fmaak_f64 v[46:47], v[32:33], v[46:47], 0x3fc7474dd7f4df2e
	s_delay_alu instid0(TRANS32_DEP_1) | instskip(NEXT) | instid1(VALU_DEP_2)
	v_fma_f64 v[50:51], -v[30:31], v[44:45], 1.0
	v_fmaak_f64 v[46:47], v[32:33], v[46:47], 0x3fcc71c016291751
	s_delay_alu instid0(VALU_DEP_1) | instskip(NEXT) | instid1(VALU_DEP_1)
	v_fmaak_f64 v[46:47], v[32:33], v[46:47], 0x3fd249249b27acf1
	v_fmaak_f64 v[46:47], v[32:33], v[46:47], 0x3fd99999998ef7b6
	v_ldexp_f64 v[18:19], v[18:19], 1
	s_delay_alu instid0(VALU_DEP_2) | instskip(SKIP_2) | instid1(VALU_DEP_3)
	v_fmaak_f64 v[32:33], v[32:33], v[46:47], 0x3fe5555555555780
	v_ldexp_f64 v[46:47], v[28:29], 1
	v_fmac_f64_e32 v[44:45], v[44:45], v[50:51]
	v_mul_f64_e32 v[32:33], v[48:49], v[32:33]
	v_cvt_f64_i32_e32 v[48:49], v37
	s_delay_alu instid0(VALU_DEP_3) | instskip(NEXT) | instid1(VALU_DEP_3)
	v_fma_f64 v[50:51], -v[30:31], v[44:45], 1.0
	v_add_f64_e32 v[28:29], v[46:47], v[32:33]
	s_delay_alu instid0(VALU_DEP_3) | instskip(NEXT) | instid1(VALU_DEP_3)
	v_mul_f64_e32 v[52:53], 0x3fe62e42fefa39ef, v[48:49]
	v_fmac_f64_e32 v[44:45], v[44:45], v[50:51]
	s_delay_alu instid0(VALU_DEP_3) | instskip(SKIP_1) | instid1(VALU_DEP_4)
	v_add_f64_e64 v[26:27], v[28:29], -v[46:47]
	v_div_scale_f64 v[46:47], vcc_lo, v[20:21], v[24:25], v[20:21]
	v_fma_f64 v[50:51], v[48:49], s[22:23], -v[52:53]
	s_delay_alu instid0(VALU_DEP_3) | instskip(NEXT) | instid1(VALU_DEP_3)
	v_add_f64_e64 v[26:27], v[32:33], -v[26:27]
	v_mul_f64_e32 v[32:33], v[46:47], v[44:45]
	s_delay_alu instid0(VALU_DEP_3) | instskip(NEXT) | instid1(VALU_DEP_3)
	v_fmac_f64_e32 v[50:51], 0x3c7abc9e3b39803f, v[48:49]
	v_add_f64_e32 v[18:19], v[18:19], v[26:27]
	s_delay_alu instid0(VALU_DEP_3) | instskip(NEXT) | instid1(VALU_DEP_3)
	v_fma_f64 v[26:27], -v[30:31], v[32:33], v[46:47]
	v_add_f64_e32 v[30:31], v[52:53], v[50:51]
	s_delay_alu instid0(VALU_DEP_3) | instskip(NEXT) | instid1(VALU_DEP_3)
	v_add_f64_e32 v[46:47], v[28:29], v[18:19]
	v_div_fmas_f64 v[26:27], v[26:27], v[44:45], v[32:33]
	v_cmp_class_f64_e64 vcc_lo, v[22:23], 0x204
	s_delay_alu instid0(VALU_DEP_4) | instskip(NEXT) | instid1(VALU_DEP_4)
	v_add_f64_e64 v[44:45], v[30:31], -v[52:53]
	v_add_f64_e32 v[32:33], v[30:31], v[46:47]
	s_delay_alu instid0(VALU_DEP_4) | instskip(SKIP_1) | instid1(VALU_DEP_4)
	v_div_fixup_f64 v[20:21], v[26:27], v[24:25], v[20:21]
	v_add_f64_e64 v[28:29], v[46:47], -v[28:29]
	v_add_f64_e64 v[44:45], v[50:51], -v[44:45]
	s_delay_alu instid0(VALU_DEP_4) | instskip(NEXT) | instid1(VALU_DEP_4)
	v_add_f64_e64 v[24:25], v[32:33], -v[30:31]
	v_mul_f64_e32 v[26:27], v[20:21], v[20:21]
	s_delay_alu instid0(VALU_DEP_4) | instskip(NEXT) | instid1(VALU_DEP_3)
	v_add_f64_e64 v[18:19], v[18:19], -v[28:29]
	v_add_f64_e64 v[48:49], v[32:33], -v[24:25]
	s_delay_alu instid0(VALU_DEP_3) | instskip(SKIP_1) | instid1(VALU_DEP_4)
	v_fmamk_f64 v[52:53], v[26:27], 0x3eeba404b5e68a13, v[40:41]
	v_add_f64_e64 v[24:25], v[46:47], -v[24:25]
	v_add_f64_e32 v[46:47], v[44:45], v[18:19]
	s_delay_alu instid0(VALU_DEP_3) | instskip(SKIP_1) | instid1(VALU_DEP_2)
	v_fmaak_f64 v[52:53], v[26:27], v[52:53], 0x3f4b2bb069efb384
	v_add_f64_e64 v[28:29], v[30:31], -v[48:49]
	v_fmaak_f64 v[30:31], v[26:27], v[52:53], 0xbf67952daf56de9b
	s_delay_alu instid0(VALU_DEP_1) | instskip(NEXT) | instid1(VALU_DEP_1)
	v_fmaak_f64 v[30:31], v[26:27], v[30:31], 0x3f7d6d43a595c56f
	v_fmaak_f64 v[30:31], v[26:27], v[30:31], 0xbf8c6ea4a57d9582
	s_delay_alu instid0(VALU_DEP_1) | instskip(SKIP_1) | instid1(VALU_DEP_2)
	v_fmaak_f64 v[30:31], v[26:27], v[30:31], 0x3f967e295f08b19f
	v_add_f64_e32 v[24:25], v[24:25], v[28:29]
	v_fmaak_f64 v[28:29], v[26:27], v[30:31], 0xbf9e9ae6fc27006a
	v_add_f64_e64 v[30:31], v[46:47], -v[44:45]
	s_delay_alu instid0(VALU_DEP_2) | instskip(NEXT) | instid1(VALU_DEP_1)
	v_fmaak_f64 v[28:29], v[26:27], v[28:29], 0x3fa2c15b5711927a
	v_fmaak_f64 v[28:29], v[26:27], v[28:29], 0xbfa59976e82d3ff0
	s_delay_alu instid0(VALU_DEP_1) | instskip(NEXT) | instid1(VALU_DEP_1)
	v_fmaak_f64 v[28:29], v[26:27], v[28:29], 0x3fa82d5d6ef28734
	v_fmaak_f64 v[28:29], v[26:27], v[28:29], 0xbfaae5ce6a214619
	v_add_f64_e32 v[24:25], v[46:47], v[24:25]
	v_add_f64_e64 v[46:47], v[46:47], -v[30:31]
	v_add_f64_e64 v[18:19], v[18:19], -v[30:31]
	s_delay_alu instid0(VALU_DEP_4) | instskip(NEXT) | instid1(VALU_DEP_1)
	v_fmaak_f64 v[28:29], v[26:27], v[28:29], 0x3fae1bb48427b883
	v_fmaak_f64 v[28:29], v[26:27], v[28:29], 0xbfb110e48b207f05
	s_delay_alu instid0(VALU_DEP_1) | instskip(NEXT) | instid1(VALU_DEP_1)
	v_fmaak_f64 v[28:29], v[26:27], v[28:29], 0x3fb3b13657b87036
	v_fmaak_f64 v[28:29], v[26:27], v[28:29], 0xbfb745d119378e4f
	s_delay_alu instid0(VALU_DEP_1) | instskip(SKIP_1) | instid1(VALU_DEP_2)
	v_fmaak_f64 v[28:29], v[26:27], v[28:29], 0x3fbc71c717e1913c
	v_add_f64_e32 v[48:49], v[32:33], v[24:25]
	v_fmaak_f64 v[28:29], v[26:27], v[28:29], 0xbfc2492492376b7d
	s_delay_alu instid0(VALU_DEP_1) | instskip(NEXT) | instid1(VALU_DEP_1)
	v_fmaak_f64 v[28:29], v[26:27], v[28:29], 0x3fc99999999952cc
	v_fmaak_f64 v[28:29], v[26:27], v[28:29], 0xbfd5555555555523
	s_delay_alu instid0(VALU_DEP_1) | instskip(SKIP_2) | instid1(VALU_DEP_3)
	v_mul_f64_e32 v[26:27], v[26:27], v[28:29]
	v_add_f64_e64 v[28:29], v[44:45], -v[46:47]
	v_add_f64_e64 v[30:31], v[48:49], -v[32:33]
	v_fmac_f64_e32 v[20:21], v[20:21], v[26:27]
	s_delay_alu instid0(VALU_DEP_3) | instskip(NEXT) | instid1(VALU_DEP_3)
	v_add_f64_e32 v[18:19], v[18:19], v[28:29]
	v_add_f64_e64 v[24:25], v[24:25], -v[30:31]
	s_delay_alu instid0(VALU_DEP_3) | instskip(NEXT) | instid1(VALU_DEP_1)
	v_add_f64_e64 v[26:27], -v[20:21], s[24:25]
	v_dual_add_f64 v[18:19], v[18:19], v[24:25] :: v_dual_cndmask_b32 v21, v21, v27, s0
	s_delay_alu instid0(VALU_DEP_2) | instskip(SKIP_2) | instid1(VALU_DEP_4)
	v_cndmask_b32_e64 v20, v20, v26, s0
	v_cmp_gt_i32_e64 s0, 0, v15
	v_ashrrev_i32_e32 v26, 31, v15
	v_add_f64_e32 v[18:19], v[48:49], v[18:19]
	s_delay_alu instid0(VALU_DEP_4) | instskip(NEXT) | instid1(VALU_DEP_4)
	v_add_f64_e64 v[24:25], -v[20:21], s[26:27]
	v_cndmask_b32_e64 v27, 0x54442d18, v60, s0
	v_cndmask_b32_e64 v14, 0x3fe921fb, v61, s0
	v_and_b32_e32 v28, 0x54442d18, v26
	v_and_b32_e32 v15, 0x400921fb, v26
	s_delay_alu instid0(VALU_DEP_3) | instskip(SKIP_4) | instid1(VALU_DEP_2)
	v_bfi_b32 v14, 0x7fffffff, v14, v17
	v_dual_cndmask_b32 v19, v19, v23 :: v_dual_cndmask_b32 v18, v18, v22
	v_cmp_eq_f64_e32 vcc_lo, 0, v[16:17]
	v_dual_cndmask_b32 v20, v20, v24, s0 :: v_dual_cndmask_b32 v21, v21, v25, s0
	v_cmp_nge_f64_e64 s0, 0, v[22:23]
	v_dual_add_f64 v[18:19], 1.0, v[18:19] :: v_dual_cndmask_b32 v20, v20, v28, vcc_lo
	s_delay_alu instid0(VALU_DEP_3) | instskip(SKIP_1) | instid1(VALU_DEP_3)
	v_cndmask_b32_e32 v15, v21, v15, vcc_lo
	v_cmp_ngt_f64_e32 vcc_lo, 0, v[22:23]
	v_cndmask_b32_e64 v18, 0, v18, s0
	v_cmp_neq_f64_e64 s0, 0, v[22:23]
	v_cndmask_b32_e32 v19, 0x7ff80000, v19, vcc_lo
	s_and_b32 vcc_lo, s3, s1
	v_dual_cndmask_b32 v21, v15, v14 :: v_dual_cndmask_b32 v20, v20, v27
	s_delay_alu instid0(VALU_DEP_2)
	v_cndmask_b32_e64 v19, 0xfff00000, v19, s0
.LBB173_189:                            ;   in Loop: Header=BB173_162 Depth=1
	s_or_b32 exec_lo, exec_lo, s2
.LBB173_190:                            ;   in Loop: Header=BB173_162 Depth=1
	s_and_not1_saveexec_b32 s0, s33
	s_cbranch_execz .LBB173_196
; %bb.191:                              ;   in Loop: Header=BB173_162 Depth=1
	v_cmp_ngt_f64_e64 s1, 0x20000000, |v[14:15]|
	v_cmp_ngt_f64_e64 s2, 0x20000000, |v[16:17]|
                                        ; implicit-def: $vgpr22_vgpr23
	s_or_b32 s1, s1, s2
	s_delay_alu instid0(SALU_CYCLE_1) | instskip(NEXT) | instid1(SALU_CYCLE_1)
	s_and_saveexec_b32 s2, s1
	s_xor_b32 s1, exec_lo, s2
	s_cbranch_execz .LBB173_193
; %bb.192:                              ;   in Loop: Header=BB173_162 Depth=1
	v_mul_f64_e32 v[22:23], v[16:17], v[16:17]
	s_delay_alu instid0(VALU_DEP_1)
	v_fmac_f64_e32 v[22:23], v[14:15], v[14:15]
.LBB173_193:                            ;   in Loop: Header=BB173_162 Depth=1
	s_and_not1_saveexec_b32 s1, s1
	s_cbranch_execz .LBB173_195
; %bb.194:                              ;   in Loop: Header=BB173_162 Depth=1
	v_mul_f64_e32 v[18:19], 4.0, v[16:17]
	v_mul_f64_e32 v[14:15], 4.0, v[14:15]
	s_delay_alu instid0(VALU_DEP_2) | instskip(NEXT) | instid1(VALU_DEP_1)
	v_mul_f64_e32 v[18:19], v[18:19], v[18:19]
	v_fmac_f64_e32 v[18:19], v[14:15], v[14:15]
	s_delay_alu instid0(VALU_DEP_1)
	v_ldexp_f64 v[22:23], v[18:19], -4
.LBB173_195:                            ;   in Loop: Header=BB173_162 Depth=1
	s_or_b32 exec_lo, exec_lo, s1
	s_delay_alu instid0(VALU_DEP_1) | instskip(NEXT) | instid1(VALU_DEP_1)
	v_frexp_mant_f64_e32 v[14:15], v[22:23]
	v_cmp_gt_f64_e32 vcc_lo, s[20:21], v[14:15]
	v_cndmask_b32_e64 v16, 0, 1, vcc_lo
	s_delay_alu instid0(VALU_DEP_1) | instskip(SKIP_1) | instid1(VALU_DEP_2)
	v_ldexp_f64 v[14:15], v[14:15], v16
	v_frexp_exp_i32_f64_e32 v16, v[22:23]
	v_add_f64_e32 v[18:19], 1.0, v[14:15]
	v_add_f64_e32 v[26:27], -1.0, v[14:15]
	s_delay_alu instid0(VALU_DEP_3) | instskip(SKIP_1) | instid1(VALU_DEP_4)
	v_subrev_co_ci_u32_e64 v16, null, 0, v16, vcc_lo
	v_cmp_class_f64_e64 vcc_lo, v[22:23], 0x204
	v_rcp_f64_e32 v[20:21], v[18:19]
	v_add_f64_e32 v[28:29], -1.0, v[18:19]
	s_delay_alu instid0(VALU_DEP_1) | instskip(NEXT) | instid1(TRANS32_DEP_1)
	v_add_f64_e64 v[14:15], v[14:15], -v[28:29]
	v_fma_f64 v[24:25], -v[18:19], v[20:21], 1.0
	s_delay_alu instid0(VALU_DEP_1) | instskip(NEXT) | instid1(VALU_DEP_1)
	v_fmac_f64_e32 v[20:21], v[24:25], v[20:21]
	v_fma_f64 v[24:25], -v[18:19], v[20:21], 1.0
	s_delay_alu instid0(VALU_DEP_1) | instskip(NEXT) | instid1(VALU_DEP_1)
	v_fmac_f64_e32 v[20:21], v[24:25], v[20:21]
	v_mul_f64_e32 v[24:25], v[26:27], v[20:21]
	s_delay_alu instid0(VALU_DEP_1) | instskip(NEXT) | instid1(VALU_DEP_1)
	v_mul_f64_e32 v[30:31], v[18:19], v[24:25]
	v_fma_f64 v[18:19], v[24:25], v[18:19], -v[30:31]
	s_delay_alu instid0(VALU_DEP_1) | instskip(NEXT) | instid1(VALU_DEP_1)
	v_fmac_f64_e32 v[18:19], v[24:25], v[14:15]
	v_add_f64_e32 v[14:15], v[30:31], v[18:19]
	s_delay_alu instid0(VALU_DEP_1) | instskip(SKIP_1) | instid1(VALU_DEP_2)
	v_add_f64_e64 v[28:29], v[26:27], -v[14:15]
	v_add_f64_e64 v[30:31], v[14:15], -v[30:31]
	;; [unrolled: 1-line block ×3, first 2 shown]
	s_delay_alu instid0(VALU_DEP_2) | instskip(NEXT) | instid1(VALU_DEP_2)
	v_add_f64_e64 v[18:19], v[30:31], -v[18:19]
	v_add_f64_e64 v[14:15], v[26:27], -v[14:15]
	s_delay_alu instid0(VALU_DEP_1) | instskip(NEXT) | instid1(VALU_DEP_1)
	v_add_f64_e32 v[14:15], v[18:19], v[14:15]
	v_add_f64_e32 v[14:15], v[28:29], v[14:15]
	s_delay_alu instid0(VALU_DEP_1) | instskip(NEXT) | instid1(VALU_DEP_1)
	v_mul_f64_e32 v[14:15], v[20:21], v[14:15]
	v_add_f64_e32 v[18:19], v[24:25], v[14:15]
	s_delay_alu instid0(VALU_DEP_1) | instskip(NEXT) | instid1(VALU_DEP_1)
	v_mul_f64_e32 v[20:21], v[18:19], v[18:19]
	v_fmamk_f64 v[26:27], v[20:21], 0x3fc3ab76bf559e2b, v[38:39]
	v_mul_f64_e32 v[28:29], v[18:19], v[20:21]
	s_delay_alu instid0(VALU_DEP_2) | instskip(NEXT) | instid1(VALU_DEP_1)
	v_fmaak_f64 v[26:27], v[20:21], v[26:27], 0x3fc7474dd7f4df2e
	v_fmaak_f64 v[26:27], v[20:21], v[26:27], 0x3fcc71c016291751
	s_delay_alu instid0(VALU_DEP_1) | instskip(NEXT) | instid1(VALU_DEP_1)
	v_fmaak_f64 v[26:27], v[20:21], v[26:27], 0x3fd249249b27acf1
	v_fmaak_f64 v[26:27], v[20:21], v[26:27], 0x3fd99999998ef7b6
	s_delay_alu instid0(VALU_DEP_1) | instskip(SKIP_2) | instid1(VALU_DEP_3)
	v_fmaak_f64 v[20:21], v[20:21], v[26:27], 0x3fe5555555555780
	v_ldexp_f64 v[26:27], v[18:19], 1
	v_add_f64_e64 v[18:19], v[18:19], -v[24:25]
	v_mul_f64_e32 v[20:21], v[28:29], v[20:21]
	v_cvt_f64_i32_e32 v[28:29], v16
	s_delay_alu instid0(VALU_DEP_3) | instskip(NEXT) | instid1(VALU_DEP_3)
	v_add_f64_e64 v[14:15], v[14:15], -v[18:19]
	v_add_f64_e32 v[24:25], v[26:27], v[20:21]
	s_delay_alu instid0(VALU_DEP_3) | instskip(NEXT) | instid1(VALU_DEP_3)
	v_mul_f64_e32 v[30:31], 0x3fe62e42fefa39ef, v[28:29]
	v_ldexp_f64 v[14:15], v[14:15], 1
	s_delay_alu instid0(VALU_DEP_3) | instskip(NEXT) | instid1(VALU_DEP_3)
	v_add_f64_e64 v[18:19], v[24:25], -v[26:27]
	v_fma_f64 v[26:27], v[28:29], s[22:23], -v[30:31]
	s_delay_alu instid0(VALU_DEP_2) | instskip(NEXT) | instid1(VALU_DEP_2)
	v_add_f64_e64 v[18:19], v[20:21], -v[18:19]
	v_fmac_f64_e32 v[26:27], 0x3c7abc9e3b39803f, v[28:29]
	s_delay_alu instid0(VALU_DEP_2) | instskip(NEXT) | instid1(VALU_DEP_2)
	v_add_f64_e32 v[14:15], v[14:15], v[18:19]
	v_add_f64_e32 v[18:19], v[30:31], v[26:27]
	s_delay_alu instid0(VALU_DEP_2) | instskip(NEXT) | instid1(VALU_DEP_2)
	v_add_f64_e32 v[20:21], v[24:25], v[14:15]
	v_add_f64_e64 v[30:31], v[18:19], -v[30:31]
	s_delay_alu instid0(VALU_DEP_2) | instskip(SKIP_1) | instid1(VALU_DEP_3)
	v_add_f64_e32 v[28:29], v[18:19], v[20:21]
	v_add_f64_e64 v[24:25], v[20:21], -v[24:25]
	v_add_f64_e64 v[26:27], v[26:27], -v[30:31]
	s_delay_alu instid0(VALU_DEP_3) | instskip(NEXT) | instid1(VALU_DEP_3)
	v_add_f64_e64 v[32:33], v[28:29], -v[18:19]
	v_add_f64_e64 v[14:15], v[14:15], -v[24:25]
	s_delay_alu instid0(VALU_DEP_2) | instskip(SKIP_1) | instid1(VALU_DEP_3)
	v_add_f64_e64 v[44:45], v[28:29], -v[32:33]
	v_add_f64_e64 v[20:21], v[20:21], -v[32:33]
	v_add_f64_e32 v[24:25], v[26:27], v[14:15]
	s_delay_alu instid0(VALU_DEP_3) | instskip(NEXT) | instid1(VALU_DEP_1)
	v_add_f64_e64 v[18:19], v[18:19], -v[44:45]
	v_add_f64_e32 v[18:19], v[20:21], v[18:19]
	s_delay_alu instid0(VALU_DEP_3) | instskip(NEXT) | instid1(VALU_DEP_2)
	v_add_f64_e64 v[20:21], v[24:25], -v[26:27]
	v_add_f64_e32 v[18:19], v[24:25], v[18:19]
	s_delay_alu instid0(VALU_DEP_2) | instskip(SKIP_1) | instid1(VALU_DEP_3)
	v_add_f64_e64 v[24:25], v[24:25], -v[20:21]
	v_add_f64_e64 v[14:15], v[14:15], -v[20:21]
	v_add_f64_e32 v[30:31], v[28:29], v[18:19]
	s_delay_alu instid0(VALU_DEP_3) | instskip(NEXT) | instid1(VALU_DEP_2)
	v_add_f64_e64 v[20:21], v[26:27], -v[24:25]
	v_add_f64_e64 v[24:25], v[30:31], -v[28:29]
	s_delay_alu instid0(VALU_DEP_2) | instskip(SKIP_1) | instid1(VALU_DEP_3)
	v_add_f64_e32 v[14:15], v[14:15], v[20:21]
	v_mov_b64_e32 v[20:21], 0x7ff8000000000000
	v_add_f64_e64 v[18:19], v[18:19], -v[24:25]
	s_delay_alu instid0(VALU_DEP_1) | instskip(NEXT) | instid1(VALU_DEP_1)
	v_add_f64_e32 v[14:15], v[14:15], v[18:19]
	v_add_f64_e32 v[14:15], v[30:31], v[14:15]
	s_delay_alu instid0(VALU_DEP_1) | instskip(SKIP_1) | instid1(VALU_DEP_2)
	v_dual_cndmask_b32 v14, v14, v22 :: v_dual_cndmask_b32 v15, v15, v23
	v_cmp_ngt_f64_e32 vcc_lo, 0, v[22:23]
	v_cndmask_b32_e32 v15, 0x7ff80000, v15, vcc_lo
	v_cmp_nge_f64_e32 vcc_lo, 0, v[22:23]
	s_delay_alu instid0(VALU_DEP_4) | instskip(SKIP_1) | instid1(VALU_DEP_4)
	v_cndmask_b32_e32 v18, 0, v14, vcc_lo
	v_cmp_neq_f64_e32 vcc_lo, 0, v[22:23]
	v_cndmask_b32_e32 v19, 0xfff00000, v15, vcc_lo
.LBB173_196:                            ;   in Loop: Header=BB173_162 Depth=1
	s_or_b32 exec_lo, exec_lo, s0
                                        ; implicit-def: $vgpr22_vgpr23
	s_delay_alu instid0(SALU_CYCLE_1)
	s_mov_b32 s0, exec_lo
	s_wait_loadcnt 0x2
	v_cmpx_o_f64_e32 v[6:7], v[8:9]
	s_xor_b32 s33, exec_lo, s0
	s_cbranch_execz .LBB173_224
; %bb.197:                              ;   in Loop: Header=BB173_162 Depth=1
	v_cmp_lt_f64_e64 s0, |v[6:7]|, |v[8:9]|
	v_and_b32_e32 v16, 0x7fffffff, v7
	v_and_b32_e32 v15, 0x7fffffff, v9
	v_mov_b32_e32 v14, v8
                                        ; implicit-def: $vgpr22_vgpr23
	s_mov_b32 s1, exec_lo
	s_delay_alu instid0(VALU_DEP_2) | instskip(NEXT) | instid1(VALU_DEP_1)
	v_dual_cndmask_b32 v27, v15, v16, s0 :: v_dual_cndmask_b32 v26, v8, v6, s0
	v_cmpx_nlt_f64_e32 s[12:13], v[26:27]
	s_xor_b32 s38, exec_lo, s1
	s_cbranch_execz .LBB173_221
; %bb.198:                              ;   in Loop: Header=BB173_162 Depth=1
	v_dual_cndmask_b32 v29, v16, v15, s0 :: v_dual_cndmask_b32 v28, v6, v14, s0
                                        ; implicit-def: $vgpr22_vgpr23
	s_mov_b32 s1, exec_lo
	s_delay_alu instid0(VALU_DEP_1)
	v_cmpx_neq_f64_e32 1.0, v[28:29]
	s_xor_b32 s39, exec_lo, s1
	s_cbranch_execz .LBB173_214
; %bb.199:                              ;   in Loop: Header=BB173_162 Depth=1
	v_max_num_f64_e32 v[14:15], v[26:27], v[26:27]
	v_max_num_f64_e32 v[22:23], v[28:29], v[28:29]
	s_delay_alu instid0(VALU_DEP_1) | instskip(SKIP_1) | instid1(VALU_DEP_2)
	v_min_num_f64_e32 v[24:25], v[22:23], v[14:15]
	v_max_num_f64_e32 v[14:15], v[22:23], v[14:15]
	v_cmp_ngt_f64_e32 vcc_lo, s[14:15], v[24:25]
	s_delay_alu instid0(VALU_DEP_2) | instskip(SKIP_1) | instid1(SALU_CYCLE_1)
	v_cmp_nlt_f64_e64 s1, s[16:17], v[14:15]
                                        ; implicit-def: $vgpr22_vgpr23
	s_and_b32 s1, s1, vcc_lo
	s_and_saveexec_b32 s2, s1
	s_delay_alu instid0(SALU_CYCLE_1)
	s_xor_b32 s40, exec_lo, s2
	s_cbranch_execz .LBB173_211
; %bb.200:                              ;   in Loop: Header=BB173_162 Depth=1
                                        ; implicit-def: $vgpr22_vgpr23
	s_mov_b32 s1, exec_lo
	v_cmpx_le_f64_e32 1.0, v[28:29]
	s_xor_b32 s4, exec_lo, s1
	s_cbranch_execz .LBB173_202
; %bb.201:                              ;   in Loop: Header=BB173_162 Depth=1
	v_add_f64_e32 v[14:15], -1.0, v[28:29]
	v_add_f64_e32 v[22:23], 1.0, v[28:29]
	v_cmp_eq_f64_e64 s1, 0, v[8:9]
	v_cmp_class_f64_e64 s6, v[6:7], 0x204
	v_cmp_class_f64_e64 s5, v[8:9], 0x204
	s_delay_alu instid0(VALU_DEP_4) | instskip(NEXT) | instid1(VALU_DEP_1)
	v_mul_f64_e32 v[14:15], v[14:15], v[22:23]
	v_fmac_f64_e32 v[14:15], v[26:27], v[26:27]
	s_delay_alu instid0(VALU_DEP_1) | instskip(SKIP_2) | instid1(VALU_DEP_3)
	v_add_f64_e32 v[22:23], 1.0, v[14:15]
	v_cmp_nge_f64_e64 s2, -1.0, v[14:15]
	v_cmp_neq_f64_e64 s3, 0x7ff00000, v[14:15]
	v_frexp_mant_f64_e32 v[24:25], v[22:23]
	v_frexp_exp_i32_f64_e32 v16, v[22:23]
	v_add_f64_e32 v[26:27], -1.0, v[22:23]
	s_delay_alu instid0(VALU_DEP_3) | instskip(NEXT) | instid1(VALU_DEP_2)
	v_cmp_gt_f64_e32 vcc_lo, s[20:21], v[24:25]
	v_add_f64_e64 v[24:25], v[26:27], -v[22:23]
	v_add_f64_e64 v[26:27], v[14:15], -v[26:27]
	v_subrev_co_ci_u32_e64 v16, null, 0, v16, vcc_lo
	s_delay_alu instid0(VALU_DEP_3) | instskip(NEXT) | instid1(VALU_DEP_2)
	v_add_f64_e32 v[24:25], 1.0, v[24:25]
	v_sub_nc_u32_e32 v30, 0, v16
	s_delay_alu instid0(VALU_DEP_1) | instskip(NEXT) | instid1(VALU_DEP_3)
	v_ldexp_f64 v[22:23], v[22:23], v30
	v_add_f64_e32 v[24:25], v[26:27], v[24:25]
	s_delay_alu instid0(VALU_DEP_2) | instskip(SKIP_1) | instid1(VALU_DEP_3)
	v_add_f64_e32 v[28:29], 1.0, v[22:23]
	v_add_f64_e32 v[44:45], -1.0, v[22:23]
	v_ldexp_f64 v[24:25], v[24:25], v30
	s_delay_alu instid0(VALU_DEP_3) | instskip(NEXT) | instid1(VALU_DEP_3)
	v_add_f64_e32 v[26:27], -1.0, v[28:29]
	v_add_f64_e32 v[46:47], 1.0, v[44:45]
	s_delay_alu instid0(VALU_DEP_2) | instskip(NEXT) | instid1(VALU_DEP_2)
	v_add_f64_e64 v[26:27], v[22:23], -v[26:27]
	v_add_f64_e64 v[22:23], v[22:23], -v[46:47]
	s_delay_alu instid0(VALU_DEP_2) | instskip(NEXT) | instid1(VALU_DEP_2)
	v_add_f64_e32 v[26:27], v[24:25], v[26:27]
	v_add_f64_e32 v[22:23], v[24:25], v[22:23]
	s_delay_alu instid0(VALU_DEP_2) | instskip(NEXT) | instid1(VALU_DEP_2)
	v_add_f64_e32 v[30:31], v[28:29], v[26:27]
	v_add_f64_e32 v[46:47], v[44:45], v[22:23]
	s_delay_alu instid0(VALU_DEP_2) | instskip(SKIP_1) | instid1(VALU_DEP_2)
	v_rcp_f64_e32 v[32:33], v[30:31]
	v_add_f64_e64 v[28:29], v[30:31], -v[28:29]
	v_add_f64_e64 v[44:45], v[46:47], -v[44:45]
	s_delay_alu instid0(VALU_DEP_2) | instskip(NEXT) | instid1(VALU_DEP_2)
	v_add_f64_e64 v[26:27], v[26:27], -v[28:29]
	v_add_f64_e64 v[22:23], v[22:23], -v[44:45]
	s_delay_alu instid0(TRANS32_DEP_1) | instskip(NEXT) | instid1(VALU_DEP_1)
	v_fma_f64 v[48:49], -v[30:31], v[32:33], 1.0
	v_fmac_f64_e32 v[32:33], v[48:49], v[32:33]
	s_delay_alu instid0(VALU_DEP_1) | instskip(NEXT) | instid1(VALU_DEP_1)
	v_fma_f64 v[24:25], -v[30:31], v[32:33], 1.0
	v_fmac_f64_e32 v[32:33], v[24:25], v[32:33]
	s_delay_alu instid0(VALU_DEP_1) | instskip(NEXT) | instid1(VALU_DEP_1)
	v_mul_f64_e32 v[24:25], v[46:47], v[32:33]
	v_mul_f64_e32 v[48:49], v[30:31], v[24:25]
	s_delay_alu instid0(VALU_DEP_1) | instskip(NEXT) | instid1(VALU_DEP_1)
	v_fma_f64 v[28:29], v[24:25], v[30:31], -v[48:49]
	v_fmac_f64_e32 v[28:29], v[24:25], v[26:27]
	s_delay_alu instid0(VALU_DEP_1) | instskip(NEXT) | instid1(VALU_DEP_1)
	v_add_f64_e32 v[50:51], v[48:49], v[28:29]
	v_add_f64_e64 v[52:53], v[46:47], -v[50:51]
	v_add_f64_e64 v[44:45], v[50:51], -v[48:49]
	s_delay_alu instid0(VALU_DEP_2) | instskip(NEXT) | instid1(VALU_DEP_2)
	v_add_f64_e64 v[46:47], v[46:47], -v[52:53]
	v_add_f64_e64 v[28:29], v[44:45], -v[28:29]
	s_delay_alu instid0(VALU_DEP_2) | instskip(NEXT) | instid1(VALU_DEP_1)
	v_add_f64_e64 v[46:47], v[46:47], -v[50:51]
	v_add_f64_e32 v[22:23], v[22:23], v[46:47]
	s_delay_alu instid0(VALU_DEP_1) | instskip(NEXT) | instid1(VALU_DEP_1)
	v_add_f64_e32 v[22:23], v[28:29], v[22:23]
	v_add_f64_e32 v[28:29], v[52:53], v[22:23]
	s_delay_alu instid0(VALU_DEP_1) | instskip(SKIP_1) | instid1(VALU_DEP_2)
	v_mul_f64_e32 v[44:45], v[32:33], v[28:29]
	v_add_f64_e64 v[50:51], v[52:53], -v[28:29]
	v_mul_f64_e32 v[46:47], v[30:31], v[44:45]
	s_delay_alu instid0(VALU_DEP_2) | instskip(NEXT) | instid1(VALU_DEP_2)
	v_add_f64_e32 v[22:23], v[22:23], v[50:51]
	v_fma_f64 v[30:31], v[44:45], v[30:31], -v[46:47]
	s_delay_alu instid0(VALU_DEP_1) | instskip(NEXT) | instid1(VALU_DEP_1)
	v_fmac_f64_e32 v[30:31], v[44:45], v[26:27]
	v_add_f64_e32 v[26:27], v[46:47], v[30:31]
	s_delay_alu instid0(VALU_DEP_1) | instskip(SKIP_1) | instid1(VALU_DEP_2)
	v_add_f64_e64 v[48:49], v[28:29], -v[26:27]
	v_add_f64_e64 v[46:47], v[26:27], -v[46:47]
	;; [unrolled: 1-line block ×3, first 2 shown]
	s_delay_alu instid0(VALU_DEP_1) | instskip(NEXT) | instid1(VALU_DEP_3)
	v_add_f64_e64 v[26:27], v[28:29], -v[26:27]
	v_add_f64_e64 v[28:29], v[46:47], -v[30:31]
	v_max_num_f64_e64 v[30:31], |v[6:7]|, |v[6:7]|
	s_delay_alu instid0(VALU_DEP_3) | instskip(SKIP_1) | instid1(VALU_DEP_2)
	v_add_f64_e32 v[22:23], v[22:23], v[26:27]
	v_add_f64_e32 v[26:27], v[24:25], v[44:45]
	;; [unrolled: 1-line block ×3, first 2 shown]
	s_delay_alu instid0(VALU_DEP_2) | instskip(SKIP_1) | instid1(VALU_DEP_3)
	v_add_f64_e64 v[24:25], v[26:27], -v[24:25]
	v_max_num_f64_e64 v[28:29], |v[8:9]|, |v[8:9]|
	v_add_f64_e32 v[22:23], v[48:49], v[22:23]
	s_delay_alu instid0(VALU_DEP_3) | instskip(NEXT) | instid1(VALU_DEP_2)
	v_add_f64_e64 v[24:25], v[44:45], -v[24:25]
	v_mul_f64_e32 v[22:23], v[32:33], v[22:23]
	s_delay_alu instid0(VALU_DEP_1) | instskip(SKIP_2) | instid1(VALU_DEP_3)
	v_add_f64_e32 v[22:23], v[24:25], v[22:23]
	v_max_num_f64_e32 v[24:25], v[30:31], v[28:29]
	v_min_num_f64_e32 v[28:29], v[30:31], v[28:29]
	v_add_f64_e32 v[30:31], v[26:27], v[22:23]
	s_delay_alu instid0(VALU_DEP_2) | instskip(NEXT) | instid1(VALU_DEP_2)
	v_div_scale_f64 v[32:33], null, v[24:25], v[24:25], v[28:29]
	v_mul_f64_e32 v[44:45], v[30:31], v[30:31]
	v_add_f64_e64 v[26:27], v[30:31], -v[26:27]
	s_delay_alu instid0(VALU_DEP_3) | instskip(NEXT) | instid1(VALU_DEP_2)
	v_rcp_f64_e32 v[46:47], v[32:33]
	v_fmamk_f64 v[48:49], v[44:45], 0x3fc3ab76bf559e2b, v[38:39]
	v_mul_f64_e32 v[50:51], v[30:31], v[44:45]
	s_delay_alu instid0(VALU_DEP_3) | instskip(NEXT) | instid1(VALU_DEP_3)
	v_add_f64_e64 v[22:23], v[22:23], -v[26:27]
	v_fmaak_f64 v[48:49], v[44:45], v[48:49], 0x3fc7474dd7f4df2e
	s_delay_alu instid0(TRANS32_DEP_1) | instskip(NEXT) | instid1(VALU_DEP_2)
	v_fma_f64 v[52:53], -v[32:33], v[46:47], 1.0
	v_fmaak_f64 v[48:49], v[44:45], v[48:49], 0x3fcc71c016291751
	s_delay_alu instid0(VALU_DEP_1) | instskip(NEXT) | instid1(VALU_DEP_1)
	v_fmaak_f64 v[48:49], v[44:45], v[48:49], 0x3fd249249b27acf1
	v_fmaak_f64 v[48:49], v[44:45], v[48:49], 0x3fd99999998ef7b6
	v_ldexp_f64 v[22:23], v[22:23], 1
	s_delay_alu instid0(VALU_DEP_2) | instskip(SKIP_2) | instid1(VALU_DEP_3)
	v_fmaak_f64 v[44:45], v[44:45], v[48:49], 0x3fe5555555555780
	v_ldexp_f64 v[48:49], v[30:31], 1
	v_fmac_f64_e32 v[46:47], v[46:47], v[52:53]
	v_mul_f64_e32 v[44:45], v[50:51], v[44:45]
	v_cvt_f64_i32_e32 v[50:51], v16
	v_ashrrev_i32_e32 v16, 31, v7
	s_delay_alu instid0(VALU_DEP_4) | instskip(NEXT) | instid1(VALU_DEP_4)
	v_fma_f64 v[52:53], -v[32:33], v[46:47], 1.0
	v_add_f64_e32 v[30:31], v[48:49], v[44:45]
	s_delay_alu instid0(VALU_DEP_4) | instskip(NEXT) | instid1(VALU_DEP_3)
	v_mul_f64_e32 v[54:55], 0x3fe62e42fefa39ef, v[50:51]
	v_fmac_f64_e32 v[46:47], v[46:47], v[52:53]
	s_delay_alu instid0(VALU_DEP_3) | instskip(SKIP_1) | instid1(VALU_DEP_4)
	v_add_f64_e64 v[26:27], v[30:31], -v[48:49]
	v_div_scale_f64 v[48:49], vcc_lo, v[28:29], v[24:25], v[28:29]
	v_fma_f64 v[52:53], v[50:51], s[22:23], -v[54:55]
	s_delay_alu instid0(VALU_DEP_3) | instskip(NEXT) | instid1(VALU_DEP_3)
	v_add_f64_e64 v[26:27], v[44:45], -v[26:27]
	v_mul_f64_e32 v[44:45], v[48:49], v[46:47]
	s_delay_alu instid0(VALU_DEP_3) | instskip(NEXT) | instid1(VALU_DEP_3)
	v_fmac_f64_e32 v[52:53], 0x3c7abc9e3b39803f, v[50:51]
	v_add_f64_e32 v[22:23], v[22:23], v[26:27]
	s_delay_alu instid0(VALU_DEP_3) | instskip(NEXT) | instid1(VALU_DEP_3)
	v_fma_f64 v[26:27], -v[32:33], v[44:45], v[48:49]
	v_add_f64_e32 v[32:33], v[54:55], v[52:53]
	s_delay_alu instid0(VALU_DEP_3) | instskip(NEXT) | instid1(VALU_DEP_3)
	v_add_f64_e32 v[48:49], v[30:31], v[22:23]
	v_div_fmas_f64 v[26:27], v[26:27], v[46:47], v[44:45]
	v_cmp_gt_i32_e32 vcc_lo, 0, v7
	s_delay_alu instid0(VALU_DEP_4) | instskip(SKIP_2) | instid1(VALU_DEP_1)
	v_add_f64_e64 v[46:47], v[32:33], -v[54:55]
	v_and_b32_e32 v7, 0x400921fb, v16
	v_cndmask_b32_e32 v6, 0x3fe921fb, v61, vcc_lo
	v_bfi_b32 v6, 0x7fffffff, v6, v9
	v_add_f64_e32 v[44:45], v[32:33], v[48:49]
	v_div_fixup_f64 v[24:25], v[26:27], v[24:25], v[28:29]
	v_add_f64_e64 v[30:31], v[48:49], -v[30:31]
	v_add_f64_e64 v[46:47], v[52:53], -v[46:47]
	s_delay_alu instid0(VALU_DEP_4) | instskip(NEXT) | instid1(VALU_DEP_4)
	v_add_f64_e64 v[26:27], v[44:45], -v[32:33]
	v_mul_f64_e32 v[28:29], v[24:25], v[24:25]
	s_delay_alu instid0(VALU_DEP_4) | instskip(NEXT) | instid1(VALU_DEP_3)
	v_add_f64_e64 v[22:23], v[22:23], -v[30:31]
	v_add_f64_e64 v[50:51], v[44:45], -v[26:27]
	s_delay_alu instid0(VALU_DEP_3) | instskip(SKIP_1) | instid1(VALU_DEP_4)
	v_fmamk_f64 v[54:55], v[28:29], 0x3eeba404b5e68a13, v[40:41]
	v_add_f64_e64 v[26:27], v[48:49], -v[26:27]
	v_add_f64_e32 v[48:49], v[46:47], v[22:23]
	s_delay_alu instid0(VALU_DEP_3) | instskip(SKIP_1) | instid1(VALU_DEP_2)
	v_fmaak_f64 v[54:55], v[28:29], v[54:55], 0x3f4b2bb069efb384
	v_add_f64_e64 v[30:31], v[32:33], -v[50:51]
	v_fmaak_f64 v[32:33], v[28:29], v[54:55], 0xbf67952daf56de9b
	s_delay_alu instid0(VALU_DEP_1) | instskip(NEXT) | instid1(VALU_DEP_1)
	v_fmaak_f64 v[32:33], v[28:29], v[32:33], 0x3f7d6d43a595c56f
	v_fmaak_f64 v[32:33], v[28:29], v[32:33], 0xbf8c6ea4a57d9582
	s_delay_alu instid0(VALU_DEP_1) | instskip(NEXT) | instid1(VALU_DEP_1)
	v_fmaak_f64 v[32:33], v[28:29], v[32:33], 0x3f967e295f08b19f
	v_fmaak_f64 v[32:33], v[28:29], v[32:33], 0xbf9e9ae6fc27006a
	v_add_f64_e32 v[26:27], v[26:27], v[30:31]
	s_delay_alu instid0(VALU_DEP_2) | instskip(SKIP_1) | instid1(VALU_DEP_2)
	v_fmaak_f64 v[30:31], v[28:29], v[32:33], 0x3fa2c15b5711927a
	v_add_f64_e64 v[32:33], v[48:49], -v[46:47]
	v_fmaak_f64 v[30:31], v[28:29], v[30:31], 0xbfa59976e82d3ff0
	s_delay_alu instid0(VALU_DEP_1) | instskip(NEXT) | instid1(VALU_DEP_1)
	v_fmaak_f64 v[30:31], v[28:29], v[30:31], 0x3fa82d5d6ef28734
	v_fmaak_f64 v[30:31], v[28:29], v[30:31], 0xbfaae5ce6a214619
	s_delay_alu instid0(VALU_DEP_1) | instskip(SKIP_3) | instid1(VALU_DEP_4)
	v_fmaak_f64 v[30:31], v[28:29], v[30:31], 0x3fae1bb48427b883
	v_add_f64_e32 v[26:27], v[48:49], v[26:27]
	v_add_f64_e64 v[48:49], v[48:49], -v[32:33]
	v_add_f64_e64 v[22:23], v[22:23], -v[32:33]
	v_fmaak_f64 v[30:31], v[28:29], v[30:31], 0xbfb110e48b207f05
	s_delay_alu instid0(VALU_DEP_1) | instskip(NEXT) | instid1(VALU_DEP_1)
	v_fmaak_f64 v[30:31], v[28:29], v[30:31], 0x3fb3b13657b87036
	v_fmaak_f64 v[30:31], v[28:29], v[30:31], 0xbfb745d119378e4f
	s_delay_alu instid0(VALU_DEP_1) | instskip(SKIP_1) | instid1(VALU_DEP_2)
	v_fmaak_f64 v[30:31], v[28:29], v[30:31], 0x3fbc71c717e1913c
	v_add_f64_e32 v[50:51], v[44:45], v[26:27]
	v_fmaak_f64 v[30:31], v[28:29], v[30:31], 0xbfc2492492376b7d
	s_delay_alu instid0(VALU_DEP_1) | instskip(NEXT) | instid1(VALU_DEP_1)
	v_fmaak_f64 v[30:31], v[28:29], v[30:31], 0x3fc99999999952cc
	v_fmaak_f64 v[30:31], v[28:29], v[30:31], 0xbfd5555555555523
	s_delay_alu instid0(VALU_DEP_1) | instskip(SKIP_2) | instid1(VALU_DEP_3)
	v_mul_f64_e32 v[28:29], v[28:29], v[30:31]
	v_add_f64_e64 v[30:31], v[46:47], -v[48:49]
	v_add_f64_e64 v[32:33], v[50:51], -v[44:45]
	v_fmac_f64_e32 v[24:25], v[24:25], v[28:29]
	s_delay_alu instid0(VALU_DEP_3) | instskip(NEXT) | instid1(VALU_DEP_3)
	v_add_f64_e32 v[22:23], v[22:23], v[30:31]
	v_add_f64_e64 v[26:27], v[26:27], -v[32:33]
	s_delay_alu instid0(VALU_DEP_3) | instskip(NEXT) | instid1(VALU_DEP_1)
	v_add_f64_e64 v[28:29], -v[24:25], s[24:25]
	v_dual_add_f64 v[22:23], v[22:23], v[26:27] :: v_dual_cndmask_b32 v25, v25, v29, s0
	s_delay_alu instid0(VALU_DEP_2) | instskip(SKIP_2) | instid1(VALU_DEP_3)
	v_cndmask_b32_e64 v24, v24, v28, s0
	v_and_b32_e32 v29, 0x54442d18, v16
	v_cndmask_b32_e32 v28, 0x54442d18, v60, vcc_lo
	v_add_f64_e64 v[26:27], -v[24:25], s[26:27]
	v_add_f64_e32 v[22:23], v[50:51], v[22:23]
	s_delay_alu instid0(VALU_DEP_2) | instskip(SKIP_1) | instid1(VALU_DEP_3)
	v_dual_cndmask_b32 v24, v24, v26, vcc_lo :: v_dual_cndmask_b32 v16, v25, v27, vcc_lo
	v_cmp_ngt_f64_e32 vcc_lo, -1.0, v[14:15]
	v_mul_f64_e32 v[22:23], 0.5, v[22:23]
                                        ; implicit-def: $vgpr26_vgpr27
	s_delay_alu instid0(VALU_DEP_3) | instskip(NEXT) | instid1(VALU_DEP_4)
	v_cndmask_b32_e64 v24, v24, v29, s1
	v_cndmask_b32_e64 v7, v16, v7, s1
	s_and_b32 s1, s2, s3
	s_delay_alu instid0(VALU_DEP_3) | instid1(SALU_CYCLE_1)
	v_cndmask_b32_e64 v22, 0, v22, s1
	v_cmp_neq_f64_e64 s1, -1.0, v[14:15]
	v_cndmask_b32_e64 v23, 0x7ff00000, v23, s3
	s_delay_alu instid0(VALU_DEP_1) | instskip(SKIP_2) | instid1(VALU_DEP_2)
	v_cndmask_b32_e32 v16, 0x7ff80000, v23, vcc_lo
	s_and_b32 vcc_lo, s6, s5
	v_dual_cndmask_b32 v25, v7, v6 :: v_dual_cndmask_b32 v24, v24, v28
                                        ; implicit-def: $vgpr28_vgpr29
	v_cndmask_b32_e64 v23, 0xfff00000, v16, s1
.LBB173_202:                            ;   in Loop: Header=BB173_162 Depth=1
	s_and_not1_saveexec_b32 s41, s4
	s_cbranch_execz .LBB173_210
; %bb.203:                              ;   in Loop: Header=BB173_162 Depth=1
	v_mul_f64_e32 v[14:15], v[26:27], v[26:27]
                                        ; implicit-def: $vgpr22_vgpr23
	s_mov_b32 s1, exec_lo
	s_delay_alu instid0(VALU_DEP_1) | instskip(NEXT) | instid1(VALU_DEP_1)
	v_fmac_f64_e32 v[14:15], v[28:29], v[28:29]
	v_cmpx_ge_f64_e32 s[28:29], v[14:15]
	s_xor_b32 s3, exec_lo, s1
	s_cbranch_execz .LBB173_205
; %bb.204:                              ;   in Loop: Header=BB173_162 Depth=1
	v_frexp_mant_f64_e32 v[22:23], v[14:15]
	v_cmp_neq_f64_e64 s2, 0, v[14:15]
	v_cmp_eq_f64_e64 s1, 0, v[8:9]
	v_cmp_class_f64_e64 s4, v[8:9], 0x204
	v_cmp_class_f64_e64 s5, v[6:7], 0x204
	v_cmp_gt_f64_e32 vcc_lo, s[20:21], v[22:23]
	v_cndmask_b32_e64 v16, 0, 1, vcc_lo
	s_delay_alu instid0(VALU_DEP_1) | instskip(SKIP_1) | instid1(VALU_DEP_2)
	v_ldexp_f64 v[22:23], v[22:23], v16
	v_frexp_exp_i32_f64_e32 v16, v[14:15]
	v_add_f64_e32 v[24:25], 1.0, v[22:23]
	v_add_f64_e32 v[30:31], -1.0, v[22:23]
	s_delay_alu instid0(VALU_DEP_3) | instskip(NEXT) | instid1(VALU_DEP_3)
	v_subrev_co_ci_u32_e64 v16, null, 0, v16, vcc_lo
	v_rcp_f64_e32 v[26:27], v[24:25]
	v_add_f64_e32 v[32:33], -1.0, v[24:25]
	s_delay_alu instid0(VALU_DEP_1) | instskip(NEXT) | instid1(TRANS32_DEP_1)
	v_add_f64_e64 v[22:23], v[22:23], -v[32:33]
	v_fma_f64 v[28:29], -v[24:25], v[26:27], 1.0
	s_delay_alu instid0(VALU_DEP_1) | instskip(NEXT) | instid1(VALU_DEP_1)
	v_fmac_f64_e32 v[26:27], v[28:29], v[26:27]
	v_fma_f64 v[28:29], -v[24:25], v[26:27], 1.0
	s_delay_alu instid0(VALU_DEP_1) | instskip(NEXT) | instid1(VALU_DEP_1)
	v_fmac_f64_e32 v[26:27], v[28:29], v[26:27]
	v_mul_f64_e32 v[28:29], v[30:31], v[26:27]
	s_delay_alu instid0(VALU_DEP_1) | instskip(NEXT) | instid1(VALU_DEP_1)
	v_mul_f64_e32 v[44:45], v[24:25], v[28:29]
	v_fma_f64 v[24:25], v[28:29], v[24:25], -v[44:45]
	s_delay_alu instid0(VALU_DEP_1) | instskip(NEXT) | instid1(VALU_DEP_1)
	v_fmac_f64_e32 v[24:25], v[28:29], v[22:23]
	v_add_f64_e32 v[22:23], v[44:45], v[24:25]
	s_delay_alu instid0(VALU_DEP_1) | instskip(SKIP_1) | instid1(VALU_DEP_2)
	v_add_f64_e64 v[32:33], v[30:31], -v[22:23]
	v_add_f64_e64 v[44:45], v[22:23], -v[44:45]
	;; [unrolled: 1-line block ×3, first 2 shown]
	s_delay_alu instid0(VALU_DEP_2) | instskip(NEXT) | instid1(VALU_DEP_2)
	v_add_f64_e64 v[24:25], v[44:45], -v[24:25]
	v_add_f64_e64 v[22:23], v[30:31], -v[22:23]
	v_max_num_f64_e64 v[30:31], |v[6:7]|, |v[6:7]|
	s_delay_alu instid0(VALU_DEP_2) | instskip(SKIP_1) | instid1(VALU_DEP_2)
	v_add_f64_e32 v[22:23], v[24:25], v[22:23]
	v_max_num_f64_e64 v[24:25], |v[8:9]|, |v[8:9]|
	v_add_f64_e32 v[22:23], v[32:33], v[22:23]
	s_delay_alu instid0(VALU_DEP_1) | instskip(NEXT) | instid1(VALU_DEP_3)
	v_mul_f64_e32 v[22:23], v[26:27], v[22:23]
	v_max_num_f64_e32 v[26:27], v[30:31], v[24:25]
	v_min_num_f64_e32 v[24:25], v[30:31], v[24:25]
	s_delay_alu instid0(VALU_DEP_3) | instskip(NEXT) | instid1(VALU_DEP_2)
	v_add_f64_e32 v[30:31], v[28:29], v[22:23]
	v_div_scale_f64 v[32:33], null, v[26:27], v[26:27], v[24:25]
	s_delay_alu instid0(VALU_DEP_2) | instskip(SKIP_1) | instid1(VALU_DEP_3)
	v_mul_f64_e32 v[44:45], v[30:31], v[30:31]
	v_add_f64_e64 v[28:29], v[30:31], -v[28:29]
	v_rcp_f64_e32 v[46:47], v[32:33]
	s_delay_alu instid0(VALU_DEP_2) | instskip(SKIP_1) | instid1(VALU_DEP_3)
	v_fmamk_f64 v[48:49], v[44:45], 0x3fc3ab76bf559e2b, v[38:39]
	v_mul_f64_e32 v[50:51], v[30:31], v[44:45]
	v_add_f64_e64 v[22:23], v[22:23], -v[28:29]
	s_delay_alu instid0(VALU_DEP_3) | instskip(NEXT) | instid1(TRANS32_DEP_1)
	v_fmaak_f64 v[48:49], v[44:45], v[48:49], 0x3fc7474dd7f4df2e
	v_fma_f64 v[52:53], -v[32:33], v[46:47], 1.0
	s_delay_alu instid0(VALU_DEP_2) | instskip(NEXT) | instid1(VALU_DEP_1)
	v_fmaak_f64 v[48:49], v[44:45], v[48:49], 0x3fcc71c016291751
	v_fmaak_f64 v[48:49], v[44:45], v[48:49], 0x3fd249249b27acf1
	s_delay_alu instid0(VALU_DEP_1) | instskip(SKIP_1) | instid1(VALU_DEP_2)
	v_fmaak_f64 v[48:49], v[44:45], v[48:49], 0x3fd99999998ef7b6
	v_ldexp_f64 v[22:23], v[22:23], 1
	v_fmaak_f64 v[44:45], v[44:45], v[48:49], 0x3fe5555555555780
	v_ldexp_f64 v[48:49], v[30:31], 1
	v_fmac_f64_e32 v[46:47], v[46:47], v[52:53]
	s_delay_alu instid0(VALU_DEP_3) | instskip(SKIP_2) | instid1(VALU_DEP_1)
	v_mul_f64_e32 v[44:45], v[50:51], v[44:45]
	v_cvt_f64_i32_e32 v[50:51], v16
	v_ashrrev_i32_e32 v16, 31, v7
	v_and_b32_e32 v15, 0x400921fb, v16
	v_fma_f64 v[52:53], -v[32:33], v[46:47], 1.0
	v_add_f64_e32 v[30:31], v[48:49], v[44:45]
	v_mul_f64_e32 v[54:55], 0x3fe62e42fefa39ef, v[50:51]
	s_delay_alu instid0(VALU_DEP_3) | instskip(NEXT) | instid1(VALU_DEP_3)
	v_fmac_f64_e32 v[46:47], v[46:47], v[52:53]
	v_add_f64_e64 v[28:29], v[30:31], -v[48:49]
	v_div_scale_f64 v[48:49], vcc_lo, v[24:25], v[26:27], v[24:25]
	s_delay_alu instid0(VALU_DEP_4) | instskip(NEXT) | instid1(VALU_DEP_3)
	v_fma_f64 v[52:53], v[50:51], s[22:23], -v[54:55]
	v_add_f64_e64 v[28:29], v[44:45], -v[28:29]
	s_delay_alu instid0(VALU_DEP_3) | instskip(NEXT) | instid1(VALU_DEP_3)
	v_mul_f64_e32 v[44:45], v[48:49], v[46:47]
	v_fmac_f64_e32 v[52:53], 0x3c7abc9e3b39803f, v[50:51]
	s_delay_alu instid0(VALU_DEP_3) | instskip(NEXT) | instid1(VALU_DEP_3)
	v_add_f64_e32 v[22:23], v[22:23], v[28:29]
	v_fma_f64 v[28:29], -v[32:33], v[44:45], v[48:49]
	s_delay_alu instid0(VALU_DEP_3) | instskip(NEXT) | instid1(VALU_DEP_3)
	v_add_f64_e32 v[32:33], v[54:55], v[52:53]
	v_add_f64_e32 v[48:49], v[30:31], v[22:23]
	s_delay_alu instid0(VALU_DEP_3) | instskip(SKIP_1) | instid1(VALU_DEP_4)
	v_div_fmas_f64 v[28:29], v[28:29], v[46:47], v[44:45]
	v_cmp_gt_i32_e32 vcc_lo, 0, v7
	v_add_f64_e64 v[46:47], v[32:33], -v[54:55]
	v_cndmask_b32_e32 v14, 0x3fe921fb, v61, vcc_lo
	s_delay_alu instid0(VALU_DEP_1) | instskip(SKIP_4) | instid1(VALU_DEP_4)
	v_bfi_b32 v14, 0x7fffffff, v14, v9
	v_add_f64_e32 v[44:45], v[32:33], v[48:49]
	v_div_fixup_f64 v[24:25], v[28:29], v[26:27], v[24:25]
	v_add_f64_e64 v[30:31], v[48:49], -v[30:31]
	v_add_f64_e64 v[46:47], v[52:53], -v[46:47]
	;; [unrolled: 1-line block ×3, first 2 shown]
	s_delay_alu instid0(VALU_DEP_4) | instskip(NEXT) | instid1(VALU_DEP_4)
	v_mul_f64_e32 v[28:29], v[24:25], v[24:25]
	v_add_f64_e64 v[22:23], v[22:23], -v[30:31]
	s_delay_alu instid0(VALU_DEP_3) | instskip(NEXT) | instid1(VALU_DEP_3)
	v_add_f64_e64 v[50:51], v[44:45], -v[26:27]
	v_fmamk_f64 v[54:55], v[28:29], 0x3eeba404b5e68a13, v[40:41]
	v_add_f64_e64 v[26:27], v[48:49], -v[26:27]
	s_delay_alu instid0(VALU_DEP_4) | instskip(NEXT) | instid1(VALU_DEP_3)
	v_add_f64_e32 v[48:49], v[46:47], v[22:23]
	v_fmaak_f64 v[54:55], v[28:29], v[54:55], 0x3f4b2bb069efb384
	s_delay_alu instid0(VALU_DEP_1) | instskip(SKIP_1) | instid1(VALU_DEP_2)
	v_fmaak_f64 v[54:55], v[28:29], v[54:55], 0xbf67952daf56de9b
	v_add_f64_e64 v[30:31], v[32:33], -v[50:51]
	v_fmaak_f64 v[32:33], v[28:29], v[54:55], 0x3f7d6d43a595c56f
	s_delay_alu instid0(VALU_DEP_1) | instskip(NEXT) | instid1(VALU_DEP_1)
	v_fmaak_f64 v[32:33], v[28:29], v[32:33], 0xbf8c6ea4a57d9582
	v_fmaak_f64 v[32:33], v[28:29], v[32:33], 0x3f967e295f08b19f
	s_delay_alu instid0(VALU_DEP_1) | instskip(NEXT) | instid1(VALU_DEP_1)
	v_fmaak_f64 v[32:33], v[28:29], v[32:33], 0xbf9e9ae6fc27006a
	v_fmaak_f64 v[32:33], v[28:29], v[32:33], 0x3fa2c15b5711927a
	v_add_f64_e32 v[26:27], v[26:27], v[30:31]
	s_delay_alu instid0(VALU_DEP_2) | instskip(SKIP_1) | instid1(VALU_DEP_2)
	v_fmaak_f64 v[30:31], v[28:29], v[32:33], 0xbfa59976e82d3ff0
	v_add_f64_e64 v[32:33], v[48:49], -v[46:47]
	v_fmaak_f64 v[30:31], v[28:29], v[30:31], 0x3fa82d5d6ef28734
	s_delay_alu instid0(VALU_DEP_1) | instskip(NEXT) | instid1(VALU_DEP_1)
	v_fmaak_f64 v[30:31], v[28:29], v[30:31], 0xbfaae5ce6a214619
	v_fmaak_f64 v[30:31], v[28:29], v[30:31], 0x3fae1bb48427b883
	s_delay_alu instid0(VALU_DEP_1) | instskip(SKIP_3) | instid1(VALU_DEP_4)
	v_fmaak_f64 v[30:31], v[28:29], v[30:31], 0xbfb110e48b207f05
	v_add_f64_e32 v[26:27], v[48:49], v[26:27]
	v_add_f64_e64 v[48:49], v[48:49], -v[32:33]
	v_add_f64_e64 v[22:23], v[22:23], -v[32:33]
	v_fmaak_f64 v[30:31], v[28:29], v[30:31], 0x3fb3b13657b87036
	s_delay_alu instid0(VALU_DEP_1) | instskip(NEXT) | instid1(VALU_DEP_1)
	v_fmaak_f64 v[30:31], v[28:29], v[30:31], 0xbfb745d119378e4f
	v_fmaak_f64 v[30:31], v[28:29], v[30:31], 0x3fbc71c717e1913c
	s_delay_alu instid0(VALU_DEP_1) | instskip(SKIP_1) | instid1(VALU_DEP_2)
	v_fmaak_f64 v[30:31], v[28:29], v[30:31], 0xbfc2492492376b7d
	v_add_f64_e32 v[50:51], v[44:45], v[26:27]
	v_fmaak_f64 v[30:31], v[28:29], v[30:31], 0x3fc99999999952cc
	s_delay_alu instid0(VALU_DEP_1) | instskip(NEXT) | instid1(VALU_DEP_1)
	v_fmaak_f64 v[30:31], v[28:29], v[30:31], 0xbfd5555555555523
	v_mul_f64_e32 v[28:29], v[28:29], v[30:31]
	v_add_f64_e64 v[30:31], v[46:47], -v[48:49]
	v_add_f64_e64 v[32:33], v[50:51], -v[44:45]
	s_delay_alu instid0(VALU_DEP_3) | instskip(NEXT) | instid1(VALU_DEP_3)
	v_fmac_f64_e32 v[24:25], v[24:25], v[28:29]
	v_add_f64_e32 v[22:23], v[22:23], v[30:31]
	s_delay_alu instid0(VALU_DEP_3) | instskip(NEXT) | instid1(VALU_DEP_3)
	v_add_f64_e64 v[26:27], v[26:27], -v[32:33]
	v_add_f64_e64 v[28:29], -v[24:25], s[24:25]
	s_delay_alu instid0(VALU_DEP_1) | instskip(NEXT) | instid1(VALU_DEP_2)
	v_dual_add_f64 v[22:23], v[22:23], v[26:27] :: v_dual_cndmask_b32 v25, v25, v29, s0
	v_cndmask_b32_e64 v24, v24, v28, s0
	v_and_b32_e32 v29, 0x54442d18, v16
	v_cndmask_b32_e32 v28, 0x54442d18, v60, vcc_lo
	s_delay_alu instid0(VALU_DEP_3) | instskip(SKIP_1) | instid1(VALU_DEP_2)
	v_add_f64_e64 v[26:27], -v[24:25], s[26:27]
	v_add_f64_e32 v[22:23], v[50:51], v[22:23]
	v_dual_cndmask_b32 v24, v24, v26, vcc_lo :: v_dual_cndmask_b32 v16, v25, v27, vcc_lo
	s_and_b32 vcc_lo, s5, s4
                                        ; implicit-def: $vgpr26_vgpr27
	s_delay_alu instid0(VALU_DEP_1) | instskip(NEXT) | instid1(VALU_DEP_2)
	v_cndmask_b32_e64 v24, v24, v29, s1
	v_cndmask_b32_e64 v15, v16, v15, s1
	s_delay_alu instid0(VALU_DEP_2) | instskip(NEXT) | instid1(VALU_DEP_2)
	v_dual_mul_f64 v[6:7], 0.5, v[22:23] :: v_dual_cndmask_b32 v24, v24, v28, vcc_lo
	v_cndmask_b32_e32 v25, v15, v14, vcc_lo
                                        ; implicit-def: $vgpr28_vgpr29
	s_delay_alu instid0(VALU_DEP_2) | instskip(NEXT) | instid1(VALU_DEP_3)
	v_cndmask_b32_e64 v23, 0xfff00000, v7, s2
	v_cndmask_b32_e64 v22, 0, v6, s2
.LBB173_205:                            ;   in Loop: Header=BB173_162 Depth=1
	s_and_not1_saveexec_b32 s42, s3
	s_cbranch_execz .LBB173_209
; %bb.206:                              ;   in Loop: Header=BB173_162 Depth=1
	v_and_b32_e32 v37, 0x7ffffff8, v29
	v_and_b32_e32 v23, 0x7ffffff8, v27
	v_mov_b32_e32 v22, v36
	s_mov_b32 s43, 0
	v_mov_b32_e32 v30, v36
	v_add_f64_e64 v[14:15], v[28:29], -v[36:37]
	s_delay_alu instid0(VALU_DEP_3)
	v_dual_add_f64 v[24:25], v[26:27], -v[22:23] :: v_dual_mov_b32 v28, v36
	v_add_f64_e32 v[32:33], v[36:37], v[36:37]
	v_mul_f64_e32 v[26:27], v[22:23], v[22:23]
	v_add_f64_e32 v[50:51], v[22:23], v[22:23]
	v_and_b32_e32 v29, -8, v15
	v_and_b32_e32 v31, -8, v25
	s_delay_alu instid0(VALU_DEP_2) | instskip(SKIP_1) | instid1(VALU_DEP_3)
	v_add_f64_e64 v[52:53], v[14:15], -v[28:29]
	v_add_f64_e32 v[56:57], v[28:29], v[28:29]
	v_add_f64_e64 v[54:55], v[24:25], -v[30:31]
	v_add_f64_e32 v[58:59], v[30:31], v[30:31]
	v_mul_f64_e32 v[14:15], v[36:37], v[36:37]
	v_mul_f64_e32 v[48:49], v[32:33], v[28:29]
	;; [unrolled: 1-line block ×11, first 2 shown]
.LBB173_207:                            ;   Parent Loop BB173_162 Depth=1
                                        ; =>  This Inner Loop Header: Depth=2
	v_cmp_nlt_f64_e32 vcc_lo, v[14:15], v[26:27]
	v_dual_cndmask_b32 v55, v15, v27 :: v_dual_cndmask_b32 v54, v14, v26
	v_dual_cndmask_b32 v15, v27, v15 :: v_dual_cndmask_b32 v14, v26, v14
	s_delay_alu instid0(VALU_DEP_2) | instskip(NEXT) | instid1(VALU_DEP_1)
	v_cmp_nlt_f64_e64 s1, v[54:55], v[48:49]
	v_dual_cndmask_b32 v57, v55, v49, s1 :: v_dual_cndmask_b32 v56, v54, v48, s1
	v_dual_cndmask_b32 v27, v49, v55, s1 :: v_dual_cndmask_b32 v26, v48, v54, s1
	s_and_b32 s1, vcc_lo, s1
	s_delay_alu instid0(VALU_DEP_2) | instskip(NEXT) | instid1(VALU_DEP_1)
	v_cmp_nlt_f64_e64 s2, v[56:57], v[24:25]
	v_dual_cndmask_b32 v59, v57, v25, s2 :: v_dual_cndmask_b32 v58, v56, v24, s2
	v_dual_cndmask_b32 v49, v25, v57, s2 :: v_dual_cndmask_b32 v48, v24, v56, s2
	s_delay_alu instid0(VALU_DEP_2) | instskip(NEXT) | instid1(VALU_DEP_1)
	v_cmp_nlt_f64_e64 s3, v[58:59], v[46:47]
	v_dual_cndmask_b32 v63, v59, v47, s3 :: v_dual_cndmask_b32 v62, v58, v46, s3
	v_dual_cndmask_b32 v25, v47, v59, s3 :: v_dual_cndmask_b32 v24, v46, v58, s3
	s_and_b32 s2, s2, s3
	s_delay_alu instid0(VALU_DEP_2) | instskip(NEXT) | instid1(VALU_DEP_1)
	v_cmp_nlt_f64_e64 s4, v[62:63], v[22:23]
	v_dual_cndmask_b32 v65, v63, v23, s4 :: v_dual_cndmask_b32 v64, v62, v22, s4
	v_dual_cndmask_b32 v47, v23, v63, s4 :: v_dual_cndmask_b32 v46, v22, v62, s4
	s_delay_alu instid0(VALU_DEP_2) | instskip(NEXT) | instid1(VALU_DEP_1)
	v_cmp_nlt_f64_e64 s5, v[64:65], v[44:45]
	v_dual_cndmask_b32 v67, v65, v45, s5 :: v_dual_cndmask_b32 v66, v64, v44, s5
	s_and_b32 s3, s4, s5
	v_dual_cndmask_b32 v23, v45, v65, s5 :: v_dual_cndmask_b32 v22, v44, v64, s5
	s_delay_alu instid0(VALU_DEP_2) | instskip(NEXT) | instid1(VALU_DEP_1)
	v_cmp_nlt_f64_e64 s6, v[66:67], v[32:33]
	v_dual_cndmask_b32 v69, v67, v33, s6 :: v_dual_cndmask_b32 v68, v66, v32, s6
	s_and_b32 s3, s3, s6
	;; [unrolled: 5-line block ×6, first 2 shown]
	v_dual_cndmask_b32 v51, v53, v75, s10 :: v_dual_cndmask_b32 v50, v52, v74, s10
	s_and_b32 s2, s3, s2
	s_delay_alu instid0(VALU_DEP_2) | instskip(SKIP_1) | instid1(SALU_CYCLE_1)
	v_mov_b64_e32 v[52:53], v[54:55]
	s_and_b32 s1, s2, s1
	s_and_b32 s1, exec_lo, s1
	s_delay_alu instid0(SALU_CYCLE_1) | instskip(NEXT) | instid1(SALU_CYCLE_1)
	s_or_b32 s43, s1, s43
	s_and_not1_b32 exec_lo, exec_lo, s43
	s_cbranch_execnz .LBB173_207
; %bb.208:                              ;   in Loop: Header=BB173_162 Depth=1
	s_or_b32 exec_lo, exec_lo, s43
	v_add_f64_e32 v[14:15], -1.0, v[14:15]
	v_cmp_eq_f64_e64 s1, 0, v[8:9]
	v_cmp_class_f64_e64 s5, v[6:7], 0x204
	v_cmp_class_f64_e64 s4, v[8:9], 0x204
	s_delay_alu instid0(VALU_DEP_4) | instskip(NEXT) | instid1(VALU_DEP_1)
	v_add_f64_e32 v[14:15], v[14:15], v[26:27]
	v_add_f64_e32 v[14:15], v[14:15], v[48:49]
	s_delay_alu instid0(VALU_DEP_1) | instskip(NEXT) | instid1(VALU_DEP_1)
	v_add_f64_e32 v[14:15], v[14:15], v[24:25]
	v_add_f64_e32 v[14:15], v[14:15], v[46:47]
	s_delay_alu instid0(VALU_DEP_1) | instskip(NEXT) | instid1(VALU_DEP_1)
	;; [unrolled: 3-line block ×5, first 2 shown]
	v_add_f64_e32 v[14:15], v[54:55], v[14:15]
	v_add_f64_e32 v[22:23], 1.0, v[14:15]
	v_cmp_nge_f64_e64 s2, -1.0, v[14:15]
	v_cmp_neq_f64_e64 s3, 0x7ff00000, v[14:15]
	s_delay_alu instid0(VALU_DEP_3) | instskip(SKIP_2) | instid1(VALU_DEP_3)
	v_frexp_mant_f64_e32 v[24:25], v[22:23]
	v_frexp_exp_i32_f64_e32 v16, v[22:23]
	v_add_f64_e32 v[26:27], -1.0, v[22:23]
	v_cmp_gt_f64_e32 vcc_lo, s[20:21], v[24:25]
	s_delay_alu instid0(VALU_DEP_2) | instskip(SKIP_2) | instid1(VALU_DEP_3)
	v_add_f64_e64 v[24:25], v[26:27], -v[22:23]
	v_add_f64_e64 v[26:27], v[14:15], -v[26:27]
	v_subrev_co_ci_u32_e64 v16, null, 0, v16, vcc_lo
	v_add_f64_e32 v[24:25], 1.0, v[24:25]
	s_delay_alu instid0(VALU_DEP_2) | instskip(NEXT) | instid1(VALU_DEP_1)
	v_sub_nc_u32_e32 v30, 0, v16
	v_ldexp_f64 v[22:23], v[22:23], v30
	s_delay_alu instid0(VALU_DEP_3) | instskip(NEXT) | instid1(VALU_DEP_2)
	v_add_f64_e32 v[24:25], v[26:27], v[24:25]
	v_add_f64_e32 v[28:29], 1.0, v[22:23]
	v_add_f64_e32 v[44:45], -1.0, v[22:23]
	s_delay_alu instid0(VALU_DEP_3) | instskip(NEXT) | instid1(VALU_DEP_3)
	v_ldexp_f64 v[24:25], v[24:25], v30
	v_add_f64_e32 v[26:27], -1.0, v[28:29]
	s_delay_alu instid0(VALU_DEP_3) | instskip(NEXT) | instid1(VALU_DEP_2)
	v_add_f64_e32 v[46:47], 1.0, v[44:45]
	v_add_f64_e64 v[26:27], v[22:23], -v[26:27]
	s_delay_alu instid0(VALU_DEP_2) | instskip(NEXT) | instid1(VALU_DEP_2)
	v_add_f64_e64 v[22:23], v[22:23], -v[46:47]
	v_add_f64_e32 v[26:27], v[24:25], v[26:27]
	s_delay_alu instid0(VALU_DEP_2) | instskip(NEXT) | instid1(VALU_DEP_2)
	v_add_f64_e32 v[22:23], v[24:25], v[22:23]
	v_add_f64_e32 v[30:31], v[28:29], v[26:27]
	s_delay_alu instid0(VALU_DEP_2) | instskip(NEXT) | instid1(VALU_DEP_2)
	v_add_f64_e32 v[46:47], v[44:45], v[22:23]
	v_rcp_f64_e32 v[32:33], v[30:31]
	v_add_f64_e64 v[28:29], v[30:31], -v[28:29]
	s_delay_alu instid0(VALU_DEP_2) | instskip(NEXT) | instid1(VALU_DEP_2)
	v_add_f64_e64 v[44:45], v[46:47], -v[44:45]
	v_add_f64_e64 v[26:27], v[26:27], -v[28:29]
	s_delay_alu instid0(VALU_DEP_2) | instskip(NEXT) | instid1(TRANS32_DEP_1)
	v_add_f64_e64 v[22:23], v[22:23], -v[44:45]
	v_fma_f64 v[48:49], -v[30:31], v[32:33], 1.0
	s_delay_alu instid0(VALU_DEP_1) | instskip(NEXT) | instid1(VALU_DEP_1)
	v_fmac_f64_e32 v[32:33], v[48:49], v[32:33]
	v_fma_f64 v[24:25], -v[30:31], v[32:33], 1.0
	s_delay_alu instid0(VALU_DEP_1) | instskip(NEXT) | instid1(VALU_DEP_1)
	v_fmac_f64_e32 v[32:33], v[24:25], v[32:33]
	v_mul_f64_e32 v[24:25], v[46:47], v[32:33]
	s_delay_alu instid0(VALU_DEP_1) | instskip(NEXT) | instid1(VALU_DEP_1)
	v_mul_f64_e32 v[48:49], v[30:31], v[24:25]
	v_fma_f64 v[28:29], v[24:25], v[30:31], -v[48:49]
	s_delay_alu instid0(VALU_DEP_1) | instskip(NEXT) | instid1(VALU_DEP_1)
	v_fmac_f64_e32 v[28:29], v[24:25], v[26:27]
	v_add_f64_e32 v[50:51], v[48:49], v[28:29]
	s_delay_alu instid0(VALU_DEP_1) | instskip(SKIP_1) | instid1(VALU_DEP_2)
	v_add_f64_e64 v[52:53], v[46:47], -v[50:51]
	v_add_f64_e64 v[44:45], v[50:51], -v[48:49]
	;; [unrolled: 1-line block ×3, first 2 shown]
	s_delay_alu instid0(VALU_DEP_2) | instskip(NEXT) | instid1(VALU_DEP_2)
	v_add_f64_e64 v[28:29], v[44:45], -v[28:29]
	v_add_f64_e64 v[46:47], v[46:47], -v[50:51]
	s_delay_alu instid0(VALU_DEP_1) | instskip(NEXT) | instid1(VALU_DEP_1)
	v_add_f64_e32 v[22:23], v[22:23], v[46:47]
	v_add_f64_e32 v[22:23], v[28:29], v[22:23]
	s_delay_alu instid0(VALU_DEP_1) | instskip(NEXT) | instid1(VALU_DEP_1)
	v_add_f64_e32 v[28:29], v[52:53], v[22:23]
	v_mul_f64_e32 v[44:45], v[32:33], v[28:29]
	v_add_f64_e64 v[50:51], v[52:53], -v[28:29]
	s_delay_alu instid0(VALU_DEP_2) | instskip(NEXT) | instid1(VALU_DEP_2)
	v_mul_f64_e32 v[46:47], v[30:31], v[44:45]
	v_add_f64_e32 v[22:23], v[22:23], v[50:51]
	s_delay_alu instid0(VALU_DEP_2) | instskip(NEXT) | instid1(VALU_DEP_1)
	v_fma_f64 v[30:31], v[44:45], v[30:31], -v[46:47]
	v_fmac_f64_e32 v[30:31], v[44:45], v[26:27]
	s_delay_alu instid0(VALU_DEP_1) | instskip(NEXT) | instid1(VALU_DEP_1)
	v_add_f64_e32 v[26:27], v[46:47], v[30:31]
	v_add_f64_e64 v[48:49], v[28:29], -v[26:27]
	v_add_f64_e64 v[46:47], v[26:27], -v[46:47]
	s_delay_alu instid0(VALU_DEP_2) | instskip(NEXT) | instid1(VALU_DEP_1)
	v_add_f64_e64 v[28:29], v[28:29], -v[48:49]
	v_add_f64_e64 v[26:27], v[28:29], -v[26:27]
	s_delay_alu instid0(VALU_DEP_3) | instskip(SKIP_1) | instid1(VALU_DEP_3)
	v_add_f64_e64 v[28:29], v[46:47], -v[30:31]
	v_max_num_f64_e64 v[30:31], |v[6:7]|, |v[6:7]|
	v_add_f64_e32 v[22:23], v[22:23], v[26:27]
	v_add_f64_e32 v[26:27], v[24:25], v[44:45]
	s_delay_alu instid0(VALU_DEP_2) | instskip(NEXT) | instid1(VALU_DEP_2)
	v_add_f64_e32 v[22:23], v[28:29], v[22:23]
	v_add_f64_e64 v[24:25], v[26:27], -v[24:25]
	v_max_num_f64_e64 v[28:29], |v[8:9]|, |v[8:9]|
	s_delay_alu instid0(VALU_DEP_3) | instskip(NEXT) | instid1(VALU_DEP_3)
	v_add_f64_e32 v[22:23], v[48:49], v[22:23]
	v_add_f64_e64 v[24:25], v[44:45], -v[24:25]
	s_delay_alu instid0(VALU_DEP_2) | instskip(NEXT) | instid1(VALU_DEP_1)
	v_mul_f64_e32 v[22:23], v[32:33], v[22:23]
	v_add_f64_e32 v[22:23], v[24:25], v[22:23]
	v_max_num_f64_e32 v[24:25], v[30:31], v[28:29]
	v_min_num_f64_e32 v[28:29], v[30:31], v[28:29]
	s_delay_alu instid0(VALU_DEP_3) | instskip(NEXT) | instid1(VALU_DEP_2)
	v_add_f64_e32 v[30:31], v[26:27], v[22:23]
	v_div_scale_f64 v[32:33], null, v[24:25], v[24:25], v[28:29]
	s_delay_alu instid0(VALU_DEP_2) | instskip(SKIP_1) | instid1(VALU_DEP_3)
	v_mul_f64_e32 v[44:45], v[30:31], v[30:31]
	v_add_f64_e64 v[26:27], v[30:31], -v[26:27]
	v_rcp_f64_e32 v[46:47], v[32:33]
	s_delay_alu instid0(VALU_DEP_2) | instskip(SKIP_1) | instid1(VALU_DEP_3)
	v_fmamk_f64 v[48:49], v[44:45], 0x3fc3ab76bf559e2b, v[38:39]
	v_mul_f64_e32 v[50:51], v[30:31], v[44:45]
	v_add_f64_e64 v[22:23], v[22:23], -v[26:27]
	s_delay_alu instid0(VALU_DEP_3) | instskip(NEXT) | instid1(TRANS32_DEP_1)
	v_fmaak_f64 v[48:49], v[44:45], v[48:49], 0x3fc7474dd7f4df2e
	v_fma_f64 v[52:53], -v[32:33], v[46:47], 1.0
	s_delay_alu instid0(VALU_DEP_2) | instskip(NEXT) | instid1(VALU_DEP_1)
	v_fmaak_f64 v[48:49], v[44:45], v[48:49], 0x3fcc71c016291751
	v_fmaak_f64 v[48:49], v[44:45], v[48:49], 0x3fd249249b27acf1
	s_delay_alu instid0(VALU_DEP_1) | instskip(SKIP_1) | instid1(VALU_DEP_2)
	v_fmaak_f64 v[48:49], v[44:45], v[48:49], 0x3fd99999998ef7b6
	v_ldexp_f64 v[22:23], v[22:23], 1
	v_fmaak_f64 v[44:45], v[44:45], v[48:49], 0x3fe5555555555780
	v_ldexp_f64 v[48:49], v[30:31], 1
	v_fmac_f64_e32 v[46:47], v[46:47], v[52:53]
	s_delay_alu instid0(VALU_DEP_3) | instskip(SKIP_2) | instid1(VALU_DEP_4)
	v_mul_f64_e32 v[44:45], v[50:51], v[44:45]
	v_cvt_f64_i32_e32 v[50:51], v16
	v_ashrrev_i32_e32 v16, 31, v7
	v_fma_f64 v[52:53], -v[32:33], v[46:47], 1.0
	s_delay_alu instid0(VALU_DEP_4) | instskip(NEXT) | instid1(VALU_DEP_4)
	v_add_f64_e32 v[30:31], v[48:49], v[44:45]
	v_mul_f64_e32 v[54:55], 0x3fe62e42fefa39ef, v[50:51]
	s_delay_alu instid0(VALU_DEP_3) | instskip(NEXT) | instid1(VALU_DEP_3)
	v_fmac_f64_e32 v[46:47], v[46:47], v[52:53]
	v_add_f64_e64 v[26:27], v[30:31], -v[48:49]
	v_div_scale_f64 v[48:49], vcc_lo, v[28:29], v[24:25], v[28:29]
	s_delay_alu instid0(VALU_DEP_4) | instskip(NEXT) | instid1(VALU_DEP_3)
	v_fma_f64 v[52:53], v[50:51], s[22:23], -v[54:55]
	v_add_f64_e64 v[26:27], v[44:45], -v[26:27]
	s_delay_alu instid0(VALU_DEP_3) | instskip(NEXT) | instid1(VALU_DEP_3)
	v_mul_f64_e32 v[44:45], v[48:49], v[46:47]
	v_fmac_f64_e32 v[52:53], 0x3c7abc9e3b39803f, v[50:51]
	s_delay_alu instid0(VALU_DEP_3) | instskip(NEXT) | instid1(VALU_DEP_3)
	v_add_f64_e32 v[22:23], v[22:23], v[26:27]
	v_fma_f64 v[26:27], -v[32:33], v[44:45], v[48:49]
	s_delay_alu instid0(VALU_DEP_3) | instskip(NEXT) | instid1(VALU_DEP_3)
	v_add_f64_e32 v[32:33], v[54:55], v[52:53]
	v_add_f64_e32 v[48:49], v[30:31], v[22:23]
	s_delay_alu instid0(VALU_DEP_3) | instskip(SKIP_1) | instid1(VALU_DEP_4)
	v_div_fmas_f64 v[26:27], v[26:27], v[46:47], v[44:45]
	v_cmp_gt_i32_e32 vcc_lo, 0, v7
	v_add_f64_e64 v[46:47], v[32:33], -v[54:55]
	v_and_b32_e32 v7, 0x400921fb, v16
	v_cndmask_b32_e32 v6, 0x3fe921fb, v61, vcc_lo
	s_delay_alu instid0(VALU_DEP_1) | instskip(SKIP_4) | instid1(VALU_DEP_4)
	v_bfi_b32 v6, 0x7fffffff, v6, v9
	v_add_f64_e32 v[44:45], v[32:33], v[48:49]
	v_div_fixup_f64 v[24:25], v[26:27], v[24:25], v[28:29]
	v_add_f64_e64 v[30:31], v[48:49], -v[30:31]
	v_add_f64_e64 v[46:47], v[52:53], -v[46:47]
	;; [unrolled: 1-line block ×3, first 2 shown]
	s_delay_alu instid0(VALU_DEP_4) | instskip(NEXT) | instid1(VALU_DEP_4)
	v_mul_f64_e32 v[28:29], v[24:25], v[24:25]
	v_add_f64_e64 v[22:23], v[22:23], -v[30:31]
	s_delay_alu instid0(VALU_DEP_3) | instskip(NEXT) | instid1(VALU_DEP_3)
	v_add_f64_e64 v[50:51], v[44:45], -v[26:27]
	v_fmamk_f64 v[54:55], v[28:29], 0x3eeba404b5e68a13, v[40:41]
	v_add_f64_e64 v[26:27], v[48:49], -v[26:27]
	s_delay_alu instid0(VALU_DEP_4) | instskip(NEXT) | instid1(VALU_DEP_3)
	v_add_f64_e32 v[48:49], v[46:47], v[22:23]
	v_fmaak_f64 v[54:55], v[28:29], v[54:55], 0x3f4b2bb069efb384
	v_add_f64_e64 v[30:31], v[32:33], -v[50:51]
	s_delay_alu instid0(VALU_DEP_2) | instskip(NEXT) | instid1(VALU_DEP_1)
	v_fmaak_f64 v[32:33], v[28:29], v[54:55], 0xbf67952daf56de9b
	v_fmaak_f64 v[32:33], v[28:29], v[32:33], 0x3f7d6d43a595c56f
	s_delay_alu instid0(VALU_DEP_1) | instskip(NEXT) | instid1(VALU_DEP_1)
	v_fmaak_f64 v[32:33], v[28:29], v[32:33], 0xbf8c6ea4a57d9582
	v_fmaak_f64 v[32:33], v[28:29], v[32:33], 0x3f967e295f08b19f
	s_delay_alu instid0(VALU_DEP_1) | instskip(SKIP_1) | instid1(VALU_DEP_2)
	v_fmaak_f64 v[32:33], v[28:29], v[32:33], 0xbf9e9ae6fc27006a
	v_add_f64_e32 v[26:27], v[26:27], v[30:31]
	v_fmaak_f64 v[30:31], v[28:29], v[32:33], 0x3fa2c15b5711927a
	v_add_f64_e64 v[32:33], v[48:49], -v[46:47]
	s_delay_alu instid0(VALU_DEP_2) | instskip(NEXT) | instid1(VALU_DEP_1)
	v_fmaak_f64 v[30:31], v[28:29], v[30:31], 0xbfa59976e82d3ff0
	v_fmaak_f64 v[30:31], v[28:29], v[30:31], 0x3fa82d5d6ef28734
	s_delay_alu instid0(VALU_DEP_1) | instskip(NEXT) | instid1(VALU_DEP_1)
	v_fmaak_f64 v[30:31], v[28:29], v[30:31], 0xbfaae5ce6a214619
	v_fmaak_f64 v[30:31], v[28:29], v[30:31], 0x3fae1bb48427b883
	v_add_f64_e32 v[26:27], v[48:49], v[26:27]
	v_add_f64_e64 v[48:49], v[48:49], -v[32:33]
	v_add_f64_e64 v[22:23], v[22:23], -v[32:33]
	s_delay_alu instid0(VALU_DEP_4) | instskip(NEXT) | instid1(VALU_DEP_1)
	v_fmaak_f64 v[30:31], v[28:29], v[30:31], 0xbfb110e48b207f05
	v_fmaak_f64 v[30:31], v[28:29], v[30:31], 0x3fb3b13657b87036
	s_delay_alu instid0(VALU_DEP_1) | instskip(NEXT) | instid1(VALU_DEP_1)
	v_fmaak_f64 v[30:31], v[28:29], v[30:31], 0xbfb745d119378e4f
	v_fmaak_f64 v[30:31], v[28:29], v[30:31], 0x3fbc71c717e1913c
	v_add_f64_e32 v[50:51], v[44:45], v[26:27]
	s_delay_alu instid0(VALU_DEP_2) | instskip(NEXT) | instid1(VALU_DEP_1)
	v_fmaak_f64 v[30:31], v[28:29], v[30:31], 0xbfc2492492376b7d
	v_fmaak_f64 v[30:31], v[28:29], v[30:31], 0x3fc99999999952cc
	s_delay_alu instid0(VALU_DEP_1) | instskip(NEXT) | instid1(VALU_DEP_1)
	v_fmaak_f64 v[30:31], v[28:29], v[30:31], 0xbfd5555555555523
	v_mul_f64_e32 v[28:29], v[28:29], v[30:31]
	v_add_f64_e64 v[30:31], v[46:47], -v[48:49]
	v_add_f64_e64 v[32:33], v[50:51], -v[44:45]
	s_delay_alu instid0(VALU_DEP_3) | instskip(NEXT) | instid1(VALU_DEP_3)
	v_fmac_f64_e32 v[24:25], v[24:25], v[28:29]
	v_add_f64_e32 v[22:23], v[22:23], v[30:31]
	s_delay_alu instid0(VALU_DEP_3) | instskip(NEXT) | instid1(VALU_DEP_3)
	v_add_f64_e64 v[26:27], v[26:27], -v[32:33]
	v_add_f64_e64 v[28:29], -v[24:25], s[24:25]
	s_delay_alu instid0(VALU_DEP_1) | instskip(NEXT) | instid1(VALU_DEP_2)
	v_dual_add_f64 v[22:23], v[22:23], v[26:27] :: v_dual_cndmask_b32 v25, v25, v29, s0
	v_cndmask_b32_e64 v24, v24, v28, s0
	v_and_b32_e32 v29, 0x54442d18, v16
	v_cndmask_b32_e32 v28, 0x54442d18, v60, vcc_lo
	s_delay_alu instid0(VALU_DEP_3) | instskip(SKIP_1) | instid1(VALU_DEP_2)
	v_add_f64_e64 v[26:27], -v[24:25], s[26:27]
	v_add_f64_e32 v[22:23], v[50:51], v[22:23]
	v_dual_cndmask_b32 v24, v24, v26, vcc_lo :: v_dual_cndmask_b32 v16, v25, v27, vcc_lo
	v_cmp_ngt_f64_e32 vcc_lo, -1.0, v[14:15]
	s_delay_alu instid0(VALU_DEP_2) | instskip(NEXT) | instid1(VALU_DEP_3)
	v_dual_mul_f64 v[22:23], 0.5, v[22:23] :: v_dual_cndmask_b32 v24, v24, v29, s1
	v_cndmask_b32_e64 v7, v16, v7, s1
	s_and_b32 s1, s2, s3
	s_delay_alu instid0(VALU_DEP_2) | instid1(SALU_CYCLE_1)
	v_cndmask_b32_e64 v22, 0, v22, s1
	v_cmp_neq_f64_e64 s1, -1.0, v[14:15]
	s_delay_alu instid0(VALU_DEP_4) | instskip(NEXT) | instid1(VALU_DEP_1)
	v_cndmask_b32_e64 v23, 0x7ff00000, v23, s3
	v_cndmask_b32_e32 v16, 0x7ff80000, v23, vcc_lo
	s_and_b32 vcc_lo, s5, s4
	v_dual_cndmask_b32 v25, v7, v6 :: v_dual_cndmask_b32 v24, v24, v28
	s_delay_alu instid0(VALU_DEP_2)
	v_cndmask_b32_e64 v23, 0xfff00000, v16, s1
.LBB173_209:                            ;   in Loop: Header=BB173_162 Depth=1
	s_or_b32 exec_lo, exec_lo, s42
.LBB173_210:                            ;   in Loop: Header=BB173_162 Depth=1
	s_delay_alu instid0(SALU_CYCLE_1)
	s_or_b32 exec_lo, exec_lo, s41
.LBB173_211:                            ;   in Loop: Header=BB173_162 Depth=1
	s_and_not1_saveexec_b32 s3, s40
	s_cbranch_execz .LBB173_213
; %bb.212:                              ;   in Loop: Header=BB173_162 Depth=1
	v_max_num_f64_e64 v[14:15], |v[8:9]|, |v[8:9]|
	v_max_num_f64_e64 v[22:23], |v[6:7]|, |v[6:7]|
	v_cmp_class_f64_e64 s4, v[6:7], 0x204
	v_cmp_class_f64_e64 s5, v[8:9], 0x204
	v_cmp_eq_f64_e64 s2, 0, v[8:9]
	s_delay_alu instid0(VALU_DEP_4) | instskip(SKIP_2) | instid1(VALU_DEP_2)
	v_max_num_f64_e32 v[24:25], v[22:23], v[14:15]
	v_min_num_f64_e32 v[14:15], v[22:23], v[14:15]
	s_or_b32 s1, s4, s5
	v_frexp_exp_i32_f64_e32 v16, v[24:25]
	s_delay_alu instid0(VALU_DEP_1) | instskip(NEXT) | instid1(VALU_DEP_1)
	v_sub_nc_u32_e32 v28, 0, v16
	v_ldexp_f64 v[26:27], |v[8:9]|, v28
	v_ldexp_f64 v[28:29], |v[6:7]|, v28
	s_delay_alu instid0(VALU_DEP_2) | instskip(NEXT) | instid1(VALU_DEP_1)
	v_mul_f64_e32 v[26:27], v[26:27], v[26:27]
	v_fmac_f64_e32 v[26:27], v[28:29], v[28:29]
	s_delay_alu instid0(VALU_DEP_1) | instskip(SKIP_1) | instid1(TRANS32_DEP_1)
	v_rsq_f64_e32 v[28:29], v[26:27]
	v_cmp_eq_f64_e32 vcc_lo, 0, v[26:27]
	v_mul_f64_e32 v[30:31], v[26:27], v[28:29]
	v_mul_f64_e32 v[28:29], 0.5, v[28:29]
	s_delay_alu instid0(VALU_DEP_1) | instskip(NEXT) | instid1(VALU_DEP_1)
	v_fma_f64 v[32:33], -v[28:29], v[30:31], 0.5
	v_fmac_f64_e32 v[30:31], v[30:31], v[32:33]
	v_fmac_f64_e32 v[28:29], v[28:29], v[32:33]
	s_delay_alu instid0(VALU_DEP_2) | instskip(NEXT) | instid1(VALU_DEP_1)
	v_fma_f64 v[32:33], -v[30:31], v[30:31], v[26:27]
	v_fmac_f64_e32 v[30:31], v[32:33], v[28:29]
	s_delay_alu instid0(VALU_DEP_1) | instskip(NEXT) | instid1(VALU_DEP_1)
	v_dual_cndmask_b32 v27, v31, v27 :: v_dual_cndmask_b32 v26, v30, v26
	v_ldexp_f64 v[26:27], v[26:27], v16
	v_ashrrev_i32_e32 v16, 31, v7
	s_delay_alu instid0(VALU_DEP_2) | instskip(NEXT) | instid1(VALU_DEP_3)
	v_cndmask_b32_e64 v27, v27, 0x7ff00000, s1
	v_cndmask_b32_e64 v26, v26, 0, s1
	s_delay_alu instid0(VALU_DEP_1) | instskip(SKIP_1) | instid1(VALU_DEP_2)
	v_frexp_mant_f64_e32 v[28:29], v[26:27]
	v_cmp_class_f64_e64 s1, v[26:27], 0x204
	v_cmp_gt_f64_e32 vcc_lo, s[20:21], v[28:29]
	v_cndmask_b32_e64 v6, 0, 1, vcc_lo
	s_delay_alu instid0(VALU_DEP_1) | instskip(SKIP_1) | instid1(VALU_DEP_2)
	v_ldexp_f64 v[28:29], v[28:29], v6
	v_frexp_exp_i32_f64_e32 v6, v[26:27]
	v_add_f64_e32 v[30:31], 1.0, v[28:29]
	v_add_f64_e32 v[46:47], -1.0, v[28:29]
	s_delay_alu instid0(VALU_DEP_3) | instskip(SKIP_1) | instid1(VALU_DEP_4)
	v_subrev_co_ci_u32_e64 v6, null, 0, v6, vcc_lo
	v_div_scale_f64 v[54:55], vcc_lo, v[14:15], v[24:25], v[14:15]
	v_rcp_f64_e32 v[32:33], v[30:31]
	v_add_f64_e32 v[48:49], -1.0, v[30:31]
	s_delay_alu instid0(VALU_DEP_1) | instskip(NEXT) | instid1(TRANS32_DEP_1)
	v_add_f64_e64 v[28:29], v[28:29], -v[48:49]
	v_fma_f64 v[44:45], -v[30:31], v[32:33], 1.0
	s_delay_alu instid0(VALU_DEP_1) | instskip(NEXT) | instid1(VALU_DEP_1)
	v_fmac_f64_e32 v[32:33], v[44:45], v[32:33]
	v_fma_f64 v[44:45], -v[30:31], v[32:33], 1.0
	s_delay_alu instid0(VALU_DEP_1) | instskip(NEXT) | instid1(VALU_DEP_1)
	v_fmac_f64_e32 v[32:33], v[44:45], v[32:33]
	v_mul_f64_e32 v[44:45], v[46:47], v[32:33]
	s_delay_alu instid0(VALU_DEP_1) | instskip(NEXT) | instid1(VALU_DEP_1)
	v_mul_f64_e32 v[50:51], v[30:31], v[44:45]
	v_fma_f64 v[30:31], v[44:45], v[30:31], -v[50:51]
	s_delay_alu instid0(VALU_DEP_1) | instskip(NEXT) | instid1(VALU_DEP_1)
	v_fmac_f64_e32 v[30:31], v[44:45], v[28:29]
	v_add_f64_e32 v[28:29], v[50:51], v[30:31]
	s_delay_alu instid0(VALU_DEP_1) | instskip(SKIP_1) | instid1(VALU_DEP_2)
	v_add_f64_e64 v[48:49], v[46:47], -v[28:29]
	v_add_f64_e64 v[50:51], v[28:29], -v[50:51]
	;; [unrolled: 1-line block ×3, first 2 shown]
	s_delay_alu instid0(VALU_DEP_2) | instskip(NEXT) | instid1(VALU_DEP_2)
	v_add_f64_e64 v[30:31], v[50:51], -v[30:31]
	v_add_f64_e64 v[28:29], v[46:47], -v[28:29]
	s_delay_alu instid0(VALU_DEP_1) | instskip(NEXT) | instid1(VALU_DEP_1)
	v_add_f64_e32 v[28:29], v[30:31], v[28:29]
	v_add_f64_e32 v[28:29], v[48:49], v[28:29]
	s_delay_alu instid0(VALU_DEP_1) | instskip(SKIP_1) | instid1(VALU_DEP_2)
	v_mul_f64_e32 v[22:23], v[32:33], v[28:29]
	v_div_scale_f64 v[28:29], null, v[24:25], v[24:25], v[14:15]
	v_add_f64_e32 v[30:31], v[44:45], v[22:23]
	s_delay_alu instid0(VALU_DEP_2) | instskip(NEXT) | instid1(VALU_DEP_1)
	v_rcp_f64_e32 v[32:33], v[28:29]
	v_mul_f64_e32 v[46:47], v[30:31], v[30:31]
	s_delay_alu instid0(TRANS32_DEP_1) | instskip(NEXT) | instid1(VALU_DEP_2)
	v_fma_f64 v[50:51], -v[28:29], v[32:33], 1.0
	v_fmamk_f64 v[48:49], v[46:47], 0x3fc3ab76bf559e2b, v[38:39]
	v_mul_f64_e32 v[52:53], v[30:31], v[46:47]
	s_delay_alu instid0(VALU_DEP_3) | instskip(NEXT) | instid1(VALU_DEP_3)
	v_fmac_f64_e32 v[32:33], v[32:33], v[50:51]
	v_fmaak_f64 v[48:49], v[46:47], v[48:49], 0x3fc7474dd7f4df2e
	s_delay_alu instid0(VALU_DEP_1) | instskip(NEXT) | instid1(VALU_DEP_1)
	v_fmaak_f64 v[48:49], v[46:47], v[48:49], 0x3fcc71c016291751
	v_fmaak_f64 v[48:49], v[46:47], v[48:49], 0x3fd249249b27acf1
	s_delay_alu instid0(VALU_DEP_1) | instskip(NEXT) | instid1(VALU_DEP_1)
	v_fmaak_f64 v[48:49], v[46:47], v[48:49], 0x3fd99999998ef7b6
	v_fmaak_f64 v[46:47], v[46:47], v[48:49], 0x3fe5555555555780
	v_ldexp_f64 v[48:49], v[30:31], 1
	v_add_f64_e64 v[30:31], v[30:31], -v[44:45]
	v_fma_f64 v[50:51], -v[28:29], v[32:33], 1.0
	s_delay_alu instid0(VALU_DEP_4) | instskip(SKIP_1) | instid1(VALU_DEP_4)
	v_mul_f64_e32 v[46:47], v[52:53], v[46:47]
	v_cvt_f64_i32_e32 v[52:53], v6
	v_add_f64_e64 v[22:23], v[22:23], -v[30:31]
	s_delay_alu instid0(VALU_DEP_4) | instskip(NEXT) | instid1(VALU_DEP_4)
	v_fmac_f64_e32 v[32:33], v[32:33], v[50:51]
	v_add_f64_e32 v[44:45], v[48:49], v[46:47]
	s_delay_alu instid0(VALU_DEP_4) | instskip(NEXT) | instid1(VALU_DEP_4)
	v_mul_f64_e32 v[50:51], 0x3fe62e42fefa39ef, v[52:53]
	v_ldexp_f64 v[22:23], v[22:23], 1
	s_delay_alu instid0(VALU_DEP_3) | instskip(SKIP_1) | instid1(VALU_DEP_4)
	v_add_f64_e64 v[30:31], v[44:45], -v[48:49]
	v_mul_f64_e32 v[48:49], v[54:55], v[32:33]
	v_fma_f64 v[56:57], v[52:53], s[22:23], -v[50:51]
	s_delay_alu instid0(VALU_DEP_3) | instskip(NEXT) | instid1(VALU_DEP_3)
	v_add_f64_e64 v[30:31], v[46:47], -v[30:31]
	v_fma_f64 v[28:29], -v[28:29], v[48:49], v[54:55]
	s_delay_alu instid0(VALU_DEP_3) | instskip(NEXT) | instid1(VALU_DEP_3)
	v_fmac_f64_e32 v[56:57], 0x3c7abc9e3b39803f, v[52:53]
	v_add_f64_e32 v[22:23], v[22:23], v[30:31]
	s_delay_alu instid0(VALU_DEP_3) | instskip(NEXT) | instid1(VALU_DEP_3)
	v_div_fmas_f64 v[28:29], v[28:29], v[32:33], v[48:49]
	v_add_f64_e32 v[30:31], v[50:51], v[56:57]
	v_cmp_gt_i32_e32 vcc_lo, 0, v7
	s_delay_alu instid0(VALU_DEP_4) | instskip(NEXT) | instid1(VALU_DEP_4)
	v_add_f64_e32 v[32:33], v[44:45], v[22:23]
	v_div_fixup_f64 v[14:15], v[28:29], v[24:25], v[14:15]
	s_delay_alu instid0(VALU_DEP_4) | instskip(NEXT) | instid1(VALU_DEP_3)
	v_add_f64_e64 v[50:51], v[30:31], -v[50:51]
	v_add_f64_e32 v[24:25], v[30:31], v[32:33]
	s_delay_alu instid0(VALU_DEP_3) | instskip(SKIP_1) | instid1(VALU_DEP_4)
	v_mul_f64_e32 v[28:29], v[14:15], v[14:15]
	v_add_f64_e64 v[44:45], v[32:33], -v[44:45]
	v_add_f64_e64 v[50:51], v[56:57], -v[50:51]
	s_delay_alu instid0(VALU_DEP_4) | instskip(NEXT) | instid1(VALU_DEP_4)
	v_add_f64_e64 v[46:47], v[24:25], -v[30:31]
	v_fmamk_f64 v[48:49], v[28:29], 0x3eeba404b5e68a13, v[40:41]
	s_delay_alu instid0(VALU_DEP_4) | instskip(NEXT) | instid1(VALU_DEP_2)
	v_add_f64_e64 v[22:23], v[22:23], -v[44:45]
	v_fmaak_f64 v[48:49], v[28:29], v[48:49], 0x3f4b2bb069efb384
	s_delay_alu instid0(VALU_DEP_1) | instskip(NEXT) | instid1(VALU_DEP_1)
	v_fmaak_f64 v[48:49], v[28:29], v[48:49], 0xbf67952daf56de9b
	v_fmaak_f64 v[48:49], v[28:29], v[48:49], 0x3f7d6d43a595c56f
	s_delay_alu instid0(VALU_DEP_1) | instskip(SKIP_3) | instid1(VALU_DEP_4)
	v_fmaak_f64 v[48:49], v[28:29], v[48:49], 0xbf8c6ea4a57d9582
	v_add_f64_e64 v[52:53], v[24:25], -v[46:47]
	v_add_f64_e64 v[32:33], v[32:33], -v[46:47]
	v_add_f64_e32 v[46:47], v[50:51], v[22:23]
	v_fmaak_f64 v[48:49], v[28:29], v[48:49], 0x3f967e295f08b19f
	s_delay_alu instid0(VALU_DEP_1) | instskip(NEXT) | instid1(VALU_DEP_1)
	v_fmaak_f64 v[44:45], v[28:29], v[48:49], 0xbf9e9ae6fc27006a
	v_fmaak_f64 v[44:45], v[28:29], v[44:45], 0x3fa2c15b5711927a
	s_delay_alu instid0(VALU_DEP_1) | instskip(NEXT) | instid1(VALU_DEP_1)
	v_fmaak_f64 v[44:45], v[28:29], v[44:45], 0xbfa59976e82d3ff0
	v_fmaak_f64 v[44:45], v[28:29], v[44:45], 0x3fa82d5d6ef28734
	v_add_f64_e64 v[30:31], v[30:31], -v[52:53]
	s_delay_alu instid0(VALU_DEP_2) | instskip(NEXT) | instid1(VALU_DEP_2)
	v_fmaak_f64 v[44:45], v[28:29], v[44:45], 0xbfaae5ce6a214619
	v_add_f64_e32 v[30:31], v[32:33], v[30:31]
	s_delay_alu instid0(VALU_DEP_2) | instskip(SKIP_1) | instid1(VALU_DEP_2)
	v_fmaak_f64 v[32:33], v[28:29], v[44:45], 0x3fae1bb48427b883
	v_add_f64_e64 v[44:45], v[46:47], -v[50:51]
	v_fmaak_f64 v[32:33], v[28:29], v[32:33], 0xbfb110e48b207f05
	s_delay_alu instid0(VALU_DEP_1) | instskip(NEXT) | instid1(VALU_DEP_1)
	v_fmaak_f64 v[32:33], v[28:29], v[32:33], 0x3fb3b13657b87036
	v_fmaak_f64 v[32:33], v[28:29], v[32:33], 0xbfb745d119378e4f
	s_delay_alu instid0(VALU_DEP_1) | instskip(SKIP_2) | instid1(VALU_DEP_3)
	v_fmaak_f64 v[32:33], v[28:29], v[32:33], 0x3fbc71c717e1913c
	v_add_f64_e32 v[30:31], v[46:47], v[30:31]
	v_add_f64_e64 v[22:23], v[22:23], -v[44:45]
	v_fmaak_f64 v[32:33], v[28:29], v[32:33], 0xbfc2492492376b7d
	s_delay_alu instid0(VALU_DEP_1) | instskip(NEXT) | instid1(VALU_DEP_1)
	v_fmaak_f64 v[32:33], v[28:29], v[32:33], 0x3fc99999999952cc
	v_fmaak_f64 v[32:33], v[28:29], v[32:33], 0xbfd5555555555523
	s_delay_alu instid0(VALU_DEP_1) | instskip(SKIP_2) | instid1(VALU_DEP_3)
	v_mul_f64_e32 v[28:29], v[28:29], v[32:33]
	v_add_f64_e64 v[32:33], v[46:47], -v[44:45]
	v_add_f64_e32 v[46:47], v[24:25], v[30:31]
	v_fmac_f64_e32 v[14:15], v[14:15], v[28:29]
	s_delay_alu instid0(VALU_DEP_3) | instskip(NEXT) | instid1(VALU_DEP_3)
	v_add_f64_e64 v[28:29], v[50:51], -v[32:33]
	v_add_f64_e64 v[24:25], v[46:47], -v[24:25]
	s_delay_alu instid0(VALU_DEP_3) | instskip(NEXT) | instid1(VALU_DEP_3)
	v_add_f64_e64 v[32:33], -v[14:15], s[24:25]
	v_add_f64_e32 v[22:23], v[22:23], v[28:29]
	v_cndmask_b32_e32 v28, 0x54442d18, v60, vcc_lo
	v_and_b32_e32 v29, 0x54442d18, v16
	v_and_b32_e32 v16, 0x400921fb, v16
	v_add_f64_e64 v[24:25], v[30:31], -v[24:25]
	v_dual_cndmask_b32 v15, v15, v33, s0 :: v_dual_cndmask_b32 v14, v14, v32, s0
	s_delay_alu instid0(VALU_DEP_2) | instskip(NEXT) | instid1(VALU_DEP_2)
	v_add_f64_e32 v[22:23], v[22:23], v[24:25]
	v_add_f64_e64 v[24:25], -v[14:15], s[26:27]
	s_delay_alu instid0(VALU_DEP_2) | instskip(NEXT) | instid1(VALU_DEP_2)
	v_add_f64_e32 v[6:7], v[46:47], v[22:23]
	v_cndmask_b32_e32 v14, v14, v24, vcc_lo
	v_cndmask_b32_e32 v22, 0x3fe921fb, v61, vcc_lo
	s_delay_alu instid0(VALU_DEP_4) | instskip(SKIP_1) | instid1(VALU_DEP_4)
	v_cndmask_b32_e32 v15, v15, v25, vcc_lo
	v_cmp_ngt_f64_e32 vcc_lo, 0, v[26:27]
	v_cndmask_b32_e64 v14, v14, v29, s2
	s_delay_alu instid0(VALU_DEP_4) | instskip(NEXT) | instid1(VALU_DEP_4)
	v_bfi_b32 v22, 0x7fffffff, v22, v9
	v_dual_cndmask_b32 v15, v15, v16, s2 :: v_dual_cndmask_b32 v6, v6, v26, s1
	v_cndmask_b32_e64 v7, v7, v27, s1
	v_cmp_nge_f64_e64 s1, 0, v[26:27]
	s_delay_alu instid0(VALU_DEP_2) | instskip(SKIP_4) | instid1(VALU_DEP_1)
	v_cndmask_b32_e32 v7, 0x7ff80000, v7, vcc_lo
	s_and_b32 vcc_lo, s4, s5
	v_dual_cndmask_b32 v25, v15, v22 :: v_dual_cndmask_b32 v24, v14, v28
	v_cndmask_b32_e64 v22, 0, v6, s1
	v_cmp_neq_f64_e64 s1, 0, v[26:27]
	v_cndmask_b32_e64 v23, 0xfff00000, v7, s1
.LBB173_213:                            ;   in Loop: Header=BB173_162 Depth=1
	s_or_b32 exec_lo, exec_lo, s3
                                        ; implicit-def: $vgpr26_vgpr27
.LBB173_214:                            ;   in Loop: Header=BB173_162 Depth=1
	s_and_not1_saveexec_b32 s3, s39
	s_cbranch_execz .LBB173_220
; %bb.215:                              ;   in Loop: Header=BB173_162 Depth=1
                                        ; implicit-def: $vgpr22_vgpr23
	s_mov_b32 s1, exec_lo
	v_cmpx_ngt_f64_e32 s[30:31], v[26:27]
	s_xor_b32 s4, exec_lo, s1
	s_cbranch_execz .LBB173_217
; %bb.216:                              ;   in Loop: Header=BB173_162 Depth=1
	v_mul_f64_e32 v[14:15], v[26:27], v[26:27]
	v_cmp_eq_f64_e64 s1, 0, v[8:9]
	v_cmp_class_f64_e64 s5, v[8:9], 0x204
	v_cmp_class_f64_e64 s6, v[6:7], 0x204
	s_delay_alu instid0(VALU_DEP_4) | instskip(NEXT) | instid1(VALU_DEP_1)
	v_add_f64_e32 v[22:23], 1.0, v[14:15]
	v_frexp_mant_f64_e32 v[24:25], v[22:23]
	v_frexp_exp_i32_f64_e32 v16, v[22:23]
	v_add_f64_e32 v[26:27], -1.0, v[22:23]
	s_delay_alu instid0(VALU_DEP_3) | instskip(NEXT) | instid1(VALU_DEP_2)
	v_cmp_gt_f64_e32 vcc_lo, s[20:21], v[24:25]
	v_add_f64_e64 v[24:25], v[26:27], -v[22:23]
	s_delay_alu instid0(VALU_DEP_4) | instskip(NEXT) | instid1(VALU_DEP_2)
	v_subrev_co_ci_u32_e64 v16, null, 0, v16, vcc_lo
	v_add_f64_e32 v[24:25], 1.0, v[24:25]
	s_delay_alu instid0(VALU_DEP_2) | instskip(SKIP_1) | instid1(VALU_DEP_2)
	v_dual_add_f64 v[26:27], v[14:15], -v[26:27] :: v_dual_sub_nc_u32 v30, 0, v16
	v_cmp_neq_f64_e64 s2, 0x7ff00000, v[14:15]
	v_ldexp_f64 v[22:23], v[22:23], v30
	s_delay_alu instid0(VALU_DEP_3) | instskip(NEXT) | instid1(VALU_DEP_2)
	v_add_f64_e32 v[24:25], v[26:27], v[24:25]
	v_add_f64_e32 v[28:29], 1.0, v[22:23]
	v_add_f64_e32 v[44:45], -1.0, v[22:23]
	s_delay_alu instid0(VALU_DEP_3) | instskip(NEXT) | instid1(VALU_DEP_3)
	v_ldexp_f64 v[24:25], v[24:25], v30
	v_add_f64_e32 v[26:27], -1.0, v[28:29]
	s_delay_alu instid0(VALU_DEP_3) | instskip(NEXT) | instid1(VALU_DEP_2)
	v_add_f64_e32 v[46:47], 1.0, v[44:45]
	v_add_f64_e64 v[26:27], v[22:23], -v[26:27]
	s_delay_alu instid0(VALU_DEP_2) | instskip(NEXT) | instid1(VALU_DEP_2)
	v_add_f64_e64 v[22:23], v[22:23], -v[46:47]
	v_add_f64_e32 v[26:27], v[24:25], v[26:27]
	s_delay_alu instid0(VALU_DEP_2) | instskip(NEXT) | instid1(VALU_DEP_2)
	v_add_f64_e32 v[22:23], v[24:25], v[22:23]
	v_add_f64_e32 v[30:31], v[28:29], v[26:27]
	s_delay_alu instid0(VALU_DEP_2) | instskip(NEXT) | instid1(VALU_DEP_2)
	v_add_f64_e32 v[46:47], v[44:45], v[22:23]
	v_rcp_f64_e32 v[32:33], v[30:31]
	v_add_f64_e64 v[28:29], v[28:29], -v[30:31]
	s_delay_alu instid0(VALU_DEP_2) | instskip(NEXT) | instid1(VALU_DEP_2)
	v_add_f64_e64 v[44:45], v[44:45], -v[46:47]
	v_add_f64_e32 v[26:27], v[26:27], v[28:29]
	s_delay_alu instid0(VALU_DEP_2) | instskip(NEXT) | instid1(TRANS32_DEP_1)
	v_add_f64_e32 v[22:23], v[22:23], v[44:45]
	v_fma_f64 v[48:49], -v[30:31], v[32:33], 1.0
	s_delay_alu instid0(VALU_DEP_1) | instskip(NEXT) | instid1(VALU_DEP_1)
	v_fmac_f64_e32 v[32:33], v[48:49], v[32:33]
	v_fma_f64 v[24:25], -v[30:31], v[32:33], 1.0
	s_delay_alu instid0(VALU_DEP_1) | instskip(NEXT) | instid1(VALU_DEP_1)
	v_fmac_f64_e32 v[32:33], v[24:25], v[32:33]
	v_mul_f64_e32 v[24:25], v[46:47], v[32:33]
	s_delay_alu instid0(VALU_DEP_1) | instskip(NEXT) | instid1(VALU_DEP_1)
	v_mul_f64_e32 v[48:49], v[30:31], v[24:25]
	v_fma_f64 v[28:29], v[24:25], v[30:31], -v[48:49]
	s_delay_alu instid0(VALU_DEP_1) | instskip(NEXT) | instid1(VALU_DEP_1)
	v_fmac_f64_e32 v[28:29], v[24:25], v[26:27]
	v_add_f64_e32 v[50:51], v[48:49], v[28:29]
	s_delay_alu instid0(VALU_DEP_1) | instskip(SKIP_1) | instid1(VALU_DEP_2)
	v_add_f64_e64 v[52:53], v[46:47], -v[50:51]
	v_add_f64_e64 v[44:45], v[50:51], -v[48:49]
	;; [unrolled: 1-line block ×3, first 2 shown]
	s_delay_alu instid0(VALU_DEP_2) | instskip(NEXT) | instid1(VALU_DEP_2)
	v_add_f64_e64 v[28:29], v[44:45], -v[28:29]
	v_add_f64_e64 v[46:47], v[46:47], -v[50:51]
	s_delay_alu instid0(VALU_DEP_1) | instskip(NEXT) | instid1(VALU_DEP_1)
	v_add_f64_e32 v[22:23], v[22:23], v[46:47]
	v_add_f64_e32 v[22:23], v[28:29], v[22:23]
	s_delay_alu instid0(VALU_DEP_1) | instskip(NEXT) | instid1(VALU_DEP_1)
	v_add_f64_e32 v[28:29], v[52:53], v[22:23]
	v_mul_f64_e32 v[44:45], v[32:33], v[28:29]
	v_add_f64_e64 v[50:51], v[52:53], -v[28:29]
	s_delay_alu instid0(VALU_DEP_2) | instskip(NEXT) | instid1(VALU_DEP_2)
	v_mul_f64_e32 v[46:47], v[30:31], v[44:45]
	v_add_f64_e32 v[22:23], v[22:23], v[50:51]
	s_delay_alu instid0(VALU_DEP_2) | instskip(NEXT) | instid1(VALU_DEP_1)
	v_fma_f64 v[30:31], v[44:45], v[30:31], -v[46:47]
	v_fmac_f64_e32 v[30:31], v[44:45], v[26:27]
	s_delay_alu instid0(VALU_DEP_1) | instskip(NEXT) | instid1(VALU_DEP_1)
	v_add_f64_e32 v[26:27], v[46:47], v[30:31]
	v_add_f64_e64 v[48:49], v[28:29], -v[26:27]
	v_add_f64_e64 v[46:47], v[26:27], -v[46:47]
	s_delay_alu instid0(VALU_DEP_2) | instskip(NEXT) | instid1(VALU_DEP_1)
	v_add_f64_e64 v[28:29], v[28:29], -v[48:49]
	v_add_f64_e64 v[26:27], v[28:29], -v[26:27]
	s_delay_alu instid0(VALU_DEP_3) | instskip(SKIP_1) | instid1(VALU_DEP_3)
	v_add_f64_e64 v[28:29], v[46:47], -v[30:31]
	v_max_num_f64_e64 v[30:31], |v[6:7]|, |v[6:7]|
	v_add_f64_e32 v[22:23], v[22:23], v[26:27]
	v_add_f64_e32 v[26:27], v[24:25], v[44:45]
	s_delay_alu instid0(VALU_DEP_2) | instskip(NEXT) | instid1(VALU_DEP_2)
	v_add_f64_e32 v[22:23], v[28:29], v[22:23]
	v_add_f64_e64 v[24:25], v[26:27], -v[24:25]
	v_max_num_f64_e64 v[28:29], |v[8:9]|, |v[8:9]|
	s_delay_alu instid0(VALU_DEP_3) | instskip(NEXT) | instid1(VALU_DEP_3)
	v_add_f64_e32 v[22:23], v[48:49], v[22:23]
	v_add_f64_e64 v[24:25], v[44:45], -v[24:25]
	s_delay_alu instid0(VALU_DEP_2) | instskip(NEXT) | instid1(VALU_DEP_1)
	v_mul_f64_e32 v[22:23], v[32:33], v[22:23]
	v_add_f64_e32 v[22:23], v[24:25], v[22:23]
	v_max_num_f64_e32 v[24:25], v[30:31], v[28:29]
	v_min_num_f64_e32 v[28:29], v[30:31], v[28:29]
	s_delay_alu instid0(VALU_DEP_3) | instskip(NEXT) | instid1(VALU_DEP_2)
	v_add_f64_e32 v[30:31], v[26:27], v[22:23]
	v_div_scale_f64 v[32:33], null, v[24:25], v[24:25], v[28:29]
	s_delay_alu instid0(VALU_DEP_2) | instskip(SKIP_1) | instid1(VALU_DEP_3)
	v_mul_f64_e32 v[44:45], v[30:31], v[30:31]
	v_add_f64_e64 v[26:27], v[30:31], -v[26:27]
	v_rcp_f64_e32 v[46:47], v[32:33]
	s_delay_alu instid0(VALU_DEP_2) | instskip(SKIP_1) | instid1(VALU_DEP_3)
	v_fmamk_f64 v[48:49], v[44:45], 0x3fc3ab76bf559e2b, v[38:39]
	v_mul_f64_e32 v[50:51], v[30:31], v[44:45]
	v_add_f64_e64 v[22:23], v[22:23], -v[26:27]
	s_delay_alu instid0(VALU_DEP_3) | instskip(NEXT) | instid1(TRANS32_DEP_1)
	v_fmaak_f64 v[48:49], v[44:45], v[48:49], 0x3fc7474dd7f4df2e
	v_fma_f64 v[52:53], -v[32:33], v[46:47], 1.0
	s_delay_alu instid0(VALU_DEP_2) | instskip(NEXT) | instid1(VALU_DEP_1)
	v_fmaak_f64 v[48:49], v[44:45], v[48:49], 0x3fcc71c016291751
	v_fmaak_f64 v[48:49], v[44:45], v[48:49], 0x3fd249249b27acf1
	s_delay_alu instid0(VALU_DEP_1) | instskip(SKIP_1) | instid1(VALU_DEP_2)
	v_fmaak_f64 v[48:49], v[44:45], v[48:49], 0x3fd99999998ef7b6
	v_ldexp_f64 v[22:23], v[22:23], 1
	v_fmaak_f64 v[44:45], v[44:45], v[48:49], 0x3fe5555555555780
	v_ldexp_f64 v[48:49], v[30:31], 1
	v_fmac_f64_e32 v[46:47], v[46:47], v[52:53]
	s_delay_alu instid0(VALU_DEP_3) | instskip(SKIP_2) | instid1(VALU_DEP_1)
	v_mul_f64_e32 v[44:45], v[50:51], v[44:45]
	v_cvt_f64_i32_e32 v[50:51], v16
	v_ashrrev_i32_e32 v16, 31, v7
	v_and_b32_e32 v15, 0x400921fb, v16
	v_fma_f64 v[52:53], -v[32:33], v[46:47], 1.0
	v_add_f64_e32 v[30:31], v[48:49], v[44:45]
	v_mul_f64_e32 v[54:55], 0x3fe62e42fefa39ef, v[50:51]
	s_delay_alu instid0(VALU_DEP_3) | instskip(NEXT) | instid1(VALU_DEP_3)
	v_fmac_f64_e32 v[46:47], v[46:47], v[52:53]
	v_add_f64_e64 v[26:27], v[30:31], -v[48:49]
	v_div_scale_f64 v[48:49], vcc_lo, v[28:29], v[24:25], v[28:29]
	s_delay_alu instid0(VALU_DEP_4) | instskip(NEXT) | instid1(VALU_DEP_3)
	v_fma_f64 v[52:53], v[50:51], s[22:23], -v[54:55]
	v_add_f64_e64 v[26:27], v[44:45], -v[26:27]
	s_delay_alu instid0(VALU_DEP_3) | instskip(NEXT) | instid1(VALU_DEP_3)
	v_mul_f64_e32 v[44:45], v[48:49], v[46:47]
	v_fmac_f64_e32 v[52:53], 0x3c7abc9e3b39803f, v[50:51]
	s_delay_alu instid0(VALU_DEP_3) | instskip(NEXT) | instid1(VALU_DEP_3)
	v_add_f64_e32 v[22:23], v[22:23], v[26:27]
	v_fma_f64 v[26:27], -v[32:33], v[44:45], v[48:49]
	s_delay_alu instid0(VALU_DEP_3) | instskip(NEXT) | instid1(VALU_DEP_3)
	v_add_f64_e32 v[32:33], v[54:55], v[52:53]
	v_add_f64_e32 v[48:49], v[30:31], v[22:23]
	s_delay_alu instid0(VALU_DEP_3) | instskip(SKIP_1) | instid1(VALU_DEP_4)
	v_div_fmas_f64 v[26:27], v[26:27], v[46:47], v[44:45]
	v_cmp_gt_i32_e32 vcc_lo, 0, v7
	v_add_f64_e64 v[46:47], v[32:33], -v[54:55]
	v_cndmask_b32_e32 v14, 0x3fe921fb, v61, vcc_lo
	s_delay_alu instid0(VALU_DEP_1) | instskip(SKIP_4) | instid1(VALU_DEP_4)
	v_bfi_b32 v14, 0x7fffffff, v14, v9
	v_add_f64_e32 v[44:45], v[32:33], v[48:49]
	v_div_fixup_f64 v[24:25], v[26:27], v[24:25], v[28:29]
	v_add_f64_e64 v[30:31], v[48:49], -v[30:31]
	v_add_f64_e64 v[46:47], v[52:53], -v[46:47]
	;; [unrolled: 1-line block ×3, first 2 shown]
	s_delay_alu instid0(VALU_DEP_4) | instskip(NEXT) | instid1(VALU_DEP_4)
	v_mul_f64_e32 v[28:29], v[24:25], v[24:25]
	v_add_f64_e64 v[22:23], v[22:23], -v[30:31]
	s_delay_alu instid0(VALU_DEP_3) | instskip(NEXT) | instid1(VALU_DEP_3)
	v_add_f64_e64 v[50:51], v[44:45], -v[26:27]
	v_fmamk_f64 v[54:55], v[28:29], 0x3eeba404b5e68a13, v[40:41]
	v_add_f64_e64 v[26:27], v[48:49], -v[26:27]
	s_delay_alu instid0(VALU_DEP_4) | instskip(NEXT) | instid1(VALU_DEP_3)
	v_add_f64_e32 v[48:49], v[46:47], v[22:23]
	v_fmaak_f64 v[54:55], v[28:29], v[54:55], 0x3f4b2bb069efb384
	s_delay_alu instid0(VALU_DEP_1) | instskip(SKIP_1) | instid1(VALU_DEP_2)
	v_fmaak_f64 v[54:55], v[28:29], v[54:55], 0xbf67952daf56de9b
	v_add_f64_e64 v[30:31], v[32:33], -v[50:51]
	v_fmaak_f64 v[32:33], v[28:29], v[54:55], 0x3f7d6d43a595c56f
	s_delay_alu instid0(VALU_DEP_1) | instskip(NEXT) | instid1(VALU_DEP_1)
	v_fmaak_f64 v[32:33], v[28:29], v[32:33], 0xbf8c6ea4a57d9582
	v_fmaak_f64 v[32:33], v[28:29], v[32:33], 0x3f967e295f08b19f
	s_delay_alu instid0(VALU_DEP_1) | instskip(NEXT) | instid1(VALU_DEP_1)
	v_fmaak_f64 v[32:33], v[28:29], v[32:33], 0xbf9e9ae6fc27006a
	v_fmaak_f64 v[32:33], v[28:29], v[32:33], 0x3fa2c15b5711927a
	v_add_f64_e32 v[26:27], v[26:27], v[30:31]
	s_delay_alu instid0(VALU_DEP_2) | instskip(SKIP_1) | instid1(VALU_DEP_2)
	v_fmaak_f64 v[30:31], v[28:29], v[32:33], 0xbfa59976e82d3ff0
	v_add_f64_e64 v[32:33], v[48:49], -v[46:47]
	v_fmaak_f64 v[30:31], v[28:29], v[30:31], 0x3fa82d5d6ef28734
	s_delay_alu instid0(VALU_DEP_1) | instskip(NEXT) | instid1(VALU_DEP_1)
	v_fmaak_f64 v[30:31], v[28:29], v[30:31], 0xbfaae5ce6a214619
	v_fmaak_f64 v[30:31], v[28:29], v[30:31], 0x3fae1bb48427b883
	s_delay_alu instid0(VALU_DEP_1) | instskip(SKIP_3) | instid1(VALU_DEP_4)
	v_fmaak_f64 v[30:31], v[28:29], v[30:31], 0xbfb110e48b207f05
	v_add_f64_e32 v[26:27], v[48:49], v[26:27]
	v_add_f64_e64 v[48:49], v[48:49], -v[32:33]
	v_add_f64_e64 v[22:23], v[22:23], -v[32:33]
	v_fmaak_f64 v[30:31], v[28:29], v[30:31], 0x3fb3b13657b87036
	s_delay_alu instid0(VALU_DEP_1) | instskip(NEXT) | instid1(VALU_DEP_1)
	v_fmaak_f64 v[30:31], v[28:29], v[30:31], 0xbfb745d119378e4f
	v_fmaak_f64 v[30:31], v[28:29], v[30:31], 0x3fbc71c717e1913c
	s_delay_alu instid0(VALU_DEP_1) | instskip(SKIP_1) | instid1(VALU_DEP_2)
	v_fmaak_f64 v[30:31], v[28:29], v[30:31], 0xbfc2492492376b7d
	v_add_f64_e32 v[50:51], v[44:45], v[26:27]
	v_fmaak_f64 v[30:31], v[28:29], v[30:31], 0x3fc99999999952cc
	s_delay_alu instid0(VALU_DEP_1) | instskip(NEXT) | instid1(VALU_DEP_1)
	v_fmaak_f64 v[30:31], v[28:29], v[30:31], 0xbfd5555555555523
	v_mul_f64_e32 v[28:29], v[28:29], v[30:31]
	v_add_f64_e64 v[30:31], v[46:47], -v[48:49]
	v_add_f64_e64 v[32:33], v[50:51], -v[44:45]
	s_delay_alu instid0(VALU_DEP_3) | instskip(NEXT) | instid1(VALU_DEP_3)
	v_fmac_f64_e32 v[24:25], v[24:25], v[28:29]
	v_add_f64_e32 v[22:23], v[22:23], v[30:31]
	s_delay_alu instid0(VALU_DEP_3) | instskip(NEXT) | instid1(VALU_DEP_3)
	v_add_f64_e64 v[26:27], v[26:27], -v[32:33]
	v_add_f64_e64 v[28:29], -v[24:25], s[24:25]
	s_delay_alu instid0(VALU_DEP_1) | instskip(NEXT) | instid1(VALU_DEP_2)
	v_dual_add_f64 v[22:23], v[22:23], v[26:27] :: v_dual_cndmask_b32 v25, v25, v29, s0
	v_cndmask_b32_e64 v24, v24, v28, s0
	v_and_b32_e32 v29, 0x54442d18, v16
	v_cndmask_b32_e32 v28, 0x54442d18, v60, vcc_lo
	s_delay_alu instid0(VALU_DEP_3) | instskip(SKIP_1) | instid1(VALU_DEP_2)
	v_add_f64_e64 v[26:27], -v[24:25], s[26:27]
	v_add_f64_e32 v[22:23], v[50:51], v[22:23]
	v_dual_cndmask_b32 v24, v24, v26, vcc_lo :: v_dual_cndmask_b32 v16, v25, v27, vcc_lo
	s_and_b32 vcc_lo, s6, s5
                                        ; implicit-def: $vgpr26_vgpr27
	s_delay_alu instid0(VALU_DEP_1) | instskip(NEXT) | instid1(VALU_DEP_2)
	v_cndmask_b32_e64 v24, v24, v29, s1
	v_cndmask_b32_e64 v15, v16, v15, s1
	s_delay_alu instid0(VALU_DEP_2) | instskip(NEXT) | instid1(VALU_DEP_2)
	v_dual_mul_f64 v[6:7], 0.5, v[22:23] :: v_dual_cndmask_b32 v24, v24, v28, vcc_lo
	v_cndmask_b32_e32 v25, v15, v14, vcc_lo
	s_delay_alu instid0(VALU_DEP_2) | instskip(NEXT) | instid1(VALU_DEP_3)
	v_cndmask_b32_e64 v23, 0x7ff00000, v7, s2
	v_cndmask_b32_e64 v22, 0, v6, s2
.LBB173_217:                            ;   in Loop: Header=BB173_162 Depth=1
	s_and_not1_saveexec_b32 s2, s4
	s_cbranch_execz .LBB173_219
; %bb.218:                              ;   in Loop: Header=BB173_162 Depth=1
	v_max_num_f64_e64 v[14:15], |v[8:9]|, |v[8:9]|
	v_max_num_f64_e64 v[22:23], |v[6:7]|, |v[6:7]|
	v_cmp_eq_f64_e64 s1, 0, v[8:9]
	v_cmp_class_f64_e64 s4, v[8:9], 0x204
	v_cmp_class_f64_e64 s5, v[6:7], 0x204
	v_ashrrev_i32_e32 v16, 31, v7
	v_max_num_f64_e32 v[24:25], v[22:23], v[14:15]
	v_min_num_f64_e32 v[14:15], v[22:23], v[14:15]
	s_delay_alu instid0(VALU_DEP_1) | instskip(SKIP_1) | instid1(VALU_DEP_2)
	v_div_scale_f64 v[22:23], null, v[24:25], v[24:25], v[14:15]
	v_div_scale_f64 v[32:33], vcc_lo, v[14:15], v[24:25], v[14:15]
	v_rcp_f64_e32 v[28:29], v[22:23]
	v_nop
	s_delay_alu instid0(TRANS32_DEP_1) | instskip(NEXT) | instid1(VALU_DEP_1)
	v_fma_f64 v[30:31], -v[22:23], v[28:29], 1.0
	v_fmac_f64_e32 v[28:29], v[28:29], v[30:31]
	s_delay_alu instid0(VALU_DEP_1) | instskip(NEXT) | instid1(VALU_DEP_1)
	v_fma_f64 v[30:31], -v[22:23], v[28:29], 1.0
	v_fmac_f64_e32 v[28:29], v[28:29], v[30:31]
	s_delay_alu instid0(VALU_DEP_1) | instskip(NEXT) | instid1(VALU_DEP_1)
	v_mul_f64_e32 v[30:31], v[32:33], v[28:29]
	v_fma_f64 v[22:23], -v[22:23], v[30:31], v[32:33]
	s_delay_alu instid0(VALU_DEP_1)
	v_div_fmas_f64 v[22:23], v[22:23], v[28:29], v[30:31]
	v_cmp_gt_i32_e32 vcc_lo, 0, v7
	v_and_b32_e32 v29, 0x54442d18, v16
	v_and_b32_e32 v7, 0x400921fb, v16
	v_cndmask_b32_e32 v6, 0x3fe921fb, v61, vcc_lo
	v_cndmask_b32_e32 v28, 0x54442d18, v60, vcc_lo
	s_delay_alu instid0(VALU_DEP_2) | instskip(SKIP_1) | instid1(VALU_DEP_1)
	v_bfi_b32 v6, 0x7fffffff, v6, v9
	v_div_fixup_f64 v[14:15], v[22:23], v[24:25], v[14:15]
	v_mul_f64_e32 v[22:23], v[14:15], v[14:15]
	s_delay_alu instid0(VALU_DEP_1) | instskip(NEXT) | instid1(VALU_DEP_1)
	v_fmamk_f64 v[24:25], v[22:23], 0x3eeba404b5e68a13, v[40:41]
	v_fmaak_f64 v[24:25], v[22:23], v[24:25], 0x3f4b2bb069efb384
	s_delay_alu instid0(VALU_DEP_1) | instskip(NEXT) | instid1(VALU_DEP_1)
	v_fmaak_f64 v[24:25], v[22:23], v[24:25], 0xbf67952daf56de9b
	v_fmaak_f64 v[24:25], v[22:23], v[24:25], 0x3f7d6d43a595c56f
	s_delay_alu instid0(VALU_DEP_1) | instskip(NEXT) | instid1(VALU_DEP_1)
	v_fmaak_f64 v[24:25], v[22:23], v[24:25], 0xbf8c6ea4a57d9582
	;; [unrolled: 3-line block ×9, first 2 shown]
	v_mul_f64_e32 v[22:23], v[22:23], v[24:25]
	s_delay_alu instid0(VALU_DEP_1) | instskip(NEXT) | instid1(VALU_DEP_1)
	v_fmac_f64_e32 v[14:15], v[14:15], v[22:23]
	v_add_f64_e64 v[22:23], -v[14:15], s[24:25]
	s_delay_alu instid0(VALU_DEP_1) | instskip(NEXT) | instid1(VALU_DEP_1)
	v_dual_cndmask_b32 v15, v15, v23, s0 :: v_dual_cndmask_b32 v14, v14, v22, s0
	v_add_f64_e64 v[24:25], -v[14:15], s[26:27]
	s_delay_alu instid0(VALU_DEP_1) | instskip(NEXT) | instid1(VALU_DEP_2)
	v_dual_mul_f64 v[22:23], 0.5, v[26:27] :: v_dual_cndmask_b32 v15, v15, v25, vcc_lo
	v_cndmask_b32_e32 v14, v14, v24, vcc_lo
	s_and_b32 vcc_lo, s5, s4
	s_delay_alu instid0(VALU_DEP_1) | instskip(NEXT) | instid1(VALU_DEP_1)
	v_dual_cndmask_b32 v7, v15, v7, s1 :: v_dual_cndmask_b32 v14, v14, v29, s1
	v_dual_cndmask_b32 v25, v7, v6 :: v_dual_cndmask_b32 v24, v14, v28
	s_delay_alu instid0(VALU_DEP_4)
	v_mul_f64_e32 v[22:23], v[26:27], v[22:23]
.LBB173_219:                            ;   in Loop: Header=BB173_162 Depth=1
	s_or_b32 exec_lo, exec_lo, s2
.LBB173_220:                            ;   in Loop: Header=BB173_162 Depth=1
	s_delay_alu instid0(SALU_CYCLE_1)
	s_or_b32 exec_lo, exec_lo, s3
.LBB173_221:                            ;   in Loop: Header=BB173_162 Depth=1
	s_and_not1_saveexec_b32 s2, s38
	s_cbranch_execz .LBB173_223
; %bb.222:                              ;   in Loop: Header=BB173_162 Depth=1
	v_div_scale_f64 v[14:15], null, s[34:35], s[34:35], v[6:7]
	v_div_scale_f64 v[22:23], null, s[34:35], s[34:35], v[8:9]
	v_div_scale_f64 v[32:33], vcc_lo, v[6:7], s[34:35], v[6:7]
	s_delay_alu instid0(VALU_DEP_3) | instskip(NEXT) | instid1(VALU_DEP_2)
	v_rcp_f64_e32 v[24:25], v[14:15]
	v_rcp_f64_e32 v[26:27], v[22:23]
	s_delay_alu instid0(TRANS32_DEP_2) | instskip(NEXT) | instid1(TRANS32_DEP_1)
	v_fma_f64 v[28:29], -v[14:15], v[24:25], 1.0
	v_fma_f64 v[30:31], -v[22:23], v[26:27], 1.0
	s_delay_alu instid0(VALU_DEP_2) | instskip(NEXT) | instid1(VALU_DEP_2)
	v_fmac_f64_e32 v[24:25], v[24:25], v[28:29]
	v_fmac_f64_e32 v[26:27], v[26:27], v[30:31]
	s_delay_alu instid0(VALU_DEP_2) | instskip(NEXT) | instid1(VALU_DEP_2)
	v_fma_f64 v[28:29], -v[14:15], v[24:25], 1.0
	v_fma_f64 v[30:31], -v[22:23], v[26:27], 1.0
	s_delay_alu instid0(VALU_DEP_2) | instskip(SKIP_1) | instid1(VALU_DEP_3)
	v_fmac_f64_e32 v[24:25], v[24:25], v[28:29]
	v_div_scale_f64 v[28:29], s1, v[8:9], s[34:35], v[8:9]
	v_fmac_f64_e32 v[26:27], v[26:27], v[30:31]
	s_delay_alu instid0(VALU_DEP_3) | instskip(NEXT) | instid1(VALU_DEP_2)
	v_mul_f64_e32 v[30:31], v[32:33], v[24:25]
	v_mul_f64_e32 v[44:45], v[28:29], v[26:27]
	s_delay_alu instid0(VALU_DEP_2) | instskip(NEXT) | instid1(VALU_DEP_2)
	v_fma_f64 v[14:15], -v[14:15], v[30:31], v[32:33]
	v_fma_f64 v[22:23], -v[22:23], v[44:45], v[28:29]
	s_delay_alu instid0(VALU_DEP_2) | instskip(SKIP_1) | instid1(VALU_DEP_2)
	v_div_fmas_f64 v[14:15], v[14:15], v[24:25], v[30:31]
	s_mov_b32 vcc_lo, s1
	v_div_fmas_f64 v[22:23], v[22:23], v[26:27], v[44:45]
	s_delay_alu instid0(VALU_DEP_2) | instskip(NEXT) | instid1(VALU_DEP_2)
	v_div_fixup_f64 v[14:15], v[14:15], s[34:35], v[6:7]
	v_div_fixup_f64 v[22:23], v[22:23], s[34:35], v[8:9]
	s_delay_alu instid0(VALU_DEP_2) | instskip(NEXT) | instid1(VALU_DEP_2)
	v_cmp_class_f64_e64 s1, v[14:15], 0x204
	v_max_num_f64_e64 v[24:25], |v[14:15]|, |v[22:23]|
	v_cmp_class_f64_e64 s3, v[22:23], 0x204
	s_delay_alu instid0(VALU_DEP_2) | instskip(SKIP_2) | instid1(VALU_DEP_2)
	v_frexp_exp_i32_f64_e32 v16, v[24:25]
	s_or_b32 s1, s1, s3
	v_cmp_class_f64_e64 s3, v[6:7], 0x204
	v_sub_nc_u32_e32 v26, 0, v16
	s_delay_alu instid0(VALU_DEP_1) | instskip(SKIP_1) | instid1(VALU_DEP_2)
	v_ldexp_f64 v[24:25], |v[22:23]|, v26
	v_ldexp_f64 v[26:27], |v[14:15]|, v26
	v_mul_f64_e32 v[24:25], v[24:25], v[24:25]
	s_delay_alu instid0(VALU_DEP_1) | instskip(NEXT) | instid1(VALU_DEP_1)
	v_fmac_f64_e32 v[24:25], v[26:27], v[26:27]
	v_rsq_f64_e32 v[26:27], v[24:25]
	v_cmp_eq_f64_e32 vcc_lo, 0, v[24:25]
	s_delay_alu instid0(TRANS32_DEP_1) | instskip(SKIP_1) | instid1(VALU_DEP_1)
	v_mul_f64_e32 v[28:29], v[24:25], v[26:27]
	v_mul_f64_e32 v[26:27], 0.5, v[26:27]
	v_fma_f64 v[30:31], -v[26:27], v[28:29], 0.5
	s_delay_alu instid0(VALU_DEP_1) | instskip(SKIP_1) | instid1(VALU_DEP_2)
	v_fmac_f64_e32 v[28:29], v[28:29], v[30:31]
	v_fmac_f64_e32 v[26:27], v[26:27], v[30:31]
	v_fma_f64 v[30:31], -v[28:29], v[28:29], v[24:25]
	s_delay_alu instid0(VALU_DEP_1) | instskip(NEXT) | instid1(VALU_DEP_1)
	v_fmac_f64_e32 v[28:29], v[30:31], v[26:27]
	v_dual_cndmask_b32 v25, v29, v25 :: v_dual_cndmask_b32 v24, v28, v24
	v_cmp_o_f64_e32 vcc_lo, v[14:15], v[22:23]
	s_delay_alu instid0(VALU_DEP_2) | instskip(NEXT) | instid1(VALU_DEP_1)
	v_ldexp_f64 v[24:25], v[24:25], v16
	v_cndmask_b32_e32 v14, 0, v24, vcc_lo
	s_delay_alu instid0(VALU_DEP_2) | instskip(NEXT) | instid1(VALU_DEP_2)
	v_cndmask_b32_e32 v15, 0x7ff80000, v25, vcc_lo
	v_cndmask_b32_e64 v14, v14, 0, s1
	s_delay_alu instid0(VALU_DEP_2) | instskip(SKIP_1) | instid1(VALU_DEP_2)
	v_cndmask_b32_e64 v15, v15, 0x7ff00000, s1
	v_cmp_class_f64_e64 s1, v[8:9], 0x204
	v_frexp_mant_f64_e32 v[22:23], v[14:15]
	s_delay_alu instid0(VALU_DEP_1) | instskip(SKIP_1) | instid1(VALU_DEP_1)
	v_cmp_gt_f64_e32 vcc_lo, s[20:21], v[22:23]
	v_cndmask_b32_e64 v16, 0, 1, vcc_lo
	v_ldexp_f64 v[22:23], v[22:23], v16
	v_frexp_exp_i32_f64_e32 v16, v[14:15]
	s_delay_alu instid0(VALU_DEP_2) | instskip(SKIP_1) | instid1(VALU_DEP_3)
	v_add_f64_e32 v[24:25], 1.0, v[22:23]
	v_add_f64_e32 v[30:31], -1.0, v[22:23]
	v_subrev_co_ci_u32_e64 v16, null, 0, v16, vcc_lo
	s_delay_alu instid0(VALU_DEP_3) | instskip(SKIP_1) | instid1(VALU_DEP_1)
	v_rcp_f64_e32 v[26:27], v[24:25]
	v_add_f64_e32 v[32:33], -1.0, v[24:25]
	v_add_f64_e64 v[22:23], v[22:23], -v[32:33]
	s_delay_alu instid0(TRANS32_DEP_1) | instskip(NEXT) | instid1(VALU_DEP_1)
	v_fma_f64 v[28:29], -v[24:25], v[26:27], 1.0
	v_fmac_f64_e32 v[26:27], v[28:29], v[26:27]
	s_delay_alu instid0(VALU_DEP_1) | instskip(NEXT) | instid1(VALU_DEP_1)
	v_fma_f64 v[28:29], -v[24:25], v[26:27], 1.0
	v_fmac_f64_e32 v[26:27], v[28:29], v[26:27]
	s_delay_alu instid0(VALU_DEP_1) | instskip(NEXT) | instid1(VALU_DEP_1)
	v_mul_f64_e32 v[28:29], v[30:31], v[26:27]
	v_mul_f64_e32 v[44:45], v[24:25], v[28:29]
	s_delay_alu instid0(VALU_DEP_1) | instskip(NEXT) | instid1(VALU_DEP_1)
	v_fma_f64 v[24:25], v[28:29], v[24:25], -v[44:45]
	v_fmac_f64_e32 v[24:25], v[28:29], v[22:23]
	s_delay_alu instid0(VALU_DEP_1) | instskip(NEXT) | instid1(VALU_DEP_1)
	v_add_f64_e32 v[22:23], v[44:45], v[24:25]
	v_add_f64_e64 v[32:33], v[30:31], -v[22:23]
	v_add_f64_e64 v[44:45], v[22:23], -v[44:45]
	s_delay_alu instid0(VALU_DEP_2) | instskip(NEXT) | instid1(VALU_DEP_2)
	v_add_f64_e64 v[30:31], v[30:31], -v[32:33]
	v_add_f64_e64 v[24:25], v[44:45], -v[24:25]
	s_delay_alu instid0(VALU_DEP_2) | instskip(SKIP_1) | instid1(VALU_DEP_2)
	v_add_f64_e64 v[22:23], v[30:31], -v[22:23]
	v_max_num_f64_e64 v[30:31], |v[6:7]|, |v[6:7]|
	v_add_f64_e32 v[22:23], v[24:25], v[22:23]
	v_max_num_f64_e64 v[24:25], |v[8:9]|, |v[8:9]|
	s_delay_alu instid0(VALU_DEP_2) | instskip(NEXT) | instid1(VALU_DEP_1)
	v_add_f64_e32 v[22:23], v[32:33], v[22:23]
	v_mul_f64_e32 v[22:23], v[26:27], v[22:23]
	s_delay_alu instid0(VALU_DEP_3) | instskip(SKIP_1) | instid1(VALU_DEP_3)
	v_max_num_f64_e32 v[26:27], v[30:31], v[24:25]
	v_min_num_f64_e32 v[24:25], v[30:31], v[24:25]
	v_add_f64_e32 v[30:31], v[28:29], v[22:23]
	s_delay_alu instid0(VALU_DEP_2) | instskip(NEXT) | instid1(VALU_DEP_2)
	v_div_scale_f64 v[32:33], null, v[26:27], v[26:27], v[24:25]
	v_mul_f64_e32 v[44:45], v[30:31], v[30:31]
	v_add_f64_e64 v[28:29], v[30:31], -v[28:29]
	s_delay_alu instid0(VALU_DEP_3) | instskip(NEXT) | instid1(VALU_DEP_2)
	v_rcp_f64_e32 v[46:47], v[32:33]
	v_fmamk_f64 v[48:49], v[44:45], 0x3fc3ab76bf559e2b, v[38:39]
	v_mul_f64_e32 v[50:51], v[30:31], v[44:45]
	s_delay_alu instid0(VALU_DEP_3) | instskip(NEXT) | instid1(VALU_DEP_3)
	v_add_f64_e64 v[22:23], v[22:23], -v[28:29]
	v_fmaak_f64 v[48:49], v[44:45], v[48:49], 0x3fc7474dd7f4df2e
	s_delay_alu instid0(TRANS32_DEP_1) | instskip(NEXT) | instid1(VALU_DEP_2)
	v_fma_f64 v[52:53], -v[32:33], v[46:47], 1.0
	v_fmaak_f64 v[48:49], v[44:45], v[48:49], 0x3fcc71c016291751
	s_delay_alu instid0(VALU_DEP_1) | instskip(NEXT) | instid1(VALU_DEP_1)
	v_fmaak_f64 v[48:49], v[44:45], v[48:49], 0x3fd249249b27acf1
	v_fmaak_f64 v[48:49], v[44:45], v[48:49], 0x3fd99999998ef7b6
	v_ldexp_f64 v[22:23], v[22:23], 1
	s_delay_alu instid0(VALU_DEP_2) | instskip(SKIP_2) | instid1(VALU_DEP_3)
	v_fmaak_f64 v[44:45], v[44:45], v[48:49], 0x3fe5555555555780
	v_ldexp_f64 v[48:49], v[30:31], 1
	v_fmac_f64_e32 v[46:47], v[46:47], v[52:53]
	v_mul_f64_e32 v[44:45], v[50:51], v[44:45]
	v_cvt_f64_i32_e32 v[50:51], v16
	v_ashrrev_i32_e32 v16, 31, v7
	s_delay_alu instid0(VALU_DEP_4) | instskip(NEXT) | instid1(VALU_DEP_4)
	v_fma_f64 v[52:53], -v[32:33], v[46:47], 1.0
	v_add_f64_e32 v[30:31], v[48:49], v[44:45]
	s_delay_alu instid0(VALU_DEP_4) | instskip(NEXT) | instid1(VALU_DEP_3)
	v_mul_f64_e32 v[54:55], 0x3fe62e42fefa39ef, v[50:51]
	v_fmac_f64_e32 v[46:47], v[46:47], v[52:53]
	s_delay_alu instid0(VALU_DEP_3) | instskip(SKIP_1) | instid1(VALU_DEP_4)
	v_add_f64_e64 v[28:29], v[30:31], -v[48:49]
	v_div_scale_f64 v[48:49], vcc_lo, v[24:25], v[26:27], v[24:25]
	v_fma_f64 v[52:53], v[50:51], s[22:23], -v[54:55]
	s_delay_alu instid0(VALU_DEP_3) | instskip(NEXT) | instid1(VALU_DEP_3)
	v_add_f64_e64 v[28:29], v[44:45], -v[28:29]
	v_mul_f64_e32 v[44:45], v[48:49], v[46:47]
	s_delay_alu instid0(VALU_DEP_3) | instskip(NEXT) | instid1(VALU_DEP_3)
	v_fmac_f64_e32 v[52:53], 0x3c7abc9e3b39803f, v[50:51]
	v_add_f64_e32 v[22:23], v[22:23], v[28:29]
	s_delay_alu instid0(VALU_DEP_3) | instskip(NEXT) | instid1(VALU_DEP_3)
	v_fma_f64 v[28:29], -v[32:33], v[44:45], v[48:49]
	v_add_f64_e32 v[32:33], v[54:55], v[52:53]
	s_delay_alu instid0(VALU_DEP_3) | instskip(NEXT) | instid1(VALU_DEP_3)
	v_add_f64_e32 v[48:49], v[30:31], v[22:23]
	v_div_fmas_f64 v[28:29], v[28:29], v[46:47], v[44:45]
	v_cmp_class_f64_e64 vcc_lo, v[14:15], 0x204
	s_delay_alu instid0(VALU_DEP_4) | instskip(NEXT) | instid1(VALU_DEP_4)
	v_add_f64_e64 v[46:47], v[32:33], -v[54:55]
	v_add_f64_e32 v[44:45], v[32:33], v[48:49]
	s_delay_alu instid0(VALU_DEP_4) | instskip(SKIP_1) | instid1(VALU_DEP_4)
	v_div_fixup_f64 v[24:25], v[28:29], v[26:27], v[24:25]
	v_add_f64_e64 v[30:31], v[48:49], -v[30:31]
	v_add_f64_e64 v[46:47], v[52:53], -v[46:47]
	s_delay_alu instid0(VALU_DEP_4) | instskip(NEXT) | instid1(VALU_DEP_4)
	v_add_f64_e64 v[26:27], v[44:45], -v[32:33]
	v_mul_f64_e32 v[28:29], v[24:25], v[24:25]
	s_delay_alu instid0(VALU_DEP_4) | instskip(NEXT) | instid1(VALU_DEP_3)
	v_add_f64_e64 v[22:23], v[22:23], -v[30:31]
	v_add_f64_e64 v[50:51], v[44:45], -v[26:27]
	s_delay_alu instid0(VALU_DEP_3) | instskip(SKIP_1) | instid1(VALU_DEP_4)
	v_fmamk_f64 v[54:55], v[28:29], 0x3eeba404b5e68a13, v[40:41]
	v_add_f64_e64 v[26:27], v[48:49], -v[26:27]
	v_add_f64_e32 v[48:49], v[46:47], v[22:23]
	s_delay_alu instid0(VALU_DEP_3) | instskip(SKIP_1) | instid1(VALU_DEP_2)
	v_fmaak_f64 v[54:55], v[28:29], v[54:55], 0x3f4b2bb069efb384
	v_add_f64_e64 v[30:31], v[32:33], -v[50:51]
	v_fmaak_f64 v[32:33], v[28:29], v[54:55], 0xbf67952daf56de9b
	s_delay_alu instid0(VALU_DEP_1) | instskip(NEXT) | instid1(VALU_DEP_1)
	v_fmaak_f64 v[32:33], v[28:29], v[32:33], 0x3f7d6d43a595c56f
	v_fmaak_f64 v[32:33], v[28:29], v[32:33], 0xbf8c6ea4a57d9582
	s_delay_alu instid0(VALU_DEP_1) | instskip(SKIP_1) | instid1(VALU_DEP_2)
	v_fmaak_f64 v[32:33], v[28:29], v[32:33], 0x3f967e295f08b19f
	v_add_f64_e32 v[26:27], v[26:27], v[30:31]
	v_fmaak_f64 v[30:31], v[28:29], v[32:33], 0xbf9e9ae6fc27006a
	v_add_f64_e64 v[32:33], v[48:49], -v[46:47]
	s_delay_alu instid0(VALU_DEP_2) | instskip(NEXT) | instid1(VALU_DEP_1)
	v_fmaak_f64 v[30:31], v[28:29], v[30:31], 0x3fa2c15b5711927a
	v_fmaak_f64 v[30:31], v[28:29], v[30:31], 0xbfa59976e82d3ff0
	s_delay_alu instid0(VALU_DEP_1) | instskip(NEXT) | instid1(VALU_DEP_1)
	v_fmaak_f64 v[30:31], v[28:29], v[30:31], 0x3fa82d5d6ef28734
	v_fmaak_f64 v[30:31], v[28:29], v[30:31], 0xbfaae5ce6a214619
	v_add_f64_e32 v[26:27], v[48:49], v[26:27]
	v_add_f64_e64 v[48:49], v[48:49], -v[32:33]
	v_add_f64_e64 v[22:23], v[22:23], -v[32:33]
	s_delay_alu instid0(VALU_DEP_4) | instskip(NEXT) | instid1(VALU_DEP_1)
	v_fmaak_f64 v[30:31], v[28:29], v[30:31], 0x3fae1bb48427b883
	v_fmaak_f64 v[30:31], v[28:29], v[30:31], 0xbfb110e48b207f05
	s_delay_alu instid0(VALU_DEP_1) | instskip(NEXT) | instid1(VALU_DEP_1)
	v_fmaak_f64 v[30:31], v[28:29], v[30:31], 0x3fb3b13657b87036
	v_fmaak_f64 v[30:31], v[28:29], v[30:31], 0xbfb745d119378e4f
	s_delay_alu instid0(VALU_DEP_1) | instskip(SKIP_1) | instid1(VALU_DEP_2)
	v_fmaak_f64 v[30:31], v[28:29], v[30:31], 0x3fbc71c717e1913c
	v_add_f64_e32 v[50:51], v[44:45], v[26:27]
	v_fmaak_f64 v[30:31], v[28:29], v[30:31], 0xbfc2492492376b7d
	s_delay_alu instid0(VALU_DEP_1) | instskip(NEXT) | instid1(VALU_DEP_1)
	v_fmaak_f64 v[30:31], v[28:29], v[30:31], 0x3fc99999999952cc
	v_fmaak_f64 v[30:31], v[28:29], v[30:31], 0xbfd5555555555523
	s_delay_alu instid0(VALU_DEP_1) | instskip(SKIP_2) | instid1(VALU_DEP_3)
	v_mul_f64_e32 v[28:29], v[28:29], v[30:31]
	v_add_f64_e64 v[30:31], v[46:47], -v[48:49]
	v_add_f64_e64 v[32:33], v[50:51], -v[44:45]
	v_fmac_f64_e32 v[24:25], v[24:25], v[28:29]
	s_delay_alu instid0(VALU_DEP_3) | instskip(NEXT) | instid1(VALU_DEP_3)
	v_add_f64_e32 v[22:23], v[22:23], v[30:31]
	v_add_f64_e64 v[26:27], v[26:27], -v[32:33]
	s_delay_alu instid0(VALU_DEP_3) | instskip(NEXT) | instid1(VALU_DEP_1)
	v_add_f64_e64 v[28:29], -v[24:25], s[24:25]
	v_dual_add_f64 v[22:23], v[22:23], v[26:27] :: v_dual_cndmask_b32 v25, v25, v29, s0
	s_delay_alu instid0(VALU_DEP_2)
	v_cndmask_b32_e64 v24, v24, v28, s0
	v_cmp_gt_i32_e64 s0, 0, v7
	v_and_b32_e32 v29, 0x54442d18, v16
	v_and_b32_e32 v7, 0x400921fb, v16
	v_add_f64_e32 v[22:23], v[50:51], v[22:23]
	v_add_f64_e64 v[26:27], -v[24:25], s[26:27]
	v_cndmask_b32_e64 v28, 0x54442d18, v60, s0
	v_cndmask_b32_e64 v6, 0x3fe921fb, v61, s0
	s_delay_alu instid0(VALU_DEP_1) | instskip(SKIP_4) | instid1(VALU_DEP_2)
	v_bfi_b32 v6, 0x7fffffff, v6, v9
	v_dual_cndmask_b32 v23, v23, v15 :: v_dual_cndmask_b32 v22, v22, v14
	v_cmp_eq_f64_e32 vcc_lo, 0, v[8:9]
	v_dual_cndmask_b32 v24, v24, v26, s0 :: v_dual_cndmask_b32 v16, v25, v27, s0
	v_cmp_nge_f64_e64 s0, 0, v[14:15]
	v_dual_add_f64 v[22:23], 1.0, v[22:23] :: v_dual_cndmask_b32 v24, v24, v29, vcc_lo
	s_delay_alu instid0(VALU_DEP_3) | instskip(SKIP_1) | instid1(VALU_DEP_3)
	v_cndmask_b32_e32 v7, v16, v7, vcc_lo
	v_cmp_ngt_f64_e32 vcc_lo, 0, v[14:15]
	v_cndmask_b32_e64 v22, 0, v22, s0
	v_cmp_neq_f64_e64 s0, 0, v[14:15]
	v_cndmask_b32_e32 v16, 0x7ff80000, v23, vcc_lo
	s_and_b32 vcc_lo, s3, s1
	v_dual_cndmask_b32 v25, v7, v6 :: v_dual_cndmask_b32 v24, v24, v28
	s_delay_alu instid0(VALU_DEP_2)
	v_cndmask_b32_e64 v23, 0xfff00000, v16, s0
.LBB173_223:                            ;   in Loop: Header=BB173_162 Depth=1
	s_or_b32 exec_lo, exec_lo, s2
.LBB173_224:                            ;   in Loop: Header=BB173_162 Depth=1
	s_and_not1_saveexec_b32 s0, s33
	s_cbranch_execz .LBB173_230
; %bb.225:                              ;   in Loop: Header=BB173_162 Depth=1
	v_cmp_ngt_f64_e64 s1, 0x20000000, |v[6:7]|
	v_cmp_ngt_f64_e64 s2, 0x20000000, |v[8:9]|
                                        ; implicit-def: $vgpr14_vgpr15
	s_or_b32 s1, s1, s2
	s_delay_alu instid0(SALU_CYCLE_1) | instskip(NEXT) | instid1(SALU_CYCLE_1)
	s_and_saveexec_b32 s2, s1
	s_xor_b32 s1, exec_lo, s2
	s_cbranch_execz .LBB173_227
; %bb.226:                              ;   in Loop: Header=BB173_162 Depth=1
	v_mul_f64_e32 v[14:15], v[8:9], v[8:9]
	s_delay_alu instid0(VALU_DEP_1)
	v_fmac_f64_e32 v[14:15], v[6:7], v[6:7]
.LBB173_227:                            ;   in Loop: Header=BB173_162 Depth=1
	s_and_not1_saveexec_b32 s1, s1
	s_cbranch_execz .LBB173_229
; %bb.228:                              ;   in Loop: Header=BB173_162 Depth=1
	v_mul_f64_e32 v[14:15], 4.0, v[8:9]
	v_mul_f64_e32 v[6:7], 4.0, v[6:7]
	s_delay_alu instid0(VALU_DEP_2) | instskip(NEXT) | instid1(VALU_DEP_1)
	v_mul_f64_e32 v[14:15], v[14:15], v[14:15]
	v_fmac_f64_e32 v[14:15], v[6:7], v[6:7]
	s_delay_alu instid0(VALU_DEP_1)
	v_ldexp_f64 v[14:15], v[14:15], -4
.LBB173_229:                            ;   in Loop: Header=BB173_162 Depth=1
	s_or_b32 exec_lo, exec_lo, s1
	s_delay_alu instid0(VALU_DEP_1) | instskip(NEXT) | instid1(VALU_DEP_1)
	v_frexp_mant_f64_e32 v[6:7], v[14:15]
	v_cmp_gt_f64_e32 vcc_lo, s[20:21], v[6:7]
	v_cndmask_b32_e64 v8, 0, 1, vcc_lo
	s_delay_alu instid0(VALU_DEP_1) | instskip(SKIP_1) | instid1(VALU_DEP_2)
	v_ldexp_f64 v[6:7], v[6:7], v8
	v_frexp_exp_i32_f64_e32 v8, v[14:15]
	v_add_f64_e32 v[22:23], 1.0, v[6:7]
	v_add_f64_e32 v[28:29], -1.0, v[6:7]
	s_delay_alu instid0(VALU_DEP_3) | instskip(SKIP_1) | instid1(VALU_DEP_4)
	v_subrev_co_ci_u32_e64 v8, null, 0, v8, vcc_lo
	v_cmp_class_f64_e64 vcc_lo, v[14:15], 0x204
	v_rcp_f64_e32 v[24:25], v[22:23]
	v_add_f64_e32 v[30:31], -1.0, v[22:23]
	s_delay_alu instid0(VALU_DEP_1) | instskip(NEXT) | instid1(TRANS32_DEP_1)
	v_add_f64_e64 v[6:7], v[6:7], -v[30:31]
	v_fma_f64 v[26:27], -v[22:23], v[24:25], 1.0
	s_delay_alu instid0(VALU_DEP_1) | instskip(NEXT) | instid1(VALU_DEP_1)
	v_fmac_f64_e32 v[24:25], v[26:27], v[24:25]
	v_fma_f64 v[26:27], -v[22:23], v[24:25], 1.0
	s_delay_alu instid0(VALU_DEP_1) | instskip(NEXT) | instid1(VALU_DEP_1)
	v_fmac_f64_e32 v[24:25], v[26:27], v[24:25]
	v_mul_f64_e32 v[26:27], v[28:29], v[24:25]
	s_delay_alu instid0(VALU_DEP_1) | instskip(NEXT) | instid1(VALU_DEP_1)
	v_mul_f64_e32 v[32:33], v[22:23], v[26:27]
	v_fma_f64 v[22:23], v[26:27], v[22:23], -v[32:33]
	s_delay_alu instid0(VALU_DEP_1) | instskip(NEXT) | instid1(VALU_DEP_1)
	v_fmac_f64_e32 v[22:23], v[26:27], v[6:7]
	v_add_f64_e32 v[6:7], v[32:33], v[22:23]
	s_delay_alu instid0(VALU_DEP_1) | instskip(SKIP_1) | instid1(VALU_DEP_2)
	v_add_f64_e64 v[30:31], v[28:29], -v[6:7]
	v_add_f64_e64 v[32:33], v[6:7], -v[32:33]
	;; [unrolled: 1-line block ×3, first 2 shown]
	s_delay_alu instid0(VALU_DEP_2) | instskip(NEXT) | instid1(VALU_DEP_2)
	v_add_f64_e64 v[22:23], v[32:33], -v[22:23]
	v_add_f64_e64 v[6:7], v[28:29], -v[6:7]
	s_delay_alu instid0(VALU_DEP_1) | instskip(NEXT) | instid1(VALU_DEP_1)
	v_add_f64_e32 v[6:7], v[22:23], v[6:7]
	v_add_f64_e32 v[6:7], v[30:31], v[6:7]
	s_delay_alu instid0(VALU_DEP_1) | instskip(NEXT) | instid1(VALU_DEP_1)
	v_mul_f64_e32 v[6:7], v[24:25], v[6:7]
	v_add_f64_e32 v[22:23], v[26:27], v[6:7]
	s_delay_alu instid0(VALU_DEP_1) | instskip(NEXT) | instid1(VALU_DEP_1)
	v_mul_f64_e32 v[24:25], v[22:23], v[22:23]
	v_fmamk_f64 v[28:29], v[24:25], 0x3fc3ab76bf559e2b, v[38:39]
	v_mul_f64_e32 v[30:31], v[22:23], v[24:25]
	s_delay_alu instid0(VALU_DEP_2) | instskip(NEXT) | instid1(VALU_DEP_1)
	v_fmaak_f64 v[28:29], v[24:25], v[28:29], 0x3fc7474dd7f4df2e
	v_fmaak_f64 v[28:29], v[24:25], v[28:29], 0x3fcc71c016291751
	s_delay_alu instid0(VALU_DEP_1) | instskip(NEXT) | instid1(VALU_DEP_1)
	v_fmaak_f64 v[28:29], v[24:25], v[28:29], 0x3fd249249b27acf1
	v_fmaak_f64 v[28:29], v[24:25], v[28:29], 0x3fd99999998ef7b6
	s_delay_alu instid0(VALU_DEP_1) | instskip(SKIP_2) | instid1(VALU_DEP_3)
	v_fmaak_f64 v[24:25], v[24:25], v[28:29], 0x3fe5555555555780
	v_ldexp_f64 v[28:29], v[22:23], 1
	v_add_f64_e64 v[22:23], v[22:23], -v[26:27]
	v_mul_f64_e32 v[24:25], v[30:31], v[24:25]
	v_cvt_f64_i32_e32 v[30:31], v8
	s_delay_alu instid0(VALU_DEP_3) | instskip(NEXT) | instid1(VALU_DEP_3)
	v_add_f64_e64 v[6:7], v[6:7], -v[22:23]
	v_add_f64_e32 v[26:27], v[28:29], v[24:25]
	s_delay_alu instid0(VALU_DEP_3) | instskip(NEXT) | instid1(VALU_DEP_3)
	v_mul_f64_e32 v[32:33], 0x3fe62e42fefa39ef, v[30:31]
	v_ldexp_f64 v[6:7], v[6:7], 1
	s_delay_alu instid0(VALU_DEP_3) | instskip(NEXT) | instid1(VALU_DEP_3)
	v_add_f64_e64 v[22:23], v[26:27], -v[28:29]
	v_fma_f64 v[28:29], v[30:31], s[22:23], -v[32:33]
	s_delay_alu instid0(VALU_DEP_2) | instskip(NEXT) | instid1(VALU_DEP_2)
	v_add_f64_e64 v[22:23], v[24:25], -v[22:23]
	v_fmac_f64_e32 v[28:29], 0x3c7abc9e3b39803f, v[30:31]
	s_delay_alu instid0(VALU_DEP_2) | instskip(NEXT) | instid1(VALU_DEP_2)
	v_add_f64_e32 v[6:7], v[6:7], v[22:23]
	v_add_f64_e32 v[22:23], v[32:33], v[28:29]
	s_delay_alu instid0(VALU_DEP_2) | instskip(NEXT) | instid1(VALU_DEP_2)
	v_add_f64_e32 v[24:25], v[26:27], v[6:7]
	v_add_f64_e64 v[32:33], v[22:23], -v[32:33]
	s_delay_alu instid0(VALU_DEP_2) | instskip(SKIP_1) | instid1(VALU_DEP_3)
	v_add_f64_e32 v[30:31], v[22:23], v[24:25]
	v_add_f64_e64 v[26:27], v[24:25], -v[26:27]
	v_add_f64_e64 v[28:29], v[28:29], -v[32:33]
	s_delay_alu instid0(VALU_DEP_3) | instskip(NEXT) | instid1(VALU_DEP_3)
	v_add_f64_e64 v[44:45], v[30:31], -v[22:23]
	v_add_f64_e64 v[6:7], v[6:7], -v[26:27]
	s_delay_alu instid0(VALU_DEP_2) | instskip(SKIP_1) | instid1(VALU_DEP_3)
	v_add_f64_e64 v[46:47], v[30:31], -v[44:45]
	v_add_f64_e64 v[24:25], v[24:25], -v[44:45]
	v_add_f64_e32 v[26:27], v[28:29], v[6:7]
	s_delay_alu instid0(VALU_DEP_3) | instskip(NEXT) | instid1(VALU_DEP_1)
	v_add_f64_e64 v[22:23], v[22:23], -v[46:47]
	v_add_f64_e32 v[22:23], v[24:25], v[22:23]
	s_delay_alu instid0(VALU_DEP_3) | instskip(NEXT) | instid1(VALU_DEP_2)
	v_add_f64_e64 v[24:25], v[26:27], -v[28:29]
	v_add_f64_e32 v[22:23], v[26:27], v[22:23]
	s_delay_alu instid0(VALU_DEP_2) | instskip(SKIP_1) | instid1(VALU_DEP_3)
	v_add_f64_e64 v[26:27], v[26:27], -v[24:25]
	v_add_f64_e64 v[6:7], v[6:7], -v[24:25]
	v_add_f64_e32 v[32:33], v[30:31], v[22:23]
	s_delay_alu instid0(VALU_DEP_3) | instskip(NEXT) | instid1(VALU_DEP_2)
	v_add_f64_e64 v[24:25], v[28:29], -v[26:27]
	v_add_f64_e64 v[26:27], v[32:33], -v[30:31]
	s_delay_alu instid0(VALU_DEP_2) | instskip(SKIP_1) | instid1(VALU_DEP_3)
	v_add_f64_e32 v[6:7], v[6:7], v[24:25]
	v_mov_b64_e32 v[24:25], 0x7ff8000000000000
	v_add_f64_e64 v[22:23], v[22:23], -v[26:27]
	s_delay_alu instid0(VALU_DEP_1) | instskip(NEXT) | instid1(VALU_DEP_1)
	v_add_f64_e32 v[6:7], v[6:7], v[22:23]
	v_add_f64_e32 v[6:7], v[32:33], v[6:7]
	s_delay_alu instid0(VALU_DEP_1) | instskip(SKIP_1) | instid1(VALU_DEP_2)
	v_dual_cndmask_b32 v6, v6, v14 :: v_dual_cndmask_b32 v7, v7, v15
	v_cmp_ngt_f64_e32 vcc_lo, 0, v[14:15]
	v_cndmask_b32_e32 v7, 0x7ff80000, v7, vcc_lo
	v_cmp_nge_f64_e32 vcc_lo, 0, v[14:15]
	s_delay_alu instid0(VALU_DEP_4) | instskip(SKIP_1) | instid1(VALU_DEP_4)
	v_cndmask_b32_e32 v22, 0, v6, vcc_lo
	v_cmp_neq_f64_e32 vcc_lo, 0, v[14:15]
	v_cndmask_b32_e32 v23, 0xfff00000, v7, vcc_lo
.LBB173_230:                            ;   in Loop: Header=BB173_162 Depth=1
	s_or_b32 exec_lo, exec_lo, s0
                                        ; implicit-def: $vgpr26_vgpr27
	s_delay_alu instid0(SALU_CYCLE_1)
	s_mov_b32 s0, exec_lo
	s_wait_loadcnt 0x0
	v_cmpx_o_f64_e32 v[10:11], v[12:13]
	s_xor_b32 s33, exec_lo, s0
	s_cbranch_execz .LBB173_258
; %bb.231:                              ;   in Loop: Header=BB173_162 Depth=1
	v_cmp_lt_f64_e64 s0, |v[10:11]|, |v[12:13]|
	v_and_b32_e32 v8, 0x7fffffff, v11
	v_and_b32_e32 v7, 0x7fffffff, v13
	v_mov_b32_e32 v6, v12
                                        ; implicit-def: $vgpr26_vgpr27
	s_mov_b32 s1, exec_lo
	s_delay_alu instid0(VALU_DEP_2) | instskip(NEXT) | instid1(VALU_DEP_1)
	v_dual_cndmask_b32 v15, v7, v8, s0 :: v_dual_cndmask_b32 v14, v12, v10, s0
	v_cmpx_nlt_f64_e32 s[12:13], v[14:15]
	s_xor_b32 s38, exec_lo, s1
	s_cbranch_execz .LBB173_255
; %bb.232:                              ;   in Loop: Header=BB173_162 Depth=1
	v_dual_cndmask_b32 v31, v8, v7, s0 :: v_dual_cndmask_b32 v30, v10, v6, s0
                                        ; implicit-def: $vgpr26_vgpr27
	s_mov_b32 s1, exec_lo
	s_delay_alu instid0(VALU_DEP_1)
	v_cmpx_neq_f64_e32 1.0, v[30:31]
	s_xor_b32 s39, exec_lo, s1
	s_cbranch_execz .LBB173_248
; %bb.233:                              ;   in Loop: Header=BB173_162 Depth=1
	v_max_num_f64_e32 v[6:7], v[14:15], v[14:15]
	v_max_num_f64_e32 v[26:27], v[30:31], v[30:31]
	s_delay_alu instid0(VALU_DEP_1) | instskip(SKIP_1) | instid1(VALU_DEP_2)
	v_min_num_f64_e32 v[28:29], v[26:27], v[6:7]
	v_max_num_f64_e32 v[6:7], v[26:27], v[6:7]
	v_cmp_ngt_f64_e32 vcc_lo, s[14:15], v[28:29]
	s_delay_alu instid0(VALU_DEP_2) | instskip(SKIP_1) | instid1(SALU_CYCLE_1)
	v_cmp_nlt_f64_e64 s1, s[16:17], v[6:7]
                                        ; implicit-def: $vgpr26_vgpr27
	s_and_b32 s1, s1, vcc_lo
	s_and_saveexec_b32 s2, s1
	s_delay_alu instid0(SALU_CYCLE_1)
	s_xor_b32 s40, exec_lo, s2
	s_cbranch_execz .LBB173_245
; %bb.234:                              ;   in Loop: Header=BB173_162 Depth=1
                                        ; implicit-def: $vgpr26_vgpr27
	s_mov_b32 s1, exec_lo
	v_cmpx_le_f64_e32 1.0, v[30:31]
	s_xor_b32 s4, exec_lo, s1
	s_cbranch_execz .LBB173_236
; %bb.235:                              ;   in Loop: Header=BB173_162 Depth=1
	v_add_f64_e32 v[6:7], -1.0, v[30:31]
	v_cmp_eq_f64_e64 s1, 0, v[12:13]
	v_add_f64_e32 v[26:27], 1.0, v[30:31]
	v_cmp_class_f64_e64 s6, v[10:11], 0x204
	v_cmp_class_f64_e64 s5, v[12:13], 0x204
	s_delay_alu instid0(VALU_DEP_3) | instskip(NEXT) | instid1(VALU_DEP_1)
	v_mul_f64_e32 v[6:7], v[6:7], v[26:27]
	v_fmac_f64_e32 v[6:7], v[14:15], v[14:15]
	s_delay_alu instid0(VALU_DEP_1) | instskip(SKIP_2) | instid1(VALU_DEP_3)
	v_add_f64_e32 v[14:15], 1.0, v[6:7]
	v_cmp_nge_f64_e64 s2, -1.0, v[6:7]
	v_cmp_neq_f64_e64 s3, 0x7ff00000, v[6:7]
	v_frexp_mant_f64_e32 v[26:27], v[14:15]
	v_frexp_exp_i32_f64_e32 v8, v[14:15]
	v_add_f64_e32 v[28:29], -1.0, v[14:15]
	s_delay_alu instid0(VALU_DEP_3) | instskip(NEXT) | instid1(VALU_DEP_2)
	v_cmp_gt_f64_e32 vcc_lo, s[20:21], v[26:27]
	v_add_f64_e64 v[26:27], v[28:29], -v[14:15]
	v_add_f64_e64 v[28:29], v[6:7], -v[28:29]
	v_subrev_co_ci_u32_e64 v8, null, 0, v8, vcc_lo
	s_delay_alu instid0(VALU_DEP_1) | instskip(NEXT) | instid1(VALU_DEP_1)
	v_dual_add_f64 v[26:27], 1.0, v[26:27] :: v_dual_sub_nc_u32 v16, 0, v8
	v_ldexp_f64 v[14:15], v[14:15], v16
	s_delay_alu instid0(VALU_DEP_2) | instskip(NEXT) | instid1(VALU_DEP_2)
	v_add_f64_e32 v[26:27], v[28:29], v[26:27]
	v_add_f64_e32 v[30:31], 1.0, v[14:15]
	v_add_f64_e32 v[46:47], -1.0, v[14:15]
	s_delay_alu instid0(VALU_DEP_3) | instskip(NEXT) | instid1(VALU_DEP_3)
	v_ldexp_f64 v[26:27], v[26:27], v16
	v_add_f64_e32 v[28:29], -1.0, v[30:31]
	s_delay_alu instid0(VALU_DEP_3) | instskip(NEXT) | instid1(VALU_DEP_2)
	v_add_f64_e32 v[48:49], 1.0, v[46:47]
	v_add_f64_e64 v[28:29], v[14:15], -v[28:29]
	s_delay_alu instid0(VALU_DEP_2) | instskip(NEXT) | instid1(VALU_DEP_2)
	v_add_f64_e64 v[14:15], v[14:15], -v[48:49]
	v_add_f64_e32 v[28:29], v[26:27], v[28:29]
	s_delay_alu instid0(VALU_DEP_2) | instskip(NEXT) | instid1(VALU_DEP_2)
	v_add_f64_e32 v[14:15], v[26:27], v[14:15]
	v_add_f64_e32 v[32:33], v[30:31], v[28:29]
	s_delay_alu instid0(VALU_DEP_2) | instskip(NEXT) | instid1(VALU_DEP_2)
	v_add_f64_e32 v[48:49], v[46:47], v[14:15]
	v_rcp_f64_e32 v[44:45], v[32:33]
	v_add_f64_e64 v[30:31], v[32:33], -v[30:31]
	s_delay_alu instid0(VALU_DEP_2) | instskip(NEXT) | instid1(VALU_DEP_2)
	v_add_f64_e64 v[46:47], v[48:49], -v[46:47]
	v_add_f64_e64 v[28:29], v[28:29], -v[30:31]
	s_delay_alu instid0(VALU_DEP_2) | instskip(NEXT) | instid1(TRANS32_DEP_1)
	v_add_f64_e64 v[14:15], v[14:15], -v[46:47]
	v_fma_f64 v[50:51], -v[32:33], v[44:45], 1.0
	s_delay_alu instid0(VALU_DEP_1) | instskip(NEXT) | instid1(VALU_DEP_1)
	v_fmac_f64_e32 v[44:45], v[50:51], v[44:45]
	v_fma_f64 v[26:27], -v[32:33], v[44:45], 1.0
	s_delay_alu instid0(VALU_DEP_1) | instskip(NEXT) | instid1(VALU_DEP_1)
	v_fmac_f64_e32 v[44:45], v[26:27], v[44:45]
	v_mul_f64_e32 v[26:27], v[48:49], v[44:45]
	s_delay_alu instid0(VALU_DEP_1) | instskip(NEXT) | instid1(VALU_DEP_1)
	v_mul_f64_e32 v[50:51], v[32:33], v[26:27]
	v_fma_f64 v[30:31], v[26:27], v[32:33], -v[50:51]
	s_delay_alu instid0(VALU_DEP_1) | instskip(NEXT) | instid1(VALU_DEP_1)
	v_fmac_f64_e32 v[30:31], v[26:27], v[28:29]
	v_add_f64_e32 v[52:53], v[50:51], v[30:31]
	s_delay_alu instid0(VALU_DEP_1) | instskip(SKIP_1) | instid1(VALU_DEP_2)
	v_add_f64_e64 v[54:55], v[48:49], -v[52:53]
	v_add_f64_e64 v[46:47], v[52:53], -v[50:51]
	;; [unrolled: 1-line block ×3, first 2 shown]
	s_delay_alu instid0(VALU_DEP_2) | instskip(NEXT) | instid1(VALU_DEP_2)
	v_add_f64_e64 v[30:31], v[46:47], -v[30:31]
	v_add_f64_e64 v[48:49], v[48:49], -v[52:53]
	s_delay_alu instid0(VALU_DEP_1) | instskip(NEXT) | instid1(VALU_DEP_1)
	v_add_f64_e32 v[14:15], v[14:15], v[48:49]
	v_add_f64_e32 v[14:15], v[30:31], v[14:15]
	s_delay_alu instid0(VALU_DEP_1) | instskip(NEXT) | instid1(VALU_DEP_1)
	v_add_f64_e32 v[30:31], v[54:55], v[14:15]
	v_mul_f64_e32 v[46:47], v[44:45], v[30:31]
	v_add_f64_e64 v[52:53], v[54:55], -v[30:31]
	s_delay_alu instid0(VALU_DEP_2) | instskip(NEXT) | instid1(VALU_DEP_2)
	v_mul_f64_e32 v[48:49], v[32:33], v[46:47]
	v_add_f64_e32 v[14:15], v[14:15], v[52:53]
	s_delay_alu instid0(VALU_DEP_2) | instskip(NEXT) | instid1(VALU_DEP_1)
	v_fma_f64 v[32:33], v[46:47], v[32:33], -v[48:49]
	v_fmac_f64_e32 v[32:33], v[46:47], v[28:29]
	s_delay_alu instid0(VALU_DEP_1) | instskip(NEXT) | instid1(VALU_DEP_1)
	v_add_f64_e32 v[28:29], v[48:49], v[32:33]
	v_add_f64_e64 v[50:51], v[30:31], -v[28:29]
	v_add_f64_e64 v[48:49], v[28:29], -v[48:49]
	s_delay_alu instid0(VALU_DEP_2) | instskip(NEXT) | instid1(VALU_DEP_1)
	v_add_f64_e64 v[30:31], v[30:31], -v[50:51]
	v_add_f64_e64 v[28:29], v[30:31], -v[28:29]
	s_delay_alu instid0(VALU_DEP_3) | instskip(SKIP_1) | instid1(VALU_DEP_3)
	v_add_f64_e64 v[30:31], v[48:49], -v[32:33]
	v_max_num_f64_e64 v[32:33], |v[10:11]|, |v[10:11]|
	v_add_f64_e32 v[14:15], v[14:15], v[28:29]
	v_add_f64_e32 v[28:29], v[26:27], v[46:47]
	s_delay_alu instid0(VALU_DEP_2) | instskip(NEXT) | instid1(VALU_DEP_2)
	v_add_f64_e32 v[14:15], v[30:31], v[14:15]
	v_add_f64_e64 v[26:27], v[28:29], -v[26:27]
	v_max_num_f64_e64 v[30:31], |v[12:13]|, |v[12:13]|
	s_delay_alu instid0(VALU_DEP_3) | instskip(NEXT) | instid1(VALU_DEP_3)
	v_add_f64_e32 v[14:15], v[50:51], v[14:15]
	v_add_f64_e64 v[26:27], v[46:47], -v[26:27]
	s_delay_alu instid0(VALU_DEP_2) | instskip(NEXT) | instid1(VALU_DEP_1)
	v_mul_f64_e32 v[14:15], v[44:45], v[14:15]
	v_add_f64_e32 v[14:15], v[26:27], v[14:15]
	v_max_num_f64_e32 v[26:27], v[32:33], v[30:31]
	v_min_num_f64_e32 v[30:31], v[32:33], v[30:31]
	s_delay_alu instid0(VALU_DEP_3) | instskip(NEXT) | instid1(VALU_DEP_2)
	v_add_f64_e32 v[32:33], v[28:29], v[14:15]
	v_div_scale_f64 v[44:45], null, v[26:27], v[26:27], v[30:31]
	s_delay_alu instid0(VALU_DEP_2) | instskip(SKIP_1) | instid1(VALU_DEP_3)
	v_mul_f64_e32 v[46:47], v[32:33], v[32:33]
	v_add_f64_e64 v[28:29], v[32:33], -v[28:29]
	v_rcp_f64_e32 v[48:49], v[44:45]
	s_delay_alu instid0(VALU_DEP_2) | instskip(SKIP_1) | instid1(VALU_DEP_3)
	v_fmamk_f64 v[50:51], v[46:47], 0x3fc3ab76bf559e2b, v[38:39]
	v_mul_f64_e32 v[52:53], v[32:33], v[46:47]
	v_add_f64_e64 v[14:15], v[14:15], -v[28:29]
	s_delay_alu instid0(VALU_DEP_3) | instskip(NEXT) | instid1(TRANS32_DEP_1)
	v_fmaak_f64 v[50:51], v[46:47], v[50:51], 0x3fc7474dd7f4df2e
	v_fma_f64 v[54:55], -v[44:45], v[48:49], 1.0
	s_delay_alu instid0(VALU_DEP_2) | instskip(NEXT) | instid1(VALU_DEP_1)
	v_fmaak_f64 v[50:51], v[46:47], v[50:51], 0x3fcc71c016291751
	v_fmaak_f64 v[50:51], v[46:47], v[50:51], 0x3fd249249b27acf1
	s_delay_alu instid0(VALU_DEP_1) | instskip(SKIP_1) | instid1(VALU_DEP_2)
	v_fmaak_f64 v[50:51], v[46:47], v[50:51], 0x3fd99999998ef7b6
	v_ldexp_f64 v[14:15], v[14:15], 1
	v_fmaak_f64 v[46:47], v[46:47], v[50:51], 0x3fe5555555555780
	v_ldexp_f64 v[50:51], v[32:33], 1
	v_fmac_f64_e32 v[48:49], v[48:49], v[54:55]
	s_delay_alu instid0(VALU_DEP_3) | instskip(SKIP_2) | instid1(VALU_DEP_4)
	v_mul_f64_e32 v[46:47], v[52:53], v[46:47]
	v_cvt_f64_i32_e32 v[52:53], v8
	v_ashrrev_i32_e32 v8, 31, v11
	v_fma_f64 v[54:55], -v[44:45], v[48:49], 1.0
	s_delay_alu instid0(VALU_DEP_4) | instskip(NEXT) | instid1(VALU_DEP_4)
	v_add_f64_e32 v[32:33], v[50:51], v[46:47]
	v_mul_f64_e32 v[56:57], 0x3fe62e42fefa39ef, v[52:53]
	s_delay_alu instid0(VALU_DEP_3) | instskip(NEXT) | instid1(VALU_DEP_3)
	v_fmac_f64_e32 v[48:49], v[48:49], v[54:55]
	v_add_f64_e64 v[28:29], v[32:33], -v[50:51]
	v_div_scale_f64 v[50:51], vcc_lo, v[30:31], v[26:27], v[30:31]
	s_delay_alu instid0(VALU_DEP_4) | instskip(NEXT) | instid1(VALU_DEP_3)
	v_fma_f64 v[54:55], v[52:53], s[22:23], -v[56:57]
	v_add_f64_e64 v[28:29], v[46:47], -v[28:29]
	s_delay_alu instid0(VALU_DEP_3) | instskip(NEXT) | instid1(VALU_DEP_3)
	v_mul_f64_e32 v[46:47], v[50:51], v[48:49]
	v_fmac_f64_e32 v[54:55], 0x3c7abc9e3b39803f, v[52:53]
	s_delay_alu instid0(VALU_DEP_3) | instskip(NEXT) | instid1(VALU_DEP_3)
	v_add_f64_e32 v[14:15], v[14:15], v[28:29]
	v_fma_f64 v[28:29], -v[44:45], v[46:47], v[50:51]
	s_delay_alu instid0(VALU_DEP_3) | instskip(NEXT) | instid1(VALU_DEP_3)
	v_add_f64_e32 v[44:45], v[56:57], v[54:55]
	v_add_f64_e32 v[50:51], v[32:33], v[14:15]
	s_delay_alu instid0(VALU_DEP_3) | instskip(SKIP_1) | instid1(VALU_DEP_4)
	v_div_fmas_f64 v[28:29], v[28:29], v[48:49], v[46:47]
	v_cmp_gt_i32_e32 vcc_lo, 0, v11
	v_add_f64_e64 v[48:49], v[44:45], -v[56:57]
	v_cndmask_b32_e32 v16, 0x54442d18, v60, vcc_lo
	v_cndmask_b32_e32 v10, 0x3fe921fb, v61, vcc_lo
	s_delay_alu instid0(VALU_DEP_1) | instskip(SKIP_4) | instid1(VALU_DEP_4)
	v_bfi_b32 v10, 0x7fffffff, v10, v13
	v_add_f64_e32 v[46:47], v[44:45], v[50:51]
	v_div_fixup_f64 v[26:27], v[28:29], v[26:27], v[30:31]
	v_add_f64_e64 v[32:33], v[50:51], -v[32:33]
	v_add_f64_e64 v[48:49], v[54:55], -v[48:49]
	;; [unrolled: 1-line block ×3, first 2 shown]
	s_delay_alu instid0(VALU_DEP_4) | instskip(NEXT) | instid1(VALU_DEP_4)
	v_mul_f64_e32 v[30:31], v[26:27], v[26:27]
	v_add_f64_e64 v[14:15], v[14:15], -v[32:33]
	s_delay_alu instid0(VALU_DEP_3) | instskip(NEXT) | instid1(VALU_DEP_3)
	v_add_f64_e64 v[52:53], v[46:47], -v[28:29]
	v_fmamk_f64 v[56:57], v[30:31], 0x3eeba404b5e68a13, v[40:41]
	v_add_f64_e64 v[28:29], v[50:51], -v[28:29]
	s_delay_alu instid0(VALU_DEP_4) | instskip(NEXT) | instid1(VALU_DEP_3)
	v_add_f64_e32 v[50:51], v[48:49], v[14:15]
	v_fmaak_f64 v[56:57], v[30:31], v[56:57], 0x3f4b2bb069efb384
	v_add_f64_e64 v[32:33], v[44:45], -v[52:53]
	s_delay_alu instid0(VALU_DEP_2) | instskip(NEXT) | instid1(VALU_DEP_1)
	v_fmaak_f64 v[44:45], v[30:31], v[56:57], 0xbf67952daf56de9b
	v_fmaak_f64 v[44:45], v[30:31], v[44:45], 0x3f7d6d43a595c56f
	s_delay_alu instid0(VALU_DEP_1) | instskip(NEXT) | instid1(VALU_DEP_1)
	v_fmaak_f64 v[44:45], v[30:31], v[44:45], 0xbf8c6ea4a57d9582
	v_fmaak_f64 v[44:45], v[30:31], v[44:45], 0x3f967e295f08b19f
	s_delay_alu instid0(VALU_DEP_1) | instskip(SKIP_1) | instid1(VALU_DEP_2)
	v_fmaak_f64 v[44:45], v[30:31], v[44:45], 0xbf9e9ae6fc27006a
	v_add_f64_e32 v[28:29], v[28:29], v[32:33]
	v_fmaak_f64 v[32:33], v[30:31], v[44:45], 0x3fa2c15b5711927a
	v_add_f64_e64 v[44:45], v[50:51], -v[48:49]
	s_delay_alu instid0(VALU_DEP_2) | instskip(NEXT) | instid1(VALU_DEP_1)
	v_fmaak_f64 v[32:33], v[30:31], v[32:33], 0xbfa59976e82d3ff0
	v_fmaak_f64 v[32:33], v[30:31], v[32:33], 0x3fa82d5d6ef28734
	s_delay_alu instid0(VALU_DEP_1) | instskip(NEXT) | instid1(VALU_DEP_1)
	v_fmaak_f64 v[32:33], v[30:31], v[32:33], 0xbfaae5ce6a214619
	v_fmaak_f64 v[32:33], v[30:31], v[32:33], 0x3fae1bb48427b883
	v_add_f64_e32 v[28:29], v[50:51], v[28:29]
	v_add_f64_e64 v[50:51], v[50:51], -v[44:45]
	v_add_f64_e64 v[14:15], v[14:15], -v[44:45]
	s_delay_alu instid0(VALU_DEP_4) | instskip(NEXT) | instid1(VALU_DEP_1)
	v_fmaak_f64 v[32:33], v[30:31], v[32:33], 0xbfb110e48b207f05
	v_fmaak_f64 v[32:33], v[30:31], v[32:33], 0x3fb3b13657b87036
	s_delay_alu instid0(VALU_DEP_1) | instskip(NEXT) | instid1(VALU_DEP_1)
	v_fmaak_f64 v[32:33], v[30:31], v[32:33], 0xbfb745d119378e4f
	v_fmaak_f64 v[32:33], v[30:31], v[32:33], 0x3fbc71c717e1913c
	v_add_f64_e32 v[52:53], v[46:47], v[28:29]
	s_delay_alu instid0(VALU_DEP_2) | instskip(NEXT) | instid1(VALU_DEP_1)
	v_fmaak_f64 v[32:33], v[30:31], v[32:33], 0xbfc2492492376b7d
	v_fmaak_f64 v[32:33], v[30:31], v[32:33], 0x3fc99999999952cc
	s_delay_alu instid0(VALU_DEP_1) | instskip(NEXT) | instid1(VALU_DEP_1)
	v_fmaak_f64 v[32:33], v[30:31], v[32:33], 0xbfd5555555555523
	v_mul_f64_e32 v[30:31], v[30:31], v[32:33]
	v_add_f64_e64 v[32:33], v[48:49], -v[50:51]
	v_add_f64_e64 v[44:45], v[52:53], -v[46:47]
	s_delay_alu instid0(VALU_DEP_3) | instskip(NEXT) | instid1(VALU_DEP_3)
	v_fmac_f64_e32 v[26:27], v[26:27], v[30:31]
	v_add_f64_e32 v[14:15], v[14:15], v[32:33]
	s_delay_alu instid0(VALU_DEP_3) | instskip(NEXT) | instid1(VALU_DEP_3)
	v_add_f64_e64 v[28:29], v[28:29], -v[44:45]
	v_add_f64_e64 v[30:31], -v[26:27], s[24:25]
	s_delay_alu instid0(VALU_DEP_2) | instskip(NEXT) | instid1(VALU_DEP_2)
	v_add_f64_e32 v[14:15], v[14:15], v[28:29]
	v_dual_cndmask_b32 v27, v27, v31, s0 :: v_dual_cndmask_b32 v26, v26, v30, s0
	v_and_b32_e32 v30, 0x54442d18, v8
	v_and_b32_e32 v8, 0x400921fb, v8
	s_delay_alu instid0(VALU_DEP_3) | instskip(NEXT) | instid1(VALU_DEP_1)
	v_add_f64_e64 v[28:29], -v[26:27], s[26:27]
	v_dual_add_f64 v[14:15], v[52:53], v[14:15] :: v_dual_cndmask_b32 v26, v26, v28, vcc_lo
	s_delay_alu instid0(VALU_DEP_2) | instskip(SKIP_1) | instid1(VALU_DEP_3)
	v_cndmask_b32_e32 v11, v27, v29, vcc_lo
	v_cmp_ngt_f64_e32 vcc_lo, -1.0, v[6:7]
	v_mul_f64_e32 v[14:15], 0.5, v[14:15]
	s_delay_alu instid0(VALU_DEP_3)
	v_dual_cndmask_b32 v28, v26, v30, s1 :: v_dual_cndmask_b32 v8, v11, v8, s1
	s_and_b32 s1, s2, s3
                                        ; implicit-def: $vgpr30_vgpr31
	s_delay_alu instid0(VALU_DEP_2) | instid1(SALU_CYCLE_1)
	v_cndmask_b32_e64 v26, 0, v14, s1
	v_cmp_neq_f64_e64 s1, -1.0, v[6:7]
	s_delay_alu instid0(VALU_DEP_4) | instskip(NEXT) | instid1(VALU_DEP_1)
	v_cndmask_b32_e64 v15, 0x7ff00000, v15, s3
	v_cndmask_b32_e32 v11, 0x7ff80000, v15, vcc_lo
	s_and_b32 vcc_lo, s6, s5
                                        ; implicit-def: $vgpr14_vgpr15
	v_cndmask_b32_e32 v29, v8, v10, vcc_lo
	v_cndmask_b32_e32 v28, v28, v16, vcc_lo
	s_delay_alu instid0(VALU_DEP_3)
	v_cndmask_b32_e64 v27, 0xfff00000, v11, s1
.LBB173_236:                            ;   in Loop: Header=BB173_162 Depth=1
	s_and_not1_saveexec_b32 s41, s4
	s_cbranch_execz .LBB173_244
; %bb.237:                              ;   in Loop: Header=BB173_162 Depth=1
	v_mul_f64_e32 v[6:7], v[14:15], v[14:15]
                                        ; implicit-def: $vgpr26_vgpr27
	s_mov_b32 s1, exec_lo
	s_delay_alu instid0(VALU_DEP_1) | instskip(NEXT) | instid1(VALU_DEP_1)
	v_fmac_f64_e32 v[6:7], v[30:31], v[30:31]
	v_cmpx_ge_f64_e32 s[28:29], v[6:7]
	s_xor_b32 s3, exec_lo, s1
	s_cbranch_execz .LBB173_239
; %bb.238:                              ;   in Loop: Header=BB173_162 Depth=1
	v_frexp_mant_f64_e32 v[14:15], v[6:7]
	v_cmp_eq_f64_e64 s1, 0, v[12:13]
	v_cmp_neq_f64_e64 s2, 0, v[6:7]
	v_cmp_class_f64_e64 s4, v[12:13], 0x204
	v_cmp_class_f64_e64 s5, v[10:11], 0x204
	v_cmp_gt_f64_e32 vcc_lo, s[20:21], v[14:15]
	v_cndmask_b32_e64 v8, 0, 1, vcc_lo
	s_delay_alu instid0(VALU_DEP_1) | instskip(SKIP_1) | instid1(VALU_DEP_2)
	v_ldexp_f64 v[14:15], v[14:15], v8
	v_frexp_exp_i32_f64_e32 v8, v[6:7]
	v_add_f64_e32 v[26:27], 1.0, v[14:15]
	v_add_f64_e32 v[32:33], -1.0, v[14:15]
	s_delay_alu instid0(VALU_DEP_3) | instskip(NEXT) | instid1(VALU_DEP_3)
	v_subrev_co_ci_u32_e64 v8, null, 0, v8, vcc_lo
	v_rcp_f64_e32 v[28:29], v[26:27]
	v_add_f64_e32 v[44:45], -1.0, v[26:27]
	s_delay_alu instid0(VALU_DEP_1) | instskip(NEXT) | instid1(TRANS32_DEP_1)
	v_add_f64_e64 v[14:15], v[14:15], -v[44:45]
	v_fma_f64 v[30:31], -v[26:27], v[28:29], 1.0
	s_delay_alu instid0(VALU_DEP_1) | instskip(NEXT) | instid1(VALU_DEP_1)
	v_fmac_f64_e32 v[28:29], v[30:31], v[28:29]
	v_fma_f64 v[30:31], -v[26:27], v[28:29], 1.0
	s_delay_alu instid0(VALU_DEP_1) | instskip(NEXT) | instid1(VALU_DEP_1)
	v_fmac_f64_e32 v[28:29], v[30:31], v[28:29]
	v_mul_f64_e32 v[30:31], v[32:33], v[28:29]
	s_delay_alu instid0(VALU_DEP_1) | instskip(NEXT) | instid1(VALU_DEP_1)
	v_mul_f64_e32 v[46:47], v[26:27], v[30:31]
	v_fma_f64 v[26:27], v[30:31], v[26:27], -v[46:47]
	s_delay_alu instid0(VALU_DEP_1) | instskip(NEXT) | instid1(VALU_DEP_1)
	v_fmac_f64_e32 v[26:27], v[30:31], v[14:15]
	v_add_f64_e32 v[14:15], v[46:47], v[26:27]
	s_delay_alu instid0(VALU_DEP_1) | instskip(SKIP_1) | instid1(VALU_DEP_2)
	v_add_f64_e64 v[44:45], v[32:33], -v[14:15]
	v_add_f64_e64 v[46:47], v[14:15], -v[46:47]
	;; [unrolled: 1-line block ×3, first 2 shown]
	s_delay_alu instid0(VALU_DEP_2) | instskip(NEXT) | instid1(VALU_DEP_2)
	v_add_f64_e64 v[26:27], v[46:47], -v[26:27]
	v_add_f64_e64 v[14:15], v[32:33], -v[14:15]
	v_max_num_f64_e64 v[32:33], |v[10:11]|, |v[10:11]|
	s_delay_alu instid0(VALU_DEP_2) | instskip(SKIP_1) | instid1(VALU_DEP_2)
	v_add_f64_e32 v[14:15], v[26:27], v[14:15]
	v_max_num_f64_e64 v[26:27], |v[12:13]|, |v[12:13]|
	v_add_f64_e32 v[14:15], v[44:45], v[14:15]
	s_delay_alu instid0(VALU_DEP_1) | instskip(NEXT) | instid1(VALU_DEP_3)
	v_mul_f64_e32 v[14:15], v[28:29], v[14:15]
	v_max_num_f64_e32 v[28:29], v[32:33], v[26:27]
	v_min_num_f64_e32 v[26:27], v[32:33], v[26:27]
	s_delay_alu instid0(VALU_DEP_3) | instskip(NEXT) | instid1(VALU_DEP_2)
	v_add_f64_e32 v[32:33], v[30:31], v[14:15]
	v_div_scale_f64 v[44:45], null, v[28:29], v[28:29], v[26:27]
	s_delay_alu instid0(VALU_DEP_2) | instskip(NEXT) | instid1(VALU_DEP_2)
	v_mul_f64_e32 v[46:47], v[32:33], v[32:33]
	v_rcp_f64_e32 v[48:49], v[44:45]
	s_delay_alu instid0(VALU_DEP_1) | instskip(SKIP_1) | instid1(VALU_DEP_2)
	v_fmamk_f64 v[50:51], v[46:47], 0x3fc3ab76bf559e2b, v[38:39]
	v_mul_f64_e32 v[52:53], v[32:33], v[46:47]
	v_fmaak_f64 v[50:51], v[46:47], v[50:51], 0x3fc7474dd7f4df2e
	s_delay_alu instid0(TRANS32_DEP_1) | instskip(NEXT) | instid1(VALU_DEP_2)
	v_fma_f64 v[54:55], -v[44:45], v[48:49], 1.0
	v_fmaak_f64 v[50:51], v[46:47], v[50:51], 0x3fcc71c016291751
	s_delay_alu instid0(VALU_DEP_1) | instskip(NEXT) | instid1(VALU_DEP_1)
	v_fmaak_f64 v[50:51], v[46:47], v[50:51], 0x3fd249249b27acf1
	v_fmaak_f64 v[50:51], v[46:47], v[50:51], 0x3fd99999998ef7b6
	s_delay_alu instid0(VALU_DEP_1) | instskip(SKIP_2) | instid1(VALU_DEP_3)
	v_fmaak_f64 v[46:47], v[46:47], v[50:51], 0x3fe5555555555780
	v_ldexp_f64 v[50:51], v[32:33], 1
	v_fmac_f64_e32 v[48:49], v[48:49], v[54:55]
	v_mul_f64_e32 v[46:47], v[52:53], v[46:47]
	v_cvt_f64_i32_e32 v[52:53], v8
	v_ashrrev_i32_e32 v8, 31, v11
	v_add_f64_e64 v[30:31], v[32:33], -v[30:31]
	s_delay_alu instid0(VALU_DEP_2) | instskip(SKIP_4) | instid1(VALU_DEP_4)
	v_and_b32_e32 v7, 0x400921fb, v8
	v_fma_f64 v[54:55], -v[44:45], v[48:49], 1.0
	v_add_f64_e32 v[32:33], v[50:51], v[46:47]
	v_mul_f64_e32 v[56:57], 0x3fe62e42fefa39ef, v[52:53]
	v_add_f64_e64 v[14:15], v[14:15], -v[30:31]
	v_fmac_f64_e32 v[48:49], v[48:49], v[54:55]
	s_delay_alu instid0(VALU_DEP_4) | instskip(SKIP_3) | instid1(VALU_DEP_4)
	v_add_f64_e64 v[30:31], v[32:33], -v[50:51]
	v_div_scale_f64 v[50:51], vcc_lo, v[26:27], v[28:29], v[26:27]
	v_fma_f64 v[54:55], v[52:53], s[22:23], -v[56:57]
	v_ldexp_f64 v[14:15], v[14:15], 1
	v_add_f64_e64 v[30:31], v[46:47], -v[30:31]
	s_delay_alu instid0(VALU_DEP_4) | instskip(NEXT) | instid1(VALU_DEP_4)
	v_mul_f64_e32 v[46:47], v[50:51], v[48:49]
	v_fmac_f64_e32 v[54:55], 0x3c7abc9e3b39803f, v[52:53]
	s_delay_alu instid0(VALU_DEP_3) | instskip(NEXT) | instid1(VALU_DEP_3)
	v_add_f64_e32 v[14:15], v[14:15], v[30:31]
	v_fma_f64 v[30:31], -v[44:45], v[46:47], v[50:51]
	s_delay_alu instid0(VALU_DEP_3) | instskip(NEXT) | instid1(VALU_DEP_3)
	v_add_f64_e32 v[44:45], v[56:57], v[54:55]
	v_add_f64_e32 v[50:51], v[32:33], v[14:15]
	s_delay_alu instid0(VALU_DEP_3) | instskip(SKIP_1) | instid1(VALU_DEP_4)
	v_div_fmas_f64 v[30:31], v[30:31], v[48:49], v[46:47]
	v_cmp_gt_i32_e32 vcc_lo, 0, v11
	v_add_f64_e64 v[48:49], v[44:45], -v[56:57]
	v_cndmask_b32_e32 v6, 0x3fe921fb, v61, vcc_lo
	v_cndmask_b32_e32 v16, 0x54442d18, v60, vcc_lo
	s_delay_alu instid0(VALU_DEP_2) | instskip(SKIP_4) | instid1(VALU_DEP_4)
	v_bfi_b32 v6, 0x7fffffff, v6, v13
	v_add_f64_e32 v[46:47], v[44:45], v[50:51]
	v_div_fixup_f64 v[26:27], v[30:31], v[28:29], v[26:27]
	v_add_f64_e64 v[32:33], v[50:51], -v[32:33]
	v_add_f64_e64 v[48:49], v[54:55], -v[48:49]
	;; [unrolled: 1-line block ×3, first 2 shown]
	s_delay_alu instid0(VALU_DEP_4) | instskip(NEXT) | instid1(VALU_DEP_4)
	v_mul_f64_e32 v[30:31], v[26:27], v[26:27]
	v_add_f64_e64 v[14:15], v[14:15], -v[32:33]
	s_delay_alu instid0(VALU_DEP_3) | instskip(NEXT) | instid1(VALU_DEP_3)
	v_add_f64_e64 v[52:53], v[46:47], -v[28:29]
	v_fmamk_f64 v[56:57], v[30:31], 0x3eeba404b5e68a13, v[40:41]
	v_add_f64_e64 v[28:29], v[50:51], -v[28:29]
	s_delay_alu instid0(VALU_DEP_4) | instskip(NEXT) | instid1(VALU_DEP_3)
	v_add_f64_e32 v[50:51], v[48:49], v[14:15]
	v_fmaak_f64 v[56:57], v[30:31], v[56:57], 0x3f4b2bb069efb384
	s_delay_alu instid0(VALU_DEP_1) | instskip(SKIP_1) | instid1(VALU_DEP_2)
	v_fmaak_f64 v[56:57], v[30:31], v[56:57], 0xbf67952daf56de9b
	v_add_f64_e64 v[32:33], v[44:45], -v[52:53]
	v_fmaak_f64 v[44:45], v[30:31], v[56:57], 0x3f7d6d43a595c56f
	s_delay_alu instid0(VALU_DEP_1) | instskip(NEXT) | instid1(VALU_DEP_1)
	v_fmaak_f64 v[44:45], v[30:31], v[44:45], 0xbf8c6ea4a57d9582
	v_fmaak_f64 v[44:45], v[30:31], v[44:45], 0x3f967e295f08b19f
	s_delay_alu instid0(VALU_DEP_1) | instskip(NEXT) | instid1(VALU_DEP_1)
	v_fmaak_f64 v[44:45], v[30:31], v[44:45], 0xbf9e9ae6fc27006a
	v_fmaak_f64 v[44:45], v[30:31], v[44:45], 0x3fa2c15b5711927a
	v_add_f64_e32 v[28:29], v[28:29], v[32:33]
	s_delay_alu instid0(VALU_DEP_2) | instskip(SKIP_1) | instid1(VALU_DEP_2)
	v_fmaak_f64 v[32:33], v[30:31], v[44:45], 0xbfa59976e82d3ff0
	v_add_f64_e64 v[44:45], v[50:51], -v[48:49]
	v_fmaak_f64 v[32:33], v[30:31], v[32:33], 0x3fa82d5d6ef28734
	s_delay_alu instid0(VALU_DEP_1) | instskip(NEXT) | instid1(VALU_DEP_1)
	v_fmaak_f64 v[32:33], v[30:31], v[32:33], 0xbfaae5ce6a214619
	v_fmaak_f64 v[32:33], v[30:31], v[32:33], 0x3fae1bb48427b883
	s_delay_alu instid0(VALU_DEP_1) | instskip(SKIP_3) | instid1(VALU_DEP_4)
	v_fmaak_f64 v[32:33], v[30:31], v[32:33], 0xbfb110e48b207f05
	v_add_f64_e32 v[28:29], v[50:51], v[28:29]
	v_add_f64_e64 v[50:51], v[50:51], -v[44:45]
	v_add_f64_e64 v[14:15], v[14:15], -v[44:45]
	v_fmaak_f64 v[32:33], v[30:31], v[32:33], 0x3fb3b13657b87036
	s_delay_alu instid0(VALU_DEP_1) | instskip(NEXT) | instid1(VALU_DEP_1)
	v_fmaak_f64 v[32:33], v[30:31], v[32:33], 0xbfb745d119378e4f
	v_fmaak_f64 v[32:33], v[30:31], v[32:33], 0x3fbc71c717e1913c
	s_delay_alu instid0(VALU_DEP_1) | instskip(SKIP_1) | instid1(VALU_DEP_2)
	v_fmaak_f64 v[32:33], v[30:31], v[32:33], 0xbfc2492492376b7d
	v_add_f64_e32 v[52:53], v[46:47], v[28:29]
	v_fmaak_f64 v[32:33], v[30:31], v[32:33], 0x3fc99999999952cc
	s_delay_alu instid0(VALU_DEP_1) | instskip(NEXT) | instid1(VALU_DEP_1)
	v_fmaak_f64 v[32:33], v[30:31], v[32:33], 0xbfd5555555555523
	v_mul_f64_e32 v[30:31], v[30:31], v[32:33]
	v_add_f64_e64 v[32:33], v[48:49], -v[50:51]
	v_add_f64_e64 v[44:45], v[52:53], -v[46:47]
	s_delay_alu instid0(VALU_DEP_3) | instskip(NEXT) | instid1(VALU_DEP_3)
	v_fmac_f64_e32 v[26:27], v[26:27], v[30:31]
	v_add_f64_e32 v[14:15], v[14:15], v[32:33]
	s_delay_alu instid0(VALU_DEP_3) | instskip(NEXT) | instid1(VALU_DEP_3)
	v_add_f64_e64 v[28:29], v[28:29], -v[44:45]
	v_add_f64_e64 v[30:31], -v[26:27], s[24:25]
	s_delay_alu instid0(VALU_DEP_2) | instskip(NEXT) | instid1(VALU_DEP_2)
	v_add_f64_e32 v[14:15], v[14:15], v[28:29]
	v_dual_cndmask_b32 v27, v27, v31, s0 :: v_dual_cndmask_b32 v26, v26, v30, s0
	v_and_b32_e32 v30, 0x54442d18, v8
	s_delay_alu instid0(VALU_DEP_2) | instskip(NEXT) | instid1(VALU_DEP_1)
	v_add_f64_e64 v[28:29], -v[26:27], s[26:27]
	v_dual_add_f64 v[14:15], v[52:53], v[14:15] :: v_dual_cndmask_b32 v26, v26, v28, vcc_lo
	s_delay_alu instid0(VALU_DEP_2) | instskip(SKIP_1) | instid1(VALU_DEP_1)
	v_cndmask_b32_e32 v8, v27, v29, vcc_lo
	s_and_b32 vcc_lo, s5, s4
	v_cndmask_b32_e64 v7, v8, v7, s1
	s_delay_alu instid0(VALU_DEP_3) | instskip(SKIP_1) | instid1(VALU_DEP_3)
	v_mul_f64_e32 v[10:11], 0.5, v[14:15]
	v_cndmask_b32_e64 v14, v26, v30, s1
	v_cndmask_b32_e32 v29, v7, v6, vcc_lo
                                        ; implicit-def: $vgpr30_vgpr31
	s_delay_alu instid0(VALU_DEP_2) | instskip(NEXT) | instid1(VALU_DEP_4)
	v_cndmask_b32_e32 v28, v14, v16, vcc_lo
                                        ; implicit-def: $vgpr14_vgpr15
	v_cndmask_b32_e64 v27, 0xfff00000, v11, s2
	v_cndmask_b32_e64 v26, 0, v10, s2
.LBB173_239:                            ;   in Loop: Header=BB173_162 Depth=1
	s_and_not1_saveexec_b32 s42, s3
	s_cbranch_execz .LBB173_243
; %bb.240:                              ;   in Loop: Header=BB173_162 Depth=1
	v_and_b32_e32 v37, 0x7ffffff8, v31
	v_and_b32_e32 v27, 0x7ffffff8, v15
	v_mov_b32_e32 v26, v36
	s_mov_b32 s43, 0
	s_delay_alu instid0(VALU_DEP_3) | instskip(NEXT) | instid1(VALU_DEP_2)
	v_dual_add_f64 v[6:7], v[30:31], -v[36:37] :: v_dual_mov_b32 v30, v36
	v_dual_add_f64 v[14:15], v[14:15], -v[26:27] :: v_dual_mov_b32 v32, v36
	v_add_f64_e32 v[44:45], v[36:37], v[36:37]
	v_add_f64_e32 v[52:53], v[26:27], v[26:27]
	v_mul_f64_e32 v[28:29], v[26:27], v[26:27]
	v_and_b32_e32 v31, -8, v7
	v_and_b32_e32 v33, -8, v15
	s_delay_alu instid0(VALU_DEP_2) | instskip(SKIP_1) | instid1(VALU_DEP_3)
	v_add_f64_e64 v[54:55], v[6:7], -v[30:31]
	v_add_f64_e32 v[58:59], v[30:31], v[30:31]
	v_add_f64_e64 v[56:57], v[14:15], -v[32:33]
	v_add_f64_e32 v[62:63], v[32:33], v[32:33]
	v_mul_f64_e32 v[6:7], v[36:37], v[36:37]
	v_mul_f64_e32 v[50:51], v[44:45], v[30:31]
	;; [unrolled: 1-line block ×11, first 2 shown]
.LBB173_241:                            ;   Parent Loop BB173_162 Depth=1
                                        ; =>  This Inner Loop Header: Depth=2
	v_cmp_nlt_f64_e32 vcc_lo, v[6:7], v[28:29]
	v_dual_cndmask_b32 v57, v7, v29 :: v_dual_cndmask_b32 v56, v6, v28
	v_dual_cndmask_b32 v7, v29, v7 :: v_dual_cndmask_b32 v6, v28, v6
	s_delay_alu instid0(VALU_DEP_2) | instskip(NEXT) | instid1(VALU_DEP_1)
	v_cmp_nlt_f64_e64 s1, v[56:57], v[50:51]
	v_dual_cndmask_b32 v59, v57, v51, s1 :: v_dual_cndmask_b32 v58, v56, v50, s1
	v_dual_cndmask_b32 v29, v51, v57, s1 :: v_dual_cndmask_b32 v28, v50, v56, s1
	s_and_b32 s1, vcc_lo, s1
	s_delay_alu instid0(VALU_DEP_2) | instskip(NEXT) | instid1(VALU_DEP_1)
	v_cmp_nlt_f64_e64 s2, v[58:59], v[26:27]
	v_dual_cndmask_b32 v63, v59, v27, s2 :: v_dual_cndmask_b32 v62, v58, v26, s2
	v_dual_cndmask_b32 v51, v27, v59, s2 :: v_dual_cndmask_b32 v50, v26, v58, s2
	s_delay_alu instid0(VALU_DEP_2) | instskip(NEXT) | instid1(VALU_DEP_1)
	v_cmp_nlt_f64_e64 s3, v[62:63], v[48:49]
	v_dual_cndmask_b32 v65, v63, v49, s3 :: v_dual_cndmask_b32 v64, v62, v48, s3
	v_dual_cndmask_b32 v27, v49, v63, s3 :: v_dual_cndmask_b32 v26, v48, v62, s3
	s_and_b32 s2, s2, s3
	s_delay_alu instid0(VALU_DEP_2) | instskip(NEXT) | instid1(VALU_DEP_1)
	v_cmp_nlt_f64_e64 s4, v[64:65], v[14:15]
	v_dual_cndmask_b32 v67, v65, v15, s4 :: v_dual_cndmask_b32 v66, v64, v14, s4
	v_dual_cndmask_b32 v49, v15, v65, s4 :: v_dual_cndmask_b32 v48, v14, v64, s4
	s_delay_alu instid0(VALU_DEP_2) | instskip(NEXT) | instid1(VALU_DEP_1)
	v_cmp_nlt_f64_e64 s5, v[66:67], v[46:47]
	v_dual_cndmask_b32 v69, v67, v47, s5 :: v_dual_cndmask_b32 v68, v66, v46, s5
	s_and_b32 s3, s4, s5
	v_dual_cndmask_b32 v15, v47, v67, s5 :: v_dual_cndmask_b32 v14, v46, v66, s5
	s_delay_alu instid0(VALU_DEP_2) | instskip(NEXT) | instid1(VALU_DEP_1)
	v_cmp_nlt_f64_e64 s6, v[68:69], v[44:45]
	v_dual_cndmask_b32 v71, v69, v45, s6 :: v_dual_cndmask_b32 v70, v68, v44, s6
	s_and_b32 s3, s3, s6
	;; [unrolled: 5-line block ×6, first 2 shown]
	v_dual_cndmask_b32 v53, v55, v77, s10 :: v_dual_cndmask_b32 v52, v54, v76, s10
	s_and_b32 s2, s3, s2
	s_delay_alu instid0(VALU_DEP_2) | instskip(SKIP_1) | instid1(SALU_CYCLE_1)
	v_mov_b64_e32 v[54:55], v[56:57]
	s_and_b32 s1, s2, s1
	s_and_b32 s1, exec_lo, s1
	s_delay_alu instid0(SALU_CYCLE_1) | instskip(NEXT) | instid1(SALU_CYCLE_1)
	s_or_b32 s43, s1, s43
	s_and_not1_b32 exec_lo, exec_lo, s43
	s_cbranch_execnz .LBB173_241
; %bb.242:                              ;   in Loop: Header=BB173_162 Depth=1
	s_or_b32 exec_lo, exec_lo, s43
	v_add_f64_e32 v[6:7], -1.0, v[6:7]
	v_cmp_eq_f64_e64 s1, 0, v[12:13]
	v_cmp_class_f64_e64 s5, v[10:11], 0x204
	v_cmp_class_f64_e64 s4, v[12:13], 0x204
	s_delay_alu instid0(VALU_DEP_4) | instskip(NEXT) | instid1(VALU_DEP_1)
	v_add_f64_e32 v[6:7], v[6:7], v[28:29]
	v_add_f64_e32 v[6:7], v[6:7], v[50:51]
	s_delay_alu instid0(VALU_DEP_1) | instskip(NEXT) | instid1(VALU_DEP_1)
	v_add_f64_e32 v[6:7], v[6:7], v[26:27]
	v_add_f64_e32 v[6:7], v[6:7], v[48:49]
	s_delay_alu instid0(VALU_DEP_1) | instskip(NEXT) | instid1(VALU_DEP_1)
	;; [unrolled: 3-line block ×5, first 2 shown]
	v_add_f64_e32 v[6:7], v[56:57], v[6:7]
	v_add_f64_e32 v[14:15], 1.0, v[6:7]
	s_delay_alu instid0(VALU_DEP_1) | instskip(SKIP_2) | instid1(VALU_DEP_3)
	v_frexp_mant_f64_e32 v[26:27], v[14:15]
	v_frexp_exp_i32_f64_e32 v8, v[14:15]
	v_add_f64_e32 v[28:29], -1.0, v[14:15]
	v_cmp_gt_f64_e32 vcc_lo, s[20:21], v[26:27]
	s_delay_alu instid0(VALU_DEP_2) | instskip(SKIP_2) | instid1(VALU_DEP_1)
	v_add_f64_e64 v[26:27], v[28:29], -v[14:15]
	v_add_f64_e64 v[28:29], v[6:7], -v[28:29]
	v_subrev_co_ci_u32_e64 v8, null, 0, v8, vcc_lo
	v_dual_add_f64 v[26:27], 1.0, v[26:27] :: v_dual_sub_nc_u32 v16, 0, v8
	s_delay_alu instid0(VALU_DEP_1) | instskip(NEXT) | instid1(VALU_DEP_2)
	v_ldexp_f64 v[14:15], v[14:15], v16
	v_add_f64_e32 v[26:27], v[28:29], v[26:27]
	s_delay_alu instid0(VALU_DEP_2) | instskip(SKIP_1) | instid1(VALU_DEP_3)
	v_add_f64_e32 v[30:31], 1.0, v[14:15]
	v_add_f64_e32 v[46:47], -1.0, v[14:15]
	v_ldexp_f64 v[26:27], v[26:27], v16
	s_delay_alu instid0(VALU_DEP_3) | instskip(NEXT) | instid1(VALU_DEP_3)
	v_add_f64_e32 v[28:29], -1.0, v[30:31]
	v_add_f64_e32 v[48:49], 1.0, v[46:47]
	s_delay_alu instid0(VALU_DEP_2) | instskip(NEXT) | instid1(VALU_DEP_2)
	v_add_f64_e64 v[28:29], v[14:15], -v[28:29]
	v_add_f64_e64 v[14:15], v[14:15], -v[48:49]
	s_delay_alu instid0(VALU_DEP_2) | instskip(NEXT) | instid1(VALU_DEP_2)
	v_add_f64_e32 v[28:29], v[26:27], v[28:29]
	v_add_f64_e32 v[14:15], v[26:27], v[14:15]
	s_delay_alu instid0(VALU_DEP_2) | instskip(NEXT) | instid1(VALU_DEP_2)
	v_add_f64_e32 v[32:33], v[30:31], v[28:29]
	v_add_f64_e32 v[48:49], v[46:47], v[14:15]
	s_delay_alu instid0(VALU_DEP_2) | instskip(SKIP_1) | instid1(VALU_DEP_2)
	v_rcp_f64_e32 v[44:45], v[32:33]
	v_add_f64_e64 v[30:31], v[32:33], -v[30:31]
	v_add_f64_e64 v[46:47], v[48:49], -v[46:47]
	s_delay_alu instid0(VALU_DEP_2) | instskip(NEXT) | instid1(VALU_DEP_2)
	v_add_f64_e64 v[28:29], v[28:29], -v[30:31]
	v_add_f64_e64 v[14:15], v[14:15], -v[46:47]
	s_delay_alu instid0(TRANS32_DEP_1) | instskip(NEXT) | instid1(VALU_DEP_1)
	v_fma_f64 v[50:51], -v[32:33], v[44:45], 1.0
	v_fmac_f64_e32 v[44:45], v[50:51], v[44:45]
	s_delay_alu instid0(VALU_DEP_1) | instskip(NEXT) | instid1(VALU_DEP_1)
	v_fma_f64 v[26:27], -v[32:33], v[44:45], 1.0
	v_fmac_f64_e32 v[44:45], v[26:27], v[44:45]
	s_delay_alu instid0(VALU_DEP_1) | instskip(NEXT) | instid1(VALU_DEP_1)
	v_mul_f64_e32 v[26:27], v[48:49], v[44:45]
	v_mul_f64_e32 v[50:51], v[32:33], v[26:27]
	s_delay_alu instid0(VALU_DEP_1) | instskip(NEXT) | instid1(VALU_DEP_1)
	v_fma_f64 v[30:31], v[26:27], v[32:33], -v[50:51]
	v_fmac_f64_e32 v[30:31], v[26:27], v[28:29]
	s_delay_alu instid0(VALU_DEP_1) | instskip(NEXT) | instid1(VALU_DEP_1)
	v_add_f64_e32 v[52:53], v[50:51], v[30:31]
	v_add_f64_e64 v[54:55], v[48:49], -v[52:53]
	v_add_f64_e64 v[46:47], v[52:53], -v[50:51]
	s_delay_alu instid0(VALU_DEP_2) | instskip(NEXT) | instid1(VALU_DEP_2)
	v_add_f64_e64 v[48:49], v[48:49], -v[54:55]
	v_add_f64_e64 v[30:31], v[46:47], -v[30:31]
	s_delay_alu instid0(VALU_DEP_2) | instskip(NEXT) | instid1(VALU_DEP_1)
	v_add_f64_e64 v[48:49], v[48:49], -v[52:53]
	v_add_f64_e32 v[14:15], v[14:15], v[48:49]
	s_delay_alu instid0(VALU_DEP_1) | instskip(NEXT) | instid1(VALU_DEP_1)
	v_add_f64_e32 v[14:15], v[30:31], v[14:15]
	v_add_f64_e32 v[30:31], v[54:55], v[14:15]
	s_delay_alu instid0(VALU_DEP_1) | instskip(SKIP_1) | instid1(VALU_DEP_2)
	v_mul_f64_e32 v[46:47], v[44:45], v[30:31]
	v_add_f64_e64 v[52:53], v[54:55], -v[30:31]
	v_mul_f64_e32 v[48:49], v[32:33], v[46:47]
	s_delay_alu instid0(VALU_DEP_2) | instskip(NEXT) | instid1(VALU_DEP_2)
	v_add_f64_e32 v[14:15], v[14:15], v[52:53]
	v_fma_f64 v[32:33], v[46:47], v[32:33], -v[48:49]
	s_delay_alu instid0(VALU_DEP_1) | instskip(NEXT) | instid1(VALU_DEP_1)
	v_fmac_f64_e32 v[32:33], v[46:47], v[28:29]
	v_add_f64_e32 v[28:29], v[48:49], v[32:33]
	s_delay_alu instid0(VALU_DEP_1) | instskip(SKIP_1) | instid1(VALU_DEP_2)
	v_add_f64_e64 v[50:51], v[30:31], -v[28:29]
	v_add_f64_e64 v[48:49], v[28:29], -v[48:49]
	v_add_f64_e64 v[30:31], v[30:31], -v[50:51]
	s_delay_alu instid0(VALU_DEP_1) | instskip(NEXT) | instid1(VALU_DEP_3)
	v_add_f64_e64 v[28:29], v[30:31], -v[28:29]
	v_add_f64_e64 v[30:31], v[48:49], -v[32:33]
	v_max_num_f64_e64 v[32:33], |v[10:11]|, |v[10:11]|
	s_delay_alu instid0(VALU_DEP_3) | instskip(SKIP_1) | instid1(VALU_DEP_2)
	v_add_f64_e32 v[14:15], v[14:15], v[28:29]
	v_add_f64_e32 v[28:29], v[26:27], v[46:47]
	;; [unrolled: 1-line block ×3, first 2 shown]
	s_delay_alu instid0(VALU_DEP_2) | instskip(SKIP_1) | instid1(VALU_DEP_3)
	v_add_f64_e64 v[26:27], v[28:29], -v[26:27]
	v_max_num_f64_e64 v[30:31], |v[12:13]|, |v[12:13]|
	v_add_f64_e32 v[14:15], v[50:51], v[14:15]
	s_delay_alu instid0(VALU_DEP_3) | instskip(NEXT) | instid1(VALU_DEP_2)
	v_add_f64_e64 v[26:27], v[46:47], -v[26:27]
	v_mul_f64_e32 v[14:15], v[44:45], v[14:15]
	s_delay_alu instid0(VALU_DEP_1) | instskip(SKIP_2) | instid1(VALU_DEP_3)
	v_add_f64_e32 v[14:15], v[26:27], v[14:15]
	v_max_num_f64_e32 v[26:27], v[32:33], v[30:31]
	v_min_num_f64_e32 v[30:31], v[32:33], v[30:31]
	v_add_f64_e32 v[32:33], v[28:29], v[14:15]
	s_delay_alu instid0(VALU_DEP_2) | instskip(NEXT) | instid1(VALU_DEP_2)
	v_div_scale_f64 v[44:45], null, v[26:27], v[26:27], v[30:31]
	v_mul_f64_e32 v[46:47], v[32:33], v[32:33]
	v_add_f64_e64 v[28:29], v[32:33], -v[28:29]
	s_delay_alu instid0(VALU_DEP_3) | instskip(NEXT) | instid1(VALU_DEP_2)
	v_rcp_f64_e32 v[48:49], v[44:45]
	v_fmamk_f64 v[50:51], v[46:47], 0x3fc3ab76bf559e2b, v[38:39]
	v_mul_f64_e32 v[52:53], v[32:33], v[46:47]
	s_delay_alu instid0(VALU_DEP_3) | instskip(NEXT) | instid1(VALU_DEP_3)
	v_add_f64_e64 v[14:15], v[14:15], -v[28:29]
	v_fmaak_f64 v[50:51], v[46:47], v[50:51], 0x3fc7474dd7f4df2e
	s_delay_alu instid0(TRANS32_DEP_1) | instskip(NEXT) | instid1(VALU_DEP_2)
	v_fma_f64 v[54:55], -v[44:45], v[48:49], 1.0
	v_fmaak_f64 v[50:51], v[46:47], v[50:51], 0x3fcc71c016291751
	s_delay_alu instid0(VALU_DEP_1) | instskip(NEXT) | instid1(VALU_DEP_1)
	v_fmaak_f64 v[50:51], v[46:47], v[50:51], 0x3fd249249b27acf1
	v_fmaak_f64 v[50:51], v[46:47], v[50:51], 0x3fd99999998ef7b6
	v_ldexp_f64 v[14:15], v[14:15], 1
	s_delay_alu instid0(VALU_DEP_2) | instskip(SKIP_2) | instid1(VALU_DEP_3)
	v_fmaak_f64 v[46:47], v[46:47], v[50:51], 0x3fe5555555555780
	v_ldexp_f64 v[50:51], v[32:33], 1
	v_fmac_f64_e32 v[48:49], v[48:49], v[54:55]
	v_mul_f64_e32 v[46:47], v[52:53], v[46:47]
	v_cvt_f64_i32_e32 v[52:53], v8
	v_ashrrev_i32_e32 v8, 31, v11
	s_delay_alu instid0(VALU_DEP_4) | instskip(NEXT) | instid1(VALU_DEP_4)
	v_fma_f64 v[54:55], -v[44:45], v[48:49], 1.0
	v_add_f64_e32 v[32:33], v[50:51], v[46:47]
	s_delay_alu instid0(VALU_DEP_4) | instskip(NEXT) | instid1(VALU_DEP_3)
	v_mul_f64_e32 v[56:57], 0x3fe62e42fefa39ef, v[52:53]
	v_fmac_f64_e32 v[48:49], v[48:49], v[54:55]
	s_delay_alu instid0(VALU_DEP_3) | instskip(SKIP_1) | instid1(VALU_DEP_4)
	v_add_f64_e64 v[28:29], v[32:33], -v[50:51]
	v_div_scale_f64 v[50:51], vcc_lo, v[30:31], v[26:27], v[30:31]
	v_fma_f64 v[54:55], v[52:53], s[22:23], -v[56:57]
	s_delay_alu instid0(VALU_DEP_3) | instskip(NEXT) | instid1(VALU_DEP_3)
	v_add_f64_e64 v[28:29], v[46:47], -v[28:29]
	v_mul_f64_e32 v[46:47], v[50:51], v[48:49]
	s_delay_alu instid0(VALU_DEP_3) | instskip(NEXT) | instid1(VALU_DEP_3)
	v_fmac_f64_e32 v[54:55], 0x3c7abc9e3b39803f, v[52:53]
	v_add_f64_e32 v[14:15], v[14:15], v[28:29]
	s_delay_alu instid0(VALU_DEP_3) | instskip(NEXT) | instid1(VALU_DEP_3)
	v_fma_f64 v[28:29], -v[44:45], v[46:47], v[50:51]
	v_add_f64_e32 v[44:45], v[56:57], v[54:55]
	s_delay_alu instid0(VALU_DEP_3) | instskip(NEXT) | instid1(VALU_DEP_3)
	v_add_f64_e32 v[50:51], v[32:33], v[14:15]
	v_div_fmas_f64 v[28:29], v[28:29], v[48:49], v[46:47]
	v_cmp_gt_i32_e32 vcc_lo, 0, v11
	s_delay_alu instid0(VALU_DEP_4) | instskip(SKIP_2) | instid1(VALU_DEP_1)
	v_add_f64_e64 v[48:49], v[44:45], -v[56:57]
	v_cndmask_b32_e32 v16, 0x54442d18, v60, vcc_lo
	v_cndmask_b32_e32 v10, 0x3fe921fb, v61, vcc_lo
	v_bfi_b32 v10, 0x7fffffff, v10, v13
	v_add_f64_e32 v[46:47], v[44:45], v[50:51]
	v_div_fixup_f64 v[26:27], v[28:29], v[26:27], v[30:31]
	v_add_f64_e64 v[32:33], v[50:51], -v[32:33]
	v_add_f64_e64 v[48:49], v[54:55], -v[48:49]
	s_delay_alu instid0(VALU_DEP_4) | instskip(NEXT) | instid1(VALU_DEP_4)
	v_add_f64_e64 v[28:29], v[46:47], -v[44:45]
	v_mul_f64_e32 v[30:31], v[26:27], v[26:27]
	s_delay_alu instid0(VALU_DEP_4) | instskip(NEXT) | instid1(VALU_DEP_3)
	v_add_f64_e64 v[14:15], v[14:15], -v[32:33]
	v_add_f64_e64 v[52:53], v[46:47], -v[28:29]
	s_delay_alu instid0(VALU_DEP_3) | instskip(SKIP_1) | instid1(VALU_DEP_4)
	v_fmamk_f64 v[56:57], v[30:31], 0x3eeba404b5e68a13, v[40:41]
	v_add_f64_e64 v[28:29], v[50:51], -v[28:29]
	v_add_f64_e32 v[50:51], v[48:49], v[14:15]
	s_delay_alu instid0(VALU_DEP_3) | instskip(SKIP_1) | instid1(VALU_DEP_2)
	v_fmaak_f64 v[56:57], v[30:31], v[56:57], 0x3f4b2bb069efb384
	v_add_f64_e64 v[32:33], v[44:45], -v[52:53]
	v_fmaak_f64 v[44:45], v[30:31], v[56:57], 0xbf67952daf56de9b
	s_delay_alu instid0(VALU_DEP_1) | instskip(NEXT) | instid1(VALU_DEP_1)
	v_fmaak_f64 v[44:45], v[30:31], v[44:45], 0x3f7d6d43a595c56f
	v_fmaak_f64 v[44:45], v[30:31], v[44:45], 0xbf8c6ea4a57d9582
	s_delay_alu instid0(VALU_DEP_1) | instskip(NEXT) | instid1(VALU_DEP_1)
	v_fmaak_f64 v[44:45], v[30:31], v[44:45], 0x3f967e295f08b19f
	v_fmaak_f64 v[44:45], v[30:31], v[44:45], 0xbf9e9ae6fc27006a
	v_add_f64_e32 v[28:29], v[28:29], v[32:33]
	s_delay_alu instid0(VALU_DEP_2) | instskip(SKIP_1) | instid1(VALU_DEP_2)
	v_fmaak_f64 v[32:33], v[30:31], v[44:45], 0x3fa2c15b5711927a
	v_add_f64_e64 v[44:45], v[50:51], -v[48:49]
	v_fmaak_f64 v[32:33], v[30:31], v[32:33], 0xbfa59976e82d3ff0
	s_delay_alu instid0(VALU_DEP_1) | instskip(NEXT) | instid1(VALU_DEP_1)
	v_fmaak_f64 v[32:33], v[30:31], v[32:33], 0x3fa82d5d6ef28734
	v_fmaak_f64 v[32:33], v[30:31], v[32:33], 0xbfaae5ce6a214619
	s_delay_alu instid0(VALU_DEP_1) | instskip(SKIP_3) | instid1(VALU_DEP_4)
	v_fmaak_f64 v[32:33], v[30:31], v[32:33], 0x3fae1bb48427b883
	v_add_f64_e32 v[28:29], v[50:51], v[28:29]
	v_add_f64_e64 v[50:51], v[50:51], -v[44:45]
	v_add_f64_e64 v[14:15], v[14:15], -v[44:45]
	v_fmaak_f64 v[32:33], v[30:31], v[32:33], 0xbfb110e48b207f05
	s_delay_alu instid0(VALU_DEP_1) | instskip(NEXT) | instid1(VALU_DEP_1)
	v_fmaak_f64 v[32:33], v[30:31], v[32:33], 0x3fb3b13657b87036
	v_fmaak_f64 v[32:33], v[30:31], v[32:33], 0xbfb745d119378e4f
	s_delay_alu instid0(VALU_DEP_1) | instskip(SKIP_1) | instid1(VALU_DEP_2)
	v_fmaak_f64 v[32:33], v[30:31], v[32:33], 0x3fbc71c717e1913c
	v_add_f64_e32 v[52:53], v[46:47], v[28:29]
	v_fmaak_f64 v[32:33], v[30:31], v[32:33], 0xbfc2492492376b7d
	s_delay_alu instid0(VALU_DEP_1) | instskip(NEXT) | instid1(VALU_DEP_1)
	v_fmaak_f64 v[32:33], v[30:31], v[32:33], 0x3fc99999999952cc
	v_fmaak_f64 v[32:33], v[30:31], v[32:33], 0xbfd5555555555523
	s_delay_alu instid0(VALU_DEP_1) | instskip(SKIP_2) | instid1(VALU_DEP_3)
	v_mul_f64_e32 v[30:31], v[30:31], v[32:33]
	v_add_f64_e64 v[32:33], v[48:49], -v[50:51]
	v_add_f64_e64 v[44:45], v[52:53], -v[46:47]
	v_fmac_f64_e32 v[26:27], v[26:27], v[30:31]
	s_delay_alu instid0(VALU_DEP_3) | instskip(NEXT) | instid1(VALU_DEP_3)
	v_add_f64_e32 v[14:15], v[14:15], v[32:33]
	v_add_f64_e64 v[28:29], v[28:29], -v[44:45]
	s_delay_alu instid0(VALU_DEP_3) | instskip(NEXT) | instid1(VALU_DEP_2)
	v_add_f64_e64 v[30:31], -v[26:27], s[24:25]
	v_add_f64_e32 v[14:15], v[14:15], v[28:29]
	s_delay_alu instid0(VALU_DEP_2) | instskip(SKIP_2) | instid1(VALU_DEP_3)
	v_dual_cndmask_b32 v27, v27, v31, s0 :: v_dual_cndmask_b32 v26, v26, v30, s0
	v_and_b32_e32 v30, 0x54442d18, v8
	v_and_b32_e32 v8, 0x400921fb, v8
	v_add_f64_e64 v[28:29], -v[26:27], s[26:27]
	s_delay_alu instid0(VALU_DEP_1) | instskip(SKIP_2) | instid1(VALU_DEP_3)
	v_dual_add_f64 v[14:15], v[52:53], v[14:15] :: v_dual_cndmask_b32 v26, v26, v28, vcc_lo
	v_cmp_nge_f64_e64 s2, -1.0, v[6:7]
	v_cmp_neq_f64_e64 s3, 0x7ff00000, v[6:7]
	v_dual_mul_f64 v[14:15], 0.5, v[14:15] :: v_dual_cndmask_b32 v11, v27, v29, vcc_lo
	v_cmp_ngt_f64_e32 vcc_lo, -1.0, v[6:7]
	s_delay_alu instid0(VALU_DEP_2) | instskip(SKIP_1) | instid1(VALU_DEP_3)
	v_dual_cndmask_b32 v28, v26, v30, s1 :: v_dual_cndmask_b32 v8, v11, v8, s1
	s_and_b32 s1, s2, s3
	v_cndmask_b32_e64 v15, 0x7ff00000, v15, s3
	s_delay_alu instid0(VALU_DEP_4) | instskip(SKIP_1) | instid1(VALU_DEP_3)
	v_cndmask_b32_e64 v26, 0, v14, s1
	v_cmp_neq_f64_e64 s1, -1.0, v[6:7]
	v_cndmask_b32_e32 v11, 0x7ff80000, v15, vcc_lo
	s_and_b32 vcc_lo, s5, s4
	v_cndmask_b32_e32 v29, v8, v10, vcc_lo
	v_cndmask_b32_e32 v28, v28, v16, vcc_lo
	s_delay_alu instid0(VALU_DEP_3)
	v_cndmask_b32_e64 v27, 0xfff00000, v11, s1
.LBB173_243:                            ;   in Loop: Header=BB173_162 Depth=1
	s_or_b32 exec_lo, exec_lo, s42
.LBB173_244:                            ;   in Loop: Header=BB173_162 Depth=1
	s_delay_alu instid0(SALU_CYCLE_1)
	s_or_b32 exec_lo, exec_lo, s41
.LBB173_245:                            ;   in Loop: Header=BB173_162 Depth=1
	s_and_not1_saveexec_b32 s3, s40
	s_cbranch_execz .LBB173_247
; %bb.246:                              ;   in Loop: Header=BB173_162 Depth=1
	v_max_num_f64_e64 v[6:7], |v[12:13]|, |v[12:13]|
	v_max_num_f64_e64 v[14:15], |v[10:11]|, |v[10:11]|
	v_cmp_class_f64_e64 s4, v[10:11], 0x204
	v_cmp_class_f64_e64 s5, v[12:13], 0x204
	v_cmp_eq_f64_e64 s2, 0, v[12:13]
	s_delay_alu instid0(VALU_DEP_4) | instskip(SKIP_2) | instid1(VALU_DEP_2)
	v_max_num_f64_e32 v[26:27], v[14:15], v[6:7]
	v_min_num_f64_e32 v[6:7], v[14:15], v[6:7]
	s_or_b32 s1, s4, s5
	v_frexp_exp_i32_f64_e32 v8, v[26:27]
	s_delay_alu instid0(VALU_DEP_1) | instskip(NEXT) | instid1(VALU_DEP_1)
	v_sub_nc_u32_e32 v16, 0, v8
	v_ldexp_f64 v[28:29], |v[12:13]|, v16
	v_ldexp_f64 v[30:31], |v[10:11]|, v16
	s_delay_alu instid0(VALU_DEP_2) | instskip(NEXT) | instid1(VALU_DEP_1)
	v_mul_f64_e32 v[28:29], v[28:29], v[28:29]
	v_fmac_f64_e32 v[28:29], v[30:31], v[30:31]
	s_delay_alu instid0(VALU_DEP_1) | instskip(SKIP_1) | instid1(TRANS32_DEP_1)
	v_rsq_f64_e32 v[30:31], v[28:29]
	v_cmp_eq_f64_e32 vcc_lo, 0, v[28:29]
	v_mul_f64_e32 v[32:33], v[28:29], v[30:31]
	v_mul_f64_e32 v[30:31], 0.5, v[30:31]
	s_delay_alu instid0(VALU_DEP_1) | instskip(NEXT) | instid1(VALU_DEP_1)
	v_fma_f64 v[44:45], -v[30:31], v[32:33], 0.5
	v_fmac_f64_e32 v[32:33], v[32:33], v[44:45]
	v_fmac_f64_e32 v[30:31], v[30:31], v[44:45]
	s_delay_alu instid0(VALU_DEP_2) | instskip(NEXT) | instid1(VALU_DEP_1)
	v_fma_f64 v[44:45], -v[32:33], v[32:33], v[28:29]
	v_fmac_f64_e32 v[32:33], v[44:45], v[30:31]
	s_delay_alu instid0(VALU_DEP_1) | instskip(NEXT) | instid1(VALU_DEP_1)
	v_dual_cndmask_b32 v29, v33, v29 :: v_dual_cndmask_b32 v28, v32, v28
	v_ldexp_f64 v[28:29], v[28:29], v8
	s_delay_alu instid0(VALU_DEP_1) | instskip(NEXT) | instid1(VALU_DEP_2)
	v_cndmask_b32_e64 v31, v29, 0x7ff00000, s1
	v_cndmask_b32_e64 v30, v28, 0, s1
	s_delay_alu instid0(VALU_DEP_1) | instskip(SKIP_1) | instid1(VALU_DEP_2)
	v_frexp_mant_f64_e32 v[28:29], v[30:31]
	v_cmp_class_f64_e64 s1, v[30:31], 0x204
	v_cmp_gt_f64_e32 vcc_lo, s[20:21], v[28:29]
	v_cndmask_b32_e64 v8, 0, 1, vcc_lo
	s_delay_alu instid0(VALU_DEP_1) | instskip(SKIP_1) | instid1(VALU_DEP_2)
	v_ldexp_f64 v[28:29], v[28:29], v8
	v_frexp_exp_i32_f64_e32 v8, v[30:31]
	v_add_f64_e32 v[32:33], 1.0, v[28:29]
	v_add_f64_e32 v[48:49], -1.0, v[28:29]
	s_delay_alu instid0(VALU_DEP_3) | instskip(SKIP_1) | instid1(VALU_DEP_4)
	v_subrev_co_ci_u32_e64 v8, null, 0, v8, vcc_lo
	v_div_scale_f64 v[56:57], vcc_lo, v[6:7], v[26:27], v[6:7]
	v_rcp_f64_e32 v[44:45], v[32:33]
	v_add_f64_e32 v[50:51], -1.0, v[32:33]
	s_delay_alu instid0(VALU_DEP_1) | instskip(NEXT) | instid1(TRANS32_DEP_1)
	v_add_f64_e64 v[28:29], v[28:29], -v[50:51]
	v_fma_f64 v[46:47], -v[32:33], v[44:45], 1.0
	s_delay_alu instid0(VALU_DEP_1) | instskip(NEXT) | instid1(VALU_DEP_1)
	v_fmac_f64_e32 v[44:45], v[46:47], v[44:45]
	v_fma_f64 v[46:47], -v[32:33], v[44:45], 1.0
	s_delay_alu instid0(VALU_DEP_1) | instskip(NEXT) | instid1(VALU_DEP_1)
	v_fmac_f64_e32 v[44:45], v[46:47], v[44:45]
	v_mul_f64_e32 v[46:47], v[48:49], v[44:45]
	s_delay_alu instid0(VALU_DEP_1) | instskip(NEXT) | instid1(VALU_DEP_1)
	v_mul_f64_e32 v[52:53], v[32:33], v[46:47]
	v_fma_f64 v[32:33], v[46:47], v[32:33], -v[52:53]
	s_delay_alu instid0(VALU_DEP_1) | instskip(NEXT) | instid1(VALU_DEP_1)
	v_fmac_f64_e32 v[32:33], v[46:47], v[28:29]
	v_add_f64_e32 v[28:29], v[52:53], v[32:33]
	s_delay_alu instid0(VALU_DEP_1) | instskip(SKIP_1) | instid1(VALU_DEP_2)
	v_add_f64_e64 v[50:51], v[48:49], -v[28:29]
	v_add_f64_e64 v[52:53], v[28:29], -v[52:53]
	;; [unrolled: 1-line block ×3, first 2 shown]
	s_delay_alu instid0(VALU_DEP_2) | instskip(NEXT) | instid1(VALU_DEP_2)
	v_add_f64_e64 v[32:33], v[52:53], -v[32:33]
	v_add_f64_e64 v[28:29], v[48:49], -v[28:29]
	s_delay_alu instid0(VALU_DEP_1) | instskip(NEXT) | instid1(VALU_DEP_1)
	v_add_f64_e32 v[28:29], v[32:33], v[28:29]
	v_add_f64_e32 v[28:29], v[50:51], v[28:29]
	s_delay_alu instid0(VALU_DEP_1) | instskip(SKIP_1) | instid1(VALU_DEP_2)
	v_mul_f64_e32 v[14:15], v[44:45], v[28:29]
	v_div_scale_f64 v[28:29], null, v[26:27], v[26:27], v[6:7]
	v_add_f64_e32 v[32:33], v[46:47], v[14:15]
	s_delay_alu instid0(VALU_DEP_2) | instskip(NEXT) | instid1(VALU_DEP_1)
	v_rcp_f64_e32 v[44:45], v[28:29]
	v_mul_f64_e32 v[48:49], v[32:33], v[32:33]
	s_delay_alu instid0(TRANS32_DEP_1) | instskip(NEXT) | instid1(VALU_DEP_2)
	v_fma_f64 v[52:53], -v[28:29], v[44:45], 1.0
	v_fmamk_f64 v[50:51], v[48:49], 0x3fc3ab76bf559e2b, v[38:39]
	v_mul_f64_e32 v[54:55], v[32:33], v[48:49]
	s_delay_alu instid0(VALU_DEP_3) | instskip(NEXT) | instid1(VALU_DEP_3)
	v_fmac_f64_e32 v[44:45], v[44:45], v[52:53]
	v_fmaak_f64 v[50:51], v[48:49], v[50:51], 0x3fc7474dd7f4df2e
	s_delay_alu instid0(VALU_DEP_1) | instskip(NEXT) | instid1(VALU_DEP_1)
	v_fmaak_f64 v[50:51], v[48:49], v[50:51], 0x3fcc71c016291751
	v_fmaak_f64 v[50:51], v[48:49], v[50:51], 0x3fd249249b27acf1
	s_delay_alu instid0(VALU_DEP_1) | instskip(NEXT) | instid1(VALU_DEP_1)
	v_fmaak_f64 v[50:51], v[48:49], v[50:51], 0x3fd99999998ef7b6
	v_fmaak_f64 v[48:49], v[48:49], v[50:51], 0x3fe5555555555780
	v_ldexp_f64 v[50:51], v[32:33], 1
	v_add_f64_e64 v[32:33], v[32:33], -v[46:47]
	v_fma_f64 v[52:53], -v[28:29], v[44:45], 1.0
	s_delay_alu instid0(VALU_DEP_4) | instskip(SKIP_1) | instid1(VALU_DEP_4)
	v_mul_f64_e32 v[48:49], v[54:55], v[48:49]
	v_cvt_f64_i32_e32 v[54:55], v8
	v_dual_add_f64 v[14:15], v[14:15], -v[32:33] :: v_dual_ashrrev_i32 v8, 31, v11
	s_delay_alu instid0(VALU_DEP_4) | instskip(NEXT) | instid1(VALU_DEP_4)
	v_fmac_f64_e32 v[44:45], v[44:45], v[52:53]
	v_add_f64_e32 v[46:47], v[50:51], v[48:49]
	s_delay_alu instid0(VALU_DEP_4) | instskip(NEXT) | instid1(VALU_DEP_4)
	v_mul_f64_e32 v[52:53], 0x3fe62e42fefa39ef, v[54:55]
	v_ldexp_f64 v[14:15], v[14:15], 1
	s_delay_alu instid0(VALU_DEP_3) | instskip(SKIP_1) | instid1(VALU_DEP_4)
	v_add_f64_e64 v[32:33], v[46:47], -v[50:51]
	v_mul_f64_e32 v[50:51], v[56:57], v[44:45]
	v_fma_f64 v[58:59], v[54:55], s[22:23], -v[52:53]
	s_delay_alu instid0(VALU_DEP_3) | instskip(NEXT) | instid1(VALU_DEP_3)
	v_add_f64_e64 v[32:33], v[48:49], -v[32:33]
	v_fma_f64 v[28:29], -v[28:29], v[50:51], v[56:57]
	s_delay_alu instid0(VALU_DEP_3) | instskip(NEXT) | instid1(VALU_DEP_3)
	v_fmac_f64_e32 v[58:59], 0x3c7abc9e3b39803f, v[54:55]
	v_add_f64_e32 v[14:15], v[14:15], v[32:33]
	s_delay_alu instid0(VALU_DEP_3) | instskip(NEXT) | instid1(VALU_DEP_3)
	v_div_fmas_f64 v[28:29], v[28:29], v[44:45], v[50:51]
	v_add_f64_e32 v[32:33], v[52:53], v[58:59]
	v_cmp_gt_i32_e32 vcc_lo, 0, v11
	v_cndmask_b32_e32 v16, 0x54442d18, v60, vcc_lo
	v_add_f64_e32 v[44:45], v[46:47], v[14:15]
	v_div_fixup_f64 v[6:7], v[28:29], v[26:27], v[6:7]
	v_add_f64_e64 v[52:53], v[32:33], -v[52:53]
	s_delay_alu instid0(VALU_DEP_3) | instskip(NEXT) | instid1(VALU_DEP_3)
	v_add_f64_e32 v[26:27], v[32:33], v[44:45]
	v_mul_f64_e32 v[28:29], v[6:7], v[6:7]
	v_add_f64_e64 v[46:47], v[44:45], -v[46:47]
	s_delay_alu instid0(VALU_DEP_4) | instskip(NEXT) | instid1(VALU_DEP_4)
	v_add_f64_e64 v[52:53], v[58:59], -v[52:53]
	v_add_f64_e64 v[48:49], v[26:27], -v[32:33]
	s_delay_alu instid0(VALU_DEP_4) | instskip(NEXT) | instid1(VALU_DEP_4)
	v_fmamk_f64 v[50:51], v[28:29], 0x3eeba404b5e68a13, v[40:41]
	v_add_f64_e64 v[14:15], v[14:15], -v[46:47]
	s_delay_alu instid0(VALU_DEP_2) | instskip(NEXT) | instid1(VALU_DEP_1)
	v_fmaak_f64 v[50:51], v[28:29], v[50:51], 0x3f4b2bb069efb384
	v_fmaak_f64 v[50:51], v[28:29], v[50:51], 0xbf67952daf56de9b
	s_delay_alu instid0(VALU_DEP_1) | instskip(NEXT) | instid1(VALU_DEP_1)
	v_fmaak_f64 v[50:51], v[28:29], v[50:51], 0x3f7d6d43a595c56f
	v_fmaak_f64 v[50:51], v[28:29], v[50:51], 0xbf8c6ea4a57d9582
	v_add_f64_e64 v[54:55], v[26:27], -v[48:49]
	v_add_f64_e64 v[44:45], v[44:45], -v[48:49]
	v_add_f64_e32 v[48:49], v[52:53], v[14:15]
	s_delay_alu instid0(VALU_DEP_4) | instskip(NEXT) | instid1(VALU_DEP_1)
	v_fmaak_f64 v[50:51], v[28:29], v[50:51], 0x3f967e295f08b19f
	v_fmaak_f64 v[46:47], v[28:29], v[50:51], 0xbf9e9ae6fc27006a
	s_delay_alu instid0(VALU_DEP_1) | instskip(NEXT) | instid1(VALU_DEP_1)
	v_fmaak_f64 v[46:47], v[28:29], v[46:47], 0x3fa2c15b5711927a
	v_fmaak_f64 v[46:47], v[28:29], v[46:47], 0xbfa59976e82d3ff0
	s_delay_alu instid0(VALU_DEP_1) | instskip(SKIP_1) | instid1(VALU_DEP_2)
	v_fmaak_f64 v[46:47], v[28:29], v[46:47], 0x3fa82d5d6ef28734
	v_add_f64_e64 v[32:33], v[32:33], -v[54:55]
	v_fmaak_f64 v[46:47], v[28:29], v[46:47], 0xbfaae5ce6a214619
	s_delay_alu instid0(VALU_DEP_2) | instskip(NEXT) | instid1(VALU_DEP_2)
	v_add_f64_e32 v[32:33], v[44:45], v[32:33]
	v_fmaak_f64 v[44:45], v[28:29], v[46:47], 0x3fae1bb48427b883
	v_add_f64_e64 v[46:47], v[48:49], -v[52:53]
	s_delay_alu instid0(VALU_DEP_2) | instskip(NEXT) | instid1(VALU_DEP_1)
	v_fmaak_f64 v[44:45], v[28:29], v[44:45], 0xbfb110e48b207f05
	v_fmaak_f64 v[44:45], v[28:29], v[44:45], 0x3fb3b13657b87036
	s_delay_alu instid0(VALU_DEP_1) | instskip(NEXT) | instid1(VALU_DEP_1)
	v_fmaak_f64 v[44:45], v[28:29], v[44:45], 0xbfb745d119378e4f
	v_fmaak_f64 v[44:45], v[28:29], v[44:45], 0x3fbc71c717e1913c
	v_add_f64_e32 v[32:33], v[48:49], v[32:33]
	v_add_f64_e64 v[14:15], v[14:15], -v[46:47]
	s_delay_alu instid0(VALU_DEP_3) | instskip(NEXT) | instid1(VALU_DEP_1)
	v_fmaak_f64 v[44:45], v[28:29], v[44:45], 0xbfc2492492376b7d
	v_fmaak_f64 v[44:45], v[28:29], v[44:45], 0x3fc99999999952cc
	s_delay_alu instid0(VALU_DEP_1) | instskip(NEXT) | instid1(VALU_DEP_1)
	v_fmaak_f64 v[44:45], v[28:29], v[44:45], 0xbfd5555555555523
	v_mul_f64_e32 v[28:29], v[28:29], v[44:45]
	v_add_f64_e64 v[44:45], v[48:49], -v[46:47]
	v_add_f64_e32 v[48:49], v[26:27], v[32:33]
	s_delay_alu instid0(VALU_DEP_3) | instskip(NEXT) | instid1(VALU_DEP_3)
	v_fmac_f64_e32 v[6:7], v[6:7], v[28:29]
	v_add_f64_e64 v[28:29], v[52:53], -v[44:45]
	s_delay_alu instid0(VALU_DEP_3) | instskip(NEXT) | instid1(VALU_DEP_3)
	v_add_f64_e64 v[26:27], v[48:49], -v[26:27]
	v_add_f64_e64 v[44:45], -v[6:7], s[24:25]
	s_delay_alu instid0(VALU_DEP_3) | instskip(SKIP_2) | instid1(VALU_DEP_4)
	v_add_f64_e32 v[14:15], v[14:15], v[28:29]
	v_and_b32_e32 v28, 0x54442d18, v8
	v_and_b32_e32 v8, 0x400921fb, v8
	v_dual_add_f64 v[26:27], v[32:33], -v[26:27] :: v_dual_cndmask_b32 v7, v7, v45, s0
	v_cndmask_b32_e64 v6, v6, v44, s0
	s_delay_alu instid0(VALU_DEP_2) | instskip(NEXT) | instid1(VALU_DEP_2)
	v_add_f64_e32 v[14:15], v[14:15], v[26:27]
	v_add_f64_e64 v[26:27], -v[6:7], s[26:27]
	s_delay_alu instid0(VALU_DEP_2) | instskip(NEXT) | instid1(VALU_DEP_2)
	v_add_f64_e32 v[10:11], v[48:49], v[14:15]
	v_cndmask_b32_e32 v6, v6, v26, vcc_lo
	v_cndmask_b32_e32 v14, 0x3fe921fb, v61, vcc_lo
	s_delay_alu instid0(VALU_DEP_4) | instskip(SKIP_1) | instid1(VALU_DEP_4)
	v_cndmask_b32_e32 v7, v7, v27, vcc_lo
	v_cmp_ngt_f64_e32 vcc_lo, 0, v[30:31]
	v_cndmask_b32_e64 v6, v6, v28, s2
	s_delay_alu instid0(VALU_DEP_4) | instskip(NEXT) | instid1(VALU_DEP_4)
	v_bfi_b32 v14, 0x7fffffff, v14, v13
	v_dual_cndmask_b32 v7, v7, v8, s2 :: v_dual_cndmask_b32 v10, v10, v30, s1
	v_cndmask_b32_e64 v11, v11, v31, s1
	v_cmp_nge_f64_e64 s1, 0, v[30:31]
	s_delay_alu instid0(VALU_DEP_2) | instskip(SKIP_4) | instid1(VALU_DEP_1)
	v_cndmask_b32_e32 v8, 0x7ff80000, v11, vcc_lo
	s_and_b32 vcc_lo, s4, s5
	v_dual_cndmask_b32 v29, v7, v14 :: v_dual_cndmask_b32 v28, v6, v16
	v_cndmask_b32_e64 v26, 0, v10, s1
	v_cmp_neq_f64_e64 s1, 0, v[30:31]
	v_cndmask_b32_e64 v27, 0xfff00000, v8, s1
.LBB173_247:                            ;   in Loop: Header=BB173_162 Depth=1
	s_or_b32 exec_lo, exec_lo, s3
                                        ; implicit-def: $vgpr14_vgpr15
.LBB173_248:                            ;   in Loop: Header=BB173_162 Depth=1
	s_and_not1_saveexec_b32 s3, s39
	s_cbranch_execz .LBB173_254
; %bb.249:                              ;   in Loop: Header=BB173_162 Depth=1
                                        ; implicit-def: $vgpr26_vgpr27
	s_mov_b32 s1, exec_lo
	v_cmpx_ngt_f64_e32 s[30:31], v[14:15]
	s_xor_b32 s4, exec_lo, s1
	s_cbranch_execz .LBB173_251
; %bb.250:                              ;   in Loop: Header=BB173_162 Depth=1
	v_mul_f64_e32 v[6:7], v[14:15], v[14:15]
	v_cmp_eq_f64_e64 s1, 0, v[12:13]
	v_cmp_class_f64_e64 s5, v[12:13], 0x204
	v_cmp_class_f64_e64 s6, v[10:11], 0x204
	s_delay_alu instid0(VALU_DEP_4) | instskip(NEXT) | instid1(VALU_DEP_1)
	v_add_f64_e32 v[14:15], 1.0, v[6:7]
	v_frexp_mant_f64_e32 v[26:27], v[14:15]
	v_frexp_exp_i32_f64_e32 v8, v[14:15]
	v_add_f64_e32 v[28:29], -1.0, v[14:15]
	s_delay_alu instid0(VALU_DEP_3) | instskip(NEXT) | instid1(VALU_DEP_2)
	v_cmp_gt_f64_e32 vcc_lo, s[20:21], v[26:27]
	v_add_f64_e64 v[26:27], v[28:29], -v[14:15]
	s_delay_alu instid0(VALU_DEP_4) | instskip(NEXT) | instid1(VALU_DEP_1)
	v_subrev_co_ci_u32_e64 v8, null, 0, v8, vcc_lo
	v_dual_add_f64 v[26:27], 1.0, v[26:27] :: v_dual_sub_nc_u32 v16, 0, v8
	v_add_f64_e64 v[28:29], v[6:7], -v[28:29]
	v_cmp_neq_f64_e64 s2, 0x7ff00000, v[6:7]
	s_delay_alu instid0(VALU_DEP_3) | instskip(NEXT) | instid1(VALU_DEP_3)
	v_ldexp_f64 v[14:15], v[14:15], v16
	v_add_f64_e32 v[26:27], v[28:29], v[26:27]
	s_delay_alu instid0(VALU_DEP_2) | instskip(SKIP_1) | instid1(VALU_DEP_3)
	v_add_f64_e32 v[30:31], 1.0, v[14:15]
	v_add_f64_e32 v[46:47], -1.0, v[14:15]
	v_ldexp_f64 v[26:27], v[26:27], v16
	s_delay_alu instid0(VALU_DEP_3) | instskip(NEXT) | instid1(VALU_DEP_3)
	v_add_f64_e32 v[28:29], -1.0, v[30:31]
	v_add_f64_e32 v[48:49], 1.0, v[46:47]
	s_delay_alu instid0(VALU_DEP_2) | instskip(NEXT) | instid1(VALU_DEP_2)
	v_add_f64_e64 v[28:29], v[14:15], -v[28:29]
	v_add_f64_e64 v[14:15], v[14:15], -v[48:49]
	s_delay_alu instid0(VALU_DEP_2) | instskip(NEXT) | instid1(VALU_DEP_2)
	v_add_f64_e32 v[28:29], v[26:27], v[28:29]
	v_add_f64_e32 v[14:15], v[26:27], v[14:15]
	s_delay_alu instid0(VALU_DEP_2) | instskip(NEXT) | instid1(VALU_DEP_2)
	v_add_f64_e32 v[32:33], v[30:31], v[28:29]
	v_add_f64_e32 v[48:49], v[46:47], v[14:15]
	s_delay_alu instid0(VALU_DEP_2) | instskip(SKIP_1) | instid1(VALU_DEP_2)
	v_rcp_f64_e32 v[44:45], v[32:33]
	v_add_f64_e64 v[30:31], v[30:31], -v[32:33]
	v_add_f64_e64 v[46:47], v[46:47], -v[48:49]
	s_delay_alu instid0(VALU_DEP_2) | instskip(NEXT) | instid1(VALU_DEP_2)
	v_add_f64_e32 v[28:29], v[28:29], v[30:31]
	v_add_f64_e32 v[14:15], v[14:15], v[46:47]
	s_delay_alu instid0(TRANS32_DEP_1) | instskip(NEXT) | instid1(VALU_DEP_1)
	v_fma_f64 v[50:51], -v[32:33], v[44:45], 1.0
	v_fmac_f64_e32 v[44:45], v[50:51], v[44:45]
	s_delay_alu instid0(VALU_DEP_1) | instskip(NEXT) | instid1(VALU_DEP_1)
	v_fma_f64 v[26:27], -v[32:33], v[44:45], 1.0
	v_fmac_f64_e32 v[44:45], v[26:27], v[44:45]
	s_delay_alu instid0(VALU_DEP_1) | instskip(NEXT) | instid1(VALU_DEP_1)
	v_mul_f64_e32 v[26:27], v[48:49], v[44:45]
	v_mul_f64_e32 v[50:51], v[32:33], v[26:27]
	s_delay_alu instid0(VALU_DEP_1) | instskip(NEXT) | instid1(VALU_DEP_1)
	v_fma_f64 v[30:31], v[26:27], v[32:33], -v[50:51]
	v_fmac_f64_e32 v[30:31], v[26:27], v[28:29]
	s_delay_alu instid0(VALU_DEP_1) | instskip(NEXT) | instid1(VALU_DEP_1)
	v_add_f64_e32 v[52:53], v[50:51], v[30:31]
	v_add_f64_e64 v[54:55], v[48:49], -v[52:53]
	v_add_f64_e64 v[46:47], v[52:53], -v[50:51]
	s_delay_alu instid0(VALU_DEP_2) | instskip(NEXT) | instid1(VALU_DEP_2)
	v_add_f64_e64 v[48:49], v[48:49], -v[54:55]
	v_add_f64_e64 v[30:31], v[46:47], -v[30:31]
	s_delay_alu instid0(VALU_DEP_2) | instskip(NEXT) | instid1(VALU_DEP_1)
	v_add_f64_e64 v[48:49], v[48:49], -v[52:53]
	v_add_f64_e32 v[14:15], v[14:15], v[48:49]
	s_delay_alu instid0(VALU_DEP_1) | instskip(NEXT) | instid1(VALU_DEP_1)
	v_add_f64_e32 v[14:15], v[30:31], v[14:15]
	v_add_f64_e32 v[30:31], v[54:55], v[14:15]
	s_delay_alu instid0(VALU_DEP_1) | instskip(SKIP_1) | instid1(VALU_DEP_2)
	v_mul_f64_e32 v[46:47], v[44:45], v[30:31]
	v_add_f64_e64 v[52:53], v[54:55], -v[30:31]
	v_mul_f64_e32 v[48:49], v[32:33], v[46:47]
	s_delay_alu instid0(VALU_DEP_2) | instskip(NEXT) | instid1(VALU_DEP_2)
	v_add_f64_e32 v[14:15], v[14:15], v[52:53]
	v_fma_f64 v[32:33], v[46:47], v[32:33], -v[48:49]
	s_delay_alu instid0(VALU_DEP_1) | instskip(NEXT) | instid1(VALU_DEP_1)
	v_fmac_f64_e32 v[32:33], v[46:47], v[28:29]
	v_add_f64_e32 v[28:29], v[48:49], v[32:33]
	s_delay_alu instid0(VALU_DEP_1) | instskip(SKIP_1) | instid1(VALU_DEP_2)
	v_add_f64_e64 v[50:51], v[30:31], -v[28:29]
	v_add_f64_e64 v[48:49], v[28:29], -v[48:49]
	;; [unrolled: 1-line block ×3, first 2 shown]
	s_delay_alu instid0(VALU_DEP_1) | instskip(NEXT) | instid1(VALU_DEP_3)
	v_add_f64_e64 v[28:29], v[30:31], -v[28:29]
	v_add_f64_e64 v[30:31], v[48:49], -v[32:33]
	v_max_num_f64_e64 v[32:33], |v[10:11]|, |v[10:11]|
	s_delay_alu instid0(VALU_DEP_3) | instskip(SKIP_1) | instid1(VALU_DEP_2)
	v_add_f64_e32 v[14:15], v[14:15], v[28:29]
	v_add_f64_e32 v[28:29], v[26:27], v[46:47]
	;; [unrolled: 1-line block ×3, first 2 shown]
	s_delay_alu instid0(VALU_DEP_2) | instskip(SKIP_1) | instid1(VALU_DEP_3)
	v_add_f64_e64 v[26:27], v[28:29], -v[26:27]
	v_max_num_f64_e64 v[30:31], |v[12:13]|, |v[12:13]|
	v_add_f64_e32 v[14:15], v[50:51], v[14:15]
	s_delay_alu instid0(VALU_DEP_3) | instskip(NEXT) | instid1(VALU_DEP_2)
	v_add_f64_e64 v[26:27], v[46:47], -v[26:27]
	v_mul_f64_e32 v[14:15], v[44:45], v[14:15]
	s_delay_alu instid0(VALU_DEP_1) | instskip(SKIP_2) | instid1(VALU_DEP_3)
	v_add_f64_e32 v[14:15], v[26:27], v[14:15]
	v_max_num_f64_e32 v[26:27], v[32:33], v[30:31]
	v_min_num_f64_e32 v[30:31], v[32:33], v[30:31]
	v_add_f64_e32 v[32:33], v[28:29], v[14:15]
	s_delay_alu instid0(VALU_DEP_2) | instskip(NEXT) | instid1(VALU_DEP_2)
	v_div_scale_f64 v[44:45], null, v[26:27], v[26:27], v[30:31]
	v_mul_f64_e32 v[46:47], v[32:33], v[32:33]
	v_add_f64_e64 v[28:29], v[32:33], -v[28:29]
	s_delay_alu instid0(VALU_DEP_3) | instskip(NEXT) | instid1(VALU_DEP_2)
	v_rcp_f64_e32 v[48:49], v[44:45]
	v_fmamk_f64 v[50:51], v[46:47], 0x3fc3ab76bf559e2b, v[38:39]
	v_mul_f64_e32 v[52:53], v[32:33], v[46:47]
	s_delay_alu instid0(VALU_DEP_3) | instskip(NEXT) | instid1(VALU_DEP_3)
	v_add_f64_e64 v[14:15], v[14:15], -v[28:29]
	v_fmaak_f64 v[50:51], v[46:47], v[50:51], 0x3fc7474dd7f4df2e
	s_delay_alu instid0(TRANS32_DEP_1) | instskip(NEXT) | instid1(VALU_DEP_2)
	v_fma_f64 v[54:55], -v[44:45], v[48:49], 1.0
	v_fmaak_f64 v[50:51], v[46:47], v[50:51], 0x3fcc71c016291751
	s_delay_alu instid0(VALU_DEP_1) | instskip(NEXT) | instid1(VALU_DEP_1)
	v_fmaak_f64 v[50:51], v[46:47], v[50:51], 0x3fd249249b27acf1
	v_fmaak_f64 v[50:51], v[46:47], v[50:51], 0x3fd99999998ef7b6
	v_ldexp_f64 v[14:15], v[14:15], 1
	s_delay_alu instid0(VALU_DEP_2) | instskip(SKIP_2) | instid1(VALU_DEP_3)
	v_fmaak_f64 v[46:47], v[46:47], v[50:51], 0x3fe5555555555780
	v_ldexp_f64 v[50:51], v[32:33], 1
	v_fmac_f64_e32 v[48:49], v[48:49], v[54:55]
	v_mul_f64_e32 v[46:47], v[52:53], v[46:47]
	v_cvt_f64_i32_e32 v[52:53], v8
	v_ashrrev_i32_e32 v8, 31, v11
	s_delay_alu instid0(VALU_DEP_1) | instskip(SKIP_3) | instid1(VALU_DEP_3)
	v_and_b32_e32 v7, 0x400921fb, v8
	v_fma_f64 v[54:55], -v[44:45], v[48:49], 1.0
	v_add_f64_e32 v[32:33], v[50:51], v[46:47]
	v_mul_f64_e32 v[56:57], 0x3fe62e42fefa39ef, v[52:53]
	v_fmac_f64_e32 v[48:49], v[48:49], v[54:55]
	s_delay_alu instid0(VALU_DEP_3) | instskip(SKIP_1) | instid1(VALU_DEP_4)
	v_add_f64_e64 v[28:29], v[32:33], -v[50:51]
	v_div_scale_f64 v[50:51], vcc_lo, v[30:31], v[26:27], v[30:31]
	v_fma_f64 v[54:55], v[52:53], s[22:23], -v[56:57]
	s_delay_alu instid0(VALU_DEP_3) | instskip(NEXT) | instid1(VALU_DEP_3)
	v_add_f64_e64 v[28:29], v[46:47], -v[28:29]
	v_mul_f64_e32 v[46:47], v[50:51], v[48:49]
	s_delay_alu instid0(VALU_DEP_3) | instskip(NEXT) | instid1(VALU_DEP_3)
	v_fmac_f64_e32 v[54:55], 0x3c7abc9e3b39803f, v[52:53]
	v_add_f64_e32 v[14:15], v[14:15], v[28:29]
	s_delay_alu instid0(VALU_DEP_3) | instskip(NEXT) | instid1(VALU_DEP_3)
	v_fma_f64 v[28:29], -v[44:45], v[46:47], v[50:51]
	v_add_f64_e32 v[44:45], v[56:57], v[54:55]
	s_delay_alu instid0(VALU_DEP_3) | instskip(NEXT) | instid1(VALU_DEP_3)
	v_add_f64_e32 v[50:51], v[32:33], v[14:15]
	v_div_fmas_f64 v[28:29], v[28:29], v[48:49], v[46:47]
	v_cmp_gt_i32_e32 vcc_lo, 0, v11
	s_delay_alu instid0(VALU_DEP_4) | instskip(SKIP_2) | instid1(VALU_DEP_2)
	v_add_f64_e64 v[48:49], v[44:45], -v[56:57]
	v_cndmask_b32_e32 v6, 0x3fe921fb, v61, vcc_lo
	v_cndmask_b32_e32 v16, 0x54442d18, v60, vcc_lo
	v_bfi_b32 v6, 0x7fffffff, v6, v13
	v_add_f64_e32 v[46:47], v[44:45], v[50:51]
	v_div_fixup_f64 v[26:27], v[28:29], v[26:27], v[30:31]
	v_add_f64_e64 v[32:33], v[50:51], -v[32:33]
	v_add_f64_e64 v[48:49], v[54:55], -v[48:49]
	s_delay_alu instid0(VALU_DEP_4) | instskip(NEXT) | instid1(VALU_DEP_4)
	v_add_f64_e64 v[28:29], v[46:47], -v[44:45]
	v_mul_f64_e32 v[30:31], v[26:27], v[26:27]
	s_delay_alu instid0(VALU_DEP_4) | instskip(NEXT) | instid1(VALU_DEP_3)
	v_add_f64_e64 v[14:15], v[14:15], -v[32:33]
	v_add_f64_e64 v[52:53], v[46:47], -v[28:29]
	s_delay_alu instid0(VALU_DEP_3) | instskip(SKIP_1) | instid1(VALU_DEP_4)
	v_fmamk_f64 v[56:57], v[30:31], 0x3eeba404b5e68a13, v[40:41]
	v_add_f64_e64 v[28:29], v[50:51], -v[28:29]
	v_add_f64_e32 v[50:51], v[48:49], v[14:15]
	s_delay_alu instid0(VALU_DEP_3) | instskip(NEXT) | instid1(VALU_DEP_1)
	v_fmaak_f64 v[56:57], v[30:31], v[56:57], 0x3f4b2bb069efb384
	v_fmaak_f64 v[56:57], v[30:31], v[56:57], 0xbf67952daf56de9b
	v_add_f64_e64 v[32:33], v[44:45], -v[52:53]
	s_delay_alu instid0(VALU_DEP_2) | instskip(NEXT) | instid1(VALU_DEP_1)
	v_fmaak_f64 v[44:45], v[30:31], v[56:57], 0x3f7d6d43a595c56f
	v_fmaak_f64 v[44:45], v[30:31], v[44:45], 0xbf8c6ea4a57d9582
	s_delay_alu instid0(VALU_DEP_1) | instskip(NEXT) | instid1(VALU_DEP_1)
	v_fmaak_f64 v[44:45], v[30:31], v[44:45], 0x3f967e295f08b19f
	v_fmaak_f64 v[44:45], v[30:31], v[44:45], 0xbf9e9ae6fc27006a
	s_delay_alu instid0(VALU_DEP_1) | instskip(SKIP_1) | instid1(VALU_DEP_2)
	v_fmaak_f64 v[44:45], v[30:31], v[44:45], 0x3fa2c15b5711927a
	v_add_f64_e32 v[28:29], v[28:29], v[32:33]
	v_fmaak_f64 v[32:33], v[30:31], v[44:45], 0xbfa59976e82d3ff0
	v_add_f64_e64 v[44:45], v[50:51], -v[48:49]
	s_delay_alu instid0(VALU_DEP_2) | instskip(NEXT) | instid1(VALU_DEP_1)
	v_fmaak_f64 v[32:33], v[30:31], v[32:33], 0x3fa82d5d6ef28734
	v_fmaak_f64 v[32:33], v[30:31], v[32:33], 0xbfaae5ce6a214619
	s_delay_alu instid0(VALU_DEP_1) | instskip(NEXT) | instid1(VALU_DEP_1)
	v_fmaak_f64 v[32:33], v[30:31], v[32:33], 0x3fae1bb48427b883
	v_fmaak_f64 v[32:33], v[30:31], v[32:33], 0xbfb110e48b207f05
	v_add_f64_e32 v[28:29], v[50:51], v[28:29]
	v_add_f64_e64 v[50:51], v[50:51], -v[44:45]
	v_add_f64_e64 v[14:15], v[14:15], -v[44:45]
	s_delay_alu instid0(VALU_DEP_4) | instskip(NEXT) | instid1(VALU_DEP_1)
	v_fmaak_f64 v[32:33], v[30:31], v[32:33], 0x3fb3b13657b87036
	v_fmaak_f64 v[32:33], v[30:31], v[32:33], 0xbfb745d119378e4f
	s_delay_alu instid0(VALU_DEP_1) | instskip(NEXT) | instid1(VALU_DEP_1)
	v_fmaak_f64 v[32:33], v[30:31], v[32:33], 0x3fbc71c717e1913c
	v_fmaak_f64 v[32:33], v[30:31], v[32:33], 0xbfc2492492376b7d
	v_add_f64_e32 v[52:53], v[46:47], v[28:29]
	s_delay_alu instid0(VALU_DEP_2) | instskip(NEXT) | instid1(VALU_DEP_1)
	v_fmaak_f64 v[32:33], v[30:31], v[32:33], 0x3fc99999999952cc
	v_fmaak_f64 v[32:33], v[30:31], v[32:33], 0xbfd5555555555523
	s_delay_alu instid0(VALU_DEP_1) | instskip(SKIP_2) | instid1(VALU_DEP_3)
	v_mul_f64_e32 v[30:31], v[30:31], v[32:33]
	v_add_f64_e64 v[32:33], v[48:49], -v[50:51]
	v_add_f64_e64 v[44:45], v[52:53], -v[46:47]
	v_fmac_f64_e32 v[26:27], v[26:27], v[30:31]
	s_delay_alu instid0(VALU_DEP_3) | instskip(NEXT) | instid1(VALU_DEP_3)
	v_add_f64_e32 v[14:15], v[14:15], v[32:33]
	v_add_f64_e64 v[28:29], v[28:29], -v[44:45]
	s_delay_alu instid0(VALU_DEP_3) | instskip(NEXT) | instid1(VALU_DEP_2)
	v_add_f64_e64 v[30:31], -v[26:27], s[24:25]
	v_add_f64_e32 v[14:15], v[14:15], v[28:29]
	s_delay_alu instid0(VALU_DEP_2) | instskip(SKIP_1) | instid1(VALU_DEP_2)
	v_dual_cndmask_b32 v27, v27, v31, s0 :: v_dual_cndmask_b32 v26, v26, v30, s0
	v_and_b32_e32 v30, 0x54442d18, v8
	v_add_f64_e64 v[28:29], -v[26:27], s[26:27]
	s_delay_alu instid0(VALU_DEP_1) | instskip(NEXT) | instid1(VALU_DEP_2)
	v_dual_add_f64 v[14:15], v[52:53], v[14:15] :: v_dual_cndmask_b32 v26, v26, v28, vcc_lo
	v_cndmask_b32_e32 v8, v27, v29, vcc_lo
	s_and_b32 vcc_lo, s6, s5
	s_delay_alu instid0(VALU_DEP_1) | instskip(NEXT) | instid1(VALU_DEP_3)
	v_cndmask_b32_e64 v7, v8, v7, s1
	v_mul_f64_e32 v[10:11], 0.5, v[14:15]
	v_cndmask_b32_e64 v14, v26, v30, s1
	s_delay_alu instid0(VALU_DEP_1) | instskip(NEXT) | instid1(VALU_DEP_3)
	v_dual_cndmask_b32 v29, v7, v6 :: v_dual_cndmask_b32 v28, v14, v16
                                        ; implicit-def: $vgpr14_vgpr15
	v_cndmask_b32_e64 v27, 0x7ff00000, v11, s2
	s_delay_alu instid0(VALU_DEP_4)
	v_cndmask_b32_e64 v26, 0, v10, s2
.LBB173_251:                            ;   in Loop: Header=BB173_162 Depth=1
	s_and_not1_saveexec_b32 s2, s4
	s_cbranch_execz .LBB173_253
; %bb.252:                              ;   in Loop: Header=BB173_162 Depth=1
	v_max_num_f64_e64 v[6:7], |v[12:13]|, |v[12:13]|
	v_max_num_f64_e64 v[26:27], |v[10:11]|, |v[10:11]|
	v_cmp_eq_f64_e64 s1, 0, v[12:13]
	v_cmp_class_f64_e64 s4, v[12:13], 0x204
	v_cmp_class_f64_e64 s5, v[10:11], 0x204
	v_ashrrev_i32_e32 v8, 31, v11
	v_max_num_f64_e32 v[28:29], v[26:27], v[6:7]
	v_min_num_f64_e32 v[6:7], v[26:27], v[6:7]
	s_delay_alu instid0(VALU_DEP_1) | instskip(SKIP_1) | instid1(VALU_DEP_2)
	v_div_scale_f64 v[26:27], null, v[28:29], v[28:29], v[6:7]
	v_div_scale_f64 v[44:45], vcc_lo, v[6:7], v[28:29], v[6:7]
	v_rcp_f64_e32 v[30:31], v[26:27]
	v_nop
	s_delay_alu instid0(TRANS32_DEP_1) | instskip(NEXT) | instid1(VALU_DEP_1)
	v_fma_f64 v[32:33], -v[26:27], v[30:31], 1.0
	v_fmac_f64_e32 v[30:31], v[30:31], v[32:33]
	s_delay_alu instid0(VALU_DEP_1) | instskip(NEXT) | instid1(VALU_DEP_1)
	v_fma_f64 v[32:33], -v[26:27], v[30:31], 1.0
	v_fmac_f64_e32 v[30:31], v[30:31], v[32:33]
	s_delay_alu instid0(VALU_DEP_1) | instskip(NEXT) | instid1(VALU_DEP_1)
	v_mul_f64_e32 v[32:33], v[44:45], v[30:31]
	v_fma_f64 v[26:27], -v[26:27], v[32:33], v[44:45]
	s_delay_alu instid0(VALU_DEP_1)
	v_div_fmas_f64 v[26:27], v[26:27], v[30:31], v[32:33]
	v_cmp_gt_i32_e32 vcc_lo, 0, v11
	v_and_b32_e32 v30, 0x54442d18, v8
	v_and_b32_e32 v8, 0x400921fb, v8
	v_cndmask_b32_e32 v10, 0x3fe921fb, v61, vcc_lo
	v_cndmask_b32_e32 v16, 0x54442d18, v60, vcc_lo
	s_delay_alu instid0(VALU_DEP_2) | instskip(SKIP_1) | instid1(VALU_DEP_1)
	v_bfi_b32 v10, 0x7fffffff, v10, v13
	v_div_fixup_f64 v[6:7], v[26:27], v[28:29], v[6:7]
	v_mul_f64_e32 v[26:27], v[6:7], v[6:7]
	s_delay_alu instid0(VALU_DEP_1) | instskip(NEXT) | instid1(VALU_DEP_1)
	v_fmamk_f64 v[28:29], v[26:27], 0x3eeba404b5e68a13, v[40:41]
	v_fmaak_f64 v[28:29], v[26:27], v[28:29], 0x3f4b2bb069efb384
	s_delay_alu instid0(VALU_DEP_1) | instskip(NEXT) | instid1(VALU_DEP_1)
	v_fmaak_f64 v[28:29], v[26:27], v[28:29], 0xbf67952daf56de9b
	v_fmaak_f64 v[28:29], v[26:27], v[28:29], 0x3f7d6d43a595c56f
	s_delay_alu instid0(VALU_DEP_1) | instskip(NEXT) | instid1(VALU_DEP_1)
	v_fmaak_f64 v[28:29], v[26:27], v[28:29], 0xbf8c6ea4a57d9582
	;; [unrolled: 3-line block ×9, first 2 shown]
	v_mul_f64_e32 v[26:27], v[26:27], v[28:29]
	s_delay_alu instid0(VALU_DEP_1) | instskip(NEXT) | instid1(VALU_DEP_1)
	v_fmac_f64_e32 v[6:7], v[6:7], v[26:27]
	v_add_f64_e64 v[26:27], -v[6:7], s[24:25]
	s_delay_alu instid0(VALU_DEP_1) | instskip(NEXT) | instid1(VALU_DEP_1)
	v_dual_cndmask_b32 v7, v7, v27, s0 :: v_dual_cndmask_b32 v6, v6, v26, s0
	v_add_f64_e64 v[28:29], -v[6:7], s[26:27]
	s_delay_alu instid0(VALU_DEP_1) | instskip(NEXT) | instid1(VALU_DEP_1)
	v_dual_mul_f64 v[26:27], 0.5, v[14:15] :: v_dual_cndmask_b32 v7, v7, v29, vcc_lo
	v_mul_f64_e32 v[26:27], v[14:15], v[26:27]
	s_delay_alu instid0(VALU_DEP_3) | instskip(SKIP_1) | instid1(VALU_DEP_1)
	v_cndmask_b32_e32 v6, v6, v28, vcc_lo
	s_and_b32 vcc_lo, s5, s4
	v_dual_cndmask_b32 v7, v7, v8, s1 :: v_dual_cndmask_b32 v6, v6, v30, s1
	s_delay_alu instid0(VALU_DEP_1)
	v_dual_cndmask_b32 v29, v7, v10 :: v_dual_cndmask_b32 v28, v6, v16
.LBB173_253:                            ;   in Loop: Header=BB173_162 Depth=1
	s_or_b32 exec_lo, exec_lo, s2
.LBB173_254:                            ;   in Loop: Header=BB173_162 Depth=1
	s_delay_alu instid0(SALU_CYCLE_1)
	s_or_b32 exec_lo, exec_lo, s3
.LBB173_255:                            ;   in Loop: Header=BB173_162 Depth=1
	s_and_not1_saveexec_b32 s2, s38
	s_cbranch_execz .LBB173_257
; %bb.256:                              ;   in Loop: Header=BB173_162 Depth=1
	v_div_scale_f64 v[6:7], null, s[34:35], s[34:35], v[10:11]
	v_div_scale_f64 v[14:15], null, s[34:35], s[34:35], v[12:13]
	v_div_scale_f64 v[44:45], vcc_lo, v[10:11], s[34:35], v[10:11]
	s_delay_alu instid0(VALU_DEP_3) | instskip(NEXT) | instid1(VALU_DEP_2)
	v_rcp_f64_e32 v[26:27], v[6:7]
	v_rcp_f64_e32 v[28:29], v[14:15]
	s_delay_alu instid0(TRANS32_DEP_2) | instskip(NEXT) | instid1(TRANS32_DEP_1)
	v_fma_f64 v[30:31], -v[6:7], v[26:27], 1.0
	v_fma_f64 v[32:33], -v[14:15], v[28:29], 1.0
	s_delay_alu instid0(VALU_DEP_2) | instskip(NEXT) | instid1(VALU_DEP_2)
	v_fmac_f64_e32 v[26:27], v[26:27], v[30:31]
	v_fmac_f64_e32 v[28:29], v[28:29], v[32:33]
	s_delay_alu instid0(VALU_DEP_2) | instskip(NEXT) | instid1(VALU_DEP_2)
	v_fma_f64 v[30:31], -v[6:7], v[26:27], 1.0
	v_fma_f64 v[32:33], -v[14:15], v[28:29], 1.0
	s_delay_alu instid0(VALU_DEP_2) | instskip(SKIP_1) | instid1(VALU_DEP_3)
	v_fmac_f64_e32 v[26:27], v[26:27], v[30:31]
	v_div_scale_f64 v[30:31], s1, v[12:13], s[34:35], v[12:13]
	v_fmac_f64_e32 v[28:29], v[28:29], v[32:33]
	s_delay_alu instid0(VALU_DEP_3) | instskip(NEXT) | instid1(VALU_DEP_2)
	v_mul_f64_e32 v[32:33], v[44:45], v[26:27]
	v_mul_f64_e32 v[46:47], v[30:31], v[28:29]
	s_delay_alu instid0(VALU_DEP_2) | instskip(NEXT) | instid1(VALU_DEP_2)
	v_fma_f64 v[6:7], -v[6:7], v[32:33], v[44:45]
	v_fma_f64 v[14:15], -v[14:15], v[46:47], v[30:31]
	s_delay_alu instid0(VALU_DEP_2) | instskip(SKIP_1) | instid1(VALU_DEP_2)
	v_div_fmas_f64 v[6:7], v[6:7], v[26:27], v[32:33]
	s_mov_b32 vcc_lo, s1
	v_div_fmas_f64 v[14:15], v[14:15], v[28:29], v[46:47]
	s_delay_alu instid0(VALU_DEP_2) | instskip(NEXT) | instid1(VALU_DEP_2)
	v_div_fixup_f64 v[6:7], v[6:7], s[34:35], v[10:11]
	v_div_fixup_f64 v[14:15], v[14:15], s[34:35], v[12:13]
	s_delay_alu instid0(VALU_DEP_2) | instskip(NEXT) | instid1(VALU_DEP_2)
	v_cmp_class_f64_e64 s1, v[6:7], 0x204
	v_max_num_f64_e64 v[26:27], |v[6:7]|, |v[14:15]|
	v_cmp_class_f64_e64 s3, v[14:15], 0x204
	s_delay_alu instid0(VALU_DEP_2) | instskip(SKIP_2) | instid1(VALU_DEP_2)
	v_frexp_exp_i32_f64_e32 v8, v[26:27]
	s_or_b32 s1, s1, s3
	v_cmp_class_f64_e64 s3, v[10:11], 0x204
	v_sub_nc_u32_e32 v16, 0, v8
	s_delay_alu instid0(VALU_DEP_1) | instskip(SKIP_1) | instid1(VALU_DEP_2)
	v_ldexp_f64 v[26:27], |v[14:15]|, v16
	v_ldexp_f64 v[28:29], |v[6:7]|, v16
	v_mul_f64_e32 v[26:27], v[26:27], v[26:27]
	s_delay_alu instid0(VALU_DEP_1) | instskip(NEXT) | instid1(VALU_DEP_1)
	v_fmac_f64_e32 v[26:27], v[28:29], v[28:29]
	v_rsq_f64_e32 v[28:29], v[26:27]
	v_cmp_eq_f64_e32 vcc_lo, 0, v[26:27]
	s_delay_alu instid0(TRANS32_DEP_1) | instskip(SKIP_1) | instid1(VALU_DEP_1)
	v_mul_f64_e32 v[30:31], v[26:27], v[28:29]
	v_mul_f64_e32 v[28:29], 0.5, v[28:29]
	v_fma_f64 v[32:33], -v[28:29], v[30:31], 0.5
	s_delay_alu instid0(VALU_DEP_1) | instskip(SKIP_1) | instid1(VALU_DEP_2)
	v_fmac_f64_e32 v[30:31], v[30:31], v[32:33]
	v_fmac_f64_e32 v[28:29], v[28:29], v[32:33]
	v_fma_f64 v[32:33], -v[30:31], v[30:31], v[26:27]
	s_delay_alu instid0(VALU_DEP_1) | instskip(NEXT) | instid1(VALU_DEP_1)
	v_fmac_f64_e32 v[30:31], v[32:33], v[28:29]
	v_dual_cndmask_b32 v27, v31, v27 :: v_dual_cndmask_b32 v26, v30, v26
	v_cmp_o_f64_e32 vcc_lo, v[6:7], v[14:15]
	s_delay_alu instid0(VALU_DEP_2) | instskip(NEXT) | instid1(VALU_DEP_1)
	v_ldexp_f64 v[26:27], v[26:27], v8
	v_cndmask_b32_e32 v6, 0, v26, vcc_lo
	s_delay_alu instid0(VALU_DEP_2) | instskip(NEXT) | instid1(VALU_DEP_2)
	v_cndmask_b32_e32 v7, 0x7ff80000, v27, vcc_lo
	v_cndmask_b32_e64 v6, v6, 0, s1
	s_delay_alu instid0(VALU_DEP_2) | instskip(SKIP_1) | instid1(VALU_DEP_2)
	v_cndmask_b32_e64 v7, v7, 0x7ff00000, s1
	v_cmp_class_f64_e64 s1, v[12:13], 0x204
	v_frexp_mant_f64_e32 v[14:15], v[6:7]
	s_delay_alu instid0(VALU_DEP_1) | instskip(SKIP_1) | instid1(VALU_DEP_1)
	v_cmp_gt_f64_e32 vcc_lo, s[20:21], v[14:15]
	v_cndmask_b32_e64 v8, 0, 1, vcc_lo
	v_ldexp_f64 v[14:15], v[14:15], v8
	v_frexp_exp_i32_f64_e32 v8, v[6:7]
	s_delay_alu instid0(VALU_DEP_2) | instskip(SKIP_1) | instid1(VALU_DEP_3)
	v_add_f64_e32 v[26:27], 1.0, v[14:15]
	v_add_f64_e32 v[32:33], -1.0, v[14:15]
	v_subrev_co_ci_u32_e64 v8, null, 0, v8, vcc_lo
	s_delay_alu instid0(VALU_DEP_3) | instskip(SKIP_1) | instid1(VALU_DEP_1)
	v_rcp_f64_e32 v[28:29], v[26:27]
	v_add_f64_e32 v[44:45], -1.0, v[26:27]
	v_add_f64_e64 v[14:15], v[14:15], -v[44:45]
	s_delay_alu instid0(TRANS32_DEP_1) | instskip(NEXT) | instid1(VALU_DEP_1)
	v_fma_f64 v[30:31], -v[26:27], v[28:29], 1.0
	v_fmac_f64_e32 v[28:29], v[30:31], v[28:29]
	s_delay_alu instid0(VALU_DEP_1) | instskip(NEXT) | instid1(VALU_DEP_1)
	v_fma_f64 v[30:31], -v[26:27], v[28:29], 1.0
	v_fmac_f64_e32 v[28:29], v[30:31], v[28:29]
	s_delay_alu instid0(VALU_DEP_1) | instskip(NEXT) | instid1(VALU_DEP_1)
	v_mul_f64_e32 v[30:31], v[32:33], v[28:29]
	v_mul_f64_e32 v[46:47], v[26:27], v[30:31]
	s_delay_alu instid0(VALU_DEP_1) | instskip(NEXT) | instid1(VALU_DEP_1)
	v_fma_f64 v[26:27], v[30:31], v[26:27], -v[46:47]
	v_fmac_f64_e32 v[26:27], v[30:31], v[14:15]
	s_delay_alu instid0(VALU_DEP_1) | instskip(NEXT) | instid1(VALU_DEP_1)
	v_add_f64_e32 v[14:15], v[46:47], v[26:27]
	v_add_f64_e64 v[44:45], v[32:33], -v[14:15]
	v_add_f64_e64 v[46:47], v[14:15], -v[46:47]
	s_delay_alu instid0(VALU_DEP_2) | instskip(NEXT) | instid1(VALU_DEP_2)
	v_add_f64_e64 v[32:33], v[32:33], -v[44:45]
	v_add_f64_e64 v[26:27], v[46:47], -v[26:27]
	s_delay_alu instid0(VALU_DEP_2) | instskip(SKIP_1) | instid1(VALU_DEP_2)
	v_add_f64_e64 v[14:15], v[32:33], -v[14:15]
	v_max_num_f64_e64 v[32:33], |v[10:11]|, |v[10:11]|
	v_add_f64_e32 v[14:15], v[26:27], v[14:15]
	v_max_num_f64_e64 v[26:27], |v[12:13]|, |v[12:13]|
	s_delay_alu instid0(VALU_DEP_2) | instskip(NEXT) | instid1(VALU_DEP_1)
	v_add_f64_e32 v[14:15], v[44:45], v[14:15]
	v_mul_f64_e32 v[14:15], v[28:29], v[14:15]
	s_delay_alu instid0(VALU_DEP_3) | instskip(SKIP_1) | instid1(VALU_DEP_3)
	v_max_num_f64_e32 v[28:29], v[32:33], v[26:27]
	v_min_num_f64_e32 v[26:27], v[32:33], v[26:27]
	v_add_f64_e32 v[32:33], v[30:31], v[14:15]
	s_delay_alu instid0(VALU_DEP_2) | instskip(NEXT) | instid1(VALU_DEP_2)
	v_div_scale_f64 v[44:45], null, v[28:29], v[28:29], v[26:27]
	v_mul_f64_e32 v[46:47], v[32:33], v[32:33]
	v_add_f64_e64 v[30:31], v[32:33], -v[30:31]
	s_delay_alu instid0(VALU_DEP_3) | instskip(NEXT) | instid1(VALU_DEP_2)
	v_rcp_f64_e32 v[48:49], v[44:45]
	v_fmamk_f64 v[50:51], v[46:47], 0x3fc3ab76bf559e2b, v[38:39]
	v_mul_f64_e32 v[52:53], v[32:33], v[46:47]
	s_delay_alu instid0(VALU_DEP_3) | instskip(NEXT) | instid1(VALU_DEP_3)
	v_add_f64_e64 v[14:15], v[14:15], -v[30:31]
	v_fmaak_f64 v[50:51], v[46:47], v[50:51], 0x3fc7474dd7f4df2e
	s_delay_alu instid0(TRANS32_DEP_1) | instskip(NEXT) | instid1(VALU_DEP_2)
	v_fma_f64 v[54:55], -v[44:45], v[48:49], 1.0
	v_fmaak_f64 v[50:51], v[46:47], v[50:51], 0x3fcc71c016291751
	s_delay_alu instid0(VALU_DEP_1) | instskip(NEXT) | instid1(VALU_DEP_1)
	v_fmaak_f64 v[50:51], v[46:47], v[50:51], 0x3fd249249b27acf1
	v_fmaak_f64 v[50:51], v[46:47], v[50:51], 0x3fd99999998ef7b6
	v_ldexp_f64 v[14:15], v[14:15], 1
	s_delay_alu instid0(VALU_DEP_2) | instskip(SKIP_2) | instid1(VALU_DEP_3)
	v_fmaak_f64 v[46:47], v[46:47], v[50:51], 0x3fe5555555555780
	v_ldexp_f64 v[50:51], v[32:33], 1
	v_fmac_f64_e32 v[48:49], v[48:49], v[54:55]
	v_mul_f64_e32 v[46:47], v[52:53], v[46:47]
	v_cvt_f64_i32_e32 v[52:53], v8
	v_ashrrev_i32_e32 v8, 31, v11
	s_delay_alu instid0(VALU_DEP_4) | instskip(NEXT) | instid1(VALU_DEP_4)
	v_fma_f64 v[54:55], -v[44:45], v[48:49], 1.0
	v_add_f64_e32 v[32:33], v[50:51], v[46:47]
	s_delay_alu instid0(VALU_DEP_4) | instskip(NEXT) | instid1(VALU_DEP_3)
	v_mul_f64_e32 v[56:57], 0x3fe62e42fefa39ef, v[52:53]
	v_fmac_f64_e32 v[48:49], v[48:49], v[54:55]
	s_delay_alu instid0(VALU_DEP_3) | instskip(SKIP_1) | instid1(VALU_DEP_4)
	v_add_f64_e64 v[30:31], v[32:33], -v[50:51]
	v_div_scale_f64 v[50:51], vcc_lo, v[26:27], v[28:29], v[26:27]
	v_fma_f64 v[54:55], v[52:53], s[22:23], -v[56:57]
	s_delay_alu instid0(VALU_DEP_3) | instskip(NEXT) | instid1(VALU_DEP_3)
	v_add_f64_e64 v[30:31], v[46:47], -v[30:31]
	v_mul_f64_e32 v[46:47], v[50:51], v[48:49]
	s_delay_alu instid0(VALU_DEP_3) | instskip(NEXT) | instid1(VALU_DEP_3)
	v_fmac_f64_e32 v[54:55], 0x3c7abc9e3b39803f, v[52:53]
	v_add_f64_e32 v[14:15], v[14:15], v[30:31]
	s_delay_alu instid0(VALU_DEP_3) | instskip(NEXT) | instid1(VALU_DEP_3)
	v_fma_f64 v[30:31], -v[44:45], v[46:47], v[50:51]
	v_add_f64_e32 v[44:45], v[56:57], v[54:55]
	s_delay_alu instid0(VALU_DEP_3) | instskip(NEXT) | instid1(VALU_DEP_3)
	v_add_f64_e32 v[50:51], v[32:33], v[14:15]
	v_div_fmas_f64 v[30:31], v[30:31], v[48:49], v[46:47]
	v_cmp_class_f64_e64 vcc_lo, v[6:7], 0x204
	s_delay_alu instid0(VALU_DEP_4) | instskip(NEXT) | instid1(VALU_DEP_4)
	v_add_f64_e64 v[48:49], v[44:45], -v[56:57]
	v_add_f64_e32 v[46:47], v[44:45], v[50:51]
	s_delay_alu instid0(VALU_DEP_4) | instskip(SKIP_1) | instid1(VALU_DEP_4)
	v_div_fixup_f64 v[26:27], v[30:31], v[28:29], v[26:27]
	v_add_f64_e64 v[32:33], v[50:51], -v[32:33]
	v_add_f64_e64 v[48:49], v[54:55], -v[48:49]
	s_delay_alu instid0(VALU_DEP_4) | instskip(NEXT) | instid1(VALU_DEP_4)
	v_add_f64_e64 v[28:29], v[46:47], -v[44:45]
	v_mul_f64_e32 v[30:31], v[26:27], v[26:27]
	s_delay_alu instid0(VALU_DEP_4) | instskip(NEXT) | instid1(VALU_DEP_3)
	v_add_f64_e64 v[14:15], v[14:15], -v[32:33]
	v_add_f64_e64 v[52:53], v[46:47], -v[28:29]
	s_delay_alu instid0(VALU_DEP_3) | instskip(SKIP_1) | instid1(VALU_DEP_4)
	v_fmamk_f64 v[56:57], v[30:31], 0x3eeba404b5e68a13, v[40:41]
	v_add_f64_e64 v[28:29], v[50:51], -v[28:29]
	v_add_f64_e32 v[50:51], v[48:49], v[14:15]
	s_delay_alu instid0(VALU_DEP_3) | instskip(SKIP_1) | instid1(VALU_DEP_2)
	v_fmaak_f64 v[56:57], v[30:31], v[56:57], 0x3f4b2bb069efb384
	v_add_f64_e64 v[32:33], v[44:45], -v[52:53]
	v_fmaak_f64 v[44:45], v[30:31], v[56:57], 0xbf67952daf56de9b
	s_delay_alu instid0(VALU_DEP_1) | instskip(NEXT) | instid1(VALU_DEP_1)
	v_fmaak_f64 v[44:45], v[30:31], v[44:45], 0x3f7d6d43a595c56f
	v_fmaak_f64 v[44:45], v[30:31], v[44:45], 0xbf8c6ea4a57d9582
	s_delay_alu instid0(VALU_DEP_1) | instskip(SKIP_1) | instid1(VALU_DEP_2)
	v_fmaak_f64 v[44:45], v[30:31], v[44:45], 0x3f967e295f08b19f
	v_add_f64_e32 v[28:29], v[28:29], v[32:33]
	v_fmaak_f64 v[32:33], v[30:31], v[44:45], 0xbf9e9ae6fc27006a
	v_add_f64_e64 v[44:45], v[50:51], -v[48:49]
	s_delay_alu instid0(VALU_DEP_2) | instskip(NEXT) | instid1(VALU_DEP_1)
	v_fmaak_f64 v[32:33], v[30:31], v[32:33], 0x3fa2c15b5711927a
	v_fmaak_f64 v[32:33], v[30:31], v[32:33], 0xbfa59976e82d3ff0
	s_delay_alu instid0(VALU_DEP_1) | instskip(NEXT) | instid1(VALU_DEP_1)
	v_fmaak_f64 v[32:33], v[30:31], v[32:33], 0x3fa82d5d6ef28734
	v_fmaak_f64 v[32:33], v[30:31], v[32:33], 0xbfaae5ce6a214619
	v_add_f64_e32 v[28:29], v[50:51], v[28:29]
	v_add_f64_e64 v[50:51], v[50:51], -v[44:45]
	v_add_f64_e64 v[14:15], v[14:15], -v[44:45]
	s_delay_alu instid0(VALU_DEP_4) | instskip(NEXT) | instid1(VALU_DEP_1)
	v_fmaak_f64 v[32:33], v[30:31], v[32:33], 0x3fae1bb48427b883
	v_fmaak_f64 v[32:33], v[30:31], v[32:33], 0xbfb110e48b207f05
	s_delay_alu instid0(VALU_DEP_1) | instskip(NEXT) | instid1(VALU_DEP_1)
	v_fmaak_f64 v[32:33], v[30:31], v[32:33], 0x3fb3b13657b87036
	v_fmaak_f64 v[32:33], v[30:31], v[32:33], 0xbfb745d119378e4f
	s_delay_alu instid0(VALU_DEP_1) | instskip(SKIP_1) | instid1(VALU_DEP_2)
	v_fmaak_f64 v[32:33], v[30:31], v[32:33], 0x3fbc71c717e1913c
	v_add_f64_e32 v[52:53], v[46:47], v[28:29]
	v_fmaak_f64 v[32:33], v[30:31], v[32:33], 0xbfc2492492376b7d
	s_delay_alu instid0(VALU_DEP_1) | instskip(NEXT) | instid1(VALU_DEP_1)
	v_fmaak_f64 v[32:33], v[30:31], v[32:33], 0x3fc99999999952cc
	v_fmaak_f64 v[32:33], v[30:31], v[32:33], 0xbfd5555555555523
	s_delay_alu instid0(VALU_DEP_1) | instskip(SKIP_2) | instid1(VALU_DEP_3)
	v_mul_f64_e32 v[30:31], v[30:31], v[32:33]
	v_add_f64_e64 v[32:33], v[48:49], -v[50:51]
	v_add_f64_e64 v[44:45], v[52:53], -v[46:47]
	v_fmac_f64_e32 v[26:27], v[26:27], v[30:31]
	s_delay_alu instid0(VALU_DEP_3) | instskip(NEXT) | instid1(VALU_DEP_3)
	v_add_f64_e32 v[14:15], v[14:15], v[32:33]
	v_add_f64_e64 v[28:29], v[28:29], -v[44:45]
	s_delay_alu instid0(VALU_DEP_3) | instskip(NEXT) | instid1(VALU_DEP_2)
	v_add_f64_e64 v[30:31], -v[26:27], s[24:25]
	v_add_f64_e32 v[14:15], v[14:15], v[28:29]
	s_delay_alu instid0(VALU_DEP_2)
	v_dual_cndmask_b32 v27, v27, v31, s0 :: v_dual_cndmask_b32 v26, v26, v30, s0
	v_cmp_gt_i32_e64 s0, 0, v11
	v_and_b32_e32 v30, 0x54442d18, v8
	v_and_b32_e32 v8, 0x400921fb, v8
	v_add_f64_e32 v[14:15], v[52:53], v[14:15]
	v_add_f64_e64 v[28:29], -v[26:27], s[26:27]
	v_cndmask_b32_e64 v16, 0x54442d18, v60, s0
	v_cndmask_b32_e64 v10, 0x3fe921fb, v61, s0
	s_delay_alu instid0(VALU_DEP_1) | instskip(SKIP_4) | instid1(VALU_DEP_4)
	v_bfi_b32 v10, 0x7fffffff, v10, v13
	v_dual_cndmask_b32 v15, v15, v7 :: v_dual_cndmask_b32 v14, v14, v6
	v_cmp_eq_f64_e32 vcc_lo, 0, v[12:13]
	v_dual_cndmask_b32 v26, v26, v28, s0 :: v_dual_cndmask_b32 v11, v27, v29, s0
	v_cmp_nge_f64_e64 s0, 0, v[6:7]
	v_add_f64_e32 v[14:15], 1.0, v[14:15]
	s_delay_alu instid0(VALU_DEP_3) | instskip(SKIP_1) | instid1(VALU_DEP_3)
	v_dual_cndmask_b32 v28, v26, v30, vcc_lo :: v_dual_cndmask_b32 v8, v11, v8, vcc_lo
	v_cmp_ngt_f64_e32 vcc_lo, 0, v[6:7]
	v_cndmask_b32_e64 v26, 0, v14, s0
	v_cmp_neq_f64_e64 s0, 0, v[6:7]
	v_cndmask_b32_e32 v11, 0x7ff80000, v15, vcc_lo
	s_and_b32 vcc_lo, s3, s1
	v_cndmask_b32_e32 v29, v8, v10, vcc_lo
	v_cndmask_b32_e32 v28, v28, v16, vcc_lo
	s_delay_alu instid0(VALU_DEP_3)
	v_cndmask_b32_e64 v27, 0xfff00000, v11, s0
.LBB173_257:                            ;   in Loop: Header=BB173_162 Depth=1
	s_or_b32 exec_lo, exec_lo, s2
.LBB173_258:                            ;   in Loop: Header=BB173_162 Depth=1
	s_and_not1_saveexec_b32 s0, s33
	s_cbranch_execz .LBB173_264
; %bb.259:                              ;   in Loop: Header=BB173_162 Depth=1
	v_cmp_ngt_f64_e64 s1, 0x20000000, |v[10:11]|
	v_cmp_ngt_f64_e64 s2, 0x20000000, |v[12:13]|
                                        ; implicit-def: $vgpr6_vgpr7
	s_or_b32 s1, s1, s2
	s_delay_alu instid0(SALU_CYCLE_1) | instskip(NEXT) | instid1(SALU_CYCLE_1)
	s_and_saveexec_b32 s2, s1
	s_xor_b32 s1, exec_lo, s2
	s_cbranch_execz .LBB173_261
; %bb.260:                              ;   in Loop: Header=BB173_162 Depth=1
	v_mul_f64_e32 v[6:7], v[12:13], v[12:13]
	s_delay_alu instid0(VALU_DEP_1)
	v_fmac_f64_e32 v[6:7], v[10:11], v[10:11]
.LBB173_261:                            ;   in Loop: Header=BB173_162 Depth=1
	s_and_not1_saveexec_b32 s1, s1
	s_cbranch_execz .LBB173_263
; %bb.262:                              ;   in Loop: Header=BB173_162 Depth=1
	v_mul_f64_e32 v[6:7], 4.0, v[12:13]
	v_mul_f64_e32 v[10:11], 4.0, v[10:11]
	s_delay_alu instid0(VALU_DEP_2) | instskip(NEXT) | instid1(VALU_DEP_1)
	v_mul_f64_e32 v[6:7], v[6:7], v[6:7]
	v_fmac_f64_e32 v[6:7], v[10:11], v[10:11]
	s_delay_alu instid0(VALU_DEP_1)
	v_ldexp_f64 v[6:7], v[6:7], -4
.LBB173_263:                            ;   in Loop: Header=BB173_162 Depth=1
	s_or_b32 exec_lo, exec_lo, s1
	s_delay_alu instid0(VALU_DEP_1) | instskip(NEXT) | instid1(VALU_DEP_1)
	v_frexp_mant_f64_e32 v[10:11], v[6:7]
	v_cmp_gt_f64_e32 vcc_lo, s[20:21], v[10:11]
	v_cndmask_b32_e64 v8, 0, 1, vcc_lo
	s_delay_alu instid0(VALU_DEP_1) | instskip(SKIP_1) | instid1(VALU_DEP_2)
	v_ldexp_f64 v[10:11], v[10:11], v8
	v_frexp_exp_i32_f64_e32 v8, v[6:7]
	v_add_f64_e32 v[14:15], 1.0, v[10:11]
	v_add_f64_e32 v[30:31], -1.0, v[10:11]
	s_delay_alu instid0(VALU_DEP_3) | instskip(SKIP_1) | instid1(VALU_DEP_4)
	v_subrev_co_ci_u32_e64 v8, null, 0, v8, vcc_lo
	v_cmp_class_f64_e64 vcc_lo, v[6:7], 0x204
	v_rcp_f64_e32 v[26:27], v[14:15]
	v_add_f64_e32 v[32:33], -1.0, v[14:15]
	s_delay_alu instid0(VALU_DEP_1) | instskip(NEXT) | instid1(TRANS32_DEP_1)
	v_add_f64_e64 v[10:11], v[10:11], -v[32:33]
	v_fma_f64 v[28:29], -v[14:15], v[26:27], 1.0
	s_delay_alu instid0(VALU_DEP_1) | instskip(NEXT) | instid1(VALU_DEP_1)
	v_fmac_f64_e32 v[26:27], v[28:29], v[26:27]
	v_fma_f64 v[28:29], -v[14:15], v[26:27], 1.0
	s_delay_alu instid0(VALU_DEP_1) | instskip(NEXT) | instid1(VALU_DEP_1)
	v_fmac_f64_e32 v[26:27], v[28:29], v[26:27]
	v_mul_f64_e32 v[28:29], v[30:31], v[26:27]
	s_delay_alu instid0(VALU_DEP_1) | instskip(NEXT) | instid1(VALU_DEP_1)
	v_mul_f64_e32 v[44:45], v[14:15], v[28:29]
	v_fma_f64 v[14:15], v[28:29], v[14:15], -v[44:45]
	s_delay_alu instid0(VALU_DEP_1) | instskip(NEXT) | instid1(VALU_DEP_1)
	v_fmac_f64_e32 v[14:15], v[28:29], v[10:11]
	v_add_f64_e32 v[10:11], v[44:45], v[14:15]
	s_delay_alu instid0(VALU_DEP_1) | instskip(SKIP_1) | instid1(VALU_DEP_2)
	v_add_f64_e64 v[32:33], v[30:31], -v[10:11]
	v_add_f64_e64 v[44:45], v[10:11], -v[44:45]
	;; [unrolled: 1-line block ×3, first 2 shown]
	s_delay_alu instid0(VALU_DEP_2) | instskip(NEXT) | instid1(VALU_DEP_2)
	v_add_f64_e64 v[14:15], v[44:45], -v[14:15]
	v_add_f64_e64 v[10:11], v[30:31], -v[10:11]
	s_delay_alu instid0(VALU_DEP_1) | instskip(NEXT) | instid1(VALU_DEP_1)
	v_add_f64_e32 v[10:11], v[14:15], v[10:11]
	v_add_f64_e32 v[10:11], v[32:33], v[10:11]
	s_delay_alu instid0(VALU_DEP_1) | instskip(NEXT) | instid1(VALU_DEP_1)
	v_mul_f64_e32 v[10:11], v[26:27], v[10:11]
	v_add_f64_e32 v[14:15], v[28:29], v[10:11]
	s_delay_alu instid0(VALU_DEP_1) | instskip(NEXT) | instid1(VALU_DEP_1)
	v_mul_f64_e32 v[26:27], v[14:15], v[14:15]
	v_fmamk_f64 v[30:31], v[26:27], 0x3fc3ab76bf559e2b, v[38:39]
	v_mul_f64_e32 v[32:33], v[14:15], v[26:27]
	s_delay_alu instid0(VALU_DEP_2) | instskip(NEXT) | instid1(VALU_DEP_1)
	v_fmaak_f64 v[30:31], v[26:27], v[30:31], 0x3fc7474dd7f4df2e
	v_fmaak_f64 v[30:31], v[26:27], v[30:31], 0x3fcc71c016291751
	s_delay_alu instid0(VALU_DEP_1) | instskip(NEXT) | instid1(VALU_DEP_1)
	v_fmaak_f64 v[30:31], v[26:27], v[30:31], 0x3fd249249b27acf1
	v_fmaak_f64 v[30:31], v[26:27], v[30:31], 0x3fd99999998ef7b6
	s_delay_alu instid0(VALU_DEP_1) | instskip(SKIP_2) | instid1(VALU_DEP_3)
	v_fmaak_f64 v[26:27], v[26:27], v[30:31], 0x3fe5555555555780
	v_ldexp_f64 v[30:31], v[14:15], 1
	v_add_f64_e64 v[14:15], v[14:15], -v[28:29]
	v_mul_f64_e32 v[26:27], v[32:33], v[26:27]
	v_cvt_f64_i32_e32 v[32:33], v8
	s_delay_alu instid0(VALU_DEP_3) | instskip(NEXT) | instid1(VALU_DEP_3)
	v_add_f64_e64 v[10:11], v[10:11], -v[14:15]
	v_add_f64_e32 v[28:29], v[30:31], v[26:27]
	s_delay_alu instid0(VALU_DEP_3) | instskip(NEXT) | instid1(VALU_DEP_3)
	v_mul_f64_e32 v[44:45], 0x3fe62e42fefa39ef, v[32:33]
	v_ldexp_f64 v[10:11], v[10:11], 1
	s_delay_alu instid0(VALU_DEP_3) | instskip(NEXT) | instid1(VALU_DEP_3)
	v_add_f64_e64 v[14:15], v[28:29], -v[30:31]
	v_fma_f64 v[30:31], v[32:33], s[22:23], -v[44:45]
	s_delay_alu instid0(VALU_DEP_2) | instskip(NEXT) | instid1(VALU_DEP_2)
	v_add_f64_e64 v[14:15], v[26:27], -v[14:15]
	v_fmac_f64_e32 v[30:31], 0x3c7abc9e3b39803f, v[32:33]
	s_delay_alu instid0(VALU_DEP_2) | instskip(NEXT) | instid1(VALU_DEP_2)
	v_add_f64_e32 v[10:11], v[10:11], v[14:15]
	v_add_f64_e32 v[14:15], v[44:45], v[30:31]
	s_delay_alu instid0(VALU_DEP_2) | instskip(NEXT) | instid1(VALU_DEP_2)
	v_add_f64_e32 v[26:27], v[28:29], v[10:11]
	v_add_f64_e64 v[44:45], v[14:15], -v[44:45]
	s_delay_alu instid0(VALU_DEP_2) | instskip(SKIP_1) | instid1(VALU_DEP_3)
	v_add_f64_e32 v[32:33], v[14:15], v[26:27]
	v_add_f64_e64 v[28:29], v[26:27], -v[28:29]
	v_add_f64_e64 v[30:31], v[30:31], -v[44:45]
	s_delay_alu instid0(VALU_DEP_3) | instskip(NEXT) | instid1(VALU_DEP_3)
	v_add_f64_e64 v[46:47], v[32:33], -v[14:15]
	v_add_f64_e64 v[10:11], v[10:11], -v[28:29]
	s_delay_alu instid0(VALU_DEP_2) | instskip(SKIP_1) | instid1(VALU_DEP_3)
	v_add_f64_e64 v[48:49], v[32:33], -v[46:47]
	v_add_f64_e64 v[26:27], v[26:27], -v[46:47]
	v_add_f64_e32 v[28:29], v[30:31], v[10:11]
	s_delay_alu instid0(VALU_DEP_3) | instskip(NEXT) | instid1(VALU_DEP_1)
	v_add_f64_e64 v[14:15], v[14:15], -v[48:49]
	v_add_f64_e32 v[14:15], v[26:27], v[14:15]
	s_delay_alu instid0(VALU_DEP_3) | instskip(NEXT) | instid1(VALU_DEP_2)
	v_add_f64_e64 v[26:27], v[28:29], -v[30:31]
	v_add_f64_e32 v[14:15], v[28:29], v[14:15]
	s_delay_alu instid0(VALU_DEP_2) | instskip(SKIP_1) | instid1(VALU_DEP_3)
	v_add_f64_e64 v[28:29], v[28:29], -v[26:27]
	v_add_f64_e64 v[10:11], v[10:11], -v[26:27]
	v_add_f64_e32 v[44:45], v[32:33], v[14:15]
	s_delay_alu instid0(VALU_DEP_3) | instskip(NEXT) | instid1(VALU_DEP_2)
	v_add_f64_e64 v[26:27], v[30:31], -v[28:29]
	v_add_f64_e64 v[28:29], v[44:45], -v[32:33]
	s_delay_alu instid0(VALU_DEP_2) | instskip(NEXT) | instid1(VALU_DEP_2)
	v_add_f64_e32 v[10:11], v[10:11], v[26:27]
	v_add_f64_e64 v[14:15], v[14:15], -v[28:29]
	v_mov_b64_e32 v[28:29], 0x7ff8000000000000
	s_delay_alu instid0(VALU_DEP_2) | instskip(NEXT) | instid1(VALU_DEP_1)
	v_add_f64_e32 v[10:11], v[10:11], v[14:15]
	v_add_f64_e32 v[10:11], v[44:45], v[10:11]
	s_delay_alu instid0(VALU_DEP_1) | instskip(SKIP_1) | instid1(VALU_DEP_2)
	v_dual_cndmask_b32 v8, v10, v6, vcc_lo :: v_dual_cndmask_b32 v10, v11, v7, vcc_lo
	v_cmp_ngt_f64_e32 vcc_lo, 0, v[6:7]
	v_cndmask_b32_e32 v10, 0x7ff80000, v10, vcc_lo
	v_cmp_nge_f64_e32 vcc_lo, 0, v[6:7]
	s_delay_alu instid0(VALU_DEP_4) | instskip(SKIP_1) | instid1(VALU_DEP_4)
	v_cndmask_b32_e32 v26, 0, v8, vcc_lo
	v_cmp_neq_f64_e32 vcc_lo, 0, v[6:7]
	v_cndmask_b32_e32 v27, 0xfff00000, v10, vcc_lo
.LBB173_264:                            ;   in Loop: Header=BB173_162 Depth=1
	s_or_b32 exec_lo, exec_lo, s0
                                        ; implicit-def: $vgpr30_vgpr31
	s_delay_alu instid0(SALU_CYCLE_1)
	s_mov_b32 s0, exec_lo
	v_cmpx_o_f64_e32 v[2:3], v[4:5]
	s_xor_b32 s33, exec_lo, s0
	s_cbranch_execz .LBB173_292
; %bb.265:                              ;   in Loop: Header=BB173_162 Depth=1
	v_cmp_lt_f64_e64 s0, |v[2:3]|, |v[4:5]|
	v_and_b32_e32 v8, 0x7fffffff, v3
	v_and_b32_e32 v7, 0x7fffffff, v5
	v_mov_b32_e32 v6, v4
                                        ; implicit-def: $vgpr30_vgpr31
	s_mov_b32 s1, exec_lo
	s_delay_alu instid0(VALU_DEP_2) | instskip(NEXT) | instid1(VALU_DEP_1)
	v_dual_cndmask_b32 v11, v7, v8, s0 :: v_dual_cndmask_b32 v10, v4, v2, s0
	v_cmpx_nlt_f64_e32 s[12:13], v[10:11]
	s_xor_b32 s38, exec_lo, s1
	s_cbranch_execz .LBB173_289
; %bb.266:                              ;   in Loop: Header=BB173_162 Depth=1
	v_dual_cndmask_b32 v15, v8, v7, s0 :: v_dual_cndmask_b32 v14, v2, v6, s0
                                        ; implicit-def: $vgpr30_vgpr31
	s_mov_b32 s1, exec_lo
	s_delay_alu instid0(VALU_DEP_1)
	v_cmpx_neq_f64_e32 1.0, v[14:15]
	s_xor_b32 s39, exec_lo, s1
	s_cbranch_execz .LBB173_282
; %bb.267:                              ;   in Loop: Header=BB173_162 Depth=1
	v_max_num_f64_e32 v[6:7], v[10:11], v[10:11]
	v_max_num_f64_e32 v[30:31], v[14:15], v[14:15]
	s_delay_alu instid0(VALU_DEP_1) | instskip(SKIP_1) | instid1(VALU_DEP_2)
	v_min_num_f64_e32 v[32:33], v[30:31], v[6:7]
	v_max_num_f64_e32 v[6:7], v[30:31], v[6:7]
	v_cmp_ngt_f64_e32 vcc_lo, s[14:15], v[32:33]
	s_delay_alu instid0(VALU_DEP_2) | instskip(SKIP_1) | instid1(SALU_CYCLE_1)
	v_cmp_nlt_f64_e64 s1, s[16:17], v[6:7]
                                        ; implicit-def: $vgpr30_vgpr31
	s_and_b32 s1, s1, vcc_lo
	s_and_saveexec_b32 s2, s1
	s_delay_alu instid0(SALU_CYCLE_1)
	s_xor_b32 s40, exec_lo, s2
	s_cbranch_execz .LBB173_279
; %bb.268:                              ;   in Loop: Header=BB173_162 Depth=1
                                        ; implicit-def: $vgpr30_vgpr31
	s_mov_b32 s1, exec_lo
	v_cmpx_le_f64_e32 1.0, v[14:15]
	s_xor_b32 s4, exec_lo, s1
	s_cbranch_execz .LBB173_270
; %bb.269:                              ;   in Loop: Header=BB173_162 Depth=1
	v_add_f64_e32 v[6:7], -1.0, v[14:15]
	v_add_f64_e32 v[14:15], 1.0, v[14:15]
	v_cmp_eq_f64_e64 s1, 0, v[4:5]
	v_cmp_class_f64_e64 s6, v[2:3], 0x204
	v_cmp_class_f64_e64 s5, v[4:5], 0x204
	s_delay_alu instid0(VALU_DEP_4) | instskip(NEXT) | instid1(VALU_DEP_1)
	v_mul_f64_e32 v[6:7], v[6:7], v[14:15]
	v_fmac_f64_e32 v[6:7], v[10:11], v[10:11]
	s_delay_alu instid0(VALU_DEP_1) | instskip(SKIP_2) | instid1(VALU_DEP_3)
	v_add_f64_e32 v[10:11], 1.0, v[6:7]
	v_cmp_nge_f64_e64 s2, -1.0, v[6:7]
	v_cmp_neq_f64_e64 s3, 0x7ff00000, v[6:7]
	v_frexp_mant_f64_e32 v[14:15], v[10:11]
	v_frexp_exp_i32_f64_e32 v8, v[10:11]
	v_add_f64_e32 v[30:31], -1.0, v[10:11]
	s_delay_alu instid0(VALU_DEP_3) | instskip(NEXT) | instid1(VALU_DEP_2)
	v_cmp_gt_f64_e32 vcc_lo, s[20:21], v[14:15]
	v_add_f64_e64 v[14:15], v[30:31], -v[10:11]
	v_add_f64_e64 v[30:31], v[6:7], -v[30:31]
	v_subrev_co_ci_u32_e64 v8, null, 0, v8, vcc_lo
	s_delay_alu instid0(VALU_DEP_1) | instskip(NEXT) | instid1(VALU_DEP_1)
	v_dual_add_f64 v[14:15], 1.0, v[14:15] :: v_dual_sub_nc_u32 v12, 0, v8
	v_ldexp_f64 v[10:11], v[10:11], v12
	s_delay_alu instid0(VALU_DEP_2) | instskip(NEXT) | instid1(VALU_DEP_2)
	v_add_f64_e32 v[14:15], v[30:31], v[14:15]
	v_add_f64_e32 v[32:33], 1.0, v[10:11]
	v_add_f64_e32 v[48:49], -1.0, v[10:11]
	s_delay_alu instid0(VALU_DEP_3) | instskip(NEXT) | instid1(VALU_DEP_3)
	v_ldexp_f64 v[14:15], v[14:15], v12
	v_add_f64_e32 v[30:31], -1.0, v[32:33]
	s_delay_alu instid0(VALU_DEP_3) | instskip(NEXT) | instid1(VALU_DEP_2)
	v_add_f64_e32 v[50:51], 1.0, v[48:49]
	v_add_f64_e64 v[30:31], v[10:11], -v[30:31]
	s_delay_alu instid0(VALU_DEP_2) | instskip(NEXT) | instid1(VALU_DEP_2)
	v_add_f64_e64 v[10:11], v[10:11], -v[50:51]
	v_add_f64_e32 v[30:31], v[14:15], v[30:31]
	s_delay_alu instid0(VALU_DEP_2) | instskip(NEXT) | instid1(VALU_DEP_2)
	v_add_f64_e32 v[10:11], v[14:15], v[10:11]
	v_add_f64_e32 v[44:45], v[32:33], v[30:31]
	s_delay_alu instid0(VALU_DEP_2) | instskip(NEXT) | instid1(VALU_DEP_2)
	v_add_f64_e32 v[50:51], v[48:49], v[10:11]
	v_rcp_f64_e32 v[46:47], v[44:45]
	v_add_f64_e64 v[32:33], v[44:45], -v[32:33]
	s_delay_alu instid0(VALU_DEP_2) | instskip(NEXT) | instid1(VALU_DEP_2)
	v_add_f64_e64 v[48:49], v[50:51], -v[48:49]
	v_add_f64_e64 v[30:31], v[30:31], -v[32:33]
	s_delay_alu instid0(VALU_DEP_2) | instskip(NEXT) | instid1(TRANS32_DEP_1)
	v_add_f64_e64 v[10:11], v[10:11], -v[48:49]
	v_fma_f64 v[52:53], -v[44:45], v[46:47], 1.0
	s_delay_alu instid0(VALU_DEP_1) | instskip(NEXT) | instid1(VALU_DEP_1)
	v_fmac_f64_e32 v[46:47], v[52:53], v[46:47]
	v_fma_f64 v[14:15], -v[44:45], v[46:47], 1.0
	s_delay_alu instid0(VALU_DEP_1) | instskip(NEXT) | instid1(VALU_DEP_1)
	v_fmac_f64_e32 v[46:47], v[14:15], v[46:47]
	v_mul_f64_e32 v[14:15], v[50:51], v[46:47]
	s_delay_alu instid0(VALU_DEP_1) | instskip(NEXT) | instid1(VALU_DEP_1)
	v_mul_f64_e32 v[52:53], v[44:45], v[14:15]
	v_fma_f64 v[32:33], v[14:15], v[44:45], -v[52:53]
	s_delay_alu instid0(VALU_DEP_1) | instskip(NEXT) | instid1(VALU_DEP_1)
	v_fmac_f64_e32 v[32:33], v[14:15], v[30:31]
	v_add_f64_e32 v[54:55], v[52:53], v[32:33]
	s_delay_alu instid0(VALU_DEP_1) | instskip(SKIP_1) | instid1(VALU_DEP_2)
	v_add_f64_e64 v[56:57], v[50:51], -v[54:55]
	v_add_f64_e64 v[48:49], v[54:55], -v[52:53]
	;; [unrolled: 1-line block ×3, first 2 shown]
	s_delay_alu instid0(VALU_DEP_2) | instskip(NEXT) | instid1(VALU_DEP_2)
	v_add_f64_e64 v[32:33], v[48:49], -v[32:33]
	v_add_f64_e64 v[50:51], v[50:51], -v[54:55]
	s_delay_alu instid0(VALU_DEP_1) | instskip(NEXT) | instid1(VALU_DEP_1)
	v_add_f64_e32 v[10:11], v[10:11], v[50:51]
	v_add_f64_e32 v[10:11], v[32:33], v[10:11]
	s_delay_alu instid0(VALU_DEP_1) | instskip(NEXT) | instid1(VALU_DEP_1)
	v_add_f64_e32 v[32:33], v[56:57], v[10:11]
	v_mul_f64_e32 v[48:49], v[46:47], v[32:33]
	v_add_f64_e64 v[54:55], v[56:57], -v[32:33]
	s_delay_alu instid0(VALU_DEP_2) | instskip(NEXT) | instid1(VALU_DEP_2)
	v_mul_f64_e32 v[50:51], v[44:45], v[48:49]
	v_add_f64_e32 v[10:11], v[10:11], v[54:55]
	s_delay_alu instid0(VALU_DEP_2) | instskip(NEXT) | instid1(VALU_DEP_1)
	v_fma_f64 v[44:45], v[48:49], v[44:45], -v[50:51]
	v_fmac_f64_e32 v[44:45], v[48:49], v[30:31]
	s_delay_alu instid0(VALU_DEP_1) | instskip(NEXT) | instid1(VALU_DEP_1)
	v_add_f64_e32 v[30:31], v[50:51], v[44:45]
	v_add_f64_e64 v[52:53], v[32:33], -v[30:31]
	v_add_f64_e64 v[50:51], v[30:31], -v[50:51]
	s_delay_alu instid0(VALU_DEP_2) | instskip(NEXT) | instid1(VALU_DEP_1)
	v_add_f64_e64 v[32:33], v[32:33], -v[52:53]
	v_add_f64_e64 v[30:31], v[32:33], -v[30:31]
	s_delay_alu instid0(VALU_DEP_3) | instskip(SKIP_1) | instid1(VALU_DEP_3)
	v_add_f64_e64 v[32:33], v[50:51], -v[44:45]
	v_max_num_f64_e64 v[44:45], |v[2:3]|, |v[2:3]|
	v_add_f64_e32 v[10:11], v[10:11], v[30:31]
	v_add_f64_e32 v[30:31], v[14:15], v[48:49]
	s_delay_alu instid0(VALU_DEP_2) | instskip(NEXT) | instid1(VALU_DEP_2)
	v_add_f64_e32 v[10:11], v[32:33], v[10:11]
	v_add_f64_e64 v[14:15], v[30:31], -v[14:15]
	v_max_num_f64_e64 v[32:33], |v[4:5]|, |v[4:5]|
	s_delay_alu instid0(VALU_DEP_3) | instskip(NEXT) | instid1(VALU_DEP_3)
	v_add_f64_e32 v[10:11], v[52:53], v[10:11]
	v_add_f64_e64 v[14:15], v[48:49], -v[14:15]
	s_delay_alu instid0(VALU_DEP_2) | instskip(NEXT) | instid1(VALU_DEP_1)
	v_mul_f64_e32 v[10:11], v[46:47], v[10:11]
	v_add_f64_e32 v[10:11], v[14:15], v[10:11]
	v_max_num_f64_e32 v[14:15], v[44:45], v[32:33]
	v_min_num_f64_e32 v[32:33], v[44:45], v[32:33]
	s_delay_alu instid0(VALU_DEP_3) | instskip(NEXT) | instid1(VALU_DEP_2)
	v_add_f64_e32 v[44:45], v[30:31], v[10:11]
	v_div_scale_f64 v[46:47], null, v[14:15], v[14:15], v[32:33]
	s_delay_alu instid0(VALU_DEP_2) | instskip(SKIP_1) | instid1(VALU_DEP_3)
	v_mul_f64_e32 v[48:49], v[44:45], v[44:45]
	v_add_f64_e64 v[30:31], v[44:45], -v[30:31]
	v_rcp_f64_e32 v[50:51], v[46:47]
	s_delay_alu instid0(VALU_DEP_2) | instskip(SKIP_1) | instid1(VALU_DEP_3)
	v_fmamk_f64 v[52:53], v[48:49], 0x3fc3ab76bf559e2b, v[38:39]
	v_mul_f64_e32 v[54:55], v[44:45], v[48:49]
	v_add_f64_e64 v[10:11], v[10:11], -v[30:31]
	s_delay_alu instid0(VALU_DEP_3) | instskip(NEXT) | instid1(TRANS32_DEP_1)
	v_fmaak_f64 v[52:53], v[48:49], v[52:53], 0x3fc7474dd7f4df2e
	v_fma_f64 v[56:57], -v[46:47], v[50:51], 1.0
	s_delay_alu instid0(VALU_DEP_2) | instskip(NEXT) | instid1(VALU_DEP_1)
	v_fmaak_f64 v[52:53], v[48:49], v[52:53], 0x3fcc71c016291751
	v_fmaak_f64 v[52:53], v[48:49], v[52:53], 0x3fd249249b27acf1
	s_delay_alu instid0(VALU_DEP_1) | instskip(SKIP_1) | instid1(VALU_DEP_2)
	v_fmaak_f64 v[52:53], v[48:49], v[52:53], 0x3fd99999998ef7b6
	v_ldexp_f64 v[10:11], v[10:11], 1
	v_fmaak_f64 v[48:49], v[48:49], v[52:53], 0x3fe5555555555780
	v_ldexp_f64 v[52:53], v[44:45], 1
	v_fmac_f64_e32 v[50:51], v[50:51], v[56:57]
	s_delay_alu instid0(VALU_DEP_3) | instskip(SKIP_2) | instid1(VALU_DEP_1)
	v_mul_f64_e32 v[48:49], v[54:55], v[48:49]
	v_cvt_f64_i32_e32 v[54:55], v8
	v_ashrrev_i32_e32 v8, 31, v3
	v_and_b32_e32 v16, 0x54442d18, v8
	v_fma_f64 v[56:57], -v[46:47], v[50:51], 1.0
	v_add_f64_e32 v[44:45], v[52:53], v[48:49]
	v_mul_f64_e32 v[58:59], 0x3fe62e42fefa39ef, v[54:55]
	s_delay_alu instid0(VALU_DEP_3) | instskip(NEXT) | instid1(VALU_DEP_3)
	v_fmac_f64_e32 v[50:51], v[50:51], v[56:57]
	v_add_f64_e64 v[30:31], v[44:45], -v[52:53]
	v_div_scale_f64 v[52:53], vcc_lo, v[32:33], v[14:15], v[32:33]
	s_delay_alu instid0(VALU_DEP_4) | instskip(NEXT) | instid1(VALU_DEP_3)
	v_fma_f64 v[56:57], v[54:55], s[22:23], -v[58:59]
	v_add_f64_e64 v[30:31], v[48:49], -v[30:31]
	s_delay_alu instid0(VALU_DEP_3) | instskip(NEXT) | instid1(VALU_DEP_3)
	v_mul_f64_e32 v[48:49], v[52:53], v[50:51]
	v_fmac_f64_e32 v[56:57], 0x3c7abc9e3b39803f, v[54:55]
	s_delay_alu instid0(VALU_DEP_3) | instskip(NEXT) | instid1(VALU_DEP_3)
	v_add_f64_e32 v[10:11], v[10:11], v[30:31]
	v_fma_f64 v[30:31], -v[46:47], v[48:49], v[52:53]
	s_delay_alu instid0(VALU_DEP_3) | instskip(NEXT) | instid1(VALU_DEP_3)
	v_add_f64_e32 v[46:47], v[58:59], v[56:57]
	v_add_f64_e32 v[52:53], v[44:45], v[10:11]
	s_delay_alu instid0(VALU_DEP_3) | instskip(SKIP_1) | instid1(VALU_DEP_4)
	v_div_fmas_f64 v[30:31], v[30:31], v[50:51], v[48:49]
	v_cmp_gt_i32_e32 vcc_lo, 0, v3
	v_add_f64_e64 v[50:51], v[46:47], -v[58:59]
	v_and_b32_e32 v3, 0x400921fb, v8
	v_cndmask_b32_e32 v12, 0x54442d18, v60, vcc_lo
	v_cndmask_b32_e32 v2, 0x3fe921fb, v61, vcc_lo
	s_delay_alu instid0(VALU_DEP_1) | instskip(SKIP_4) | instid1(VALU_DEP_4)
	v_bfi_b32 v2, 0x7fffffff, v2, v5
	v_add_f64_e32 v[48:49], v[46:47], v[52:53]
	v_div_fixup_f64 v[14:15], v[30:31], v[14:15], v[32:33]
	v_add_f64_e64 v[44:45], v[52:53], -v[44:45]
	v_add_f64_e64 v[50:51], v[56:57], -v[50:51]
	v_add_f64_e64 v[30:31], v[48:49], -v[46:47]
	s_delay_alu instid0(VALU_DEP_4) | instskip(NEXT) | instid1(VALU_DEP_4)
	v_mul_f64_e32 v[32:33], v[14:15], v[14:15]
	v_add_f64_e64 v[10:11], v[10:11], -v[44:45]
	s_delay_alu instid0(VALU_DEP_3) | instskip(NEXT) | instid1(VALU_DEP_3)
	v_add_f64_e64 v[54:55], v[48:49], -v[30:31]
	v_fmamk_f64 v[58:59], v[32:33], 0x3eeba404b5e68a13, v[40:41]
	v_add_f64_e64 v[30:31], v[52:53], -v[30:31]
	s_delay_alu instid0(VALU_DEP_4) | instskip(NEXT) | instid1(VALU_DEP_3)
	v_add_f64_e32 v[52:53], v[50:51], v[10:11]
	v_fmaak_f64 v[58:59], v[32:33], v[58:59], 0x3f4b2bb069efb384
	v_add_f64_e64 v[44:45], v[46:47], -v[54:55]
	s_delay_alu instid0(VALU_DEP_2) | instskip(NEXT) | instid1(VALU_DEP_1)
	v_fmaak_f64 v[46:47], v[32:33], v[58:59], 0xbf67952daf56de9b
	v_fmaak_f64 v[46:47], v[32:33], v[46:47], 0x3f7d6d43a595c56f
	s_delay_alu instid0(VALU_DEP_1) | instskip(NEXT) | instid1(VALU_DEP_1)
	v_fmaak_f64 v[46:47], v[32:33], v[46:47], 0xbf8c6ea4a57d9582
	v_fmaak_f64 v[46:47], v[32:33], v[46:47], 0x3f967e295f08b19f
	s_delay_alu instid0(VALU_DEP_1) | instskip(SKIP_1) | instid1(VALU_DEP_2)
	v_fmaak_f64 v[46:47], v[32:33], v[46:47], 0xbf9e9ae6fc27006a
	v_add_f64_e32 v[30:31], v[30:31], v[44:45]
	v_fmaak_f64 v[44:45], v[32:33], v[46:47], 0x3fa2c15b5711927a
	v_add_f64_e64 v[46:47], v[52:53], -v[50:51]
	s_delay_alu instid0(VALU_DEP_2) | instskip(NEXT) | instid1(VALU_DEP_1)
	v_fmaak_f64 v[44:45], v[32:33], v[44:45], 0xbfa59976e82d3ff0
	v_fmaak_f64 v[44:45], v[32:33], v[44:45], 0x3fa82d5d6ef28734
	s_delay_alu instid0(VALU_DEP_1) | instskip(NEXT) | instid1(VALU_DEP_1)
	v_fmaak_f64 v[44:45], v[32:33], v[44:45], 0xbfaae5ce6a214619
	v_fmaak_f64 v[44:45], v[32:33], v[44:45], 0x3fae1bb48427b883
	v_add_f64_e32 v[30:31], v[52:53], v[30:31]
	v_add_f64_e64 v[52:53], v[52:53], -v[46:47]
	v_add_f64_e64 v[10:11], v[10:11], -v[46:47]
	s_delay_alu instid0(VALU_DEP_4) | instskip(NEXT) | instid1(VALU_DEP_1)
	v_fmaak_f64 v[44:45], v[32:33], v[44:45], 0xbfb110e48b207f05
	v_fmaak_f64 v[44:45], v[32:33], v[44:45], 0x3fb3b13657b87036
	s_delay_alu instid0(VALU_DEP_1) | instskip(NEXT) | instid1(VALU_DEP_1)
	v_fmaak_f64 v[44:45], v[32:33], v[44:45], 0xbfb745d119378e4f
	v_fmaak_f64 v[44:45], v[32:33], v[44:45], 0x3fbc71c717e1913c
	v_add_f64_e32 v[54:55], v[48:49], v[30:31]
	s_delay_alu instid0(VALU_DEP_2) | instskip(NEXT) | instid1(VALU_DEP_1)
	v_fmaak_f64 v[44:45], v[32:33], v[44:45], 0xbfc2492492376b7d
	v_fmaak_f64 v[44:45], v[32:33], v[44:45], 0x3fc99999999952cc
	s_delay_alu instid0(VALU_DEP_1) | instskip(NEXT) | instid1(VALU_DEP_1)
	v_fmaak_f64 v[44:45], v[32:33], v[44:45], 0xbfd5555555555523
	v_mul_f64_e32 v[32:33], v[32:33], v[44:45]
	v_add_f64_e64 v[44:45], v[50:51], -v[52:53]
	v_add_f64_e64 v[46:47], v[54:55], -v[48:49]
	s_delay_alu instid0(VALU_DEP_3) | instskip(NEXT) | instid1(VALU_DEP_3)
	v_fmac_f64_e32 v[14:15], v[14:15], v[32:33]
	v_add_f64_e32 v[10:11], v[10:11], v[44:45]
	s_delay_alu instid0(VALU_DEP_3) | instskip(NEXT) | instid1(VALU_DEP_3)
	v_add_f64_e64 v[30:31], v[30:31], -v[46:47]
	v_add_f64_e64 v[32:33], -v[14:15], s[24:25]
	s_delay_alu instid0(VALU_DEP_2) | instskip(NEXT) | instid1(VALU_DEP_2)
	v_add_f64_e32 v[10:11], v[10:11], v[30:31]
	v_dual_cndmask_b32 v15, v15, v33, s0 :: v_dual_cndmask_b32 v14, v14, v32, s0
	s_delay_alu instid0(VALU_DEP_1) | instskip(NEXT) | instid1(VALU_DEP_3)
	v_add_f64_e64 v[30:31], -v[14:15], s[26:27]
	v_add_f64_e32 v[10:11], v[54:55], v[10:11]
	s_delay_alu instid0(VALU_DEP_2) | instskip(SKIP_1) | instid1(VALU_DEP_2)
	v_dual_cndmask_b32 v14, v14, v30, vcc_lo :: v_dual_cndmask_b32 v8, v15, v31, vcc_lo
	v_cmp_ngt_f64_e32 vcc_lo, -1.0, v[6:7]
	v_dual_mul_f64 v[10:11], 0.5, v[10:11] :: v_dual_cndmask_b32 v14, v14, v16, s1
	s_delay_alu instid0(VALU_DEP_3)
	v_cndmask_b32_e64 v3, v8, v3, s1
	s_and_b32 s1, s2, s3
	s_delay_alu instid0(VALU_DEP_2) | instid1(SALU_CYCLE_1)
	v_cndmask_b32_e64 v30, 0, v10, s1
	v_cmp_neq_f64_e64 s1, -1.0, v[6:7]
	s_delay_alu instid0(VALU_DEP_4) | instskip(NEXT) | instid1(VALU_DEP_1)
	v_cndmask_b32_e64 v11, 0x7ff00000, v11, s3
	v_cndmask_b32_e32 v8, 0x7ff80000, v11, vcc_lo
	s_and_b32 vcc_lo, s6, s5
                                        ; implicit-def: $vgpr10_vgpr11
	v_dual_cndmask_b32 v33, v3, v2 :: v_dual_cndmask_b32 v32, v14, v12
                                        ; implicit-def: $vgpr14_vgpr15
	s_delay_alu instid0(VALU_DEP_2)
	v_cndmask_b32_e64 v31, 0xfff00000, v8, s1
.LBB173_270:                            ;   in Loop: Header=BB173_162 Depth=1
	s_and_not1_saveexec_b32 s41, s4
	s_cbranch_execz .LBB173_278
; %bb.271:                              ;   in Loop: Header=BB173_162 Depth=1
	v_mul_f64_e32 v[6:7], v[10:11], v[10:11]
                                        ; implicit-def: $vgpr30_vgpr31
	s_mov_b32 s1, exec_lo
	s_delay_alu instid0(VALU_DEP_1) | instskip(NEXT) | instid1(VALU_DEP_1)
	v_fmac_f64_e32 v[6:7], v[14:15], v[14:15]
	v_cmpx_ge_f64_e32 s[28:29], v[6:7]
	s_xor_b32 s3, exec_lo, s1
	s_cbranch_execz .LBB173_273
; %bb.272:                              ;   in Loop: Header=BB173_162 Depth=1
	v_frexp_mant_f64_e32 v[10:11], v[6:7]
	v_cmp_eq_f64_e64 s1, 0, v[4:5]
	v_cmp_neq_f64_e64 s2, 0, v[6:7]
	v_cmp_class_f64_e64 s4, v[4:5], 0x204
	v_cmp_class_f64_e64 s5, v[2:3], 0x204
	v_cmp_gt_f64_e32 vcc_lo, s[20:21], v[10:11]
	v_cndmask_b32_e64 v8, 0, 1, vcc_lo
	s_delay_alu instid0(VALU_DEP_1) | instskip(SKIP_1) | instid1(VALU_DEP_2)
	v_ldexp_f64 v[10:11], v[10:11], v8
	v_frexp_exp_i32_f64_e32 v8, v[6:7]
	v_add_f64_e32 v[14:15], 1.0, v[10:11]
	v_add_f64_e32 v[44:45], -1.0, v[10:11]
	s_delay_alu instid0(VALU_DEP_3) | instskip(NEXT) | instid1(VALU_DEP_3)
	v_subrev_co_ci_u32_e64 v8, null, 0, v8, vcc_lo
	v_rcp_f64_e32 v[30:31], v[14:15]
	v_add_f64_e32 v[46:47], -1.0, v[14:15]
	s_delay_alu instid0(VALU_DEP_1) | instskip(NEXT) | instid1(TRANS32_DEP_1)
	v_add_f64_e64 v[10:11], v[10:11], -v[46:47]
	v_fma_f64 v[32:33], -v[14:15], v[30:31], 1.0
	s_delay_alu instid0(VALU_DEP_1) | instskip(NEXT) | instid1(VALU_DEP_1)
	v_fmac_f64_e32 v[30:31], v[32:33], v[30:31]
	v_fma_f64 v[32:33], -v[14:15], v[30:31], 1.0
	s_delay_alu instid0(VALU_DEP_1) | instskip(NEXT) | instid1(VALU_DEP_1)
	v_fmac_f64_e32 v[30:31], v[32:33], v[30:31]
	v_mul_f64_e32 v[32:33], v[44:45], v[30:31]
	s_delay_alu instid0(VALU_DEP_1) | instskip(NEXT) | instid1(VALU_DEP_1)
	v_mul_f64_e32 v[48:49], v[14:15], v[32:33]
	v_fma_f64 v[14:15], v[32:33], v[14:15], -v[48:49]
	s_delay_alu instid0(VALU_DEP_1) | instskip(NEXT) | instid1(VALU_DEP_1)
	v_fmac_f64_e32 v[14:15], v[32:33], v[10:11]
	v_add_f64_e32 v[10:11], v[48:49], v[14:15]
	s_delay_alu instid0(VALU_DEP_1) | instskip(SKIP_1) | instid1(VALU_DEP_2)
	v_add_f64_e64 v[46:47], v[44:45], -v[10:11]
	v_add_f64_e64 v[48:49], v[10:11], -v[48:49]
	;; [unrolled: 1-line block ×3, first 2 shown]
	s_delay_alu instid0(VALU_DEP_2) | instskip(NEXT) | instid1(VALU_DEP_2)
	v_add_f64_e64 v[14:15], v[48:49], -v[14:15]
	v_add_f64_e64 v[10:11], v[44:45], -v[10:11]
	v_max_num_f64_e64 v[44:45], |v[2:3]|, |v[2:3]|
	s_delay_alu instid0(VALU_DEP_2) | instskip(SKIP_1) | instid1(VALU_DEP_2)
	v_add_f64_e32 v[10:11], v[14:15], v[10:11]
	v_max_num_f64_e64 v[14:15], |v[4:5]|, |v[4:5]|
	v_add_f64_e32 v[10:11], v[46:47], v[10:11]
	s_delay_alu instid0(VALU_DEP_1) | instskip(NEXT) | instid1(VALU_DEP_3)
	v_mul_f64_e32 v[10:11], v[30:31], v[10:11]
	v_max_num_f64_e32 v[30:31], v[44:45], v[14:15]
	v_min_num_f64_e32 v[14:15], v[44:45], v[14:15]
	s_delay_alu instid0(VALU_DEP_3) | instskip(NEXT) | instid1(VALU_DEP_2)
	v_add_f64_e32 v[44:45], v[32:33], v[10:11]
	v_div_scale_f64 v[46:47], null, v[30:31], v[30:31], v[14:15]
	s_delay_alu instid0(VALU_DEP_2) | instskip(SKIP_1) | instid1(VALU_DEP_3)
	v_mul_f64_e32 v[48:49], v[44:45], v[44:45]
	v_add_f64_e64 v[32:33], v[44:45], -v[32:33]
	v_rcp_f64_e32 v[50:51], v[46:47]
	s_delay_alu instid0(VALU_DEP_2) | instskip(SKIP_1) | instid1(VALU_DEP_3)
	v_fmamk_f64 v[52:53], v[48:49], 0x3fc3ab76bf559e2b, v[38:39]
	v_mul_f64_e32 v[54:55], v[44:45], v[48:49]
	v_add_f64_e64 v[10:11], v[10:11], -v[32:33]
	s_delay_alu instid0(VALU_DEP_3) | instskip(NEXT) | instid1(TRANS32_DEP_1)
	v_fmaak_f64 v[52:53], v[48:49], v[52:53], 0x3fc7474dd7f4df2e
	v_fma_f64 v[56:57], -v[46:47], v[50:51], 1.0
	s_delay_alu instid0(VALU_DEP_2) | instskip(NEXT) | instid1(VALU_DEP_1)
	v_fmaak_f64 v[52:53], v[48:49], v[52:53], 0x3fcc71c016291751
	v_fmaak_f64 v[52:53], v[48:49], v[52:53], 0x3fd249249b27acf1
	s_delay_alu instid0(VALU_DEP_1) | instskip(SKIP_1) | instid1(VALU_DEP_2)
	v_fmaak_f64 v[52:53], v[48:49], v[52:53], 0x3fd99999998ef7b6
	v_ldexp_f64 v[10:11], v[10:11], 1
	v_fmaak_f64 v[48:49], v[48:49], v[52:53], 0x3fe5555555555780
	v_ldexp_f64 v[52:53], v[44:45], 1
	v_fmac_f64_e32 v[50:51], v[50:51], v[56:57]
	s_delay_alu instid0(VALU_DEP_3) | instskip(SKIP_2) | instid1(VALU_DEP_1)
	v_mul_f64_e32 v[48:49], v[54:55], v[48:49]
	v_cvt_f64_i32_e32 v[54:55], v8
	v_ashrrev_i32_e32 v8, 31, v3
	v_and_b32_e32 v16, 0x54442d18, v8
	v_and_b32_e32 v7, 0x400921fb, v8
	v_fma_f64 v[56:57], -v[46:47], v[50:51], 1.0
	v_add_f64_e32 v[44:45], v[52:53], v[48:49]
	v_mul_f64_e32 v[58:59], 0x3fe62e42fefa39ef, v[54:55]
	s_delay_alu instid0(VALU_DEP_3) | instskip(NEXT) | instid1(VALU_DEP_3)
	v_fmac_f64_e32 v[50:51], v[50:51], v[56:57]
	v_add_f64_e64 v[32:33], v[44:45], -v[52:53]
	v_div_scale_f64 v[52:53], vcc_lo, v[14:15], v[30:31], v[14:15]
	s_delay_alu instid0(VALU_DEP_4) | instskip(NEXT) | instid1(VALU_DEP_3)
	v_fma_f64 v[56:57], v[54:55], s[22:23], -v[58:59]
	v_add_f64_e64 v[32:33], v[48:49], -v[32:33]
	s_delay_alu instid0(VALU_DEP_3) | instskip(NEXT) | instid1(VALU_DEP_3)
	v_mul_f64_e32 v[48:49], v[52:53], v[50:51]
	v_fmac_f64_e32 v[56:57], 0x3c7abc9e3b39803f, v[54:55]
	s_delay_alu instid0(VALU_DEP_3) | instskip(NEXT) | instid1(VALU_DEP_3)
	v_add_f64_e32 v[10:11], v[10:11], v[32:33]
	v_fma_f64 v[32:33], -v[46:47], v[48:49], v[52:53]
	s_delay_alu instid0(VALU_DEP_3) | instskip(NEXT) | instid1(VALU_DEP_3)
	v_add_f64_e32 v[46:47], v[58:59], v[56:57]
	v_add_f64_e32 v[52:53], v[44:45], v[10:11]
	s_delay_alu instid0(VALU_DEP_3) | instskip(SKIP_1) | instid1(VALU_DEP_4)
	v_div_fmas_f64 v[32:33], v[32:33], v[50:51], v[48:49]
	v_cmp_gt_i32_e32 vcc_lo, 0, v3
	v_add_f64_e64 v[50:51], v[46:47], -v[58:59]
	v_cndmask_b32_e32 v6, 0x3fe921fb, v61, vcc_lo
	v_cndmask_b32_e32 v12, 0x54442d18, v60, vcc_lo
	s_delay_alu instid0(VALU_DEP_2) | instskip(SKIP_4) | instid1(VALU_DEP_4)
	v_bfi_b32 v6, 0x7fffffff, v6, v5
	v_add_f64_e32 v[48:49], v[46:47], v[52:53]
	v_div_fixup_f64 v[14:15], v[32:33], v[30:31], v[14:15]
	v_add_f64_e64 v[44:45], v[52:53], -v[44:45]
	v_add_f64_e64 v[50:51], v[56:57], -v[50:51]
	;; [unrolled: 1-line block ×3, first 2 shown]
	s_delay_alu instid0(VALU_DEP_4) | instskip(NEXT) | instid1(VALU_DEP_4)
	v_mul_f64_e32 v[32:33], v[14:15], v[14:15]
	v_add_f64_e64 v[10:11], v[10:11], -v[44:45]
	s_delay_alu instid0(VALU_DEP_3) | instskip(NEXT) | instid1(VALU_DEP_3)
	v_add_f64_e64 v[54:55], v[48:49], -v[30:31]
	v_fmamk_f64 v[58:59], v[32:33], 0x3eeba404b5e68a13, v[40:41]
	v_add_f64_e64 v[30:31], v[52:53], -v[30:31]
	s_delay_alu instid0(VALU_DEP_4) | instskip(NEXT) | instid1(VALU_DEP_3)
	v_add_f64_e32 v[52:53], v[50:51], v[10:11]
	v_fmaak_f64 v[58:59], v[32:33], v[58:59], 0x3f4b2bb069efb384
	s_delay_alu instid0(VALU_DEP_1) | instskip(SKIP_1) | instid1(VALU_DEP_2)
	v_fmaak_f64 v[58:59], v[32:33], v[58:59], 0xbf67952daf56de9b
	v_add_f64_e64 v[44:45], v[46:47], -v[54:55]
	v_fmaak_f64 v[46:47], v[32:33], v[58:59], 0x3f7d6d43a595c56f
	s_delay_alu instid0(VALU_DEP_1) | instskip(NEXT) | instid1(VALU_DEP_1)
	v_fmaak_f64 v[46:47], v[32:33], v[46:47], 0xbf8c6ea4a57d9582
	v_fmaak_f64 v[46:47], v[32:33], v[46:47], 0x3f967e295f08b19f
	s_delay_alu instid0(VALU_DEP_1) | instskip(NEXT) | instid1(VALU_DEP_1)
	v_fmaak_f64 v[46:47], v[32:33], v[46:47], 0xbf9e9ae6fc27006a
	v_fmaak_f64 v[46:47], v[32:33], v[46:47], 0x3fa2c15b5711927a
	v_add_f64_e32 v[30:31], v[30:31], v[44:45]
	s_delay_alu instid0(VALU_DEP_2) | instskip(SKIP_1) | instid1(VALU_DEP_2)
	v_fmaak_f64 v[44:45], v[32:33], v[46:47], 0xbfa59976e82d3ff0
	v_add_f64_e64 v[46:47], v[52:53], -v[50:51]
	v_fmaak_f64 v[44:45], v[32:33], v[44:45], 0x3fa82d5d6ef28734
	s_delay_alu instid0(VALU_DEP_1) | instskip(NEXT) | instid1(VALU_DEP_1)
	v_fmaak_f64 v[44:45], v[32:33], v[44:45], 0xbfaae5ce6a214619
	v_fmaak_f64 v[44:45], v[32:33], v[44:45], 0x3fae1bb48427b883
	s_delay_alu instid0(VALU_DEP_1) | instskip(SKIP_3) | instid1(VALU_DEP_4)
	v_fmaak_f64 v[44:45], v[32:33], v[44:45], 0xbfb110e48b207f05
	v_add_f64_e32 v[30:31], v[52:53], v[30:31]
	v_add_f64_e64 v[52:53], v[52:53], -v[46:47]
	v_add_f64_e64 v[10:11], v[10:11], -v[46:47]
	v_fmaak_f64 v[44:45], v[32:33], v[44:45], 0x3fb3b13657b87036
	s_delay_alu instid0(VALU_DEP_1) | instskip(NEXT) | instid1(VALU_DEP_1)
	v_fmaak_f64 v[44:45], v[32:33], v[44:45], 0xbfb745d119378e4f
	v_fmaak_f64 v[44:45], v[32:33], v[44:45], 0x3fbc71c717e1913c
	s_delay_alu instid0(VALU_DEP_1) | instskip(SKIP_1) | instid1(VALU_DEP_2)
	v_fmaak_f64 v[44:45], v[32:33], v[44:45], 0xbfc2492492376b7d
	v_add_f64_e32 v[54:55], v[48:49], v[30:31]
	v_fmaak_f64 v[44:45], v[32:33], v[44:45], 0x3fc99999999952cc
	s_delay_alu instid0(VALU_DEP_1) | instskip(NEXT) | instid1(VALU_DEP_1)
	v_fmaak_f64 v[44:45], v[32:33], v[44:45], 0xbfd5555555555523
	v_mul_f64_e32 v[32:33], v[32:33], v[44:45]
	v_add_f64_e64 v[44:45], v[50:51], -v[52:53]
	v_add_f64_e64 v[46:47], v[54:55], -v[48:49]
	s_delay_alu instid0(VALU_DEP_3) | instskip(NEXT) | instid1(VALU_DEP_3)
	v_fmac_f64_e32 v[14:15], v[14:15], v[32:33]
	v_add_f64_e32 v[10:11], v[10:11], v[44:45]
	s_delay_alu instid0(VALU_DEP_3) | instskip(NEXT) | instid1(VALU_DEP_3)
	v_add_f64_e64 v[30:31], v[30:31], -v[46:47]
	v_add_f64_e64 v[32:33], -v[14:15], s[24:25]
	s_delay_alu instid0(VALU_DEP_2) | instskip(NEXT) | instid1(VALU_DEP_2)
	v_add_f64_e32 v[10:11], v[10:11], v[30:31]
	v_dual_cndmask_b32 v15, v15, v33, s0 :: v_dual_cndmask_b32 v14, v14, v32, s0
	s_delay_alu instid0(VALU_DEP_1) | instskip(NEXT) | instid1(VALU_DEP_3)
	v_add_f64_e64 v[30:31], -v[14:15], s[26:27]
	v_add_f64_e32 v[10:11], v[54:55], v[10:11]
	s_delay_alu instid0(VALU_DEP_2) | instskip(SKIP_1) | instid1(VALU_DEP_1)
	v_dual_cndmask_b32 v14, v14, v30, vcc_lo :: v_dual_cndmask_b32 v8, v15, v31, vcc_lo
	s_and_b32 vcc_lo, s5, s4
	v_cndmask_b32_e64 v7, v8, v7, s1
	s_delay_alu instid0(VALU_DEP_2) | instskip(NEXT) | instid1(VALU_DEP_2)
	v_dual_mul_f64 v[2:3], 0.5, v[10:11] :: v_dual_cndmask_b32 v10, v14, v16, s1
	v_cndmask_b32_e32 v33, v7, v6, vcc_lo
                                        ; implicit-def: $vgpr14_vgpr15
	s_delay_alu instid0(VALU_DEP_2) | instskip(NEXT) | instid1(VALU_DEP_3)
	v_cndmask_b32_e32 v32, v10, v12, vcc_lo
                                        ; implicit-def: $vgpr10_vgpr11
	v_cndmask_b32_e64 v31, 0xfff00000, v3, s2
	s_delay_alu instid0(VALU_DEP_4)
	v_cndmask_b32_e64 v30, 0, v2, s2
.LBB173_273:                            ;   in Loop: Header=BB173_162 Depth=1
	s_and_not1_saveexec_b32 s42, s3
	s_cbranch_execz .LBB173_277
; %bb.274:                              ;   in Loop: Header=BB173_162 Depth=1
	v_and_b32_e32 v37, 0x7ffffff8, v15
	v_and_b32_e32 v31, 0x7ffffff8, v11
	v_mov_b32_e32 v30, v36
	s_mov_b32 s43, 0
	s_delay_alu instid0(VALU_DEP_3) | instskip(NEXT) | instid1(VALU_DEP_2)
	v_dual_add_f64 v[6:7], v[14:15], -v[36:37] :: v_dual_mov_b32 v32, v36
	v_dual_add_f64 v[10:11], v[10:11], -v[30:31] :: v_dual_mov_b32 v44, v36
	v_add_f64_e32 v[46:47], v[36:37], v[36:37]
	v_add_f64_e32 v[54:55], v[30:31], v[30:31]
	v_mul_f64_e32 v[30:31], v[30:31], v[30:31]
	v_and_b32_e32 v33, -8, v7
	s_delay_alu instid0(VALU_DEP_1) | instskip(SKIP_1) | instid1(VALU_DEP_2)
	v_dual_add_f64 v[56:57], v[6:7], -v[32:33] :: v_dual_bitop2_b32 v45, -8, v11 bitop3:0x40
	v_add_f64_e32 v[62:63], v[32:33], v[32:33]
	v_add_f64_e64 v[58:59], v[10:11], -v[44:45]
	v_add_f64_e32 v[64:65], v[44:45], v[44:45]
	v_mul_f64_e32 v[6:7], v[36:37], v[36:37]
	v_mul_f64_e32 v[52:53], v[46:47], v[32:33]
	;; [unrolled: 1-line block ×11, first 2 shown]
.LBB173_275:                            ;   Parent Loop BB173_162 Depth=1
                                        ; =>  This Inner Loop Header: Depth=2
	v_cmp_nlt_f64_e32 vcc_lo, v[6:7], v[30:31]
	v_dual_cndmask_b32 v59, v7, v31 :: v_dual_cndmask_b32 v58, v6, v30
	v_dual_cndmask_b32 v7, v31, v7 :: v_dual_cndmask_b32 v6, v30, v6
	s_delay_alu instid0(VALU_DEP_2) | instskip(NEXT) | instid1(VALU_DEP_1)
	v_cmp_nlt_f64_e64 s1, v[58:59], v[52:53]
	v_dual_cndmask_b32 v63, v59, v53, s1 :: v_dual_cndmask_b32 v62, v58, v52, s1
	v_dual_cndmask_b32 v31, v53, v59, s1 :: v_dual_cndmask_b32 v30, v52, v58, s1
	s_and_b32 s1, vcc_lo, s1
	s_delay_alu instid0(VALU_DEP_2) | instskip(NEXT) | instid1(VALU_DEP_1)
	v_cmp_nlt_f64_e64 s2, v[62:63], v[14:15]
	v_dual_cndmask_b32 v65, v63, v15, s2 :: v_dual_cndmask_b32 v64, v62, v14, s2
	v_dual_cndmask_b32 v53, v15, v63, s2 :: v_dual_cndmask_b32 v52, v14, v62, s2
	s_delay_alu instid0(VALU_DEP_2) | instskip(NEXT) | instid1(VALU_DEP_1)
	v_cmp_nlt_f64_e64 s3, v[64:65], v[50:51]
	v_dual_cndmask_b32 v67, v65, v51, s3 :: v_dual_cndmask_b32 v66, v64, v50, s3
	v_dual_cndmask_b32 v15, v51, v65, s3 :: v_dual_cndmask_b32 v14, v50, v64, s3
	s_and_b32 s2, s2, s3
	s_delay_alu instid0(VALU_DEP_2) | instskip(NEXT) | instid1(VALU_DEP_1)
	v_cmp_nlt_f64_e64 s4, v[66:67], v[10:11]
	v_dual_cndmask_b32 v69, v67, v11, s4 :: v_dual_cndmask_b32 v68, v66, v10, s4
	v_dual_cndmask_b32 v51, v11, v67, s4 :: v_dual_cndmask_b32 v50, v10, v66, s4
	s_delay_alu instid0(VALU_DEP_2) | instskip(NEXT) | instid1(VALU_DEP_1)
	v_cmp_nlt_f64_e64 s5, v[68:69], v[48:49]
	v_dual_cndmask_b32 v71, v69, v49, s5 :: v_dual_cndmask_b32 v70, v68, v48, s5
	s_and_b32 s3, s4, s5
	v_dual_cndmask_b32 v11, v49, v69, s5 :: v_dual_cndmask_b32 v10, v48, v68, s5
	s_delay_alu instid0(VALU_DEP_2) | instskip(NEXT) | instid1(VALU_DEP_1)
	v_cmp_nlt_f64_e64 s6, v[70:71], v[46:47]
	v_dual_cndmask_b32 v73, v71, v47, s6 :: v_dual_cndmask_b32 v72, v70, v46, s6
	s_and_b32 s3, s3, s6
	;; [unrolled: 5-line block ×6, first 2 shown]
	v_dual_cndmask_b32 v55, v57, v79, s10 :: v_dual_cndmask_b32 v54, v56, v78, s10
	s_and_b32 s2, s3, s2
	s_delay_alu instid0(VALU_DEP_2) | instskip(SKIP_1) | instid1(SALU_CYCLE_1)
	v_mov_b64_e32 v[56:57], v[58:59]
	s_and_b32 s1, s2, s1
	s_and_b32 s1, exec_lo, s1
	s_delay_alu instid0(SALU_CYCLE_1) | instskip(NEXT) | instid1(SALU_CYCLE_1)
	s_or_b32 s43, s1, s43
	s_and_not1_b32 exec_lo, exec_lo, s43
	s_cbranch_execnz .LBB173_275
; %bb.276:                              ;   in Loop: Header=BB173_162 Depth=1
	s_or_b32 exec_lo, exec_lo, s43
	v_add_f64_e32 v[6:7], -1.0, v[6:7]
	v_cmp_eq_f64_e64 s1, 0, v[4:5]
	v_cmp_class_f64_e64 s5, v[2:3], 0x204
	v_cmp_class_f64_e64 s4, v[4:5], 0x204
	s_delay_alu instid0(VALU_DEP_4) | instskip(NEXT) | instid1(VALU_DEP_1)
	v_add_f64_e32 v[6:7], v[6:7], v[30:31]
	v_add_f64_e32 v[6:7], v[6:7], v[52:53]
	s_delay_alu instid0(VALU_DEP_1) | instskip(NEXT) | instid1(VALU_DEP_1)
	v_add_f64_e32 v[6:7], v[6:7], v[14:15]
	v_add_f64_e32 v[6:7], v[6:7], v[50:51]
	s_delay_alu instid0(VALU_DEP_1) | instskip(NEXT) | instid1(VALU_DEP_1)
	;; [unrolled: 3-line block ×5, first 2 shown]
	v_add_f64_e32 v[6:7], v[58:59], v[6:7]
	v_add_f64_e32 v[10:11], 1.0, v[6:7]
	v_cmp_nge_f64_e64 s2, -1.0, v[6:7]
	v_cmp_neq_f64_e64 s3, 0x7ff00000, v[6:7]
	s_delay_alu instid0(VALU_DEP_3) | instskip(SKIP_2) | instid1(VALU_DEP_3)
	v_frexp_mant_f64_e32 v[14:15], v[10:11]
	v_frexp_exp_i32_f64_e32 v8, v[10:11]
	v_add_f64_e32 v[30:31], -1.0, v[10:11]
	v_cmp_gt_f64_e32 vcc_lo, s[20:21], v[14:15]
	s_delay_alu instid0(VALU_DEP_2) | instskip(SKIP_2) | instid1(VALU_DEP_1)
	v_add_f64_e64 v[14:15], v[30:31], -v[10:11]
	v_add_f64_e64 v[30:31], v[6:7], -v[30:31]
	v_subrev_co_ci_u32_e64 v8, null, 0, v8, vcc_lo
	v_dual_add_f64 v[14:15], 1.0, v[14:15] :: v_dual_sub_nc_u32 v12, 0, v8
	s_delay_alu instid0(VALU_DEP_1) | instskip(NEXT) | instid1(VALU_DEP_2)
	v_ldexp_f64 v[10:11], v[10:11], v12
	v_add_f64_e32 v[14:15], v[30:31], v[14:15]
	s_delay_alu instid0(VALU_DEP_2) | instskip(SKIP_1) | instid1(VALU_DEP_3)
	v_add_f64_e32 v[32:33], 1.0, v[10:11]
	v_add_f64_e32 v[48:49], -1.0, v[10:11]
	v_ldexp_f64 v[14:15], v[14:15], v12
	s_delay_alu instid0(VALU_DEP_3) | instskip(NEXT) | instid1(VALU_DEP_3)
	v_add_f64_e32 v[30:31], -1.0, v[32:33]
	v_add_f64_e32 v[50:51], 1.0, v[48:49]
	s_delay_alu instid0(VALU_DEP_2) | instskip(NEXT) | instid1(VALU_DEP_2)
	v_add_f64_e64 v[30:31], v[10:11], -v[30:31]
	v_add_f64_e64 v[10:11], v[10:11], -v[50:51]
	s_delay_alu instid0(VALU_DEP_2) | instskip(NEXT) | instid1(VALU_DEP_2)
	v_add_f64_e32 v[30:31], v[14:15], v[30:31]
	v_add_f64_e32 v[10:11], v[14:15], v[10:11]
	s_delay_alu instid0(VALU_DEP_2) | instskip(NEXT) | instid1(VALU_DEP_2)
	v_add_f64_e32 v[44:45], v[32:33], v[30:31]
	v_add_f64_e32 v[50:51], v[48:49], v[10:11]
	s_delay_alu instid0(VALU_DEP_2) | instskip(SKIP_1) | instid1(VALU_DEP_2)
	v_rcp_f64_e32 v[46:47], v[44:45]
	v_add_f64_e64 v[32:33], v[44:45], -v[32:33]
	v_add_f64_e64 v[48:49], v[50:51], -v[48:49]
	s_delay_alu instid0(VALU_DEP_2) | instskip(NEXT) | instid1(VALU_DEP_2)
	v_add_f64_e64 v[30:31], v[30:31], -v[32:33]
	v_add_f64_e64 v[10:11], v[10:11], -v[48:49]
	s_delay_alu instid0(TRANS32_DEP_1) | instskip(NEXT) | instid1(VALU_DEP_1)
	v_fma_f64 v[52:53], -v[44:45], v[46:47], 1.0
	v_fmac_f64_e32 v[46:47], v[52:53], v[46:47]
	s_delay_alu instid0(VALU_DEP_1) | instskip(NEXT) | instid1(VALU_DEP_1)
	v_fma_f64 v[14:15], -v[44:45], v[46:47], 1.0
	v_fmac_f64_e32 v[46:47], v[14:15], v[46:47]
	s_delay_alu instid0(VALU_DEP_1) | instskip(NEXT) | instid1(VALU_DEP_1)
	v_mul_f64_e32 v[14:15], v[50:51], v[46:47]
	v_mul_f64_e32 v[52:53], v[44:45], v[14:15]
	s_delay_alu instid0(VALU_DEP_1) | instskip(NEXT) | instid1(VALU_DEP_1)
	v_fma_f64 v[32:33], v[14:15], v[44:45], -v[52:53]
	v_fmac_f64_e32 v[32:33], v[14:15], v[30:31]
	s_delay_alu instid0(VALU_DEP_1) | instskip(NEXT) | instid1(VALU_DEP_1)
	v_add_f64_e32 v[54:55], v[52:53], v[32:33]
	v_add_f64_e64 v[56:57], v[50:51], -v[54:55]
	v_add_f64_e64 v[48:49], v[54:55], -v[52:53]
	s_delay_alu instid0(VALU_DEP_2) | instskip(NEXT) | instid1(VALU_DEP_2)
	v_add_f64_e64 v[50:51], v[50:51], -v[56:57]
	v_add_f64_e64 v[32:33], v[48:49], -v[32:33]
	s_delay_alu instid0(VALU_DEP_2) | instskip(NEXT) | instid1(VALU_DEP_1)
	v_add_f64_e64 v[50:51], v[50:51], -v[54:55]
	v_add_f64_e32 v[10:11], v[10:11], v[50:51]
	s_delay_alu instid0(VALU_DEP_1) | instskip(NEXT) | instid1(VALU_DEP_1)
	v_add_f64_e32 v[10:11], v[32:33], v[10:11]
	v_add_f64_e32 v[32:33], v[56:57], v[10:11]
	s_delay_alu instid0(VALU_DEP_1) | instskip(SKIP_1) | instid1(VALU_DEP_2)
	v_mul_f64_e32 v[48:49], v[46:47], v[32:33]
	v_add_f64_e64 v[54:55], v[56:57], -v[32:33]
	v_mul_f64_e32 v[50:51], v[44:45], v[48:49]
	s_delay_alu instid0(VALU_DEP_2) | instskip(NEXT) | instid1(VALU_DEP_2)
	v_add_f64_e32 v[10:11], v[10:11], v[54:55]
	v_fma_f64 v[44:45], v[48:49], v[44:45], -v[50:51]
	s_delay_alu instid0(VALU_DEP_1) | instskip(NEXT) | instid1(VALU_DEP_1)
	v_fmac_f64_e32 v[44:45], v[48:49], v[30:31]
	v_add_f64_e32 v[30:31], v[50:51], v[44:45]
	s_delay_alu instid0(VALU_DEP_1) | instskip(SKIP_1) | instid1(VALU_DEP_2)
	v_add_f64_e64 v[52:53], v[32:33], -v[30:31]
	v_add_f64_e64 v[50:51], v[30:31], -v[50:51]
	;; [unrolled: 1-line block ×3, first 2 shown]
	s_delay_alu instid0(VALU_DEP_1) | instskip(NEXT) | instid1(VALU_DEP_3)
	v_add_f64_e64 v[30:31], v[32:33], -v[30:31]
	v_add_f64_e64 v[32:33], v[50:51], -v[44:45]
	v_max_num_f64_e64 v[44:45], |v[2:3]|, |v[2:3]|
	s_delay_alu instid0(VALU_DEP_3) | instskip(SKIP_1) | instid1(VALU_DEP_2)
	v_add_f64_e32 v[10:11], v[10:11], v[30:31]
	v_add_f64_e32 v[30:31], v[14:15], v[48:49]
	;; [unrolled: 1-line block ×3, first 2 shown]
	s_delay_alu instid0(VALU_DEP_2) | instskip(SKIP_1) | instid1(VALU_DEP_3)
	v_add_f64_e64 v[14:15], v[30:31], -v[14:15]
	v_max_num_f64_e64 v[32:33], |v[4:5]|, |v[4:5]|
	v_add_f64_e32 v[10:11], v[52:53], v[10:11]
	s_delay_alu instid0(VALU_DEP_3) | instskip(NEXT) | instid1(VALU_DEP_2)
	v_add_f64_e64 v[14:15], v[48:49], -v[14:15]
	v_mul_f64_e32 v[10:11], v[46:47], v[10:11]
	s_delay_alu instid0(VALU_DEP_1) | instskip(SKIP_2) | instid1(VALU_DEP_3)
	v_add_f64_e32 v[10:11], v[14:15], v[10:11]
	v_max_num_f64_e32 v[14:15], v[44:45], v[32:33]
	v_min_num_f64_e32 v[32:33], v[44:45], v[32:33]
	v_add_f64_e32 v[44:45], v[30:31], v[10:11]
	s_delay_alu instid0(VALU_DEP_2) | instskip(NEXT) | instid1(VALU_DEP_2)
	v_div_scale_f64 v[46:47], null, v[14:15], v[14:15], v[32:33]
	v_mul_f64_e32 v[48:49], v[44:45], v[44:45]
	v_add_f64_e64 v[30:31], v[44:45], -v[30:31]
	s_delay_alu instid0(VALU_DEP_3) | instskip(NEXT) | instid1(VALU_DEP_2)
	v_rcp_f64_e32 v[50:51], v[46:47]
	v_fmamk_f64 v[52:53], v[48:49], 0x3fc3ab76bf559e2b, v[38:39]
	v_mul_f64_e32 v[54:55], v[44:45], v[48:49]
	s_delay_alu instid0(VALU_DEP_3) | instskip(NEXT) | instid1(VALU_DEP_3)
	v_add_f64_e64 v[10:11], v[10:11], -v[30:31]
	v_fmaak_f64 v[52:53], v[48:49], v[52:53], 0x3fc7474dd7f4df2e
	s_delay_alu instid0(TRANS32_DEP_1) | instskip(NEXT) | instid1(VALU_DEP_2)
	v_fma_f64 v[56:57], -v[46:47], v[50:51], 1.0
	v_fmaak_f64 v[52:53], v[48:49], v[52:53], 0x3fcc71c016291751
	s_delay_alu instid0(VALU_DEP_1) | instskip(NEXT) | instid1(VALU_DEP_1)
	v_fmaak_f64 v[52:53], v[48:49], v[52:53], 0x3fd249249b27acf1
	v_fmaak_f64 v[52:53], v[48:49], v[52:53], 0x3fd99999998ef7b6
	v_ldexp_f64 v[10:11], v[10:11], 1
	s_delay_alu instid0(VALU_DEP_2) | instskip(SKIP_2) | instid1(VALU_DEP_3)
	v_fmaak_f64 v[48:49], v[48:49], v[52:53], 0x3fe5555555555780
	v_ldexp_f64 v[52:53], v[44:45], 1
	v_fmac_f64_e32 v[50:51], v[50:51], v[56:57]
	v_mul_f64_e32 v[48:49], v[54:55], v[48:49]
	v_cvt_f64_i32_e32 v[54:55], v8
	v_ashrrev_i32_e32 v8, 31, v3
	s_delay_alu instid0(VALU_DEP_1) | instskip(SKIP_3) | instid1(VALU_DEP_3)
	v_and_b32_e32 v16, 0x54442d18, v8
	v_fma_f64 v[56:57], -v[46:47], v[50:51], 1.0
	v_add_f64_e32 v[44:45], v[52:53], v[48:49]
	v_mul_f64_e32 v[58:59], 0x3fe62e42fefa39ef, v[54:55]
	v_fmac_f64_e32 v[50:51], v[50:51], v[56:57]
	s_delay_alu instid0(VALU_DEP_3) | instskip(SKIP_1) | instid1(VALU_DEP_4)
	v_add_f64_e64 v[30:31], v[44:45], -v[52:53]
	v_div_scale_f64 v[52:53], vcc_lo, v[32:33], v[14:15], v[32:33]
	v_fma_f64 v[56:57], v[54:55], s[22:23], -v[58:59]
	s_delay_alu instid0(VALU_DEP_3) | instskip(NEXT) | instid1(VALU_DEP_3)
	v_add_f64_e64 v[30:31], v[48:49], -v[30:31]
	v_mul_f64_e32 v[48:49], v[52:53], v[50:51]
	s_delay_alu instid0(VALU_DEP_3) | instskip(NEXT) | instid1(VALU_DEP_3)
	v_fmac_f64_e32 v[56:57], 0x3c7abc9e3b39803f, v[54:55]
	v_add_f64_e32 v[10:11], v[10:11], v[30:31]
	s_delay_alu instid0(VALU_DEP_3) | instskip(NEXT) | instid1(VALU_DEP_3)
	v_fma_f64 v[30:31], -v[46:47], v[48:49], v[52:53]
	v_add_f64_e32 v[46:47], v[58:59], v[56:57]
	s_delay_alu instid0(VALU_DEP_3) | instskip(NEXT) | instid1(VALU_DEP_3)
	v_add_f64_e32 v[52:53], v[44:45], v[10:11]
	v_div_fmas_f64 v[30:31], v[30:31], v[50:51], v[48:49]
	v_cmp_gt_i32_e32 vcc_lo, 0, v3
	s_delay_alu instid0(VALU_DEP_4) | instskip(SKIP_3) | instid1(VALU_DEP_1)
	v_add_f64_e64 v[50:51], v[46:47], -v[58:59]
	v_and_b32_e32 v3, 0x400921fb, v8
	v_cndmask_b32_e32 v12, 0x54442d18, v60, vcc_lo
	v_cndmask_b32_e32 v2, 0x3fe921fb, v61, vcc_lo
	v_bfi_b32 v2, 0x7fffffff, v2, v5
	v_add_f64_e32 v[48:49], v[46:47], v[52:53]
	v_div_fixup_f64 v[14:15], v[30:31], v[14:15], v[32:33]
	v_add_f64_e64 v[44:45], v[52:53], -v[44:45]
	v_add_f64_e64 v[50:51], v[56:57], -v[50:51]
	s_delay_alu instid0(VALU_DEP_4) | instskip(NEXT) | instid1(VALU_DEP_4)
	v_add_f64_e64 v[30:31], v[48:49], -v[46:47]
	v_mul_f64_e32 v[32:33], v[14:15], v[14:15]
	s_delay_alu instid0(VALU_DEP_4) | instskip(NEXT) | instid1(VALU_DEP_3)
	v_add_f64_e64 v[10:11], v[10:11], -v[44:45]
	v_add_f64_e64 v[54:55], v[48:49], -v[30:31]
	s_delay_alu instid0(VALU_DEP_3) | instskip(SKIP_1) | instid1(VALU_DEP_4)
	v_fmamk_f64 v[58:59], v[32:33], 0x3eeba404b5e68a13, v[40:41]
	v_add_f64_e64 v[30:31], v[52:53], -v[30:31]
	v_add_f64_e32 v[52:53], v[50:51], v[10:11]
	s_delay_alu instid0(VALU_DEP_3) | instskip(SKIP_1) | instid1(VALU_DEP_2)
	v_fmaak_f64 v[58:59], v[32:33], v[58:59], 0x3f4b2bb069efb384
	v_add_f64_e64 v[44:45], v[46:47], -v[54:55]
	v_fmaak_f64 v[46:47], v[32:33], v[58:59], 0xbf67952daf56de9b
	s_delay_alu instid0(VALU_DEP_1) | instskip(NEXT) | instid1(VALU_DEP_1)
	v_fmaak_f64 v[46:47], v[32:33], v[46:47], 0x3f7d6d43a595c56f
	v_fmaak_f64 v[46:47], v[32:33], v[46:47], 0xbf8c6ea4a57d9582
	s_delay_alu instid0(VALU_DEP_1) | instskip(NEXT) | instid1(VALU_DEP_1)
	v_fmaak_f64 v[46:47], v[32:33], v[46:47], 0x3f967e295f08b19f
	v_fmaak_f64 v[46:47], v[32:33], v[46:47], 0xbf9e9ae6fc27006a
	v_add_f64_e32 v[30:31], v[30:31], v[44:45]
	s_delay_alu instid0(VALU_DEP_2) | instskip(SKIP_1) | instid1(VALU_DEP_2)
	v_fmaak_f64 v[44:45], v[32:33], v[46:47], 0x3fa2c15b5711927a
	v_add_f64_e64 v[46:47], v[52:53], -v[50:51]
	v_fmaak_f64 v[44:45], v[32:33], v[44:45], 0xbfa59976e82d3ff0
	s_delay_alu instid0(VALU_DEP_1) | instskip(NEXT) | instid1(VALU_DEP_1)
	v_fmaak_f64 v[44:45], v[32:33], v[44:45], 0x3fa82d5d6ef28734
	v_fmaak_f64 v[44:45], v[32:33], v[44:45], 0xbfaae5ce6a214619
	s_delay_alu instid0(VALU_DEP_1) | instskip(SKIP_3) | instid1(VALU_DEP_4)
	v_fmaak_f64 v[44:45], v[32:33], v[44:45], 0x3fae1bb48427b883
	v_add_f64_e32 v[30:31], v[52:53], v[30:31]
	v_add_f64_e64 v[52:53], v[52:53], -v[46:47]
	v_add_f64_e64 v[10:11], v[10:11], -v[46:47]
	v_fmaak_f64 v[44:45], v[32:33], v[44:45], 0xbfb110e48b207f05
	s_delay_alu instid0(VALU_DEP_1) | instskip(NEXT) | instid1(VALU_DEP_1)
	v_fmaak_f64 v[44:45], v[32:33], v[44:45], 0x3fb3b13657b87036
	v_fmaak_f64 v[44:45], v[32:33], v[44:45], 0xbfb745d119378e4f
	s_delay_alu instid0(VALU_DEP_1) | instskip(SKIP_1) | instid1(VALU_DEP_2)
	v_fmaak_f64 v[44:45], v[32:33], v[44:45], 0x3fbc71c717e1913c
	v_add_f64_e32 v[54:55], v[48:49], v[30:31]
	v_fmaak_f64 v[44:45], v[32:33], v[44:45], 0xbfc2492492376b7d
	s_delay_alu instid0(VALU_DEP_1) | instskip(NEXT) | instid1(VALU_DEP_1)
	v_fmaak_f64 v[44:45], v[32:33], v[44:45], 0x3fc99999999952cc
	v_fmaak_f64 v[44:45], v[32:33], v[44:45], 0xbfd5555555555523
	s_delay_alu instid0(VALU_DEP_1) | instskip(SKIP_2) | instid1(VALU_DEP_3)
	v_mul_f64_e32 v[32:33], v[32:33], v[44:45]
	v_add_f64_e64 v[44:45], v[50:51], -v[52:53]
	v_add_f64_e64 v[46:47], v[54:55], -v[48:49]
	v_fmac_f64_e32 v[14:15], v[14:15], v[32:33]
	s_delay_alu instid0(VALU_DEP_3) | instskip(NEXT) | instid1(VALU_DEP_3)
	v_add_f64_e32 v[10:11], v[10:11], v[44:45]
	v_add_f64_e64 v[30:31], v[30:31], -v[46:47]
	s_delay_alu instid0(VALU_DEP_3) | instskip(NEXT) | instid1(VALU_DEP_2)
	v_add_f64_e64 v[32:33], -v[14:15], s[24:25]
	v_add_f64_e32 v[10:11], v[10:11], v[30:31]
	s_delay_alu instid0(VALU_DEP_2) | instskip(NEXT) | instid1(VALU_DEP_1)
	v_dual_cndmask_b32 v15, v15, v33, s0 :: v_dual_cndmask_b32 v14, v14, v32, s0
	v_add_f64_e64 v[30:31], -v[14:15], s[26:27]
	s_delay_alu instid0(VALU_DEP_3) | instskip(NEXT) | instid1(VALU_DEP_2)
	v_add_f64_e32 v[10:11], v[54:55], v[10:11]
	v_dual_cndmask_b32 v14, v14, v30, vcc_lo :: v_dual_cndmask_b32 v8, v15, v31, vcc_lo
	v_cmp_ngt_f64_e32 vcc_lo, -1.0, v[6:7]
	s_delay_alu instid0(VALU_DEP_2) | instskip(NEXT) | instid1(VALU_DEP_3)
	v_dual_mul_f64 v[10:11], 0.5, v[10:11] :: v_dual_cndmask_b32 v14, v14, v16, s1
	v_cndmask_b32_e64 v3, v8, v3, s1
	s_and_b32 s1, s2, s3
	s_delay_alu instid0(VALU_DEP_2) | instid1(SALU_CYCLE_1)
	v_cndmask_b32_e64 v30, 0, v10, s1
	v_cmp_neq_f64_e64 s1, -1.0, v[6:7]
	s_delay_alu instid0(VALU_DEP_4) | instskip(NEXT) | instid1(VALU_DEP_1)
	v_cndmask_b32_e64 v11, 0x7ff00000, v11, s3
	v_cndmask_b32_e32 v8, 0x7ff80000, v11, vcc_lo
	s_and_b32 vcc_lo, s5, s4
	v_dual_cndmask_b32 v33, v3, v2 :: v_dual_cndmask_b32 v32, v14, v12
	s_delay_alu instid0(VALU_DEP_2)
	v_cndmask_b32_e64 v31, 0xfff00000, v8, s1
.LBB173_277:                            ;   in Loop: Header=BB173_162 Depth=1
	s_or_b32 exec_lo, exec_lo, s42
.LBB173_278:                            ;   in Loop: Header=BB173_162 Depth=1
	s_delay_alu instid0(SALU_CYCLE_1)
	s_or_b32 exec_lo, exec_lo, s41
.LBB173_279:                            ;   in Loop: Header=BB173_162 Depth=1
	s_and_not1_saveexec_b32 s3, s40
	s_cbranch_execz .LBB173_281
; %bb.280:                              ;   in Loop: Header=BB173_162 Depth=1
	v_max_num_f64_e64 v[6:7], |v[4:5]|, |v[4:5]|
	v_max_num_f64_e64 v[10:11], |v[2:3]|, |v[2:3]|
	v_cmp_class_f64_e64 s4, v[2:3], 0x204
	v_cmp_class_f64_e64 s5, v[4:5], 0x204
	v_cmp_eq_f64_e64 s2, 0, v[4:5]
	s_delay_alu instid0(VALU_DEP_4) | instskip(SKIP_2) | instid1(VALU_DEP_2)
	v_max_num_f64_e32 v[14:15], v[10:11], v[6:7]
	v_min_num_f64_e32 v[6:7], v[10:11], v[6:7]
	s_or_b32 s1, s4, s5
	v_frexp_exp_i32_f64_e32 v8, v[14:15]
	s_delay_alu instid0(VALU_DEP_1) | instskip(NEXT) | instid1(VALU_DEP_1)
	v_sub_nc_u32_e32 v12, 0, v8
	v_ldexp_f64 v[30:31], |v[4:5]|, v12
	v_ldexp_f64 v[32:33], |v[2:3]|, v12
	s_delay_alu instid0(VALU_DEP_2) | instskip(NEXT) | instid1(VALU_DEP_1)
	v_mul_f64_e32 v[30:31], v[30:31], v[30:31]
	v_fmac_f64_e32 v[30:31], v[32:33], v[32:33]
	s_delay_alu instid0(VALU_DEP_1) | instskip(SKIP_1) | instid1(TRANS32_DEP_1)
	v_rsq_f64_e32 v[32:33], v[30:31]
	v_cmp_eq_f64_e32 vcc_lo, 0, v[30:31]
	v_mul_f64_e32 v[44:45], v[30:31], v[32:33]
	v_mul_f64_e32 v[32:33], 0.5, v[32:33]
	s_delay_alu instid0(VALU_DEP_1) | instskip(NEXT) | instid1(VALU_DEP_1)
	v_fma_f64 v[46:47], -v[32:33], v[44:45], 0.5
	v_fmac_f64_e32 v[44:45], v[44:45], v[46:47]
	v_fmac_f64_e32 v[32:33], v[32:33], v[46:47]
	s_delay_alu instid0(VALU_DEP_2) | instskip(NEXT) | instid1(VALU_DEP_1)
	v_fma_f64 v[46:47], -v[44:45], v[44:45], v[30:31]
	v_fmac_f64_e32 v[44:45], v[46:47], v[32:33]
	s_delay_alu instid0(VALU_DEP_1) | instskip(NEXT) | instid1(VALU_DEP_1)
	v_dual_cndmask_b32 v31, v45, v31 :: v_dual_cndmask_b32 v30, v44, v30
	v_ldexp_f64 v[30:31], v[30:31], v8
	v_ashrrev_i32_e32 v8, 31, v3
	s_delay_alu instid0(VALU_DEP_1) | instskip(SKIP_1) | instid1(VALU_DEP_4)
	v_and_b32_e32 v16, 0x54442d18, v8
	v_and_b32_e32 v8, 0x400921fb, v8
	v_cndmask_b32_e64 v45, v31, 0x7ff00000, s1
	v_cndmask_b32_e64 v44, v30, 0, s1
	s_delay_alu instid0(VALU_DEP_1) | instskip(SKIP_1) | instid1(VALU_DEP_2)
	v_frexp_mant_f64_e32 v[30:31], v[44:45]
	v_cmp_class_f64_e64 s1, v[44:45], 0x204
	v_cmp_gt_f64_e32 vcc_lo, s[20:21], v[30:31]
	v_cndmask_b32_e64 v2, 0, 1, vcc_lo
	s_delay_alu instid0(VALU_DEP_1) | instskip(SKIP_1) | instid1(VALU_DEP_2)
	v_ldexp_f64 v[30:31], v[30:31], v2
	v_frexp_exp_i32_f64_e32 v2, v[44:45]
	v_add_f64_e32 v[32:33], 1.0, v[30:31]
	v_add_f64_e32 v[50:51], -1.0, v[30:31]
	s_delay_alu instid0(VALU_DEP_3) | instskip(SKIP_1) | instid1(VALU_DEP_4)
	v_subrev_co_ci_u32_e64 v2, null, 0, v2, vcc_lo
	v_div_scale_f64 v[58:59], vcc_lo, v[6:7], v[14:15], v[6:7]
	v_rcp_f64_e32 v[46:47], v[32:33]
	v_add_f64_e32 v[52:53], -1.0, v[32:33]
	s_delay_alu instid0(VALU_DEP_1) | instskip(NEXT) | instid1(TRANS32_DEP_1)
	v_add_f64_e64 v[30:31], v[30:31], -v[52:53]
	v_fma_f64 v[48:49], -v[32:33], v[46:47], 1.0
	s_delay_alu instid0(VALU_DEP_1) | instskip(NEXT) | instid1(VALU_DEP_1)
	v_fmac_f64_e32 v[46:47], v[48:49], v[46:47]
	v_fma_f64 v[48:49], -v[32:33], v[46:47], 1.0
	s_delay_alu instid0(VALU_DEP_1) | instskip(NEXT) | instid1(VALU_DEP_1)
	v_fmac_f64_e32 v[46:47], v[48:49], v[46:47]
	v_mul_f64_e32 v[48:49], v[50:51], v[46:47]
	s_delay_alu instid0(VALU_DEP_1) | instskip(NEXT) | instid1(VALU_DEP_1)
	v_mul_f64_e32 v[54:55], v[32:33], v[48:49]
	v_fma_f64 v[32:33], v[48:49], v[32:33], -v[54:55]
	s_delay_alu instid0(VALU_DEP_1) | instskip(NEXT) | instid1(VALU_DEP_1)
	v_fmac_f64_e32 v[32:33], v[48:49], v[30:31]
	v_add_f64_e32 v[30:31], v[54:55], v[32:33]
	s_delay_alu instid0(VALU_DEP_1) | instskip(SKIP_1) | instid1(VALU_DEP_2)
	v_add_f64_e64 v[52:53], v[50:51], -v[30:31]
	v_add_f64_e64 v[54:55], v[30:31], -v[54:55]
	;; [unrolled: 1-line block ×3, first 2 shown]
	s_delay_alu instid0(VALU_DEP_2) | instskip(NEXT) | instid1(VALU_DEP_2)
	v_add_f64_e64 v[32:33], v[54:55], -v[32:33]
	v_add_f64_e64 v[30:31], v[50:51], -v[30:31]
	s_delay_alu instid0(VALU_DEP_1) | instskip(NEXT) | instid1(VALU_DEP_1)
	v_add_f64_e32 v[30:31], v[32:33], v[30:31]
	v_add_f64_e32 v[30:31], v[52:53], v[30:31]
	s_delay_alu instid0(VALU_DEP_1) | instskip(SKIP_1) | instid1(VALU_DEP_2)
	v_mul_f64_e32 v[10:11], v[46:47], v[30:31]
	v_div_scale_f64 v[30:31], null, v[14:15], v[14:15], v[6:7]
	v_add_f64_e32 v[32:33], v[48:49], v[10:11]
	s_delay_alu instid0(VALU_DEP_2) | instskip(NEXT) | instid1(VALU_DEP_1)
	v_rcp_f64_e32 v[46:47], v[30:31]
	v_mul_f64_e32 v[50:51], v[32:33], v[32:33]
	s_delay_alu instid0(TRANS32_DEP_1) | instskip(NEXT) | instid1(VALU_DEP_2)
	v_fma_f64 v[54:55], -v[30:31], v[46:47], 1.0
	v_fmamk_f64 v[52:53], v[50:51], 0x3fc3ab76bf559e2b, v[38:39]
	v_mul_f64_e32 v[56:57], v[32:33], v[50:51]
	s_delay_alu instid0(VALU_DEP_3) | instskip(NEXT) | instid1(VALU_DEP_3)
	v_fmac_f64_e32 v[46:47], v[46:47], v[54:55]
	v_fmaak_f64 v[52:53], v[50:51], v[52:53], 0x3fc7474dd7f4df2e
	s_delay_alu instid0(VALU_DEP_1) | instskip(NEXT) | instid1(VALU_DEP_1)
	v_fmaak_f64 v[52:53], v[50:51], v[52:53], 0x3fcc71c016291751
	v_fmaak_f64 v[52:53], v[50:51], v[52:53], 0x3fd249249b27acf1
	s_delay_alu instid0(VALU_DEP_1) | instskip(NEXT) | instid1(VALU_DEP_1)
	v_fmaak_f64 v[52:53], v[50:51], v[52:53], 0x3fd99999998ef7b6
	v_fmaak_f64 v[50:51], v[50:51], v[52:53], 0x3fe5555555555780
	v_ldexp_f64 v[52:53], v[32:33], 1
	v_add_f64_e64 v[32:33], v[32:33], -v[48:49]
	v_fma_f64 v[54:55], -v[30:31], v[46:47], 1.0
	s_delay_alu instid0(VALU_DEP_4) | instskip(SKIP_1) | instid1(VALU_DEP_4)
	v_mul_f64_e32 v[50:51], v[56:57], v[50:51]
	v_cvt_f64_i32_e32 v[56:57], v2
	v_add_f64_e64 v[10:11], v[10:11], -v[32:33]
	s_delay_alu instid0(VALU_DEP_4) | instskip(NEXT) | instid1(VALU_DEP_4)
	v_fmac_f64_e32 v[46:47], v[46:47], v[54:55]
	v_add_f64_e32 v[48:49], v[52:53], v[50:51]
	s_delay_alu instid0(VALU_DEP_4) | instskip(NEXT) | instid1(VALU_DEP_4)
	v_mul_f64_e32 v[54:55], 0x3fe62e42fefa39ef, v[56:57]
	v_ldexp_f64 v[10:11], v[10:11], 1
	s_delay_alu instid0(VALU_DEP_3) | instskip(SKIP_1) | instid1(VALU_DEP_4)
	v_add_f64_e64 v[32:33], v[48:49], -v[52:53]
	v_mul_f64_e32 v[52:53], v[58:59], v[46:47]
	v_fma_f64 v[62:63], v[56:57], s[22:23], -v[54:55]
	s_delay_alu instid0(VALU_DEP_3) | instskip(NEXT) | instid1(VALU_DEP_3)
	v_add_f64_e64 v[32:33], v[50:51], -v[32:33]
	v_fma_f64 v[30:31], -v[30:31], v[52:53], v[58:59]
	s_delay_alu instid0(VALU_DEP_3) | instskip(NEXT) | instid1(VALU_DEP_3)
	v_fmac_f64_e32 v[62:63], 0x3c7abc9e3b39803f, v[56:57]
	v_add_f64_e32 v[10:11], v[10:11], v[32:33]
	s_delay_alu instid0(VALU_DEP_3) | instskip(NEXT) | instid1(VALU_DEP_3)
	v_div_fmas_f64 v[30:31], v[30:31], v[46:47], v[52:53]
	v_add_f64_e32 v[32:33], v[54:55], v[62:63]
	v_cmp_gt_i32_e32 vcc_lo, 0, v3
	v_cndmask_b32_e32 v12, 0x54442d18, v60, vcc_lo
	v_add_f64_e32 v[46:47], v[48:49], v[10:11]
	v_div_fixup_f64 v[6:7], v[30:31], v[14:15], v[6:7]
	v_add_f64_e64 v[54:55], v[32:33], -v[54:55]
	s_delay_alu instid0(VALU_DEP_3) | instskip(NEXT) | instid1(VALU_DEP_3)
	v_add_f64_e32 v[14:15], v[32:33], v[46:47]
	v_mul_f64_e32 v[30:31], v[6:7], v[6:7]
	v_add_f64_e64 v[48:49], v[46:47], -v[48:49]
	s_delay_alu instid0(VALU_DEP_4) | instskip(NEXT) | instid1(VALU_DEP_4)
	v_add_f64_e64 v[54:55], v[62:63], -v[54:55]
	v_add_f64_e64 v[50:51], v[14:15], -v[32:33]
	s_delay_alu instid0(VALU_DEP_4) | instskip(NEXT) | instid1(VALU_DEP_4)
	v_fmamk_f64 v[52:53], v[30:31], 0x3eeba404b5e68a13, v[40:41]
	v_add_f64_e64 v[10:11], v[10:11], -v[48:49]
	s_delay_alu instid0(VALU_DEP_2) | instskip(NEXT) | instid1(VALU_DEP_1)
	v_fmaak_f64 v[52:53], v[30:31], v[52:53], 0x3f4b2bb069efb384
	v_fmaak_f64 v[52:53], v[30:31], v[52:53], 0xbf67952daf56de9b
	s_delay_alu instid0(VALU_DEP_1) | instskip(NEXT) | instid1(VALU_DEP_1)
	v_fmaak_f64 v[52:53], v[30:31], v[52:53], 0x3f7d6d43a595c56f
	v_fmaak_f64 v[52:53], v[30:31], v[52:53], 0xbf8c6ea4a57d9582
	v_add_f64_e64 v[56:57], v[14:15], -v[50:51]
	v_add_f64_e64 v[46:47], v[46:47], -v[50:51]
	v_add_f64_e32 v[50:51], v[54:55], v[10:11]
	s_delay_alu instid0(VALU_DEP_4) | instskip(NEXT) | instid1(VALU_DEP_1)
	v_fmaak_f64 v[52:53], v[30:31], v[52:53], 0x3f967e295f08b19f
	v_fmaak_f64 v[48:49], v[30:31], v[52:53], 0xbf9e9ae6fc27006a
	s_delay_alu instid0(VALU_DEP_1) | instskip(NEXT) | instid1(VALU_DEP_1)
	v_fmaak_f64 v[48:49], v[30:31], v[48:49], 0x3fa2c15b5711927a
	v_fmaak_f64 v[48:49], v[30:31], v[48:49], 0xbfa59976e82d3ff0
	s_delay_alu instid0(VALU_DEP_1) | instskip(SKIP_1) | instid1(VALU_DEP_2)
	v_fmaak_f64 v[48:49], v[30:31], v[48:49], 0x3fa82d5d6ef28734
	v_add_f64_e64 v[32:33], v[32:33], -v[56:57]
	v_fmaak_f64 v[48:49], v[30:31], v[48:49], 0xbfaae5ce6a214619
	s_delay_alu instid0(VALU_DEP_2) | instskip(NEXT) | instid1(VALU_DEP_2)
	v_add_f64_e32 v[32:33], v[46:47], v[32:33]
	v_fmaak_f64 v[46:47], v[30:31], v[48:49], 0x3fae1bb48427b883
	v_add_f64_e64 v[48:49], v[50:51], -v[54:55]
	s_delay_alu instid0(VALU_DEP_2) | instskip(NEXT) | instid1(VALU_DEP_1)
	v_fmaak_f64 v[46:47], v[30:31], v[46:47], 0xbfb110e48b207f05
	v_fmaak_f64 v[46:47], v[30:31], v[46:47], 0x3fb3b13657b87036
	s_delay_alu instid0(VALU_DEP_1) | instskip(NEXT) | instid1(VALU_DEP_1)
	v_fmaak_f64 v[46:47], v[30:31], v[46:47], 0xbfb745d119378e4f
	v_fmaak_f64 v[46:47], v[30:31], v[46:47], 0x3fbc71c717e1913c
	v_add_f64_e32 v[32:33], v[50:51], v[32:33]
	v_add_f64_e64 v[10:11], v[10:11], -v[48:49]
	s_delay_alu instid0(VALU_DEP_3) | instskip(NEXT) | instid1(VALU_DEP_1)
	v_fmaak_f64 v[46:47], v[30:31], v[46:47], 0xbfc2492492376b7d
	v_fmaak_f64 v[46:47], v[30:31], v[46:47], 0x3fc99999999952cc
	s_delay_alu instid0(VALU_DEP_1) | instskip(NEXT) | instid1(VALU_DEP_1)
	v_fmaak_f64 v[46:47], v[30:31], v[46:47], 0xbfd5555555555523
	v_mul_f64_e32 v[30:31], v[30:31], v[46:47]
	v_add_f64_e64 v[46:47], v[50:51], -v[48:49]
	v_add_f64_e32 v[50:51], v[14:15], v[32:33]
	s_delay_alu instid0(VALU_DEP_3) | instskip(NEXT) | instid1(VALU_DEP_3)
	v_fmac_f64_e32 v[6:7], v[6:7], v[30:31]
	v_add_f64_e64 v[30:31], v[54:55], -v[46:47]
	s_delay_alu instid0(VALU_DEP_3) | instskip(NEXT) | instid1(VALU_DEP_3)
	v_add_f64_e64 v[14:15], v[50:51], -v[14:15]
	v_add_f64_e64 v[46:47], -v[6:7], s[24:25]
	s_delay_alu instid0(VALU_DEP_3) | instskip(NEXT) | instid1(VALU_DEP_3)
	v_add_f64_e32 v[10:11], v[10:11], v[30:31]
	v_add_f64_e64 v[14:15], v[32:33], -v[14:15]
	s_delay_alu instid0(VALU_DEP_3) | instskip(NEXT) | instid1(VALU_DEP_2)
	v_dual_cndmask_b32 v7, v7, v47, s0 :: v_dual_cndmask_b32 v6, v6, v46, s0
	v_add_f64_e32 v[10:11], v[10:11], v[14:15]
	s_delay_alu instid0(VALU_DEP_2) | instskip(NEXT) | instid1(VALU_DEP_2)
	v_add_f64_e64 v[14:15], -v[6:7], s[26:27]
	v_add_f64_e32 v[2:3], v[50:51], v[10:11]
	s_delay_alu instid0(VALU_DEP_2) | instskip(SKIP_1) | instid1(VALU_DEP_4)
	v_cndmask_b32_e32 v6, v6, v14, vcc_lo
	v_cndmask_b32_e32 v10, 0x3fe921fb, v61, vcc_lo
	;; [unrolled: 1-line block ×3, first 2 shown]
	v_cmp_ngt_f64_e32 vcc_lo, 0, v[44:45]
	s_delay_alu instid0(VALU_DEP_4) | instskip(NEXT) | instid1(VALU_DEP_4)
	v_cndmask_b32_e64 v6, v6, v16, s2
	v_bfi_b32 v10, 0x7fffffff, v10, v5
	s_delay_alu instid0(VALU_DEP_4) | instskip(SKIP_2) | instid1(VALU_DEP_2)
	v_cndmask_b32_e64 v7, v7, v8, s2
	v_dual_cndmask_b32 v2, v2, v44, s1 :: v_dual_cndmask_b32 v3, v3, v45, s1
	v_cmp_nge_f64_e64 s1, 0, v[44:45]
	v_cndmask_b32_e32 v3, 0x7ff80000, v3, vcc_lo
	s_and_b32 vcc_lo, s4, s5
	v_dual_cndmask_b32 v33, v7, v10 :: v_dual_cndmask_b32 v32, v6, v12
	v_cndmask_b32_e64 v30, 0, v2, s1
	v_cmp_neq_f64_e64 s1, 0, v[44:45]
	s_delay_alu instid0(VALU_DEP_1)
	v_cndmask_b32_e64 v31, 0xfff00000, v3, s1
.LBB173_281:                            ;   in Loop: Header=BB173_162 Depth=1
	s_or_b32 exec_lo, exec_lo, s3
                                        ; implicit-def: $vgpr10_vgpr11
.LBB173_282:                            ;   in Loop: Header=BB173_162 Depth=1
	s_and_not1_saveexec_b32 s3, s39
	s_cbranch_execz .LBB173_288
; %bb.283:                              ;   in Loop: Header=BB173_162 Depth=1
                                        ; implicit-def: $vgpr30_vgpr31
	s_mov_b32 s1, exec_lo
	v_cmpx_ngt_f64_e32 s[30:31], v[10:11]
	s_xor_b32 s4, exec_lo, s1
	s_cbranch_execz .LBB173_285
; %bb.284:                              ;   in Loop: Header=BB173_162 Depth=1
	v_mul_f64_e32 v[6:7], v[10:11], v[10:11]
	v_cmp_eq_f64_e64 s1, 0, v[4:5]
	v_cmp_class_f64_e64 s5, v[4:5], 0x204
	v_cmp_class_f64_e64 s6, v[2:3], 0x204
	s_delay_alu instid0(VALU_DEP_4) | instskip(NEXT) | instid1(VALU_DEP_1)
	v_add_f64_e32 v[10:11], 1.0, v[6:7]
	v_frexp_mant_f64_e32 v[14:15], v[10:11]
	v_frexp_exp_i32_f64_e32 v8, v[10:11]
	v_add_f64_e32 v[30:31], -1.0, v[10:11]
	s_delay_alu instid0(VALU_DEP_3) | instskip(NEXT) | instid1(VALU_DEP_2)
	v_cmp_gt_f64_e32 vcc_lo, s[20:21], v[14:15]
	v_add_f64_e64 v[14:15], v[30:31], -v[10:11]
	s_delay_alu instid0(VALU_DEP_4) | instskip(NEXT) | instid1(VALU_DEP_1)
	v_subrev_co_ci_u32_e64 v8, null, 0, v8, vcc_lo
	v_dual_add_f64 v[14:15], 1.0, v[14:15] :: v_dual_sub_nc_u32 v12, 0, v8
	v_add_f64_e64 v[30:31], v[6:7], -v[30:31]
	v_cmp_neq_f64_e64 s2, 0x7ff00000, v[6:7]
	s_delay_alu instid0(VALU_DEP_3) | instskip(NEXT) | instid1(VALU_DEP_3)
	v_ldexp_f64 v[10:11], v[10:11], v12
	v_add_f64_e32 v[14:15], v[30:31], v[14:15]
	s_delay_alu instid0(VALU_DEP_2) | instskip(SKIP_1) | instid1(VALU_DEP_3)
	v_add_f64_e32 v[32:33], 1.0, v[10:11]
	v_add_f64_e32 v[48:49], -1.0, v[10:11]
	v_ldexp_f64 v[14:15], v[14:15], v12
	s_delay_alu instid0(VALU_DEP_3) | instskip(NEXT) | instid1(VALU_DEP_3)
	v_add_f64_e32 v[30:31], -1.0, v[32:33]
	v_add_f64_e32 v[50:51], 1.0, v[48:49]
	s_delay_alu instid0(VALU_DEP_2) | instskip(NEXT) | instid1(VALU_DEP_2)
	v_add_f64_e64 v[30:31], v[10:11], -v[30:31]
	v_add_f64_e64 v[10:11], v[10:11], -v[50:51]
	s_delay_alu instid0(VALU_DEP_2) | instskip(NEXT) | instid1(VALU_DEP_2)
	v_add_f64_e32 v[30:31], v[14:15], v[30:31]
	v_add_f64_e32 v[10:11], v[14:15], v[10:11]
	s_delay_alu instid0(VALU_DEP_2) | instskip(NEXT) | instid1(VALU_DEP_2)
	v_add_f64_e32 v[44:45], v[32:33], v[30:31]
	v_add_f64_e32 v[50:51], v[48:49], v[10:11]
	s_delay_alu instid0(VALU_DEP_2) | instskip(SKIP_1) | instid1(VALU_DEP_2)
	v_rcp_f64_e32 v[46:47], v[44:45]
	v_add_f64_e64 v[32:33], v[32:33], -v[44:45]
	v_add_f64_e64 v[48:49], v[48:49], -v[50:51]
	s_delay_alu instid0(VALU_DEP_2) | instskip(NEXT) | instid1(VALU_DEP_2)
	v_add_f64_e32 v[30:31], v[30:31], v[32:33]
	v_add_f64_e32 v[10:11], v[10:11], v[48:49]
	s_delay_alu instid0(TRANS32_DEP_1) | instskip(NEXT) | instid1(VALU_DEP_1)
	v_fma_f64 v[52:53], -v[44:45], v[46:47], 1.0
	v_fmac_f64_e32 v[46:47], v[52:53], v[46:47]
	s_delay_alu instid0(VALU_DEP_1) | instskip(NEXT) | instid1(VALU_DEP_1)
	v_fma_f64 v[14:15], -v[44:45], v[46:47], 1.0
	v_fmac_f64_e32 v[46:47], v[14:15], v[46:47]
	s_delay_alu instid0(VALU_DEP_1) | instskip(NEXT) | instid1(VALU_DEP_1)
	v_mul_f64_e32 v[14:15], v[50:51], v[46:47]
	v_mul_f64_e32 v[52:53], v[44:45], v[14:15]
	s_delay_alu instid0(VALU_DEP_1) | instskip(NEXT) | instid1(VALU_DEP_1)
	v_fma_f64 v[32:33], v[14:15], v[44:45], -v[52:53]
	v_fmac_f64_e32 v[32:33], v[14:15], v[30:31]
	s_delay_alu instid0(VALU_DEP_1) | instskip(NEXT) | instid1(VALU_DEP_1)
	v_add_f64_e32 v[54:55], v[52:53], v[32:33]
	v_add_f64_e64 v[56:57], v[50:51], -v[54:55]
	v_add_f64_e64 v[48:49], v[54:55], -v[52:53]
	s_delay_alu instid0(VALU_DEP_2) | instskip(NEXT) | instid1(VALU_DEP_2)
	v_add_f64_e64 v[50:51], v[50:51], -v[56:57]
	v_add_f64_e64 v[32:33], v[48:49], -v[32:33]
	s_delay_alu instid0(VALU_DEP_2) | instskip(NEXT) | instid1(VALU_DEP_1)
	v_add_f64_e64 v[50:51], v[50:51], -v[54:55]
	v_add_f64_e32 v[10:11], v[10:11], v[50:51]
	s_delay_alu instid0(VALU_DEP_1) | instskip(NEXT) | instid1(VALU_DEP_1)
	v_add_f64_e32 v[10:11], v[32:33], v[10:11]
	v_add_f64_e32 v[32:33], v[56:57], v[10:11]
	s_delay_alu instid0(VALU_DEP_1) | instskip(SKIP_1) | instid1(VALU_DEP_2)
	v_mul_f64_e32 v[48:49], v[46:47], v[32:33]
	v_add_f64_e64 v[54:55], v[56:57], -v[32:33]
	v_mul_f64_e32 v[50:51], v[44:45], v[48:49]
	s_delay_alu instid0(VALU_DEP_2) | instskip(NEXT) | instid1(VALU_DEP_2)
	v_add_f64_e32 v[10:11], v[10:11], v[54:55]
	v_fma_f64 v[44:45], v[48:49], v[44:45], -v[50:51]
	s_delay_alu instid0(VALU_DEP_1) | instskip(NEXT) | instid1(VALU_DEP_1)
	v_fmac_f64_e32 v[44:45], v[48:49], v[30:31]
	v_add_f64_e32 v[30:31], v[50:51], v[44:45]
	s_delay_alu instid0(VALU_DEP_1) | instskip(SKIP_1) | instid1(VALU_DEP_2)
	v_add_f64_e64 v[52:53], v[32:33], -v[30:31]
	v_add_f64_e64 v[50:51], v[30:31], -v[50:51]
	;; [unrolled: 1-line block ×3, first 2 shown]
	s_delay_alu instid0(VALU_DEP_1) | instskip(NEXT) | instid1(VALU_DEP_3)
	v_add_f64_e64 v[30:31], v[32:33], -v[30:31]
	v_add_f64_e64 v[32:33], v[50:51], -v[44:45]
	v_max_num_f64_e64 v[44:45], |v[2:3]|, |v[2:3]|
	s_delay_alu instid0(VALU_DEP_3) | instskip(SKIP_1) | instid1(VALU_DEP_2)
	v_add_f64_e32 v[10:11], v[10:11], v[30:31]
	v_add_f64_e32 v[30:31], v[14:15], v[48:49]
	;; [unrolled: 1-line block ×3, first 2 shown]
	s_delay_alu instid0(VALU_DEP_2) | instskip(SKIP_1) | instid1(VALU_DEP_3)
	v_add_f64_e64 v[14:15], v[30:31], -v[14:15]
	v_max_num_f64_e64 v[32:33], |v[4:5]|, |v[4:5]|
	v_add_f64_e32 v[10:11], v[52:53], v[10:11]
	s_delay_alu instid0(VALU_DEP_3) | instskip(NEXT) | instid1(VALU_DEP_2)
	v_add_f64_e64 v[14:15], v[48:49], -v[14:15]
	v_mul_f64_e32 v[10:11], v[46:47], v[10:11]
	s_delay_alu instid0(VALU_DEP_1) | instskip(SKIP_2) | instid1(VALU_DEP_3)
	v_add_f64_e32 v[10:11], v[14:15], v[10:11]
	v_max_num_f64_e32 v[14:15], v[44:45], v[32:33]
	v_min_num_f64_e32 v[32:33], v[44:45], v[32:33]
	v_add_f64_e32 v[44:45], v[30:31], v[10:11]
	s_delay_alu instid0(VALU_DEP_2) | instskip(NEXT) | instid1(VALU_DEP_2)
	v_div_scale_f64 v[46:47], null, v[14:15], v[14:15], v[32:33]
	v_mul_f64_e32 v[48:49], v[44:45], v[44:45]
	v_add_f64_e64 v[30:31], v[44:45], -v[30:31]
	s_delay_alu instid0(VALU_DEP_3) | instskip(NEXT) | instid1(VALU_DEP_2)
	v_rcp_f64_e32 v[50:51], v[46:47]
	v_fmamk_f64 v[52:53], v[48:49], 0x3fc3ab76bf559e2b, v[38:39]
	v_mul_f64_e32 v[54:55], v[44:45], v[48:49]
	s_delay_alu instid0(VALU_DEP_3) | instskip(NEXT) | instid1(VALU_DEP_3)
	v_add_f64_e64 v[10:11], v[10:11], -v[30:31]
	v_fmaak_f64 v[52:53], v[48:49], v[52:53], 0x3fc7474dd7f4df2e
	s_delay_alu instid0(TRANS32_DEP_1) | instskip(NEXT) | instid1(VALU_DEP_2)
	v_fma_f64 v[56:57], -v[46:47], v[50:51], 1.0
	v_fmaak_f64 v[52:53], v[48:49], v[52:53], 0x3fcc71c016291751
	s_delay_alu instid0(VALU_DEP_1) | instskip(NEXT) | instid1(VALU_DEP_1)
	v_fmaak_f64 v[52:53], v[48:49], v[52:53], 0x3fd249249b27acf1
	v_fmaak_f64 v[52:53], v[48:49], v[52:53], 0x3fd99999998ef7b6
	v_ldexp_f64 v[10:11], v[10:11], 1
	s_delay_alu instid0(VALU_DEP_2) | instskip(SKIP_2) | instid1(VALU_DEP_3)
	v_fmaak_f64 v[48:49], v[48:49], v[52:53], 0x3fe5555555555780
	v_ldexp_f64 v[52:53], v[44:45], 1
	v_fmac_f64_e32 v[50:51], v[50:51], v[56:57]
	v_mul_f64_e32 v[48:49], v[54:55], v[48:49]
	v_cvt_f64_i32_e32 v[54:55], v8
	v_ashrrev_i32_e32 v8, 31, v3
	s_delay_alu instid0(VALU_DEP_1) | instskip(SKIP_4) | instid1(VALU_DEP_3)
	v_and_b32_e32 v16, 0x54442d18, v8
	v_and_b32_e32 v7, 0x400921fb, v8
	v_fma_f64 v[56:57], -v[46:47], v[50:51], 1.0
	v_add_f64_e32 v[44:45], v[52:53], v[48:49]
	v_mul_f64_e32 v[58:59], 0x3fe62e42fefa39ef, v[54:55]
	v_fmac_f64_e32 v[50:51], v[50:51], v[56:57]
	s_delay_alu instid0(VALU_DEP_3) | instskip(SKIP_1) | instid1(VALU_DEP_4)
	v_add_f64_e64 v[30:31], v[44:45], -v[52:53]
	v_div_scale_f64 v[52:53], vcc_lo, v[32:33], v[14:15], v[32:33]
	v_fma_f64 v[56:57], v[54:55], s[22:23], -v[58:59]
	s_delay_alu instid0(VALU_DEP_3) | instskip(NEXT) | instid1(VALU_DEP_3)
	v_add_f64_e64 v[30:31], v[48:49], -v[30:31]
	v_mul_f64_e32 v[48:49], v[52:53], v[50:51]
	s_delay_alu instid0(VALU_DEP_3) | instskip(NEXT) | instid1(VALU_DEP_3)
	v_fmac_f64_e32 v[56:57], 0x3c7abc9e3b39803f, v[54:55]
	v_add_f64_e32 v[10:11], v[10:11], v[30:31]
	s_delay_alu instid0(VALU_DEP_3) | instskip(NEXT) | instid1(VALU_DEP_3)
	v_fma_f64 v[30:31], -v[46:47], v[48:49], v[52:53]
	v_add_f64_e32 v[46:47], v[58:59], v[56:57]
	s_delay_alu instid0(VALU_DEP_3) | instskip(NEXT) | instid1(VALU_DEP_3)
	v_add_f64_e32 v[52:53], v[44:45], v[10:11]
	v_div_fmas_f64 v[30:31], v[30:31], v[50:51], v[48:49]
	v_cmp_gt_i32_e32 vcc_lo, 0, v3
	s_delay_alu instid0(VALU_DEP_4) | instskip(SKIP_2) | instid1(VALU_DEP_2)
	v_add_f64_e64 v[50:51], v[46:47], -v[58:59]
	v_cndmask_b32_e32 v6, 0x3fe921fb, v61, vcc_lo
	v_cndmask_b32_e32 v12, 0x54442d18, v60, vcc_lo
	v_bfi_b32 v6, 0x7fffffff, v6, v5
	v_add_f64_e32 v[48:49], v[46:47], v[52:53]
	v_div_fixup_f64 v[14:15], v[30:31], v[14:15], v[32:33]
	v_add_f64_e64 v[44:45], v[52:53], -v[44:45]
	v_add_f64_e64 v[50:51], v[56:57], -v[50:51]
	s_delay_alu instid0(VALU_DEP_4) | instskip(NEXT) | instid1(VALU_DEP_4)
	v_add_f64_e64 v[30:31], v[48:49], -v[46:47]
	v_mul_f64_e32 v[32:33], v[14:15], v[14:15]
	s_delay_alu instid0(VALU_DEP_4) | instskip(NEXT) | instid1(VALU_DEP_3)
	v_add_f64_e64 v[10:11], v[10:11], -v[44:45]
	v_add_f64_e64 v[54:55], v[48:49], -v[30:31]
	s_delay_alu instid0(VALU_DEP_3) | instskip(SKIP_1) | instid1(VALU_DEP_4)
	v_fmamk_f64 v[58:59], v[32:33], 0x3eeba404b5e68a13, v[40:41]
	v_add_f64_e64 v[30:31], v[52:53], -v[30:31]
	v_add_f64_e32 v[52:53], v[50:51], v[10:11]
	s_delay_alu instid0(VALU_DEP_3) | instskip(NEXT) | instid1(VALU_DEP_1)
	v_fmaak_f64 v[58:59], v[32:33], v[58:59], 0x3f4b2bb069efb384
	v_fmaak_f64 v[58:59], v[32:33], v[58:59], 0xbf67952daf56de9b
	v_add_f64_e64 v[44:45], v[46:47], -v[54:55]
	s_delay_alu instid0(VALU_DEP_2) | instskip(NEXT) | instid1(VALU_DEP_1)
	v_fmaak_f64 v[46:47], v[32:33], v[58:59], 0x3f7d6d43a595c56f
	v_fmaak_f64 v[46:47], v[32:33], v[46:47], 0xbf8c6ea4a57d9582
	s_delay_alu instid0(VALU_DEP_1) | instskip(NEXT) | instid1(VALU_DEP_1)
	v_fmaak_f64 v[46:47], v[32:33], v[46:47], 0x3f967e295f08b19f
	v_fmaak_f64 v[46:47], v[32:33], v[46:47], 0xbf9e9ae6fc27006a
	s_delay_alu instid0(VALU_DEP_1) | instskip(SKIP_1) | instid1(VALU_DEP_2)
	v_fmaak_f64 v[46:47], v[32:33], v[46:47], 0x3fa2c15b5711927a
	v_add_f64_e32 v[30:31], v[30:31], v[44:45]
	v_fmaak_f64 v[44:45], v[32:33], v[46:47], 0xbfa59976e82d3ff0
	v_add_f64_e64 v[46:47], v[52:53], -v[50:51]
	s_delay_alu instid0(VALU_DEP_2) | instskip(NEXT) | instid1(VALU_DEP_1)
	v_fmaak_f64 v[44:45], v[32:33], v[44:45], 0x3fa82d5d6ef28734
	v_fmaak_f64 v[44:45], v[32:33], v[44:45], 0xbfaae5ce6a214619
	s_delay_alu instid0(VALU_DEP_1) | instskip(NEXT) | instid1(VALU_DEP_1)
	v_fmaak_f64 v[44:45], v[32:33], v[44:45], 0x3fae1bb48427b883
	v_fmaak_f64 v[44:45], v[32:33], v[44:45], 0xbfb110e48b207f05
	v_add_f64_e32 v[30:31], v[52:53], v[30:31]
	v_add_f64_e64 v[52:53], v[52:53], -v[46:47]
	v_add_f64_e64 v[10:11], v[10:11], -v[46:47]
	s_delay_alu instid0(VALU_DEP_4) | instskip(NEXT) | instid1(VALU_DEP_1)
	v_fmaak_f64 v[44:45], v[32:33], v[44:45], 0x3fb3b13657b87036
	v_fmaak_f64 v[44:45], v[32:33], v[44:45], 0xbfb745d119378e4f
	s_delay_alu instid0(VALU_DEP_1) | instskip(NEXT) | instid1(VALU_DEP_1)
	v_fmaak_f64 v[44:45], v[32:33], v[44:45], 0x3fbc71c717e1913c
	v_fmaak_f64 v[44:45], v[32:33], v[44:45], 0xbfc2492492376b7d
	v_add_f64_e32 v[54:55], v[48:49], v[30:31]
	s_delay_alu instid0(VALU_DEP_2) | instskip(NEXT) | instid1(VALU_DEP_1)
	v_fmaak_f64 v[44:45], v[32:33], v[44:45], 0x3fc99999999952cc
	v_fmaak_f64 v[44:45], v[32:33], v[44:45], 0xbfd5555555555523
	s_delay_alu instid0(VALU_DEP_1) | instskip(SKIP_2) | instid1(VALU_DEP_3)
	v_mul_f64_e32 v[32:33], v[32:33], v[44:45]
	v_add_f64_e64 v[44:45], v[50:51], -v[52:53]
	v_add_f64_e64 v[46:47], v[54:55], -v[48:49]
	v_fmac_f64_e32 v[14:15], v[14:15], v[32:33]
	s_delay_alu instid0(VALU_DEP_3) | instskip(NEXT) | instid1(VALU_DEP_3)
	v_add_f64_e32 v[10:11], v[10:11], v[44:45]
	v_add_f64_e64 v[30:31], v[30:31], -v[46:47]
	s_delay_alu instid0(VALU_DEP_3) | instskip(NEXT) | instid1(VALU_DEP_2)
	v_add_f64_e64 v[32:33], -v[14:15], s[24:25]
	v_add_f64_e32 v[10:11], v[10:11], v[30:31]
	s_delay_alu instid0(VALU_DEP_2) | instskip(NEXT) | instid1(VALU_DEP_1)
	v_dual_cndmask_b32 v15, v15, v33, s0 :: v_dual_cndmask_b32 v14, v14, v32, s0
	v_add_f64_e64 v[30:31], -v[14:15], s[26:27]
	s_delay_alu instid0(VALU_DEP_3) | instskip(NEXT) | instid1(VALU_DEP_2)
	v_add_f64_e32 v[10:11], v[54:55], v[10:11]
	v_dual_cndmask_b32 v14, v14, v30, vcc_lo :: v_dual_cndmask_b32 v8, v15, v31, vcc_lo
	s_and_b32 vcc_lo, s6, s5
	s_delay_alu instid0(VALU_DEP_1) | instskip(NEXT) | instid1(VALU_DEP_2)
	v_cndmask_b32_e64 v7, v8, v7, s1
	v_dual_mul_f64 v[2:3], 0.5, v[10:11] :: v_dual_cndmask_b32 v10, v14, v16, s1
	s_delay_alu instid0(VALU_DEP_1) | instskip(NEXT) | instid1(VALU_DEP_2)
	v_dual_cndmask_b32 v33, v7, v6 :: v_dual_cndmask_b32 v32, v10, v12
                                        ; implicit-def: $vgpr10_vgpr11
	v_cndmask_b32_e64 v31, 0x7ff00000, v3, s2
	s_delay_alu instid0(VALU_DEP_3)
	v_cndmask_b32_e64 v30, 0, v2, s2
.LBB173_285:                            ;   in Loop: Header=BB173_162 Depth=1
	s_and_not1_saveexec_b32 s2, s4
	s_cbranch_execz .LBB173_287
; %bb.286:                              ;   in Loop: Header=BB173_162 Depth=1
	v_max_num_f64_e64 v[6:7], |v[4:5]|, |v[4:5]|
	v_max_num_f64_e64 v[14:15], |v[2:3]|, |v[2:3]|
	v_cmp_eq_f64_e64 s1, 0, v[4:5]
	v_cmp_class_f64_e64 s4, v[4:5], 0x204
	v_cmp_class_f64_e64 s5, v[2:3], 0x204
	v_ashrrev_i32_e32 v8, 31, v3
	s_delay_alu instid0(VALU_DEP_1) | instskip(SKIP_2) | instid1(VALU_DEP_1)
	v_and_b32_e32 v16, 0x54442d18, v8
	v_max_num_f64_e32 v[30:31], v[14:15], v[6:7]
	v_min_num_f64_e32 v[6:7], v[14:15], v[6:7]
	v_div_scale_f64 v[14:15], null, v[30:31], v[30:31], v[6:7]
	v_div_scale_f64 v[46:47], vcc_lo, v[6:7], v[30:31], v[6:7]
	s_delay_alu instid0(VALU_DEP_2) | instskip(SKIP_1) | instid1(TRANS32_DEP_1)
	v_rcp_f64_e32 v[32:33], v[14:15]
	v_nop
	v_fma_f64 v[44:45], -v[14:15], v[32:33], 1.0
	s_delay_alu instid0(VALU_DEP_1) | instskip(NEXT) | instid1(VALU_DEP_1)
	v_fmac_f64_e32 v[32:33], v[32:33], v[44:45]
	v_fma_f64 v[44:45], -v[14:15], v[32:33], 1.0
	s_delay_alu instid0(VALU_DEP_1) | instskip(NEXT) | instid1(VALU_DEP_1)
	v_fmac_f64_e32 v[32:33], v[32:33], v[44:45]
	v_mul_f64_e32 v[44:45], v[46:47], v[32:33]
	s_delay_alu instid0(VALU_DEP_1) | instskip(NEXT) | instid1(VALU_DEP_1)
	v_fma_f64 v[14:15], -v[14:15], v[44:45], v[46:47]
	v_div_fmas_f64 v[14:15], v[14:15], v[32:33], v[44:45]
	v_cmp_gt_i32_e32 vcc_lo, 0, v3
	v_and_b32_e32 v3, 0x400921fb, v8
	v_cndmask_b32_e32 v2, 0x3fe921fb, v61, vcc_lo
	v_cndmask_b32_e32 v12, 0x54442d18, v60, vcc_lo
	s_delay_alu instid0(VALU_DEP_2) | instskip(SKIP_1) | instid1(VALU_DEP_1)
	v_bfi_b32 v2, 0x7fffffff, v2, v5
	v_div_fixup_f64 v[6:7], v[14:15], v[30:31], v[6:7]
	v_mul_f64_e32 v[14:15], v[6:7], v[6:7]
	s_delay_alu instid0(VALU_DEP_1) | instskip(NEXT) | instid1(VALU_DEP_1)
	v_fmamk_f64 v[30:31], v[14:15], 0x3eeba404b5e68a13, v[40:41]
	v_fmaak_f64 v[30:31], v[14:15], v[30:31], 0x3f4b2bb069efb384
	s_delay_alu instid0(VALU_DEP_1) | instskip(NEXT) | instid1(VALU_DEP_1)
	v_fmaak_f64 v[30:31], v[14:15], v[30:31], 0xbf67952daf56de9b
	v_fmaak_f64 v[30:31], v[14:15], v[30:31], 0x3f7d6d43a595c56f
	s_delay_alu instid0(VALU_DEP_1) | instskip(NEXT) | instid1(VALU_DEP_1)
	v_fmaak_f64 v[30:31], v[14:15], v[30:31], 0xbf8c6ea4a57d9582
	;; [unrolled: 3-line block ×9, first 2 shown]
	v_mul_f64_e32 v[14:15], v[14:15], v[30:31]
	s_delay_alu instid0(VALU_DEP_1) | instskip(NEXT) | instid1(VALU_DEP_1)
	v_fmac_f64_e32 v[6:7], v[6:7], v[14:15]
	v_add_f64_e64 v[14:15], -v[6:7], s[24:25]
	s_delay_alu instid0(VALU_DEP_1) | instskip(NEXT) | instid1(VALU_DEP_1)
	v_dual_cndmask_b32 v7, v7, v15, s0 :: v_dual_cndmask_b32 v6, v6, v14, s0
	v_add_f64_e64 v[14:15], -v[6:7], s[26:27]
	s_delay_alu instid0(VALU_DEP_1) | instskip(SKIP_2) | instid1(VALU_DEP_2)
	v_dual_cndmask_b32 v6, v6, v14 :: v_dual_cndmask_b32 v7, v7, v15
	v_mul_f64_e32 v[30:31], 0.5, v[10:11]
	s_and_b32 vcc_lo, s5, s4
	v_dual_cndmask_b32 v6, v6, v16, s1 :: v_dual_cndmask_b32 v3, v7, v3, s1
	s_delay_alu instid0(VALU_DEP_1) | instskip(NEXT) | instid1(VALU_DEP_3)
	v_dual_cndmask_b32 v32, v6, v12 :: v_dual_cndmask_b32 v33, v3, v2
	v_mul_f64_e32 v[30:31], v[10:11], v[30:31]
.LBB173_287:                            ;   in Loop: Header=BB173_162 Depth=1
	s_or_b32 exec_lo, exec_lo, s2
.LBB173_288:                            ;   in Loop: Header=BB173_162 Depth=1
	s_delay_alu instid0(SALU_CYCLE_1)
	s_or_b32 exec_lo, exec_lo, s3
.LBB173_289:                            ;   in Loop: Header=BB173_162 Depth=1
	s_and_not1_saveexec_b32 s2, s38
	s_cbranch_execz .LBB173_291
; %bb.290:                              ;   in Loop: Header=BB173_162 Depth=1
	v_div_scale_f64 v[6:7], null, s[34:35], s[34:35], v[2:3]
	v_div_scale_f64 v[10:11], null, s[34:35], s[34:35], v[4:5]
	v_div_scale_f64 v[46:47], vcc_lo, v[2:3], s[34:35], v[2:3]
	s_delay_alu instid0(VALU_DEP_3) | instskip(NEXT) | instid1(VALU_DEP_2)
	v_rcp_f64_e32 v[14:15], v[6:7]
	v_rcp_f64_e32 v[30:31], v[10:11]
	s_delay_alu instid0(TRANS32_DEP_2) | instskip(NEXT) | instid1(TRANS32_DEP_1)
	v_fma_f64 v[32:33], -v[6:7], v[14:15], 1.0
	v_fma_f64 v[44:45], -v[10:11], v[30:31], 1.0
	s_delay_alu instid0(VALU_DEP_2) | instskip(NEXT) | instid1(VALU_DEP_2)
	v_fmac_f64_e32 v[14:15], v[14:15], v[32:33]
	v_fmac_f64_e32 v[30:31], v[30:31], v[44:45]
	s_delay_alu instid0(VALU_DEP_2) | instskip(NEXT) | instid1(VALU_DEP_2)
	v_fma_f64 v[32:33], -v[6:7], v[14:15], 1.0
	v_fma_f64 v[44:45], -v[10:11], v[30:31], 1.0
	s_delay_alu instid0(VALU_DEP_2) | instskip(SKIP_1) | instid1(VALU_DEP_3)
	v_fmac_f64_e32 v[14:15], v[14:15], v[32:33]
	v_div_scale_f64 v[32:33], s1, v[4:5], s[34:35], v[4:5]
	v_fmac_f64_e32 v[30:31], v[30:31], v[44:45]
	s_delay_alu instid0(VALU_DEP_3) | instskip(NEXT) | instid1(VALU_DEP_2)
	v_mul_f64_e32 v[44:45], v[46:47], v[14:15]
	v_mul_f64_e32 v[48:49], v[32:33], v[30:31]
	s_delay_alu instid0(VALU_DEP_2) | instskip(NEXT) | instid1(VALU_DEP_2)
	v_fma_f64 v[6:7], -v[6:7], v[44:45], v[46:47]
	v_fma_f64 v[10:11], -v[10:11], v[48:49], v[32:33]
	s_delay_alu instid0(VALU_DEP_2) | instskip(SKIP_1) | instid1(VALU_DEP_2)
	v_div_fmas_f64 v[6:7], v[6:7], v[14:15], v[44:45]
	s_mov_b32 vcc_lo, s1
	v_div_fmas_f64 v[10:11], v[10:11], v[30:31], v[48:49]
	s_delay_alu instid0(VALU_DEP_2) | instskip(NEXT) | instid1(VALU_DEP_2)
	v_div_fixup_f64 v[6:7], v[6:7], s[34:35], v[2:3]
	v_div_fixup_f64 v[10:11], v[10:11], s[34:35], v[4:5]
	s_delay_alu instid0(VALU_DEP_2) | instskip(NEXT) | instid1(VALU_DEP_2)
	v_cmp_class_f64_e64 s1, v[6:7], 0x204
	v_max_num_f64_e64 v[14:15], |v[6:7]|, |v[10:11]|
	v_cmp_class_f64_e64 s3, v[10:11], 0x204
	s_delay_alu instid0(VALU_DEP_2) | instskip(SKIP_2) | instid1(VALU_DEP_2)
	v_frexp_exp_i32_f64_e32 v8, v[14:15]
	s_or_b32 s1, s1, s3
	v_cmp_class_f64_e64 s3, v[2:3], 0x204
	v_sub_nc_u32_e32 v12, 0, v8
	s_delay_alu instid0(VALU_DEP_1) | instskip(SKIP_1) | instid1(VALU_DEP_2)
	v_ldexp_f64 v[14:15], |v[10:11]|, v12
	v_ldexp_f64 v[30:31], |v[6:7]|, v12
	v_mul_f64_e32 v[14:15], v[14:15], v[14:15]
	s_delay_alu instid0(VALU_DEP_1) | instskip(NEXT) | instid1(VALU_DEP_1)
	v_fmac_f64_e32 v[14:15], v[30:31], v[30:31]
	v_rsq_f64_e32 v[30:31], v[14:15]
	v_cmp_eq_f64_e32 vcc_lo, 0, v[14:15]
	s_delay_alu instid0(TRANS32_DEP_1) | instskip(SKIP_1) | instid1(VALU_DEP_1)
	v_mul_f64_e32 v[32:33], v[14:15], v[30:31]
	v_mul_f64_e32 v[30:31], 0.5, v[30:31]
	v_fma_f64 v[44:45], -v[30:31], v[32:33], 0.5
	s_delay_alu instid0(VALU_DEP_1) | instskip(SKIP_1) | instid1(VALU_DEP_2)
	v_fmac_f64_e32 v[32:33], v[32:33], v[44:45]
	v_fmac_f64_e32 v[30:31], v[30:31], v[44:45]
	v_fma_f64 v[44:45], -v[32:33], v[32:33], v[14:15]
	s_delay_alu instid0(VALU_DEP_1) | instskip(NEXT) | instid1(VALU_DEP_1)
	v_fmac_f64_e32 v[32:33], v[44:45], v[30:31]
	v_dual_cndmask_b32 v15, v33, v15 :: v_dual_cndmask_b32 v14, v32, v14
	v_cmp_o_f64_e32 vcc_lo, v[6:7], v[10:11]
	s_delay_alu instid0(VALU_DEP_2) | instskip(NEXT) | instid1(VALU_DEP_1)
	v_ldexp_f64 v[14:15], v[14:15], v8
	v_cndmask_b32_e32 v6, 0, v14, vcc_lo
	s_delay_alu instid0(VALU_DEP_2) | instskip(NEXT) | instid1(VALU_DEP_2)
	v_cndmask_b32_e32 v7, 0x7ff80000, v15, vcc_lo
	v_cndmask_b32_e64 v6, v6, 0, s1
	s_delay_alu instid0(VALU_DEP_2) | instskip(SKIP_1) | instid1(VALU_DEP_2)
	v_cndmask_b32_e64 v7, v7, 0x7ff00000, s1
	v_cmp_class_f64_e64 s1, v[4:5], 0x204
	v_frexp_mant_f64_e32 v[10:11], v[6:7]
	s_delay_alu instid0(VALU_DEP_1) | instskip(SKIP_1) | instid1(VALU_DEP_1)
	v_cmp_gt_f64_e32 vcc_lo, s[20:21], v[10:11]
	v_cndmask_b32_e64 v8, 0, 1, vcc_lo
	v_ldexp_f64 v[10:11], v[10:11], v8
	v_frexp_exp_i32_f64_e32 v8, v[6:7]
	s_delay_alu instid0(VALU_DEP_2) | instskip(SKIP_1) | instid1(VALU_DEP_3)
	v_add_f64_e32 v[14:15], 1.0, v[10:11]
	v_add_f64_e32 v[44:45], -1.0, v[10:11]
	v_subrev_co_ci_u32_e64 v8, null, 0, v8, vcc_lo
	s_delay_alu instid0(VALU_DEP_3) | instskip(SKIP_1) | instid1(VALU_DEP_1)
	v_rcp_f64_e32 v[30:31], v[14:15]
	v_add_f64_e32 v[46:47], -1.0, v[14:15]
	v_add_f64_e64 v[10:11], v[10:11], -v[46:47]
	s_delay_alu instid0(TRANS32_DEP_1) | instskip(NEXT) | instid1(VALU_DEP_1)
	v_fma_f64 v[32:33], -v[14:15], v[30:31], 1.0
	v_fmac_f64_e32 v[30:31], v[32:33], v[30:31]
	s_delay_alu instid0(VALU_DEP_1) | instskip(NEXT) | instid1(VALU_DEP_1)
	v_fma_f64 v[32:33], -v[14:15], v[30:31], 1.0
	v_fmac_f64_e32 v[30:31], v[32:33], v[30:31]
	s_delay_alu instid0(VALU_DEP_1) | instskip(NEXT) | instid1(VALU_DEP_1)
	v_mul_f64_e32 v[32:33], v[44:45], v[30:31]
	v_mul_f64_e32 v[48:49], v[14:15], v[32:33]
	s_delay_alu instid0(VALU_DEP_1) | instskip(NEXT) | instid1(VALU_DEP_1)
	v_fma_f64 v[14:15], v[32:33], v[14:15], -v[48:49]
	v_fmac_f64_e32 v[14:15], v[32:33], v[10:11]
	s_delay_alu instid0(VALU_DEP_1) | instskip(NEXT) | instid1(VALU_DEP_1)
	v_add_f64_e32 v[10:11], v[48:49], v[14:15]
	v_add_f64_e64 v[46:47], v[44:45], -v[10:11]
	v_add_f64_e64 v[48:49], v[10:11], -v[48:49]
	s_delay_alu instid0(VALU_DEP_2) | instskip(NEXT) | instid1(VALU_DEP_2)
	v_add_f64_e64 v[44:45], v[44:45], -v[46:47]
	v_add_f64_e64 v[14:15], v[48:49], -v[14:15]
	s_delay_alu instid0(VALU_DEP_2) | instskip(SKIP_1) | instid1(VALU_DEP_2)
	v_add_f64_e64 v[10:11], v[44:45], -v[10:11]
	v_max_num_f64_e64 v[44:45], |v[2:3]|, |v[2:3]|
	v_add_f64_e32 v[10:11], v[14:15], v[10:11]
	v_max_num_f64_e64 v[14:15], |v[4:5]|, |v[4:5]|
	s_delay_alu instid0(VALU_DEP_2) | instskip(NEXT) | instid1(VALU_DEP_1)
	v_add_f64_e32 v[10:11], v[46:47], v[10:11]
	v_mul_f64_e32 v[10:11], v[30:31], v[10:11]
	s_delay_alu instid0(VALU_DEP_3) | instskip(SKIP_1) | instid1(VALU_DEP_3)
	v_max_num_f64_e32 v[30:31], v[44:45], v[14:15]
	v_min_num_f64_e32 v[14:15], v[44:45], v[14:15]
	v_add_f64_e32 v[44:45], v[32:33], v[10:11]
	s_delay_alu instid0(VALU_DEP_2) | instskip(NEXT) | instid1(VALU_DEP_2)
	v_div_scale_f64 v[46:47], null, v[30:31], v[30:31], v[14:15]
	v_mul_f64_e32 v[48:49], v[44:45], v[44:45]
	v_add_f64_e64 v[32:33], v[44:45], -v[32:33]
	s_delay_alu instid0(VALU_DEP_3) | instskip(NEXT) | instid1(VALU_DEP_2)
	v_rcp_f64_e32 v[50:51], v[46:47]
	v_fmamk_f64 v[52:53], v[48:49], 0x3fc3ab76bf559e2b, v[38:39]
	v_mul_f64_e32 v[54:55], v[44:45], v[48:49]
	s_delay_alu instid0(VALU_DEP_3) | instskip(NEXT) | instid1(VALU_DEP_3)
	v_add_f64_e64 v[10:11], v[10:11], -v[32:33]
	v_fmaak_f64 v[52:53], v[48:49], v[52:53], 0x3fc7474dd7f4df2e
	s_delay_alu instid0(TRANS32_DEP_1) | instskip(NEXT) | instid1(VALU_DEP_2)
	v_fma_f64 v[56:57], -v[46:47], v[50:51], 1.0
	v_fmaak_f64 v[52:53], v[48:49], v[52:53], 0x3fcc71c016291751
	s_delay_alu instid0(VALU_DEP_1) | instskip(NEXT) | instid1(VALU_DEP_1)
	v_fmaak_f64 v[52:53], v[48:49], v[52:53], 0x3fd249249b27acf1
	v_fmaak_f64 v[52:53], v[48:49], v[52:53], 0x3fd99999998ef7b6
	v_ldexp_f64 v[10:11], v[10:11], 1
	s_delay_alu instid0(VALU_DEP_2) | instskip(SKIP_2) | instid1(VALU_DEP_3)
	v_fmaak_f64 v[48:49], v[48:49], v[52:53], 0x3fe5555555555780
	v_ldexp_f64 v[52:53], v[44:45], 1
	v_fmac_f64_e32 v[50:51], v[50:51], v[56:57]
	v_mul_f64_e32 v[48:49], v[54:55], v[48:49]
	v_cvt_f64_i32_e32 v[54:55], v8
	v_ashrrev_i32_e32 v8, 31, v3
	s_delay_alu instid0(VALU_DEP_1) | instskip(SKIP_3) | instid1(VALU_DEP_3)
	v_and_b32_e32 v16, 0x54442d18, v8
	v_fma_f64 v[56:57], -v[46:47], v[50:51], 1.0
	v_add_f64_e32 v[44:45], v[52:53], v[48:49]
	v_mul_f64_e32 v[58:59], 0x3fe62e42fefa39ef, v[54:55]
	v_fmac_f64_e32 v[50:51], v[50:51], v[56:57]
	s_delay_alu instid0(VALU_DEP_3) | instskip(SKIP_1) | instid1(VALU_DEP_4)
	v_add_f64_e64 v[32:33], v[44:45], -v[52:53]
	v_div_scale_f64 v[52:53], vcc_lo, v[14:15], v[30:31], v[14:15]
	v_fma_f64 v[56:57], v[54:55], s[22:23], -v[58:59]
	s_delay_alu instid0(VALU_DEP_3) | instskip(NEXT) | instid1(VALU_DEP_3)
	v_add_f64_e64 v[32:33], v[48:49], -v[32:33]
	v_mul_f64_e32 v[48:49], v[52:53], v[50:51]
	s_delay_alu instid0(VALU_DEP_3) | instskip(NEXT) | instid1(VALU_DEP_3)
	v_fmac_f64_e32 v[56:57], 0x3c7abc9e3b39803f, v[54:55]
	v_add_f64_e32 v[10:11], v[10:11], v[32:33]
	s_delay_alu instid0(VALU_DEP_3) | instskip(NEXT) | instid1(VALU_DEP_3)
	v_fma_f64 v[32:33], -v[46:47], v[48:49], v[52:53]
	v_add_f64_e32 v[46:47], v[58:59], v[56:57]
	s_delay_alu instid0(VALU_DEP_3) | instskip(NEXT) | instid1(VALU_DEP_3)
	v_add_f64_e32 v[52:53], v[44:45], v[10:11]
	v_div_fmas_f64 v[32:33], v[32:33], v[50:51], v[48:49]
	v_cmp_class_f64_e64 vcc_lo, v[6:7], 0x204
	s_delay_alu instid0(VALU_DEP_4) | instskip(NEXT) | instid1(VALU_DEP_4)
	v_add_f64_e64 v[50:51], v[46:47], -v[58:59]
	v_add_f64_e32 v[48:49], v[46:47], v[52:53]
	s_delay_alu instid0(VALU_DEP_4) | instskip(SKIP_1) | instid1(VALU_DEP_4)
	v_div_fixup_f64 v[14:15], v[32:33], v[30:31], v[14:15]
	v_add_f64_e64 v[44:45], v[52:53], -v[44:45]
	v_add_f64_e64 v[50:51], v[56:57], -v[50:51]
	s_delay_alu instid0(VALU_DEP_4) | instskip(NEXT) | instid1(VALU_DEP_4)
	v_add_f64_e64 v[30:31], v[48:49], -v[46:47]
	v_mul_f64_e32 v[32:33], v[14:15], v[14:15]
	s_delay_alu instid0(VALU_DEP_4) | instskip(NEXT) | instid1(VALU_DEP_3)
	v_add_f64_e64 v[10:11], v[10:11], -v[44:45]
	v_add_f64_e64 v[54:55], v[48:49], -v[30:31]
	s_delay_alu instid0(VALU_DEP_3) | instskip(SKIP_1) | instid1(VALU_DEP_4)
	v_fmamk_f64 v[58:59], v[32:33], 0x3eeba404b5e68a13, v[40:41]
	v_add_f64_e64 v[30:31], v[52:53], -v[30:31]
	v_add_f64_e32 v[52:53], v[50:51], v[10:11]
	s_delay_alu instid0(VALU_DEP_3) | instskip(SKIP_1) | instid1(VALU_DEP_2)
	v_fmaak_f64 v[58:59], v[32:33], v[58:59], 0x3f4b2bb069efb384
	v_add_f64_e64 v[44:45], v[46:47], -v[54:55]
	v_fmaak_f64 v[46:47], v[32:33], v[58:59], 0xbf67952daf56de9b
	s_delay_alu instid0(VALU_DEP_1) | instskip(NEXT) | instid1(VALU_DEP_1)
	v_fmaak_f64 v[46:47], v[32:33], v[46:47], 0x3f7d6d43a595c56f
	v_fmaak_f64 v[46:47], v[32:33], v[46:47], 0xbf8c6ea4a57d9582
	s_delay_alu instid0(VALU_DEP_1) | instskip(SKIP_1) | instid1(VALU_DEP_2)
	v_fmaak_f64 v[46:47], v[32:33], v[46:47], 0x3f967e295f08b19f
	v_add_f64_e32 v[30:31], v[30:31], v[44:45]
	v_fmaak_f64 v[44:45], v[32:33], v[46:47], 0xbf9e9ae6fc27006a
	v_add_f64_e64 v[46:47], v[52:53], -v[50:51]
	s_delay_alu instid0(VALU_DEP_2) | instskip(NEXT) | instid1(VALU_DEP_1)
	v_fmaak_f64 v[44:45], v[32:33], v[44:45], 0x3fa2c15b5711927a
	v_fmaak_f64 v[44:45], v[32:33], v[44:45], 0xbfa59976e82d3ff0
	s_delay_alu instid0(VALU_DEP_1) | instskip(NEXT) | instid1(VALU_DEP_1)
	v_fmaak_f64 v[44:45], v[32:33], v[44:45], 0x3fa82d5d6ef28734
	v_fmaak_f64 v[44:45], v[32:33], v[44:45], 0xbfaae5ce6a214619
	v_add_f64_e32 v[30:31], v[52:53], v[30:31]
	v_add_f64_e64 v[52:53], v[52:53], -v[46:47]
	v_add_f64_e64 v[10:11], v[10:11], -v[46:47]
	s_delay_alu instid0(VALU_DEP_4) | instskip(NEXT) | instid1(VALU_DEP_1)
	v_fmaak_f64 v[44:45], v[32:33], v[44:45], 0x3fae1bb48427b883
	v_fmaak_f64 v[44:45], v[32:33], v[44:45], 0xbfb110e48b207f05
	s_delay_alu instid0(VALU_DEP_1) | instskip(NEXT) | instid1(VALU_DEP_1)
	v_fmaak_f64 v[44:45], v[32:33], v[44:45], 0x3fb3b13657b87036
	v_fmaak_f64 v[44:45], v[32:33], v[44:45], 0xbfb745d119378e4f
	s_delay_alu instid0(VALU_DEP_1) | instskip(SKIP_1) | instid1(VALU_DEP_2)
	v_fmaak_f64 v[44:45], v[32:33], v[44:45], 0x3fbc71c717e1913c
	v_add_f64_e32 v[54:55], v[48:49], v[30:31]
	v_fmaak_f64 v[44:45], v[32:33], v[44:45], 0xbfc2492492376b7d
	s_delay_alu instid0(VALU_DEP_1) | instskip(NEXT) | instid1(VALU_DEP_1)
	v_fmaak_f64 v[44:45], v[32:33], v[44:45], 0x3fc99999999952cc
	v_fmaak_f64 v[44:45], v[32:33], v[44:45], 0xbfd5555555555523
	s_delay_alu instid0(VALU_DEP_1) | instskip(SKIP_2) | instid1(VALU_DEP_3)
	v_mul_f64_e32 v[32:33], v[32:33], v[44:45]
	v_add_f64_e64 v[44:45], v[50:51], -v[52:53]
	v_add_f64_e64 v[46:47], v[54:55], -v[48:49]
	v_fmac_f64_e32 v[14:15], v[14:15], v[32:33]
	s_delay_alu instid0(VALU_DEP_3) | instskip(NEXT) | instid1(VALU_DEP_3)
	v_add_f64_e32 v[10:11], v[10:11], v[44:45]
	v_add_f64_e64 v[30:31], v[30:31], -v[46:47]
	s_delay_alu instid0(VALU_DEP_3) | instskip(NEXT) | instid1(VALU_DEP_2)
	v_add_f64_e64 v[32:33], -v[14:15], s[24:25]
	v_add_f64_e32 v[10:11], v[10:11], v[30:31]
	s_delay_alu instid0(VALU_DEP_2) | instskip(SKIP_2) | instid1(VALU_DEP_4)
	v_dual_cndmask_b32 v15, v15, v33, s0 :: v_dual_cndmask_b32 v14, v14, v32, s0
	v_cmp_gt_i32_e64 s0, 0, v3
	v_and_b32_e32 v3, 0x400921fb, v8
	v_add_f64_e32 v[10:11], v[54:55], v[10:11]
	s_delay_alu instid0(VALU_DEP_4) | instskip(NEXT) | instid1(VALU_DEP_4)
	v_add_f64_e64 v[30:31], -v[14:15], s[26:27]
	v_cndmask_b32_e64 v12, 0x54442d18, v60, s0
	v_cndmask_b32_e64 v2, 0x3fe921fb, v61, s0
	s_delay_alu instid0(VALU_DEP_1) | instskip(SKIP_4) | instid1(VALU_DEP_2)
	v_bfi_b32 v2, 0x7fffffff, v2, v5
	v_dual_cndmask_b32 v11, v11, v7 :: v_dual_cndmask_b32 v10, v10, v6
	v_cmp_eq_f64_e32 vcc_lo, 0, v[4:5]
	v_dual_cndmask_b32 v14, v14, v30, s0 :: v_dual_cndmask_b32 v8, v15, v31, s0
	v_cmp_nge_f64_e64 s0, 0, v[6:7]
	v_dual_add_f64 v[10:11], 1.0, v[10:11] :: v_dual_cndmask_b32 v14, v14, v16, vcc_lo
	s_delay_alu instid0(VALU_DEP_3) | instskip(SKIP_1) | instid1(VALU_DEP_3)
	v_cndmask_b32_e32 v3, v8, v3, vcc_lo
	v_cmp_ngt_f64_e32 vcc_lo, 0, v[6:7]
	v_cndmask_b32_e64 v30, 0, v10, s0
	v_cmp_neq_f64_e64 s0, 0, v[6:7]
	v_cndmask_b32_e32 v8, 0x7ff80000, v11, vcc_lo
	s_and_b32 vcc_lo, s3, s1
	v_dual_cndmask_b32 v33, v3, v2 :: v_dual_cndmask_b32 v32, v14, v12
	s_delay_alu instid0(VALU_DEP_2)
	v_cndmask_b32_e64 v31, 0xfff00000, v8, s0
.LBB173_291:                            ;   in Loop: Header=BB173_162 Depth=1
	s_or_b32 exec_lo, exec_lo, s2
.LBB173_292:                            ;   in Loop: Header=BB173_162 Depth=1
	s_and_not1_saveexec_b32 s0, s33
	s_cbranch_execz .LBB173_161
; %bb.293:                              ;   in Loop: Header=BB173_162 Depth=1
	v_cmp_ngt_f64_e64 s1, 0x20000000, |v[2:3]|
	v_cmp_ngt_f64_e64 s2, 0x20000000, |v[4:5]|
                                        ; implicit-def: $vgpr6_vgpr7
	s_or_b32 s1, s1, s2
	s_delay_alu instid0(SALU_CYCLE_1) | instskip(NEXT) | instid1(SALU_CYCLE_1)
	s_and_saveexec_b32 s2, s1
	s_xor_b32 s1, exec_lo, s2
	s_cbranch_execz .LBB173_295
; %bb.294:                              ;   in Loop: Header=BB173_162 Depth=1
	v_mul_f64_e32 v[6:7], v[4:5], v[4:5]
	s_delay_alu instid0(VALU_DEP_1)
	v_fmac_f64_e32 v[6:7], v[2:3], v[2:3]
.LBB173_295:                            ;   in Loop: Header=BB173_162 Depth=1
	s_and_not1_saveexec_b32 s1, s1
	s_cbranch_execz .LBB173_160
; %bb.296:                              ;   in Loop: Header=BB173_162 Depth=1
	v_mul_f64_e32 v[6:7], 4.0, v[4:5]
	v_mul_f64_e32 v[2:3], 4.0, v[2:3]
	s_delay_alu instid0(VALU_DEP_2) | instskip(NEXT) | instid1(VALU_DEP_1)
	v_mul_f64_e32 v[6:7], v[6:7], v[6:7]
	v_fmac_f64_e32 v[6:7], v[2:3], v[2:3]
	s_delay_alu instid0(VALU_DEP_1)
	v_ldexp_f64 v[6:7], v[6:7], -4
	s_branch .LBB173_160
.LBB173_297:
	s_sendmsg sendmsg(MSG_DEALLOC_VGPRS)
	s_endpgm
	.section	.rodata,"a",@progbits
	.p2align	6, 0x0
	.amdhsa_kernel _ZN2at6native12_GLOBAL__N_125multi_tensor_apply_kernelINS1_18TensorListMetadataILi1EEENS1_14UnaryOpFunctorIN3c107complexIdEELi1ELi1ELi0EEEJNS0_3LogIS8_EEEEEvT_T0_DpT1_
		.amdhsa_group_segment_fixed_size 0
		.amdhsa_private_segment_fixed_size 0
		.amdhsa_kernarg_size 3632
		.amdhsa_user_sgpr_count 2
		.amdhsa_user_sgpr_dispatch_ptr 0
		.amdhsa_user_sgpr_queue_ptr 0
		.amdhsa_user_sgpr_kernarg_segment_ptr 1
		.amdhsa_user_sgpr_dispatch_id 0
		.amdhsa_user_sgpr_kernarg_preload_length 0
		.amdhsa_user_sgpr_kernarg_preload_offset 0
		.amdhsa_user_sgpr_private_segment_size 0
		.amdhsa_wavefront_size32 1
		.amdhsa_uses_dynamic_stack 0
		.amdhsa_enable_private_segment 0
		.amdhsa_system_sgpr_workgroup_id_x 1
		.amdhsa_system_sgpr_workgroup_id_y 0
		.amdhsa_system_sgpr_workgroup_id_z 0
		.amdhsa_system_sgpr_workgroup_info 0
		.amdhsa_system_vgpr_workitem_id 0
		.amdhsa_next_free_vgpr 88
		.amdhsa_next_free_sgpr 59
		.amdhsa_named_barrier_count 0
		.amdhsa_reserve_vcc 1
		.amdhsa_float_round_mode_32 0
		.amdhsa_float_round_mode_16_64 0
		.amdhsa_float_denorm_mode_32 3
		.amdhsa_float_denorm_mode_16_64 3
		.amdhsa_fp16_overflow 0
		.amdhsa_memory_ordered 1
		.amdhsa_forward_progress 1
		.amdhsa_inst_pref_size 255
		.amdhsa_round_robin_scheduling 0
		.amdhsa_exception_fp_ieee_invalid_op 0
		.amdhsa_exception_fp_denorm_src 0
		.amdhsa_exception_fp_ieee_div_zero 0
		.amdhsa_exception_fp_ieee_overflow 0
		.amdhsa_exception_fp_ieee_underflow 0
		.amdhsa_exception_fp_ieee_inexact 0
		.amdhsa_exception_int_div_zero 0
	.end_amdhsa_kernel
	.section	.text._ZN2at6native12_GLOBAL__N_125multi_tensor_apply_kernelINS1_18TensorListMetadataILi1EEENS1_14UnaryOpFunctorIN3c107complexIdEELi1ELi1ELi0EEEJNS0_3LogIS8_EEEEEvT_T0_DpT1_,"axG",@progbits,_ZN2at6native12_GLOBAL__N_125multi_tensor_apply_kernelINS1_18TensorListMetadataILi1EEENS1_14UnaryOpFunctorIN3c107complexIdEELi1ELi1ELi0EEEJNS0_3LogIS8_EEEEEvT_T0_DpT1_,comdat
.Lfunc_end173:
	.size	_ZN2at6native12_GLOBAL__N_125multi_tensor_apply_kernelINS1_18TensorListMetadataILi1EEENS1_14UnaryOpFunctorIN3c107complexIdEELi1ELi1ELi0EEEJNS0_3LogIS8_EEEEEvT_T0_DpT1_, .Lfunc_end173-_ZN2at6native12_GLOBAL__N_125multi_tensor_apply_kernelINS1_18TensorListMetadataILi1EEENS1_14UnaryOpFunctorIN3c107complexIdEELi1ELi1ELi0EEEJNS0_3LogIS8_EEEEEvT_T0_DpT1_
                                        ; -- End function
	.set _ZN2at6native12_GLOBAL__N_125multi_tensor_apply_kernelINS1_18TensorListMetadataILi1EEENS1_14UnaryOpFunctorIN3c107complexIdEELi1ELi1ELi0EEEJNS0_3LogIS8_EEEEEvT_T0_DpT1_.num_vgpr, 88
	.set _ZN2at6native12_GLOBAL__N_125multi_tensor_apply_kernelINS1_18TensorListMetadataILi1EEENS1_14UnaryOpFunctorIN3c107complexIdEELi1ELi1ELi0EEEJNS0_3LogIS8_EEEEEvT_T0_DpT1_.num_agpr, 0
	.set _ZN2at6native12_GLOBAL__N_125multi_tensor_apply_kernelINS1_18TensorListMetadataILi1EEENS1_14UnaryOpFunctorIN3c107complexIdEELi1ELi1ELi0EEEJNS0_3LogIS8_EEEEEvT_T0_DpT1_.numbered_sgpr, 59
	.set _ZN2at6native12_GLOBAL__N_125multi_tensor_apply_kernelINS1_18TensorListMetadataILi1EEENS1_14UnaryOpFunctorIN3c107complexIdEELi1ELi1ELi0EEEJNS0_3LogIS8_EEEEEvT_T0_DpT1_.num_named_barrier, 0
	.set _ZN2at6native12_GLOBAL__N_125multi_tensor_apply_kernelINS1_18TensorListMetadataILi1EEENS1_14UnaryOpFunctorIN3c107complexIdEELi1ELi1ELi0EEEJNS0_3LogIS8_EEEEEvT_T0_DpT1_.private_seg_size, 0
	.set _ZN2at6native12_GLOBAL__N_125multi_tensor_apply_kernelINS1_18TensorListMetadataILi1EEENS1_14UnaryOpFunctorIN3c107complexIdEELi1ELi1ELi0EEEJNS0_3LogIS8_EEEEEvT_T0_DpT1_.uses_vcc, 1
	.set _ZN2at6native12_GLOBAL__N_125multi_tensor_apply_kernelINS1_18TensorListMetadataILi1EEENS1_14UnaryOpFunctorIN3c107complexIdEELi1ELi1ELi0EEEJNS0_3LogIS8_EEEEEvT_T0_DpT1_.uses_flat_scratch, 0
	.set _ZN2at6native12_GLOBAL__N_125multi_tensor_apply_kernelINS1_18TensorListMetadataILi1EEENS1_14UnaryOpFunctorIN3c107complexIdEELi1ELi1ELi0EEEJNS0_3LogIS8_EEEEEvT_T0_DpT1_.has_dyn_sized_stack, 0
	.set _ZN2at6native12_GLOBAL__N_125multi_tensor_apply_kernelINS1_18TensorListMetadataILi1EEENS1_14UnaryOpFunctorIN3c107complexIdEELi1ELi1ELi0EEEJNS0_3LogIS8_EEEEEvT_T0_DpT1_.has_recursion, 0
	.set _ZN2at6native12_GLOBAL__N_125multi_tensor_apply_kernelINS1_18TensorListMetadataILi1EEENS1_14UnaryOpFunctorIN3c107complexIdEELi1ELi1ELi0EEEJNS0_3LogIS8_EEEEEvT_T0_DpT1_.has_indirect_call, 0
	.section	.AMDGPU.csdata,"",@progbits
; Kernel info:
; codeLenInByte = 90188
; TotalNumSgprs: 61
; NumVgprs: 88
; ScratchSize: 0
; MemoryBound: 1
; FloatMode: 240
; IeeeMode: 1
; LDSByteSize: 0 bytes/workgroup (compile time only)
; SGPRBlocks: 0
; VGPRBlocks: 5
; NumSGPRsForWavesPerEU: 61
; NumVGPRsForWavesPerEU: 88
; NamedBarCnt: 0
; Occupancy: 10
; WaveLimiterHint : 0
; COMPUTE_PGM_RSRC2:SCRATCH_EN: 0
; COMPUTE_PGM_RSRC2:USER_SGPR: 2
; COMPUTE_PGM_RSRC2:TRAP_HANDLER: 0
; COMPUTE_PGM_RSRC2:TGID_X_EN: 1
; COMPUTE_PGM_RSRC2:TGID_Y_EN: 0
; COMPUTE_PGM_RSRC2:TGID_Z_EN: 0
; COMPUTE_PGM_RSRC2:TIDIG_COMP_CNT: 0
	.section	.text._ZN2at6native12_GLOBAL__N_125multi_tensor_apply_kernelINS1_18TensorListMetadataILi1EEENS1_14UnaryOpFunctorIN3c107complexIfEELi1ELi1ELi0EEEJNS0_3LogIS8_EEEEEvT_T0_DpT1_,"axG",@progbits,_ZN2at6native12_GLOBAL__N_125multi_tensor_apply_kernelINS1_18TensorListMetadataILi1EEENS1_14UnaryOpFunctorIN3c107complexIfEELi1ELi1ELi0EEEJNS0_3LogIS8_EEEEEvT_T0_DpT1_,comdat
	.globl	_ZN2at6native12_GLOBAL__N_125multi_tensor_apply_kernelINS1_18TensorListMetadataILi1EEENS1_14UnaryOpFunctorIN3c107complexIfEELi1ELi1ELi0EEEJNS0_3LogIS8_EEEEEvT_T0_DpT1_ ; -- Begin function _ZN2at6native12_GLOBAL__N_125multi_tensor_apply_kernelINS1_18TensorListMetadataILi1EEENS1_14UnaryOpFunctorIN3c107complexIfEELi1ELi1ELi0EEEJNS0_3LogIS8_EEEEEvT_T0_DpT1_
	.p2align	8
	.type	_ZN2at6native12_GLOBAL__N_125multi_tensor_apply_kernelINS1_18TensorListMetadataILi1EEENS1_14UnaryOpFunctorIN3c107complexIfEELi1ELi1ELi0EEEJNS0_3LogIS8_EEEEEvT_T0_DpT1_,@function
_ZN2at6native12_GLOBAL__N_125multi_tensor_apply_kernelINS1_18TensorListMetadataILi1EEENS1_14UnaryOpFunctorIN3c107complexIfEELi1ELi1ELi0EEEJNS0_3LogIS8_EEEEEvT_T0_DpT1_: ; @_ZN2at6native12_GLOBAL__N_125multi_tensor_apply_kernelINS1_18TensorListMetadataILi1EEENS1_14UnaryOpFunctorIN3c107complexIfEELi1ELi1ELi0EEEJNS0_3LogIS8_EEEEEvT_T0_DpT1_
; %bb.0:
	s_bfe_u32 s2, ttmp6, 0x4000c
	s_and_b32 s3, ttmp6, 15
	s_add_co_i32 s2, s2, 1
	s_getreg_b32 s4, hwreg(HW_REG_IB_STS2, 6, 4)
	s_mul_i32 s2, ttmp9, s2
	s_delay_alu instid0(SALU_CYCLE_1)
	s_add_co_i32 s3, s3, s2
	s_cmp_eq_u32 s4, 0
	s_cselect_b32 s2, ttmp9, s3
	s_mov_b32 s3, 0
	s_load_u8 s12, s[0:1], s2 offset:0x6e0
	s_add_nc_u64 s[4:5], s[0:1], s[2:3]
	s_mul_u64 s[6:7], s[2:3], 3
	s_delay_alu instid0(SALU_CYCLE_1)
	s_add_nc_u64 s[4:5], s[4:5], s[6:7]
	s_load_b32 s6, s[4:5], 0x820
	s_wait_kmcnt 0x0
	s_clause 0x1
	s_load_b64 s[8:9], s[0:1], s12 offset:0x0 scale_offset
	s_load_b64 s[10:11], s[0:1], s12 offset:0x370 scale_offset
	s_ashr_i32 s7, s6, 31
	s_delay_alu instid0(SALU_CYCLE_1) | instskip(SKIP_3) | instid1(SALU_CYCLE_1)
	s_lshl_b64 s[4:5], s[6:7], 19
	s_wait_kmcnt 0x0
	s_and_b32 s2, s10, 3
	s_add_nc_u64 s[14:15], s[8:9], s[4:5]
	s_and_b64 s[4:5], s[14:15], 31
	s_delay_alu instid0(SALU_CYCLE_1)
	s_or_b64 s[2:3], s[4:5], s[2:3]
	s_lshl_b64 s[4:5], s[6:7], 16
	s_cmp_eq_u64 s[2:3], 0
	s_sub_nc_u64 s[16:17], s[10:11], s[4:5]
	s_cbranch_scc1 .LBB174_157
; %bb.1:
	v_cmp_lt_i64_e64 s2, s[16:17], 1
	s_and_b32 vcc_lo, exec_lo, s2
	s_cbranch_vccnz .LBB174_156
; %bb.2:
	v_min_i64 v[2:3], 0x10000, s[16:17]
	v_min_u64 v[4:5], 0x10000, s[16:17]
	s_load_b32 s2, s[0:1], 0xd3c
	v_mov_b64_e32 v[6:7], 0x3f800000bf800000
	v_dual_mov_b32 v1, 0 :: v_dual_mov_b32 v8, 0x3f317218
	v_mov_b32_e32 v34, 0x4016cbe4
	s_mov_b32 s19, 0
	s_mov_b64 s[26:27], 0
	s_mov_b32 s21, s19
	s_mov_b32 s23, s19
	s_mov_b32 s25, s19
	s_mov_b32 s28, 0x3e9b6dac
	s_mov_b32 s29, 0x3b2d2a58
	s_wait_kmcnt 0x0
	s_and_b32 s18, s2, 0xffff
	s_delay_alu instid0(SALU_CYCLE_1)
	s_lshl_b32 s20, s18, 1
	s_mul_i32 s22, s18, 3
	s_lshl_b32 s24, s18, 2
	s_branch .LBB174_4
.LBB174_3:                              ;   in Loop: Header=BB174_4 Depth=1
	s_wait_xcnt 0x0
	s_or_b32 exec_lo, exec_lo, s2
	s_add_nc_u64 s[26:27], s[26:27], s[24:25]
	s_delay_alu instid0(SALU_CYCLE_1)
	v_cmp_ge_i64_e32 vcc_lo, s[26:27], v[2:3]
	s_cbranch_vccnz .LBB174_156
.LBB174_4:                              ; =>This Loop Header: Depth=1
                                        ;     Child Loop BB174_23 Depth 2
                                        ;     Child Loop BB174_57 Depth 2
	;; [unrolled: 1-line block ×4, first 2 shown]
	v_add_nc_u64_e32 v[22:23], s[26:27], v[0:1]
	v_dual_mov_b32 v14, 0 :: v_dual_mov_b32 v15, 0
	s_delay_alu instid0(VALU_DEP_2)
	v_cmp_lt_u64_e64 s2, v[22:23], v[4:5]
	v_lshl_add_u64 v[10:11], v[22:23], 3, s[14:15]
	s_and_saveexec_b32 s3, s2
	s_cbranch_execz .LBB174_6
; %bb.5:                                ;   in Loop: Header=BB174_4 Depth=1
	global_load_b64 v[14:15], v[10:11], off
.LBB174_6:                              ;   in Loop: Header=BB174_4 Depth=1
	s_wait_xcnt 0x0
	s_or_b32 exec_lo, exec_lo, s3
	v_add_nc_u64_e32 v[16:17], s[18:19], v[22:23]
	v_dual_mov_b32 v12, 0 :: v_dual_mov_b32 v18, 0
	v_mov_b32_e32 v19, 0
	s_delay_alu instid0(VALU_DEP_3)
	v_cmp_lt_u64_e64 s3, v[16:17], v[4:5]
	v_lshl_add_u64 v[16:17], v[16:17], 3, s[14:15]
	s_and_saveexec_b32 s4, s3
	s_cbranch_execz .LBB174_8
; %bb.7:                                ;   in Loop: Header=BB174_4 Depth=1
	global_load_b64 v[18:19], v[16:17], off
.LBB174_8:                              ;   in Loop: Header=BB174_4 Depth=1
	s_wait_xcnt 0x0
	s_or_b32 exec_lo, exec_lo, s4
	v_add_nc_u64_e32 v[20:21], s[20:21], v[22:23]
	v_mov_b32_e32 v13, 0
	s_delay_alu instid0(VALU_DEP_2)
	v_cmp_lt_u64_e64 s4, v[20:21], v[4:5]
	v_lshl_add_u64 v[20:21], v[20:21], 3, s[14:15]
	s_and_saveexec_b32 s5, s4
	s_cbranch_execz .LBB174_10
; %bb.9:                                ;   in Loop: Header=BB174_4 Depth=1
	global_load_b64 v[12:13], v[20:21], off
.LBB174_10:                             ;   in Loop: Header=BB174_4 Depth=1
	s_wait_xcnt 0x0
	s_or_b32 exec_lo, exec_lo, s5
	v_add_nc_u64_e32 v[22:23], s[22:23], v[22:23]
	v_mov_b32_e32 v24, 0
	s_delay_alu instid0(VALU_DEP_1) | instskip(NEXT) | instid1(VALU_DEP_3)
	v_mov_b32_e32 v25, v24
	v_cmp_lt_u64_e64 s5, v[22:23], v[4:5]
	v_lshl_add_u64 v[22:23], v[22:23], 3, s[14:15]
	s_and_saveexec_b32 s6, s5
	s_cbranch_execz .LBB174_12
; %bb.11:                               ;   in Loop: Header=BB174_4 Depth=1
	global_load_b64 v[24:25], v[22:23], off
.LBB174_12:                             ;   in Loop: Header=BB174_4 Depth=1
	s_wait_xcnt 0x0
	s_or_b32 exec_lo, exec_lo, s6
                                        ; implicit-def: $vgpr26
                                        ; implicit-def: $vgpr27
	s_delay_alu instid0(SALU_CYCLE_1)
	s_mov_b32 s6, exec_lo
	s_wait_loadcnt 0x0
	v_cmpx_o_f32_e32 v15, v14
	s_xor_b32 s30, exec_lo, s6
	s_cbranch_execz .LBB174_40
; %bb.13:                               ;   in Loop: Header=BB174_4 Depth=1
	v_cmp_lt_f32_e64 s6, |v14|, |v15|
                                        ; implicit-def: $vgpr26
                                        ; implicit-def: $vgpr27
	s_mov_b32 s8, exec_lo
	v_cndmask_b32_e64 v9, v15, v14, s6
	s_delay_alu instid0(VALU_DEP_1)
	v_cmpx_nlt_f32_e64 0x77f684df, |v9|
	s_xor_b32 s31, exec_lo, s8
	s_cbranch_execz .LBB174_37
; %bb.14:                               ;   in Loop: Header=BB174_4 Depth=1
	v_cndmask_b32_e64 v26, v14, v15, s6
	v_and_b32_e32 v28, 0x7fffffff, v9
                                        ; implicit-def: $vgpr27
	s_mov_b32 s7, exec_lo
	s_delay_alu instid0(VALU_DEP_2) | instskip(NEXT) | instid1(VALU_DEP_1)
	v_and_b32_e32 v29, 0x7fffffff, v26
                                        ; implicit-def: $vgpr26
	v_cmpx_neq_f32_e32 1.0, v29
	s_xor_b32 s33, exec_lo, s7
	s_cbranch_execz .LBB174_30
; %bb.15:                               ;   in Loop: Header=BB174_4 Depth=1
	v_dual_max_num_f32 v9, v28, v28 :: v_dual_max_num_f32 v26, v29, v29
	s_delay_alu instid0(VALU_DEP_1) | instskip(NEXT) | instid1(VALU_DEP_1)
	v_dual_min_num_f32 v27, v26, v9 :: v_dual_max_num_f32 v9, v26, v9
                                        ; implicit-def: $vgpr26
	v_cmp_ngt_f32_e32 vcc_lo, 0x358637bd, v27
	s_delay_alu instid0(VALU_DEP_2) | instskip(SKIP_1) | instid1(SALU_CYCLE_1)
	v_cmp_nlt_f32_e64 s7, 0x49742400, v9
                                        ; implicit-def: $vgpr27
	s_and_b32 s7, s7, vcc_lo
	s_and_saveexec_b32 s8, s7
	s_delay_alu instid0(SALU_CYCLE_1)
	s_xor_b32 s34, exec_lo, s8
	s_cbranch_execz .LBB174_27
; %bb.16:                               ;   in Loop: Header=BB174_4 Depth=1
                                        ; implicit-def: $vgpr26
                                        ; implicit-def: $vgpr27
	s_mov_b32 s7, exec_lo
	v_cmpx_le_f32_e32 1.0, v29
	s_xor_b32 s8, exec_lo, s7
	s_cbranch_execz .LBB174_18
; %bb.17:                               ;   in Loop: Header=BB174_4 Depth=1
	v_pk_add_f32 v[26:27], v[28:29], v[6:7] op_sel:[1,0]
	v_mov_b32_e32 v30, v28
	v_cmp_class_f32_e64 s9, v14, 0x204
	s_delay_alu instid0(VALU_DEP_3) | instskip(SKIP_1) | instid1(VALU_DEP_1)
	v_dual_mov_b32 v29, v26 :: v_dual_mov_b32 v31, v27
	v_mul_f32_e32 v26, v26, v27
	v_pk_fma_f32 v[26:27], v[28:29], v[30:31], v[26:27] op_sel_hi:[1,1,0]
	s_delay_alu instid0(VALU_DEP_1) | instskip(SKIP_1) | instid1(VALU_DEP_2)
	v_add_f32_e32 v29, 1.0, v26
	v_cmp_neq_f32_e64 s7, -1.0, v26
	v_frexp_mant_f32_e32 v28, v29
	v_add_f32_e32 v27, -1.0, v29
	s_delay_alu instid0(VALU_DEP_2) | instskip(NEXT) | instid1(VALU_DEP_2)
	v_cmp_gt_f32_e32 vcc_lo, 0x3f2aaaab, v28
	v_mov_b32_e32 v28, v27
	v_cvt_f64_f32_e32 v[30:31], v29
	s_delay_alu instid0(VALU_DEP_1) | instskip(NEXT) | instid1(VALU_DEP_3)
	v_frexp_exp_i32_f64_e32 v9, v[30:31]
	v_pk_add_f32 v[30:31], v[26:27], v[28:29] neg_lo:[0,1] neg_hi:[0,1]
	s_delay_alu instid0(VALU_DEP_1) | instskip(NEXT) | instid1(VALU_DEP_3)
	v_add_f32_e32 v28, 1.0, v31
	v_subrev_co_ci_u32_e64 v9, null, 0, v9, vcc_lo
	v_cmp_neq_f32_e32 vcc_lo, 0x7f800000, v26
	s_delay_alu instid0(VALU_DEP_2) | instskip(NEXT) | instid1(VALU_DEP_1)
	v_sub_nc_u32_e32 v32, 0, v9
	v_ldexp_f32 v27, v29, v32
	s_delay_alu instid0(VALU_DEP_1) | instskip(NEXT) | instid1(VALU_DEP_1)
	v_dual_add_f32 v31, 1.0, v27 :: v_dual_add_f32 v28, v30, v28
	v_add_f32_e32 v29, -1.0, v31
	v_add_f32_e32 v33, -1.0, v27
	s_delay_alu instid0(VALU_DEP_3) | instskip(NEXT) | instid1(VALU_DEP_3)
	v_ldexp_f32 v28, v28, v32
	v_sub_f32_e32 v29, v27, v29
	s_delay_alu instid0(VALU_DEP_1) | instskip(NEXT) | instid1(VALU_DEP_1)
	v_add_f32_e32 v32, v28, v29
	v_dual_add_f32 v30, 1.0, v33 :: v_dual_add_f32 v35, v31, v32
	s_delay_alu instid0(VALU_DEP_1) | instskip(NEXT) | instid1(VALU_DEP_2)
	v_sub_f32_e32 v27, v27, v30
	v_rcp_f32_e32 v36, v35
	s_delay_alu instid0(VALU_DEP_1) | instskip(NEXT) | instid1(VALU_DEP_1)
	v_add_f32_e32 v27, v28, v27
	v_add_f32_e32 v29, v33, v27
	s_delay_alu instid0(TRANS32_DEP_1) | instid1(VALU_DEP_1)
	v_dual_mul_f32 v37, v29, v36 :: v_dual_sub_f32 v28, v35, v31
	s_delay_alu instid0(VALU_DEP_1) | instskip(SKIP_1) | instid1(VALU_DEP_2)
	v_dual_mul_f32 v30, v35, v37 :: v_dual_sub_f32 v38, v32, v28
	v_sub_f32_e32 v39, v29, v33
	v_fma_f32 v32, v37, v35, -v30
	s_delay_alu instid0(VALU_DEP_1) | instskip(NEXT) | instid1(VALU_DEP_1)
	v_dual_sub_f32 v27, v27, v39 :: v_dual_fmac_f32 v32, v37, v38
	v_add_f32_e32 v28, v30, v32
	s_delay_alu instid0(VALU_DEP_1) | instskip(NEXT) | instid1(VALU_DEP_1)
	v_dual_sub_f32 v31, v29, v28 :: v_dual_mov_b32 v33, v28
	v_pk_add_f32 v[28:29], v[28:29], v[30:31] neg_lo:[0,1] neg_hi:[0,1]
	s_delay_alu instid0(VALU_DEP_1) | instskip(NEXT) | instid1(VALU_DEP_1)
	v_pk_add_f32 v[28:29], v[28:29], v[32:33] neg_lo:[0,1] neg_hi:[0,1]
	v_add_f32_e32 v27, v27, v29
	s_delay_alu instid0(VALU_DEP_1) | instskip(NEXT) | instid1(VALU_DEP_1)
	v_add_f32_e32 v27, v28, v27
	v_add_f32_e32 v29, v31, v27
	s_delay_alu instid0(VALU_DEP_1) | instskip(NEXT) | instid1(VALU_DEP_1)
	v_mul_f32_e32 v39, v36, v29
	v_mul_f32_e32 v32, v35, v39
	s_delay_alu instid0(VALU_DEP_1) | instskip(SKIP_1) | instid1(VALU_DEP_2)
	v_fma_f32 v30, v39, v35, -v32
	v_sub_f32_e32 v35, v31, v29
	v_fmac_f32_e32 v30, v39, v38
	s_delay_alu instid0(VALU_DEP_2) | instskip(NEXT) | instid1(VALU_DEP_2)
	v_add_f32_e32 v27, v27, v35
	v_dual_add_f32 v35, v37, v39 :: v_dual_add_f32 v28, v32, v30
	s_delay_alu instid0(VALU_DEP_1) | instskip(NEXT) | instid1(VALU_DEP_1)
	v_dual_mov_b32 v31, v28 :: v_dual_sub_f32 v33, v29, v28
	v_pk_add_f32 v[28:29], v[28:29], v[32:33] neg_lo:[0,1] neg_hi:[0,1]
	s_delay_alu instid0(VALU_DEP_1) | instskip(NEXT) | instid1(VALU_DEP_1)
	v_pk_add_f32 v[28:29], v[28:29], v[30:31] neg_lo:[0,1] neg_hi:[0,1]
	v_add_f32_e32 v27, v27, v29
	s_delay_alu instid0(VALU_DEP_1) | instskip(NEXT) | instid1(VALU_DEP_1)
	v_dual_add_f32 v27, v28, v27 :: v_dual_sub_f32 v28, v35, v37
	v_dual_add_f32 v27, v33, v27 :: v_dual_sub_f32 v28, v39, v28
	s_delay_alu instid0(VALU_DEP_1) | instskip(NEXT) | instid1(VALU_DEP_1)
	v_mul_f32_e32 v27, v36, v27
	v_add_f32_e32 v27, v28, v27
	v_cvt_f32_i32_e32 v28, v9
	s_delay_alu instid0(VALU_DEP_2) | instskip(NEXT) | instid1(VALU_DEP_1)
	v_add_f32_e32 v36, v35, v27
	v_mul_f32_e32 v30, v36, v36
	s_delay_alu instid0(VALU_DEP_1) | instskip(SKIP_2) | instid1(VALU_DEP_3)
	v_fmaak_f32 v31, s28, v30, 0x3ecc95a3
	v_mul_f32_e32 v29, v36, v30
	v_ldexp_f32 v33, v36, 1
	v_fmaak_f32 v9, v30, v31, 0x3f2aaada
	s_delay_alu instid0(VALU_DEP_1) | instskip(NEXT) | instid1(VALU_DEP_1)
	v_pk_mul_f32 v[30:31], v[28:29], v[8:9]
	v_fma_f32 v32, 0x3f317218, v28, -v30
	s_delay_alu instid0(VALU_DEP_1) | instskip(NEXT) | instid1(VALU_DEP_1)
	v_fmac_f32_e32 v32, 0xb102e308, v28
	v_pk_add_f32 v[28:29], v[30:31], v[32:33]
	v_dual_sub_f32 v9, v36, v35 :: v_dual_mov_b32 v36, v30
	s_delay_alu instid0(VALU_DEP_1) | instskip(NEXT) | instid1(VALU_DEP_3)
	v_dual_mov_b32 v44, v29 :: v_dual_sub_f32 v9, v27, v9
	v_dual_sub_f32 v27, v29, v33 :: v_dual_mov_b32 v33, v28
	s_delay_alu instid0(VALU_DEP_2) | instskip(NEXT) | instid1(VALU_DEP_2)
	v_ldexp_f32 v9, v9, 1
	v_sub_f32_e32 v27, v31, v27
	v_pk_add_f32 v[30:31], v[28:29], v[30:31] neg_lo:[0,1] neg_hi:[0,1]
	s_delay_alu instid0(VALU_DEP_2) | instskip(SKIP_2) | instid1(VALU_DEP_3)
	v_add_f32_e32 v37, v9, v27
	v_max_num_f32_e64 v9, |v15|, |v15|
	v_max_num_f32_e64 v27, |v14|, |v14|
	v_pk_add_f32 v[38:39], v[28:29], v[36:37]
	s_delay_alu instid0(VALU_DEP_2) | instskip(NEXT) | instid1(VALU_DEP_2)
	v_dual_max_num_f32 v35, v27, v9 :: v_dual_min_num_f32 v9, v27, v9
	v_mov_b32_e32 v31, v39
	s_delay_alu instid0(VALU_DEP_2) | instskip(SKIP_1) | instid1(VALU_DEP_4)
	v_frexp_exp_i32_f32_e32 v27, v35
	v_frexp_mant_f32_e32 v35, v35
	v_frexp_mant_f32_e32 v46, v9
	s_delay_alu instid0(VALU_DEP_4) | instskip(SKIP_3) | instid1(VALU_DEP_2)
	v_pk_add_f32 v[40:41], v[32:33], v[30:31]
	v_frexp_exp_i32_f32_e32 v40, v9
	v_pk_add_f32 v[30:31], v[32:33], v[30:31] neg_lo:[0,1] neg_hi:[0,1]
	v_rcp_f32_e32 v35, v35
	v_dual_mov_b32 v36, v41 :: v_dual_sub_nc_u32 v27, v40, v27
	s_delay_alu instid0(VALU_DEP_1) | instskip(SKIP_1) | instid1(TRANS32_DEP_1)
	v_pk_add_f32 v[42:43], v[36:37], v[28:29] neg_lo:[0,1] neg_hi:[0,1]
	v_dual_mov_b32 v40, v39 :: v_dual_mov_b32 v29, v28
	v_dual_mov_b32 v28, v37 :: v_dual_mul_f32 v31, v46, v35
	s_delay_alu instid0(VALU_DEP_3) | instskip(NEXT) | instid1(VALU_DEP_1)
	v_dual_mov_b32 v45, v42 :: v_dual_mov_b32 v9, v42
	v_pk_add_f32 v[32:33], v[40:41], v[44:45] neg_lo:[0,1] neg_hi:[0,1]
	s_delay_alu instid0(VALU_DEP_2) | instskip(SKIP_2) | instid1(VALU_DEP_4)
	v_pk_add_f32 v[38:39], v[38:39], v[8:9] neg_lo:[0,1] neg_hi:[0,1]
	v_mov_b32_e32 v38, v30
	v_ldexp_f32 v9, v31, v27
	v_pk_add_f32 v[28:29], v[28:29], v[32:33] neg_lo:[0,1] neg_hi:[0,1]
	s_delay_alu instid0(VALU_DEP_2) | instskip(NEXT) | instid1(VALU_DEP_2)
	v_mul_f32_e32 v27, v9, v9
	v_pk_add_f32 v[32:33], v[38:39], v[28:29]
	s_delay_alu instid0(VALU_DEP_1) | instskip(NEXT) | instid1(VALU_DEP_1)
	v_dual_fmaak_f32 v29, s29, v27, 0xbc7a590c :: v_dual_mov_b32 v38, v33
	v_pk_add_f32 v[38:39], v[32:33], v[38:39]
	s_delay_alu instid0(VALU_DEP_1) | instskip(NEXT) | instid1(VALU_DEP_1)
	v_pk_add_f32 v[36:37], v[36:37], v[38:39]
	v_dual_mov_b32 v31, v41 :: v_dual_mov_b32 v33, v36
	s_delay_alu instid0(VALU_DEP_1) | instskip(NEXT) | instid1(VALU_DEP_1)
	v_pk_add_f32 v[40:41], v[32:33], v[30:31] neg_lo:[0,1] neg_hi:[0,1]
	v_dual_fmaak_f32 v29, v27, v29, 0x3d29fb3f :: v_dual_sub_f32 v32, v32, v40
	s_delay_alu instid0(VALU_DEP_1) | instskip(NEXT) | instid1(VALU_DEP_1)
	v_dual_fmaak_f32 v29, v27, v29, 0xbd97d4d7 :: v_dual_sub_f32 v30, v30, v32
	v_fmaak_f32 v29, v27, v29, 0x3dd931b2
	s_delay_alu instid0(VALU_DEP_1) | instskip(SKIP_1) | instid1(VALU_DEP_1)
	v_fmaak_f32 v31, v27, v29, 0xbe1160e6
	v_mov_b32_e32 v29, v38
	v_pk_add_f32 v[28:29], v[28:29], v[40:41] neg_lo:[0,1] neg_hi:[0,1]
	s_delay_alu instid0(VALU_DEP_1) | instskip(NEXT) | instid1(VALU_DEP_1)
	v_add_f32_e32 v28, v28, v30
	v_dual_add_f32 v28, v28, v29 :: v_dual_fmaak_f32 v31, v27, v31, 0x3e4cb8bf
	s_delay_alu instid0(VALU_DEP_1) | instskip(NEXT) | instid1(VALU_DEP_1)
	v_fmaak_f32 v31, v27, v31, 0xbeaaaa62
	v_mul_f32_e32 v27, v27, v31
	s_delay_alu instid0(VALU_DEP_1) | instskip(NEXT) | instid1(VALU_DEP_1)
	v_dual_fmac_f32 v9, v9, v27 :: v_dual_add_f32 v27, v36, v28
	v_sub_f32_e32 v28, 0x3fc90fdb, v9
	s_delay_alu instid0(VALU_DEP_2) | instskip(SKIP_1) | instid1(VALU_DEP_3)
	v_cndmask_b32_e32 v27, 0x7f800000, v27, vcc_lo
	v_cmp_gt_i32_e32 vcc_lo, 0, v14
	v_cndmask_b32_e64 v9, v9, v28, s6
	v_cndmask_b32_e64 v28, 0, 0x40490fdb, vcc_lo
	v_cmp_ngt_f32_e32 vcc_lo, -1.0, v26
	s_delay_alu instid0(VALU_DEP_3) | instskip(SKIP_2) | instid1(VALU_DEP_2)
	v_sub_f32_e32 v29, 0x40490fdb, v9
	v_cndmask_b32_e32 v27, 0x7fc00000, v27, vcc_lo
	v_cmp_gt_f32_e32 vcc_lo, 0, v14
	v_cndmask_b32_e64 v14, 0xff800000, v27, s7
	s_delay_alu instid0(VALU_DEP_4)
	v_cndmask_b32_e32 v9, v9, v29, vcc_lo
	v_cndmask_b32_e32 v27, 0x3f490fdb, v34, vcc_lo
	v_cmp_gt_f32_e64 vcc_lo, 0x33800000, |v26|
	v_cmp_class_f32_e64 s7, v15, 0x204
	v_cndmask_b32_e32 v14, v14, v26, vcc_lo
	v_cmp_eq_f32_e32 vcc_lo, 0, v15
	s_delay_alu instid0(VALU_DEP_2) | instskip(SKIP_1) | instid1(VALU_DEP_1)
	v_dual_mul_f32 v26, 0.5, v14 :: v_dual_cndmask_b32 v9, v9, v28
	s_and_b32 vcc_lo, s7, s9
                                        ; implicit-def: $vgpr28_vgpr29
	v_cndmask_b32_e32 v27, v9, v27, vcc_lo
.LBB174_18:                             ;   in Loop: Header=BB174_4 Depth=1
	s_and_not1_saveexec_b32 s35, s8
	s_cbranch_execz .LBB174_26
; %bb.19:                               ;   in Loop: Header=BB174_4 Depth=1
	v_pk_mul_f32 v[26:27], v[28:29], v[28:29]
	s_mov_b32 s7, exec_lo
	s_delay_alu instid0(VALU_DEP_1) | instskip(NEXT) | instid1(VALU_DEP_1)
	v_add_f32_e32 v9, v27, v26
                                        ; implicit-def: $vgpr26
                                        ; implicit-def: $vgpr27
	v_cmpx_ge_f32_e32 0x3f333333, v9
	s_xor_b32 s8, exec_lo, s7
	s_cbranch_execz .LBB174_21
; %bb.20:                               ;   in Loop: Header=BB174_4 Depth=1
	v_max_num_f32_e64 v26, |v15|, |v15|
	v_max_num_f32_e64 v27, |v14|, |v14|
	v_cmp_gt_f32_e32 vcc_lo, 0x800000, v9
	v_cmp_gt_i32_e64 s7, 0, v14
	v_cmp_class_f32_e64 s9, v14, 0x204
	v_cmp_class_f32_e64 s10, v15, 0x204
	v_dual_max_num_f32 v28, v27, v26 :: v_dual_min_num_f32 v26, v27, v26
	v_cndmask_b32_e64 v30, 0, 0x41b17218, vcc_lo
	s_delay_alu instid0(VALU_DEP_2) | instskip(SKIP_1) | instid1(VALU_DEP_2)
	v_frexp_mant_f32_e32 v29, v28
	v_frexp_exp_i32_f32_e32 v27, v28
	v_rcp_f32_e32 v28, v29
	v_nop
	v_frexp_exp_i32_f32_e32 v29, v26
	v_frexp_mant_f32_e32 v26, v26
	s_delay_alu instid0(TRANS32_DEP_1) | instid1(VALU_DEP_1)
	v_dual_mul_f32 v26, v26, v28 :: v_dual_sub_nc_u32 v27, v29, v27
	v_cndmask_b32_e64 v29, 0, 32, vcc_lo
	s_delay_alu instid0(VALU_DEP_2) | instskip(NEXT) | instid1(VALU_DEP_2)
	v_ldexp_f32 v26, v26, v27
	v_ldexp_f32 v9, v9, v29
	s_delay_alu instid0(VALU_DEP_1) | instskip(NEXT) | instid1(VALU_DEP_2)
	v_log_f32_e32 v9, v9
	v_mul_f32_e32 v27, v26, v26
	s_delay_alu instid0(VALU_DEP_1) | instskip(NEXT) | instid1(TRANS32_DEP_1)
	v_fmaak_f32 v28, s29, v27, 0xbc7a590c
	v_cmp_gt_f32_e64 vcc_lo, 0x7f800000, |v9|
	s_delay_alu instid0(VALU_DEP_2) | instskip(NEXT) | instid1(VALU_DEP_1)
	v_fmaak_f32 v28, v27, v28, 0x3d29fb3f
	v_fmaak_f32 v28, v27, v28, 0xbd97d4d7
	s_delay_alu instid0(VALU_DEP_1) | instskip(NEXT) | instid1(VALU_DEP_1)
	v_fmaak_f32 v28, v27, v28, 0x3dd931b2
	v_fmaak_f32 v28, v27, v28, 0xbe1160e6
	s_delay_alu instid0(VALU_DEP_1) | instskip(NEXT) | instid1(VALU_DEP_1)
	;; [unrolled: 3-line block ×3, first 2 shown]
	v_dual_mul_f32 v27, v27, v28 :: v_dual_mul_f32 v28, 0x3f317217, v9
	v_fmac_f32_e32 v26, v26, v27
	s_delay_alu instid0(VALU_DEP_2) | instskip(NEXT) | instid1(VALU_DEP_1)
	v_fma_f32 v27, 0x3f317217, v9, -v28
	v_fmac_f32_e32 v27, 0x3377d1cf, v9
	s_delay_alu instid0(VALU_DEP_3) | instskip(NEXT) | instid1(VALU_DEP_2)
	v_sub_f32_e32 v28, 0x3fc90fdb, v26
	v_fmac_f32_e32 v27, 0x3f317217, v9
	s_delay_alu instid0(VALU_DEP_2) | instskip(SKIP_2) | instid1(VALU_DEP_4)
	v_cndmask_b32_e64 v26, v26, v28, s6
	v_cndmask_b32_e64 v28, 0, 0x40490fdb, s7
	v_cmp_eq_f32_e64 s7, 0, v15
	v_cndmask_b32_e32 v9, v9, v27, vcc_lo
	s_delay_alu instid0(VALU_DEP_4) | instskip(SKIP_1) | instid1(VALU_DEP_2)
	v_sub_f32_e32 v29, 0x40490fdb, v26
	v_cmp_gt_f32_e32 vcc_lo, 0, v14
	v_dual_sub_f32 v9, v9, v30 :: v_dual_cndmask_b32 v26, v26, v29
	v_cndmask_b32_e32 v27, 0x3f490fdb, v34, vcc_lo
	s_and_b32 vcc_lo, s10, s9
	s_delay_alu instid0(VALU_DEP_2) | instskip(NEXT) | instid1(VALU_DEP_1)
	v_dual_cndmask_b32 v14, v26, v28, s7 :: v_dual_mul_f32 v26, 0.5, v9
                                        ; implicit-def: $vgpr28
	v_cndmask_b32_e32 v27, v14, v27, vcc_lo
.LBB174_21:                             ;   in Loop: Header=BB174_4 Depth=1
	s_and_not1_saveexec_b32 s36, s8
	s_cbranch_execz .LBB174_25
; %bb.22:                               ;   in Loop: Header=BB174_4 Depth=1
	v_and_b32_e32 v27, 0x7fff0000, v28
	v_and_b32_e32 v26, 0x7fff0000, v29
	s_mov_b32 s37, 0
	s_delay_alu instid0(VALU_DEP_1) | instskip(SKIP_2) | instid1(VALU_DEP_2)
	v_dual_add_f32 v36, v27, v27 :: v_dual_add_f32 v32, v26, v26
	v_pk_add_f32 v[28:29], v[28:29], v[26:27] op_sel:[1,0] op_sel_hi:[0,1] neg_lo:[0,1] neg_hi:[0,1]
	v_pk_mul_f32 v[26:27], v[26:27], v[26:27]
	v_and_b32_e32 v31, 0xffff0000, v29
	s_delay_alu instid0(VALU_DEP_3) | instskip(NEXT) | instid1(VALU_DEP_2)
	v_and_b32_e32 v30, 0xffff0000, v28
	v_dual_mul_f32 v35, v36, v31 :: v_dual_add_f32 v39, v31, v31
	s_delay_alu instid0(VALU_DEP_2) | instskip(SKIP_2) | instid1(VALU_DEP_3)
	v_pk_add_f32 v[28:29], v[28:29], v[30:31] neg_lo:[0,1] neg_hi:[0,1]
	v_dual_mul_f32 v9, v32, v30 :: v_dual_add_f32 v38, v30, v30
	v_pk_mul_f32 v[30:31], v[30:31], v[30:31]
	v_mul_f32_e32 v33, v32, v28
	s_delay_alu instid0(VALU_DEP_4) | instskip(NEXT) | instid1(VALU_DEP_4)
	v_dual_mul_f32 v37, v36, v29 :: v_dual_mul_f32 v36, v39, v29
	v_mul_f32_e32 v32, v38, v28
	v_pk_mul_f32 v[28:29], v[28:29], v[28:29]
.LBB174_23:                             ;   Parent Loop BB174_4 Depth=1
                                        ; =>  This Inner Loop Header: Depth=2
	v_cmp_nlt_f32_e32 vcc_lo, v26, v27
	v_dual_cndmask_b32 v38, v26, v27, vcc_lo :: v_dual_cndmask_b32 v26, v27, v26, vcc_lo
	s_delay_alu instid0(VALU_DEP_1) | instskip(NEXT) | instid1(VALU_DEP_1)
	v_cmp_nlt_f32_e64 s7, v38, v9
	v_dual_cndmask_b32 v39, v38, v9, s7 :: v_dual_cndmask_b32 v27, v9, v38, s7
	s_and_b32 s7, vcc_lo, s7
	s_delay_alu instid0(VALU_DEP_1) | instskip(NEXT) | instid1(VALU_DEP_1)
	v_cmp_nlt_f32_e64 s8, v39, v35
	v_cndmask_b32_e64 v40, v39, v35, s8
	v_cndmask_b32_e64 v9, v35, v39, s8
	s_delay_alu instid0(VALU_DEP_2) | instskip(NEXT) | instid1(VALU_DEP_1)
	v_cmp_nlt_f32_e64 s9, v40, v30
	v_cndmask_b32_e64 v38, v40, v30, s9
	s_and_b32 s38, s8, s9
	s_delay_alu instid0(VALU_DEP_1) | instskip(NEXT) | instid1(VALU_DEP_1)
	v_cmp_nlt_f32_e64 s10, v38, v31
	v_cndmask_b32_e64 v39, v38, v31, s10
	s_delay_alu instid0(VALU_DEP_1) | instskip(NEXT) | instid1(VALU_DEP_1)
	v_cmp_nlt_f32_e64 s11, v39, v33
	v_dual_cndmask_b32 v41, v39, v33, s11 :: v_dual_cndmask_b32 v35, v30, v40, s9
	v_cndmask_b32_e64 v30, v31, v38, s10
	s_and_b32 s10, s10, s11
	s_delay_alu instid0(VALU_DEP_2) | instskip(NEXT) | instid1(VALU_DEP_1)
	v_cmp_nlt_f32_e64 s12, v41, v37
	v_cndmask_b32_e64 v42, v41, v37, s12
	s_and_b32 s10, s10, s12
	v_cndmask_b32_e64 v31, v33, v39, s11
	v_cndmask_b32_e64 v33, v37, v41, s12
	s_delay_alu instid0(VALU_DEP_3) | instskip(NEXT) | instid1(VALU_DEP_1)
	v_cmp_nlt_f32_e64 s13, v42, v32
	v_cndmask_b32_e64 v40, v42, v32, s13
	s_and_b32 s11, s10, s13
	v_cndmask_b32_e64 v37, v32, v42, s13
	s_delay_alu instid0(VALU_DEP_2) | instskip(NEXT) | instid1(VALU_DEP_1)
	v_cmp_nlt_f32_e64 s8, v40, v36
	v_cndmask_b32_e64 v38, v40, v36, s8
	s_delay_alu instid0(VALU_DEP_1) | instskip(NEXT) | instid1(VALU_DEP_1)
	v_cmp_nlt_f32_e64 s9, v38, v28
	v_cndmask_b32_e64 v39, v38, v28, s9
	s_delay_alu instid0(VALU_DEP_1)
	v_cmp_nlt_f32_e64 s10, v39, v29
	v_cndmask_b32_e64 v32, v36, v40, s8
	s_and_b32 s8, s11, s8
	v_cndmask_b32_e64 v36, v28, v38, s9
	s_and_b32 s8, s8, s9
	v_cndmask_b32_e64 v28, v29, v39, s10
	s_and_b32 s8, s8, s10
	v_cndmask_b32_e64 v29, v39, v29, s10
	s_and_b32 s8, s8, s38
	s_delay_alu instid0(SALU_CYCLE_1) | instskip(NEXT) | instid1(SALU_CYCLE_1)
	s_and_b32 s7, s8, s7
	s_and_b32 s7, exec_lo, s7
	s_delay_alu instid0(SALU_CYCLE_1) | instskip(NEXT) | instid1(SALU_CYCLE_1)
	s_or_b32 s37, s7, s37
	s_and_not1_b32 exec_lo, exec_lo, s37
	s_cbranch_execnz .LBB174_23
; %bb.24:                               ;   in Loop: Header=BB174_4 Depth=1
	s_or_b32 exec_lo, exec_lo, s37
	v_add_f32_e32 v26, -1.0, v26
	v_cmp_class_f32_e64 s8, v14, 0x204
	s_delay_alu instid0(VALU_DEP_2) | instskip(NEXT) | instid1(VALU_DEP_1)
	v_add_f32_e32 v26, v26, v27
	v_add_f32_e32 v9, v26, v9
	s_delay_alu instid0(VALU_DEP_1) | instskip(NEXT) | instid1(VALU_DEP_1)
	v_add_f32_e32 v9, v9, v35
	v_add_f32_e32 v9, v9, v30
	s_delay_alu instid0(VALU_DEP_1) | instskip(NEXT) | instid1(VALU_DEP_1)
	;; [unrolled: 3-line block ×5, first 2 shown]
	v_add_f32_e32 v26, v29, v9
	v_add_f32_e32 v29, 1.0, v26
	s_delay_alu instid0(VALU_DEP_1) | instskip(SKIP_2) | instid1(VALU_DEP_2)
	v_cvt_f64_f32_e32 v[30:31], v29
	v_frexp_mant_f32_e32 v28, v29
	v_add_f32_e32 v27, -1.0, v29
	v_cmp_gt_f32_e32 vcc_lo, 0x3f2aaaab, v28
	s_delay_alu instid0(VALU_DEP_2) | instskip(SKIP_1) | instid1(VALU_DEP_1)
	v_mov_b32_e32 v28, v27
	v_frexp_exp_i32_f64_e32 v9, v[30:31]
	v_subrev_co_ci_u32_e64 v9, null, 0, v9, vcc_lo
	s_delay_alu instid0(VALU_DEP_1) | instskip(NEXT) | instid1(VALU_DEP_4)
	v_sub_nc_u32_e32 v32, 0, v9
	v_pk_add_f32 v[30:31], v[26:27], v[28:29] neg_lo:[0,1] neg_hi:[0,1]
	v_cmp_neq_f32_e32 vcc_lo, 0x7f800000, v26
	v_cmp_neq_f32_e64 s7, -1.0, v26
	s_delay_alu instid0(VALU_DEP_4) | instskip(NEXT) | instid1(VALU_DEP_4)
	v_ldexp_f32 v27, v29, v32
	v_add_f32_e32 v28, 1.0, v31
	s_delay_alu instid0(VALU_DEP_1) | instskip(NEXT) | instid1(VALU_DEP_1)
	v_dual_add_f32 v31, 1.0, v27 :: v_dual_add_f32 v28, v30, v28
	v_add_f32_e32 v29, -1.0, v31
	v_add_f32_e32 v33, -1.0, v27
	s_delay_alu instid0(VALU_DEP_3) | instskip(NEXT) | instid1(VALU_DEP_3)
	v_ldexp_f32 v28, v28, v32
	v_sub_f32_e32 v29, v27, v29
	s_delay_alu instid0(VALU_DEP_1) | instskip(NEXT) | instid1(VALU_DEP_1)
	v_add_f32_e32 v32, v28, v29
	v_dual_add_f32 v30, 1.0, v33 :: v_dual_add_f32 v35, v31, v32
	s_delay_alu instid0(VALU_DEP_1) | instskip(NEXT) | instid1(VALU_DEP_2)
	v_sub_f32_e32 v27, v27, v30
	v_rcp_f32_e32 v36, v35
	s_delay_alu instid0(VALU_DEP_1) | instskip(NEXT) | instid1(VALU_DEP_1)
	v_add_f32_e32 v27, v28, v27
	v_add_f32_e32 v29, v33, v27
	s_delay_alu instid0(TRANS32_DEP_1) | instid1(VALU_DEP_1)
	v_dual_mul_f32 v37, v29, v36 :: v_dual_sub_f32 v28, v35, v31
	s_delay_alu instid0(VALU_DEP_1) | instskip(SKIP_1) | instid1(VALU_DEP_2)
	v_dual_mul_f32 v30, v35, v37 :: v_dual_sub_f32 v38, v32, v28
	v_sub_f32_e32 v39, v29, v33
	v_fma_f32 v32, v37, v35, -v30
	s_delay_alu instid0(VALU_DEP_1) | instskip(NEXT) | instid1(VALU_DEP_1)
	v_dual_sub_f32 v27, v27, v39 :: v_dual_fmac_f32 v32, v37, v38
	v_add_f32_e32 v28, v30, v32
	s_delay_alu instid0(VALU_DEP_1) | instskip(NEXT) | instid1(VALU_DEP_1)
	v_dual_sub_f32 v31, v29, v28 :: v_dual_mov_b32 v33, v28
	v_pk_add_f32 v[28:29], v[28:29], v[30:31] neg_lo:[0,1] neg_hi:[0,1]
	s_delay_alu instid0(VALU_DEP_1) | instskip(NEXT) | instid1(VALU_DEP_1)
	v_pk_add_f32 v[28:29], v[28:29], v[32:33] neg_lo:[0,1] neg_hi:[0,1]
	v_add_f32_e32 v27, v27, v29
	s_delay_alu instid0(VALU_DEP_1) | instskip(NEXT) | instid1(VALU_DEP_1)
	v_add_f32_e32 v27, v28, v27
	v_add_f32_e32 v29, v31, v27
	s_delay_alu instid0(VALU_DEP_1) | instskip(NEXT) | instid1(VALU_DEP_1)
	v_mul_f32_e32 v39, v36, v29
	v_mul_f32_e32 v32, v35, v39
	s_delay_alu instid0(VALU_DEP_1) | instskip(SKIP_1) | instid1(VALU_DEP_2)
	v_fma_f32 v30, v39, v35, -v32
	v_sub_f32_e32 v35, v31, v29
	v_fmac_f32_e32 v30, v39, v38
	s_delay_alu instid0(VALU_DEP_2) | instskip(NEXT) | instid1(VALU_DEP_2)
	v_add_f32_e32 v27, v27, v35
	v_dual_add_f32 v35, v37, v39 :: v_dual_add_f32 v28, v32, v30
	s_delay_alu instid0(VALU_DEP_1) | instskip(NEXT) | instid1(VALU_DEP_1)
	v_dual_mov_b32 v31, v28 :: v_dual_sub_f32 v33, v29, v28
	v_pk_add_f32 v[28:29], v[28:29], v[32:33] neg_lo:[0,1] neg_hi:[0,1]
	s_delay_alu instid0(VALU_DEP_1) | instskip(NEXT) | instid1(VALU_DEP_1)
	v_pk_add_f32 v[28:29], v[28:29], v[30:31] neg_lo:[0,1] neg_hi:[0,1]
	v_add_f32_e32 v27, v27, v29
	s_delay_alu instid0(VALU_DEP_1) | instskip(NEXT) | instid1(VALU_DEP_1)
	v_dual_add_f32 v27, v28, v27 :: v_dual_sub_f32 v28, v35, v37
	v_dual_add_f32 v27, v33, v27 :: v_dual_sub_f32 v28, v39, v28
	s_delay_alu instid0(VALU_DEP_1) | instskip(NEXT) | instid1(VALU_DEP_1)
	v_mul_f32_e32 v27, v36, v27
	v_add_f32_e32 v27, v28, v27
	v_cvt_f32_i32_e32 v28, v9
	s_delay_alu instid0(VALU_DEP_2) | instskip(NEXT) | instid1(VALU_DEP_1)
	v_add_f32_e32 v36, v35, v27
	v_mul_f32_e32 v30, v36, v36
	s_delay_alu instid0(VALU_DEP_1) | instskip(SKIP_2) | instid1(VALU_DEP_3)
	v_fmaak_f32 v31, s28, v30, 0x3ecc95a3
	v_mul_f32_e32 v29, v36, v30
	v_ldexp_f32 v33, v36, 1
	v_fmaak_f32 v9, v30, v31, 0x3f2aaada
	s_delay_alu instid0(VALU_DEP_1) | instskip(NEXT) | instid1(VALU_DEP_1)
	v_pk_mul_f32 v[30:31], v[28:29], v[8:9]
	v_fma_f32 v32, 0x3f317218, v28, -v30
	s_delay_alu instid0(VALU_DEP_1) | instskip(NEXT) | instid1(VALU_DEP_1)
	v_fmac_f32_e32 v32, 0xb102e308, v28
	v_pk_add_f32 v[28:29], v[30:31], v[32:33]
	v_dual_sub_f32 v9, v36, v35 :: v_dual_mov_b32 v36, v30
	s_delay_alu instid0(VALU_DEP_1) | instskip(NEXT) | instid1(VALU_DEP_3)
	v_dual_mov_b32 v44, v29 :: v_dual_sub_f32 v9, v27, v9
	v_dual_sub_f32 v27, v29, v33 :: v_dual_mov_b32 v33, v28
	s_delay_alu instid0(VALU_DEP_2) | instskip(NEXT) | instid1(VALU_DEP_2)
	v_ldexp_f32 v9, v9, 1
	v_sub_f32_e32 v27, v31, v27
	v_pk_add_f32 v[30:31], v[28:29], v[30:31] neg_lo:[0,1] neg_hi:[0,1]
	s_delay_alu instid0(VALU_DEP_2) | instskip(SKIP_2) | instid1(VALU_DEP_3)
	v_add_f32_e32 v37, v9, v27
	v_max_num_f32_e64 v9, |v15|, |v15|
	v_max_num_f32_e64 v27, |v14|, |v14|
	v_pk_add_f32 v[38:39], v[28:29], v[36:37]
	s_delay_alu instid0(VALU_DEP_2) | instskip(NEXT) | instid1(VALU_DEP_2)
	v_dual_max_num_f32 v35, v27, v9 :: v_dual_min_num_f32 v9, v27, v9
	v_mov_b32_e32 v31, v39
	s_delay_alu instid0(VALU_DEP_2) | instskip(SKIP_1) | instid1(VALU_DEP_4)
	v_frexp_exp_i32_f32_e32 v27, v35
	v_frexp_mant_f32_e32 v35, v35
	v_frexp_mant_f32_e32 v46, v9
	s_delay_alu instid0(VALU_DEP_4) | instskip(SKIP_3) | instid1(VALU_DEP_2)
	v_pk_add_f32 v[40:41], v[32:33], v[30:31]
	v_frexp_exp_i32_f32_e32 v40, v9
	v_pk_add_f32 v[30:31], v[32:33], v[30:31] neg_lo:[0,1] neg_hi:[0,1]
	v_rcp_f32_e32 v35, v35
	v_dual_mov_b32 v36, v41 :: v_dual_sub_nc_u32 v27, v40, v27
	s_delay_alu instid0(VALU_DEP_1) | instskip(SKIP_1) | instid1(TRANS32_DEP_1)
	v_pk_add_f32 v[42:43], v[36:37], v[28:29] neg_lo:[0,1] neg_hi:[0,1]
	v_dual_mov_b32 v40, v39 :: v_dual_mov_b32 v29, v28
	v_dual_mov_b32 v28, v37 :: v_dual_mul_f32 v31, v46, v35
	s_delay_alu instid0(VALU_DEP_3) | instskip(NEXT) | instid1(VALU_DEP_1)
	v_dual_mov_b32 v45, v42 :: v_dual_mov_b32 v9, v42
	v_pk_add_f32 v[32:33], v[40:41], v[44:45] neg_lo:[0,1] neg_hi:[0,1]
	s_delay_alu instid0(VALU_DEP_2) | instskip(SKIP_2) | instid1(VALU_DEP_4)
	v_pk_add_f32 v[38:39], v[38:39], v[8:9] neg_lo:[0,1] neg_hi:[0,1]
	v_mov_b32_e32 v38, v30
	v_ldexp_f32 v9, v31, v27
	v_pk_add_f32 v[28:29], v[28:29], v[32:33] neg_lo:[0,1] neg_hi:[0,1]
	s_delay_alu instid0(VALU_DEP_2) | instskip(NEXT) | instid1(VALU_DEP_2)
	v_mul_f32_e32 v27, v9, v9
	v_pk_add_f32 v[32:33], v[38:39], v[28:29]
	s_delay_alu instid0(VALU_DEP_1) | instskip(NEXT) | instid1(VALU_DEP_1)
	v_dual_fmaak_f32 v29, s29, v27, 0xbc7a590c :: v_dual_mov_b32 v38, v33
	v_pk_add_f32 v[38:39], v[32:33], v[38:39]
	s_delay_alu instid0(VALU_DEP_1) | instskip(NEXT) | instid1(VALU_DEP_1)
	v_pk_add_f32 v[36:37], v[36:37], v[38:39]
	v_dual_mov_b32 v31, v41 :: v_dual_mov_b32 v33, v36
	s_delay_alu instid0(VALU_DEP_1) | instskip(NEXT) | instid1(VALU_DEP_1)
	v_pk_add_f32 v[40:41], v[32:33], v[30:31] neg_lo:[0,1] neg_hi:[0,1]
	v_dual_fmaak_f32 v29, v27, v29, 0x3d29fb3f :: v_dual_sub_f32 v32, v32, v40
	s_delay_alu instid0(VALU_DEP_1) | instskip(NEXT) | instid1(VALU_DEP_1)
	v_dual_fmaak_f32 v29, v27, v29, 0xbd97d4d7 :: v_dual_sub_f32 v30, v30, v32
	v_fmaak_f32 v29, v27, v29, 0x3dd931b2
	s_delay_alu instid0(VALU_DEP_1) | instskip(SKIP_1) | instid1(VALU_DEP_1)
	v_fmaak_f32 v31, v27, v29, 0xbe1160e6
	v_mov_b32_e32 v29, v38
	v_pk_add_f32 v[28:29], v[28:29], v[40:41] neg_lo:[0,1] neg_hi:[0,1]
	s_delay_alu instid0(VALU_DEP_1) | instskip(NEXT) | instid1(VALU_DEP_1)
	v_add_f32_e32 v28, v28, v30
	v_dual_add_f32 v28, v28, v29 :: v_dual_fmaak_f32 v31, v27, v31, 0x3e4cb8bf
	s_delay_alu instid0(VALU_DEP_1) | instskip(NEXT) | instid1(VALU_DEP_1)
	v_fmaak_f32 v31, v27, v31, 0xbeaaaa62
	v_mul_f32_e32 v27, v27, v31
	s_delay_alu instid0(VALU_DEP_1) | instskip(NEXT) | instid1(VALU_DEP_1)
	v_dual_fmac_f32 v9, v9, v27 :: v_dual_add_f32 v27, v36, v28
	v_sub_f32_e32 v28, 0x3fc90fdb, v9
	s_delay_alu instid0(VALU_DEP_2) | instskip(SKIP_1) | instid1(VALU_DEP_3)
	v_cndmask_b32_e32 v27, 0x7f800000, v27, vcc_lo
	v_cmp_gt_i32_e32 vcc_lo, 0, v14
	v_cndmask_b32_e64 v9, v9, v28, s6
	v_cndmask_b32_e64 v28, 0, 0x40490fdb, vcc_lo
	v_cmp_ngt_f32_e32 vcc_lo, -1.0, v26
	s_delay_alu instid0(VALU_DEP_3) | instskip(SKIP_2) | instid1(VALU_DEP_2)
	v_sub_f32_e32 v29, 0x40490fdb, v9
	v_cndmask_b32_e32 v27, 0x7fc00000, v27, vcc_lo
	v_cmp_gt_f32_e32 vcc_lo, 0, v14
	v_cndmask_b32_e64 v14, 0xff800000, v27, s7
	s_delay_alu instid0(VALU_DEP_4)
	v_cndmask_b32_e32 v9, v9, v29, vcc_lo
	v_cndmask_b32_e32 v27, 0x3f490fdb, v34, vcc_lo
	v_cmp_gt_f32_e64 vcc_lo, 0x33800000, |v26|
	v_cmp_class_f32_e64 s7, v15, 0x204
	v_cndmask_b32_e32 v14, v14, v26, vcc_lo
	v_cmp_eq_f32_e32 vcc_lo, 0, v15
	s_delay_alu instid0(VALU_DEP_2) | instskip(SKIP_1) | instid1(VALU_DEP_1)
	v_dual_mul_f32 v26, 0.5, v14 :: v_dual_cndmask_b32 v9, v9, v28
	s_and_b32 vcc_lo, s7, s8
	v_cndmask_b32_e32 v27, v9, v27, vcc_lo
.LBB174_25:                             ;   in Loop: Header=BB174_4 Depth=1
	s_or_b32 exec_lo, exec_lo, s36
.LBB174_26:                             ;   in Loop: Header=BB174_4 Depth=1
	s_delay_alu instid0(SALU_CYCLE_1)
	s_or_b32 exec_lo, exec_lo, s35
.LBB174_27:                             ;   in Loop: Header=BB174_4 Depth=1
	s_and_not1_saveexec_b32 s8, s34
	s_cbranch_execz .LBB174_29
; %bb.28:                               ;   in Loop: Header=BB174_4 Depth=1
	v_max_num_f32_e64 v9, |v15|, |v15|
	v_max_num_f32_e64 v28, |v14|, |v14|
	v_cmp_gt_i32_e64 s7, 0, v14
	v_cmp_class_f32_e64 s9, v14, 0x204
	v_cmp_class_f32_e64 s10, v15, 0x204
	s_delay_alu instid0(VALU_DEP_4) | instskip(NEXT) | instid1(VALU_DEP_1)
	v_dual_max_num_f32 v29, v28, v9 :: v_dual_min_num_f32 v9, v28, v9
	v_cvt_f64_f32_e32 v[26:27], v29
	v_frexp_exp_i32_f32_e32 v28, v29
	s_delay_alu instid0(VALU_DEP_3) | instskip(SKIP_4) | instid1(VALU_DEP_1)
	v_frexp_exp_i32_f32_e32 v30, v9
	v_frexp_mant_f32_e32 v9, v9
	v_cmp_neq_f32_e32 vcc_lo, 0x7f800000, v29
	v_frexp_exp_i32_f64_e32 v26, v[26:27]
	v_frexp_mant_f32_e32 v27, v29
	v_rcp_f32_e32 v27, v27
	v_nop
	s_delay_alu instid0(TRANS32_DEP_1) | instskip(NEXT) | instid1(VALU_DEP_1)
	v_dual_mul_f32 v9, v9, v27 :: v_dual_sub_nc_u32 v28, v30, v28
	v_ldexp_f32 v9, v9, v28
	s_delay_alu instid0(VALU_DEP_1) | instskip(NEXT) | instid1(VALU_DEP_1)
	v_dual_mul_f32 v28, v9, v9 :: v_dual_sub_nc_u32 v27, 0, v26
	v_ldexp_f32 v30, |v15|, v27
	s_delay_alu instid0(VALU_DEP_2) | instskip(SKIP_1) | instid1(VALU_DEP_2)
	v_fmaak_f32 v31, s29, v28, 0xbc7a590c
	v_ldexp_f32 v27, |v14|, v27
	v_dual_mul_f32 v30, v30, v30 :: v_dual_fmaak_f32 v31, v28, v31, 0x3d29fb3f
	s_delay_alu instid0(VALU_DEP_1) | instskip(NEXT) | instid1(VALU_DEP_2)
	v_fmac_f32_e32 v30, v27, v27
	v_fmaak_f32 v27, v28, v31, 0xbd97d4d7
	s_delay_alu instid0(VALU_DEP_1) | instskip(NEXT) | instid1(VALU_DEP_3)
	v_fmaak_f32 v27, v28, v27, 0x3dd931b2
	v_sqrt_f32_e32 v30, v30
	s_delay_alu instid0(VALU_DEP_1) | instskip(NEXT) | instid1(TRANS32_DEP_1)
	v_fmaak_f32 v27, v28, v27, 0xbe1160e6
	v_ldexp_f32 v26, v30, v26
	s_delay_alu instid0(VALU_DEP_2) | instskip(NEXT) | instid1(VALU_DEP_1)
	v_fmaak_f32 v27, v28, v27, 0x3e4cb8bf
	v_fmaak_f32 v27, v28, v27, 0xbeaaaa62
	s_delay_alu instid0(VALU_DEP_1) | instskip(NEXT) | instid1(VALU_DEP_1)
	v_dual_cndmask_b32 v26, 0x7f800000, v26 :: v_dual_mul_f32 v27, v28, v27
	v_cmp_gt_f32_e32 vcc_lo, 0x800000, v26
	v_cndmask_b32_e64 v29, 0, 32, vcc_lo
	s_delay_alu instid0(VALU_DEP_1) | instskip(NEXT) | instid1(VALU_DEP_1)
	v_ldexp_f32 v26, v26, v29
	v_log_f32_e32 v26, v26
	v_fmac_f32_e32 v9, v9, v27
	s_delay_alu instid0(VALU_DEP_1) | instskip(NEXT) | instid1(TRANS32_DEP_1)
	v_sub_f32_e32 v28, 0x3fc90fdb, v9
	v_mul_f32_e32 v27, 0x3f317217, v26
	s_delay_alu instid0(VALU_DEP_2) | instskip(NEXT) | instid1(VALU_DEP_2)
	v_cndmask_b32_e64 v9, v9, v28, s6
	v_fma_f32 v27, 0x3f317217, v26, -v27
	v_cndmask_b32_e64 v28, 0, 0x40490fdb, s7
	v_cmp_gt_f32_e64 s7, 0, v14
	s_delay_alu instid0(VALU_DEP_4) | instskip(NEXT) | instid1(VALU_DEP_4)
	v_sub_f32_e32 v29, 0x40490fdb, v9
	v_fmac_f32_e32 v27, 0x3377d1cf, v26
	s_delay_alu instid0(VALU_DEP_3) | instskip(NEXT) | instid1(VALU_DEP_3)
	v_cndmask_b32_e64 v14, 0x3f490fdb, v34, s7
	v_cndmask_b32_e64 v9, v9, v29, s7
	s_delay_alu instid0(VALU_DEP_3) | instskip(SKIP_2) | instid1(VALU_DEP_3)
	v_fmac_f32_e32 v27, 0x3f317217, v26
	v_cndmask_b32_e64 v29, 0, 0x41b17218, vcc_lo
	v_cmp_gt_f32_e64 vcc_lo, 0x7f800000, |v26|
	v_cndmask_b32_e32 v26, v26, v27, vcc_lo
	v_cmp_eq_f32_e32 vcc_lo, 0, v15
	s_delay_alu instid0(VALU_DEP_2) | instskip(SKIP_1) | instid1(VALU_DEP_1)
	v_dual_sub_f32 v26, v26, v29 :: v_dual_cndmask_b32 v9, v9, v28
	s_and_b32 vcc_lo, s10, s9
	v_cndmask_b32_e32 v27, v9, v14, vcc_lo
.LBB174_29:                             ;   in Loop: Header=BB174_4 Depth=1
	s_or_b32 exec_lo, exec_lo, s8
                                        ; implicit-def: $vgpr28
.LBB174_30:                             ;   in Loop: Header=BB174_4 Depth=1
	s_and_not1_saveexec_b32 s8, s33
	s_cbranch_execz .LBB174_36
; %bb.31:                               ;   in Loop: Header=BB174_4 Depth=1
                                        ; implicit-def: $vgpr26
                                        ; implicit-def: $vgpr27
	s_mov_b32 s7, exec_lo
	v_cmpx_ngt_f32_e32 0x1fec1e4a, v28
	s_xor_b32 s9, exec_lo, s7
	s_cbranch_execz .LBB174_33
; %bb.32:                               ;   in Loop: Header=BB174_4 Depth=1
	v_pk_mul_f32 v[26:27], v[28:29], v[28:29]
	v_max_num_f32_e64 v40, |v14|, |v14|
	v_cmp_class_f32_e64 s10, v14, 0x204
	s_delay_alu instid0(VALU_DEP_3) | instskip(SKIP_1) | instid1(VALU_DEP_2)
	v_add_f32_e32 v29, 1.0, v26
	v_cmp_neq_f32_e64 s7, 0x7f800000, v26
	v_frexp_mant_f32_e32 v28, v29
	v_add_f32_e32 v27, -1.0, v29
	s_delay_alu instid0(VALU_DEP_2) | instskip(NEXT) | instid1(VALU_DEP_2)
	v_cmp_gt_f32_e32 vcc_lo, 0x3f2aaaab, v28
	v_mov_b32_e32 v28, v27
	v_cvt_f64_f32_e32 v[30:31], v29
	s_delay_alu instid0(VALU_DEP_1) | instskip(NEXT) | instid1(VALU_DEP_3)
	v_frexp_exp_i32_f64_e32 v9, v[30:31]
	v_pk_add_f32 v[30:31], v[26:27], v[28:29] neg_lo:[0,1] neg_hi:[0,1]
	s_delay_alu instid0(VALU_DEP_1) | instskip(NEXT) | instid1(VALU_DEP_3)
	v_add_f32_e32 v28, 1.0, v31
	v_subrev_co_ci_u32_e64 v9, null, 0, v9, vcc_lo
	v_cmp_gt_i32_e32 vcc_lo, 0, v14
	s_delay_alu instid0(VALU_DEP_2) | instskip(NEXT) | instid1(VALU_DEP_1)
	v_sub_nc_u32_e32 v32, 0, v9
	v_ldexp_f32 v27, v29, v32
	s_delay_alu instid0(VALU_DEP_1) | instskip(NEXT) | instid1(VALU_DEP_1)
	v_dual_add_f32 v31, 1.0, v27 :: v_dual_add_f32 v28, v30, v28
	v_add_f32_e32 v29, -1.0, v31
	v_add_f32_e32 v33, -1.0, v27
	s_delay_alu instid0(VALU_DEP_3) | instskip(NEXT) | instid1(VALU_DEP_3)
	v_ldexp_f32 v28, v28, v32
	v_sub_f32_e32 v29, v27, v29
	s_delay_alu instid0(VALU_DEP_1) | instskip(NEXT) | instid1(VALU_DEP_1)
	v_add_f32_e32 v32, v28, v29
	v_dual_add_f32 v30, 1.0, v33 :: v_dual_add_f32 v35, v31, v32
	s_delay_alu instid0(VALU_DEP_1) | instskip(NEXT) | instid1(VALU_DEP_2)
	v_sub_f32_e32 v27, v27, v30
	v_rcp_f32_e32 v36, v35
	s_delay_alu instid0(VALU_DEP_1) | instskip(NEXT) | instid1(VALU_DEP_1)
	v_add_f32_e32 v27, v28, v27
	v_add_f32_e32 v29, v33, v27
	s_delay_alu instid0(TRANS32_DEP_1) | instid1(VALU_DEP_1)
	v_mul_f32_e32 v37, v29, v36
	s_delay_alu instid0(VALU_DEP_1) | instskip(SKIP_1) | instid1(VALU_DEP_1)
	v_mul_f32_e32 v30, v35, v37
	v_dual_sub_f32 v28, v31, v35 :: v_dual_sub_f32 v39, v33, v29
	v_dual_add_f32 v38, v32, v28 :: v_dual_fma_f32 v32, v37, v35, -v30
	s_delay_alu instid0(VALU_DEP_1) | instskip(NEXT) | instid1(VALU_DEP_1)
	v_dual_add_f32 v27, v27, v39 :: v_dual_fmac_f32 v32, v37, v38
	v_add_f32_e32 v28, v30, v32
	s_delay_alu instid0(VALU_DEP_1) | instskip(NEXT) | instid1(VALU_DEP_1)
	v_dual_sub_f32 v31, v29, v28 :: v_dual_mov_b32 v33, v28
	v_pk_add_f32 v[28:29], v[28:29], v[30:31] neg_lo:[0,1] neg_hi:[0,1]
	s_delay_alu instid0(VALU_DEP_1) | instskip(NEXT) | instid1(VALU_DEP_1)
	v_pk_add_f32 v[28:29], v[28:29], v[32:33] neg_lo:[0,1] neg_hi:[0,1]
	v_add_f32_e32 v27, v27, v29
	s_delay_alu instid0(VALU_DEP_1) | instskip(NEXT) | instid1(VALU_DEP_1)
	v_add_f32_e32 v27, v28, v27
	v_add_f32_e32 v29, v31, v27
	s_delay_alu instid0(VALU_DEP_1) | instskip(NEXT) | instid1(VALU_DEP_1)
	v_mul_f32_e32 v39, v36, v29
	v_mul_f32_e32 v32, v35, v39
	s_delay_alu instid0(VALU_DEP_1) | instskip(SKIP_1) | instid1(VALU_DEP_2)
	v_fma_f32 v30, v39, v35, -v32
	v_sub_f32_e32 v35, v31, v29
	v_fmac_f32_e32 v30, v39, v38
	s_delay_alu instid0(VALU_DEP_2) | instskip(NEXT) | instid1(VALU_DEP_2)
	v_add_f32_e32 v27, v27, v35
	v_dual_add_f32 v35, v37, v39 :: v_dual_add_f32 v28, v32, v30
	s_delay_alu instid0(VALU_DEP_1) | instskip(NEXT) | instid1(VALU_DEP_1)
	v_dual_mov_b32 v31, v28 :: v_dual_sub_f32 v33, v29, v28
	v_pk_add_f32 v[28:29], v[28:29], v[32:33] neg_lo:[0,1] neg_hi:[0,1]
	s_delay_alu instid0(VALU_DEP_1) | instskip(NEXT) | instid1(VALU_DEP_1)
	v_pk_add_f32 v[28:29], v[28:29], v[30:31] neg_lo:[0,1] neg_hi:[0,1]
	v_add_f32_e32 v27, v27, v29
	s_delay_alu instid0(VALU_DEP_1) | instskip(NEXT) | instid1(VALU_DEP_1)
	v_dual_add_f32 v27, v28, v27 :: v_dual_sub_f32 v28, v35, v37
	v_dual_add_f32 v27, v33, v27 :: v_dual_sub_f32 v28, v39, v28
	s_delay_alu instid0(VALU_DEP_1) | instskip(NEXT) | instid1(VALU_DEP_1)
	v_mul_f32_e32 v27, v36, v27
	v_add_f32_e32 v27, v28, v27
	v_cvt_f32_i32_e32 v28, v9
	s_delay_alu instid0(VALU_DEP_2) | instskip(NEXT) | instid1(VALU_DEP_1)
	v_add_f32_e32 v36, v35, v27
	v_mul_f32_e32 v30, v36, v36
	s_delay_alu instid0(VALU_DEP_1) | instskip(SKIP_2) | instid1(VALU_DEP_3)
	v_fmaak_f32 v31, s28, v30, 0x3ecc95a3
	v_mul_f32_e32 v29, v36, v30
	v_ldexp_f32 v33, v36, 1
	v_fmaak_f32 v9, v30, v31, 0x3f2aaada
	s_delay_alu instid0(VALU_DEP_1) | instskip(NEXT) | instid1(VALU_DEP_1)
	v_pk_mul_f32 v[30:31], v[28:29], v[8:9]
	v_fma_f32 v32, 0x3f317218, v28, -v30
	s_delay_alu instid0(VALU_DEP_1) | instskip(NEXT) | instid1(VALU_DEP_1)
	v_fmac_f32_e32 v32, 0xb102e308, v28
	v_pk_add_f32 v[28:29], v[30:31], v[32:33]
	v_dual_sub_f32 v9, v36, v35 :: v_dual_mov_b32 v36, v30
	v_max_num_f32_e64 v35, |v15|, |v15|
	s_delay_alu instid0(VALU_DEP_2) | instskip(NEXT) | instid1(VALU_DEP_4)
	v_sub_f32_e32 v9, v27, v9
	v_dual_sub_f32 v27, v29, v33 :: v_dual_mov_b32 v33, v28
	s_delay_alu instid0(VALU_DEP_2) | instskip(NEXT) | instid1(VALU_DEP_2)
	v_ldexp_f32 v9, v9, 1
	v_sub_f32_e32 v27, v31, v27
	v_pk_add_f32 v[30:31], v[28:29], v[30:31] neg_lo:[0,1] neg_hi:[0,1]
	s_delay_alu instid0(VALU_DEP_2) | instskip(SKIP_1) | instid1(VALU_DEP_2)
	v_add_f32_e32 v37, v9, v27
	v_dual_max_num_f32 v9, v40, v35 :: v_dual_min_num_f32 v35, v40, v35
	v_pk_add_f32 v[38:39], v[28:29], v[36:37]
	s_delay_alu instid0(VALU_DEP_2) | instskip(SKIP_1) | instid1(VALU_DEP_3)
	v_frexp_mant_f32_e32 v27, v9
	v_frexp_exp_i32_f32_e32 v9, v9
	v_dual_mov_b32 v44, v29 :: v_dual_mov_b32 v31, v39
	s_delay_alu instid0(VALU_DEP_3) | instskip(NEXT) | instid1(VALU_DEP_1)
	v_rcp_f32_e32 v27, v27
	v_pk_add_f32 v[40:41], v[32:33], v[30:31]
	v_frexp_exp_i32_f32_e32 v40, v35
	v_frexp_mant_f32_e32 v35, v35
	v_pk_add_f32 v[30:31], v[32:33], v[30:31] neg_lo:[0,1] neg_hi:[0,1]
	s_delay_alu instid0(VALU_DEP_3)
	v_dual_mov_b32 v36, v41 :: v_dual_sub_nc_u32 v9, v40, v9
	s_delay_alu instid0(TRANS32_DEP_1) | instid1(VALU_DEP_3)
	v_mul_f32_e32 v27, v35, v27
	v_mov_b32_e32 v40, v39
	s_delay_alu instid0(VALU_DEP_3) | instskip(SKIP_1) | instid1(VALU_DEP_4)
	v_pk_add_f32 v[42:43], v[36:37], v[28:29] neg_lo:[0,1] neg_hi:[0,1]
	v_mov_b32_e32 v29, v28
	v_ldexp_f32 v27, v27, v9
	s_delay_alu instid0(VALU_DEP_3) | instskip(NEXT) | instid1(VALU_DEP_2)
	v_dual_mov_b32 v28, v37 :: v_dual_mov_b32 v9, v42
	v_dual_mov_b32 v45, v42 :: v_dual_mul_f32 v35, v27, v27
	s_delay_alu instid0(VALU_DEP_2) | instskip(NEXT) | instid1(VALU_DEP_2)
	v_pk_add_f32 v[38:39], v[38:39], v[8:9] neg_lo:[0,1] neg_hi:[0,1]
	v_pk_add_f32 v[32:33], v[40:41], v[44:45] neg_lo:[0,1] neg_hi:[0,1]
	v_mov_b32_e32 v38, v30
	s_delay_alu instid0(VALU_DEP_2) | instskip(NEXT) | instid1(VALU_DEP_1)
	v_pk_add_f32 v[28:29], v[28:29], v[32:33] neg_lo:[0,1] neg_hi:[0,1]
	v_pk_add_f32 v[32:33], v[38:39], v[28:29]
	s_delay_alu instid0(VALU_DEP_1) | instskip(NEXT) | instid1(VALU_DEP_1)
	v_dual_fmaak_f32 v9, s29, v35, 0xbc7a590c :: v_dual_mov_b32 v38, v33
	v_pk_add_f32 v[38:39], v[32:33], v[38:39]
	s_delay_alu instid0(VALU_DEP_1) | instskip(NEXT) | instid1(VALU_DEP_1)
	v_pk_add_f32 v[36:37], v[36:37], v[38:39]
	v_dual_mov_b32 v31, v41 :: v_dual_mov_b32 v33, v36
	s_delay_alu instid0(VALU_DEP_1) | instskip(NEXT) | instid1(VALU_DEP_1)
	v_pk_add_f32 v[40:41], v[32:33], v[30:31] neg_lo:[0,1] neg_hi:[0,1]
	v_dual_mov_b32 v29, v38 :: v_dual_sub_f32 v31, v32, v40
	v_fmaak_f32 v9, v35, v9, 0x3d29fb3f
	s_delay_alu instid0(VALU_DEP_2) | instskip(NEXT) | instid1(VALU_DEP_2)
	v_pk_add_f32 v[28:29], v[28:29], v[40:41] neg_lo:[0,1] neg_hi:[0,1]
	v_dual_sub_f32 v30, v30, v31 :: v_dual_fmaak_f32 v9, v35, v9, 0xbd97d4d7
	s_delay_alu instid0(VALU_DEP_1) | instskip(NEXT) | instid1(VALU_DEP_1)
	v_fmaak_f32 v9, v35, v9, 0x3dd931b2
	v_fmaak_f32 v9, v35, v9, 0xbe1160e6
	s_delay_alu instid0(VALU_DEP_1) | instskip(NEXT) | instid1(VALU_DEP_1)
	v_fmaak_f32 v9, v35, v9, 0x3e4cb8bf
	v_fmaak_f32 v9, v35, v9, 0xbeaaaa62
	s_delay_alu instid0(VALU_DEP_1) | instskip(NEXT) | instid1(VALU_DEP_1)
	v_mul_f32_e32 v9, v35, v9
	v_dual_fmac_f32 v27, v27, v9 :: v_dual_add_f32 v9, v28, v30
	s_delay_alu instid0(VALU_DEP_1) | instskip(NEXT) | instid1(VALU_DEP_1)
	v_dual_sub_f32 v28, 0x3fc90fdb, v27 :: v_dual_add_f32 v9, v9, v29
	v_cndmask_b32_e64 v27, v27, v28, s6
	v_cndmask_b32_e64 v28, 0, 0x40490fdb, vcc_lo
	v_cmp_gt_f32_e32 vcc_lo, 0, v14
	s_delay_alu instid0(VALU_DEP_3) | instskip(NEXT) | instid1(VALU_DEP_1)
	v_sub_f32_e32 v29, 0x40490fdb, v27
	v_cndmask_b32_e32 v14, v27, v29, vcc_lo
	v_cndmask_b32_e32 v27, 0x3f490fdb, v34, vcc_lo
	v_add_f32_e32 v9, v36, v9
	v_cmp_gt_f32_e64 vcc_lo, 0x33800000, |v26|
	s_delay_alu instid0(VALU_DEP_2) | instskip(SKIP_1) | instid1(VALU_DEP_2)
	v_cndmask_b32_e64 v9, 0x7f800000, v9, s7
	v_cmp_class_f32_e64 s7, v15, 0x204
	v_cndmask_b32_e32 v9, v9, v26, vcc_lo
	v_cmp_eq_f32_e32 vcc_lo, 0, v15
	s_delay_alu instid0(VALU_DEP_2) | instskip(SKIP_1) | instid1(VALU_DEP_1)
	v_dual_mul_f32 v26, 0.5, v9 :: v_dual_cndmask_b32 v14, v14, v28, vcc_lo
	s_and_b32 vcc_lo, s7, s10
                                        ; implicit-def: $vgpr28
	v_cndmask_b32_e32 v27, v14, v27, vcc_lo
.LBB174_33:                             ;   in Loop: Header=BB174_4 Depth=1
	s_and_not1_saveexec_b32 s9, s9
	s_cbranch_execz .LBB174_35
; %bb.34:                               ;   in Loop: Header=BB174_4 Depth=1
	v_max_num_f32_e64 v9, |v15|, |v15|
	v_max_num_f32_e64 v26, |v14|, |v14|
	v_cmp_eq_f32_e64 s7, 0, v15
	v_cmp_gt_i32_e32 vcc_lo, 0, v14
	v_cmp_class_f32_e64 s10, v14, 0x204
	v_cmp_class_f32_e64 s11, v15, 0x204
	v_dual_max_num_f32 v27, v26, v9 :: v_dual_min_num_f32 v9, v26, v9
	s_delay_alu instid0(VALU_DEP_1) | instskip(SKIP_1) | instid1(VALU_DEP_2)
	v_frexp_mant_f32_e32 v29, v27
	v_frexp_exp_i32_f32_e32 v26, v27
	v_rcp_f32_e32 v27, v29
	v_nop
	v_frexp_exp_i32_f32_e32 v29, v9
	v_frexp_mant_f32_e32 v9, v9
	s_delay_alu instid0(VALU_DEP_2)
	v_sub_nc_u32_e32 v26, v29, v26
	s_delay_alu instid0(TRANS32_DEP_1) | instid1(VALU_DEP_2)
	v_mul_f32_e32 v9, v9, v27
	s_delay_alu instid0(VALU_DEP_1) | instskip(NEXT) | instid1(VALU_DEP_1)
	v_ldexp_f32 v9, v9, v26
	v_mul_f32_e32 v26, v9, v9
	s_delay_alu instid0(VALU_DEP_1) | instskip(NEXT) | instid1(VALU_DEP_1)
	v_fmaak_f32 v27, s29, v26, 0xbc7a590c
	v_fmaak_f32 v27, v26, v27, 0x3d29fb3f
	s_delay_alu instid0(VALU_DEP_1) | instskip(NEXT) | instid1(VALU_DEP_1)
	v_fmaak_f32 v27, v26, v27, 0xbd97d4d7
	v_fmaak_f32 v27, v26, v27, 0x3dd931b2
	;; [unrolled: 3-line block ×3, first 2 shown]
	s_delay_alu instid0(VALU_DEP_1) | instskip(NEXT) | instid1(VALU_DEP_1)
	v_fmaak_f32 v27, v26, v27, 0xbeaaaa62
	v_mul_f32_e32 v26, v26, v27
	v_cndmask_b32_e64 v27, 0, 0x40490fdb, vcc_lo
	v_cmp_gt_f32_e32 vcc_lo, 0, v14
	s_delay_alu instid0(VALU_DEP_3) | instskip(SKIP_1) | instid1(VALU_DEP_2)
	v_fmac_f32_e32 v9, v9, v26
	v_cndmask_b32_e32 v14, 0x3f490fdb, v34, vcc_lo
	v_sub_f32_e32 v26, 0x3fc90fdb, v9
	s_delay_alu instid0(VALU_DEP_1) | instskip(NEXT) | instid1(VALU_DEP_1)
	v_cndmask_b32_e64 v9, v9, v26, s6
	v_sub_f32_e32 v26, 0x40490fdb, v9
	s_delay_alu instid0(VALU_DEP_1) | instskip(SKIP_1) | instid1(VALU_DEP_1)
	v_dual_cndmask_b32 v9, v9, v26 :: v_dual_mul_f32 v26, 0.5, v28
	s_and_b32 vcc_lo, s11, s10
	v_dual_cndmask_b32 v9, v9, v27, s7 :: v_dual_mul_f32 v26, v28, v26
	s_delay_alu instid0(VALU_DEP_1)
	v_cndmask_b32_e32 v27, v9, v14, vcc_lo
.LBB174_35:                             ;   in Loop: Header=BB174_4 Depth=1
	s_or_b32 exec_lo, exec_lo, s9
.LBB174_36:                             ;   in Loop: Header=BB174_4 Depth=1
	s_delay_alu instid0(SALU_CYCLE_1)
	s_or_b32 exec_lo, exec_lo, s8
.LBB174_37:                             ;   in Loop: Header=BB174_4 Depth=1
	s_and_not1_saveexec_b32 s8, s31
	s_cbranch_execz .LBB174_39
; %bb.38:                               ;   in Loop: Header=BB174_4 Depth=1
	v_div_scale_f32 v9, null, 0x402df854, 0x402df854, v14
	v_div_scale_f32 v26, null, 0x402df854, 0x402df854, v15
	v_div_scale_f32 v31, vcc_lo, v14, 0x402df854, v14
	s_delay_alu instid0(VALU_DEP_3) | instskip(NEXT) | instid1(VALU_DEP_2)
	v_rcp_f32_e32 v27, v9
	v_rcp_f32_e32 v28, v26
	v_cmp_class_f32_e64 s9, v15, 0x204
	s_delay_alu instid0(TRANS32_DEP_2) | instskip(NEXT) | instid1(TRANS32_DEP_1)
	v_fma_f32 v29, -v9, v27, 1.0
	v_fma_f32 v30, -v26, v28, 1.0
	s_delay_alu instid0(VALU_DEP_1) | instskip(SKIP_1) | instid1(VALU_DEP_1)
	v_dual_fmac_f32 v27, v29, v27 :: v_dual_fmac_f32 v28, v30, v28
	v_div_scale_f32 v29, s7, v15, 0x402df854, v15
	v_dual_mul_f32 v30, v31, v27 :: v_dual_mul_f32 v32, v29, v28
	s_delay_alu instid0(VALU_DEP_1) | instskip(NEXT) | instid1(VALU_DEP_1)
	v_dual_fma_f32 v33, -v9, v30, v31 :: v_dual_fma_f32 v35, -v26, v32, v29
	v_dual_fmac_f32 v30, v33, v27 :: v_dual_fmac_f32 v32, v35, v28
	s_delay_alu instid0(VALU_DEP_1) | instskip(NEXT) | instid1(VALU_DEP_1)
	v_dual_fma_f32 v9, -v9, v30, v31 :: v_dual_fma_f32 v26, -v26, v32, v29
	v_div_fmas_f32 v9, v9, v27, v30
	s_mov_b32 vcc_lo, s7
	v_max_num_f32_e64 v30, |v14|, |v14|
	s_delay_alu instid0(VALU_DEP_3) | instskip(SKIP_2) | instid1(VALU_DEP_3)
	v_div_fmas_f32 v26, v26, v28, v32
	v_cmp_class_f32_e64 s7, v14, 0x204
	v_div_fixup_f32 v9, v9, 0x402df854, v14
	v_div_fixup_f32 v28, v26, 0x402df854, v15
	s_delay_alu instid0(VALU_DEP_1) | instskip(NEXT) | instid1(VALU_DEP_1)
	v_max_num_f32_e64 v29, |v9|, |v28|
	v_cvt_f64_f32_e32 v[26:27], v29
	v_cmp_neq_f32_e32 vcc_lo, 0x7f800000, v29
	s_delay_alu instid0(VALU_DEP_2) | instskip(SKIP_1) | instid1(VALU_DEP_1)
	v_frexp_exp_i32_f64_e32 v26, v[26:27]
	v_max_num_f32_e64 v27, |v15|, |v15|
	v_dual_max_num_f32 v31, v30, v27 :: v_dual_min_num_f32 v27, v30, v27
	s_delay_alu instid0(VALU_DEP_1) | instskip(SKIP_1) | instid1(VALU_DEP_2)
	v_frexp_mant_f32_e32 v32, v31
	v_frexp_exp_i32_f32_e32 v30, v31
	v_rcp_f32_e32 v31, v32
	v_nop
	v_frexp_exp_i32_f32_e32 v32, v27
	v_frexp_mant_f32_e32 v27, v27
	s_delay_alu instid0(TRANS32_DEP_1) | instid1(VALU_DEP_1)
	v_dual_mul_f32 v27, v27, v31 :: v_dual_sub_nc_u32 v30, v32, v30
	s_delay_alu instid0(VALU_DEP_1) | instskip(NEXT) | instid1(VALU_DEP_1)
	v_ldexp_f32 v27, v27, v30
	v_dual_mul_f32 v30, v27, v27 :: v_dual_sub_nc_u32 v31, 0, v26
	s_delay_alu instid0(VALU_DEP_1) | instskip(SKIP_1) | instid1(VALU_DEP_2)
	v_ldexp_f32 v28, |v28|, v31
	v_ldexp_f32 v9, |v9|, v31
	v_dual_fmaak_f32 v31, s29, v30, 0xbc7a590c :: v_dual_mul_f32 v28, v28, v28
	s_delay_alu instid0(VALU_DEP_1) | instskip(NEXT) | instid1(VALU_DEP_1)
	v_dual_fmac_f32 v28, v9, v9 :: v_dual_fmaak_f32 v9, v30, v31, 0x3d29fb3f
	v_sqrt_f32_e32 v28, v28
	s_delay_alu instid0(VALU_DEP_1) | instskip(NEXT) | instid1(VALU_DEP_1)
	v_fmaak_f32 v9, v30, v9, 0xbd97d4d7
	v_fmaak_f32 v9, v30, v9, 0x3dd931b2
	s_delay_alu instid0(TRANS32_DEP_1) | instskip(NEXT) | instid1(VALU_DEP_2)
	v_ldexp_f32 v26, v28, v26
	v_fmaak_f32 v9, v30, v9, 0xbe1160e6
	s_delay_alu instid0(VALU_DEP_1) | instskip(NEXT) | instid1(VALU_DEP_1)
	v_fmaak_f32 v9, v30, v9, 0x3e4cb8bf
	v_fmaak_f32 v9, v30, v9, 0xbeaaaa62
	s_delay_alu instid0(VALU_DEP_1) | instskip(NEXT) | instid1(VALU_DEP_1)
	v_dual_cndmask_b32 v26, 0x7f800000, v26 :: v_dual_mul_f32 v9, v30, v9
	v_cmp_gt_f32_e32 vcc_lo, 0x800000, v26
	s_delay_alu instid0(VALU_DEP_2) | instskip(SKIP_2) | instid1(VALU_DEP_2)
	v_fmac_f32_e32 v27, v27, v9
	v_cndmask_b32_e64 v28, 0, 32, vcc_lo
	v_cndmask_b32_e64 v30, 0, 0x41b17218, vcc_lo
	v_ldexp_f32 v26, v26, v28
	s_delay_alu instid0(VALU_DEP_1) | instskip(SKIP_1) | instid1(TRANS32_DEP_1)
	v_log_f32_e32 v26, v26
	v_nop
	v_mul_f32_e32 v28, 0x3f317217, v26
	v_cmp_gt_f32_e64 vcc_lo, 0x7f800000, |v26|
	s_delay_alu instid0(VALU_DEP_2) | instskip(NEXT) | instid1(VALU_DEP_1)
	v_fma_f32 v9, 0x3f317217, v26, -v28
	v_fmac_f32_e32 v9, 0x3377d1cf, v26
	s_delay_alu instid0(VALU_DEP_1) | instskip(NEXT) | instid1(VALU_DEP_1)
	v_fmac_f32_e32 v9, 0x3f317217, v26
	v_dual_sub_f32 v28, 0x3fc90fdb, v27 :: v_dual_cndmask_b32 v9, v26, v9
	s_delay_alu instid0(VALU_DEP_1) | instskip(SKIP_2) | instid1(VALU_DEP_4)
	v_cndmask_b32_e64 v27, v27, v28, s6
	v_cmp_gt_i32_e64 s6, 0, v14
	v_cmp_eq_f32_e32 vcc_lo, 0, v15
	v_sub_f32_e32 v9, v9, v30
	s_delay_alu instid0(VALU_DEP_4) | instskip(NEXT) | instid1(VALU_DEP_4)
	v_sub_f32_e32 v29, 0x40490fdb, v27
	v_cndmask_b32_e64 v28, 0, 0x40490fdb, s6
	v_cmp_gt_f32_e64 s6, 0, v14
	s_delay_alu instid0(VALU_DEP_4) | instskip(NEXT) | instid1(VALU_DEP_2)
	v_add_f32_e32 v26, 1.0, v9
	v_cndmask_b32_e64 v14, v27, v29, s6
	v_cndmask_b32_e64 v27, 0x3f490fdb, v34, s6
	s_delay_alu instid0(VALU_DEP_2) | instskip(SKIP_1) | instid1(VALU_DEP_1)
	v_cndmask_b32_e32 v14, v14, v28, vcc_lo
	s_and_b32 vcc_lo, s9, s7
	v_cndmask_b32_e32 v27, v14, v27, vcc_lo
.LBB174_39:                             ;   in Loop: Header=BB174_4 Depth=1
	s_or_b32 exec_lo, exec_lo, s8
.LBB174_40:                             ;   in Loop: Header=BB174_4 Depth=1
	s_and_not1_saveexec_b32 s6, s30
	s_cbranch_execz .LBB174_46
; %bb.41:                               ;   in Loop: Header=BB174_4 Depth=1
	v_cmp_ngt_f32_e64 s7, 0x20000000, |v14|
	v_cmp_ngt_f32_e64 s8, 0x20000000, |v15|
                                        ; implicit-def: $vgpr9
	s_or_b32 s7, s8, s7
	s_delay_alu instid0(SALU_CYCLE_1) | instskip(NEXT) | instid1(SALU_CYCLE_1)
	s_and_saveexec_b32 s8, s7
	s_xor_b32 s7, exec_lo, s8
; %bb.42:                               ;   in Loop: Header=BB174_4 Depth=1
	v_pk_mul_f32 v[26:27], v[14:15], v[14:15]
	s_delay_alu instid0(VALU_DEP_1)
	v_add_f32_e32 v9, v27, v26
; %bb.43:                               ;   in Loop: Header=BB174_4 Depth=1
	s_and_not1_saveexec_b32 s7, s7
; %bb.44:                               ;   in Loop: Header=BB174_4 Depth=1
	v_pk_mul_f32 v[26:27], v[14:15], 4.0 op_sel_hi:[1,0]
	s_delay_alu instid0(VALU_DEP_1) | instskip(NEXT) | instid1(VALU_DEP_1)
	v_pk_mul_f32 v[26:27], v[26:27], v[26:27]
	v_add_f32_e32 v9, v27, v26
	s_delay_alu instid0(VALU_DEP_1)
	v_mul_f32_e32 v9, 0x3d800000, v9
; %bb.45:                               ;   in Loop: Header=BB174_4 Depth=1
	s_or_b32 exec_lo, exec_lo, s7
	s_delay_alu instid0(VALU_DEP_1) | instskip(SKIP_3) | instid1(VALU_DEP_2)
	v_cmp_gt_f32_e32 vcc_lo, 0x800000, v9
	v_mov_b32_e32 v27, 0x7fc00000
	v_cndmask_b32_e64 v14, 0, 32, vcc_lo
	v_cndmask_b32_e64 v26, 0, 0x41b17218, vcc_lo
	v_ldexp_f32 v9, v9, v14
	s_delay_alu instid0(VALU_DEP_1) | instskip(SKIP_1) | instid1(TRANS32_DEP_1)
	v_log_f32_e32 v9, v9
	v_nop
	v_mul_f32_e32 v14, 0x3f317217, v9
	v_cmp_gt_f32_e64 vcc_lo, 0x7f800000, |v9|
	s_delay_alu instid0(VALU_DEP_2) | instskip(NEXT) | instid1(VALU_DEP_1)
	v_fma_f32 v14, 0x3f317217, v9, -v14
	v_fmac_f32_e32 v14, 0x3377d1cf, v9
	s_delay_alu instid0(VALU_DEP_1) | instskip(NEXT) | instid1(VALU_DEP_1)
	v_fmac_f32_e32 v14, 0x3f317217, v9
	v_cndmask_b32_e32 v9, v9, v14, vcc_lo
	s_delay_alu instid0(VALU_DEP_1)
	v_sub_f32_e32 v26, v9, v26
.LBB174_46:                             ;   in Loop: Header=BB174_4 Depth=1
	s_or_b32 exec_lo, exec_lo, s6
                                        ; implicit-def: $vgpr14
                                        ; implicit-def: $vgpr35
	s_delay_alu instid0(SALU_CYCLE_1)
	s_mov_b32 s6, exec_lo
	v_cmpx_o_f32_e32 v19, v18
	s_xor_b32 s30, exec_lo, s6
	s_cbranch_execz .LBB174_74
; %bb.47:                               ;   in Loop: Header=BB174_4 Depth=1
	v_cmp_lt_f32_e64 s6, |v18|, |v19|
                                        ; implicit-def: $vgpr14
                                        ; implicit-def: $vgpr35
	s_mov_b32 s8, exec_lo
	v_cndmask_b32_e64 v9, v19, v18, s6
	s_delay_alu instid0(VALU_DEP_1)
	v_cmpx_nlt_f32_e64 0x77f684df, |v9|
	s_xor_b32 s31, exec_lo, s8
	s_cbranch_execz .LBB174_71
; %bb.48:                               ;   in Loop: Header=BB174_4 Depth=1
	v_cndmask_b32_e64 v14, v18, v19, s6
	v_and_b32_e32 v28, 0x7fffffff, v9
                                        ; implicit-def: $vgpr35
	s_mov_b32 s7, exec_lo
	s_delay_alu instid0(VALU_DEP_2) | instskip(NEXT) | instid1(VALU_DEP_1)
	v_and_b32_e32 v29, 0x7fffffff, v14
                                        ; implicit-def: $vgpr14
	v_cmpx_neq_f32_e32 1.0, v29
	s_xor_b32 s33, exec_lo, s7
	s_cbranch_execz .LBB174_64
; %bb.49:                               ;   in Loop: Header=BB174_4 Depth=1
	v_dual_max_num_f32 v9, v28, v28 :: v_dual_max_num_f32 v14, v29, v29
                                        ; implicit-def: $vgpr35
	s_delay_alu instid0(VALU_DEP_1) | instskip(NEXT) | instid1(VALU_DEP_1)
	v_dual_min_num_f32 v30, v14, v9 :: v_dual_max_num_f32 v9, v14, v9
                                        ; implicit-def: $vgpr14
	v_cmp_ngt_f32_e32 vcc_lo, 0x358637bd, v30
	s_delay_alu instid0(VALU_DEP_2) | instskip(SKIP_1) | instid1(SALU_CYCLE_1)
	v_cmp_nlt_f32_e64 s7, 0x49742400, v9
	s_and_b32 s7, s7, vcc_lo
	s_and_saveexec_b32 s8, s7
	s_delay_alu instid0(SALU_CYCLE_1)
	s_xor_b32 s34, exec_lo, s8
	s_cbranch_execz .LBB174_61
; %bb.50:                               ;   in Loop: Header=BB174_4 Depth=1
                                        ; implicit-def: $vgpr14
                                        ; implicit-def: $vgpr35
	s_mov_b32 s7, exec_lo
	v_cmpx_le_f32_e32 1.0, v29
	s_xor_b32 s8, exec_lo, s7
	s_cbranch_execz .LBB174_52
; %bb.51:                               ;   in Loop: Header=BB174_4 Depth=1
	v_pk_add_f32 v[30:31], v[28:29], v[6:7] op_sel:[1,0]
	v_mov_b32_e32 v32, v28
	v_cmp_class_f32_e64 s9, v18, 0x204
	s_delay_alu instid0(VALU_DEP_3) | instskip(SKIP_1) | instid1(VALU_DEP_1)
	v_dual_mov_b32 v29, v30 :: v_dual_mov_b32 v33, v31
	v_mul_f32_e32 v14, v30, v31
	v_pk_fma_f32 v[28:29], v[28:29], v[32:33], v[14:15] op_sel_hi:[1,1,0]
	s_delay_alu instid0(VALU_DEP_1) | instskip(SKIP_1) | instid1(VALU_DEP_2)
	v_add_f32_e32 v31, 1.0, v28
	v_cmp_neq_f32_e64 s7, -1.0, v28
	v_add_f32_e32 v29, -1.0, v31
	s_delay_alu instid0(VALU_DEP_1) | instskip(SKIP_2) | instid1(VALU_DEP_1)
	v_mov_b32_e32 v30, v29
	v_cvt_f64_f32_e32 v[32:33], v31
	v_frexp_mant_f32_e32 v14, v31
	v_cmp_gt_f32_e32 vcc_lo, 0x3f2aaaab, v14
	s_delay_alu instid0(VALU_DEP_3) | instskip(NEXT) | instid1(VALU_DEP_1)
	v_frexp_exp_i32_f64_e32 v9, v[32:33]
	v_subrev_co_ci_u32_e64 v9, null, 0, v9, vcc_lo
	v_cmp_neq_f32_e32 vcc_lo, 0x7f800000, v28
	s_delay_alu instid0(VALU_DEP_2) | instskip(SKIP_1) | instid1(VALU_DEP_2)
	v_sub_nc_u32_e32 v14, 0, v9
	v_pk_add_f32 v[32:33], v[28:29], v[30:31] neg_lo:[0,1] neg_hi:[0,1]
	v_ldexp_f32 v29, v31, v14
	s_delay_alu instid0(VALU_DEP_2) | instskip(NEXT) | instid1(VALU_DEP_2)
	v_add_f32_e32 v30, 1.0, v33
	v_add_f32_e32 v33, 1.0, v29
	s_delay_alu instid0(VALU_DEP_1) | instskip(SKIP_1) | instid1(VALU_DEP_2)
	v_dual_add_f32 v31, -1.0, v33 :: v_dual_add_f32 v30, v32, v30
	v_add_f32_e32 v35, -1.0, v29
	v_ldexp_f32 v14, v30, v14
	s_delay_alu instid0(VALU_DEP_3) | instskip(NEXT) | instid1(VALU_DEP_1)
	v_sub_f32_e32 v30, v29, v31
	v_dual_add_f32 v31, 1.0, v35 :: v_dual_add_f32 v30, v14, v30
	s_delay_alu instid0(VALU_DEP_1) | instskip(NEXT) | instid1(VALU_DEP_1)
	v_sub_f32_e32 v29, v29, v31
	v_dual_add_f32 v38, v33, v30 :: v_dual_add_f32 v14, v14, v29
	s_delay_alu instid0(VALU_DEP_1) | instskip(NEXT) | instid1(VALU_DEP_1)
	v_rcp_f32_e32 v29, v38
	v_add_f32_e32 v31, v35, v14
	s_delay_alu instid0(TRANS32_DEP_1) | instid1(VALU_DEP_1)
	v_dual_sub_f32 v35, v31, v35 :: v_dual_mul_f32 v39, v31, v29
	v_sub_f32_e32 v33, v38, v33
	s_delay_alu instid0(VALU_DEP_2) | instskip(NEXT) | instid1(VALU_DEP_3)
	v_sub_f32_e32 v14, v14, v35
	v_mul_f32_e32 v32, v38, v39
	s_delay_alu instid0(VALU_DEP_1) | instskip(NEXT) | instid1(VALU_DEP_1)
	v_dual_sub_f32 v40, v30, v33 :: v_dual_fma_f32 v36, v39, v38, -v32
	v_fmac_f32_e32 v36, v39, v40
	s_delay_alu instid0(VALU_DEP_1) | instskip(NEXT) | instid1(VALU_DEP_1)
	v_add_f32_e32 v30, v32, v36
	v_dual_sub_f32 v33, v31, v30 :: v_dual_mov_b32 v37, v30
	s_delay_alu instid0(VALU_DEP_1) | instskip(NEXT) | instid1(VALU_DEP_1)
	v_pk_add_f32 v[30:31], v[30:31], v[32:33] neg_lo:[0,1] neg_hi:[0,1]
	v_pk_add_f32 v[30:31], v[30:31], v[36:37] neg_lo:[0,1] neg_hi:[0,1]
	s_delay_alu instid0(VALU_DEP_1) | instskip(NEXT) | instid1(VALU_DEP_1)
	v_add_f32_e32 v14, v14, v31
	v_add_f32_e32 v14, v30, v14
	s_delay_alu instid0(VALU_DEP_1) | instskip(NEXT) | instid1(VALU_DEP_1)
	v_add_f32_e32 v31, v33, v14
	v_mul_f32_e32 v35, v29, v31
	s_delay_alu instid0(VALU_DEP_1) | instskip(NEXT) | instid1(VALU_DEP_1)
	v_mul_f32_e32 v36, v38, v35
	v_dual_fma_f32 v32, v35, v38, -v36 :: v_dual_sub_f32 v38, v33, v31
	s_delay_alu instid0(VALU_DEP_1) | instskip(NEXT) | instid1(VALU_DEP_1)
	v_dual_fmac_f32 v32, v35, v40 :: v_dual_add_f32 v14, v14, v38
	v_dual_add_f32 v38, v39, v35 :: v_dual_add_f32 v30, v36, v32
	s_delay_alu instid0(VALU_DEP_1) | instskip(NEXT) | instid1(VALU_DEP_1)
	v_dual_sub_f32 v37, v31, v30 :: v_dual_mov_b32 v33, v30
	v_pk_add_f32 v[30:31], v[30:31], v[36:37] neg_lo:[0,1] neg_hi:[0,1]
	s_delay_alu instid0(VALU_DEP_1) | instskip(NEXT) | instid1(VALU_DEP_1)
	v_pk_add_f32 v[30:31], v[30:31], v[32:33] neg_lo:[0,1] neg_hi:[0,1]
	v_add_f32_e32 v14, v14, v31
	s_delay_alu instid0(VALU_DEP_1) | instskip(NEXT) | instid1(VALU_DEP_1)
	v_add_f32_e32 v14, v30, v14
	v_dual_sub_f32 v30, v38, v39 :: v_dual_add_f32 v14, v37, v14
	s_delay_alu instid0(VALU_DEP_1) | instskip(NEXT) | instid1(VALU_DEP_2)
	v_sub_f32_e32 v30, v35, v30
	v_mul_f32_e32 v14, v29, v14
	s_delay_alu instid0(VALU_DEP_1) | instskip(SKIP_1) | instid1(VALU_DEP_2)
	v_add_f32_e32 v14, v30, v14
	v_cvt_f32_i32_e32 v30, v9
	v_add_f32_e32 v29, v38, v14
	s_delay_alu instid0(VALU_DEP_1) | instskip(SKIP_1) | instid1(VALU_DEP_2)
	v_mul_f32_e32 v32, v29, v29
	v_ldexp_f32 v37, v29, 1
	v_fmaak_f32 v33, s28, v32, 0x3ecc95a3
	v_mul_f32_e32 v31, v29, v32
	s_delay_alu instid0(VALU_DEP_2) | instskip(NEXT) | instid1(VALU_DEP_1)
	v_fmaak_f32 v9, v32, v33, 0x3f2aaada
	v_pk_mul_f32 v[32:33], v[30:31], v[8:9]
	s_delay_alu instid0(VALU_DEP_1) | instskip(SKIP_1) | instid1(VALU_DEP_1)
	v_dual_sub_f32 v9, v29, v38 :: v_dual_mov_b32 v38, v32
	v_fma_f32 v36, 0x3f317218, v30, -v32
	v_dual_sub_f32 v9, v14, v9 :: v_dual_fmac_f32 v36, 0xb102e308, v30
	s_delay_alu instid0(VALU_DEP_1) | instskip(NEXT) | instid1(VALU_DEP_2)
	v_ldexp_f32 v9, v9, 1
	v_pk_add_f32 v[30:31], v[32:33], v[36:37]
	s_delay_alu instid0(VALU_DEP_1) | instskip(NEXT) | instid1(VALU_DEP_1)
	v_dual_sub_f32 v14, v31, v37 :: v_dual_mov_b32 v37, v30
	v_dual_mov_b32 v46, v31 :: v_dual_sub_f32 v14, v33, v14
	v_pk_add_f32 v[32:33], v[30:31], v[32:33] neg_lo:[0,1] neg_hi:[0,1]
	s_delay_alu instid0(VALU_DEP_2) | instskip(SKIP_2) | instid1(VALU_DEP_3)
	v_add_f32_e32 v39, v9, v14
	v_max_num_f32_e64 v9, |v19|, |v19|
	v_max_num_f32_e64 v14, |v18|, |v18|
	v_pk_add_f32 v[40:41], v[30:31], v[38:39]
	s_delay_alu instid0(VALU_DEP_1) | instskip(NEXT) | instid1(VALU_DEP_1)
	v_dual_max_num_f32 v29, v14, v9 :: v_dual_mov_b32 v33, v41
	v_frexp_exp_i32_f32_e32 v35, v29
	v_frexp_mant_f32_e32 v29, v29
	s_delay_alu instid0(VALU_DEP_3) | instskip(SKIP_2) | instid1(VALU_DEP_4)
	v_pk_add_f32 v[42:43], v[36:37], v[32:33]
	v_min_num_f32_e32 v9, v14, v9
	v_pk_add_f32 v[32:33], v[36:37], v[32:33] neg_lo:[0,1] neg_hi:[0,1]
	v_rcp_f32_e32 v29, v29
	s_delay_alu instid0(VALU_DEP_3) | instskip(NEXT) | instid1(VALU_DEP_3)
	v_mov_b32_e32 v14, v43
	v_frexp_exp_i32_f32_e32 v38, v9
	v_frexp_mant_f32_e32 v48, v9
	v_mov_b32_e32 v33, v43
	s_delay_alu instid0(VALU_DEP_4) | instskip(NEXT) | instid1(VALU_DEP_4)
	v_pk_add_f32 v[44:45], v[14:15], v[30:31] neg_lo:[0,1] neg_hi:[0,1]
	v_dual_mov_b32 v42, v41 :: v_dual_sub_nc_u32 v35, v38, v35
	v_dual_mov_b32 v31, v30 :: v_dual_mov_b32 v30, v39
	s_delay_alu instid0(VALU_DEP_3) | instskip(NEXT) | instid1(VALU_DEP_1)
	v_dual_mov_b32 v47, v44 :: v_dual_mov_b32 v9, v44
	v_pk_add_f32 v[36:37], v[42:43], v[46:47] neg_lo:[0,1] neg_hi:[0,1]
	s_delay_alu instid0(VALU_DEP_2) | instskip(SKIP_1) | instid1(VALU_DEP_3)
	v_pk_add_f32 v[38:39], v[40:41], v[8:9] neg_lo:[0,1] neg_hi:[0,1]
	v_mov_b32_e32 v38, v32
	v_pk_add_f32 v[30:31], v[30:31], v[36:37] neg_lo:[0,1] neg_hi:[0,1]
	s_delay_alu instid0(VALU_DEP_1) | instskip(NEXT) | instid1(VALU_DEP_1)
	v_pk_add_f32 v[36:37], v[38:39], v[30:31]
	v_dual_mul_f32 v29, v48, v29 :: v_dual_mov_b32 v38, v37
	s_delay_alu instid0(VALU_DEP_1) | instskip(NEXT) | instid1(VALU_DEP_2)
	v_ldexp_f32 v9, v29, v35
	v_pk_add_f32 v[38:39], v[36:37], v[38:39]
	s_delay_alu instid0(VALU_DEP_2) | instskip(NEXT) | instid1(VALU_DEP_2)
	v_mul_f32_e32 v29, v9, v9
	v_pk_add_f32 v[40:41], v[14:15], v[38:39]
	s_delay_alu instid0(VALU_DEP_1) | instskip(NEXT) | instid1(VALU_DEP_1)
	v_mov_b32_e32 v37, v40
	v_pk_add_f32 v[42:43], v[36:37], v[32:33] neg_lo:[0,1] neg_hi:[0,1]
	s_delay_alu instid0(VALU_DEP_1) | instskip(NEXT) | instid1(VALU_DEP_1)
	v_sub_f32_e32 v33, v36, v42
	v_sub_f32_e32 v32, v32, v33
	v_fmaak_f32 v31, s29, v29, 0xbc7a590c
	s_delay_alu instid0(VALU_DEP_1) | instskip(NEXT) | instid1(VALU_DEP_1)
	v_fmaak_f32 v31, v29, v31, 0x3d29fb3f
	v_dual_fmaak_f32 v14, v29, v31, 0xbd97d4d7 :: v_dual_mov_b32 v31, v38
	s_delay_alu instid0(VALU_DEP_1) | instskip(NEXT) | instid1(VALU_DEP_2)
	v_fmaak_f32 v14, v29, v14, 0x3dd931b2
	v_pk_add_f32 v[30:31], v[30:31], v[42:43] neg_lo:[0,1] neg_hi:[0,1]
	s_delay_alu instid0(VALU_DEP_1) | instskip(NEXT) | instid1(VALU_DEP_3)
	v_add_f32_e32 v30, v30, v32
	v_fmaak_f32 v14, v29, v14, 0xbe1160e6
	s_delay_alu instid0(VALU_DEP_1) | instskip(NEXT) | instid1(VALU_DEP_1)
	v_fmaak_f32 v14, v29, v14, 0x3e4cb8bf
	v_fmaak_f32 v14, v29, v14, 0xbeaaaa62
	s_delay_alu instid0(VALU_DEP_1) | instskip(NEXT) | instid1(VALU_DEP_1)
	v_dual_mul_f32 v14, v29, v14 :: v_dual_add_f32 v29, v30, v31
	v_dual_fmac_f32 v9, v9, v14 :: v_dual_add_f32 v14, v40, v29
	s_delay_alu instid0(VALU_DEP_1) | instskip(NEXT) | instid1(VALU_DEP_2)
	v_sub_f32_e32 v29, 0x3fc90fdb, v9
	v_cndmask_b32_e32 v14, 0x7f800000, v14, vcc_lo
	v_cmp_gt_i32_e32 vcc_lo, 0, v18
	s_delay_alu instid0(VALU_DEP_3) | instskip(SKIP_4) | instid1(VALU_DEP_2)
	v_cndmask_b32_e64 v9, v9, v29, s6
	v_cndmask_b32_e64 v29, 0, 0x40490fdb, vcc_lo
	v_cmp_ngt_f32_e32 vcc_lo, -1.0, v28
	v_cndmask_b32_e32 v14, 0x7fc00000, v14, vcc_lo
	v_cmp_gt_f32_e32 vcc_lo, 0, v18
	v_cndmask_b32_e64 v14, 0xff800000, v14, s7
	v_cndmask_b32_e32 v18, 0x3f490fdb, v34, vcc_lo
	v_sub_f32_e32 v30, 0x40490fdb, v9
	v_cmp_class_f32_e64 s7, v19, 0x204
	s_delay_alu instid0(VALU_DEP_2) | instskip(SKIP_3) | instid1(VALU_DEP_2)
	v_cndmask_b32_e32 v9, v9, v30, vcc_lo
	v_cmp_gt_f32_e64 vcc_lo, 0x33800000, |v28|
	v_cndmask_b32_e32 v14, v14, v28, vcc_lo
	v_cmp_eq_f32_e32 vcc_lo, 0, v19
	v_dual_mul_f32 v14, 0.5, v14 :: v_dual_cndmask_b32 v9, v9, v29
	s_and_b32 vcc_lo, s7, s9
                                        ; implicit-def: $vgpr28_vgpr29
	s_delay_alu instid0(VALU_DEP_1)
	v_cndmask_b32_e32 v35, v9, v18, vcc_lo
.LBB174_52:                             ;   in Loop: Header=BB174_4 Depth=1
	s_and_not1_saveexec_b32 s35, s8
	s_cbranch_execz .LBB174_60
; %bb.53:                               ;   in Loop: Header=BB174_4 Depth=1
	v_pk_mul_f32 v[30:31], v[28:29], v[28:29]
                                        ; implicit-def: $vgpr14
                                        ; implicit-def: $vgpr35
	s_mov_b32 s7, exec_lo
	s_delay_alu instid0(VALU_DEP_1) | instskip(NEXT) | instid1(VALU_DEP_1)
	v_add_f32_e32 v9, v31, v30
	v_cmpx_ge_f32_e32 0x3f333333, v9
	s_xor_b32 s8, exec_lo, s7
	s_cbranch_execz .LBB174_55
; %bb.54:                               ;   in Loop: Header=BB174_4 Depth=1
	v_max_num_f32_e64 v14, |v19|, |v19|
	v_max_num_f32_e64 v28, |v18|, |v18|
	v_cmp_gt_f32_e32 vcc_lo, 0x800000, v9
	v_cmp_gt_i32_e64 s7, 0, v18
	v_cmp_class_f32_e64 s9, v18, 0x204
	v_cmp_class_f32_e64 s10, v19, 0x204
	v_dual_max_num_f32 v29, v28, v14 :: v_dual_min_num_f32 v14, v28, v14
	v_cndmask_b32_e64 v31, 0, 0x41b17218, vcc_lo
	s_delay_alu instid0(VALU_DEP_2) | instskip(SKIP_1) | instid1(VALU_DEP_2)
	v_frexp_mant_f32_e32 v30, v29
	v_frexp_exp_i32_f32_e32 v28, v29
	v_rcp_f32_e32 v29, v30
	v_nop
	v_frexp_exp_i32_f32_e32 v30, v14
	v_frexp_mant_f32_e32 v14, v14
	s_delay_alu instid0(VALU_DEP_2)
	v_sub_nc_u32_e32 v28, v30, v28
	s_delay_alu instid0(TRANS32_DEP_1) | instid1(VALU_DEP_2)
	v_mul_f32_e32 v14, v14, v29
	v_cndmask_b32_e64 v30, 0, 32, vcc_lo
	s_delay_alu instid0(VALU_DEP_2) | instskip(NEXT) | instid1(VALU_DEP_2)
	v_ldexp_f32 v14, v14, v28
	v_ldexp_f32 v9, v9, v30
	s_delay_alu instid0(VALU_DEP_2) | instskip(NEXT) | instid1(VALU_DEP_2)
	v_mul_f32_e32 v28, v14, v14
	v_log_f32_e32 v9, v9
	s_delay_alu instid0(VALU_DEP_1) | instskip(NEXT) | instid1(TRANS32_DEP_1)
	v_fmaak_f32 v29, s29, v28, 0xbc7a590c
	v_cmp_gt_f32_e64 vcc_lo, 0x7f800000, |v9|
	s_delay_alu instid0(VALU_DEP_2) | instskip(NEXT) | instid1(VALU_DEP_1)
	v_fmaak_f32 v29, v28, v29, 0x3d29fb3f
	v_fmaak_f32 v29, v28, v29, 0xbd97d4d7
	s_delay_alu instid0(VALU_DEP_1) | instskip(NEXT) | instid1(VALU_DEP_1)
	v_fmaak_f32 v29, v28, v29, 0x3dd931b2
	v_fmaak_f32 v29, v28, v29, 0xbe1160e6
	s_delay_alu instid0(VALU_DEP_1) | instskip(NEXT) | instid1(VALU_DEP_1)
	;; [unrolled: 3-line block ×3, first 2 shown]
	v_mul_f32_e32 v28, v28, v29
	v_dual_mul_f32 v29, 0x3f317217, v9 :: v_dual_fmac_f32 v14, v14, v28
	s_delay_alu instid0(VALU_DEP_1) | instskip(NEXT) | instid1(VALU_DEP_2)
	v_fma_f32 v28, 0x3f317217, v9, -v29
	v_sub_f32_e32 v29, 0x3fc90fdb, v14
	s_delay_alu instid0(VALU_DEP_2) | instskip(NEXT) | instid1(VALU_DEP_2)
	v_fmac_f32_e32 v28, 0x3377d1cf, v9
	v_cndmask_b32_e64 v14, v14, v29, s6
	s_delay_alu instid0(VALU_DEP_2) | instskip(SKIP_2) | instid1(VALU_DEP_3)
	v_fmac_f32_e32 v28, 0x3f317217, v9
	v_cndmask_b32_e64 v29, 0, 0x40490fdb, s7
	v_cmp_eq_f32_e64 s7, 0, v19
	v_dual_sub_f32 v30, 0x40490fdb, v14 :: v_dual_cndmask_b32 v9, v9, v28
	v_cmp_gt_f32_e32 vcc_lo, 0, v18
	s_delay_alu instid0(VALU_DEP_2) | instskip(SKIP_2) | instid1(VALU_DEP_2)
	v_dual_sub_f32 v9, v9, v31 :: v_dual_cndmask_b32 v14, v14, v30
	v_cndmask_b32_e32 v28, 0x3f490fdb, v34, vcc_lo
	s_and_b32 vcc_lo, s10, s9
	v_cndmask_b32_e64 v18, v14, v29, s7
	s_delay_alu instid0(VALU_DEP_1)
	v_dual_mul_f32 v14, 0.5, v9 :: v_dual_cndmask_b32 v35, v18, v28
                                        ; implicit-def: $vgpr28
.LBB174_55:                             ;   in Loop: Header=BB174_4 Depth=1
	s_and_not1_saveexec_b32 s36, s8
	s_cbranch_execz .LBB174_59
; %bb.56:                               ;   in Loop: Header=BB174_4 Depth=1
	v_and_b32_e32 v31, 0x7fff0000, v28
	v_and_b32_e32 v30, 0x7fff0000, v29
	s_mov_b32 s37, 0
	s_delay_alu instid0(VALU_DEP_1) | instskip(SKIP_2) | instid1(VALU_DEP_2)
	v_dual_add_f32 v37, v31, v31 :: v_dual_add_f32 v14, v30, v30
	v_pk_add_f32 v[32:33], v[28:29], v[30:31] op_sel:[1,0] op_sel_hi:[0,1] neg_lo:[0,1] neg_hi:[0,1]
	v_pk_mul_f32 v[28:29], v[30:31], v[30:31]
	v_and_b32_e32 v39, 0xffff0000, v33
	s_delay_alu instid0(VALU_DEP_3) | instskip(NEXT) | instid1(VALU_DEP_1)
	v_and_b32_e32 v38, 0xffff0000, v32
	v_dual_add_f32 v41, v39, v39 :: v_dual_add_f32 v40, v38, v38
	v_pk_add_f32 v[30:31], v[32:33], v[38:39] neg_lo:[0,1] neg_hi:[0,1]
	v_dual_mul_f32 v9, v14, v38 :: v_dual_mul_f32 v36, v37, v39
	v_pk_mul_f32 v[32:33], v[38:39], v[38:39]
	s_delay_alu instid0(VALU_DEP_3)
	v_dual_mul_f32 v35, v14, v30 :: v_dual_mul_f32 v38, v37, v31
	v_dual_mul_f32 v14, v40, v30 :: v_dual_mul_f32 v37, v41, v31
	v_pk_mul_f32 v[30:31], v[30:31], v[30:31]
.LBB174_57:                             ;   Parent Loop BB174_4 Depth=1
                                        ; =>  This Inner Loop Header: Depth=2
	v_cmp_nlt_f32_e32 vcc_lo, v28, v29
	v_dual_cndmask_b32 v39, v28, v29 :: v_dual_cndmask_b32 v28, v29, v28
	s_delay_alu instid0(VALU_DEP_1) | instskip(NEXT) | instid1(VALU_DEP_1)
	v_cmp_nlt_f32_e64 s7, v39, v9
	v_dual_cndmask_b32 v40, v39, v9, s7 :: v_dual_cndmask_b32 v29, v9, v39, s7
	s_and_b32 s7, vcc_lo, s7
	s_delay_alu instid0(VALU_DEP_1) | instskip(NEXT) | instid1(VALU_DEP_1)
	v_cmp_nlt_f32_e64 s8, v40, v36
	v_cndmask_b32_e64 v41, v40, v36, s8
	v_cndmask_b32_e64 v9, v36, v40, s8
	s_delay_alu instid0(VALU_DEP_2) | instskip(NEXT) | instid1(VALU_DEP_1)
	v_cmp_nlt_f32_e64 s9, v41, v32
	v_cndmask_b32_e64 v39, v41, v32, s9
	s_and_b32 s38, s8, s9
	s_delay_alu instid0(VALU_DEP_1) | instskip(NEXT) | instid1(VALU_DEP_1)
	v_cmp_nlt_f32_e64 s10, v39, v33
	v_cndmask_b32_e64 v40, v39, v33, s10
	s_delay_alu instid0(VALU_DEP_1) | instskip(NEXT) | instid1(VALU_DEP_1)
	v_cmp_nlt_f32_e64 s11, v40, v35
	v_cndmask_b32_e64 v42, v40, v35, s11
	s_delay_alu instid0(VALU_DEP_1) | instskip(NEXT) | instid1(VALU_DEP_1)
	v_cmp_nlt_f32_e64 s12, v42, v38
	v_cndmask_b32_e64 v43, v42, v38, s12
	s_delay_alu instid0(VALU_DEP_1)
	v_cmp_nlt_f32_e64 s13, v43, v14
	v_dual_cndmask_b32 v36, v32, v41, s9 :: v_dual_cndmask_b32 v32, v33, v39, s10
	v_cndmask_b32_e64 v33, v35, v40, s11
	s_and_b32 s10, s10, s11
	v_cndmask_b32_e64 v41, v43, v14, s13
	s_and_b32 s10, s10, s12
	;; [unrolled: 2-line block ×3, first 2 shown]
	v_cndmask_b32_e64 v38, v14, v43, s13
	v_cmp_nlt_f32_e64 s8, v41, v37
	s_delay_alu instid0(VALU_DEP_1) | instskip(NEXT) | instid1(VALU_DEP_1)
	v_cndmask_b32_e64 v39, v41, v37, s8
	v_cmp_nlt_f32_e64 s9, v39, v30
	v_cndmask_b32_e64 v14, v37, v41, s8
	s_and_b32 s8, s11, s8
	v_dual_cndmask_b32 v40, v39, v30, s9 :: v_dual_cndmask_b32 v37, v30, v39, s9
	s_and_b32 s8, s8, s9
	s_delay_alu instid0(VALU_DEP_1) | instskip(SKIP_3) | instid1(SALU_CYCLE_1)
	v_cmp_nlt_f32_e64 s10, v40, v31
	s_and_b32 s8, s8, s10
	v_dual_cndmask_b32 v30, v31, v40, s10 :: v_dual_cndmask_b32 v31, v40, v31, s10
	s_and_b32 s8, s8, s38
	s_and_b32 s7, s8, s7
	s_delay_alu instid0(SALU_CYCLE_1) | instskip(NEXT) | instid1(SALU_CYCLE_1)
	s_and_b32 s7, exec_lo, s7
	s_or_b32 s37, s7, s37
	s_delay_alu instid0(SALU_CYCLE_1)
	s_and_not1_b32 exec_lo, exec_lo, s37
	s_cbranch_execnz .LBB174_57
; %bb.58:                               ;   in Loop: Header=BB174_4 Depth=1
	s_or_b32 exec_lo, exec_lo, s37
	v_add_f32_e32 v28, -1.0, v28
	v_cmp_class_f32_e64 s8, v18, 0x204
	s_delay_alu instid0(VALU_DEP_2) | instskip(NEXT) | instid1(VALU_DEP_1)
	v_add_f32_e32 v28, v28, v29
	v_add_f32_e32 v9, v28, v9
	s_delay_alu instid0(VALU_DEP_1) | instskip(NEXT) | instid1(VALU_DEP_1)
	v_add_f32_e32 v9, v9, v36
	v_add_f32_e32 v9, v9, v32
	s_delay_alu instid0(VALU_DEP_1) | instskip(NEXT) | instid1(VALU_DEP_1)
	;; [unrolled: 3-line block ×5, first 2 shown]
	v_add_f32_e32 v28, v31, v9
	v_add_f32_e32 v31, 1.0, v28
	s_delay_alu instid0(VALU_DEP_1) | instskip(SKIP_2) | instid1(VALU_DEP_2)
	v_cvt_f64_f32_e32 v[32:33], v31
	v_frexp_mant_f32_e32 v14, v31
	v_add_f32_e32 v29, -1.0, v31
	v_cmp_gt_f32_e32 vcc_lo, 0x3f2aaaab, v14
	s_delay_alu instid0(VALU_DEP_2) | instskip(SKIP_2) | instid1(VALU_DEP_3)
	v_mov_b32_e32 v30, v29
	v_cmp_neq_f32_e64 s7, -1.0, v28
	v_frexp_exp_i32_f64_e32 v9, v[32:33]
	v_pk_add_f32 v[32:33], v[28:29], v[30:31] neg_lo:[0,1] neg_hi:[0,1]
	s_delay_alu instid0(VALU_DEP_1) | instskip(NEXT) | instid1(VALU_DEP_1)
	v_add_f32_e32 v30, 1.0, v33
	v_add_f32_e32 v30, v32, v30
	s_delay_alu instid0(VALU_DEP_4) | instskip(SKIP_1) | instid1(VALU_DEP_2)
	v_subrev_co_ci_u32_e64 v9, null, 0, v9, vcc_lo
	v_cmp_neq_f32_e32 vcc_lo, 0x7f800000, v28
	v_sub_nc_u32_e32 v14, 0, v9
	s_delay_alu instid0(VALU_DEP_1) | instskip(SKIP_1) | instid1(VALU_DEP_2)
	v_ldexp_f32 v29, v31, v14
	v_ldexp_f32 v14, v30, v14
	v_dual_add_f32 v33, 1.0, v29 :: v_dual_add_f32 v35, -1.0, v29
	s_delay_alu instid0(VALU_DEP_1) | instskip(NEXT) | instid1(VALU_DEP_1)
	v_add_f32_e32 v31, -1.0, v33
	v_sub_f32_e32 v30, v29, v31
	s_delay_alu instid0(VALU_DEP_1) | instskip(NEXT) | instid1(VALU_DEP_1)
	v_dual_add_f32 v31, 1.0, v35 :: v_dual_add_f32 v30, v14, v30
	v_sub_f32_e32 v29, v29, v31
	s_delay_alu instid0(VALU_DEP_1) | instskip(NEXT) | instid1(VALU_DEP_1)
	v_dual_add_f32 v38, v33, v30 :: v_dual_add_f32 v14, v14, v29
	v_rcp_f32_e32 v29, v38
	s_delay_alu instid0(VALU_DEP_1)
	v_add_f32_e32 v31, v35, v14
	s_delay_alu instid0(TRANS32_DEP_1) | instid1(VALU_DEP_1)
	v_dual_sub_f32 v35, v31, v35 :: v_dual_mul_f32 v39, v31, v29
	v_sub_f32_e32 v33, v38, v33
	s_delay_alu instid0(VALU_DEP_2) | instskip(NEXT) | instid1(VALU_DEP_3)
	v_sub_f32_e32 v14, v14, v35
	v_mul_f32_e32 v32, v38, v39
	s_delay_alu instid0(VALU_DEP_1) | instskip(NEXT) | instid1(VALU_DEP_1)
	v_dual_sub_f32 v40, v30, v33 :: v_dual_fma_f32 v36, v39, v38, -v32
	v_fmac_f32_e32 v36, v39, v40
	s_delay_alu instid0(VALU_DEP_1) | instskip(NEXT) | instid1(VALU_DEP_1)
	v_add_f32_e32 v30, v32, v36
	v_dual_sub_f32 v33, v31, v30 :: v_dual_mov_b32 v37, v30
	s_delay_alu instid0(VALU_DEP_1) | instskip(NEXT) | instid1(VALU_DEP_1)
	v_pk_add_f32 v[30:31], v[30:31], v[32:33] neg_lo:[0,1] neg_hi:[0,1]
	v_pk_add_f32 v[30:31], v[30:31], v[36:37] neg_lo:[0,1] neg_hi:[0,1]
	s_delay_alu instid0(VALU_DEP_1) | instskip(NEXT) | instid1(VALU_DEP_1)
	v_add_f32_e32 v14, v14, v31
	v_add_f32_e32 v14, v30, v14
	s_delay_alu instid0(VALU_DEP_1) | instskip(NEXT) | instid1(VALU_DEP_1)
	v_add_f32_e32 v31, v33, v14
	v_mul_f32_e32 v35, v29, v31
	s_delay_alu instid0(VALU_DEP_1) | instskip(NEXT) | instid1(VALU_DEP_1)
	v_mul_f32_e32 v36, v38, v35
	v_dual_fma_f32 v32, v35, v38, -v36 :: v_dual_sub_f32 v38, v33, v31
	s_delay_alu instid0(VALU_DEP_1) | instskip(NEXT) | instid1(VALU_DEP_1)
	v_dual_fmac_f32 v32, v35, v40 :: v_dual_add_f32 v14, v14, v38
	v_dual_add_f32 v38, v39, v35 :: v_dual_add_f32 v30, v36, v32
	s_delay_alu instid0(VALU_DEP_1) | instskip(NEXT) | instid1(VALU_DEP_1)
	v_dual_sub_f32 v37, v31, v30 :: v_dual_mov_b32 v33, v30
	v_pk_add_f32 v[30:31], v[30:31], v[36:37] neg_lo:[0,1] neg_hi:[0,1]
	s_delay_alu instid0(VALU_DEP_1) | instskip(NEXT) | instid1(VALU_DEP_1)
	v_pk_add_f32 v[30:31], v[30:31], v[32:33] neg_lo:[0,1] neg_hi:[0,1]
	v_add_f32_e32 v14, v14, v31
	s_delay_alu instid0(VALU_DEP_1) | instskip(NEXT) | instid1(VALU_DEP_1)
	v_add_f32_e32 v14, v30, v14
	v_dual_sub_f32 v30, v38, v39 :: v_dual_add_f32 v14, v37, v14
	s_delay_alu instid0(VALU_DEP_1) | instskip(NEXT) | instid1(VALU_DEP_2)
	v_sub_f32_e32 v30, v35, v30
	v_mul_f32_e32 v14, v29, v14
	s_delay_alu instid0(VALU_DEP_1) | instskip(SKIP_1) | instid1(VALU_DEP_2)
	v_add_f32_e32 v14, v30, v14
	v_cvt_f32_i32_e32 v30, v9
	v_add_f32_e32 v29, v38, v14
	s_delay_alu instid0(VALU_DEP_1) | instskip(SKIP_1) | instid1(VALU_DEP_2)
	v_mul_f32_e32 v32, v29, v29
	v_ldexp_f32 v37, v29, 1
	v_fmaak_f32 v33, s28, v32, 0x3ecc95a3
	v_mul_f32_e32 v31, v29, v32
	s_delay_alu instid0(VALU_DEP_2) | instskip(NEXT) | instid1(VALU_DEP_1)
	v_fmaak_f32 v9, v32, v33, 0x3f2aaada
	v_pk_mul_f32 v[32:33], v[30:31], v[8:9]
	s_delay_alu instid0(VALU_DEP_1) | instskip(SKIP_1) | instid1(VALU_DEP_1)
	v_dual_sub_f32 v9, v29, v38 :: v_dual_mov_b32 v38, v32
	v_fma_f32 v36, 0x3f317218, v30, -v32
	v_dual_sub_f32 v9, v14, v9 :: v_dual_fmac_f32 v36, 0xb102e308, v30
	s_delay_alu instid0(VALU_DEP_1) | instskip(NEXT) | instid1(VALU_DEP_2)
	v_ldexp_f32 v9, v9, 1
	v_pk_add_f32 v[30:31], v[32:33], v[36:37]
	s_delay_alu instid0(VALU_DEP_1) | instskip(NEXT) | instid1(VALU_DEP_1)
	v_dual_sub_f32 v14, v31, v37 :: v_dual_mov_b32 v37, v30
	v_dual_mov_b32 v46, v31 :: v_dual_sub_f32 v14, v33, v14
	v_pk_add_f32 v[32:33], v[30:31], v[32:33] neg_lo:[0,1] neg_hi:[0,1]
	s_delay_alu instid0(VALU_DEP_2) | instskip(SKIP_2) | instid1(VALU_DEP_3)
	v_add_f32_e32 v39, v9, v14
	v_max_num_f32_e64 v9, |v19|, |v19|
	v_max_num_f32_e64 v14, |v18|, |v18|
	v_pk_add_f32 v[40:41], v[30:31], v[38:39]
	s_delay_alu instid0(VALU_DEP_1) | instskip(NEXT) | instid1(VALU_DEP_1)
	v_dual_max_num_f32 v29, v14, v9 :: v_dual_mov_b32 v33, v41
	v_frexp_exp_i32_f32_e32 v35, v29
	v_frexp_mant_f32_e32 v29, v29
	s_delay_alu instid0(VALU_DEP_3) | instskip(SKIP_2) | instid1(VALU_DEP_4)
	v_pk_add_f32 v[42:43], v[36:37], v[32:33]
	v_min_num_f32_e32 v9, v14, v9
	v_pk_add_f32 v[32:33], v[36:37], v[32:33] neg_lo:[0,1] neg_hi:[0,1]
	v_rcp_f32_e32 v29, v29
	s_delay_alu instid0(VALU_DEP_3) | instskip(NEXT) | instid1(VALU_DEP_3)
	v_mov_b32_e32 v14, v43
	v_frexp_exp_i32_f32_e32 v38, v9
	v_frexp_mant_f32_e32 v48, v9
	v_mov_b32_e32 v33, v43
	s_delay_alu instid0(VALU_DEP_4) | instskip(NEXT) | instid1(VALU_DEP_4)
	v_pk_add_f32 v[44:45], v[14:15], v[30:31] neg_lo:[0,1] neg_hi:[0,1]
	v_dual_mov_b32 v42, v41 :: v_dual_sub_nc_u32 v35, v38, v35
	v_dual_mov_b32 v31, v30 :: v_dual_mov_b32 v30, v39
	s_delay_alu instid0(VALU_DEP_3) | instskip(NEXT) | instid1(VALU_DEP_1)
	v_dual_mov_b32 v47, v44 :: v_dual_mov_b32 v9, v44
	v_pk_add_f32 v[36:37], v[42:43], v[46:47] neg_lo:[0,1] neg_hi:[0,1]
	s_delay_alu instid0(VALU_DEP_2) | instskip(SKIP_1) | instid1(VALU_DEP_3)
	v_pk_add_f32 v[38:39], v[40:41], v[8:9] neg_lo:[0,1] neg_hi:[0,1]
	v_mov_b32_e32 v38, v32
	v_pk_add_f32 v[30:31], v[30:31], v[36:37] neg_lo:[0,1] neg_hi:[0,1]
	s_delay_alu instid0(VALU_DEP_1) | instskip(NEXT) | instid1(VALU_DEP_1)
	v_pk_add_f32 v[36:37], v[38:39], v[30:31]
	v_dual_mul_f32 v29, v48, v29 :: v_dual_mov_b32 v38, v37
	s_delay_alu instid0(VALU_DEP_1) | instskip(NEXT) | instid1(VALU_DEP_2)
	v_ldexp_f32 v9, v29, v35
	v_pk_add_f32 v[38:39], v[36:37], v[38:39]
	s_delay_alu instid0(VALU_DEP_2) | instskip(NEXT) | instid1(VALU_DEP_2)
	v_mul_f32_e32 v29, v9, v9
	v_pk_add_f32 v[40:41], v[14:15], v[38:39]
	s_delay_alu instid0(VALU_DEP_1) | instskip(NEXT) | instid1(VALU_DEP_1)
	v_mov_b32_e32 v37, v40
	v_pk_add_f32 v[42:43], v[36:37], v[32:33] neg_lo:[0,1] neg_hi:[0,1]
	s_delay_alu instid0(VALU_DEP_1) | instskip(NEXT) | instid1(VALU_DEP_1)
	v_sub_f32_e32 v33, v36, v42
	v_sub_f32_e32 v32, v32, v33
	v_fmaak_f32 v31, s29, v29, 0xbc7a590c
	s_delay_alu instid0(VALU_DEP_1) | instskip(NEXT) | instid1(VALU_DEP_1)
	v_fmaak_f32 v31, v29, v31, 0x3d29fb3f
	v_dual_fmaak_f32 v14, v29, v31, 0xbd97d4d7 :: v_dual_mov_b32 v31, v38
	s_delay_alu instid0(VALU_DEP_1) | instskip(NEXT) | instid1(VALU_DEP_2)
	v_fmaak_f32 v14, v29, v14, 0x3dd931b2
	v_pk_add_f32 v[30:31], v[30:31], v[42:43] neg_lo:[0,1] neg_hi:[0,1]
	s_delay_alu instid0(VALU_DEP_1) | instskip(NEXT) | instid1(VALU_DEP_3)
	v_add_f32_e32 v30, v30, v32
	v_fmaak_f32 v14, v29, v14, 0xbe1160e6
	s_delay_alu instid0(VALU_DEP_1) | instskip(NEXT) | instid1(VALU_DEP_1)
	v_fmaak_f32 v14, v29, v14, 0x3e4cb8bf
	v_fmaak_f32 v14, v29, v14, 0xbeaaaa62
	s_delay_alu instid0(VALU_DEP_1) | instskip(NEXT) | instid1(VALU_DEP_1)
	v_dual_mul_f32 v14, v29, v14 :: v_dual_add_f32 v29, v30, v31
	v_dual_fmac_f32 v9, v9, v14 :: v_dual_add_f32 v14, v40, v29
	s_delay_alu instid0(VALU_DEP_1) | instskip(NEXT) | instid1(VALU_DEP_2)
	v_sub_f32_e32 v29, 0x3fc90fdb, v9
	v_cndmask_b32_e32 v14, 0x7f800000, v14, vcc_lo
	v_cmp_gt_i32_e32 vcc_lo, 0, v18
	s_delay_alu instid0(VALU_DEP_3) | instskip(SKIP_4) | instid1(VALU_DEP_2)
	v_cndmask_b32_e64 v9, v9, v29, s6
	v_cndmask_b32_e64 v29, 0, 0x40490fdb, vcc_lo
	v_cmp_ngt_f32_e32 vcc_lo, -1.0, v28
	v_cndmask_b32_e32 v14, 0x7fc00000, v14, vcc_lo
	v_cmp_gt_f32_e32 vcc_lo, 0, v18
	v_cndmask_b32_e64 v14, 0xff800000, v14, s7
	v_cndmask_b32_e32 v18, 0x3f490fdb, v34, vcc_lo
	v_sub_f32_e32 v30, 0x40490fdb, v9
	v_cmp_class_f32_e64 s7, v19, 0x204
	s_delay_alu instid0(VALU_DEP_2) | instskip(SKIP_3) | instid1(VALU_DEP_2)
	v_cndmask_b32_e32 v9, v9, v30, vcc_lo
	v_cmp_gt_f32_e64 vcc_lo, 0x33800000, |v28|
	v_cndmask_b32_e32 v14, v14, v28, vcc_lo
	v_cmp_eq_f32_e32 vcc_lo, 0, v19
	v_dual_mul_f32 v14, 0.5, v14 :: v_dual_cndmask_b32 v9, v9, v29
	s_and_b32 vcc_lo, s7, s8
	s_delay_alu instid0(VALU_DEP_1)
	v_cndmask_b32_e32 v35, v9, v18, vcc_lo
.LBB174_59:                             ;   in Loop: Header=BB174_4 Depth=1
	s_or_b32 exec_lo, exec_lo, s36
.LBB174_60:                             ;   in Loop: Header=BB174_4 Depth=1
	s_delay_alu instid0(SALU_CYCLE_1)
	s_or_b32 exec_lo, exec_lo, s35
.LBB174_61:                             ;   in Loop: Header=BB174_4 Depth=1
	s_and_not1_saveexec_b32 s8, s34
	s_cbranch_execz .LBB174_63
; %bb.62:                               ;   in Loop: Header=BB174_4 Depth=1
	v_max_num_f32_e64 v9, |v19|, |v19|
	v_max_num_f32_e64 v14, |v18|, |v18|
	v_cmp_gt_i32_e64 s7, 0, v18
	v_cmp_class_f32_e64 s9, v18, 0x204
	v_cmp_class_f32_e64 s10, v19, 0x204
	s_delay_alu instid0(VALU_DEP_4) | instskip(NEXT) | instid1(VALU_DEP_1)
	v_dual_max_num_f32 v30, v14, v9 :: v_dual_min_num_f32 v9, v14, v9
	v_cvt_f64_f32_e32 v[28:29], v30
	v_frexp_exp_i32_f32_e32 v14, v30
	s_delay_alu instid0(VALU_DEP_3) | instskip(SKIP_4) | instid1(VALU_DEP_1)
	v_frexp_exp_i32_f32_e32 v31, v9
	v_frexp_mant_f32_e32 v9, v9
	v_cmp_neq_f32_e32 vcc_lo, 0x7f800000, v30
	v_frexp_exp_i32_f64_e32 v28, v[28:29]
	v_frexp_mant_f32_e32 v29, v30
	v_rcp_f32_e32 v29, v29
	v_nop
	s_delay_alu instid0(TRANS32_DEP_1) | instskip(NEXT) | instid1(VALU_DEP_1)
	v_dual_mul_f32 v9, v9, v29 :: v_dual_sub_nc_u32 v14, v31, v14
	v_ldexp_f32 v9, v9, v14
	s_delay_alu instid0(VALU_DEP_1) | instskip(NEXT) | instid1(VALU_DEP_1)
	v_dual_mul_f32 v29, v9, v9 :: v_dual_sub_nc_u32 v14, 0, v28
	v_ldexp_f32 v31, |v19|, v14
	s_delay_alu instid0(VALU_DEP_2) | instskip(SKIP_1) | instid1(VALU_DEP_2)
	v_fmaak_f32 v32, s29, v29, 0xbc7a590c
	v_ldexp_f32 v14, |v18|, v14
	v_dual_mul_f32 v31, v31, v31 :: v_dual_fmaak_f32 v32, v29, v32, 0x3d29fb3f
	s_delay_alu instid0(VALU_DEP_1) | instskip(NEXT) | instid1(VALU_DEP_1)
	v_dual_fmac_f32 v31, v14, v14 :: v_dual_fmaak_f32 v14, v29, v32, 0xbd97d4d7
	v_sqrt_f32_e32 v31, v31
	s_delay_alu instid0(VALU_DEP_1) | instskip(NEXT) | instid1(VALU_DEP_1)
	v_fmaak_f32 v14, v29, v14, 0x3dd931b2
	v_fmaak_f32 v14, v29, v14, 0xbe1160e6
	s_delay_alu instid0(TRANS32_DEP_1) | instskip(NEXT) | instid1(VALU_DEP_2)
	v_ldexp_f32 v28, v31, v28
	v_fmaak_f32 v14, v29, v14, 0x3e4cb8bf
	s_delay_alu instid0(VALU_DEP_1) | instskip(NEXT) | instid1(VALU_DEP_1)
	v_fmaak_f32 v14, v29, v14, 0xbeaaaa62
	v_mul_f32_e32 v14, v29, v14
	s_delay_alu instid0(VALU_DEP_1) | instskip(NEXT) | instid1(VALU_DEP_1)
	v_dual_cndmask_b32 v28, 0x7f800000, v28 :: v_dual_fmac_f32 v9, v9, v14
	v_cmp_gt_f32_e32 vcc_lo, 0x800000, v28
	s_delay_alu instid0(VALU_DEP_2) | instskip(SKIP_1) | instid1(VALU_DEP_1)
	v_sub_f32_e32 v29, 0x3fc90fdb, v9
	v_cndmask_b32_e64 v30, 0, 32, vcc_lo
	v_ldexp_f32 v28, v28, v30
	s_delay_alu instid0(VALU_DEP_1) | instskip(NEXT) | instid1(VALU_DEP_3)
	v_log_f32_e32 v28, v28
	v_cndmask_b32_e64 v9, v9, v29, s6
	v_cndmask_b32_e64 v29, 0, 0x40490fdb, s7
	v_cmp_gt_f32_e64 s7, 0, v18
	s_delay_alu instid0(VALU_DEP_3) | instskip(NEXT) | instid1(VALU_DEP_2)
	v_sub_f32_e32 v30, 0x40490fdb, v9
	v_cndmask_b32_e64 v18, 0x3f490fdb, v34, s7
	s_delay_alu instid0(VALU_DEP_2) | instskip(SKIP_3) | instid1(VALU_DEP_3)
	v_cndmask_b32_e64 v9, v9, v30, s7
	v_mul_f32_e32 v14, 0x3f317217, v28
	v_cndmask_b32_e64 v30, 0, 0x41b17218, vcc_lo
	v_cmp_gt_f32_e64 vcc_lo, 0x7f800000, |v28|
	v_fma_f32 v14, 0x3f317217, v28, -v14
	s_delay_alu instid0(VALU_DEP_1) | instskip(NEXT) | instid1(VALU_DEP_1)
	v_fmac_f32_e32 v14, 0x3377d1cf, v28
	v_fmac_f32_e32 v14, 0x3f317217, v28
	s_delay_alu instid0(VALU_DEP_1) | instskip(SKIP_1) | instid1(VALU_DEP_2)
	v_cndmask_b32_e32 v14, v28, v14, vcc_lo
	v_cmp_eq_f32_e32 vcc_lo, 0, v19
	v_dual_sub_f32 v14, v14, v30 :: v_dual_cndmask_b32 v9, v9, v29
	s_and_b32 vcc_lo, s10, s9
	s_delay_alu instid0(VALU_DEP_1)
	v_cndmask_b32_e32 v35, v9, v18, vcc_lo
.LBB174_63:                             ;   in Loop: Header=BB174_4 Depth=1
	s_or_b32 exec_lo, exec_lo, s8
                                        ; implicit-def: $vgpr28
.LBB174_64:                             ;   in Loop: Header=BB174_4 Depth=1
	s_and_not1_saveexec_b32 s8, s33
	s_cbranch_execz .LBB174_70
; %bb.65:                               ;   in Loop: Header=BB174_4 Depth=1
                                        ; implicit-def: $vgpr14
                                        ; implicit-def: $vgpr35
	s_mov_b32 s7, exec_lo
	v_cmpx_ngt_f32_e32 0x1fec1e4a, v28
	s_xor_b32 s9, exec_lo, s7
	s_cbranch_execz .LBB174_67
; %bb.66:                               ;   in Loop: Header=BB174_4 Depth=1
	v_pk_mul_f32 v[28:29], v[28:29], v[28:29]
	v_cmp_class_f32_e64 s10, v18, 0x204
	s_delay_alu instid0(VALU_DEP_2) | instskip(SKIP_1) | instid1(VALU_DEP_2)
	v_add_f32_e32 v31, 1.0, v28
	v_cmp_neq_f32_e64 s7, 0x7f800000, v28
	v_add_f32_e32 v29, -1.0, v31
	s_delay_alu instid0(VALU_DEP_1) | instskip(SKIP_2) | instid1(VALU_DEP_1)
	v_mov_b32_e32 v30, v29
	v_cvt_f64_f32_e32 v[32:33], v31
	v_frexp_mant_f32_e32 v14, v31
	v_cmp_gt_f32_e32 vcc_lo, 0x3f2aaaab, v14
	s_delay_alu instid0(VALU_DEP_3) | instskip(NEXT) | instid1(VALU_DEP_1)
	v_frexp_exp_i32_f64_e32 v9, v[32:33]
	v_subrev_co_ci_u32_e64 v9, null, 0, v9, vcc_lo
	v_cmp_gt_i32_e32 vcc_lo, 0, v18
	s_delay_alu instid0(VALU_DEP_2) | instskip(SKIP_1) | instid1(VALU_DEP_2)
	v_sub_nc_u32_e32 v14, 0, v9
	v_pk_add_f32 v[32:33], v[28:29], v[30:31] neg_lo:[0,1] neg_hi:[0,1]
	v_ldexp_f32 v29, v31, v14
	s_delay_alu instid0(VALU_DEP_2) | instskip(NEXT) | instid1(VALU_DEP_2)
	v_add_f32_e32 v30, 1.0, v33
	v_add_f32_e32 v33, 1.0, v29
	s_delay_alu instid0(VALU_DEP_1) | instskip(SKIP_1) | instid1(VALU_DEP_2)
	v_dual_add_f32 v31, -1.0, v33 :: v_dual_add_f32 v30, v32, v30
	v_add_f32_e32 v35, -1.0, v29
	v_ldexp_f32 v14, v30, v14
	s_delay_alu instid0(VALU_DEP_3) | instskip(NEXT) | instid1(VALU_DEP_1)
	v_sub_f32_e32 v30, v29, v31
	v_dual_add_f32 v31, 1.0, v35 :: v_dual_add_f32 v30, v14, v30
	s_delay_alu instid0(VALU_DEP_1) | instskip(NEXT) | instid1(VALU_DEP_1)
	v_sub_f32_e32 v29, v29, v31
	v_dual_add_f32 v38, v33, v30 :: v_dual_add_f32 v14, v14, v29
	s_delay_alu instid0(VALU_DEP_1) | instskip(NEXT) | instid1(VALU_DEP_1)
	v_rcp_f32_e32 v29, v38
	v_add_f32_e32 v31, v35, v14
	s_delay_alu instid0(VALU_DEP_1) | instskip(NEXT) | instid1(TRANS32_DEP_1)
	v_dual_sub_f32 v33, v33, v38 :: v_dual_sub_f32 v35, v35, v31
	v_mul_f32_e32 v39, v31, v29
	s_delay_alu instid0(VALU_DEP_2) | instskip(NEXT) | instid1(VALU_DEP_3)
	v_add_f32_e32 v40, v30, v33
	v_add_f32_e32 v14, v14, v35
	s_delay_alu instid0(VALU_DEP_3) | instskip(NEXT) | instid1(VALU_DEP_1)
	v_mul_f32_e32 v32, v38, v39
	v_fma_f32 v36, v39, v38, -v32
	s_delay_alu instid0(VALU_DEP_1) | instskip(NEXT) | instid1(VALU_DEP_1)
	v_fmac_f32_e32 v36, v39, v40
	v_add_f32_e32 v30, v32, v36
	s_delay_alu instid0(VALU_DEP_1) | instskip(NEXT) | instid1(VALU_DEP_1)
	v_dual_sub_f32 v33, v31, v30 :: v_dual_mov_b32 v37, v30
	v_pk_add_f32 v[30:31], v[30:31], v[32:33] neg_lo:[0,1] neg_hi:[0,1]
	s_delay_alu instid0(VALU_DEP_1) | instskip(NEXT) | instid1(VALU_DEP_1)
	v_pk_add_f32 v[30:31], v[30:31], v[36:37] neg_lo:[0,1] neg_hi:[0,1]
	v_add_f32_e32 v14, v14, v31
	s_delay_alu instid0(VALU_DEP_1) | instskip(NEXT) | instid1(VALU_DEP_1)
	v_add_f32_e32 v14, v30, v14
	v_add_f32_e32 v31, v33, v14
	s_delay_alu instid0(VALU_DEP_1) | instskip(NEXT) | instid1(VALU_DEP_1)
	v_mul_f32_e32 v35, v29, v31
	v_mul_f32_e32 v36, v38, v35
	s_delay_alu instid0(VALU_DEP_1) | instskip(NEXT) | instid1(VALU_DEP_1)
	v_dual_fma_f32 v32, v35, v38, -v36 :: v_dual_sub_f32 v38, v33, v31
	v_dual_fmac_f32 v32, v35, v40 :: v_dual_add_f32 v14, v14, v38
	s_delay_alu instid0(VALU_DEP_1) | instskip(NEXT) | instid1(VALU_DEP_1)
	v_dual_add_f32 v38, v39, v35 :: v_dual_add_f32 v30, v36, v32
	v_dual_sub_f32 v37, v31, v30 :: v_dual_mov_b32 v33, v30
	s_delay_alu instid0(VALU_DEP_1) | instskip(NEXT) | instid1(VALU_DEP_1)
	v_pk_add_f32 v[30:31], v[30:31], v[36:37] neg_lo:[0,1] neg_hi:[0,1]
	v_pk_add_f32 v[30:31], v[30:31], v[32:33] neg_lo:[0,1] neg_hi:[0,1]
	s_delay_alu instid0(VALU_DEP_1) | instskip(NEXT) | instid1(VALU_DEP_1)
	v_add_f32_e32 v14, v14, v31
	v_add_f32_e32 v14, v30, v14
	s_delay_alu instid0(VALU_DEP_1) | instskip(NEXT) | instid1(VALU_DEP_1)
	v_dual_sub_f32 v30, v38, v39 :: v_dual_add_f32 v14, v37, v14
	v_sub_f32_e32 v30, v35, v30
	v_max_num_f32_e64 v35, |v18|, |v18|
	s_delay_alu instid0(VALU_DEP_3) | instskip(NEXT) | instid1(VALU_DEP_1)
	v_mul_f32_e32 v14, v29, v14
	v_add_f32_e32 v14, v30, v14
	v_cvt_f32_i32_e32 v30, v9
	s_delay_alu instid0(VALU_DEP_2) | instskip(NEXT) | instid1(VALU_DEP_1)
	v_add_f32_e32 v29, v38, v14
	v_mul_f32_e32 v32, v29, v29
	v_ldexp_f32 v37, v29, 1
	s_delay_alu instid0(VALU_DEP_2) | instskip(SKIP_1) | instid1(VALU_DEP_2)
	v_fmaak_f32 v33, s28, v32, 0x3ecc95a3
	v_mul_f32_e32 v31, v29, v32
	v_fmaak_f32 v9, v32, v33, 0x3f2aaada
	s_delay_alu instid0(VALU_DEP_1) | instskip(SKIP_2) | instid1(VALU_DEP_3)
	v_pk_mul_f32 v[32:33], v[30:31], v[8:9]
	v_sub_f32_e32 v9, v29, v38
	v_max_num_f32_e64 v29, |v19|, |v19|
	v_fma_f32 v36, 0x3f317218, v30, -v32
	s_delay_alu instid0(VALU_DEP_3) | instskip(NEXT) | instid1(VALU_DEP_2)
	v_dual_mov_b32 v38, v32 :: v_dual_sub_f32 v9, v14, v9
	v_fmac_f32_e32 v36, 0xb102e308, v30
	s_delay_alu instid0(VALU_DEP_2) | instskip(NEXT) | instid1(VALU_DEP_2)
	v_ldexp_f32 v9, v9, 1
	v_pk_add_f32 v[30:31], v[32:33], v[36:37]
	s_delay_alu instid0(VALU_DEP_1) | instskip(NEXT) | instid1(VALU_DEP_1)
	v_dual_sub_f32 v14, v31, v37 :: v_dual_mov_b32 v46, v31
	v_sub_f32_e32 v14, v33, v14
	s_delay_alu instid0(VALU_DEP_3) | instskip(NEXT) | instid1(VALU_DEP_2)
	v_pk_add_f32 v[32:33], v[30:31], v[32:33] neg_lo:[0,1] neg_hi:[0,1]
	v_dual_add_f32 v39, v9, v14 :: v_dual_max_num_f32 v9, v35, v29
	s_delay_alu instid0(VALU_DEP_1) | instskip(SKIP_1) | instid1(VALU_DEP_3)
	v_pk_add_f32 v[40:41], v[30:31], v[38:39]
	v_mov_b32_e32 v37, v30
	v_frexp_mant_f32_e32 v14, v9
	v_min_num_f32_e32 v29, v35, v29
	v_frexp_exp_i32_f32_e32 v9, v9
	v_mov_b32_e32 v33, v41
	s_delay_alu instid0(VALU_DEP_4) | instskip(NEXT) | instid1(VALU_DEP_1)
	v_rcp_f32_e32 v35, v14
	v_pk_add_f32 v[42:43], v[36:37], v[32:33]
	v_mov_b32_e32 v42, v41
	v_frexp_exp_i32_f32_e32 v38, v29
	v_frexp_mant_f32_e32 v29, v29
	v_pk_add_f32 v[32:33], v[36:37], v[32:33] neg_lo:[0,1] neg_hi:[0,1]
	s_delay_alu instid0(VALU_DEP_3) | instskip(NEXT) | instid1(VALU_DEP_3)
	v_dual_mov_b32 v14, v43 :: v_dual_sub_nc_u32 v9, v38, v9
	v_mul_f32_e32 v29, v29, v35
	s_delay_alu instid0(VALU_DEP_2) | instskip(SKIP_1) | instid1(VALU_DEP_3)
	v_pk_add_f32 v[44:45], v[14:15], v[30:31] neg_lo:[0,1] neg_hi:[0,1]
	v_dual_mov_b32 v31, v30 :: v_dual_mov_b32 v30, v39
	v_ldexp_f32 v29, v29, v9
	s_delay_alu instid0(VALU_DEP_3) | instskip(NEXT) | instid1(VALU_DEP_2)
	v_dual_mov_b32 v47, v44 :: v_dual_mov_b32 v9, v44
	v_mul_f32_e32 v35, v29, v29
	s_delay_alu instid0(VALU_DEP_2) | instskip(NEXT) | instid1(VALU_DEP_3)
	v_pk_add_f32 v[36:37], v[42:43], v[46:47] neg_lo:[0,1] neg_hi:[0,1]
	v_pk_add_f32 v[38:39], v[40:41], v[8:9] neg_lo:[0,1] neg_hi:[0,1]
	v_mov_b32_e32 v38, v32
	s_delay_alu instid0(VALU_DEP_3) | instskip(NEXT) | instid1(VALU_DEP_1)
	v_pk_add_f32 v[30:31], v[30:31], v[36:37] neg_lo:[0,1] neg_hi:[0,1]
	v_pk_add_f32 v[36:37], v[38:39], v[30:31]
	s_delay_alu instid0(VALU_DEP_1) | instskip(NEXT) | instid1(VALU_DEP_1)
	v_dual_fmaak_f32 v9, s29, v35, 0xbc7a590c :: v_dual_mov_b32 v38, v37
	v_pk_add_f32 v[38:39], v[36:37], v[38:39]
	s_delay_alu instid0(VALU_DEP_1) | instskip(NEXT) | instid1(VALU_DEP_1)
	v_pk_add_f32 v[40:41], v[14:15], v[38:39]
	v_dual_mov_b32 v33, v43 :: v_dual_mov_b32 v37, v40
	s_delay_alu instid0(VALU_DEP_1) | instskip(NEXT) | instid1(VALU_DEP_1)
	v_pk_add_f32 v[42:43], v[36:37], v[32:33] neg_lo:[0,1] neg_hi:[0,1]
	v_dual_fmaak_f32 v9, v35, v9, 0x3d29fb3f :: v_dual_sub_f32 v14, v36, v42
	s_delay_alu instid0(VALU_DEP_1) | instskip(NEXT) | instid1(VALU_DEP_1)
	v_dual_fmaak_f32 v9, v35, v9, 0xbd97d4d7 :: v_dual_sub_f32 v14, v32, v14
	v_fmaak_f32 v9, v35, v9, 0x3dd931b2
	s_delay_alu instid0(VALU_DEP_1) | instskip(NEXT) | instid1(VALU_DEP_1)
	v_fmaak_f32 v9, v35, v9, 0xbe1160e6
	v_fmaak_f32 v9, v35, v9, 0x3e4cb8bf
	s_delay_alu instid0(VALU_DEP_1) | instskip(NEXT) | instid1(VALU_DEP_1)
	v_fmaak_f32 v9, v35, v9, 0xbeaaaa62
	v_dual_mov_b32 v31, v38 :: v_dual_mul_f32 v9, v35, v9
	s_delay_alu instid0(VALU_DEP_1) | instskip(NEXT) | instid1(VALU_DEP_1)
	v_pk_add_f32 v[30:31], v[30:31], v[42:43] neg_lo:[0,1] neg_hi:[0,1]
	v_dual_fmac_f32 v29, v29, v9 :: v_dual_add_f32 v9, v30, v14
	s_delay_alu instid0(VALU_DEP_1) | instskip(NEXT) | instid1(VALU_DEP_1)
	v_dual_sub_f32 v14, 0x3fc90fdb, v29 :: v_dual_add_f32 v9, v9, v31
	v_dual_cndmask_b32 v14, v29, v14, s6 :: v_dual_add_f32 v9, v40, v9
	v_cndmask_b32_e64 v29, 0, 0x40490fdb, vcc_lo
	v_cmp_gt_f32_e32 vcc_lo, 0, v18
	s_delay_alu instid0(VALU_DEP_3) | instskip(NEXT) | instid1(VALU_DEP_4)
	v_cndmask_b32_e64 v9, 0x7f800000, v9, s7
	v_sub_f32_e32 v30, 0x40490fdb, v14
	v_cndmask_b32_e32 v18, 0x3f490fdb, v34, vcc_lo
	v_cmp_class_f32_e64 s7, v19, 0x204
	s_delay_alu instid0(VALU_DEP_3) | instskip(SKIP_3) | instid1(VALU_DEP_4)
	v_cndmask_b32_e32 v14, v14, v30, vcc_lo
	v_cmp_gt_f32_e64 vcc_lo, 0x33800000, |v28|
	v_cndmask_b32_e32 v9, v9, v28, vcc_lo
	v_cmp_eq_f32_e32 vcc_lo, 0, v19
	v_cndmask_b32_e32 v28, v14, v29, vcc_lo
	s_and_b32 vcc_lo, s7, s10
	s_delay_alu instid0(VALU_DEP_1)
	v_dual_mul_f32 v14, 0.5, v9 :: v_dual_cndmask_b32 v35, v28, v18
                                        ; implicit-def: $vgpr28
.LBB174_67:                             ;   in Loop: Header=BB174_4 Depth=1
	s_and_not1_saveexec_b32 s9, s9
	s_cbranch_execz .LBB174_69
; %bb.68:                               ;   in Loop: Header=BB174_4 Depth=1
	v_max_num_f32_e64 v9, |v19|, |v19|
	v_max_num_f32_e64 v14, |v18|, |v18|
	v_cmp_eq_f32_e64 s7, 0, v19
	v_cmp_gt_i32_e32 vcc_lo, 0, v18
	v_cmp_class_f32_e64 s10, v18, 0x204
	v_cmp_class_f32_e64 s11, v19, 0x204
	v_dual_max_num_f32 v29, v14, v9 :: v_dual_min_num_f32 v9, v14, v9
	s_delay_alu instid0(VALU_DEP_1) | instskip(SKIP_1) | instid1(VALU_DEP_2)
	v_frexp_mant_f32_e32 v30, v29
	v_frexp_exp_i32_f32_e32 v14, v29
	v_rcp_f32_e32 v29, v30
	v_nop
	v_frexp_exp_i32_f32_e32 v30, v9
	v_frexp_mant_f32_e32 v9, v9
	s_delay_alu instid0(TRANS32_DEP_1) | instid1(VALU_DEP_1)
	v_dual_mul_f32 v9, v9, v29 :: v_dual_sub_nc_u32 v14, v30, v14
	s_delay_alu instid0(VALU_DEP_1) | instskip(NEXT) | instid1(VALU_DEP_1)
	v_ldexp_f32 v9, v9, v14
	v_mul_f32_e32 v14, v9, v9
	s_delay_alu instid0(VALU_DEP_1) | instskip(NEXT) | instid1(VALU_DEP_1)
	v_fmaak_f32 v29, s29, v14, 0xbc7a590c
	v_fmaak_f32 v29, v14, v29, 0x3d29fb3f
	s_delay_alu instid0(VALU_DEP_1) | instskip(NEXT) | instid1(VALU_DEP_1)
	v_fmaak_f32 v29, v14, v29, 0xbd97d4d7
	v_fmaak_f32 v29, v14, v29, 0x3dd931b2
	;; [unrolled: 3-line block ×3, first 2 shown]
	s_delay_alu instid0(VALU_DEP_1) | instskip(NEXT) | instid1(VALU_DEP_1)
	v_fmaak_f32 v29, v14, v29, 0xbeaaaa62
	v_mul_f32_e32 v14, v14, v29
	v_cndmask_b32_e64 v29, 0, 0x40490fdb, vcc_lo
	v_cmp_gt_f32_e32 vcc_lo, 0, v18
	s_delay_alu instid0(VALU_DEP_3) | instskip(SKIP_1) | instid1(VALU_DEP_2)
	v_fmac_f32_e32 v9, v9, v14
	v_cndmask_b32_e32 v18, 0x3f490fdb, v34, vcc_lo
	v_sub_f32_e32 v14, 0x3fc90fdb, v9
	s_delay_alu instid0(VALU_DEP_1) | instskip(NEXT) | instid1(VALU_DEP_1)
	v_cndmask_b32_e64 v9, v9, v14, s6
	v_sub_f32_e32 v14, 0x40490fdb, v9
	s_delay_alu instid0(VALU_DEP_1) | instskip(SKIP_1) | instid1(VALU_DEP_1)
	v_dual_cndmask_b32 v9, v9, v14 :: v_dual_mul_f32 v14, 0.5, v28
	s_and_b32 vcc_lo, s11, s10
	v_dual_cndmask_b32 v9, v9, v29, s7 :: v_dual_mul_f32 v14, v28, v14
	s_delay_alu instid0(VALU_DEP_1)
	v_cndmask_b32_e32 v35, v9, v18, vcc_lo
.LBB174_69:                             ;   in Loop: Header=BB174_4 Depth=1
	s_or_b32 exec_lo, exec_lo, s9
.LBB174_70:                             ;   in Loop: Header=BB174_4 Depth=1
	s_delay_alu instid0(SALU_CYCLE_1)
	s_or_b32 exec_lo, exec_lo, s8
.LBB174_71:                             ;   in Loop: Header=BB174_4 Depth=1
	s_and_not1_saveexec_b32 s8, s31
	s_cbranch_execz .LBB174_73
; %bb.72:                               ;   in Loop: Header=BB174_4 Depth=1
	v_div_scale_f32 v9, null, 0x402df854, 0x402df854, v18
	v_div_scale_f32 v14, null, 0x402df854, 0x402df854, v19
	v_div_scale_f32 v32, vcc_lo, v18, 0x402df854, v18
	s_delay_alu instid0(VALU_DEP_3) | instskip(NEXT) | instid1(VALU_DEP_2)
	v_rcp_f32_e32 v28, v9
	v_rcp_f32_e32 v29, v14
	v_cmp_class_f32_e64 s9, v19, 0x204
	s_delay_alu instid0(TRANS32_DEP_2) | instskip(NEXT) | instid1(TRANS32_DEP_1)
	v_fma_f32 v30, -v9, v28, 1.0
	v_fma_f32 v31, -v14, v29, 1.0
	s_delay_alu instid0(VALU_DEP_1) | instskip(SKIP_1) | instid1(VALU_DEP_1)
	v_dual_fmac_f32 v28, v30, v28 :: v_dual_fmac_f32 v29, v31, v29
	v_div_scale_f32 v30, s7, v19, 0x402df854, v19
	v_dual_mul_f32 v31, v32, v28 :: v_dual_mul_f32 v33, v30, v29
	s_delay_alu instid0(VALU_DEP_1) | instskip(NEXT) | instid1(VALU_DEP_1)
	v_dual_fma_f32 v35, -v9, v31, v32 :: v_dual_fma_f32 v36, -v14, v33, v30
	v_dual_fmac_f32 v31, v35, v28 :: v_dual_fmac_f32 v33, v36, v29
	s_delay_alu instid0(VALU_DEP_1) | instskip(NEXT) | instid1(VALU_DEP_1)
	v_dual_fma_f32 v9, -v9, v31, v32 :: v_dual_fma_f32 v14, -v14, v33, v30
	v_div_fmas_f32 v9, v9, v28, v31
	s_mov_b32 vcc_lo, s7
	v_max_num_f32_e64 v31, |v18|, |v18|
	s_delay_alu instid0(VALU_DEP_3) | instskip(SKIP_2) | instid1(VALU_DEP_3)
	v_div_fmas_f32 v14, v14, v29, v33
	v_cmp_class_f32_e64 s7, v18, 0x204
	v_div_fixup_f32 v9, v9, 0x402df854, v18
	v_div_fixup_f32 v14, v14, 0x402df854, v19
	s_delay_alu instid0(VALU_DEP_1) | instskip(NEXT) | instid1(VALU_DEP_1)
	v_max_num_f32_e64 v30, |v9|, |v14|
	v_cvt_f64_f32_e32 v[28:29], v30
	v_cmp_neq_f32_e32 vcc_lo, 0x7f800000, v30
	s_delay_alu instid0(VALU_DEP_2) | instskip(SKIP_1) | instid1(VALU_DEP_1)
	v_frexp_exp_i32_f64_e32 v28, v[28:29]
	v_max_num_f32_e64 v29, |v19|, |v19|
	v_dual_max_num_f32 v32, v31, v29 :: v_dual_min_num_f32 v29, v31, v29
	s_delay_alu instid0(VALU_DEP_1) | instskip(SKIP_1) | instid1(VALU_DEP_2)
	v_frexp_mant_f32_e32 v33, v32
	v_frexp_exp_i32_f32_e32 v31, v32
	v_rcp_f32_e32 v32, v33
	v_nop
	v_frexp_exp_i32_f32_e32 v33, v29
	v_frexp_mant_f32_e32 v29, v29
	s_delay_alu instid0(VALU_DEP_2)
	v_sub_nc_u32_e32 v31, v33, v31
	s_delay_alu instid0(TRANS32_DEP_1) | instid1(VALU_DEP_2)
	v_mul_f32_e32 v29, v29, v32
	v_sub_nc_u32_e32 v32, 0, v28
	s_delay_alu instid0(VALU_DEP_1) | instskip(SKIP_1) | instid1(VALU_DEP_2)
	v_ldexp_f32 v14, |v14|, v32
	v_ldexp_f32 v9, |v9|, v32
	v_mul_f32_e32 v14, v14, v14
	v_ldexp_f32 v29, v29, v31
	s_delay_alu instid0(VALU_DEP_2) | instskip(NEXT) | instid1(VALU_DEP_1)
	v_fmac_f32_e32 v14, v9, v9
	v_sqrt_f32_e32 v14, v14
	v_nop
	s_delay_alu instid0(TRANS32_DEP_1) | instskip(NEXT) | instid1(VALU_DEP_1)
	v_ldexp_f32 v14, v14, v28
	v_dual_mul_f32 v31, v29, v29 :: v_dual_cndmask_b32 v14, 0x7f800000, v14
	s_delay_alu instid0(VALU_DEP_1) | instskip(NEXT) | instid1(VALU_DEP_2)
	v_fmaak_f32 v32, s29, v31, 0xbc7a590c
	v_cmp_gt_f32_e32 vcc_lo, 0x800000, v14
	s_delay_alu instid0(VALU_DEP_2) | instskip(SKIP_1) | instid1(VALU_DEP_2)
	v_fmaak_f32 v9, v31, v32, 0x3d29fb3f
	v_cndmask_b32_e64 v28, 0, 32, vcc_lo
	v_fmaak_f32 v9, v31, v9, 0xbd97d4d7
	s_delay_alu instid0(VALU_DEP_2) | instskip(NEXT) | instid1(VALU_DEP_2)
	v_ldexp_f32 v14, v14, v28
	v_fmaak_f32 v9, v31, v9, 0x3dd931b2
	s_delay_alu instid0(VALU_DEP_2) | instskip(NEXT) | instid1(VALU_DEP_1)
	v_log_f32_e32 v14, v14
	v_fmaak_f32 v9, v31, v9, 0xbe1160e6
	s_delay_alu instid0(VALU_DEP_1) | instskip(NEXT) | instid1(VALU_DEP_1)
	v_fmaak_f32 v9, v31, v9, 0x3e4cb8bf
	v_fmaak_f32 v9, v31, v9, 0xbeaaaa62
	s_delay_alu instid0(TRANS32_DEP_1) | instid1(VALU_DEP_1)
	v_dual_mul_f32 v9, v31, v9 :: v_dual_mul_f32 v28, 0x3f317217, v14
	v_cndmask_b32_e64 v31, 0, 0x41b17218, vcc_lo
	v_cmp_gt_f32_e64 vcc_lo, 0x7f800000, |v14|
	s_delay_alu instid0(VALU_DEP_3) | instskip(NEXT) | instid1(VALU_DEP_4)
	v_fmac_f32_e32 v29, v29, v9
	v_fma_f32 v9, 0x3f317217, v14, -v28
	s_delay_alu instid0(VALU_DEP_1) | instskip(NEXT) | instid1(VALU_DEP_1)
	v_fmac_f32_e32 v9, 0x3377d1cf, v14
	v_fmac_f32_e32 v9, 0x3f317217, v14
	s_delay_alu instid0(VALU_DEP_1) | instskip(SKIP_2) | instid1(VALU_DEP_3)
	v_cndmask_b32_e32 v9, v14, v9, vcc_lo
	v_sub_f32_e32 v28, 0x3fc90fdb, v29
	v_cmp_eq_f32_e32 vcc_lo, 0, v19
	v_sub_f32_e32 v9, v9, v31
	s_delay_alu instid0(VALU_DEP_3) | instskip(SKIP_1) | instid1(VALU_DEP_1)
	v_cndmask_b32_e64 v28, v29, v28, s6
	v_cmp_gt_i32_e64 s6, 0, v18
	v_cndmask_b32_e64 v29, 0, 0x40490fdb, s6
	v_cmp_gt_f32_e64 s6, 0, v18
	s_delay_alu instid0(VALU_DEP_1) | instskip(SKIP_1) | instid1(VALU_DEP_1)
	v_cndmask_b32_e64 v18, 0x3f490fdb, v34, s6
	v_sub_f32_e32 v30, 0x40490fdb, v28
	v_cndmask_b32_e64 v14, v28, v30, s6
	s_delay_alu instid0(VALU_DEP_1) | instskip(SKIP_1) | instid1(VALU_DEP_1)
	v_cndmask_b32_e32 v28, v14, v29, vcc_lo
	s_and_b32 vcc_lo, s9, s7
	v_dual_add_f32 v14, 1.0, v9 :: v_dual_cndmask_b32 v35, v28, v18
.LBB174_73:                             ;   in Loop: Header=BB174_4 Depth=1
	s_or_b32 exec_lo, exec_lo, s8
.LBB174_74:                             ;   in Loop: Header=BB174_4 Depth=1
	s_and_not1_saveexec_b32 s6, s30
	s_cbranch_execz .LBB174_80
; %bb.75:                               ;   in Loop: Header=BB174_4 Depth=1
	v_cmp_ngt_f32_e64 s7, 0x20000000, |v18|
	v_cmp_ngt_f32_e64 s8, 0x20000000, |v19|
                                        ; implicit-def: $vgpr9
	s_or_b32 s7, s8, s7
	s_delay_alu instid0(SALU_CYCLE_1) | instskip(NEXT) | instid1(SALU_CYCLE_1)
	s_and_saveexec_b32 s8, s7
	s_xor_b32 s7, exec_lo, s8
; %bb.76:                               ;   in Loop: Header=BB174_4 Depth=1
	v_pk_mul_f32 v[28:29], v[18:19], v[18:19]
	s_delay_alu instid0(VALU_DEP_1)
	v_add_f32_e32 v9, v29, v28
; %bb.77:                               ;   in Loop: Header=BB174_4 Depth=1
	s_and_not1_saveexec_b32 s7, s7
; %bb.78:                               ;   in Loop: Header=BB174_4 Depth=1
	v_pk_mul_f32 v[28:29], v[18:19], 4.0 op_sel_hi:[1,0]
	s_delay_alu instid0(VALU_DEP_1) | instskip(NEXT) | instid1(VALU_DEP_1)
	v_pk_mul_f32 v[28:29], v[28:29], v[28:29]
	v_add_f32_e32 v9, v29, v28
	s_delay_alu instid0(VALU_DEP_1)
	v_mul_f32_e32 v9, 0x3d800000, v9
; %bb.79:                               ;   in Loop: Header=BB174_4 Depth=1
	s_or_b32 exec_lo, exec_lo, s7
	s_delay_alu instid0(VALU_DEP_1) | instskip(SKIP_3) | instid1(VALU_DEP_2)
	v_cmp_gt_f32_e32 vcc_lo, 0x800000, v9
	v_mov_b32_e32 v35, 0x7fc00000
	v_cndmask_b32_e64 v14, 0, 32, vcc_lo
	v_cndmask_b32_e64 v18, 0, 0x41b17218, vcc_lo
	v_ldexp_f32 v9, v9, v14
	s_delay_alu instid0(VALU_DEP_1) | instskip(SKIP_1) | instid1(TRANS32_DEP_1)
	v_log_f32_e32 v9, v9
	v_nop
	v_mul_f32_e32 v14, 0x3f317217, v9
	v_cmp_gt_f32_e64 vcc_lo, 0x7f800000, |v9|
	s_delay_alu instid0(VALU_DEP_2) | instskip(NEXT) | instid1(VALU_DEP_1)
	v_fma_f32 v14, 0x3f317217, v9, -v14
	v_fmac_f32_e32 v14, 0x3377d1cf, v9
	s_delay_alu instid0(VALU_DEP_1) | instskip(NEXT) | instid1(VALU_DEP_1)
	v_fmac_f32_e32 v14, 0x3f317217, v9
	v_cndmask_b32_e32 v9, v9, v14, vcc_lo
	s_delay_alu instid0(VALU_DEP_1)
	v_sub_f32_e32 v14, v9, v18
.LBB174_80:                             ;   in Loop: Header=BB174_4 Depth=1
	s_or_b32 exec_lo, exec_lo, s6
                                        ; implicit-def: $vgpr18
                                        ; implicit-def: $vgpr36
	s_delay_alu instid0(SALU_CYCLE_1)
	s_mov_b32 s6, exec_lo
	v_cmpx_o_f32_e32 v13, v12
	s_xor_b32 s30, exec_lo, s6
	s_cbranch_execz .LBB174_108
; %bb.81:                               ;   in Loop: Header=BB174_4 Depth=1
	v_cmp_lt_f32_e64 s6, |v12|, |v13|
                                        ; implicit-def: $vgpr18
                                        ; implicit-def: $vgpr36
	s_mov_b32 s8, exec_lo
	v_cndmask_b32_e64 v9, v13, v12, s6
	s_delay_alu instid0(VALU_DEP_1)
	v_cmpx_nlt_f32_e64 0x77f684df, |v9|
	s_xor_b32 s31, exec_lo, s8
	s_cbranch_execz .LBB174_105
; %bb.82:                               ;   in Loop: Header=BB174_4 Depth=1
	v_cndmask_b32_e64 v18, v12, v13, s6
	v_and_b32_e32 v28, 0x7fffffff, v9
                                        ; implicit-def: $vgpr36
	s_mov_b32 s7, exec_lo
	s_delay_alu instid0(VALU_DEP_2) | instskip(NEXT) | instid1(VALU_DEP_1)
	v_and_b32_e32 v29, 0x7fffffff, v18
                                        ; implicit-def: $vgpr18
	v_cmpx_neq_f32_e32 1.0, v29
	s_xor_b32 s33, exec_lo, s7
	s_cbranch_execz .LBB174_98
; %bb.83:                               ;   in Loop: Header=BB174_4 Depth=1
	v_dual_max_num_f32 v9, v28, v28 :: v_dual_max_num_f32 v18, v29, v29
                                        ; implicit-def: $vgpr36
	s_delay_alu instid0(VALU_DEP_1) | instskip(NEXT) | instid1(VALU_DEP_1)
	v_dual_min_num_f32 v30, v18, v9 :: v_dual_max_num_f32 v9, v18, v9
                                        ; implicit-def: $vgpr18
	v_cmp_ngt_f32_e32 vcc_lo, 0x358637bd, v30
	s_delay_alu instid0(VALU_DEP_2) | instskip(SKIP_1) | instid1(SALU_CYCLE_1)
	v_cmp_nlt_f32_e64 s7, 0x49742400, v9
	s_and_b32 s7, s7, vcc_lo
	s_and_saveexec_b32 s8, s7
	s_delay_alu instid0(SALU_CYCLE_1)
	s_xor_b32 s34, exec_lo, s8
	s_cbranch_execz .LBB174_95
; %bb.84:                               ;   in Loop: Header=BB174_4 Depth=1
                                        ; implicit-def: $vgpr18
                                        ; implicit-def: $vgpr36
	s_mov_b32 s7, exec_lo
	v_cmpx_le_f32_e32 1.0, v29
	s_xor_b32 s8, exec_lo, s7
	s_cbranch_execz .LBB174_86
; %bb.85:                               ;   in Loop: Header=BB174_4 Depth=1
	v_pk_add_f32 v[30:31], v[28:29], v[6:7] op_sel:[1,0]
	v_mov_b32_e32 v32, v28
	v_cmp_class_f32_e64 s9, v12, 0x204
	s_delay_alu instid0(VALU_DEP_3) | instskip(SKIP_1) | instid1(VALU_DEP_1)
	v_dual_mov_b32 v29, v30 :: v_dual_mov_b32 v33, v31
	v_mul_f32_e32 v18, v30, v31
	v_pk_fma_f32 v[28:29], v[28:29], v[32:33], v[18:19] op_sel_hi:[1,1,0]
	s_delay_alu instid0(VALU_DEP_1) | instskip(SKIP_1) | instid1(VALU_DEP_2)
	v_add_f32_e32 v31, 1.0, v28
	v_cmp_neq_f32_e64 s7, -1.0, v28
	v_add_f32_e32 v29, -1.0, v31
	s_delay_alu instid0(VALU_DEP_1) | instskip(SKIP_2) | instid1(VALU_DEP_1)
	v_mov_b32_e32 v30, v29
	v_cvt_f64_f32_e32 v[32:33], v31
	v_frexp_mant_f32_e32 v18, v31
	v_cmp_gt_f32_e32 vcc_lo, 0x3f2aaaab, v18
	s_delay_alu instid0(VALU_DEP_3) | instskip(NEXT) | instid1(VALU_DEP_1)
	v_frexp_exp_i32_f64_e32 v9, v[32:33]
	v_subrev_co_ci_u32_e64 v9, null, 0, v9, vcc_lo
	v_cmp_neq_f32_e32 vcc_lo, 0x7f800000, v28
	s_delay_alu instid0(VALU_DEP_2) | instskip(SKIP_1) | instid1(VALU_DEP_2)
	v_sub_nc_u32_e32 v18, 0, v9
	v_pk_add_f32 v[32:33], v[28:29], v[30:31] neg_lo:[0,1] neg_hi:[0,1]
	v_ldexp_f32 v29, v31, v18
	s_delay_alu instid0(VALU_DEP_2) | instskip(NEXT) | instid1(VALU_DEP_2)
	v_add_f32_e32 v30, 1.0, v33
	v_add_f32_e32 v33, 1.0, v29
	s_delay_alu instid0(VALU_DEP_1) | instskip(SKIP_1) | instid1(VALU_DEP_2)
	v_dual_add_f32 v31, -1.0, v33 :: v_dual_add_f32 v30, v32, v30
	v_add_f32_e32 v37, -1.0, v29
	v_ldexp_f32 v18, v30, v18
	s_delay_alu instid0(VALU_DEP_2) | instskip(NEXT) | instid1(VALU_DEP_1)
	v_dual_sub_f32 v30, v29, v31 :: v_dual_add_f32 v31, 1.0, v37
	v_add_f32_e32 v30, v18, v30
	s_delay_alu instid0(VALU_DEP_1) | instskip(NEXT) | instid1(VALU_DEP_1)
	v_add_f32_e32 v38, v33, v30
	v_dual_sub_f32 v29, v29, v31 :: v_dual_sub_f32 v33, v38, v33
	s_delay_alu instid0(VALU_DEP_1) | instskip(SKIP_1) | instid1(VALU_DEP_1)
	v_add_f32_e32 v18, v18, v29
	v_rcp_f32_e32 v29, v38
	v_add_f32_e32 v31, v37, v18
	s_delay_alu instid0(TRANS32_DEP_1) | instid1(VALU_DEP_1)
	v_mul_f32_e32 v39, v31, v29
	s_delay_alu instid0(VALU_DEP_1) | instskip(SKIP_2) | instid1(VALU_DEP_1)
	v_mul_f32_e32 v32, v38, v39
	v_sub_f32_e32 v40, v30, v33
	v_sub_f32_e32 v41, v31, v37
	v_dual_fma_f32 v36, v39, v38, -v32 :: v_dual_sub_f32 v18, v18, v41
	s_delay_alu instid0(VALU_DEP_1) | instskip(NEXT) | instid1(VALU_DEP_1)
	v_fmac_f32_e32 v36, v39, v40
	v_add_f32_e32 v30, v32, v36
	s_delay_alu instid0(VALU_DEP_1) | instskip(NEXT) | instid1(VALU_DEP_1)
	v_dual_sub_f32 v33, v31, v30 :: v_dual_mov_b32 v37, v30
	v_pk_add_f32 v[30:31], v[30:31], v[32:33] neg_lo:[0,1] neg_hi:[0,1]
	s_delay_alu instid0(VALU_DEP_1) | instskip(NEXT) | instid1(VALU_DEP_1)
	v_pk_add_f32 v[30:31], v[30:31], v[36:37] neg_lo:[0,1] neg_hi:[0,1]
	v_add_f32_e32 v18, v18, v31
	s_delay_alu instid0(VALU_DEP_1) | instskip(NEXT) | instid1(VALU_DEP_1)
	v_add_f32_e32 v18, v30, v18
	v_add_f32_e32 v31, v33, v18
	s_delay_alu instid0(VALU_DEP_1) | instskip(NEXT) | instid1(VALU_DEP_1)
	v_mul_f32_e32 v41, v29, v31
	v_mul_f32_e32 v36, v38, v41
	s_delay_alu instid0(VALU_DEP_1) | instskip(SKIP_1) | instid1(VALU_DEP_1)
	v_fma_f32 v32, v41, v38, -v36
	v_sub_f32_e32 v38, v33, v31
	v_dual_fmac_f32 v32, v41, v40 :: v_dual_add_f32 v18, v18, v38
	s_delay_alu instid0(VALU_DEP_1) | instskip(NEXT) | instid1(VALU_DEP_1)
	v_dual_add_f32 v38, v39, v41 :: v_dual_add_f32 v30, v36, v32
	v_dual_sub_f32 v37, v31, v30 :: v_dual_mov_b32 v33, v30
	s_delay_alu instid0(VALU_DEP_1) | instskip(NEXT) | instid1(VALU_DEP_1)
	v_pk_add_f32 v[30:31], v[30:31], v[36:37] neg_lo:[0,1] neg_hi:[0,1]
	v_pk_add_f32 v[30:31], v[30:31], v[32:33] neg_lo:[0,1] neg_hi:[0,1]
	s_delay_alu instid0(VALU_DEP_1) | instskip(NEXT) | instid1(VALU_DEP_1)
	v_add_f32_e32 v18, v18, v31
	v_add_f32_e32 v18, v30, v18
	s_delay_alu instid0(VALU_DEP_1) | instskip(NEXT) | instid1(VALU_DEP_1)
	v_dual_sub_f32 v30, v38, v39 :: v_dual_add_f32 v18, v37, v18
	v_sub_f32_e32 v30, v41, v30
	s_delay_alu instid0(VALU_DEP_2) | instskip(NEXT) | instid1(VALU_DEP_1)
	v_mul_f32_e32 v18, v29, v18
	v_add_f32_e32 v18, v30, v18
	v_cvt_f32_i32_e32 v30, v9
	s_delay_alu instid0(VALU_DEP_2) | instskip(NEXT) | instid1(VALU_DEP_1)
	v_add_f32_e32 v29, v38, v18
	v_mul_f32_e32 v32, v29, v29
	v_ldexp_f32 v37, v29, 1
	s_delay_alu instid0(VALU_DEP_2) | instskip(SKIP_1) | instid1(VALU_DEP_2)
	v_fmaak_f32 v33, s28, v32, 0x3ecc95a3
	v_mul_f32_e32 v31, v29, v32
	v_fmaak_f32 v9, v32, v33, 0x3f2aaada
	s_delay_alu instid0(VALU_DEP_1) | instskip(NEXT) | instid1(VALU_DEP_1)
	v_pk_mul_f32 v[32:33], v[30:31], v[8:9]
	v_dual_sub_f32 v9, v29, v38 :: v_dual_mov_b32 v38, v32
	v_fma_f32 v36, 0x3f317218, v30, -v32
	s_delay_alu instid0(VALU_DEP_1) | instskip(NEXT) | instid1(VALU_DEP_1)
	v_dual_sub_f32 v9, v18, v9 :: v_dual_fmac_f32 v36, 0xb102e308, v30
	v_ldexp_f32 v9, v9, 1
	s_delay_alu instid0(VALU_DEP_2) | instskip(NEXT) | instid1(VALU_DEP_1)
	v_pk_add_f32 v[30:31], v[32:33], v[36:37]
	v_dual_sub_f32 v18, v31, v37 :: v_dual_mov_b32 v37, v30
	s_delay_alu instid0(VALU_DEP_1) | instskip(SKIP_1) | instid1(VALU_DEP_2)
	v_dual_mov_b32 v46, v31 :: v_dual_sub_f32 v18, v33, v18
	v_pk_add_f32 v[32:33], v[30:31], v[32:33] neg_lo:[0,1] neg_hi:[0,1]
	v_add_f32_e32 v39, v9, v18
	v_max_num_f32_e64 v9, |v13|, |v13|
	v_max_num_f32_e64 v18, |v12|, |v12|
	s_delay_alu instid0(VALU_DEP_3) | instskip(NEXT) | instid1(VALU_DEP_1)
	v_pk_add_f32 v[40:41], v[30:31], v[38:39]
	v_dual_max_num_f32 v29, v18, v9 :: v_dual_mov_b32 v33, v41
	s_delay_alu instid0(VALU_DEP_1) | instskip(SKIP_1) | instid1(VALU_DEP_3)
	v_frexp_exp_i32_f32_e32 v38, v29
	v_frexp_mant_f32_e32 v29, v29
	v_pk_add_f32 v[42:43], v[36:37], v[32:33]
	v_min_num_f32_e32 v9, v18, v9
	v_pk_add_f32 v[32:33], v[36:37], v[32:33] neg_lo:[0,1] neg_hi:[0,1]
	s_delay_alu instid0(VALU_DEP_4) | instskip(NEXT) | instid1(VALU_DEP_3)
	v_rcp_f32_e32 v29, v29
	v_mov_b32_e32 v18, v43
	s_delay_alu instid0(VALU_DEP_3) | instskip(SKIP_2) | instid1(VALU_DEP_4)
	v_frexp_exp_i32_f32_e32 v42, v9
	v_frexp_mant_f32_e32 v48, v9
	v_mov_b32_e32 v33, v43
	v_pk_add_f32 v[44:45], v[18:19], v[30:31] neg_lo:[0,1] neg_hi:[0,1]
	s_delay_alu instid0(VALU_DEP_4) | instskip(SKIP_1) | instid1(VALU_DEP_3)
	v_dual_mov_b32 v42, v41 :: v_dual_sub_nc_u32 v45, v42, v38
	v_dual_mov_b32 v31, v30 :: v_dual_mov_b32 v30, v39
	v_dual_mov_b32 v47, v44 :: v_dual_mov_b32 v9, v44
	s_delay_alu instid0(VALU_DEP_1) | instskip(NEXT) | instid1(VALU_DEP_2)
	v_pk_add_f32 v[36:37], v[42:43], v[46:47] neg_lo:[0,1] neg_hi:[0,1]
	v_pk_add_f32 v[38:39], v[40:41], v[8:9] neg_lo:[0,1] neg_hi:[0,1]
	v_mov_b32_e32 v38, v32
	s_delay_alu instid0(VALU_DEP_3) | instskip(NEXT) | instid1(VALU_DEP_1)
	v_pk_add_f32 v[30:31], v[30:31], v[36:37] neg_lo:[0,1] neg_hi:[0,1]
	v_pk_add_f32 v[36:37], v[38:39], v[30:31]
	s_delay_alu instid0(VALU_DEP_1) | instskip(NEXT) | instid1(VALU_DEP_1)
	v_dual_mul_f32 v29, v48, v29 :: v_dual_mov_b32 v38, v37
	v_ldexp_f32 v9, v29, v45
	s_delay_alu instid0(VALU_DEP_2) | instskip(NEXT) | instid1(VALU_DEP_2)
	v_pk_add_f32 v[38:39], v[36:37], v[38:39]
	v_mul_f32_e32 v29, v9, v9
	s_delay_alu instid0(VALU_DEP_2) | instskip(NEXT) | instid1(VALU_DEP_1)
	v_pk_add_f32 v[40:41], v[18:19], v[38:39]
	v_mov_b32_e32 v37, v40
	s_delay_alu instid0(VALU_DEP_1) | instskip(NEXT) | instid1(VALU_DEP_1)
	v_pk_add_f32 v[42:43], v[36:37], v[32:33] neg_lo:[0,1] neg_hi:[0,1]
	v_sub_f32_e32 v33, v36, v42
	s_delay_alu instid0(VALU_DEP_1) | instskip(SKIP_1) | instid1(VALU_DEP_1)
	v_sub_f32_e32 v32, v32, v33
	v_fmaak_f32 v31, s29, v29, 0xbc7a590c
	v_fmaak_f32 v31, v29, v31, 0x3d29fb3f
	s_delay_alu instid0(VALU_DEP_1) | instskip(NEXT) | instid1(VALU_DEP_1)
	v_dual_fmaak_f32 v18, v29, v31, 0xbd97d4d7 :: v_dual_mov_b32 v31, v38
	v_fmaak_f32 v18, v29, v18, 0x3dd931b2
	s_delay_alu instid0(VALU_DEP_2) | instskip(NEXT) | instid1(VALU_DEP_1)
	v_pk_add_f32 v[30:31], v[30:31], v[42:43] neg_lo:[0,1] neg_hi:[0,1]
	v_add_f32_e32 v30, v30, v32
	s_delay_alu instid0(VALU_DEP_3) | instskip(NEXT) | instid1(VALU_DEP_1)
	v_fmaak_f32 v18, v29, v18, 0xbe1160e6
	v_fmaak_f32 v18, v29, v18, 0x3e4cb8bf
	s_delay_alu instid0(VALU_DEP_1) | instskip(NEXT) | instid1(VALU_DEP_1)
	v_fmaak_f32 v18, v29, v18, 0xbeaaaa62
	v_dual_mul_f32 v18, v29, v18 :: v_dual_add_f32 v29, v30, v31
	s_delay_alu instid0(VALU_DEP_1) | instskip(NEXT) | instid1(VALU_DEP_1)
	v_dual_fmac_f32 v9, v9, v18 :: v_dual_add_f32 v18, v40, v29
	v_sub_f32_e32 v29, 0x3fc90fdb, v9
	s_delay_alu instid0(VALU_DEP_2) | instskip(SKIP_1) | instid1(VALU_DEP_3)
	v_cndmask_b32_e32 v18, 0x7f800000, v18, vcc_lo
	v_cmp_gt_i32_e32 vcc_lo, 0, v12
	v_cndmask_b32_e64 v9, v9, v29, s6
	v_cndmask_b32_e64 v29, 0, 0x40490fdb, vcc_lo
	v_cmp_ngt_f32_e32 vcc_lo, -1.0, v28
	s_delay_alu instid0(VALU_DEP_3) | instskip(SKIP_2) | instid1(VALU_DEP_2)
	v_sub_f32_e32 v30, 0x40490fdb, v9
	v_cndmask_b32_e32 v18, 0x7fc00000, v18, vcc_lo
	v_cmp_gt_f32_e32 vcc_lo, 0, v12
	v_cndmask_b32_e64 v12, 0xff800000, v18, s7
	s_delay_alu instid0(VALU_DEP_4)
	v_cndmask_b32_e32 v9, v9, v30, vcc_lo
	v_cndmask_b32_e32 v30, 0x3f490fdb, v34, vcc_lo
	v_cmp_gt_f32_e64 vcc_lo, 0x33800000, |v28|
	v_cmp_class_f32_e64 s7, v13, 0x204
	v_cndmask_b32_e32 v12, v12, v28, vcc_lo
	v_cmp_eq_f32_e32 vcc_lo, 0, v13
	s_delay_alu instid0(VALU_DEP_2) | instskip(SKIP_1) | instid1(VALU_DEP_1)
	v_dual_mul_f32 v18, 0.5, v12 :: v_dual_cndmask_b32 v9, v9, v29
	s_and_b32 vcc_lo, s7, s9
                                        ; implicit-def: $vgpr28_vgpr29
	v_cndmask_b32_e32 v36, v9, v30, vcc_lo
.LBB174_86:                             ;   in Loop: Header=BB174_4 Depth=1
	s_and_not1_saveexec_b32 s35, s8
	s_cbranch_execz .LBB174_94
; %bb.87:                               ;   in Loop: Header=BB174_4 Depth=1
	v_pk_mul_f32 v[30:31], v[28:29], v[28:29]
                                        ; implicit-def: $vgpr18
                                        ; implicit-def: $vgpr36
	s_mov_b32 s7, exec_lo
	s_delay_alu instid0(VALU_DEP_1) | instskip(NEXT) | instid1(VALU_DEP_1)
	v_add_f32_e32 v9, v31, v30
	v_cmpx_ge_f32_e32 0x3f333333, v9
	s_xor_b32 s8, exec_lo, s7
	s_cbranch_execz .LBB174_89
; %bb.88:                               ;   in Loop: Header=BB174_4 Depth=1
	v_max_num_f32_e64 v18, |v13|, |v13|
	v_max_num_f32_e64 v28, |v12|, |v12|
	v_cmp_gt_f32_e32 vcc_lo, 0x800000, v9
	v_cmp_gt_i32_e64 s7, 0, v12
	v_cmp_class_f32_e64 s9, v12, 0x204
	v_cmp_class_f32_e64 s10, v13, 0x204
	v_dual_max_num_f32 v29, v28, v18 :: v_dual_min_num_f32 v18, v28, v18
	v_cndmask_b32_e64 v31, 0, 0x41b17218, vcc_lo
	s_delay_alu instid0(VALU_DEP_2) | instskip(SKIP_1) | instid1(VALU_DEP_2)
	v_frexp_mant_f32_e32 v30, v29
	v_frexp_exp_i32_f32_e32 v28, v29
	v_rcp_f32_e32 v29, v30
	v_nop
	v_frexp_exp_i32_f32_e32 v30, v18
	v_frexp_mant_f32_e32 v18, v18
	s_delay_alu instid0(VALU_DEP_2)
	v_sub_nc_u32_e32 v28, v30, v28
	s_delay_alu instid0(TRANS32_DEP_1) | instid1(VALU_DEP_2)
	v_mul_f32_e32 v18, v18, v29
	v_cndmask_b32_e64 v30, 0, 32, vcc_lo
	s_delay_alu instid0(VALU_DEP_2) | instskip(NEXT) | instid1(VALU_DEP_2)
	v_ldexp_f32 v18, v18, v28
	v_ldexp_f32 v9, v9, v30
	s_delay_alu instid0(VALU_DEP_2) | instskip(NEXT) | instid1(VALU_DEP_2)
	v_mul_f32_e32 v28, v18, v18
	v_log_f32_e32 v9, v9
	s_delay_alu instid0(VALU_DEP_1) | instskip(NEXT) | instid1(TRANS32_DEP_1)
	v_fmaak_f32 v29, s29, v28, 0xbc7a590c
	v_cmp_gt_f32_e64 vcc_lo, 0x7f800000, |v9|
	s_delay_alu instid0(VALU_DEP_2) | instskip(NEXT) | instid1(VALU_DEP_1)
	v_fmaak_f32 v29, v28, v29, 0x3d29fb3f
	v_fmaak_f32 v29, v28, v29, 0xbd97d4d7
	s_delay_alu instid0(VALU_DEP_1) | instskip(NEXT) | instid1(VALU_DEP_1)
	v_fmaak_f32 v29, v28, v29, 0x3dd931b2
	v_fmaak_f32 v29, v28, v29, 0xbe1160e6
	s_delay_alu instid0(VALU_DEP_1) | instskip(NEXT) | instid1(VALU_DEP_1)
	;; [unrolled: 3-line block ×3, first 2 shown]
	v_mul_f32_e32 v28, v28, v29
	v_dual_mul_f32 v29, 0x3f317217, v9 :: v_dual_fmac_f32 v18, v18, v28
	s_delay_alu instid0(VALU_DEP_1) | instskip(NEXT) | instid1(VALU_DEP_2)
	v_fma_f32 v28, 0x3f317217, v9, -v29
	v_sub_f32_e32 v29, 0x3fc90fdb, v18
	s_delay_alu instid0(VALU_DEP_2) | instskip(NEXT) | instid1(VALU_DEP_2)
	v_fmac_f32_e32 v28, 0x3377d1cf, v9
	v_cndmask_b32_e64 v18, v18, v29, s6
	s_delay_alu instid0(VALU_DEP_2) | instskip(SKIP_2) | instid1(VALU_DEP_3)
	v_fmac_f32_e32 v28, 0x3f317217, v9
	v_cndmask_b32_e64 v29, 0, 0x40490fdb, s7
	v_cmp_eq_f32_e64 s7, 0, v13
	v_dual_sub_f32 v30, 0x40490fdb, v18 :: v_dual_cndmask_b32 v9, v9, v28
	v_cmp_gt_f32_e32 vcc_lo, 0, v12
	s_delay_alu instid0(VALU_DEP_2) | instskip(SKIP_2) | instid1(VALU_DEP_2)
	v_dual_sub_f32 v9, v9, v31 :: v_dual_cndmask_b32 v18, v18, v30
	v_cndmask_b32_e32 v28, 0x3f490fdb, v34, vcc_lo
	s_and_b32 vcc_lo, s10, s9
	v_cndmask_b32_e64 v12, v18, v29, s7
	s_delay_alu instid0(VALU_DEP_1)
	v_dual_mul_f32 v18, 0.5, v9 :: v_dual_cndmask_b32 v36, v12, v28, vcc_lo
                                        ; implicit-def: $vgpr28
.LBB174_89:                             ;   in Loop: Header=BB174_4 Depth=1
	s_and_not1_saveexec_b32 s36, s8
	s_cbranch_execz .LBB174_93
; %bb.90:                               ;   in Loop: Header=BB174_4 Depth=1
	v_and_b32_e32 v31, 0x7fff0000, v28
	v_and_b32_e32 v30, 0x7fff0000, v29
	s_mov_b32 s37, 0
	s_delay_alu instid0(VALU_DEP_1) | instskip(SKIP_2) | instid1(VALU_DEP_2)
	v_dual_add_f32 v40, v31, v31 :: v_dual_add_f32 v18, v30, v30
	v_pk_add_f32 v[32:33], v[28:29], v[30:31] op_sel:[1,0] op_sel_hi:[0,1] neg_lo:[0,1] neg_hi:[0,1]
	v_pk_mul_f32 v[28:29], v[30:31], v[30:31]
	v_and_b32_e32 v39, 0xffff0000, v33
	s_delay_alu instid0(VALU_DEP_3) | instskip(NEXT) | instid1(VALU_DEP_1)
	v_and_b32_e32 v38, 0xffff0000, v32
	v_dual_add_f32 v42, v39, v39 :: v_dual_add_f32 v41, v38, v38
	v_pk_add_f32 v[30:31], v[32:33], v[38:39] neg_lo:[0,1] neg_hi:[0,1]
	v_dual_mul_f32 v9, v18, v38 :: v_dual_mul_f32 v37, v40, v39
	v_pk_mul_f32 v[32:33], v[38:39], v[38:39]
	s_delay_alu instid0(VALU_DEP_3)
	v_dual_mul_f32 v36, v18, v30 :: v_dual_mul_f32 v39, v40, v31
	v_dual_mul_f32 v18, v41, v30 :: v_dual_mul_f32 v38, v42, v31
	v_pk_mul_f32 v[30:31], v[30:31], v[30:31]
.LBB174_91:                             ;   Parent Loop BB174_4 Depth=1
                                        ; =>  This Inner Loop Header: Depth=2
	v_cmp_nlt_f32_e32 vcc_lo, v28, v29
	v_dual_cndmask_b32 v40, v28, v29, vcc_lo :: v_dual_cndmask_b32 v28, v29, v28, vcc_lo
	s_delay_alu instid0(VALU_DEP_1) | instskip(NEXT) | instid1(VALU_DEP_1)
	v_cmp_nlt_f32_e64 s7, v40, v9
	v_dual_cndmask_b32 v41, v40, v9, s7 :: v_dual_cndmask_b32 v29, v9, v40, s7
	s_and_b32 s7, vcc_lo, s7
	s_delay_alu instid0(VALU_DEP_1) | instskip(NEXT) | instid1(VALU_DEP_1)
	v_cmp_nlt_f32_e64 s8, v41, v37
	v_cndmask_b32_e64 v42, v41, v37, s8
	v_cndmask_b32_e64 v9, v37, v41, s8
	s_delay_alu instid0(VALU_DEP_2) | instskip(NEXT) | instid1(VALU_DEP_1)
	v_cmp_nlt_f32_e64 s9, v42, v32
	v_cndmask_b32_e64 v40, v42, v32, s9
	s_and_b32 s38, s8, s9
	s_delay_alu instid0(VALU_DEP_1) | instskip(NEXT) | instid1(VALU_DEP_1)
	v_cmp_nlt_f32_e64 s10, v40, v33
	v_cndmask_b32_e64 v41, v40, v33, s10
	s_delay_alu instid0(VALU_DEP_1) | instskip(NEXT) | instid1(VALU_DEP_1)
	v_cmp_nlt_f32_e64 s11, v41, v36
	v_dual_cndmask_b32 v43, v41, v36, s11 :: v_dual_cndmask_b32 v37, v32, v42, s9
	v_cndmask_b32_e64 v32, v33, v40, s10
	s_and_b32 s10, s10, s11
	s_delay_alu instid0(VALU_DEP_2) | instskip(NEXT) | instid1(VALU_DEP_1)
	v_cmp_nlt_f32_e64 s12, v43, v39
	v_cndmask_b32_e64 v44, v43, v39, s12
	s_and_b32 s10, s10, s12
	s_delay_alu instid0(VALU_DEP_1) | instskip(SKIP_1) | instid1(VALU_DEP_2)
	v_cmp_nlt_f32_e64 s13, v44, v18
	v_dual_cndmask_b32 v33, v36, v41, s11 :: v_dual_cndmask_b32 v36, v39, v43, s12
	v_cndmask_b32_e64 v42, v44, v18, s13
	s_and_b32 s11, s10, s13
	v_cndmask_b32_e64 v39, v18, v44, s13
	s_delay_alu instid0(VALU_DEP_2) | instskip(NEXT) | instid1(VALU_DEP_1)
	v_cmp_nlt_f32_e64 s8, v42, v38
	v_cndmask_b32_e64 v40, v42, v38, s8
	s_delay_alu instid0(VALU_DEP_1) | instskip(NEXT) | instid1(VALU_DEP_1)
	v_cmp_nlt_f32_e64 s9, v40, v30
	v_cndmask_b32_e64 v41, v40, v30, s9
	v_cndmask_b32_e64 v18, v38, v42, s8
	;; [unrolled: 1-line block ×3, first 2 shown]
	s_and_b32 s8, s11, s8
	s_delay_alu instid0(SALU_CYCLE_1)
	s_and_b32 s8, s8, s9
	v_cmp_nlt_f32_e64 s10, v41, v31
	s_and_b32 s8, s8, s10
	v_cndmask_b32_e64 v30, v31, v41, s10
	s_and_b32 s8, s8, s38
	v_cndmask_b32_e64 v31, v41, v31, s10
	s_and_b32 s7, s8, s7
	s_delay_alu instid0(SALU_CYCLE_1) | instskip(NEXT) | instid1(SALU_CYCLE_1)
	s_and_b32 s7, exec_lo, s7
	s_or_b32 s37, s7, s37
	s_delay_alu instid0(SALU_CYCLE_1)
	s_and_not1_b32 exec_lo, exec_lo, s37
	s_cbranch_execnz .LBB174_91
; %bb.92:                               ;   in Loop: Header=BB174_4 Depth=1
	s_or_b32 exec_lo, exec_lo, s37
	v_add_f32_e32 v28, -1.0, v28
	v_cmp_class_f32_e64 s8, v12, 0x204
	s_delay_alu instid0(VALU_DEP_2) | instskip(NEXT) | instid1(VALU_DEP_1)
	v_add_f32_e32 v28, v28, v29
	v_add_f32_e32 v9, v28, v9
	s_delay_alu instid0(VALU_DEP_1) | instskip(NEXT) | instid1(VALU_DEP_1)
	v_add_f32_e32 v9, v9, v37
	v_add_f32_e32 v9, v9, v32
	s_delay_alu instid0(VALU_DEP_1) | instskip(NEXT) | instid1(VALU_DEP_1)
	;; [unrolled: 3-line block ×5, first 2 shown]
	v_add_f32_e32 v28, v31, v9
	v_add_f32_e32 v31, 1.0, v28
	s_delay_alu instid0(VALU_DEP_1) | instskip(SKIP_2) | instid1(VALU_DEP_2)
	v_cvt_f64_f32_e32 v[32:33], v31
	v_frexp_mant_f32_e32 v18, v31
	v_add_f32_e32 v29, -1.0, v31
	v_cmp_gt_f32_e32 vcc_lo, 0x3f2aaaab, v18
	s_delay_alu instid0(VALU_DEP_2) | instskip(SKIP_2) | instid1(VALU_DEP_3)
	v_mov_b32_e32 v30, v29
	v_cmp_neq_f32_e64 s7, -1.0, v28
	v_frexp_exp_i32_f64_e32 v9, v[32:33]
	v_pk_add_f32 v[32:33], v[28:29], v[30:31] neg_lo:[0,1] neg_hi:[0,1]
	s_delay_alu instid0(VALU_DEP_1) | instskip(NEXT) | instid1(VALU_DEP_1)
	v_add_f32_e32 v30, 1.0, v33
	v_add_f32_e32 v30, v32, v30
	s_delay_alu instid0(VALU_DEP_4) | instskip(SKIP_1) | instid1(VALU_DEP_2)
	v_subrev_co_ci_u32_e64 v9, null, 0, v9, vcc_lo
	v_cmp_neq_f32_e32 vcc_lo, 0x7f800000, v28
	v_sub_nc_u32_e32 v18, 0, v9
	s_delay_alu instid0(VALU_DEP_1) | instskip(SKIP_1) | instid1(VALU_DEP_2)
	v_ldexp_f32 v29, v31, v18
	v_ldexp_f32 v18, v30, v18
	v_dual_add_f32 v33, 1.0, v29 :: v_dual_add_f32 v37, -1.0, v29
	s_delay_alu instid0(VALU_DEP_1) | instskip(NEXT) | instid1(VALU_DEP_1)
	v_add_f32_e32 v31, -1.0, v33
	v_dual_sub_f32 v30, v29, v31 :: v_dual_add_f32 v31, 1.0, v37
	s_delay_alu instid0(VALU_DEP_1) | instskip(NEXT) | instid1(VALU_DEP_1)
	v_add_f32_e32 v30, v18, v30
	v_add_f32_e32 v38, v33, v30
	s_delay_alu instid0(VALU_DEP_1) | instskip(NEXT) | instid1(VALU_DEP_1)
	v_dual_sub_f32 v29, v29, v31 :: v_dual_sub_f32 v33, v38, v33
	v_add_f32_e32 v18, v18, v29
	v_rcp_f32_e32 v29, v38
	s_delay_alu instid0(VALU_DEP_1)
	v_add_f32_e32 v31, v37, v18
	s_delay_alu instid0(TRANS32_DEP_1) | instid1(VALU_DEP_1)
	v_mul_f32_e32 v39, v31, v29
	s_delay_alu instid0(VALU_DEP_1) | instskip(SKIP_2) | instid1(VALU_DEP_1)
	v_mul_f32_e32 v32, v38, v39
	v_sub_f32_e32 v40, v30, v33
	v_sub_f32_e32 v41, v31, v37
	v_dual_fma_f32 v36, v39, v38, -v32 :: v_dual_sub_f32 v18, v18, v41
	s_delay_alu instid0(VALU_DEP_1) | instskip(NEXT) | instid1(VALU_DEP_1)
	v_fmac_f32_e32 v36, v39, v40
	v_add_f32_e32 v30, v32, v36
	s_delay_alu instid0(VALU_DEP_1) | instskip(NEXT) | instid1(VALU_DEP_1)
	v_dual_sub_f32 v33, v31, v30 :: v_dual_mov_b32 v37, v30
	v_pk_add_f32 v[30:31], v[30:31], v[32:33] neg_lo:[0,1] neg_hi:[0,1]
	s_delay_alu instid0(VALU_DEP_1) | instskip(NEXT) | instid1(VALU_DEP_1)
	v_pk_add_f32 v[30:31], v[30:31], v[36:37] neg_lo:[0,1] neg_hi:[0,1]
	v_add_f32_e32 v18, v18, v31
	s_delay_alu instid0(VALU_DEP_1) | instskip(NEXT) | instid1(VALU_DEP_1)
	v_add_f32_e32 v18, v30, v18
	v_add_f32_e32 v31, v33, v18
	s_delay_alu instid0(VALU_DEP_1) | instskip(NEXT) | instid1(VALU_DEP_1)
	v_mul_f32_e32 v41, v29, v31
	v_mul_f32_e32 v36, v38, v41
	s_delay_alu instid0(VALU_DEP_1) | instskip(SKIP_1) | instid1(VALU_DEP_1)
	v_fma_f32 v32, v41, v38, -v36
	v_sub_f32_e32 v38, v33, v31
	v_dual_fmac_f32 v32, v41, v40 :: v_dual_add_f32 v18, v18, v38
	s_delay_alu instid0(VALU_DEP_1) | instskip(NEXT) | instid1(VALU_DEP_1)
	v_dual_add_f32 v38, v39, v41 :: v_dual_add_f32 v30, v36, v32
	v_dual_sub_f32 v37, v31, v30 :: v_dual_mov_b32 v33, v30
	s_delay_alu instid0(VALU_DEP_1) | instskip(NEXT) | instid1(VALU_DEP_1)
	v_pk_add_f32 v[30:31], v[30:31], v[36:37] neg_lo:[0,1] neg_hi:[0,1]
	v_pk_add_f32 v[30:31], v[30:31], v[32:33] neg_lo:[0,1] neg_hi:[0,1]
	s_delay_alu instid0(VALU_DEP_1) | instskip(NEXT) | instid1(VALU_DEP_1)
	v_add_f32_e32 v18, v18, v31
	v_add_f32_e32 v18, v30, v18
	s_delay_alu instid0(VALU_DEP_1) | instskip(NEXT) | instid1(VALU_DEP_1)
	v_dual_sub_f32 v30, v38, v39 :: v_dual_add_f32 v18, v37, v18
	v_sub_f32_e32 v30, v41, v30
	s_delay_alu instid0(VALU_DEP_2) | instskip(NEXT) | instid1(VALU_DEP_1)
	v_mul_f32_e32 v18, v29, v18
	v_add_f32_e32 v18, v30, v18
	v_cvt_f32_i32_e32 v30, v9
	s_delay_alu instid0(VALU_DEP_2) | instskip(NEXT) | instid1(VALU_DEP_1)
	v_add_f32_e32 v29, v38, v18
	v_mul_f32_e32 v32, v29, v29
	v_ldexp_f32 v37, v29, 1
	s_delay_alu instid0(VALU_DEP_2) | instskip(SKIP_1) | instid1(VALU_DEP_2)
	v_fmaak_f32 v33, s28, v32, 0x3ecc95a3
	v_mul_f32_e32 v31, v29, v32
	v_fmaak_f32 v9, v32, v33, 0x3f2aaada
	s_delay_alu instid0(VALU_DEP_1) | instskip(NEXT) | instid1(VALU_DEP_1)
	v_pk_mul_f32 v[32:33], v[30:31], v[8:9]
	v_dual_sub_f32 v9, v29, v38 :: v_dual_mov_b32 v38, v32
	v_fma_f32 v36, 0x3f317218, v30, -v32
	s_delay_alu instid0(VALU_DEP_1) | instskip(NEXT) | instid1(VALU_DEP_1)
	v_dual_sub_f32 v9, v18, v9 :: v_dual_fmac_f32 v36, 0xb102e308, v30
	v_ldexp_f32 v9, v9, 1
	s_delay_alu instid0(VALU_DEP_2) | instskip(NEXT) | instid1(VALU_DEP_1)
	v_pk_add_f32 v[30:31], v[32:33], v[36:37]
	v_dual_sub_f32 v18, v31, v37 :: v_dual_mov_b32 v37, v30
	s_delay_alu instid0(VALU_DEP_1) | instskip(SKIP_1) | instid1(VALU_DEP_2)
	v_dual_mov_b32 v46, v31 :: v_dual_sub_f32 v18, v33, v18
	v_pk_add_f32 v[32:33], v[30:31], v[32:33] neg_lo:[0,1] neg_hi:[0,1]
	v_add_f32_e32 v39, v9, v18
	v_max_num_f32_e64 v9, |v13|, |v13|
	v_max_num_f32_e64 v18, |v12|, |v12|
	s_delay_alu instid0(VALU_DEP_3) | instskip(NEXT) | instid1(VALU_DEP_1)
	v_pk_add_f32 v[40:41], v[30:31], v[38:39]
	v_dual_max_num_f32 v29, v18, v9 :: v_dual_mov_b32 v33, v41
	s_delay_alu instid0(VALU_DEP_1) | instskip(SKIP_1) | instid1(VALU_DEP_3)
	v_frexp_exp_i32_f32_e32 v38, v29
	v_frexp_mant_f32_e32 v29, v29
	v_pk_add_f32 v[42:43], v[36:37], v[32:33]
	v_min_num_f32_e32 v9, v18, v9
	v_pk_add_f32 v[32:33], v[36:37], v[32:33] neg_lo:[0,1] neg_hi:[0,1]
	s_delay_alu instid0(VALU_DEP_4) | instskip(NEXT) | instid1(VALU_DEP_3)
	v_rcp_f32_e32 v29, v29
	v_mov_b32_e32 v18, v43
	s_delay_alu instid0(VALU_DEP_3) | instskip(SKIP_2) | instid1(VALU_DEP_4)
	v_frexp_exp_i32_f32_e32 v42, v9
	v_frexp_mant_f32_e32 v48, v9
	v_mov_b32_e32 v33, v43
	v_pk_add_f32 v[44:45], v[18:19], v[30:31] neg_lo:[0,1] neg_hi:[0,1]
	s_delay_alu instid0(VALU_DEP_4) | instskip(SKIP_1) | instid1(VALU_DEP_3)
	v_dual_mov_b32 v42, v41 :: v_dual_sub_nc_u32 v45, v42, v38
	v_dual_mov_b32 v31, v30 :: v_dual_mov_b32 v30, v39
	v_dual_mov_b32 v47, v44 :: v_dual_mov_b32 v9, v44
	s_delay_alu instid0(VALU_DEP_1) | instskip(NEXT) | instid1(VALU_DEP_2)
	v_pk_add_f32 v[36:37], v[42:43], v[46:47] neg_lo:[0,1] neg_hi:[0,1]
	v_pk_add_f32 v[38:39], v[40:41], v[8:9] neg_lo:[0,1] neg_hi:[0,1]
	v_mov_b32_e32 v38, v32
	s_delay_alu instid0(VALU_DEP_3) | instskip(NEXT) | instid1(VALU_DEP_1)
	v_pk_add_f32 v[30:31], v[30:31], v[36:37] neg_lo:[0,1] neg_hi:[0,1]
	v_pk_add_f32 v[36:37], v[38:39], v[30:31]
	s_delay_alu instid0(VALU_DEP_1) | instskip(NEXT) | instid1(VALU_DEP_1)
	v_dual_mul_f32 v29, v48, v29 :: v_dual_mov_b32 v38, v37
	v_ldexp_f32 v9, v29, v45
	s_delay_alu instid0(VALU_DEP_2) | instskip(NEXT) | instid1(VALU_DEP_2)
	v_pk_add_f32 v[38:39], v[36:37], v[38:39]
	v_mul_f32_e32 v29, v9, v9
	s_delay_alu instid0(VALU_DEP_2) | instskip(NEXT) | instid1(VALU_DEP_1)
	v_pk_add_f32 v[40:41], v[18:19], v[38:39]
	v_mov_b32_e32 v37, v40
	s_delay_alu instid0(VALU_DEP_1) | instskip(NEXT) | instid1(VALU_DEP_1)
	v_pk_add_f32 v[42:43], v[36:37], v[32:33] neg_lo:[0,1] neg_hi:[0,1]
	v_sub_f32_e32 v33, v36, v42
	s_delay_alu instid0(VALU_DEP_1) | instskip(SKIP_1) | instid1(VALU_DEP_1)
	v_sub_f32_e32 v32, v32, v33
	v_fmaak_f32 v31, s29, v29, 0xbc7a590c
	v_fmaak_f32 v31, v29, v31, 0x3d29fb3f
	s_delay_alu instid0(VALU_DEP_1) | instskip(NEXT) | instid1(VALU_DEP_1)
	v_dual_fmaak_f32 v18, v29, v31, 0xbd97d4d7 :: v_dual_mov_b32 v31, v38
	v_fmaak_f32 v18, v29, v18, 0x3dd931b2
	s_delay_alu instid0(VALU_DEP_2) | instskip(NEXT) | instid1(VALU_DEP_1)
	v_pk_add_f32 v[30:31], v[30:31], v[42:43] neg_lo:[0,1] neg_hi:[0,1]
	v_add_f32_e32 v30, v30, v32
	s_delay_alu instid0(VALU_DEP_3) | instskip(NEXT) | instid1(VALU_DEP_1)
	v_fmaak_f32 v18, v29, v18, 0xbe1160e6
	v_fmaak_f32 v18, v29, v18, 0x3e4cb8bf
	s_delay_alu instid0(VALU_DEP_1) | instskip(NEXT) | instid1(VALU_DEP_1)
	v_fmaak_f32 v18, v29, v18, 0xbeaaaa62
	v_dual_mul_f32 v18, v29, v18 :: v_dual_add_f32 v29, v30, v31
	s_delay_alu instid0(VALU_DEP_1) | instskip(NEXT) | instid1(VALU_DEP_1)
	v_dual_fmac_f32 v9, v9, v18 :: v_dual_add_f32 v18, v40, v29
	v_sub_f32_e32 v29, 0x3fc90fdb, v9
	s_delay_alu instid0(VALU_DEP_2) | instskip(SKIP_1) | instid1(VALU_DEP_3)
	v_cndmask_b32_e32 v18, 0x7f800000, v18, vcc_lo
	v_cmp_gt_i32_e32 vcc_lo, 0, v12
	v_cndmask_b32_e64 v9, v9, v29, s6
	v_cndmask_b32_e64 v29, 0, 0x40490fdb, vcc_lo
	v_cmp_ngt_f32_e32 vcc_lo, -1.0, v28
	s_delay_alu instid0(VALU_DEP_3) | instskip(SKIP_2) | instid1(VALU_DEP_2)
	v_sub_f32_e32 v30, 0x40490fdb, v9
	v_cndmask_b32_e32 v18, 0x7fc00000, v18, vcc_lo
	v_cmp_gt_f32_e32 vcc_lo, 0, v12
	v_cndmask_b32_e64 v12, 0xff800000, v18, s7
	s_delay_alu instid0(VALU_DEP_4)
	v_cndmask_b32_e32 v9, v9, v30, vcc_lo
	v_cndmask_b32_e32 v30, 0x3f490fdb, v34, vcc_lo
	v_cmp_gt_f32_e64 vcc_lo, 0x33800000, |v28|
	v_cmp_class_f32_e64 s7, v13, 0x204
	v_cndmask_b32_e32 v12, v12, v28, vcc_lo
	v_cmp_eq_f32_e32 vcc_lo, 0, v13
	s_delay_alu instid0(VALU_DEP_2) | instskip(SKIP_1) | instid1(VALU_DEP_1)
	v_dual_mul_f32 v18, 0.5, v12 :: v_dual_cndmask_b32 v9, v9, v29
	s_and_b32 vcc_lo, s7, s8
	v_cndmask_b32_e32 v36, v9, v30, vcc_lo
.LBB174_93:                             ;   in Loop: Header=BB174_4 Depth=1
	s_or_b32 exec_lo, exec_lo, s36
.LBB174_94:                             ;   in Loop: Header=BB174_4 Depth=1
	s_delay_alu instid0(SALU_CYCLE_1)
	s_or_b32 exec_lo, exec_lo, s35
.LBB174_95:                             ;   in Loop: Header=BB174_4 Depth=1
	s_and_not1_saveexec_b32 s8, s34
	s_cbranch_execz .LBB174_97
; %bb.96:                               ;   in Loop: Header=BB174_4 Depth=1
	v_max_num_f32_e64 v9, |v13|, |v13|
	v_max_num_f32_e64 v18, |v12|, |v12|
	v_cmp_gt_i32_e64 s7, 0, v12
	v_cmp_class_f32_e64 s9, v12, 0x204
	v_cmp_class_f32_e64 s10, v13, 0x204
	s_delay_alu instid0(VALU_DEP_4) | instskip(NEXT) | instid1(VALU_DEP_1)
	v_dual_max_num_f32 v30, v18, v9 :: v_dual_min_num_f32 v9, v18, v9
	v_cvt_f64_f32_e32 v[28:29], v30
	v_frexp_exp_i32_f32_e32 v18, v30
	s_delay_alu instid0(VALU_DEP_3) | instskip(SKIP_4) | instid1(VALU_DEP_1)
	v_frexp_exp_i32_f32_e32 v31, v9
	v_frexp_mant_f32_e32 v9, v9
	v_cmp_neq_f32_e32 vcc_lo, 0x7f800000, v30
	v_frexp_exp_i32_f64_e32 v28, v[28:29]
	v_frexp_mant_f32_e32 v29, v30
	v_rcp_f32_e32 v29, v29
	v_nop
	s_delay_alu instid0(TRANS32_DEP_1) | instskip(NEXT) | instid1(VALU_DEP_1)
	v_dual_mul_f32 v9, v9, v29 :: v_dual_sub_nc_u32 v18, v31, v18
	v_ldexp_f32 v9, v9, v18
	s_delay_alu instid0(VALU_DEP_1) | instskip(NEXT) | instid1(VALU_DEP_1)
	v_dual_mul_f32 v29, v9, v9 :: v_dual_sub_nc_u32 v18, 0, v28
	v_ldexp_f32 v31, |v13|, v18
	s_delay_alu instid0(VALU_DEP_2) | instskip(SKIP_1) | instid1(VALU_DEP_2)
	v_fmaak_f32 v32, s29, v29, 0xbc7a590c
	v_ldexp_f32 v18, |v12|, v18
	v_dual_mul_f32 v31, v31, v31 :: v_dual_fmaak_f32 v32, v29, v32, 0x3d29fb3f
	s_delay_alu instid0(VALU_DEP_1) | instskip(NEXT) | instid1(VALU_DEP_1)
	v_dual_fmac_f32 v31, v18, v18 :: v_dual_fmaak_f32 v18, v29, v32, 0xbd97d4d7
	v_sqrt_f32_e32 v31, v31
	s_delay_alu instid0(VALU_DEP_1) | instskip(NEXT) | instid1(VALU_DEP_1)
	v_fmaak_f32 v18, v29, v18, 0x3dd931b2
	v_fmaak_f32 v18, v29, v18, 0xbe1160e6
	s_delay_alu instid0(TRANS32_DEP_1) | instskip(NEXT) | instid1(VALU_DEP_2)
	v_ldexp_f32 v28, v31, v28
	v_fmaak_f32 v18, v29, v18, 0x3e4cb8bf
	s_delay_alu instid0(VALU_DEP_1) | instskip(NEXT) | instid1(VALU_DEP_1)
	v_fmaak_f32 v18, v29, v18, 0xbeaaaa62
	v_mul_f32_e32 v18, v29, v18
	s_delay_alu instid0(VALU_DEP_1) | instskip(NEXT) | instid1(VALU_DEP_1)
	v_dual_cndmask_b32 v28, 0x7f800000, v28 :: v_dual_fmac_f32 v9, v9, v18
	v_cmp_gt_f32_e32 vcc_lo, 0x800000, v28
	s_delay_alu instid0(VALU_DEP_2) | instskip(SKIP_1) | instid1(VALU_DEP_1)
	v_sub_f32_e32 v29, 0x3fc90fdb, v9
	v_cndmask_b32_e64 v30, 0, 32, vcc_lo
	v_ldexp_f32 v28, v28, v30
	s_delay_alu instid0(VALU_DEP_1) | instskip(NEXT) | instid1(VALU_DEP_3)
	v_log_f32_e32 v28, v28
	v_cndmask_b32_e64 v9, v9, v29, s6
	v_cndmask_b32_e64 v29, 0, 0x40490fdb, s7
	v_cmp_gt_f32_e64 s7, 0, v12
	s_delay_alu instid0(VALU_DEP_3) | instskip(NEXT) | instid1(VALU_DEP_2)
	v_sub_f32_e32 v30, 0x40490fdb, v9
	v_cndmask_b32_e64 v12, 0x3f490fdb, v34, s7
	s_delay_alu instid0(VALU_DEP_2) | instskip(SKIP_3) | instid1(VALU_DEP_3)
	v_cndmask_b32_e64 v9, v9, v30, s7
	v_mul_f32_e32 v18, 0x3f317217, v28
	v_cndmask_b32_e64 v30, 0, 0x41b17218, vcc_lo
	v_cmp_gt_f32_e64 vcc_lo, 0x7f800000, |v28|
	v_fma_f32 v18, 0x3f317217, v28, -v18
	s_delay_alu instid0(VALU_DEP_1) | instskip(NEXT) | instid1(VALU_DEP_1)
	v_fmac_f32_e32 v18, 0x3377d1cf, v28
	v_fmac_f32_e32 v18, 0x3f317217, v28
	s_delay_alu instid0(VALU_DEP_1) | instskip(SKIP_1) | instid1(VALU_DEP_2)
	v_cndmask_b32_e32 v18, v28, v18, vcc_lo
	v_cmp_eq_f32_e32 vcc_lo, 0, v13
	v_dual_sub_f32 v18, v18, v30 :: v_dual_cndmask_b32 v9, v9, v29
	s_and_b32 vcc_lo, s10, s9
	s_delay_alu instid0(VALU_DEP_1)
	v_cndmask_b32_e32 v36, v9, v12, vcc_lo
.LBB174_97:                             ;   in Loop: Header=BB174_4 Depth=1
	s_or_b32 exec_lo, exec_lo, s8
                                        ; implicit-def: $vgpr28
.LBB174_98:                             ;   in Loop: Header=BB174_4 Depth=1
	s_and_not1_saveexec_b32 s8, s33
	s_cbranch_execz .LBB174_104
; %bb.99:                               ;   in Loop: Header=BB174_4 Depth=1
                                        ; implicit-def: $vgpr18
                                        ; implicit-def: $vgpr36
	s_mov_b32 s7, exec_lo
	v_cmpx_ngt_f32_e32 0x1fec1e4a, v28
	s_xor_b32 s9, exec_lo, s7
	s_cbranch_execz .LBB174_101
; %bb.100:                              ;   in Loop: Header=BB174_4 Depth=1
	v_pk_mul_f32 v[28:29], v[28:29], v[28:29]
	v_max_num_f32_e64 v42, |v12|, |v12|
	v_cmp_class_f32_e64 s10, v12, 0x204
	s_delay_alu instid0(VALU_DEP_3) | instskip(SKIP_1) | instid1(VALU_DEP_2)
	v_add_f32_e32 v31, 1.0, v28
	v_cmp_neq_f32_e64 s7, 0x7f800000, v28
	v_add_f32_e32 v29, -1.0, v31
	s_delay_alu instid0(VALU_DEP_1) | instskip(SKIP_2) | instid1(VALU_DEP_1)
	v_mov_b32_e32 v30, v29
	v_cvt_f64_f32_e32 v[32:33], v31
	v_frexp_mant_f32_e32 v18, v31
	v_cmp_gt_f32_e32 vcc_lo, 0x3f2aaaab, v18
	s_delay_alu instid0(VALU_DEP_3) | instskip(NEXT) | instid1(VALU_DEP_1)
	v_frexp_exp_i32_f64_e32 v9, v[32:33]
	v_subrev_co_ci_u32_e64 v9, null, 0, v9, vcc_lo
	v_cmp_gt_i32_e32 vcc_lo, 0, v12
	s_delay_alu instid0(VALU_DEP_2) | instskip(SKIP_1) | instid1(VALU_DEP_2)
	v_sub_nc_u32_e32 v18, 0, v9
	v_pk_add_f32 v[32:33], v[28:29], v[30:31] neg_lo:[0,1] neg_hi:[0,1]
	v_ldexp_f32 v29, v31, v18
	s_delay_alu instid0(VALU_DEP_2) | instskip(NEXT) | instid1(VALU_DEP_2)
	v_add_f32_e32 v30, 1.0, v33
	v_add_f32_e32 v33, 1.0, v29
	s_delay_alu instid0(VALU_DEP_1) | instskip(SKIP_1) | instid1(VALU_DEP_2)
	v_dual_add_f32 v31, -1.0, v33 :: v_dual_add_f32 v30, v32, v30
	v_add_f32_e32 v37, -1.0, v29
	v_ldexp_f32 v18, v30, v18
	s_delay_alu instid0(VALU_DEP_2) | instskip(NEXT) | instid1(VALU_DEP_1)
	v_dual_sub_f32 v30, v29, v31 :: v_dual_add_f32 v31, 1.0, v37
	v_add_f32_e32 v30, v18, v30
	s_delay_alu instid0(VALU_DEP_1) | instskip(NEXT) | instid1(VALU_DEP_1)
	v_add_f32_e32 v38, v33, v30
	v_sub_f32_e32 v33, v33, v38
	s_delay_alu instid0(VALU_DEP_1) | instskip(NEXT) | instid1(VALU_DEP_1)
	v_dual_sub_f32 v29, v29, v31 :: v_dual_add_f32 v40, v30, v33
	v_add_f32_e32 v18, v18, v29
	v_rcp_f32_e32 v29, v38
	s_delay_alu instid0(VALU_DEP_1)
	v_add_f32_e32 v31, v37, v18
	s_delay_alu instid0(TRANS32_DEP_1) | instid1(VALU_DEP_1)
	v_mul_f32_e32 v39, v31, v29
	s_delay_alu instid0(VALU_DEP_1) | instskip(NEXT) | instid1(VALU_DEP_1)
	v_mul_f32_e32 v32, v38, v39
	v_dual_sub_f32 v41, v37, v31 :: v_dual_fma_f32 v36, v39, v38, -v32
	s_delay_alu instid0(VALU_DEP_1) | instskip(NEXT) | instid1(VALU_DEP_1)
	v_dual_add_f32 v18, v18, v41 :: v_dual_fmac_f32 v36, v39, v40
	v_add_f32_e32 v30, v32, v36
	s_delay_alu instid0(VALU_DEP_1) | instskip(NEXT) | instid1(VALU_DEP_1)
	v_dual_sub_f32 v33, v31, v30 :: v_dual_mov_b32 v37, v30
	v_pk_add_f32 v[30:31], v[30:31], v[32:33] neg_lo:[0,1] neg_hi:[0,1]
	s_delay_alu instid0(VALU_DEP_1) | instskip(NEXT) | instid1(VALU_DEP_1)
	v_pk_add_f32 v[30:31], v[30:31], v[36:37] neg_lo:[0,1] neg_hi:[0,1]
	v_add_f32_e32 v18, v18, v31
	s_delay_alu instid0(VALU_DEP_1) | instskip(NEXT) | instid1(VALU_DEP_1)
	v_add_f32_e32 v18, v30, v18
	v_add_f32_e32 v31, v33, v18
	s_delay_alu instid0(VALU_DEP_1) | instskip(NEXT) | instid1(VALU_DEP_1)
	v_mul_f32_e32 v41, v29, v31
	v_mul_f32_e32 v36, v38, v41
	s_delay_alu instid0(VALU_DEP_1) | instskip(SKIP_1) | instid1(VALU_DEP_1)
	v_fma_f32 v32, v41, v38, -v36
	v_sub_f32_e32 v38, v33, v31
	v_dual_fmac_f32 v32, v41, v40 :: v_dual_add_f32 v18, v18, v38
	s_delay_alu instid0(VALU_DEP_1) | instskip(NEXT) | instid1(VALU_DEP_1)
	v_dual_add_f32 v38, v39, v41 :: v_dual_add_f32 v30, v36, v32
	v_dual_sub_f32 v37, v31, v30 :: v_dual_mov_b32 v33, v30
	s_delay_alu instid0(VALU_DEP_1) | instskip(NEXT) | instid1(VALU_DEP_1)
	v_pk_add_f32 v[30:31], v[30:31], v[36:37] neg_lo:[0,1] neg_hi:[0,1]
	v_pk_add_f32 v[30:31], v[30:31], v[32:33] neg_lo:[0,1] neg_hi:[0,1]
	s_delay_alu instid0(VALU_DEP_1) | instskip(NEXT) | instid1(VALU_DEP_1)
	v_add_f32_e32 v18, v18, v31
	v_add_f32_e32 v18, v30, v18
	s_delay_alu instid0(VALU_DEP_1) | instskip(NEXT) | instid1(VALU_DEP_1)
	v_dual_sub_f32 v30, v38, v39 :: v_dual_add_f32 v18, v37, v18
	v_sub_f32_e32 v30, v41, v30
	s_delay_alu instid0(VALU_DEP_2) | instskip(NEXT) | instid1(VALU_DEP_1)
	v_mul_f32_e32 v18, v29, v18
	v_add_f32_e32 v18, v30, v18
	v_cvt_f32_i32_e32 v30, v9
	s_delay_alu instid0(VALU_DEP_2) | instskip(NEXT) | instid1(VALU_DEP_1)
	v_add_f32_e32 v29, v38, v18
	v_mul_f32_e32 v32, v29, v29
	v_ldexp_f32 v37, v29, 1
	s_delay_alu instid0(VALU_DEP_2) | instskip(SKIP_1) | instid1(VALU_DEP_2)
	v_fmaak_f32 v33, s28, v32, 0x3ecc95a3
	v_mul_f32_e32 v31, v29, v32
	v_fmaak_f32 v9, v32, v33, 0x3f2aaada
	s_delay_alu instid0(VALU_DEP_1) | instskip(SKIP_2) | instid1(VALU_DEP_3)
	v_pk_mul_f32 v[32:33], v[30:31], v[8:9]
	v_sub_f32_e32 v9, v29, v38
	v_max_num_f32_e64 v29, |v13|, |v13|
	v_fma_f32 v36, 0x3f317218, v30, -v32
	s_delay_alu instid0(VALU_DEP_3) | instskip(NEXT) | instid1(VALU_DEP_2)
	v_dual_mov_b32 v38, v32 :: v_dual_sub_f32 v9, v18, v9
	v_fmac_f32_e32 v36, 0xb102e308, v30
	s_delay_alu instid0(VALU_DEP_2) | instskip(NEXT) | instid1(VALU_DEP_2)
	v_ldexp_f32 v9, v9, 1
	v_pk_add_f32 v[30:31], v[32:33], v[36:37]
	s_delay_alu instid0(VALU_DEP_1) | instskip(NEXT) | instid1(VALU_DEP_1)
	v_sub_f32_e32 v18, v31, v37
	v_sub_f32_e32 v18, v33, v18
	s_delay_alu instid0(VALU_DEP_3) | instskip(NEXT) | instid1(VALU_DEP_2)
	v_pk_add_f32 v[32:33], v[30:31], v[32:33] neg_lo:[0,1] neg_hi:[0,1]
	v_dual_add_f32 v39, v9, v18 :: v_dual_max_num_f32 v9, v42, v29
	v_min_num_f32_e32 v29, v42, v29
	s_delay_alu instid0(VALU_DEP_2) | instskip(SKIP_1) | instid1(VALU_DEP_4)
	v_pk_add_f32 v[40:41], v[30:31], v[38:39]
	v_mov_b32_e32 v37, v30
	v_frexp_mant_f32_e32 v18, v9
	v_frexp_exp_i32_f32_e32 v9, v9
	s_delay_alu instid0(VALU_DEP_4) | instskip(NEXT) | instid1(VALU_DEP_3)
	v_dual_mov_b32 v46, v31 :: v_dual_mov_b32 v33, v41
	v_rcp_f32_e32 v38, v18
	s_delay_alu instid0(VALU_DEP_1) | instskip(SKIP_1) | instid1(VALU_DEP_2)
	v_pk_add_f32 v[42:43], v[36:37], v[32:33]
	v_pk_add_f32 v[32:33], v[36:37], v[32:33] neg_lo:[0,1] neg_hi:[0,1]
	v_mov_b32_e32 v18, v43
	v_frexp_exp_i32_f32_e32 v42, v29
	v_frexp_mant_f32_e32 v29, v29
	s_delay_alu instid0(VALU_DEP_3) | instskip(NEXT) | instid1(VALU_DEP_2)
	v_pk_add_f32 v[44:45], v[18:19], v[30:31] neg_lo:[0,1] neg_hi:[0,1]
	v_dual_sub_nc_u32 v9, v42, v9 :: v_dual_mul_f32 v29, v29, v38
	v_dual_mov_b32 v42, v41 :: v_dual_mov_b32 v31, v30
	s_delay_alu instid0(VALU_DEP_3) | instskip(NEXT) | instid1(VALU_DEP_3)
	v_dual_mov_b32 v47, v44 :: v_dual_mov_b32 v30, v39
	v_ldexp_f32 v29, v29, v9
	v_mov_b32_e32 v9, v44
	s_delay_alu instid0(VALU_DEP_3) | instskip(NEXT) | instid1(VALU_DEP_3)
	v_pk_add_f32 v[36:37], v[42:43], v[46:47] neg_lo:[0,1] neg_hi:[0,1]
	v_mul_f32_e32 v44, v29, v29
	s_delay_alu instid0(VALU_DEP_3) | instskip(SKIP_1) | instid1(VALU_DEP_4)
	v_pk_add_f32 v[38:39], v[40:41], v[8:9] neg_lo:[0,1] neg_hi:[0,1]
	v_mov_b32_e32 v38, v32
	v_pk_add_f32 v[30:31], v[30:31], v[36:37] neg_lo:[0,1] neg_hi:[0,1]
	s_delay_alu instid0(VALU_DEP_1) | instskip(NEXT) | instid1(VALU_DEP_1)
	v_pk_add_f32 v[36:37], v[38:39], v[30:31]
	v_dual_fmaak_f32 v9, s29, v44, 0xbc7a590c :: v_dual_mov_b32 v38, v37
	s_delay_alu instid0(VALU_DEP_1) | instskip(NEXT) | instid1(VALU_DEP_2)
	v_fmaak_f32 v9, v44, v9, 0x3d29fb3f
	v_pk_add_f32 v[38:39], v[36:37], v[38:39]
	s_delay_alu instid0(VALU_DEP_2) | instskip(NEXT) | instid1(VALU_DEP_2)
	v_fmaak_f32 v9, v44, v9, 0xbd97d4d7
	v_pk_add_f32 v[40:41], v[18:19], v[38:39]
	s_delay_alu instid0(VALU_DEP_2) | instskip(NEXT) | instid1(VALU_DEP_2)
	v_fmaak_f32 v9, v44, v9, 0x3dd931b2
	v_dual_mov_b32 v33, v43 :: v_dual_mov_b32 v37, v40
	s_delay_alu instid0(VALU_DEP_2) | instskip(NEXT) | instid1(VALU_DEP_2)
	v_fmaak_f32 v9, v44, v9, 0xbe1160e6
	v_pk_add_f32 v[42:43], v[36:37], v[32:33] neg_lo:[0,1] neg_hi:[0,1]
	s_delay_alu instid0(VALU_DEP_2) | instskip(NEXT) | instid1(VALU_DEP_2)
	v_fmaak_f32 v9, v44, v9, 0x3e4cb8bf
	v_dual_mov_b32 v31, v38 :: v_dual_sub_f32 v18, v36, v42
	s_delay_alu instid0(VALU_DEP_2) | instskip(NEXT) | instid1(VALU_DEP_2)
	v_fmaak_f32 v9, v44, v9, 0xbeaaaa62
	v_pk_add_f32 v[30:31], v[30:31], v[42:43] neg_lo:[0,1] neg_hi:[0,1]
	s_delay_alu instid0(VALU_DEP_2) | instskip(NEXT) | instid1(VALU_DEP_1)
	v_mul_f32_e32 v9, v44, v9
	v_dual_sub_f32 v18, v32, v18 :: v_dual_fmac_f32 v29, v29, v9
	s_delay_alu instid0(VALU_DEP_1) | instskip(NEXT) | instid1(VALU_DEP_1)
	v_dual_add_f32 v9, v30, v18 :: v_dual_sub_f32 v18, 0x3fc90fdb, v29
	v_cndmask_b32_e64 v18, v29, v18, s6
	s_delay_alu instid0(VALU_DEP_2) | instskip(SKIP_2) | instid1(VALU_DEP_3)
	v_add_f32_e32 v9, v9, v31
	v_cndmask_b32_e64 v29, 0, 0x40490fdb, vcc_lo
	v_cmp_gt_f32_e32 vcc_lo, 0, v12
	v_dual_sub_f32 v30, 0x40490fdb, v18 :: v_dual_add_f32 v9, v40, v9
	s_delay_alu instid0(VALU_DEP_1) | instskip(SKIP_1) | instid1(VALU_DEP_3)
	v_cndmask_b32_e32 v12, v18, v30, vcc_lo
	v_cndmask_b32_e32 v30, 0x3f490fdb, v34, vcc_lo
	v_cndmask_b32_e64 v9, 0x7f800000, v9, s7
	v_cmp_gt_f32_e64 vcc_lo, 0x33800000, |v28|
	v_cmp_class_f32_e64 s7, v13, 0x204
	s_delay_alu instid0(VALU_DEP_3)
	v_cndmask_b32_e32 v9, v9, v28, vcc_lo
	v_cmp_eq_f32_e32 vcc_lo, 0, v13
                                        ; implicit-def: $vgpr28
	v_cndmask_b32_e32 v12, v12, v29, vcc_lo
	s_and_b32 vcc_lo, s7, s10
	s_delay_alu instid0(VALU_DEP_1) | instid1(SALU_CYCLE_1)
	v_dual_mul_f32 v18, 0.5, v9 :: v_dual_cndmask_b32 v36, v12, v30, vcc_lo
.LBB174_101:                            ;   in Loop: Header=BB174_4 Depth=1
	s_and_not1_saveexec_b32 s9, s9
	s_cbranch_execz .LBB174_103
; %bb.102:                              ;   in Loop: Header=BB174_4 Depth=1
	v_max_num_f32_e64 v9, |v13|, |v13|
	v_max_num_f32_e64 v18, |v12|, |v12|
	v_cmp_eq_f32_e64 s7, 0, v13
	v_cmp_gt_i32_e32 vcc_lo, 0, v12
	v_cmp_class_f32_e64 s10, v12, 0x204
	v_cmp_class_f32_e64 s11, v13, 0x204
	v_dual_max_num_f32 v29, v18, v9 :: v_dual_min_num_f32 v9, v18, v9
	s_delay_alu instid0(VALU_DEP_1) | instskip(SKIP_1) | instid1(VALU_DEP_2)
	v_frexp_mant_f32_e32 v30, v29
	v_frexp_exp_i32_f32_e32 v18, v29
	v_rcp_f32_e32 v29, v30
	v_nop
	v_frexp_exp_i32_f32_e32 v30, v9
	v_frexp_mant_f32_e32 v9, v9
	s_delay_alu instid0(TRANS32_DEP_1) | instid1(VALU_DEP_1)
	v_dual_mul_f32 v9, v9, v29 :: v_dual_sub_nc_u32 v18, v30, v18
	s_delay_alu instid0(VALU_DEP_1) | instskip(NEXT) | instid1(VALU_DEP_1)
	v_ldexp_f32 v9, v9, v18
	v_mul_f32_e32 v18, v9, v9
	s_delay_alu instid0(VALU_DEP_1) | instskip(NEXT) | instid1(VALU_DEP_1)
	v_fmaak_f32 v29, s29, v18, 0xbc7a590c
	v_fmaak_f32 v29, v18, v29, 0x3d29fb3f
	s_delay_alu instid0(VALU_DEP_1) | instskip(NEXT) | instid1(VALU_DEP_1)
	v_fmaak_f32 v29, v18, v29, 0xbd97d4d7
	v_fmaak_f32 v29, v18, v29, 0x3dd931b2
	;; [unrolled: 3-line block ×3, first 2 shown]
	s_delay_alu instid0(VALU_DEP_1) | instskip(NEXT) | instid1(VALU_DEP_1)
	v_fmaak_f32 v29, v18, v29, 0xbeaaaa62
	v_mul_f32_e32 v18, v18, v29
	v_cndmask_b32_e64 v29, 0, 0x40490fdb, vcc_lo
	v_cmp_gt_f32_e32 vcc_lo, 0, v12
	s_delay_alu instid0(VALU_DEP_3) | instskip(SKIP_1) | instid1(VALU_DEP_2)
	v_fmac_f32_e32 v9, v9, v18
	v_cndmask_b32_e32 v12, 0x3f490fdb, v34, vcc_lo
	v_sub_f32_e32 v18, 0x3fc90fdb, v9
	s_delay_alu instid0(VALU_DEP_1) | instskip(NEXT) | instid1(VALU_DEP_1)
	v_cndmask_b32_e64 v9, v9, v18, s6
	v_sub_f32_e32 v18, 0x40490fdb, v9
	s_delay_alu instid0(VALU_DEP_1) | instskip(SKIP_1) | instid1(VALU_DEP_1)
	v_dual_cndmask_b32 v9, v9, v18 :: v_dual_mul_f32 v18, 0.5, v28
	s_and_b32 vcc_lo, s11, s10
	v_dual_cndmask_b32 v9, v9, v29, s7 :: v_dual_mul_f32 v18, v28, v18
	s_delay_alu instid0(VALU_DEP_1)
	v_cndmask_b32_e32 v36, v9, v12, vcc_lo
.LBB174_103:                            ;   in Loop: Header=BB174_4 Depth=1
	s_or_b32 exec_lo, exec_lo, s9
.LBB174_104:                            ;   in Loop: Header=BB174_4 Depth=1
	s_delay_alu instid0(SALU_CYCLE_1)
	s_or_b32 exec_lo, exec_lo, s8
.LBB174_105:                            ;   in Loop: Header=BB174_4 Depth=1
	s_and_not1_saveexec_b32 s8, s31
	s_cbranch_execz .LBB174_107
; %bb.106:                              ;   in Loop: Header=BB174_4 Depth=1
	v_div_scale_f32 v9, null, 0x402df854, 0x402df854, v12
	v_div_scale_f32 v18, null, 0x402df854, 0x402df854, v13
	v_div_scale_f32 v32, vcc_lo, v12, 0x402df854, v12
	s_delay_alu instid0(VALU_DEP_3) | instskip(NEXT) | instid1(VALU_DEP_2)
	v_rcp_f32_e32 v28, v9
	v_rcp_f32_e32 v29, v18
	v_cmp_class_f32_e64 s9, v13, 0x204
	s_delay_alu instid0(TRANS32_DEP_2) | instskip(NEXT) | instid1(TRANS32_DEP_1)
	v_fma_f32 v30, -v9, v28, 1.0
	v_fma_f32 v31, -v18, v29, 1.0
	s_delay_alu instid0(VALU_DEP_1) | instskip(SKIP_1) | instid1(VALU_DEP_1)
	v_dual_fmac_f32 v28, v30, v28 :: v_dual_fmac_f32 v29, v31, v29
	v_div_scale_f32 v30, s7, v13, 0x402df854, v13
	v_dual_mul_f32 v31, v32, v28 :: v_dual_mul_f32 v33, v30, v29
	s_delay_alu instid0(VALU_DEP_1) | instskip(NEXT) | instid1(VALU_DEP_1)
	v_dual_fma_f32 v36, -v9, v31, v32 :: v_dual_fma_f32 v37, -v18, v33, v30
	v_dual_fmac_f32 v31, v36, v28 :: v_dual_fmac_f32 v33, v37, v29
	s_delay_alu instid0(VALU_DEP_1) | instskip(NEXT) | instid1(VALU_DEP_1)
	v_dual_fma_f32 v9, -v9, v31, v32 :: v_dual_fma_f32 v18, -v18, v33, v30
	v_div_fmas_f32 v9, v9, v28, v31
	s_mov_b32 vcc_lo, s7
	v_max_num_f32_e64 v31, |v12|, |v12|
	s_delay_alu instid0(VALU_DEP_3) | instskip(SKIP_2) | instid1(VALU_DEP_3)
	v_div_fmas_f32 v18, v18, v29, v33
	v_cmp_class_f32_e64 s7, v12, 0x204
	v_div_fixup_f32 v9, v9, 0x402df854, v12
	v_div_fixup_f32 v18, v18, 0x402df854, v13
	s_delay_alu instid0(VALU_DEP_1) | instskip(NEXT) | instid1(VALU_DEP_1)
	v_max_num_f32_e64 v30, |v9|, |v18|
	v_cvt_f64_f32_e32 v[28:29], v30
	v_cmp_neq_f32_e32 vcc_lo, 0x7f800000, v30
	s_delay_alu instid0(VALU_DEP_2) | instskip(SKIP_1) | instid1(VALU_DEP_1)
	v_frexp_exp_i32_f64_e32 v28, v[28:29]
	v_max_num_f32_e64 v29, |v13|, |v13|
	v_dual_max_num_f32 v32, v31, v29 :: v_dual_min_num_f32 v29, v31, v29
	s_delay_alu instid0(VALU_DEP_1) | instskip(SKIP_1) | instid1(VALU_DEP_2)
	v_frexp_mant_f32_e32 v33, v32
	v_frexp_exp_i32_f32_e32 v31, v32
	v_rcp_f32_e32 v32, v33
	v_nop
	v_frexp_exp_i32_f32_e32 v33, v29
	v_frexp_mant_f32_e32 v29, v29
	s_delay_alu instid0(VALU_DEP_2)
	v_sub_nc_u32_e32 v31, v33, v31
	s_delay_alu instid0(TRANS32_DEP_1) | instid1(VALU_DEP_2)
	v_mul_f32_e32 v29, v29, v32
	v_sub_nc_u32_e32 v32, 0, v28
	s_delay_alu instid0(VALU_DEP_1) | instskip(SKIP_1) | instid1(VALU_DEP_2)
	v_ldexp_f32 v18, |v18|, v32
	v_ldexp_f32 v9, |v9|, v32
	v_mul_f32_e32 v18, v18, v18
	v_ldexp_f32 v29, v29, v31
	s_delay_alu instid0(VALU_DEP_2) | instskip(NEXT) | instid1(VALU_DEP_1)
	v_fmac_f32_e32 v18, v9, v9
	v_sqrt_f32_e32 v18, v18
	v_nop
	s_delay_alu instid0(TRANS32_DEP_1) | instskip(NEXT) | instid1(VALU_DEP_1)
	v_ldexp_f32 v18, v18, v28
	v_dual_mul_f32 v31, v29, v29 :: v_dual_cndmask_b32 v18, 0x7f800000, v18
	s_delay_alu instid0(VALU_DEP_1) | instskip(NEXT) | instid1(VALU_DEP_2)
	v_fmaak_f32 v32, s29, v31, 0xbc7a590c
	v_cmp_gt_f32_e32 vcc_lo, 0x800000, v18
	s_delay_alu instid0(VALU_DEP_2) | instskip(SKIP_1) | instid1(VALU_DEP_2)
	v_fmaak_f32 v9, v31, v32, 0x3d29fb3f
	v_cndmask_b32_e64 v28, 0, 32, vcc_lo
	v_fmaak_f32 v9, v31, v9, 0xbd97d4d7
	s_delay_alu instid0(VALU_DEP_2) | instskip(NEXT) | instid1(VALU_DEP_2)
	v_ldexp_f32 v18, v18, v28
	v_fmaak_f32 v9, v31, v9, 0x3dd931b2
	s_delay_alu instid0(VALU_DEP_2) | instskip(NEXT) | instid1(VALU_DEP_1)
	v_log_f32_e32 v18, v18
	v_fmaak_f32 v9, v31, v9, 0xbe1160e6
	s_delay_alu instid0(VALU_DEP_1) | instskip(NEXT) | instid1(VALU_DEP_1)
	v_fmaak_f32 v9, v31, v9, 0x3e4cb8bf
	v_fmaak_f32 v9, v31, v9, 0xbeaaaa62
	s_delay_alu instid0(TRANS32_DEP_1) | instid1(VALU_DEP_1)
	v_dual_mul_f32 v9, v31, v9 :: v_dual_mul_f32 v28, 0x3f317217, v18
	v_cndmask_b32_e64 v31, 0, 0x41b17218, vcc_lo
	v_cmp_gt_f32_e64 vcc_lo, 0x7f800000, |v18|
	s_delay_alu instid0(VALU_DEP_3) | instskip(NEXT) | instid1(VALU_DEP_4)
	v_fmac_f32_e32 v29, v29, v9
	v_fma_f32 v9, 0x3f317217, v18, -v28
	s_delay_alu instid0(VALU_DEP_1) | instskip(NEXT) | instid1(VALU_DEP_1)
	v_fmac_f32_e32 v9, 0x3377d1cf, v18
	v_fmac_f32_e32 v9, 0x3f317217, v18
	s_delay_alu instid0(VALU_DEP_1) | instskip(SKIP_2) | instid1(VALU_DEP_3)
	v_cndmask_b32_e32 v9, v18, v9, vcc_lo
	v_sub_f32_e32 v28, 0x3fc90fdb, v29
	v_cmp_eq_f32_e32 vcc_lo, 0, v13
	v_sub_f32_e32 v9, v9, v31
	s_delay_alu instid0(VALU_DEP_3) | instskip(SKIP_1) | instid1(VALU_DEP_3)
	v_cndmask_b32_e64 v28, v29, v28, s6
	v_cmp_gt_i32_e64 s6, 0, v12
	v_add_f32_e32 v18, 1.0, v9
	s_delay_alu instid0(VALU_DEP_3) | instskip(NEXT) | instid1(VALU_DEP_3)
	v_sub_f32_e32 v30, 0x40490fdb, v28
	v_cndmask_b32_e64 v29, 0, 0x40490fdb, s6
	v_cmp_gt_f32_e64 s6, 0, v12
	s_delay_alu instid0(VALU_DEP_1) | instskip(SKIP_1) | instid1(VALU_DEP_2)
	v_cndmask_b32_e64 v12, v28, v30, s6
	v_cndmask_b32_e64 v28, 0x3f490fdb, v34, s6
	v_cndmask_b32_e32 v12, v12, v29, vcc_lo
	s_and_b32 vcc_lo, s9, s7
	s_delay_alu instid0(VALU_DEP_1)
	v_cndmask_b32_e32 v36, v12, v28, vcc_lo
.LBB174_107:                            ;   in Loop: Header=BB174_4 Depth=1
	s_or_b32 exec_lo, exec_lo, s8
.LBB174_108:                            ;   in Loop: Header=BB174_4 Depth=1
	s_and_not1_saveexec_b32 s6, s30
	s_cbranch_execz .LBB174_114
; %bb.109:                              ;   in Loop: Header=BB174_4 Depth=1
	v_cmp_ngt_f32_e64 s7, 0x20000000, |v12|
	v_cmp_ngt_f32_e64 s8, 0x20000000, |v13|
                                        ; implicit-def: $vgpr9
	s_or_b32 s7, s8, s7
	s_delay_alu instid0(SALU_CYCLE_1) | instskip(NEXT) | instid1(SALU_CYCLE_1)
	s_and_saveexec_b32 s8, s7
	s_xor_b32 s7, exec_lo, s8
; %bb.110:                              ;   in Loop: Header=BB174_4 Depth=1
	v_pk_mul_f32 v[28:29], v[12:13], v[12:13]
	s_delay_alu instid0(VALU_DEP_1)
	v_add_f32_e32 v9, v29, v28
; %bb.111:                              ;   in Loop: Header=BB174_4 Depth=1
	s_and_not1_saveexec_b32 s7, s7
; %bb.112:                              ;   in Loop: Header=BB174_4 Depth=1
	v_pk_mul_f32 v[28:29], v[12:13], 4.0 op_sel_hi:[1,0]
	s_delay_alu instid0(VALU_DEP_1) | instskip(NEXT) | instid1(VALU_DEP_1)
	v_pk_mul_f32 v[28:29], v[28:29], v[28:29]
	v_add_f32_e32 v9, v29, v28
	s_delay_alu instid0(VALU_DEP_1)
	v_mul_f32_e32 v9, 0x3d800000, v9
; %bb.113:                              ;   in Loop: Header=BB174_4 Depth=1
	s_or_b32 exec_lo, exec_lo, s7
	s_delay_alu instid0(VALU_DEP_1) | instskip(SKIP_3) | instid1(VALU_DEP_2)
	v_cmp_gt_f32_e32 vcc_lo, 0x800000, v9
	v_mov_b32_e32 v36, 0x7fc00000
	v_cndmask_b32_e64 v12, 0, 32, vcc_lo
	v_cndmask_b32_e64 v18, 0, 0x41b17218, vcc_lo
	v_ldexp_f32 v9, v9, v12
	s_delay_alu instid0(VALU_DEP_1) | instskip(SKIP_1) | instid1(TRANS32_DEP_1)
	v_log_f32_e32 v9, v9
	v_nop
	v_mul_f32_e32 v12, 0x3f317217, v9
	v_cmp_gt_f32_e64 vcc_lo, 0x7f800000, |v9|
	s_delay_alu instid0(VALU_DEP_2) | instskip(NEXT) | instid1(VALU_DEP_1)
	v_fma_f32 v12, 0x3f317217, v9, -v12
	v_fmac_f32_e32 v12, 0x3377d1cf, v9
	s_delay_alu instid0(VALU_DEP_1) | instskip(NEXT) | instid1(VALU_DEP_1)
	v_fmac_f32_e32 v12, 0x3f317217, v9
	v_cndmask_b32_e32 v9, v9, v12, vcc_lo
	s_delay_alu instid0(VALU_DEP_1)
	v_sub_f32_e32 v18, v9, v18
.LBB174_114:                            ;   in Loop: Header=BB174_4 Depth=1
	s_or_b32 exec_lo, exec_lo, s6
                                        ; implicit-def: $vgpr12
                                        ; implicit-def: $vgpr9
	s_delay_alu instid0(SALU_CYCLE_1)
	s_mov_b32 s6, exec_lo
	v_cmpx_o_f32_e32 v25, v24
	s_xor_b32 s30, exec_lo, s6
	s_cbranch_execnz .LBB174_120
; %bb.115:                              ;   in Loop: Header=BB174_4 Depth=1
	s_and_not1_saveexec_b32 s6, s30
	s_cbranch_execnz .LBB174_147
.LBB174_116:                            ;   in Loop: Header=BB174_4 Depth=1
	s_or_b32 exec_lo, exec_lo, s6
	s_and_saveexec_b32 s6, s2
	s_delay_alu instid0(SALU_CYCLE_1)
	s_xor_b32 s2, exec_lo, s6
	s_cbranch_execnz .LBB174_152
.LBB174_117:                            ;   in Loop: Header=BB174_4 Depth=1
	s_or_b32 exec_lo, exec_lo, s2
	s_and_saveexec_b32 s2, s3
	s_cbranch_execnz .LBB174_153
.LBB174_118:                            ;   in Loop: Header=BB174_4 Depth=1
	s_or_b32 exec_lo, exec_lo, s2
	s_and_saveexec_b32 s2, s4
	s_cbranch_execnz .LBB174_154
.LBB174_119:                            ;   in Loop: Header=BB174_4 Depth=1
	s_or_b32 exec_lo, exec_lo, s2
	s_and_saveexec_b32 s2, s5
	s_cbranch_execz .LBB174_3
	s_branch .LBB174_155
.LBB174_120:                            ;   in Loop: Header=BB174_4 Depth=1
	v_cmp_lt_f32_e64 s6, |v24|, |v25|
                                        ; implicit-def: $vgpr12
                                        ; implicit-def: $vgpr9
	s_mov_b32 s8, exec_lo
	v_cndmask_b32_e64 v28, v25, v24, s6
	s_delay_alu instid0(VALU_DEP_1)
	v_cmpx_nlt_f32_e64 0x77f684df, |v28|
	s_xor_b32 s31, exec_lo, s8
	s_cbranch_execz .LBB174_144
; %bb.121:                              ;   in Loop: Header=BB174_4 Depth=1
	v_cndmask_b32_e64 v9, v24, v25, s6
	v_and_b32_e32 v28, 0x7fffffff, v28
                                        ; implicit-def: $vgpr12
	s_mov_b32 s7, exec_lo
	s_delay_alu instid0(VALU_DEP_2) | instskip(NEXT) | instid1(VALU_DEP_1)
	v_and_b32_e32 v29, 0x7fffffff, v9
                                        ; implicit-def: $vgpr9
	v_cmpx_neq_f32_e32 1.0, v29
	s_xor_b32 s33, exec_lo, s7
	s_cbranch_execz .LBB174_137
; %bb.122:                              ;   in Loop: Header=BB174_4 Depth=1
	v_dual_max_num_f32 v9, v28, v28 :: v_dual_max_num_f32 v12, v29, v29
	s_delay_alu instid0(VALU_DEP_1) | instskip(NEXT) | instid1(VALU_DEP_1)
	v_dual_min_num_f32 v30, v12, v9 :: v_dual_max_num_f32 v9, v12, v9
                                        ; implicit-def: $vgpr12
	v_cmp_ngt_f32_e32 vcc_lo, 0x358637bd, v30
	s_delay_alu instid0(VALU_DEP_2) | instskip(SKIP_1) | instid1(SALU_CYCLE_1)
	v_cmp_nlt_f32_e64 s7, 0x49742400, v9
                                        ; implicit-def: $vgpr9
	s_and_b32 s7, s7, vcc_lo
	s_and_saveexec_b32 s8, s7
	s_delay_alu instid0(SALU_CYCLE_1)
	s_xor_b32 s34, exec_lo, s8
	s_cbranch_execz .LBB174_134
; %bb.123:                              ;   in Loop: Header=BB174_4 Depth=1
                                        ; implicit-def: $vgpr12
                                        ; implicit-def: $vgpr9
	s_mov_b32 s7, exec_lo
	v_cmpx_le_f32_e32 1.0, v29
	s_xor_b32 s8, exec_lo, s7
	s_cbranch_execz .LBB174_125
; %bb.124:                              ;   in Loop: Header=BB174_4 Depth=1
	v_pk_add_f32 v[30:31], v[28:29], v[6:7] op_sel:[1,0]
	v_mov_b32_e32 v32, v28
	v_cmp_class_f32_e64 s9, v24, 0x204
	s_delay_alu instid0(VALU_DEP_3) | instskip(SKIP_1) | instid1(VALU_DEP_1)
	v_dual_mov_b32 v29, v30 :: v_dual_mov_b32 v33, v31
	v_mul_f32_e32 v12, v30, v31
	v_pk_fma_f32 v[28:29], v[28:29], v[32:33], v[12:13] op_sel_hi:[1,1,0]
	s_delay_alu instid0(VALU_DEP_1) | instskip(SKIP_1) | instid1(VALU_DEP_2)
	v_add_f32_e32 v31, 1.0, v28
	v_cmp_neq_f32_e64 s7, -1.0, v28
	v_add_f32_e32 v29, -1.0, v31
	s_delay_alu instid0(VALU_DEP_1) | instskip(SKIP_2) | instid1(VALU_DEP_1)
	v_mov_b32_e32 v30, v29
	v_cvt_f64_f32_e32 v[32:33], v31
	v_frexp_mant_f32_e32 v12, v31
	v_cmp_gt_f32_e32 vcc_lo, 0x3f2aaaab, v12
	s_delay_alu instid0(VALU_DEP_3) | instskip(NEXT) | instid1(VALU_DEP_1)
	v_frexp_exp_i32_f64_e32 v9, v[32:33]
	v_subrev_co_ci_u32_e64 v9, null, 0, v9, vcc_lo
	v_cmp_neq_f32_e32 vcc_lo, 0x7f800000, v28
	s_delay_alu instid0(VALU_DEP_2) | instskip(SKIP_1) | instid1(VALU_DEP_2)
	v_sub_nc_u32_e32 v12, 0, v9
	v_pk_add_f32 v[32:33], v[28:29], v[30:31] neg_lo:[0,1] neg_hi:[0,1]
	v_ldexp_f32 v29, v31, v12
	s_delay_alu instid0(VALU_DEP_2) | instskip(NEXT) | instid1(VALU_DEP_2)
	v_add_f32_e32 v30, 1.0, v33
	v_add_f32_e32 v33, 1.0, v29
	s_delay_alu instid0(VALU_DEP_1) | instskip(SKIP_1) | instid1(VALU_DEP_2)
	v_dual_add_f32 v31, -1.0, v33 :: v_dual_add_f32 v30, v32, v30
	v_add_f32_e32 v37, -1.0, v29
	v_ldexp_f32 v12, v30, v12
	s_delay_alu instid0(VALU_DEP_2) | instskip(NEXT) | instid1(VALU_DEP_1)
	v_dual_sub_f32 v30, v29, v31 :: v_dual_add_f32 v31, 1.0, v37
	v_add_f32_e32 v30, v12, v30
	s_delay_alu instid0(VALU_DEP_1) | instskip(NEXT) | instid1(VALU_DEP_1)
	v_add_f32_e32 v40, v33, v30
	v_dual_sub_f32 v29, v29, v31 :: v_dual_sub_f32 v33, v40, v33
	s_delay_alu instid0(VALU_DEP_1) | instskip(SKIP_1) | instid1(VALU_DEP_1)
	v_add_f32_e32 v12, v12, v29
	v_rcp_f32_e32 v29, v40
	v_add_f32_e32 v31, v37, v12
	s_delay_alu instid0(TRANS32_DEP_1) | instid1(VALU_DEP_1)
	v_mul_f32_e32 v41, v31, v29
	s_delay_alu instid0(VALU_DEP_1) | instskip(SKIP_1) | instid1(VALU_DEP_2)
	v_mul_f32_e32 v32, v40, v41
	v_sub_f32_e32 v42, v30, v33
	v_dual_sub_f32 v37, v31, v37 :: v_dual_fma_f32 v38, v41, v40, -v32
	s_delay_alu instid0(VALU_DEP_1) | instskip(NEXT) | instid1(VALU_DEP_1)
	v_dual_sub_f32 v12, v12, v37 :: v_dual_fmac_f32 v38, v41, v42
	v_add_f32_e32 v30, v32, v38
	s_delay_alu instid0(VALU_DEP_1) | instskip(NEXT) | instid1(VALU_DEP_1)
	v_dual_sub_f32 v33, v31, v30 :: v_dual_mov_b32 v39, v30
	v_pk_add_f32 v[30:31], v[30:31], v[32:33] neg_lo:[0,1] neg_hi:[0,1]
	s_delay_alu instid0(VALU_DEP_1) | instskip(NEXT) | instid1(VALU_DEP_1)
	v_pk_add_f32 v[30:31], v[30:31], v[38:39] neg_lo:[0,1] neg_hi:[0,1]
	v_add_f32_e32 v12, v12, v31
	s_delay_alu instid0(VALU_DEP_1) | instskip(NEXT) | instid1(VALU_DEP_1)
	v_add_f32_e32 v12, v30, v12
	v_add_f32_e32 v31, v33, v12
	s_delay_alu instid0(VALU_DEP_1) | instskip(NEXT) | instid1(VALU_DEP_1)
	v_mul_f32_e32 v37, v29, v31
	v_mul_f32_e32 v38, v40, v37
	s_delay_alu instid0(VALU_DEP_1) | instskip(SKIP_1) | instid1(VALU_DEP_1)
	v_fma_f32 v32, v37, v40, -v38
	v_sub_f32_e32 v40, v33, v31
	v_dual_fmac_f32 v32, v37, v42 :: v_dual_add_f32 v12, v12, v40
	s_delay_alu instid0(VALU_DEP_1) | instskip(NEXT) | instid1(VALU_DEP_1)
	v_dual_add_f32 v40, v41, v37 :: v_dual_add_f32 v30, v38, v32
	v_dual_mov_b32 v33, v30 :: v_dual_sub_f32 v39, v31, v30
	s_delay_alu instid0(VALU_DEP_1) | instskip(NEXT) | instid1(VALU_DEP_1)
	v_pk_add_f32 v[30:31], v[30:31], v[38:39] neg_lo:[0,1] neg_hi:[0,1]
	v_pk_add_f32 v[30:31], v[30:31], v[32:33] neg_lo:[0,1] neg_hi:[0,1]
	s_delay_alu instid0(VALU_DEP_1) | instskip(NEXT) | instid1(VALU_DEP_1)
	v_add_f32_e32 v12, v12, v31
	v_dual_add_f32 v12, v30, v12 :: v_dual_sub_f32 v30, v40, v41
	s_delay_alu instid0(VALU_DEP_1) | instskip(NEXT) | instid1(VALU_DEP_1)
	v_dual_add_f32 v12, v39, v12 :: v_dual_sub_f32 v30, v37, v30
	v_mul_f32_e32 v12, v29, v12
	s_delay_alu instid0(VALU_DEP_1) | instskip(SKIP_1) | instid1(VALU_DEP_2)
	v_add_f32_e32 v12, v30, v12
	v_cvt_f32_i32_e32 v30, v9
	v_add_f32_e32 v29, v40, v12
	s_delay_alu instid0(VALU_DEP_1) | instskip(SKIP_1) | instid1(VALU_DEP_2)
	v_mul_f32_e32 v32, v29, v29
	v_ldexp_f32 v39, v29, 1
	v_fmaak_f32 v33, s28, v32, 0x3ecc95a3
	v_mul_f32_e32 v31, v29, v32
	s_delay_alu instid0(VALU_DEP_2) | instskip(NEXT) | instid1(VALU_DEP_1)
	v_fmaak_f32 v9, v32, v33, 0x3f2aaada
	v_pk_mul_f32 v[32:33], v[30:31], v[8:9]
	s_delay_alu instid0(VALU_DEP_1) | instskip(SKIP_1) | instid1(VALU_DEP_1)
	v_dual_sub_f32 v9, v29, v40 :: v_dual_mov_b32 v40, v32
	v_fma_f32 v38, 0x3f317218, v30, -v32
	v_dual_sub_f32 v9, v12, v9 :: v_dual_fmac_f32 v38, 0xb102e308, v30
	s_delay_alu instid0(VALU_DEP_1) | instskip(NEXT) | instid1(VALU_DEP_1)
	v_pk_add_f32 v[30:31], v[32:33], v[38:39]
	v_dual_sub_f32 v12, v31, v39 :: v_dual_mov_b32 v39, v30
	s_delay_alu instid0(VALU_DEP_1) | instskip(NEXT) | instid1(VALU_DEP_4)
	v_dual_mov_b32 v48, v31 :: v_dual_sub_f32 v12, v33, v12
	v_ldexp_f32 v9, v9, 1
	v_pk_add_f32 v[32:33], v[30:31], v[32:33] neg_lo:[0,1] neg_hi:[0,1]
	s_delay_alu instid0(VALU_DEP_2) | instskip(SKIP_2) | instid1(VALU_DEP_3)
	v_add_f32_e32 v41, v9, v12
	v_max_num_f32_e64 v9, |v25|, |v25|
	v_max_num_f32_e64 v12, |v24|, |v24|
	v_pk_add_f32 v[42:43], v[30:31], v[40:41]
	s_delay_alu instid0(VALU_DEP_1) | instskip(NEXT) | instid1(VALU_DEP_1)
	v_dual_max_num_f32 v29, v12, v9 :: v_dual_mov_b32 v33, v43
	v_frexp_exp_i32_f32_e32 v37, v29
	v_frexp_mant_f32_e32 v29, v29
	s_delay_alu instid0(VALU_DEP_3) | instskip(SKIP_2) | instid1(VALU_DEP_4)
	v_pk_add_f32 v[44:45], v[38:39], v[32:33]
	v_min_num_f32_e32 v9, v12, v9
	v_pk_add_f32 v[32:33], v[38:39], v[32:33] neg_lo:[0,1] neg_hi:[0,1]
	v_rcp_f32_e32 v29, v29
	s_delay_alu instid0(VALU_DEP_3) | instskip(NEXT) | instid1(VALU_DEP_3)
	v_mov_b32_e32 v12, v45
	v_frexp_exp_i32_f32_e32 v40, v9
	v_frexp_mant_f32_e32 v50, v9
	v_mov_b32_e32 v33, v45
	s_delay_alu instid0(VALU_DEP_4) | instskip(NEXT) | instid1(VALU_DEP_4)
	v_pk_add_f32 v[46:47], v[12:13], v[30:31] neg_lo:[0,1] neg_hi:[0,1]
	v_dual_mov_b32 v44, v43 :: v_dual_sub_nc_u32 v37, v40, v37
	v_dual_mov_b32 v31, v30 :: v_dual_mov_b32 v30, v41
	s_delay_alu instid0(VALU_DEP_3) | instskip(NEXT) | instid1(VALU_DEP_1)
	v_dual_mov_b32 v49, v46 :: v_dual_mov_b32 v9, v46
	v_pk_add_f32 v[38:39], v[44:45], v[48:49] neg_lo:[0,1] neg_hi:[0,1]
	s_delay_alu instid0(VALU_DEP_2) | instskip(SKIP_1) | instid1(VALU_DEP_3)
	v_pk_add_f32 v[40:41], v[42:43], v[8:9] neg_lo:[0,1] neg_hi:[0,1]
	v_mov_b32_e32 v40, v32
	v_pk_add_f32 v[30:31], v[30:31], v[38:39] neg_lo:[0,1] neg_hi:[0,1]
	s_delay_alu instid0(VALU_DEP_1) | instskip(NEXT) | instid1(VALU_DEP_1)
	v_pk_add_f32 v[38:39], v[40:41], v[30:31]
	v_dual_mul_f32 v29, v50, v29 :: v_dual_mov_b32 v40, v39
	s_delay_alu instid0(VALU_DEP_1) | instskip(NEXT) | instid1(VALU_DEP_2)
	v_ldexp_f32 v9, v29, v37
	v_pk_add_f32 v[40:41], v[38:39], v[40:41]
	s_delay_alu instid0(VALU_DEP_1) | instskip(NEXT) | instid1(VALU_DEP_1)
	v_pk_add_f32 v[42:43], v[12:13], v[40:41]
	v_dual_mul_f32 v29, v9, v9 :: v_dual_mov_b32 v39, v42
	s_delay_alu instid0(VALU_DEP_1) | instskip(NEXT) | instid1(VALU_DEP_1)
	v_pk_add_f32 v[44:45], v[38:39], v[32:33] neg_lo:[0,1] neg_hi:[0,1]
	v_sub_f32_e32 v33, v38, v44
	s_delay_alu instid0(VALU_DEP_1) | instskip(NEXT) | instid1(VALU_DEP_4)
	v_sub_f32_e32 v32, v32, v33
	v_fmaak_f32 v31, s29, v29, 0xbc7a590c
	s_delay_alu instid0(VALU_DEP_1) | instskip(NEXT) | instid1(VALU_DEP_1)
	v_fmaak_f32 v31, v29, v31, 0x3d29fb3f
	v_dual_fmaak_f32 v12, v29, v31, 0xbd97d4d7 :: v_dual_mov_b32 v31, v40
	s_delay_alu instid0(VALU_DEP_1) | instskip(NEXT) | instid1(VALU_DEP_2)
	v_fmaak_f32 v12, v29, v12, 0x3dd931b2
	v_pk_add_f32 v[30:31], v[30:31], v[44:45] neg_lo:[0,1] neg_hi:[0,1]
	s_delay_alu instid0(VALU_DEP_2) | instskip(NEXT) | instid1(VALU_DEP_1)
	v_fmaak_f32 v12, v29, v12, 0xbe1160e6
	v_fmaak_f32 v12, v29, v12, 0x3e4cb8bf
	s_delay_alu instid0(VALU_DEP_1) | instskip(NEXT) | instid1(VALU_DEP_1)
	v_fmaak_f32 v12, v29, v12, 0xbeaaaa62
	v_mul_f32_e32 v12, v29, v12
	s_delay_alu instid0(VALU_DEP_1) | instskip(SKIP_1) | instid1(VALU_DEP_1)
	v_fmac_f32_e32 v9, v9, v12
	v_add_f32_e32 v30, v30, v32
	v_add_f32_e32 v29, v30, v31
	s_delay_alu instid0(VALU_DEP_1) | instskip(NEXT) | instid1(VALU_DEP_4)
	v_add_f32_e32 v12, v42, v29
	v_sub_f32_e32 v29, 0x3fc90fdb, v9
	s_delay_alu instid0(VALU_DEP_2) | instskip(SKIP_1) | instid1(VALU_DEP_3)
	v_cndmask_b32_e32 v12, 0x7f800000, v12, vcc_lo
	v_cmp_gt_i32_e32 vcc_lo, 0, v24
	v_cndmask_b32_e64 v9, v9, v29, s6
	v_cndmask_b32_e64 v29, 0, 0x40490fdb, vcc_lo
	v_cmp_ngt_f32_e32 vcc_lo, -1.0, v28
	v_cndmask_b32_e32 v12, 0x7fc00000, v12, vcc_lo
	v_cmp_gt_f32_e32 vcc_lo, 0, v24
	s_delay_alu instid0(VALU_DEP_2) | instskip(SKIP_3) | instid1(VALU_DEP_2)
	v_cndmask_b32_e64 v12, 0xff800000, v12, s7
	v_cndmask_b32_e32 v24, 0x3f490fdb, v34, vcc_lo
	v_sub_f32_e32 v30, 0x40490fdb, v9
	v_cmp_class_f32_e64 s7, v25, 0x204
	v_cndmask_b32_e32 v9, v9, v30, vcc_lo
	v_cmp_gt_f32_e64 vcc_lo, 0x33800000, |v28|
	v_cndmask_b32_e32 v12, v12, v28, vcc_lo
	v_cmp_eq_f32_e32 vcc_lo, 0, v25
	s_delay_alu instid0(VALU_DEP_2) | instskip(SKIP_1) | instid1(VALU_DEP_1)
	v_dual_mul_f32 v12, 0.5, v12 :: v_dual_cndmask_b32 v9, v9, v29
	s_and_b32 vcc_lo, s7, s9
                                        ; implicit-def: $vgpr28_vgpr29
	v_cndmask_b32_e32 v9, v9, v24, vcc_lo
.LBB174_125:                            ;   in Loop: Header=BB174_4 Depth=1
	s_and_not1_saveexec_b32 s35, s8
	s_cbranch_execz .LBB174_133
; %bb.126:                              ;   in Loop: Header=BB174_4 Depth=1
	v_pk_mul_f32 v[30:31], v[28:29], v[28:29]
                                        ; implicit-def: $vgpr12
                                        ; implicit-def: $vgpr9
	s_mov_b32 s7, exec_lo
	s_delay_alu instid0(VALU_DEP_1) | instskip(NEXT) | instid1(VALU_DEP_1)
	v_add_f32_e32 v30, v31, v30
	v_cmpx_ge_f32_e32 0x3f333333, v30
	s_xor_b32 s8, exec_lo, s7
	s_cbranch_execz .LBB174_128
; %bb.127:                              ;   in Loop: Header=BB174_4 Depth=1
	v_max_num_f32_e64 v9, |v25|, |v25|
	v_max_num_f32_e64 v12, |v24|, |v24|
	v_cmp_gt_f32_e32 vcc_lo, 0x800000, v30
	v_cmp_gt_i32_e64 s7, 0, v24
	v_cmp_class_f32_e64 s9, v24, 0x204
	v_cmp_class_f32_e64 s10, v25, 0x204
	v_dual_max_num_f32 v28, v12, v9 :: v_dual_min_num_f32 v9, v12, v9
	v_cndmask_b32_e64 v31, 0, 0x41b17218, vcc_lo
	s_delay_alu instid0(VALU_DEP_2) | instskip(SKIP_1) | instid1(VALU_DEP_2)
	v_frexp_mant_f32_e32 v29, v28
	v_frexp_exp_i32_f32_e32 v12, v28
	v_rcp_f32_e32 v28, v29
	v_nop
	v_frexp_exp_i32_f32_e32 v29, v9
	v_frexp_mant_f32_e32 v9, v9
	s_delay_alu instid0(VALU_DEP_2)
	v_sub_nc_u32_e32 v12, v29, v12
	s_delay_alu instid0(TRANS32_DEP_1) | instid1(VALU_DEP_2)
	v_mul_f32_e32 v9, v9, v28
	v_cndmask_b32_e64 v29, 0, 32, vcc_lo
	s_delay_alu instid0(VALU_DEP_2) | instskip(NEXT) | instid1(VALU_DEP_2)
	v_ldexp_f32 v9, v9, v12
	v_ldexp_f32 v29, v30, v29
	s_delay_alu instid0(VALU_DEP_2) | instskip(NEXT) | instid1(VALU_DEP_2)
	v_mul_f32_e32 v12, v9, v9
	v_log_f32_e32 v29, v29
	s_delay_alu instid0(VALU_DEP_1) | instskip(NEXT) | instid1(TRANS32_DEP_1)
	v_fmaak_f32 v28, s29, v12, 0xbc7a590c
	v_cmp_gt_f32_e64 vcc_lo, 0x7f800000, |v29|
	s_delay_alu instid0(VALU_DEP_2) | instskip(NEXT) | instid1(VALU_DEP_1)
	v_fmaak_f32 v28, v12, v28, 0x3d29fb3f
	v_fmaak_f32 v28, v12, v28, 0xbd97d4d7
	s_delay_alu instid0(VALU_DEP_1) | instskip(NEXT) | instid1(VALU_DEP_1)
	v_fmaak_f32 v28, v12, v28, 0x3dd931b2
	v_fmaak_f32 v28, v12, v28, 0xbe1160e6
	s_delay_alu instid0(VALU_DEP_1) | instskip(NEXT) | instid1(VALU_DEP_1)
	;; [unrolled: 3-line block ×3, first 2 shown]
	v_mul_f32_e32 v12, v12, v28
	v_dual_mul_f32 v28, 0x3f317217, v29 :: v_dual_fmac_f32 v9, v9, v12
	s_delay_alu instid0(VALU_DEP_1) | instskip(NEXT) | instid1(VALU_DEP_2)
	v_fma_f32 v12, 0x3f317217, v29, -v28
	v_sub_f32_e32 v28, 0x3fc90fdb, v9
	s_delay_alu instid0(VALU_DEP_2) | instskip(NEXT) | instid1(VALU_DEP_2)
	v_fmac_f32_e32 v12, 0x3377d1cf, v29
	v_cndmask_b32_e64 v9, v9, v28, s6
	s_delay_alu instid0(VALU_DEP_2) | instskip(SKIP_2) | instid1(VALU_DEP_4)
	v_fmac_f32_e32 v12, 0x3f317217, v29
	v_cndmask_b32_e64 v28, 0, 0x40490fdb, s7
	v_cmp_eq_f32_e64 s7, 0, v25
	v_sub_f32_e32 v30, 0x40490fdb, v9
	s_delay_alu instid0(VALU_DEP_4) | instskip(SKIP_1) | instid1(VALU_DEP_2)
	v_cndmask_b32_e32 v12, v29, v12, vcc_lo
	v_cmp_gt_f32_e32 vcc_lo, 0, v24
	v_dual_sub_f32 v12, v12, v31 :: v_dual_cndmask_b32 v9, v9, v30
	v_cndmask_b32_e32 v24, 0x3f490fdb, v34, vcc_lo
	s_and_b32 vcc_lo, s10, s9
	s_delay_alu instid0(VALU_DEP_2) | instskip(NEXT) | instid1(VALU_DEP_3)
	v_mul_f32_e32 v12, 0.5, v12
	v_cndmask_b32_e64 v9, v9, v28, s7
                                        ; implicit-def: $vgpr28
	s_delay_alu instid0(VALU_DEP_1)
	v_cndmask_b32_e32 v9, v9, v24, vcc_lo
.LBB174_128:                            ;   in Loop: Header=BB174_4 Depth=1
	s_and_not1_saveexec_b32 s36, s8
	s_cbranch_execz .LBB174_132
; %bb.129:                              ;   in Loop: Header=BB174_4 Depth=1
	v_and_b32_e32 v31, 0x7fff0000, v28
	v_and_b32_e32 v30, 0x7fff0000, v29
	s_mov_b32 s37, 0
	s_delay_alu instid0(VALU_DEP_1) | instskip(SKIP_2) | instid1(VALU_DEP_2)
	v_dual_add_f32 v39, v31, v31 :: v_dual_add_f32 v12, v30, v30
	v_pk_add_f32 v[32:33], v[28:29], v[30:31] op_sel:[1,0] op_sel_hi:[0,1] neg_lo:[0,1] neg_hi:[0,1]
	v_pk_mul_f32 v[28:29], v[30:31], v[30:31]
	v_and_b32_e32 v41, 0xffff0000, v33
	s_delay_alu instid0(VALU_DEP_3) | instskip(NEXT) | instid1(VALU_DEP_1)
	v_and_b32_e32 v40, 0xffff0000, v32
	v_dual_add_f32 v43, v41, v41 :: v_dual_add_f32 v42, v40, v40
	v_pk_add_f32 v[30:31], v[32:33], v[40:41] neg_lo:[0,1] neg_hi:[0,1]
	v_dual_mul_f32 v9, v12, v40 :: v_dual_mul_f32 v38, v39, v41
	v_pk_mul_f32 v[32:33], v[40:41], v[40:41]
	s_delay_alu instid0(VALU_DEP_3)
	v_dual_mul_f32 v37, v12, v30 :: v_dual_mul_f32 v40, v39, v31
	v_dual_mul_f32 v12, v42, v30 :: v_dual_mul_f32 v39, v43, v31
	v_pk_mul_f32 v[30:31], v[30:31], v[30:31]
.LBB174_130:                            ;   Parent Loop BB174_4 Depth=1
                                        ; =>  This Inner Loop Header: Depth=2
	v_cmp_nlt_f32_e32 vcc_lo, v28, v29
	v_dual_cndmask_b32 v41, v28, v29 :: v_dual_cndmask_b32 v28, v29, v28
	s_delay_alu instid0(VALU_DEP_1) | instskip(NEXT) | instid1(VALU_DEP_1)
	v_cmp_nlt_f32_e64 s7, v41, v9
	v_cndmask_b32_e64 v42, v41, v9, s7
	v_cndmask_b32_e64 v29, v9, v41, s7
	s_and_b32 s7, vcc_lo, s7
	s_delay_alu instid0(VALU_DEP_2) | instskip(NEXT) | instid1(VALU_DEP_1)
	v_cmp_nlt_f32_e64 s8, v42, v38
	v_cndmask_b32_e64 v43, v42, v38, s8
	s_delay_alu instid0(VALU_DEP_1) | instskip(NEXT) | instid1(VALU_DEP_1)
	v_cmp_nlt_f32_e64 s9, v43, v32
	v_cndmask_b32_e64 v41, v43, v32, s9
	s_and_b32 s38, s8, s9
	s_delay_alu instid0(VALU_DEP_1) | instskip(SKIP_1) | instid1(VALU_DEP_2)
	v_cmp_nlt_f32_e64 s10, v41, v33
	v_dual_cndmask_b32 v9, v38, v42, s8 :: v_dual_cndmask_b32 v38, v32, v43, s9
	v_cndmask_b32_e64 v42, v41, v33, s10
	v_cndmask_b32_e64 v32, v33, v41, s10
	s_delay_alu instid0(VALU_DEP_2) | instskip(NEXT) | instid1(VALU_DEP_1)
	v_cmp_nlt_f32_e64 s11, v42, v37
	v_cndmask_b32_e64 v44, v42, v37, s11
	s_and_b32 s10, s10, s11
	s_delay_alu instid0(VALU_DEP_1) | instskip(NEXT) | instid1(VALU_DEP_1)
	v_cmp_nlt_f32_e64 s12, v44, v40
	v_dual_cndmask_b32 v33, v37, v42, s11 :: v_dual_cndmask_b32 v37, v40, v44, s12
	v_cndmask_b32_e64 v45, v44, v40, s12
	s_and_b32 s10, s10, s12
	s_delay_alu instid0(VALU_DEP_1) | instskip(NEXT) | instid1(VALU_DEP_1)
	v_cmp_nlt_f32_e64 s13, v45, v12
	v_dual_cndmask_b32 v43, v45, v12, s13 :: v_dual_cndmask_b32 v40, v12, v45, s13
	s_and_b32 s11, s10, s13
	s_delay_alu instid0(VALU_DEP_1) | instskip(NEXT) | instid1(VALU_DEP_1)
	v_cmp_nlt_f32_e64 s8, v43, v39
	v_cndmask_b32_e64 v41, v43, v39, s8
	v_cndmask_b32_e64 v12, v39, v43, s8
	s_and_b32 s8, s11, s8
	s_delay_alu instid0(VALU_DEP_2) | instskip(NEXT) | instid1(VALU_DEP_1)
	v_cmp_nlt_f32_e64 s9, v41, v30
	v_cndmask_b32_e64 v42, v41, v30, s9
	s_and_b32 s8, s8, s9
	s_delay_alu instid0(VALU_DEP_1) | instskip(NEXT) | instid1(VALU_DEP_1)
	v_cmp_nlt_f32_e64 s10, v42, v31
	v_dual_cndmask_b32 v39, v30, v41, s9 :: v_dual_cndmask_b32 v30, v31, v42, s10
	s_and_b32 s8, s8, s10
	v_cndmask_b32_e64 v31, v42, v31, s10
	s_and_b32 s8, s8, s38
	s_delay_alu instid0(SALU_CYCLE_1) | instskip(NEXT) | instid1(SALU_CYCLE_1)
	s_and_b32 s7, s8, s7
	s_and_b32 s7, exec_lo, s7
	s_delay_alu instid0(SALU_CYCLE_1) | instskip(NEXT) | instid1(SALU_CYCLE_1)
	s_or_b32 s37, s7, s37
	s_and_not1_b32 exec_lo, exec_lo, s37
	s_cbranch_execnz .LBB174_130
; %bb.131:                              ;   in Loop: Header=BB174_4 Depth=1
	s_or_b32 exec_lo, exec_lo, s37
	v_add_f32_e32 v28, -1.0, v28
	v_cmp_class_f32_e64 s8, v24, 0x204
	s_delay_alu instid0(VALU_DEP_2) | instskip(NEXT) | instid1(VALU_DEP_1)
	v_add_f32_e32 v28, v28, v29
	v_add_f32_e32 v9, v28, v9
	s_delay_alu instid0(VALU_DEP_1) | instskip(NEXT) | instid1(VALU_DEP_1)
	v_add_f32_e32 v9, v9, v38
	v_add_f32_e32 v9, v9, v32
	s_delay_alu instid0(VALU_DEP_1) | instskip(NEXT) | instid1(VALU_DEP_1)
	;; [unrolled: 3-line block ×5, first 2 shown]
	v_add_f32_e32 v28, v31, v9
	v_add_f32_e32 v31, 1.0, v28
	s_delay_alu instid0(VALU_DEP_1) | instskip(SKIP_2) | instid1(VALU_DEP_2)
	v_cvt_f64_f32_e32 v[32:33], v31
	v_frexp_mant_f32_e32 v12, v31
	v_add_f32_e32 v29, -1.0, v31
	v_cmp_gt_f32_e32 vcc_lo, 0x3f2aaaab, v12
	s_delay_alu instid0(VALU_DEP_2) | instskip(SKIP_2) | instid1(VALU_DEP_3)
	v_mov_b32_e32 v30, v29
	v_cmp_neq_f32_e64 s7, -1.0, v28
	v_frexp_exp_i32_f64_e32 v9, v[32:33]
	v_pk_add_f32 v[32:33], v[28:29], v[30:31] neg_lo:[0,1] neg_hi:[0,1]
	s_delay_alu instid0(VALU_DEP_1) | instskip(NEXT) | instid1(VALU_DEP_1)
	v_add_f32_e32 v30, 1.0, v33
	v_add_f32_e32 v30, v32, v30
	s_delay_alu instid0(VALU_DEP_4) | instskip(SKIP_1) | instid1(VALU_DEP_2)
	v_subrev_co_ci_u32_e64 v9, null, 0, v9, vcc_lo
	v_cmp_neq_f32_e32 vcc_lo, 0x7f800000, v28
	v_sub_nc_u32_e32 v12, 0, v9
	s_delay_alu instid0(VALU_DEP_1) | instskip(SKIP_1) | instid1(VALU_DEP_2)
	v_ldexp_f32 v29, v31, v12
	v_ldexp_f32 v12, v30, v12
	v_dual_add_f32 v33, 1.0, v29 :: v_dual_add_f32 v37, -1.0, v29
	s_delay_alu instid0(VALU_DEP_1) | instskip(NEXT) | instid1(VALU_DEP_1)
	v_add_f32_e32 v31, -1.0, v33
	v_dual_sub_f32 v30, v29, v31 :: v_dual_add_f32 v31, 1.0, v37
	s_delay_alu instid0(VALU_DEP_1) | instskip(NEXT) | instid1(VALU_DEP_1)
	v_add_f32_e32 v30, v12, v30
	v_add_f32_e32 v40, v33, v30
	s_delay_alu instid0(VALU_DEP_1) | instskip(NEXT) | instid1(VALU_DEP_1)
	v_dual_sub_f32 v29, v29, v31 :: v_dual_sub_f32 v33, v40, v33
	v_add_f32_e32 v12, v12, v29
	v_rcp_f32_e32 v29, v40
	s_delay_alu instid0(VALU_DEP_1)
	v_add_f32_e32 v31, v37, v12
	s_delay_alu instid0(TRANS32_DEP_1) | instid1(VALU_DEP_1)
	v_mul_f32_e32 v41, v31, v29
	s_delay_alu instid0(VALU_DEP_1) | instskip(SKIP_1) | instid1(VALU_DEP_2)
	v_mul_f32_e32 v32, v40, v41
	v_sub_f32_e32 v42, v30, v33
	v_dual_sub_f32 v37, v31, v37 :: v_dual_fma_f32 v38, v41, v40, -v32
	s_delay_alu instid0(VALU_DEP_1) | instskip(NEXT) | instid1(VALU_DEP_1)
	v_dual_sub_f32 v12, v12, v37 :: v_dual_fmac_f32 v38, v41, v42
	v_add_f32_e32 v30, v32, v38
	s_delay_alu instid0(VALU_DEP_1) | instskip(NEXT) | instid1(VALU_DEP_1)
	v_dual_sub_f32 v33, v31, v30 :: v_dual_mov_b32 v39, v30
	v_pk_add_f32 v[30:31], v[30:31], v[32:33] neg_lo:[0,1] neg_hi:[0,1]
	s_delay_alu instid0(VALU_DEP_1) | instskip(NEXT) | instid1(VALU_DEP_1)
	v_pk_add_f32 v[30:31], v[30:31], v[38:39] neg_lo:[0,1] neg_hi:[0,1]
	v_add_f32_e32 v12, v12, v31
	s_delay_alu instid0(VALU_DEP_1) | instskip(NEXT) | instid1(VALU_DEP_1)
	v_add_f32_e32 v12, v30, v12
	v_add_f32_e32 v31, v33, v12
	s_delay_alu instid0(VALU_DEP_1) | instskip(NEXT) | instid1(VALU_DEP_1)
	v_mul_f32_e32 v37, v29, v31
	v_mul_f32_e32 v38, v40, v37
	s_delay_alu instid0(VALU_DEP_1) | instskip(SKIP_1) | instid1(VALU_DEP_1)
	v_fma_f32 v32, v37, v40, -v38
	v_sub_f32_e32 v40, v33, v31
	v_dual_fmac_f32 v32, v37, v42 :: v_dual_add_f32 v12, v12, v40
	s_delay_alu instid0(VALU_DEP_1) | instskip(NEXT) | instid1(VALU_DEP_1)
	v_dual_add_f32 v40, v41, v37 :: v_dual_add_f32 v30, v38, v32
	v_dual_mov_b32 v33, v30 :: v_dual_sub_f32 v39, v31, v30
	s_delay_alu instid0(VALU_DEP_1) | instskip(NEXT) | instid1(VALU_DEP_1)
	v_pk_add_f32 v[30:31], v[30:31], v[38:39] neg_lo:[0,1] neg_hi:[0,1]
	v_pk_add_f32 v[30:31], v[30:31], v[32:33] neg_lo:[0,1] neg_hi:[0,1]
	s_delay_alu instid0(VALU_DEP_1) | instskip(NEXT) | instid1(VALU_DEP_1)
	v_add_f32_e32 v12, v12, v31
	v_dual_add_f32 v12, v30, v12 :: v_dual_sub_f32 v30, v40, v41
	s_delay_alu instid0(VALU_DEP_1) | instskip(NEXT) | instid1(VALU_DEP_1)
	v_dual_add_f32 v12, v39, v12 :: v_dual_sub_f32 v30, v37, v30
	v_mul_f32_e32 v12, v29, v12
	s_delay_alu instid0(VALU_DEP_1) | instskip(SKIP_1) | instid1(VALU_DEP_2)
	v_add_f32_e32 v12, v30, v12
	v_cvt_f32_i32_e32 v30, v9
	v_add_f32_e32 v29, v40, v12
	s_delay_alu instid0(VALU_DEP_1) | instskip(SKIP_1) | instid1(VALU_DEP_2)
	v_mul_f32_e32 v32, v29, v29
	v_ldexp_f32 v39, v29, 1
	v_fmaak_f32 v33, s28, v32, 0x3ecc95a3
	v_mul_f32_e32 v31, v29, v32
	s_delay_alu instid0(VALU_DEP_2) | instskip(NEXT) | instid1(VALU_DEP_1)
	v_fmaak_f32 v9, v32, v33, 0x3f2aaada
	v_pk_mul_f32 v[32:33], v[30:31], v[8:9]
	s_delay_alu instid0(VALU_DEP_1) | instskip(SKIP_1) | instid1(VALU_DEP_1)
	v_dual_sub_f32 v9, v29, v40 :: v_dual_mov_b32 v40, v32
	v_fma_f32 v38, 0x3f317218, v30, -v32
	v_dual_sub_f32 v9, v12, v9 :: v_dual_fmac_f32 v38, 0xb102e308, v30
	s_delay_alu instid0(VALU_DEP_1) | instskip(NEXT) | instid1(VALU_DEP_1)
	v_pk_add_f32 v[30:31], v[32:33], v[38:39]
	v_dual_sub_f32 v12, v31, v39 :: v_dual_mov_b32 v39, v30
	s_delay_alu instid0(VALU_DEP_1) | instskip(NEXT) | instid1(VALU_DEP_4)
	v_dual_mov_b32 v48, v31 :: v_dual_sub_f32 v12, v33, v12
	v_ldexp_f32 v9, v9, 1
	v_pk_add_f32 v[32:33], v[30:31], v[32:33] neg_lo:[0,1] neg_hi:[0,1]
	s_delay_alu instid0(VALU_DEP_2) | instskip(SKIP_2) | instid1(VALU_DEP_3)
	v_add_f32_e32 v41, v9, v12
	v_max_num_f32_e64 v9, |v25|, |v25|
	v_max_num_f32_e64 v12, |v24|, |v24|
	v_pk_add_f32 v[42:43], v[30:31], v[40:41]
	s_delay_alu instid0(VALU_DEP_1) | instskip(NEXT) | instid1(VALU_DEP_1)
	v_dual_max_num_f32 v29, v12, v9 :: v_dual_mov_b32 v33, v43
	v_frexp_exp_i32_f32_e32 v37, v29
	v_frexp_mant_f32_e32 v29, v29
	s_delay_alu instid0(VALU_DEP_3) | instskip(SKIP_2) | instid1(VALU_DEP_4)
	v_pk_add_f32 v[44:45], v[38:39], v[32:33]
	v_min_num_f32_e32 v9, v12, v9
	v_pk_add_f32 v[32:33], v[38:39], v[32:33] neg_lo:[0,1] neg_hi:[0,1]
	v_rcp_f32_e32 v29, v29
	s_delay_alu instid0(VALU_DEP_3) | instskip(NEXT) | instid1(VALU_DEP_3)
	v_mov_b32_e32 v12, v45
	v_frexp_exp_i32_f32_e32 v40, v9
	v_frexp_mant_f32_e32 v50, v9
	v_mov_b32_e32 v33, v45
	s_delay_alu instid0(VALU_DEP_4) | instskip(NEXT) | instid1(VALU_DEP_4)
	v_pk_add_f32 v[46:47], v[12:13], v[30:31] neg_lo:[0,1] neg_hi:[0,1]
	v_dual_mov_b32 v44, v43 :: v_dual_sub_nc_u32 v37, v40, v37
	v_dual_mov_b32 v31, v30 :: v_dual_mov_b32 v30, v41
	s_delay_alu instid0(VALU_DEP_3) | instskip(NEXT) | instid1(VALU_DEP_1)
	v_dual_mov_b32 v49, v46 :: v_dual_mov_b32 v9, v46
	v_pk_add_f32 v[38:39], v[44:45], v[48:49] neg_lo:[0,1] neg_hi:[0,1]
	s_delay_alu instid0(VALU_DEP_2) | instskip(SKIP_1) | instid1(VALU_DEP_3)
	v_pk_add_f32 v[40:41], v[42:43], v[8:9] neg_lo:[0,1] neg_hi:[0,1]
	v_mov_b32_e32 v40, v32
	v_pk_add_f32 v[30:31], v[30:31], v[38:39] neg_lo:[0,1] neg_hi:[0,1]
	s_delay_alu instid0(VALU_DEP_1) | instskip(NEXT) | instid1(VALU_DEP_1)
	v_pk_add_f32 v[38:39], v[40:41], v[30:31]
	v_dual_mul_f32 v29, v50, v29 :: v_dual_mov_b32 v40, v39
	s_delay_alu instid0(VALU_DEP_1) | instskip(NEXT) | instid1(VALU_DEP_2)
	v_ldexp_f32 v9, v29, v37
	v_pk_add_f32 v[40:41], v[38:39], v[40:41]
	s_delay_alu instid0(VALU_DEP_1) | instskip(NEXT) | instid1(VALU_DEP_1)
	v_pk_add_f32 v[42:43], v[12:13], v[40:41]
	v_dual_mul_f32 v29, v9, v9 :: v_dual_mov_b32 v39, v42
	s_delay_alu instid0(VALU_DEP_1) | instskip(NEXT) | instid1(VALU_DEP_1)
	v_pk_add_f32 v[44:45], v[38:39], v[32:33] neg_lo:[0,1] neg_hi:[0,1]
	v_sub_f32_e32 v33, v38, v44
	s_delay_alu instid0(VALU_DEP_1) | instskip(NEXT) | instid1(VALU_DEP_4)
	v_sub_f32_e32 v32, v32, v33
	v_fmaak_f32 v31, s29, v29, 0xbc7a590c
	s_delay_alu instid0(VALU_DEP_1) | instskip(NEXT) | instid1(VALU_DEP_1)
	v_fmaak_f32 v31, v29, v31, 0x3d29fb3f
	v_dual_fmaak_f32 v12, v29, v31, 0xbd97d4d7 :: v_dual_mov_b32 v31, v40
	s_delay_alu instid0(VALU_DEP_1) | instskip(NEXT) | instid1(VALU_DEP_2)
	v_fmaak_f32 v12, v29, v12, 0x3dd931b2
	v_pk_add_f32 v[30:31], v[30:31], v[44:45] neg_lo:[0,1] neg_hi:[0,1]
	s_delay_alu instid0(VALU_DEP_2) | instskip(NEXT) | instid1(VALU_DEP_1)
	v_fmaak_f32 v12, v29, v12, 0xbe1160e6
	v_fmaak_f32 v12, v29, v12, 0x3e4cb8bf
	s_delay_alu instid0(VALU_DEP_1) | instskip(NEXT) | instid1(VALU_DEP_1)
	v_fmaak_f32 v12, v29, v12, 0xbeaaaa62
	v_mul_f32_e32 v12, v29, v12
	s_delay_alu instid0(VALU_DEP_1) | instskip(SKIP_1) | instid1(VALU_DEP_1)
	v_fmac_f32_e32 v9, v9, v12
	v_add_f32_e32 v30, v30, v32
	v_add_f32_e32 v29, v30, v31
	s_delay_alu instid0(VALU_DEP_1) | instskip(NEXT) | instid1(VALU_DEP_4)
	v_add_f32_e32 v12, v42, v29
	v_sub_f32_e32 v29, 0x3fc90fdb, v9
	s_delay_alu instid0(VALU_DEP_2) | instskip(SKIP_1) | instid1(VALU_DEP_3)
	v_cndmask_b32_e32 v12, 0x7f800000, v12, vcc_lo
	v_cmp_gt_i32_e32 vcc_lo, 0, v24
	v_cndmask_b32_e64 v9, v9, v29, s6
	v_cndmask_b32_e64 v29, 0, 0x40490fdb, vcc_lo
	v_cmp_ngt_f32_e32 vcc_lo, -1.0, v28
	v_cndmask_b32_e32 v12, 0x7fc00000, v12, vcc_lo
	v_cmp_gt_f32_e32 vcc_lo, 0, v24
	s_delay_alu instid0(VALU_DEP_2) | instskip(SKIP_3) | instid1(VALU_DEP_2)
	v_cndmask_b32_e64 v12, 0xff800000, v12, s7
	v_cndmask_b32_e32 v24, 0x3f490fdb, v34, vcc_lo
	v_sub_f32_e32 v30, 0x40490fdb, v9
	v_cmp_class_f32_e64 s7, v25, 0x204
	v_cndmask_b32_e32 v9, v9, v30, vcc_lo
	v_cmp_gt_f32_e64 vcc_lo, 0x33800000, |v28|
	v_cndmask_b32_e32 v12, v12, v28, vcc_lo
	v_cmp_eq_f32_e32 vcc_lo, 0, v25
	s_delay_alu instid0(VALU_DEP_2) | instskip(SKIP_1) | instid1(VALU_DEP_1)
	v_dual_mul_f32 v12, 0.5, v12 :: v_dual_cndmask_b32 v9, v9, v29
	s_and_b32 vcc_lo, s7, s8
	v_cndmask_b32_e32 v9, v9, v24, vcc_lo
.LBB174_132:                            ;   in Loop: Header=BB174_4 Depth=1
	s_or_b32 exec_lo, exec_lo, s36
.LBB174_133:                            ;   in Loop: Header=BB174_4 Depth=1
	s_delay_alu instid0(SALU_CYCLE_1)
	s_or_b32 exec_lo, exec_lo, s35
.LBB174_134:                            ;   in Loop: Header=BB174_4 Depth=1
	s_and_not1_saveexec_b32 s8, s34
	s_cbranch_execz .LBB174_136
; %bb.135:                              ;   in Loop: Header=BB174_4 Depth=1
	v_max_num_f32_e64 v9, |v25|, |v25|
	v_max_num_f32_e64 v12, |v24|, |v24|
	v_cmp_gt_i32_e64 s7, 0, v24
	v_cmp_class_f32_e64 s9, v24, 0x204
	v_cmp_class_f32_e64 s10, v25, 0x204
	s_delay_alu instid0(VALU_DEP_4) | instskip(NEXT) | instid1(VALU_DEP_1)
	v_dual_max_num_f32 v30, v12, v9 :: v_dual_min_num_f32 v9, v12, v9
	v_cvt_f64_f32_e32 v[28:29], v30
	v_frexp_exp_i32_f32_e32 v12, v30
	s_delay_alu instid0(VALU_DEP_3) | instskip(SKIP_4) | instid1(VALU_DEP_1)
	v_frexp_exp_i32_f32_e32 v31, v9
	v_frexp_mant_f32_e32 v9, v9
	v_cmp_neq_f32_e32 vcc_lo, 0x7f800000, v30
	v_frexp_exp_i32_f64_e32 v28, v[28:29]
	v_frexp_mant_f32_e32 v29, v30
	v_rcp_f32_e32 v29, v29
	v_nop
	s_delay_alu instid0(TRANS32_DEP_1) | instskip(NEXT) | instid1(VALU_DEP_1)
	v_dual_mul_f32 v9, v9, v29 :: v_dual_sub_nc_u32 v12, v31, v12
	v_ldexp_f32 v9, v9, v12
	s_delay_alu instid0(VALU_DEP_1) | instskip(NEXT) | instid1(VALU_DEP_1)
	v_dual_mul_f32 v29, v9, v9 :: v_dual_sub_nc_u32 v12, 0, v28
	v_ldexp_f32 v31, |v25|, v12
	s_delay_alu instid0(VALU_DEP_2) | instskip(SKIP_1) | instid1(VALU_DEP_2)
	v_fmaak_f32 v32, s29, v29, 0xbc7a590c
	v_ldexp_f32 v12, |v24|, v12
	v_dual_mul_f32 v31, v31, v31 :: v_dual_fmaak_f32 v32, v29, v32, 0x3d29fb3f
	s_delay_alu instid0(VALU_DEP_1) | instskip(NEXT) | instid1(VALU_DEP_2)
	v_fmac_f32_e32 v31, v12, v12
	v_fmaak_f32 v12, v29, v32, 0xbd97d4d7
	s_delay_alu instid0(VALU_DEP_1) | instskip(NEXT) | instid1(VALU_DEP_3)
	v_fmaak_f32 v12, v29, v12, 0x3dd931b2
	v_sqrt_f32_e32 v31, v31
	s_delay_alu instid0(VALU_DEP_1) | instskip(NEXT) | instid1(TRANS32_DEP_1)
	v_fmaak_f32 v12, v29, v12, 0xbe1160e6
	v_ldexp_f32 v28, v31, v28
	s_delay_alu instid0(VALU_DEP_2) | instskip(NEXT) | instid1(VALU_DEP_2)
	v_fmaak_f32 v12, v29, v12, 0x3e4cb8bf
	v_cndmask_b32_e32 v28, 0x7f800000, v28, vcc_lo
	s_delay_alu instid0(VALU_DEP_2) | instskip(NEXT) | instid1(VALU_DEP_2)
	v_fmaak_f32 v12, v29, v12, 0xbeaaaa62
	v_cmp_gt_f32_e32 vcc_lo, 0x800000, v28
	s_delay_alu instid0(VALU_DEP_2) | instskip(SKIP_1) | instid1(VALU_DEP_1)
	v_mul_f32_e32 v12, v29, v12
	v_cndmask_b32_e64 v30, 0, 32, vcc_lo
	v_ldexp_f32 v28, v28, v30
	s_delay_alu instid0(VALU_DEP_1) | instskip(NEXT) | instid1(VALU_DEP_3)
	v_log_f32_e32 v28, v28
	v_fmac_f32_e32 v9, v9, v12
	s_delay_alu instid0(VALU_DEP_1) | instskip(NEXT) | instid1(VALU_DEP_1)
	v_sub_f32_e32 v29, 0x3fc90fdb, v9
	v_cndmask_b32_e64 v9, v9, v29, s6
	v_cndmask_b32_e64 v29, 0, 0x40490fdb, s7
	v_cmp_gt_f32_e64 s7, 0, v24
	s_delay_alu instid0(VALU_DEP_1) | instskip(NEXT) | instid1(VALU_DEP_4)
	v_cndmask_b32_e64 v24, 0x3f490fdb, v34, s7
	v_sub_f32_e32 v30, 0x40490fdb, v9
	s_delay_alu instid0(VALU_DEP_1) | instskip(SKIP_3) | instid1(VALU_DEP_3)
	v_cndmask_b32_e64 v9, v9, v30, s7
	v_mul_f32_e32 v12, 0x3f317217, v28
	v_cndmask_b32_e64 v30, 0, 0x41b17218, vcc_lo
	v_cmp_gt_f32_e64 vcc_lo, 0x7f800000, |v28|
	v_fma_f32 v12, 0x3f317217, v28, -v12
	s_delay_alu instid0(VALU_DEP_1) | instskip(NEXT) | instid1(VALU_DEP_1)
	v_fmac_f32_e32 v12, 0x3377d1cf, v28
	v_fmac_f32_e32 v12, 0x3f317217, v28
	s_delay_alu instid0(VALU_DEP_1) | instskip(SKIP_1) | instid1(VALU_DEP_2)
	v_cndmask_b32_e32 v12, v28, v12, vcc_lo
	v_cmp_eq_f32_e32 vcc_lo, 0, v25
	v_dual_sub_f32 v12, v12, v30 :: v_dual_cndmask_b32 v9, v9, v29
	s_and_b32 vcc_lo, s10, s9
	s_delay_alu instid0(VALU_DEP_1)
	v_cndmask_b32_e32 v9, v9, v24, vcc_lo
.LBB174_136:                            ;   in Loop: Header=BB174_4 Depth=1
	s_or_b32 exec_lo, exec_lo, s8
                                        ; implicit-def: $vgpr28
.LBB174_137:                            ;   in Loop: Header=BB174_4 Depth=1
	s_and_not1_saveexec_b32 s8, s33
	s_cbranch_execz .LBB174_143
; %bb.138:                              ;   in Loop: Header=BB174_4 Depth=1
                                        ; implicit-def: $vgpr12
                                        ; implicit-def: $vgpr9
	s_mov_b32 s7, exec_lo
	v_cmpx_ngt_f32_e32 0x1fec1e4a, v28
	s_xor_b32 s9, exec_lo, s7
	s_cbranch_execz .LBB174_140
; %bb.139:                              ;   in Loop: Header=BB174_4 Depth=1
	v_pk_mul_f32 v[28:29], v[28:29], v[28:29]
	v_cmp_class_f32_e64 s10, v24, 0x204
	s_delay_alu instid0(VALU_DEP_2) | instskip(SKIP_1) | instid1(VALU_DEP_2)
	v_add_f32_e32 v31, 1.0, v28
	v_cmp_neq_f32_e64 s7, 0x7f800000, v28
	v_add_f32_e32 v29, -1.0, v31
	s_delay_alu instid0(VALU_DEP_1) | instskip(SKIP_2) | instid1(VALU_DEP_1)
	v_mov_b32_e32 v30, v29
	v_cvt_f64_f32_e32 v[32:33], v31
	v_frexp_mant_f32_e32 v12, v31
	v_cmp_gt_f32_e32 vcc_lo, 0x3f2aaaab, v12
	s_delay_alu instid0(VALU_DEP_3) | instskip(NEXT) | instid1(VALU_DEP_1)
	v_frexp_exp_i32_f64_e32 v9, v[32:33]
	v_subrev_co_ci_u32_e64 v9, null, 0, v9, vcc_lo
	v_cmp_gt_i32_e32 vcc_lo, 0, v24
	s_delay_alu instid0(VALU_DEP_2) | instskip(SKIP_1) | instid1(VALU_DEP_2)
	v_sub_nc_u32_e32 v12, 0, v9
	v_pk_add_f32 v[32:33], v[28:29], v[30:31] neg_lo:[0,1] neg_hi:[0,1]
	v_ldexp_f32 v29, v31, v12
	s_delay_alu instid0(VALU_DEP_2) | instskip(NEXT) | instid1(VALU_DEP_2)
	v_add_f32_e32 v30, 1.0, v33
	v_add_f32_e32 v33, 1.0, v29
	s_delay_alu instid0(VALU_DEP_1) | instskip(SKIP_1) | instid1(VALU_DEP_2)
	v_dual_add_f32 v31, -1.0, v33 :: v_dual_add_f32 v30, v32, v30
	v_add_f32_e32 v37, -1.0, v29
	v_ldexp_f32 v12, v30, v12
	s_delay_alu instid0(VALU_DEP_2) | instskip(NEXT) | instid1(VALU_DEP_1)
	v_dual_sub_f32 v30, v29, v31 :: v_dual_add_f32 v31, 1.0, v37
	v_add_f32_e32 v30, v12, v30
	s_delay_alu instid0(VALU_DEP_1) | instskip(NEXT) | instid1(VALU_DEP_3)
	v_add_f32_e32 v40, v33, v30
	v_sub_f32_e32 v29, v29, v31
	s_delay_alu instid0(VALU_DEP_1) | instskip(NEXT) | instid1(VALU_DEP_3)
	v_add_f32_e32 v12, v12, v29
	v_rcp_f32_e32 v29, v40
	v_sub_f32_e32 v33, v33, v40
	s_delay_alu instid0(VALU_DEP_1)
	v_dual_add_f32 v31, v37, v12 :: v_dual_add_f32 v42, v30, v33
	s_delay_alu instid0(TRANS32_DEP_1) | instid1(VALU_DEP_1)
	v_dual_mul_f32 v41, v31, v29 :: v_dual_sub_f32 v37, v37, v31
	s_delay_alu instid0(VALU_DEP_1) | instskip(NEXT) | instid1(VALU_DEP_1)
	v_mul_f32_e32 v32, v40, v41
	v_dual_add_f32 v12, v12, v37 :: v_dual_fma_f32 v38, v41, v40, -v32
	s_delay_alu instid0(VALU_DEP_1) | instskip(NEXT) | instid1(VALU_DEP_1)
	v_fmac_f32_e32 v38, v41, v42
	v_add_f32_e32 v30, v32, v38
	s_delay_alu instid0(VALU_DEP_1) | instskip(NEXT) | instid1(VALU_DEP_1)
	v_dual_sub_f32 v33, v31, v30 :: v_dual_mov_b32 v39, v30
	v_pk_add_f32 v[30:31], v[30:31], v[32:33] neg_lo:[0,1] neg_hi:[0,1]
	s_delay_alu instid0(VALU_DEP_1) | instskip(NEXT) | instid1(VALU_DEP_1)
	v_pk_add_f32 v[30:31], v[30:31], v[38:39] neg_lo:[0,1] neg_hi:[0,1]
	v_add_f32_e32 v12, v12, v31
	s_delay_alu instid0(VALU_DEP_1) | instskip(NEXT) | instid1(VALU_DEP_1)
	v_add_f32_e32 v12, v30, v12
	v_add_f32_e32 v31, v33, v12
	s_delay_alu instid0(VALU_DEP_1) | instskip(NEXT) | instid1(VALU_DEP_1)
	v_mul_f32_e32 v37, v29, v31
	v_mul_f32_e32 v38, v40, v37
	s_delay_alu instid0(VALU_DEP_1) | instskip(SKIP_1) | instid1(VALU_DEP_1)
	v_fma_f32 v32, v37, v40, -v38
	v_sub_f32_e32 v40, v33, v31
	v_dual_fmac_f32 v32, v37, v42 :: v_dual_add_f32 v12, v12, v40
	s_delay_alu instid0(VALU_DEP_1) | instskip(NEXT) | instid1(VALU_DEP_1)
	v_dual_add_f32 v40, v41, v37 :: v_dual_add_f32 v30, v38, v32
	v_dual_sub_f32 v39, v31, v30 :: v_dual_mov_b32 v33, v30
	s_delay_alu instid0(VALU_DEP_1) | instskip(NEXT) | instid1(VALU_DEP_1)
	v_pk_add_f32 v[30:31], v[30:31], v[38:39] neg_lo:[0,1] neg_hi:[0,1]
	v_pk_add_f32 v[30:31], v[30:31], v[32:33] neg_lo:[0,1] neg_hi:[0,1]
	s_delay_alu instid0(VALU_DEP_1) | instskip(NEXT) | instid1(VALU_DEP_1)
	v_add_f32_e32 v12, v12, v31
	v_dual_add_f32 v12, v30, v12 :: v_dual_sub_f32 v30, v40, v41
	s_delay_alu instid0(VALU_DEP_1) | instskip(SKIP_1) | instid1(VALU_DEP_2)
	v_dual_add_f32 v12, v39, v12 :: v_dual_sub_f32 v30, v37, v30
	v_max_num_f32_e64 v37, |v24|, |v24|
	v_mul_f32_e32 v12, v29, v12
	s_delay_alu instid0(VALU_DEP_1) | instskip(SKIP_1) | instid1(VALU_DEP_2)
	v_add_f32_e32 v12, v30, v12
	v_cvt_f32_i32_e32 v30, v9
	v_add_f32_e32 v29, v40, v12
	s_delay_alu instid0(VALU_DEP_1) | instskip(NEXT) | instid1(VALU_DEP_1)
	v_mul_f32_e32 v32, v29, v29
	v_fmaak_f32 v33, s28, v32, 0x3ecc95a3
	v_mul_f32_e32 v31, v29, v32
	s_delay_alu instid0(VALU_DEP_2) | instskip(NEXT) | instid1(VALU_DEP_1)
	v_fmaak_f32 v9, v32, v33, 0x3f2aaada
	v_pk_mul_f32 v[32:33], v[30:31], v[8:9]
	s_delay_alu instid0(VALU_DEP_1) | instskip(NEXT) | instid1(VALU_DEP_1)
	v_fma_f32 v38, 0x3f317218, v30, -v32
	v_fmac_f32_e32 v38, 0xb102e308, v30
	v_ldexp_f32 v39, v29, 1
	s_delay_alu instid0(VALU_DEP_1) | instskip(SKIP_2) | instid1(VALU_DEP_2)
	v_pk_add_f32 v[30:31], v[32:33], v[38:39]
	v_dual_sub_f32 v9, v29, v40 :: v_dual_mov_b32 v40, v32
	v_max_num_f32_e64 v29, |v25|, |v25|
	v_dual_mov_b32 v48, v31 :: v_dual_sub_f32 v9, v12, v9
	s_delay_alu instid0(VALU_DEP_4) | instskip(NEXT) | instid1(VALU_DEP_2)
	v_dual_sub_f32 v12, v31, v39 :: v_dual_mov_b32 v39, v30
	v_ldexp_f32 v9, v9, 1
	s_delay_alu instid0(VALU_DEP_2) | instskip(SKIP_1) | instid1(VALU_DEP_2)
	v_sub_f32_e32 v12, v33, v12
	v_pk_add_f32 v[32:33], v[30:31], v[32:33] neg_lo:[0,1] neg_hi:[0,1]
	v_add_f32_e32 v41, v9, v12
	v_dual_max_num_f32 v9, v37, v29 :: v_dual_min_num_f32 v29, v37, v29
	s_delay_alu instid0(VALU_DEP_2) | instskip(NEXT) | instid1(VALU_DEP_2)
	v_pk_add_f32 v[42:43], v[30:31], v[40:41]
	v_frexp_mant_f32_e32 v12, v9
	v_frexp_exp_i32_f32_e32 v9, v9
	s_delay_alu instid0(VALU_DEP_4) | instskip(SKIP_3) | instid1(VALU_DEP_3)
	v_frexp_exp_i32_f32_e32 v40, v29
	v_frexp_mant_f32_e32 v29, v29
	v_mov_b32_e32 v33, v43
	v_rcp_f32_e32 v37, v12
	v_sub_nc_u32_e32 v9, v40, v9
	s_delay_alu instid0(VALU_DEP_2) | instskip(SKIP_2) | instid1(TRANS32_DEP_1)
	v_pk_add_f32 v[44:45], v[38:39], v[32:33]
	v_mov_b32_e32 v44, v43
	v_pk_add_f32 v[32:33], v[38:39], v[32:33] neg_lo:[0,1] neg_hi:[0,1]
	v_mul_f32_e32 v29, v29, v37
	s_delay_alu instid0(VALU_DEP_4) | instskip(NEXT) | instid1(VALU_DEP_2)
	v_mov_b32_e32 v12, v45
	v_ldexp_f32 v29, v29, v9
	s_delay_alu instid0(VALU_DEP_2) | instskip(SKIP_1) | instid1(VALU_DEP_2)
	v_pk_add_f32 v[46:47], v[12:13], v[30:31] neg_lo:[0,1] neg_hi:[0,1]
	v_dual_mov_b32 v31, v30 :: v_dual_mov_b32 v30, v41
	v_dual_mul_f32 v37, v29, v29 :: v_dual_mov_b32 v49, v46
	v_mov_b32_e32 v9, v46
	s_delay_alu instid0(VALU_DEP_2) | instskip(NEXT) | instid1(VALU_DEP_2)
	v_pk_add_f32 v[38:39], v[44:45], v[48:49] neg_lo:[0,1] neg_hi:[0,1]
	v_pk_add_f32 v[40:41], v[42:43], v[8:9] neg_lo:[0,1] neg_hi:[0,1]
	v_mov_b32_e32 v40, v32
	s_delay_alu instid0(VALU_DEP_3) | instskip(NEXT) | instid1(VALU_DEP_1)
	v_pk_add_f32 v[30:31], v[30:31], v[38:39] neg_lo:[0,1] neg_hi:[0,1]
	v_pk_add_f32 v[38:39], v[40:41], v[30:31]
	s_delay_alu instid0(VALU_DEP_1) | instskip(NEXT) | instid1(VALU_DEP_1)
	v_dual_fmaak_f32 v9, s29, v37, 0xbc7a590c :: v_dual_mov_b32 v40, v39
	v_pk_add_f32 v[40:41], v[38:39], v[40:41]
	s_delay_alu instid0(VALU_DEP_1) | instskip(NEXT) | instid1(VALU_DEP_1)
	v_pk_add_f32 v[42:43], v[12:13], v[40:41]
	v_dual_mov_b32 v33, v45 :: v_dual_mov_b32 v39, v42
	s_delay_alu instid0(VALU_DEP_1) | instskip(NEXT) | instid1(VALU_DEP_1)
	v_pk_add_f32 v[44:45], v[38:39], v[32:33] neg_lo:[0,1] neg_hi:[0,1]
	v_dual_fmaak_f32 v9, v37, v9, 0x3d29fb3f :: v_dual_sub_f32 v12, v38, v44
	s_delay_alu instid0(VALU_DEP_1) | instskip(NEXT) | instid1(VALU_DEP_1)
	v_dual_fmaak_f32 v9, v37, v9, 0xbd97d4d7 :: v_dual_sub_f32 v12, v32, v12
	v_fmaak_f32 v9, v37, v9, 0x3dd931b2
	s_delay_alu instid0(VALU_DEP_1) | instskip(NEXT) | instid1(VALU_DEP_1)
	v_fmaak_f32 v9, v37, v9, 0xbe1160e6
	v_fmaak_f32 v9, v37, v9, 0x3e4cb8bf
	s_delay_alu instid0(VALU_DEP_1) | instskip(NEXT) | instid1(VALU_DEP_1)
	v_fmaak_f32 v9, v37, v9, 0xbeaaaa62
	v_dual_mov_b32 v31, v40 :: v_dual_mul_f32 v9, v37, v9
	s_delay_alu instid0(VALU_DEP_1) | instskip(NEXT) | instid1(VALU_DEP_1)
	v_pk_add_f32 v[30:31], v[30:31], v[44:45] neg_lo:[0,1] neg_hi:[0,1]
	v_dual_fmac_f32 v29, v29, v9 :: v_dual_add_f32 v9, v30, v12
	s_delay_alu instid0(VALU_DEP_1) | instskip(NEXT) | instid1(VALU_DEP_1)
	v_dual_sub_f32 v12, 0x3fc90fdb, v29 :: v_dual_add_f32 v9, v9, v31
	v_dual_cndmask_b32 v12, v29, v12, s6 :: v_dual_add_f32 v9, v42, v9
	v_cndmask_b32_e64 v29, 0, 0x40490fdb, vcc_lo
	v_cmp_gt_f32_e32 vcc_lo, 0, v24
	s_delay_alu instid0(VALU_DEP_3) | instskip(NEXT) | instid1(VALU_DEP_4)
	v_sub_f32_e32 v30, 0x40490fdb, v12
	v_cndmask_b32_e64 v9, 0x7f800000, v9, s7
	v_cmp_class_f32_e64 s7, v25, 0x204
	v_cndmask_b32_e32 v24, 0x3f490fdb, v34, vcc_lo
	s_delay_alu instid0(VALU_DEP_4) | instskip(SKIP_3) | instid1(VALU_DEP_4)
	v_cndmask_b32_e32 v12, v12, v30, vcc_lo
	v_cmp_gt_f32_e64 vcc_lo, 0x33800000, |v28|
	v_cndmask_b32_e32 v9, v9, v28, vcc_lo
	v_cmp_eq_f32_e32 vcc_lo, 0, v25
	v_cndmask_b32_e32 v28, v12, v29, vcc_lo
	s_and_b32 vcc_lo, s7, s10
	s_delay_alu instid0(VALU_DEP_1)
	v_dual_mul_f32 v12, 0.5, v9 :: v_dual_cndmask_b32 v9, v28, v24
                                        ; implicit-def: $vgpr28
.LBB174_140:                            ;   in Loop: Header=BB174_4 Depth=1
	s_and_not1_saveexec_b32 s9, s9
	s_cbranch_execz .LBB174_142
; %bb.141:                              ;   in Loop: Header=BB174_4 Depth=1
	v_max_num_f32_e64 v9, |v25|, |v25|
	v_max_num_f32_e64 v12, |v24|, |v24|
	v_cmp_gt_i32_e32 vcc_lo, 0, v24
	v_cmp_eq_f32_e64 s7, 0, v25
	v_cmp_class_f32_e64 s10, v24, 0x204
	v_cmp_class_f32_e64 s11, v25, 0x204
	v_dual_max_num_f32 v29, v12, v9 :: v_dual_min_num_f32 v9, v12, v9
	s_delay_alu instid0(VALU_DEP_1) | instskip(SKIP_1) | instid1(VALU_DEP_2)
	v_frexp_mant_f32_e32 v30, v29
	v_frexp_exp_i32_f32_e32 v12, v29
	v_rcp_f32_e32 v29, v30
	v_nop
	v_frexp_exp_i32_f32_e32 v30, v9
	v_frexp_mant_f32_e32 v9, v9
	s_delay_alu instid0(TRANS32_DEP_1) | instid1(VALU_DEP_1)
	v_dual_mul_f32 v9, v9, v29 :: v_dual_sub_nc_u32 v12, v30, v12
	s_delay_alu instid0(VALU_DEP_1) | instskip(NEXT) | instid1(VALU_DEP_1)
	v_ldexp_f32 v9, v9, v12
	v_mul_f32_e32 v12, v9, v9
	s_delay_alu instid0(VALU_DEP_1) | instskip(NEXT) | instid1(VALU_DEP_1)
	v_fmaak_f32 v29, s29, v12, 0xbc7a590c
	v_fmaak_f32 v29, v12, v29, 0x3d29fb3f
	s_delay_alu instid0(VALU_DEP_1) | instskip(NEXT) | instid1(VALU_DEP_1)
	v_fmaak_f32 v29, v12, v29, 0xbd97d4d7
	v_fmaak_f32 v29, v12, v29, 0x3dd931b2
	;; [unrolled: 3-line block ×3, first 2 shown]
	s_delay_alu instid0(VALU_DEP_1) | instskip(NEXT) | instid1(VALU_DEP_1)
	v_fmaak_f32 v29, v12, v29, 0xbeaaaa62
	v_mul_f32_e32 v12, v12, v29
	v_cndmask_b32_e64 v29, 0, 0x40490fdb, vcc_lo
	v_cmp_gt_f32_e32 vcc_lo, 0, v24
	s_delay_alu instid0(VALU_DEP_3) | instskip(NEXT) | instid1(VALU_DEP_1)
	v_dual_fmac_f32 v9, v9, v12 :: v_dual_cndmask_b32 v24, 0x3f490fdb, v34
	v_sub_f32_e32 v12, 0x3fc90fdb, v9
	s_delay_alu instid0(VALU_DEP_1) | instskip(NEXT) | instid1(VALU_DEP_1)
	v_cndmask_b32_e64 v9, v9, v12, s6
	v_sub_f32_e32 v12, 0x40490fdb, v9
	s_delay_alu instid0(VALU_DEP_1) | instskip(SKIP_2) | instid1(VALU_DEP_1)
	v_cndmask_b32_e32 v9, v9, v12, vcc_lo
	v_mul_f32_e32 v12, 0.5, v28
	s_and_b32 vcc_lo, s11, s10
	v_dual_cndmask_b32 v9, v9, v29, s7 :: v_dual_mul_f32 v12, v28, v12
	s_delay_alu instid0(VALU_DEP_1)
	v_cndmask_b32_e32 v9, v9, v24, vcc_lo
.LBB174_142:                            ;   in Loop: Header=BB174_4 Depth=1
	s_or_b32 exec_lo, exec_lo, s9
.LBB174_143:                            ;   in Loop: Header=BB174_4 Depth=1
	s_delay_alu instid0(SALU_CYCLE_1)
	s_or_b32 exec_lo, exec_lo, s8
.LBB174_144:                            ;   in Loop: Header=BB174_4 Depth=1
	s_and_not1_saveexec_b32 s8, s31
	s_cbranch_execz .LBB174_146
; %bb.145:                              ;   in Loop: Header=BB174_4 Depth=1
	v_div_scale_f32 v9, null, 0x402df854, 0x402df854, v24
	v_div_scale_f32 v12, null, 0x402df854, 0x402df854, v25
	v_div_scale_f32 v32, vcc_lo, v24, 0x402df854, v24
	s_delay_alu instid0(VALU_DEP_3) | instskip(NEXT) | instid1(VALU_DEP_2)
	v_rcp_f32_e32 v28, v9
	v_rcp_f32_e32 v29, v12
	v_cmp_class_f32_e64 s9, v25, 0x204
	s_delay_alu instid0(TRANS32_DEP_2) | instskip(NEXT) | instid1(TRANS32_DEP_1)
	v_fma_f32 v30, -v9, v28, 1.0
	v_fma_f32 v31, -v12, v29, 1.0
	s_delay_alu instid0(VALU_DEP_1) | instskip(SKIP_1) | instid1(VALU_DEP_1)
	v_dual_fmac_f32 v28, v30, v28 :: v_dual_fmac_f32 v29, v31, v29
	v_div_scale_f32 v30, s7, v25, 0x402df854, v25
	v_dual_mul_f32 v31, v32, v28 :: v_dual_mul_f32 v33, v30, v29
	s_delay_alu instid0(VALU_DEP_1) | instskip(NEXT) | instid1(VALU_DEP_1)
	v_dual_fma_f32 v37, -v9, v31, v32 :: v_dual_fma_f32 v38, -v12, v33, v30
	v_dual_fmac_f32 v31, v37, v28 :: v_dual_fmac_f32 v33, v38, v29
	s_delay_alu instid0(VALU_DEP_1) | instskip(NEXT) | instid1(VALU_DEP_1)
	v_dual_fma_f32 v9, -v9, v31, v32 :: v_dual_fma_f32 v12, -v12, v33, v30
	v_div_fmas_f32 v9, v9, v28, v31
	s_mov_b32 vcc_lo, s7
	v_max_num_f32_e64 v31, |v24|, |v24|
	s_delay_alu instid0(VALU_DEP_3) | instskip(SKIP_2) | instid1(VALU_DEP_3)
	v_div_fmas_f32 v12, v12, v29, v33
	v_cmp_class_f32_e64 s7, v24, 0x204
	v_div_fixup_f32 v9, v9, 0x402df854, v24
	v_div_fixup_f32 v12, v12, 0x402df854, v25
	s_delay_alu instid0(VALU_DEP_1) | instskip(NEXT) | instid1(VALU_DEP_1)
	v_max_num_f32_e64 v30, |v9|, |v12|
	v_cvt_f64_f32_e32 v[28:29], v30
	v_cmp_neq_f32_e32 vcc_lo, 0x7f800000, v30
	s_delay_alu instid0(VALU_DEP_2) | instskip(SKIP_1) | instid1(VALU_DEP_1)
	v_frexp_exp_i32_f64_e32 v28, v[28:29]
	v_max_num_f32_e64 v29, |v25|, |v25|
	v_dual_max_num_f32 v32, v31, v29 :: v_dual_min_num_f32 v29, v31, v29
	s_delay_alu instid0(VALU_DEP_1) | instskip(SKIP_1) | instid1(VALU_DEP_2)
	v_frexp_mant_f32_e32 v33, v32
	v_frexp_exp_i32_f32_e32 v31, v32
	v_rcp_f32_e32 v32, v33
	v_nop
	v_frexp_exp_i32_f32_e32 v33, v29
	v_frexp_mant_f32_e32 v29, v29
	s_delay_alu instid0(VALU_DEP_2)
	v_sub_nc_u32_e32 v31, v33, v31
	s_delay_alu instid0(TRANS32_DEP_1) | instid1(VALU_DEP_2)
	v_mul_f32_e32 v29, v29, v32
	v_sub_nc_u32_e32 v32, 0, v28
	s_delay_alu instid0(VALU_DEP_2) | instskip(NEXT) | instid1(VALU_DEP_2)
	v_ldexp_f32 v29, v29, v31
	v_ldexp_f32 v12, |v12|, v32
	s_delay_alu instid0(VALU_DEP_2) | instskip(SKIP_1) | instid1(VALU_DEP_3)
	v_mul_f32_e32 v31, v29, v29
	v_ldexp_f32 v9, |v9|, v32
	v_mul_f32_e32 v12, v12, v12
	s_delay_alu instid0(VALU_DEP_3) | instskip(NEXT) | instid1(VALU_DEP_1)
	v_fmaak_f32 v32, s29, v31, 0xbc7a590c
	v_dual_fmac_f32 v12, v9, v9 :: v_dual_fmaak_f32 v9, v31, v32, 0x3d29fb3f
	s_delay_alu instid0(VALU_DEP_1) | instskip(NEXT) | instid1(VALU_DEP_1)
	v_sqrt_f32_e32 v12, v12
	v_fmaak_f32 v9, v31, v9, 0xbd97d4d7
	s_delay_alu instid0(VALU_DEP_1) | instskip(NEXT) | instid1(TRANS32_DEP_1)
	v_fmaak_f32 v9, v31, v9, 0x3dd931b2
	v_ldexp_f32 v12, v12, v28
	s_delay_alu instid0(VALU_DEP_2) | instskip(NEXT) | instid1(VALU_DEP_1)
	v_fmaak_f32 v9, v31, v9, 0xbe1160e6
	v_fmaak_f32 v9, v31, v9, 0x3e4cb8bf
	s_delay_alu instid0(VALU_DEP_1) | instskip(NEXT) | instid1(VALU_DEP_1)
	v_fmaak_f32 v9, v31, v9, 0xbeaaaa62
	v_dual_cndmask_b32 v12, 0x7f800000, v12 :: v_dual_mul_f32 v9, v31, v9
	s_delay_alu instid0(VALU_DEP_1) | instskip(NEXT) | instid1(VALU_DEP_2)
	v_cmp_gt_f32_e32 vcc_lo, 0x800000, v12
	v_fmac_f32_e32 v29, v29, v9
	v_cndmask_b32_e64 v28, 0, 32, vcc_lo
	v_cndmask_b32_e64 v31, 0, 0x41b17218, vcc_lo
	s_delay_alu instid0(VALU_DEP_2) | instskip(NEXT) | instid1(VALU_DEP_1)
	v_ldexp_f32 v12, v12, v28
	v_log_f32_e32 v12, v12
	v_nop
	s_delay_alu instid0(TRANS32_DEP_1) | instskip(SKIP_1) | instid1(VALU_DEP_2)
	v_mul_f32_e32 v28, 0x3f317217, v12
	v_cmp_gt_f32_e64 vcc_lo, 0x7f800000, |v12|
	v_fma_f32 v9, 0x3f317217, v12, -v28
	s_delay_alu instid0(VALU_DEP_1) | instskip(NEXT) | instid1(VALU_DEP_1)
	v_fmac_f32_e32 v9, 0x3377d1cf, v12
	v_fmac_f32_e32 v9, 0x3f317217, v12
	s_delay_alu instid0(VALU_DEP_1) | instskip(SKIP_2) | instid1(VALU_DEP_3)
	v_cndmask_b32_e32 v9, v12, v9, vcc_lo
	v_sub_f32_e32 v28, 0x3fc90fdb, v29
	v_cmp_eq_f32_e32 vcc_lo, 0, v25
	v_sub_f32_e32 v9, v9, v31
	s_delay_alu instid0(VALU_DEP_3) | instskip(SKIP_1) | instid1(VALU_DEP_2)
	v_cndmask_b32_e64 v28, v29, v28, s6
	v_cmp_gt_i32_e64 s6, 0, v24
	v_sub_f32_e32 v30, 0x40490fdb, v28
	s_delay_alu instid0(VALU_DEP_2) | instskip(SKIP_1) | instid1(VALU_DEP_1)
	v_cndmask_b32_e64 v29, 0, 0x40490fdb, s6
	v_cmp_gt_f32_e64 s6, 0, v24
	v_cndmask_b32_e64 v24, 0x3f490fdb, v34, s6
	s_delay_alu instid0(VALU_DEP_4) | instskip(NEXT) | instid1(VALU_DEP_1)
	v_cndmask_b32_e64 v12, v28, v30, s6
	v_cndmask_b32_e32 v28, v12, v29, vcc_lo
	s_and_b32 vcc_lo, s9, s7
	s_delay_alu instid0(VALU_DEP_1)
	v_dual_add_f32 v12, 1.0, v9 :: v_dual_cndmask_b32 v9, v28, v24
.LBB174_146:                            ;   in Loop: Header=BB174_4 Depth=1
	s_or_b32 exec_lo, exec_lo, s8
	s_and_not1_saveexec_b32 s6, s30
	s_cbranch_execz .LBB174_116
.LBB174_147:                            ;   in Loop: Header=BB174_4 Depth=1
	v_cmp_ngt_f32_e64 s7, 0x20000000, |v24|
	v_cmp_ngt_f32_e64 s8, 0x20000000, |v25|
                                        ; implicit-def: $vgpr9
	s_or_b32 s7, s8, s7
	s_delay_alu instid0(SALU_CYCLE_1) | instskip(NEXT) | instid1(SALU_CYCLE_1)
	s_and_saveexec_b32 s8, s7
	s_xor_b32 s7, exec_lo, s8
; %bb.148:                              ;   in Loop: Header=BB174_4 Depth=1
	v_pk_mul_f32 v[28:29], v[24:25], v[24:25]
	s_delay_alu instid0(VALU_DEP_1)
	v_add_f32_e32 v9, v29, v28
; %bb.149:                              ;   in Loop: Header=BB174_4 Depth=1
	s_and_not1_saveexec_b32 s7, s7
; %bb.150:                              ;   in Loop: Header=BB174_4 Depth=1
	v_pk_mul_f32 v[28:29], v[24:25], 4.0 op_sel_hi:[1,0]
	s_delay_alu instid0(VALU_DEP_1) | instskip(NEXT) | instid1(VALU_DEP_1)
	v_pk_mul_f32 v[28:29], v[28:29], v[28:29]
	v_add_f32_e32 v9, v29, v28
	s_delay_alu instid0(VALU_DEP_1)
	v_mul_f32_e32 v9, 0x3d800000, v9
; %bb.151:                              ;   in Loop: Header=BB174_4 Depth=1
	s_or_b32 exec_lo, exec_lo, s7
	s_delay_alu instid0(VALU_DEP_1) | instskip(SKIP_2) | instid1(VALU_DEP_2)
	v_cmp_gt_f32_e32 vcc_lo, 0x800000, v9
	v_cndmask_b32_e64 v12, 0, 32, vcc_lo
	v_cndmask_b32_e64 v24, 0, 0x41b17218, vcc_lo
	v_ldexp_f32 v9, v9, v12
	s_delay_alu instid0(VALU_DEP_1) | instskip(SKIP_1) | instid1(TRANS32_DEP_1)
	v_log_f32_e32 v9, v9
	v_nop
	v_mul_f32_e32 v12, 0x3f317217, v9
	v_cmp_gt_f32_e64 vcc_lo, 0x7f800000, |v9|
	s_delay_alu instid0(VALU_DEP_2) | instskip(NEXT) | instid1(VALU_DEP_1)
	v_fma_f32 v12, 0x3f317217, v9, -v12
	v_fmac_f32_e32 v12, 0x3377d1cf, v9
	s_delay_alu instid0(VALU_DEP_1) | instskip(NEXT) | instid1(VALU_DEP_1)
	v_fmac_f32_e32 v12, 0x3f317217, v9
	v_cndmask_b32_e32 v9, v9, v12, vcc_lo
	s_delay_alu instid0(VALU_DEP_1) | instskip(SKIP_2) | instid1(SALU_CYCLE_1)
	v_dual_sub_f32 v12, v9, v24 :: v_dual_mov_b32 v9, 0x7fc00000
	s_or_b32 exec_lo, exec_lo, s6
	s_and_saveexec_b32 s6, s2
	s_xor_b32 s2, exec_lo, s6
	s_cbranch_execz .LBB174_117
.LBB174_152:                            ;   in Loop: Header=BB174_4 Depth=1
	v_bfi_b32 v27, 0x7fffffff, v27, v15
	global_store_b64 v[10:11], v[26:27], off
	s_wait_xcnt 0x0
	s_or_b32 exec_lo, exec_lo, s2
	s_and_saveexec_b32 s2, s3
	s_cbranch_execz .LBB174_118
.LBB174_153:                            ;   in Loop: Header=BB174_4 Depth=1
	v_bfi_b32 v15, 0x7fffffff, v35, v19
	global_store_b64 v[16:17], v[14:15], off
	s_wait_xcnt 0x0
	s_or_b32 exec_lo, exec_lo, s2
	s_and_saveexec_b32 s2, s4
	s_cbranch_execz .LBB174_119
.LBB174_154:                            ;   in Loop: Header=BB174_4 Depth=1
	v_bfi_b32 v19, 0x7fffffff, v36, v13
	global_store_b64 v[20:21], v[18:19], off
	s_wait_xcnt 0x0
	s_or_b32 exec_lo, exec_lo, s2
	s_and_saveexec_b32 s2, s5
	s_cbranch_execz .LBB174_3
.LBB174_155:                            ;   in Loop: Header=BB174_4 Depth=1
	v_bfi_b32 v13, 0x7fffffff, v9, v25
	global_store_b64 v[22:23], v[12:13], off
	s_branch .LBB174_3
.LBB174_156:
	s_cbranch_execz .LBB174_158
	s_branch .LBB174_297
.LBB174_157:
.LBB174_158:
	v_min_i64 v[18:19], 0x10000, s[16:17]
	v_dual_mov_b32 v3, 0 :: v_dual_lshlrev_b32 v2, 2, v0
	s_mov_b32 s2, exec_lo
	s_delay_alu instid0(VALU_DEP_1)
	v_cmpx_lt_i64_e64 v[2:3], v[18:19]
	s_cbranch_execz .LBB174_297
; %bb.159:
	s_load_b32 s0, s[0:1], 0xd3c
	v_mov_b64_e32 v[20:21], 0x3f800000bf800000
	v_dual_mov_b32 v1, v3 :: v_dual_mov_b32 v22, 0x3f317218
	v_mov_b32_e32 v30, 0x4016cbe4
	s_mov_b32 s9, 0
	s_mov_b32 s10, 0x3e9b6dac
	;; [unrolled: 1-line block ×4, first 2 shown]
	s_wait_kmcnt 0x0
	s_and_b32 s8, s0, 0xffff
	s_branch .LBB174_162
.LBB174_160:                            ;   in Loop: Header=BB174_162 Depth=1
	s_or_b32 exec_lo, exec_lo, s1
	s_delay_alu instid0(VALU_DEP_1) | instskip(SKIP_2) | instid1(VALU_DEP_2)
	v_cmp_gt_f32_e32 vcc_lo, 0x800000, v2
	v_cndmask_b32_e64 v4, 0, 32, vcc_lo
	v_cndmask_b32_e64 v13, 0, 0x41b17218, vcc_lo
	v_ldexp_f32 v2, v2, v4
	s_delay_alu instid0(VALU_DEP_1) | instskip(SKIP_1) | instid1(TRANS32_DEP_1)
	v_log_f32_e32 v2, v2
	v_nop
	v_mul_f32_e32 v4, 0x3f317217, v2
	v_cmp_gt_f32_e64 vcc_lo, 0x7f800000, |v2|
	s_delay_alu instid0(VALU_DEP_2) | instskip(NEXT) | instid1(VALU_DEP_1)
	v_fma_f32 v4, 0x3f317217, v2, -v4
	v_fmac_f32_e32 v4, 0x3377d1cf, v2
	s_delay_alu instid0(VALU_DEP_1) | instskip(NEXT) | instid1(VALU_DEP_1)
	v_fmac_f32_e32 v4, 0x3f317217, v2
	v_cndmask_b32_e32 v2, v2, v4, vcc_lo
	s_delay_alu instid0(VALU_DEP_1)
	v_sub_f32_e32 v16, v2, v13
	v_mov_b32_e32 v2, 0x7fc00000
.LBB174_161:                            ;   in Loop: Header=BB174_162 Depth=1
	s_or_b32 exec_lo, exec_lo, s0
	v_add_nc_u64_e32 v[0:1], s[8:9], v[0:1]
	v_bfi_b32 v13, 0x7fffffff, v6, v9
	v_bfi_b32 v11, 0x7fffffff, v11, v7
	;; [unrolled: 1-line block ×4, first 2 shown]
	s_clause 0x1
	global_store_b128 v[24:25], v[10:13], off
	global_store_b128 v[24:25], v[14:17], off offset:16
	v_lshlrev_b64_e32 v[26:27], 2, v[0:1]
	s_delay_alu instid0(VALU_DEP_1)
	v_cmp_ge_i64_e32 vcc_lo, v[26:27], v[18:19]
	s_or_b32 s12, vcc_lo, s12
	s_wait_xcnt 0x0
	s_and_not1_b32 exec_lo, exec_lo, s12
	s_cbranch_execz .LBB174_297
.LBB174_162:                            ; =>This Loop Header: Depth=1
                                        ;     Child Loop BB174_173 Depth 2
                                        ;     Child Loop BB174_207 Depth 2
	;; [unrolled: 1-line block ×4, first 2 shown]
	v_lshlrev_b64_e32 v[2:3], 5, v[0:1]
                                        ; implicit-def: $vgpr10
                                        ; implicit-def: $vgpr11
	s_mov_b32 s0, exec_lo
	s_delay_alu instid0(VALU_DEP_1)
	v_add_nc_u64_e32 v[24:25], s[14:15], v[2:3]
	s_clause 0x1
	global_load_b128 v[6:9], v[24:25], off
	global_load_b128 v[2:5], v[24:25], off offset:16
	s_wait_loadcnt 0x1
	s_wait_xcnt 0x0
	v_cmpx_o_f32_e32 v7, v6
	s_xor_b32 s13, exec_lo, s0
	s_cbranch_execz .LBB174_190
; %bb.163:                              ;   in Loop: Header=BB174_162 Depth=1
	v_cmp_lt_f32_e64 s0, |v6|, |v7|
                                        ; implicit-def: $vgpr10
                                        ; implicit-def: $vgpr11
	s_mov_b32 s2, exec_lo
	v_cndmask_b32_e64 v12, v7, v6, s0
	s_delay_alu instid0(VALU_DEP_1)
	v_cmpx_nlt_f32_e64 0x77f684df, |v12|
	s_xor_b32 s16, exec_lo, s2
	s_cbranch_execz .LBB174_187
; %bb.164:                              ;   in Loop: Header=BB174_162 Depth=1
	v_cndmask_b32_e64 v10, v6, v7, s0
	v_and_b32_e32 v12, 0x7fffffff, v12
                                        ; implicit-def: $vgpr11
	s_mov_b32 s1, exec_lo
	s_delay_alu instid0(VALU_DEP_2) | instskip(NEXT) | instid1(VALU_DEP_1)
	v_and_b32_e32 v13, 0x7fffffff, v10
                                        ; implicit-def: $vgpr10
	v_cmpx_neq_f32_e32 1.0, v13
	s_xor_b32 s17, exec_lo, s1
	s_cbranch_execz .LBB174_180
; %bb.165:                              ;   in Loop: Header=BB174_162 Depth=1
	v_dual_max_num_f32 v10, v12, v12 :: v_dual_max_num_f32 v11, v13, v13
	s_delay_alu instid0(VALU_DEP_1) | instskip(NEXT) | instid1(VALU_DEP_1)
	v_dual_min_num_f32 v14, v11, v10 :: v_dual_max_num_f32 v10, v11, v10
                                        ; implicit-def: $vgpr11
	v_cmp_ngt_f32_e32 vcc_lo, 0x358637bd, v14
	s_delay_alu instid0(VALU_DEP_2) | instskip(SKIP_1) | instid1(SALU_CYCLE_1)
	v_cmp_nlt_f32_e64 s1, 0x49742400, v10
                                        ; implicit-def: $vgpr10
	s_and_b32 s1, s1, vcc_lo
	s_and_saveexec_b32 s2, s1
	s_delay_alu instid0(SALU_CYCLE_1)
	s_xor_b32 s18, exec_lo, s2
	s_cbranch_execz .LBB174_177
; %bb.166:                              ;   in Loop: Header=BB174_162 Depth=1
                                        ; implicit-def: $vgpr10
                                        ; implicit-def: $vgpr11
	s_mov_b32 s1, exec_lo
	v_cmpx_le_f32_e32 1.0, v13
	s_xor_b32 s2, exec_lo, s1
	s_cbranch_execz .LBB174_168
; %bb.167:                              ;   in Loop: Header=BB174_162 Depth=1
	v_pk_add_f32 v[10:11], v[12:13], v[20:21] op_sel:[1,0]
	v_mov_b32_e32 v14, v12
	v_cmp_class_f32_e64 s3, v6, 0x204
	s_delay_alu instid0(VALU_DEP_3) | instskip(SKIP_1) | instid1(VALU_DEP_1)
	v_dual_mov_b32 v13, v10 :: v_dual_mov_b32 v15, v11
	v_mul_f32_e32 v10, v10, v11
	v_pk_fma_f32 v[10:11], v[12:13], v[14:15], v[10:11] op_sel_hi:[1,1,0]
	s_delay_alu instid0(VALU_DEP_1) | instskip(SKIP_1) | instid1(VALU_DEP_2)
	v_add_f32_e32 v13, 1.0, v10
	v_cmp_neq_f32_e64 s1, -1.0, v10
	v_cvt_f64_f32_e32 v[14:15], v13
	s_delay_alu instid0(VALU_DEP_1) | instskip(SKIP_1) | instid1(VALU_DEP_1)
	v_frexp_exp_i32_f64_e32 v12, v[14:15]
	v_frexp_mant_f32_e32 v14, v13
	v_cmp_gt_f32_e32 vcc_lo, 0x3f2aaaab, v14
	s_delay_alu instid0(VALU_DEP_3) | instskip(SKIP_2) | instid1(VALU_DEP_2)
	v_subrev_co_ci_u32_e64 v23, null, 0, v12, vcc_lo
	v_add_f32_e32 v11, -1.0, v13
	v_cmp_neq_f32_e32 vcc_lo, 0x7f800000, v10
	v_dual_sub_nc_u32 v16, 0, v23 :: v_dual_mov_b32 v12, v11
	s_delay_alu instid0(VALU_DEP_1) | instskip(NEXT) | instid1(VALU_DEP_2)
	v_pk_add_f32 v[14:15], v[10:11], v[12:13] neg_lo:[0,1] neg_hi:[0,1]
	v_ldexp_f32 v11, v13, v16
	s_delay_alu instid0(VALU_DEP_2) | instskip(NEXT) | instid1(VALU_DEP_2)
	v_add_f32_e32 v12, 1.0, v15
	v_add_f32_e32 v15, 1.0, v11
	s_delay_alu instid0(VALU_DEP_1) | instskip(NEXT) | instid1(VALU_DEP_1)
	v_dual_add_f32 v13, -1.0, v15 :: v_dual_add_f32 v12, v14, v12
	v_dual_add_f32 v17, -1.0, v11 :: v_dual_sub_f32 v13, v11, v13
	s_delay_alu instid0(VALU_DEP_2) | instskip(NEXT) | instid1(VALU_DEP_1)
	v_ldexp_f32 v12, v12, v16
	v_add_f32_e32 v16, v12, v13
	s_delay_alu instid0(VALU_DEP_1) | instskip(NEXT) | instid1(VALU_DEP_1)
	v_dual_add_f32 v14, 1.0, v17 :: v_dual_add_f32 v26, v15, v16
	v_sub_f32_e32 v11, v11, v14
	s_delay_alu instid0(VALU_DEP_2) | instskip(NEXT) | instid1(VALU_DEP_1)
	v_rcp_f32_e32 v27, v26
	v_add_f32_e32 v11, v12, v11
	v_sub_f32_e32 v12, v26, v15
	s_delay_alu instid0(VALU_DEP_1)
	v_dual_add_f32 v13, v17, v11 :: v_dual_sub_f32 v29, v16, v12
	s_delay_alu instid0(TRANS32_DEP_1) | instid1(VALU_DEP_1)
	v_mul_f32_e32 v28, v13, v27
	s_delay_alu instid0(VALU_DEP_1) | instskip(NEXT) | instid1(VALU_DEP_1)
	v_mul_f32_e32 v14, v26, v28
	v_fma_f32 v16, v28, v26, -v14
	s_delay_alu instid0(VALU_DEP_1) | instskip(NEXT) | instid1(VALU_DEP_1)
	v_fmac_f32_e32 v16, v28, v29
	v_dual_add_f32 v12, v14, v16 :: v_dual_sub_f32 v31, v13, v17
	s_delay_alu instid0(VALU_DEP_1) | instskip(NEXT) | instid1(VALU_DEP_2)
	v_dual_mov_b32 v17, v12 :: v_dual_sub_f32 v15, v13, v12
	v_sub_f32_e32 v11, v11, v31
	s_delay_alu instid0(VALU_DEP_2) | instskip(NEXT) | instid1(VALU_DEP_1)
	v_pk_add_f32 v[12:13], v[12:13], v[14:15] neg_lo:[0,1] neg_hi:[0,1]
	v_pk_add_f32 v[12:13], v[12:13], v[16:17] neg_lo:[0,1] neg_hi:[0,1]
	s_delay_alu instid0(VALU_DEP_1) | instskip(NEXT) | instid1(VALU_DEP_1)
	v_add_f32_e32 v11, v11, v13
	v_add_f32_e32 v11, v12, v11
	s_delay_alu instid0(VALU_DEP_1) | instskip(NEXT) | instid1(VALU_DEP_1)
	v_add_f32_e32 v13, v15, v11
	v_mul_f32_e32 v31, v27, v13
	s_delay_alu instid0(VALU_DEP_1) | instskip(NEXT) | instid1(VALU_DEP_1)
	v_mul_f32_e32 v16, v26, v31
	v_fma_f32 v14, v31, v26, -v16
	v_sub_f32_e32 v26, v15, v13
	s_delay_alu instid0(VALU_DEP_2) | instskip(NEXT) | instid1(VALU_DEP_2)
	v_fmac_f32_e32 v14, v31, v29
	v_dual_add_f32 v11, v11, v26 :: v_dual_add_f32 v26, v28, v31
	s_delay_alu instid0(VALU_DEP_2) | instskip(NEXT) | instid1(VALU_DEP_1)
	v_add_f32_e32 v12, v16, v14
	v_dual_mov_b32 v15, v12 :: v_dual_sub_f32 v17, v13, v12
	s_delay_alu instid0(VALU_DEP_1) | instskip(NEXT) | instid1(VALU_DEP_1)
	v_pk_add_f32 v[12:13], v[12:13], v[16:17] neg_lo:[0,1] neg_hi:[0,1]
	v_pk_add_f32 v[12:13], v[12:13], v[14:15] neg_lo:[0,1] neg_hi:[0,1]
	s_delay_alu instid0(VALU_DEP_1) | instskip(NEXT) | instid1(VALU_DEP_1)
	v_add_f32_e32 v11, v11, v13
	v_dual_add_f32 v11, v12, v11 :: v_dual_sub_f32 v12, v26, v28
	s_delay_alu instid0(VALU_DEP_1) | instskip(NEXT) | instid1(VALU_DEP_1)
	v_dual_add_f32 v11, v17, v11 :: v_dual_sub_f32 v12, v31, v12
	v_mul_f32_e32 v11, v27, v11
	s_delay_alu instid0(VALU_DEP_1) | instskip(SKIP_1) | instid1(VALU_DEP_2)
	v_add_f32_e32 v11, v12, v11
	v_cvt_f32_i32_e32 v12, v23
	v_add_f32_e32 v27, v26, v11
	s_delay_alu instid0(VALU_DEP_1) | instskip(SKIP_1) | instid1(VALU_DEP_2)
	v_mul_f32_e32 v14, v27, v27
	v_ldexp_f32 v17, v27, 1
	v_fmaak_f32 v15, s10, v14, 0x3ecc95a3
	v_mul_f32_e32 v13, v27, v14
	s_delay_alu instid0(VALU_DEP_2) | instskip(NEXT) | instid1(VALU_DEP_1)
	v_fmaak_f32 v23, v14, v15, 0x3f2aaada
	v_pk_mul_f32 v[14:15], v[12:13], v[22:23]
	s_delay_alu instid0(VALU_DEP_1) | instskip(NEXT) | instid1(VALU_DEP_1)
	v_fma_f32 v16, 0x3f317218, v12, -v14
	v_fmac_f32_e32 v16, 0xb102e308, v12
	s_delay_alu instid0(VALU_DEP_1) | instskip(NEXT) | instid1(VALU_DEP_1)
	v_pk_add_f32 v[12:13], v[14:15], v[16:17]
	v_dual_sub_f32 v17, v13, v17 :: v_dual_sub_f32 v23, v27, v26
	v_dual_mov_b32 v26, v14 :: v_dual_mov_b32 v36, v13
	s_delay_alu instid0(VALU_DEP_2) | instskip(NEXT) | instid1(VALU_DEP_3)
	v_sub_f32_e32 v17, v15, v17
	v_sub_f32_e32 v11, v11, v23
	v_pk_add_f32 v[14:15], v[12:13], v[14:15] neg_lo:[0,1] neg_hi:[0,1]
	v_max_num_f32_e64 v23, |v6|, |v6|
	s_delay_alu instid0(VALU_DEP_3) | instskip(NEXT) | instid1(VALU_DEP_1)
	v_ldexp_f32 v11, v11, 1
	v_dual_add_f32 v27, v11, v17 :: v_dual_mov_b32 v17, v12
	v_max_num_f32_e64 v11, |v7|, |v7|
	s_delay_alu instid0(VALU_DEP_2) | instskip(NEXT) | instid1(VALU_DEP_2)
	v_pk_add_f32 v[28:29], v[12:13], v[26:27]
	v_dual_max_num_f32 v31, v23, v11 :: v_dual_min_num_f32 v11, v23, v11
	s_delay_alu instid0(VALU_DEP_2) | instskip(NEXT) | instid1(VALU_DEP_2)
	v_mov_b32_e32 v15, v29
	v_frexp_exp_i32_f32_e32 v23, v31
	s_delay_alu instid0(VALU_DEP_3) | instskip(SKIP_1) | instid1(VALU_DEP_4)
	v_frexp_mant_f32_e32 v38, v11
	v_frexp_mant_f32_e32 v31, v31
	v_pk_add_f32 v[32:33], v[16:17], v[14:15]
	v_frexp_exp_i32_f32_e32 v32, v11
	v_pk_add_f32 v[14:15], v[16:17], v[14:15] neg_lo:[0,1] neg_hi:[0,1]
	s_delay_alu instid0(VALU_DEP_4) | instskip(NEXT) | instid1(VALU_DEP_2)
	v_rcp_f32_e32 v31, v31
	v_dual_mov_b32 v26, v33 :: v_dual_sub_nc_u32 v23, v32, v23
	s_delay_alu instid0(VALU_DEP_1) | instskip(SKIP_1) | instid1(VALU_DEP_2)
	v_pk_add_f32 v[34:35], v[26:27], v[12:13] neg_lo:[0,1] neg_hi:[0,1]
	v_dual_mov_b32 v32, v29 :: v_dual_mov_b32 v13, v12
	v_dual_mov_b32 v12, v27 :: v_dual_mov_b32 v37, v34
	v_mov_b32_e32 v11, v34
	s_delay_alu instid0(VALU_DEP_2) | instskip(NEXT) | instid1(VALU_DEP_2)
	v_pk_add_f32 v[16:17], v[32:33], v[36:37] neg_lo:[0,1] neg_hi:[0,1]
	v_pk_add_f32 v[28:29], v[28:29], v[10:11] neg_lo:[0,1] neg_hi:[0,1]
	v_mov_b32_e32 v28, v14
	s_delay_alu instid0(VALU_DEP_3) | instskip(NEXT) | instid1(VALU_DEP_1)
	v_pk_add_f32 v[12:13], v[12:13], v[16:17] neg_lo:[0,1] neg_hi:[0,1]
	v_pk_add_f32 v[16:17], v[28:29], v[12:13]
	s_delay_alu instid0(VALU_DEP_1) | instskip(NEXT) | instid1(VALU_DEP_1)
	v_dual_mul_f32 v15, v38, v31 :: v_dual_mov_b32 v28, v17
	v_ldexp_f32 v11, v15, v23
	v_mov_b32_e32 v15, v33
	s_delay_alu instid0(VALU_DEP_3) | instskip(NEXT) | instid1(VALU_DEP_3)
	v_pk_add_f32 v[28:29], v[16:17], v[28:29]
	v_mul_f32_e32 v23, v11, v11
	s_delay_alu instid0(VALU_DEP_2) | instskip(NEXT) | instid1(VALU_DEP_1)
	v_pk_add_f32 v[26:27], v[26:27], v[28:29]
	v_mov_b32_e32 v17, v26
	s_delay_alu instid0(VALU_DEP_1) | instskip(NEXT) | instid1(VALU_DEP_1)
	v_pk_add_f32 v[32:33], v[16:17], v[14:15] neg_lo:[0,1] neg_hi:[0,1]
	v_dual_fmaak_f32 v13, s11, v23, 0xbc7a590c :: v_dual_sub_f32 v16, v16, v32
	s_delay_alu instid0(VALU_DEP_1) | instskip(NEXT) | instid1(VALU_DEP_1)
	v_dual_fmaak_f32 v13, v23, v13, 0x3d29fb3f :: v_dual_sub_f32 v14, v14, v16
	v_fmaak_f32 v13, v23, v13, 0xbd97d4d7
	s_delay_alu instid0(VALU_DEP_1) | instskip(NEXT) | instid1(VALU_DEP_1)
	v_fmaak_f32 v13, v23, v13, 0x3dd931b2
	v_fmaak_f32 v15, v23, v13, 0xbe1160e6
	v_mov_b32_e32 v13, v28
	s_delay_alu instid0(VALU_DEP_1) | instskip(NEXT) | instid1(VALU_DEP_1)
	v_pk_add_f32 v[12:13], v[12:13], v[32:33] neg_lo:[0,1] neg_hi:[0,1]
	v_add_f32_e32 v12, v12, v14
	s_delay_alu instid0(VALU_DEP_1) | instskip(NEXT) | instid1(VALU_DEP_1)
	v_dual_add_f32 v12, v12, v13 :: v_dual_fmaak_f32 v15, v23, v15, 0x3e4cb8bf
	v_dual_add_f32 v12, v26, v12 :: v_dual_fmaak_f32 v15, v23, v15, 0xbeaaaa62
	s_delay_alu instid0(VALU_DEP_1) | instskip(NEXT) | instid1(VALU_DEP_2)
	v_cndmask_b32_e32 v12, 0x7f800000, v12, vcc_lo
	v_mul_f32_e32 v14, v23, v15
	v_cmp_gt_i32_e32 vcc_lo, 0, v6
	s_delay_alu instid0(VALU_DEP_2) | instskip(NEXT) | instid1(VALU_DEP_1)
	v_fmac_f32_e32 v11, v11, v14
	v_sub_f32_e32 v13, 0x3fc90fdb, v11
	s_delay_alu instid0(VALU_DEP_1) | instskip(SKIP_2) | instid1(VALU_DEP_3)
	v_cndmask_b32_e64 v11, v11, v13, s0
	v_cndmask_b32_e64 v13, 0, 0x40490fdb, vcc_lo
	v_cmp_ngt_f32_e32 vcc_lo, -1.0, v10
	v_sub_f32_e32 v14, 0x40490fdb, v11
	v_cndmask_b32_e32 v12, 0x7fc00000, v12, vcc_lo
	v_cmp_gt_f32_e32 vcc_lo, 0, v6
	s_delay_alu instid0(VALU_DEP_2) | instskip(NEXT) | instid1(VALU_DEP_4)
	v_cndmask_b32_e64 v12, 0xff800000, v12, s1
	v_cndmask_b32_e32 v11, v11, v14, vcc_lo
	v_cndmask_b32_e32 v14, 0x3f490fdb, v30, vcc_lo
	v_cmp_gt_f32_e64 vcc_lo, 0x33800000, |v10|
	v_cmp_class_f32_e64 s1, v7, 0x204
	v_cndmask_b32_e32 v10, v12, v10, vcc_lo
	v_cmp_eq_f32_e32 vcc_lo, 0, v7
	s_delay_alu instid0(VALU_DEP_2) | instskip(SKIP_1) | instid1(VALU_DEP_1)
	v_dual_mul_f32 v10, 0.5, v10 :: v_dual_cndmask_b32 v11, v11, v13
	s_and_b32 vcc_lo, s3, s1
                                        ; implicit-def: $vgpr12_vgpr13
	v_cndmask_b32_e32 v11, v11, v14, vcc_lo
.LBB174_168:                            ;   in Loop: Header=BB174_162 Depth=1
	s_and_not1_saveexec_b32 s19, s2
	s_cbranch_execz .LBB174_176
; %bb.169:                              ;   in Loop: Header=BB174_162 Depth=1
	v_pk_mul_f32 v[10:11], v[12:13], v[12:13]
	s_mov_b32 s1, exec_lo
	s_delay_alu instid0(VALU_DEP_1) | instskip(NEXT) | instid1(VALU_DEP_1)
	v_add_f32_e32 v14, v11, v10
                                        ; implicit-def: $vgpr10
                                        ; implicit-def: $vgpr11
	v_cmpx_ge_f32_e32 0x3f333333, v14
	s_xor_b32 s2, exec_lo, s1
	s_cbranch_execz .LBB174_171
; %bb.170:                              ;   in Loop: Header=BB174_162 Depth=1
	v_max_num_f32_e64 v10, |v7|, |v7|
	v_max_num_f32_e64 v11, |v6|, |v6|
	v_cmp_gt_f32_e32 vcc_lo, 0x800000, v14
	v_cmp_gt_i32_e64 s1, 0, v6
	v_cmp_class_f32_e64 s3, v6, 0x204
	v_cmp_class_f32_e64 s4, v7, 0x204
	v_dual_max_num_f32 v12, v11, v10 :: v_dual_min_num_f32 v10, v11, v10
	v_cndmask_b32_e64 v15, 0, 0x41b17218, vcc_lo
	s_delay_alu instid0(VALU_DEP_2) | instskip(SKIP_1) | instid1(VALU_DEP_2)
	v_frexp_mant_f32_e32 v13, v12
	v_frexp_exp_i32_f32_e32 v11, v12
	v_rcp_f32_e32 v12, v13
	v_nop
	v_frexp_exp_i32_f32_e32 v13, v10
	v_frexp_mant_f32_e32 v10, v10
	s_delay_alu instid0(TRANS32_DEP_1) | instid1(VALU_DEP_1)
	v_dual_mul_f32 v10, v10, v12 :: v_dual_sub_nc_u32 v11, v13, v11
	v_cndmask_b32_e64 v13, 0, 32, vcc_lo
	s_delay_alu instid0(VALU_DEP_2) | instskip(NEXT) | instid1(VALU_DEP_2)
	v_ldexp_f32 v10, v10, v11
	v_ldexp_f32 v13, v14, v13
	s_delay_alu instid0(VALU_DEP_1) | instskip(NEXT) | instid1(VALU_DEP_2)
	v_log_f32_e32 v13, v13
	v_mul_f32_e32 v11, v10, v10
	s_delay_alu instid0(VALU_DEP_1) | instskip(NEXT) | instid1(TRANS32_DEP_1)
	v_fmaak_f32 v12, s11, v11, 0xbc7a590c
	v_cmp_gt_f32_e64 vcc_lo, 0x7f800000, |v13|
	s_delay_alu instid0(VALU_DEP_2) | instskip(NEXT) | instid1(VALU_DEP_1)
	v_fmaak_f32 v12, v11, v12, 0x3d29fb3f
	v_fmaak_f32 v12, v11, v12, 0xbd97d4d7
	s_delay_alu instid0(VALU_DEP_1) | instskip(NEXT) | instid1(VALU_DEP_1)
	v_fmaak_f32 v12, v11, v12, 0x3dd931b2
	v_fmaak_f32 v12, v11, v12, 0xbe1160e6
	s_delay_alu instid0(VALU_DEP_1) | instskip(NEXT) | instid1(VALU_DEP_1)
	;; [unrolled: 3-line block ×3, first 2 shown]
	v_dual_mul_f32 v11, v11, v12 :: v_dual_mul_f32 v12, 0x3f317217, v13
	v_fmac_f32_e32 v10, v10, v11
	s_delay_alu instid0(VALU_DEP_2) | instskip(NEXT) | instid1(VALU_DEP_1)
	v_fma_f32 v11, 0x3f317217, v13, -v12
	v_fmac_f32_e32 v11, 0x3377d1cf, v13
	s_delay_alu instid0(VALU_DEP_3) | instskip(NEXT) | instid1(VALU_DEP_2)
	v_sub_f32_e32 v12, 0x3fc90fdb, v10
	v_fmac_f32_e32 v11, 0x3f317217, v13
	s_delay_alu instid0(VALU_DEP_1) | instskip(SKIP_1) | instid1(VALU_DEP_2)
	v_cndmask_b32_e32 v11, v13, v11, vcc_lo
	v_cmp_gt_f32_e32 vcc_lo, 0, v6
	v_sub_f32_e32 v11, v11, v15
	v_cndmask_b32_e32 v13, 0x3f490fdb, v30, vcc_lo
	v_cndmask_b32_e64 v10, v10, v12, s0
	v_cndmask_b32_e64 v12, 0, 0x40490fdb, s1
	v_cmp_eq_f32_e64 s1, 0, v7
	s_delay_alu instid0(VALU_DEP_3) | instskip(NEXT) | instid1(VALU_DEP_1)
	v_sub_f32_e32 v14, 0x40490fdb, v10
	v_cndmask_b32_e32 v10, v10, v14, vcc_lo
	s_and_b32 vcc_lo, s3, s4
	s_delay_alu instid0(VALU_DEP_1) | instskip(NEXT) | instid1(VALU_DEP_1)
	v_dual_cndmask_b32 v12, v10, v12, s1 :: v_dual_mul_f32 v10, 0.5, v11
	v_cndmask_b32_e32 v11, v12, v13, vcc_lo
                                        ; implicit-def: $vgpr12
.LBB174_171:                            ;   in Loop: Header=BB174_162 Depth=1
	s_and_not1_saveexec_b32 s20, s2
	s_cbranch_execz .LBB174_175
; %bb.172:                              ;   in Loop: Header=BB174_162 Depth=1
	v_and_b32_e32 v11, 0x7fff0000, v12
	v_and_b32_e32 v10, 0x7fff0000, v13
	s_mov_b32 s21, 0
	s_delay_alu instid0(VALU_DEP_1) | instskip(SKIP_2) | instid1(VALU_DEP_2)
	v_dual_add_f32 v27, v11, v11 :: v_dual_add_f32 v17, v10, v10
	v_pk_add_f32 v[12:13], v[12:13], v[10:11] op_sel:[1,0] op_sel_hi:[0,1] neg_lo:[0,1] neg_hi:[0,1]
	v_pk_mul_f32 v[10:11], v[10:11], v[10:11]
	v_and_b32_e32 v15, 0xffff0000, v13
	s_delay_alu instid0(VALU_DEP_3) | instskip(NEXT) | instid1(VALU_DEP_1)
	v_and_b32_e32 v14, 0xffff0000, v12
	v_dual_add_f32 v31, v15, v15 :: v_dual_add_f32 v29, v14, v14
	v_pk_add_f32 v[12:13], v[12:13], v[14:15] neg_lo:[0,1] neg_hi:[0,1]
	v_dual_mul_f32 v16, v17, v14 :: v_dual_mul_f32 v26, v27, v15
	v_pk_mul_f32 v[14:15], v[14:15], v[14:15]
	s_delay_alu instid0(VALU_DEP_3)
	v_dual_mul_f32 v23, v17, v12 :: v_dual_mul_f32 v28, v27, v13
	v_dual_mul_f32 v17, v29, v12 :: v_dual_mul_f32 v27, v31, v13
	v_pk_mul_f32 v[12:13], v[12:13], v[12:13]
.LBB174_173:                            ;   Parent Loop BB174_162 Depth=1
                                        ; =>  This Inner Loop Header: Depth=2
	v_cmp_nlt_f32_e32 vcc_lo, v10, v11
	v_dual_cndmask_b32 v29, v10, v11 :: v_dual_cndmask_b32 v10, v11, v10
	s_delay_alu instid0(VALU_DEP_1) | instskip(NEXT) | instid1(VALU_DEP_1)
	v_cmp_nlt_f32_e64 s1, v29, v16
	v_dual_cndmask_b32 v31, v29, v16, s1 :: v_dual_cndmask_b32 v11, v16, v29, s1
	s_and_b32 s1, vcc_lo, s1
	s_delay_alu instid0(VALU_DEP_1) | instskip(NEXT) | instid1(VALU_DEP_1)
	v_cmp_nlt_f32_e64 s2, v31, v26
	v_dual_cndmask_b32 v32, v31, v26, s2 :: v_dual_cndmask_b32 v16, v26, v31, s2
	s_delay_alu instid0(VALU_DEP_1) | instskip(NEXT) | instid1(VALU_DEP_1)
	v_cmp_nlt_f32_e64 s3, v32, v14
	v_cndmask_b32_e64 v29, v32, v14, s3
	s_and_b32 s22, s2, s3
	v_cndmask_b32_e64 v26, v14, v32, s3
	s_delay_alu instid0(VALU_DEP_2) | instskip(NEXT) | instid1(VALU_DEP_1)
	v_cmp_nlt_f32_e64 s4, v29, v15
	v_cndmask_b32_e64 v31, v29, v15, s4
	s_delay_alu instid0(VALU_DEP_1) | instskip(NEXT) | instid1(VALU_DEP_1)
	v_cmp_nlt_f32_e64 s5, v31, v23
	v_cndmask_b32_e64 v33, v31, v23, s5
	v_cndmask_b32_e64 v14, v15, v29, s4
	s_and_b32 s4, s4, s5
	v_cndmask_b32_e64 v15, v23, v31, s5
	s_delay_alu instid0(VALU_DEP_3) | instskip(NEXT) | instid1(VALU_DEP_1)
	v_cmp_nlt_f32_e64 s6, v33, v28
	v_cndmask_b32_e64 v34, v33, v28, s6
	s_and_b32 s4, s4, s6
	s_delay_alu instid0(VALU_DEP_1) | instskip(NEXT) | instid1(VALU_DEP_1)
	v_cmp_nlt_f32_e64 s7, v34, v17
	v_cndmask_b32_e64 v32, v34, v17, s7
	s_and_b32 s5, s4, s7
	s_delay_alu instid0(VALU_DEP_1) | instskip(NEXT) | instid1(VALU_DEP_1)
	v_cmp_nlt_f32_e64 s2, v32, v27
	v_cndmask_b32_e64 v29, v32, v27, s2
	v_dual_cndmask_b32 v23, v28, v33, s6 :: v_dual_cndmask_b32 v28, v17, v34, s7
	s_delay_alu instid0(VALU_DEP_2)
	v_cmp_nlt_f32_e64 s3, v29, v12
	v_cndmask_b32_e64 v17, v27, v32, s2
	s_and_b32 s2, s5, s2
	v_cndmask_b32_e64 v31, v29, v12, s3
	s_and_b32 s2, s2, s3
	v_cndmask_b32_e64 v27, v12, v29, s3
	s_delay_alu instid0(VALU_DEP_2) | instskip(SKIP_3) | instid1(SALU_CYCLE_1)
	v_cmp_nlt_f32_e64 s4, v31, v13
	s_and_b32 s2, s2, s4
	v_dual_cndmask_b32 v12, v13, v31, s4 :: v_dual_cndmask_b32 v13, v31, v13, s4
	s_and_b32 s2, s2, s22
	s_and_b32 s1, s2, s1
	s_delay_alu instid0(SALU_CYCLE_1) | instskip(NEXT) | instid1(SALU_CYCLE_1)
	s_and_b32 s1, exec_lo, s1
	s_or_b32 s21, s1, s21
	s_delay_alu instid0(SALU_CYCLE_1)
	s_and_not1_b32 exec_lo, exec_lo, s21
	s_cbranch_execnz .LBB174_173
; %bb.174:                              ;   in Loop: Header=BB174_162 Depth=1
	s_or_b32 exec_lo, exec_lo, s21
	v_add_f32_e32 v10, -1.0, v10
	v_cmp_class_f32_e64 s2, v6, 0x204
	s_delay_alu instid0(VALU_DEP_2) | instskip(NEXT) | instid1(VALU_DEP_1)
	v_add_f32_e32 v10, v10, v11
	v_add_f32_e32 v10, v10, v16
	s_delay_alu instid0(VALU_DEP_1) | instskip(NEXT) | instid1(VALU_DEP_1)
	v_add_f32_e32 v10, v10, v26
	v_add_f32_e32 v10, v10, v14
	s_delay_alu instid0(VALU_DEP_1) | instskip(NEXT) | instid1(VALU_DEP_1)
	;; [unrolled: 3-line block ×5, first 2 shown]
	v_add_f32_e32 v10, v13, v10
	v_add_f32_e32 v13, 1.0, v10
	s_delay_alu instid0(VALU_DEP_1) | instskip(SKIP_1) | instid1(VALU_DEP_2)
	v_cvt_f64_f32_e32 v[14:15], v13
	v_add_f32_e32 v11, -1.0, v13
	v_frexp_exp_i32_f64_e32 v12, v[14:15]
	v_frexp_mant_f32_e32 v14, v13
	s_delay_alu instid0(VALU_DEP_1) | instskip(NEXT) | instid1(VALU_DEP_3)
	v_cmp_gt_f32_e32 vcc_lo, 0x3f2aaaab, v14
	v_subrev_co_ci_u32_e64 v23, null, 0, v12, vcc_lo
	s_delay_alu instid0(VALU_DEP_1) | instskip(NEXT) | instid1(VALU_DEP_1)
	v_dual_mov_b32 v12, v11 :: v_dual_sub_nc_u32 v16, 0, v23
	v_pk_add_f32 v[14:15], v[10:11], v[12:13] neg_lo:[0,1] neg_hi:[0,1]
	s_delay_alu instid0(VALU_DEP_2) | instskip(NEXT) | instid1(VALU_DEP_2)
	v_ldexp_f32 v11, v13, v16
	v_add_f32_e32 v12, 1.0, v15
	s_delay_alu instid0(VALU_DEP_2) | instskip(NEXT) | instid1(VALU_DEP_2)
	v_dual_add_f32 v15, 1.0, v11 :: v_dual_add_f32 v17, -1.0, v11
	v_add_f32_e32 v12, v14, v12
	v_cmp_neq_f32_e32 vcc_lo, 0x7f800000, v10
	v_cmp_neq_f32_e64 s1, -1.0, v10
	s_delay_alu instid0(VALU_DEP_4) | instskip(NEXT) | instid1(VALU_DEP_4)
	v_dual_add_f32 v13, -1.0, v15 :: v_dual_add_f32 v14, 1.0, v17
	v_ldexp_f32 v12, v12, v16
	s_delay_alu instid0(VALU_DEP_2) | instskip(NEXT) | instid1(VALU_DEP_1)
	v_dual_sub_f32 v13, v11, v13 :: v_dual_sub_f32 v11, v11, v14
	v_add_f32_e32 v16, v12, v13
	s_delay_alu instid0(VALU_DEP_1) | instskip(NEXT) | instid1(VALU_DEP_1)
	v_dual_add_f32 v26, v15, v16 :: v_dual_add_f32 v11, v12, v11
	v_rcp_f32_e32 v27, v26
	v_sub_f32_e32 v12, v26, v15
	s_delay_alu instid0(VALU_DEP_1)
	v_dual_add_f32 v13, v17, v11 :: v_dual_sub_f32 v29, v16, v12
	s_delay_alu instid0(TRANS32_DEP_1) | instid1(VALU_DEP_1)
	v_mul_f32_e32 v28, v13, v27
	s_delay_alu instid0(VALU_DEP_1) | instskip(NEXT) | instid1(VALU_DEP_1)
	v_mul_f32_e32 v14, v26, v28
	v_fma_f32 v16, v28, v26, -v14
	s_delay_alu instid0(VALU_DEP_1) | instskip(NEXT) | instid1(VALU_DEP_1)
	v_fmac_f32_e32 v16, v28, v29
	v_dual_add_f32 v12, v14, v16 :: v_dual_sub_f32 v31, v13, v17
	s_delay_alu instid0(VALU_DEP_1) | instskip(NEXT) | instid1(VALU_DEP_2)
	v_dual_mov_b32 v17, v12 :: v_dual_sub_f32 v15, v13, v12
	v_sub_f32_e32 v11, v11, v31
	s_delay_alu instid0(VALU_DEP_2) | instskip(NEXT) | instid1(VALU_DEP_1)
	v_pk_add_f32 v[12:13], v[12:13], v[14:15] neg_lo:[0,1] neg_hi:[0,1]
	v_pk_add_f32 v[12:13], v[12:13], v[16:17] neg_lo:[0,1] neg_hi:[0,1]
	s_delay_alu instid0(VALU_DEP_1) | instskip(NEXT) | instid1(VALU_DEP_1)
	v_add_f32_e32 v11, v11, v13
	v_add_f32_e32 v11, v12, v11
	s_delay_alu instid0(VALU_DEP_1) | instskip(NEXT) | instid1(VALU_DEP_1)
	v_add_f32_e32 v13, v15, v11
	v_mul_f32_e32 v31, v27, v13
	s_delay_alu instid0(VALU_DEP_1) | instskip(NEXT) | instid1(VALU_DEP_1)
	v_mul_f32_e32 v16, v26, v31
	v_fma_f32 v14, v31, v26, -v16
	v_sub_f32_e32 v26, v15, v13
	s_delay_alu instid0(VALU_DEP_2) | instskip(NEXT) | instid1(VALU_DEP_2)
	v_fmac_f32_e32 v14, v31, v29
	v_dual_add_f32 v11, v11, v26 :: v_dual_add_f32 v26, v28, v31
	s_delay_alu instid0(VALU_DEP_2) | instskip(NEXT) | instid1(VALU_DEP_1)
	v_add_f32_e32 v12, v16, v14
	v_dual_mov_b32 v15, v12 :: v_dual_sub_f32 v17, v13, v12
	s_delay_alu instid0(VALU_DEP_1) | instskip(NEXT) | instid1(VALU_DEP_1)
	v_pk_add_f32 v[12:13], v[12:13], v[16:17] neg_lo:[0,1] neg_hi:[0,1]
	v_pk_add_f32 v[12:13], v[12:13], v[14:15] neg_lo:[0,1] neg_hi:[0,1]
	s_delay_alu instid0(VALU_DEP_1) | instskip(NEXT) | instid1(VALU_DEP_1)
	v_add_f32_e32 v11, v11, v13
	v_dual_add_f32 v11, v12, v11 :: v_dual_sub_f32 v12, v26, v28
	s_delay_alu instid0(VALU_DEP_1) | instskip(NEXT) | instid1(VALU_DEP_1)
	v_dual_add_f32 v11, v17, v11 :: v_dual_sub_f32 v12, v31, v12
	v_mul_f32_e32 v11, v27, v11
	s_delay_alu instid0(VALU_DEP_1) | instskip(SKIP_1) | instid1(VALU_DEP_2)
	v_add_f32_e32 v11, v12, v11
	v_cvt_f32_i32_e32 v12, v23
	v_add_f32_e32 v27, v26, v11
	s_delay_alu instid0(VALU_DEP_1) | instskip(SKIP_1) | instid1(VALU_DEP_2)
	v_mul_f32_e32 v14, v27, v27
	v_ldexp_f32 v17, v27, 1
	v_fmaak_f32 v15, s10, v14, 0x3ecc95a3
	v_mul_f32_e32 v13, v27, v14
	s_delay_alu instid0(VALU_DEP_2) | instskip(NEXT) | instid1(VALU_DEP_1)
	v_fmaak_f32 v23, v14, v15, 0x3f2aaada
	v_pk_mul_f32 v[14:15], v[12:13], v[22:23]
	s_delay_alu instid0(VALU_DEP_1) | instskip(NEXT) | instid1(VALU_DEP_1)
	v_fma_f32 v16, 0x3f317218, v12, -v14
	v_fmac_f32_e32 v16, 0xb102e308, v12
	s_delay_alu instid0(VALU_DEP_1) | instskip(NEXT) | instid1(VALU_DEP_1)
	v_pk_add_f32 v[12:13], v[14:15], v[16:17]
	v_dual_sub_f32 v17, v13, v17 :: v_dual_sub_f32 v23, v27, v26
	v_dual_mov_b32 v26, v14 :: v_dual_mov_b32 v36, v13
	s_delay_alu instid0(VALU_DEP_2) | instskip(NEXT) | instid1(VALU_DEP_3)
	v_sub_f32_e32 v17, v15, v17
	v_sub_f32_e32 v11, v11, v23
	v_pk_add_f32 v[14:15], v[12:13], v[14:15] neg_lo:[0,1] neg_hi:[0,1]
	v_max_num_f32_e64 v23, |v6|, |v6|
	s_delay_alu instid0(VALU_DEP_3) | instskip(NEXT) | instid1(VALU_DEP_1)
	v_ldexp_f32 v11, v11, 1
	v_dual_add_f32 v27, v11, v17 :: v_dual_mov_b32 v17, v12
	v_max_num_f32_e64 v11, |v7|, |v7|
	s_delay_alu instid0(VALU_DEP_2) | instskip(NEXT) | instid1(VALU_DEP_2)
	v_pk_add_f32 v[28:29], v[12:13], v[26:27]
	v_dual_max_num_f32 v31, v23, v11 :: v_dual_min_num_f32 v11, v23, v11
	s_delay_alu instid0(VALU_DEP_2) | instskip(NEXT) | instid1(VALU_DEP_2)
	v_mov_b32_e32 v15, v29
	v_frexp_exp_i32_f32_e32 v23, v31
	s_delay_alu instid0(VALU_DEP_3) | instskip(SKIP_1) | instid1(VALU_DEP_4)
	v_frexp_mant_f32_e32 v38, v11
	v_frexp_mant_f32_e32 v31, v31
	v_pk_add_f32 v[32:33], v[16:17], v[14:15]
	v_frexp_exp_i32_f32_e32 v32, v11
	v_pk_add_f32 v[14:15], v[16:17], v[14:15] neg_lo:[0,1] neg_hi:[0,1]
	s_delay_alu instid0(VALU_DEP_4) | instskip(NEXT) | instid1(VALU_DEP_2)
	v_rcp_f32_e32 v31, v31
	v_dual_mov_b32 v26, v33 :: v_dual_sub_nc_u32 v23, v32, v23
	s_delay_alu instid0(VALU_DEP_1) | instskip(SKIP_1) | instid1(VALU_DEP_2)
	v_pk_add_f32 v[34:35], v[26:27], v[12:13] neg_lo:[0,1] neg_hi:[0,1]
	v_dual_mov_b32 v32, v29 :: v_dual_mov_b32 v13, v12
	v_dual_mov_b32 v12, v27 :: v_dual_mov_b32 v37, v34
	v_mov_b32_e32 v11, v34
	s_delay_alu instid0(VALU_DEP_2) | instskip(NEXT) | instid1(VALU_DEP_2)
	v_pk_add_f32 v[16:17], v[32:33], v[36:37] neg_lo:[0,1] neg_hi:[0,1]
	v_pk_add_f32 v[28:29], v[28:29], v[10:11] neg_lo:[0,1] neg_hi:[0,1]
	v_mov_b32_e32 v28, v14
	s_delay_alu instid0(VALU_DEP_3) | instskip(NEXT) | instid1(VALU_DEP_1)
	v_pk_add_f32 v[12:13], v[12:13], v[16:17] neg_lo:[0,1] neg_hi:[0,1]
	v_pk_add_f32 v[16:17], v[28:29], v[12:13]
	s_delay_alu instid0(VALU_DEP_1) | instskip(NEXT) | instid1(VALU_DEP_1)
	v_dual_mul_f32 v15, v38, v31 :: v_dual_mov_b32 v28, v17
	v_ldexp_f32 v11, v15, v23
	v_mov_b32_e32 v15, v33
	s_delay_alu instid0(VALU_DEP_3) | instskip(NEXT) | instid1(VALU_DEP_3)
	v_pk_add_f32 v[28:29], v[16:17], v[28:29]
	v_mul_f32_e32 v23, v11, v11
	s_delay_alu instid0(VALU_DEP_2) | instskip(NEXT) | instid1(VALU_DEP_1)
	v_pk_add_f32 v[26:27], v[26:27], v[28:29]
	v_mov_b32_e32 v17, v26
	s_delay_alu instid0(VALU_DEP_1) | instskip(NEXT) | instid1(VALU_DEP_1)
	v_pk_add_f32 v[32:33], v[16:17], v[14:15] neg_lo:[0,1] neg_hi:[0,1]
	v_dual_fmaak_f32 v13, s11, v23, 0xbc7a590c :: v_dual_sub_f32 v16, v16, v32
	s_delay_alu instid0(VALU_DEP_1) | instskip(NEXT) | instid1(VALU_DEP_1)
	v_dual_fmaak_f32 v13, v23, v13, 0x3d29fb3f :: v_dual_sub_f32 v14, v14, v16
	v_fmaak_f32 v13, v23, v13, 0xbd97d4d7
	s_delay_alu instid0(VALU_DEP_1) | instskip(NEXT) | instid1(VALU_DEP_1)
	v_fmaak_f32 v13, v23, v13, 0x3dd931b2
	v_fmaak_f32 v15, v23, v13, 0xbe1160e6
	v_mov_b32_e32 v13, v28
	s_delay_alu instid0(VALU_DEP_1) | instskip(NEXT) | instid1(VALU_DEP_1)
	v_pk_add_f32 v[12:13], v[12:13], v[32:33] neg_lo:[0,1] neg_hi:[0,1]
	v_add_f32_e32 v12, v12, v14
	s_delay_alu instid0(VALU_DEP_1) | instskip(NEXT) | instid1(VALU_DEP_1)
	v_dual_add_f32 v12, v12, v13 :: v_dual_fmaak_f32 v15, v23, v15, 0x3e4cb8bf
	v_dual_add_f32 v12, v26, v12 :: v_dual_fmaak_f32 v15, v23, v15, 0xbeaaaa62
	s_delay_alu instid0(VALU_DEP_1) | instskip(NEXT) | instid1(VALU_DEP_2)
	v_cndmask_b32_e32 v12, 0x7f800000, v12, vcc_lo
	v_mul_f32_e32 v14, v23, v15
	v_cmp_gt_i32_e32 vcc_lo, 0, v6
	s_delay_alu instid0(VALU_DEP_2) | instskip(NEXT) | instid1(VALU_DEP_1)
	v_fmac_f32_e32 v11, v11, v14
	v_sub_f32_e32 v13, 0x3fc90fdb, v11
	s_delay_alu instid0(VALU_DEP_1) | instskip(SKIP_2) | instid1(VALU_DEP_3)
	v_cndmask_b32_e64 v11, v11, v13, s0
	v_cndmask_b32_e64 v13, 0, 0x40490fdb, vcc_lo
	v_cmp_ngt_f32_e32 vcc_lo, -1.0, v10
	v_sub_f32_e32 v14, 0x40490fdb, v11
	v_cndmask_b32_e32 v12, 0x7fc00000, v12, vcc_lo
	v_cmp_gt_f32_e32 vcc_lo, 0, v6
	s_delay_alu instid0(VALU_DEP_2) | instskip(NEXT) | instid1(VALU_DEP_4)
	v_cndmask_b32_e64 v12, 0xff800000, v12, s1
	v_cndmask_b32_e32 v11, v11, v14, vcc_lo
	v_cndmask_b32_e32 v14, 0x3f490fdb, v30, vcc_lo
	v_cmp_gt_f32_e64 vcc_lo, 0x33800000, |v10|
	v_cmp_class_f32_e64 s1, v7, 0x204
	v_cndmask_b32_e32 v10, v12, v10, vcc_lo
	v_cmp_eq_f32_e32 vcc_lo, 0, v7
	s_delay_alu instid0(VALU_DEP_2) | instskip(SKIP_1) | instid1(VALU_DEP_1)
	v_dual_mul_f32 v10, 0.5, v10 :: v_dual_cndmask_b32 v11, v11, v13
	s_and_b32 vcc_lo, s2, s1
	v_cndmask_b32_e32 v11, v11, v14, vcc_lo
.LBB174_175:                            ;   in Loop: Header=BB174_162 Depth=1
	s_or_b32 exec_lo, exec_lo, s20
.LBB174_176:                            ;   in Loop: Header=BB174_162 Depth=1
	s_delay_alu instid0(SALU_CYCLE_1)
	s_or_b32 exec_lo, exec_lo, s19
.LBB174_177:                            ;   in Loop: Header=BB174_162 Depth=1
	s_and_not1_saveexec_b32 s2, s18
	s_cbranch_execz .LBB174_179
; %bb.178:                              ;   in Loop: Header=BB174_162 Depth=1
	v_max_num_f32_e64 v12, |v7|, |v7|
	v_max_num_f32_e64 v13, |v6|, |v6|
	v_cmp_gt_i32_e64 s1, 0, v6
	v_cmp_class_f32_e64 s3, v6, 0x204
	v_cmp_class_f32_e64 s4, v7, 0x204
	s_delay_alu instid0(VALU_DEP_4) | instskip(NEXT) | instid1(VALU_DEP_1)
	v_dual_max_num_f32 v14, v13, v12 :: v_dual_min_num_f32 v12, v13, v12
	v_cvt_f64_f32_e32 v[10:11], v14
	v_frexp_exp_i32_f32_e32 v13, v14
	s_delay_alu instid0(VALU_DEP_3) | instskip(SKIP_4) | instid1(VALU_DEP_1)
	v_frexp_exp_i32_f32_e32 v15, v12
	v_frexp_mant_f32_e32 v12, v12
	v_cmp_neq_f32_e32 vcc_lo, 0x7f800000, v14
	v_frexp_exp_i32_f64_e32 v10, v[10:11]
	v_frexp_mant_f32_e32 v11, v14
	v_rcp_f32_e32 v11, v11
	v_nop
	s_delay_alu instid0(TRANS32_DEP_1) | instskip(NEXT) | instid1(VALU_DEP_1)
	v_dual_sub_nc_u32 v13, v15, v13 :: v_dual_mul_f32 v11, v12, v11
	v_ldexp_f32 v11, v11, v13
	s_delay_alu instid0(VALU_DEP_1) | instskip(NEXT) | instid1(VALU_DEP_1)
	v_dual_mul_f32 v13, v11, v11 :: v_dual_sub_nc_u32 v12, 0, v10
	v_ldexp_f32 v15, |v7|, v12
	s_delay_alu instid0(VALU_DEP_2) | instskip(SKIP_1) | instid1(VALU_DEP_2)
	v_fmaak_f32 v16, s11, v13, 0xbc7a590c
	v_ldexp_f32 v12, |v6|, v12
	v_dual_mul_f32 v15, v15, v15 :: v_dual_fmaak_f32 v16, v13, v16, 0x3d29fb3f
	s_delay_alu instid0(VALU_DEP_1) | instskip(NEXT) | instid1(VALU_DEP_2)
	v_fmac_f32_e32 v15, v12, v12
	v_fmaak_f32 v12, v13, v16, 0xbd97d4d7
	s_delay_alu instid0(VALU_DEP_1) | instskip(NEXT) | instid1(VALU_DEP_3)
	v_fmaak_f32 v12, v13, v12, 0x3dd931b2
	v_sqrt_f32_e32 v15, v15
	s_delay_alu instid0(VALU_DEP_1) | instskip(NEXT) | instid1(TRANS32_DEP_1)
	v_fmaak_f32 v12, v13, v12, 0xbe1160e6
	v_ldexp_f32 v10, v15, v10
	s_delay_alu instid0(VALU_DEP_2) | instskip(NEXT) | instid1(VALU_DEP_1)
	v_fmaak_f32 v12, v13, v12, 0x3e4cb8bf
	v_fmaak_f32 v12, v13, v12, 0xbeaaaa62
	s_delay_alu instid0(VALU_DEP_1) | instskip(NEXT) | instid1(VALU_DEP_1)
	v_mul_f32_e32 v12, v13, v12
	v_dual_cndmask_b32 v10, 0x7f800000, v10 :: v_dual_fmac_f32 v11, v11, v12
	s_delay_alu instid0(VALU_DEP_1) | instskip(NEXT) | instid1(VALU_DEP_2)
	v_cmp_gt_f32_e32 vcc_lo, 0x800000, v10
	v_sub_f32_e32 v13, 0x3fc90fdb, v11
	v_cndmask_b32_e64 v14, 0, 32, vcc_lo
	v_cndmask_b32_e64 v15, 0, 0x41b17218, vcc_lo
	s_delay_alu instid0(VALU_DEP_2) | instskip(NEXT) | instid1(VALU_DEP_1)
	v_ldexp_f32 v10, v10, v14
	v_log_f32_e32 v10, v10
	v_nop
	s_delay_alu instid0(TRANS32_DEP_1) | instskip(SKIP_1) | instid1(VALU_DEP_2)
	v_mul_f32_e32 v12, 0x3f317217, v10
	v_cmp_gt_f32_e64 vcc_lo, 0x7f800000, |v10|
	v_fma_f32 v12, 0x3f317217, v10, -v12
	s_delay_alu instid0(VALU_DEP_1) | instskip(NEXT) | instid1(VALU_DEP_1)
	v_fmac_f32_e32 v12, 0x3377d1cf, v10
	v_fmac_f32_e32 v12, 0x3f317217, v10
	v_cndmask_b32_e64 v11, v11, v13, s0
	v_cndmask_b32_e64 v13, 0, 0x40490fdb, s1
	v_cmp_gt_f32_e64 s1, 0, v6
	s_delay_alu instid0(VALU_DEP_4) | instskip(NEXT) | instid1(VALU_DEP_4)
	v_cndmask_b32_e32 v10, v10, v12, vcc_lo
	v_sub_f32_e32 v14, 0x40490fdb, v11
	v_cmp_eq_f32_e32 vcc_lo, 0, v7
	s_delay_alu instid0(VALU_DEP_2) | instskip(SKIP_1) | instid1(VALU_DEP_2)
	v_dual_sub_f32 v10, v10, v15 :: v_dual_cndmask_b32 v11, v11, v14, s1
	v_cndmask_b32_e64 v14, 0x3f490fdb, v30, s1
	v_cndmask_b32_e32 v11, v11, v13, vcc_lo
	s_and_b32 vcc_lo, s3, s4
	s_delay_alu instid0(VALU_DEP_1)
	v_cndmask_b32_e32 v11, v11, v14, vcc_lo
.LBB174_179:                            ;   in Loop: Header=BB174_162 Depth=1
	s_or_b32 exec_lo, exec_lo, s2
                                        ; implicit-def: $vgpr12
.LBB174_180:                            ;   in Loop: Header=BB174_162 Depth=1
	s_and_not1_saveexec_b32 s2, s17
	s_cbranch_execz .LBB174_186
; %bb.181:                              ;   in Loop: Header=BB174_162 Depth=1
                                        ; implicit-def: $vgpr10
                                        ; implicit-def: $vgpr11
	s_mov_b32 s1, exec_lo
	v_cmpx_ngt_f32_e32 0x1fec1e4a, v12
	s_xor_b32 s3, exec_lo, s1
	s_cbranch_execz .LBB174_183
; %bb.182:                              ;   in Loop: Header=BB174_162 Depth=1
	v_pk_mul_f32 v[10:11], v[12:13], v[12:13]
	v_cmp_class_f32_e64 s4, v6, 0x204
	s_delay_alu instid0(VALU_DEP_2) | instskip(SKIP_1) | instid1(VALU_DEP_2)
	v_add_f32_e32 v13, 1.0, v10
	v_cmp_neq_f32_e64 s1, 0x7f800000, v10
	v_cvt_f64_f32_e32 v[14:15], v13
	s_delay_alu instid0(VALU_DEP_1) | instskip(SKIP_1) | instid1(VALU_DEP_1)
	v_frexp_exp_i32_f64_e32 v12, v[14:15]
	v_frexp_mant_f32_e32 v14, v13
	v_cmp_gt_f32_e32 vcc_lo, 0x3f2aaaab, v14
	s_delay_alu instid0(VALU_DEP_3) | instskip(SKIP_2) | instid1(VALU_DEP_2)
	v_subrev_co_ci_u32_e64 v23, null, 0, v12, vcc_lo
	v_add_f32_e32 v11, -1.0, v13
	v_cmp_gt_i32_e32 vcc_lo, 0, v6
	v_dual_sub_nc_u32 v16, 0, v23 :: v_dual_mov_b32 v12, v11
	s_delay_alu instid0(VALU_DEP_1) | instskip(NEXT) | instid1(VALU_DEP_2)
	v_pk_add_f32 v[14:15], v[10:11], v[12:13] neg_lo:[0,1] neg_hi:[0,1]
	v_ldexp_f32 v11, v13, v16
	s_delay_alu instid0(VALU_DEP_2) | instskip(NEXT) | instid1(VALU_DEP_2)
	v_add_f32_e32 v12, 1.0, v15
	v_add_f32_e32 v15, 1.0, v11
	s_delay_alu instid0(VALU_DEP_1) | instskip(NEXT) | instid1(VALU_DEP_1)
	v_dual_add_f32 v13, -1.0, v15 :: v_dual_add_f32 v12, v14, v12
	v_dual_add_f32 v17, -1.0, v11 :: v_dual_sub_f32 v13, v11, v13
	s_delay_alu instid0(VALU_DEP_2) | instskip(NEXT) | instid1(VALU_DEP_1)
	v_ldexp_f32 v12, v12, v16
	v_add_f32_e32 v16, v12, v13
	s_delay_alu instid0(VALU_DEP_1) | instskip(NEXT) | instid1(VALU_DEP_1)
	v_dual_add_f32 v14, 1.0, v17 :: v_dual_add_f32 v26, v15, v16
	v_sub_f32_e32 v11, v11, v14
	s_delay_alu instid0(VALU_DEP_2) | instskip(NEXT) | instid1(VALU_DEP_1)
	v_rcp_f32_e32 v27, v26
	v_dual_add_f32 v11, v12, v11 :: v_dual_sub_f32 v12, v15, v26
	s_delay_alu instid0(VALU_DEP_1)
	v_dual_add_f32 v13, v17, v11 :: v_dual_add_f32 v29, v16, v12
	s_delay_alu instid0(TRANS32_DEP_1) | instid1(VALU_DEP_1)
	v_mul_f32_e32 v28, v13, v27
	s_delay_alu instid0(VALU_DEP_1) | instskip(NEXT) | instid1(VALU_DEP_1)
	v_dual_mul_f32 v14, v26, v28 :: v_dual_sub_f32 v31, v17, v13
	v_dual_fma_f32 v16, v28, v26, -v14 :: v_dual_add_f32 v11, v11, v31
	s_delay_alu instid0(VALU_DEP_1) | instskip(NEXT) | instid1(VALU_DEP_1)
	v_fmac_f32_e32 v16, v28, v29
	v_add_f32_e32 v12, v14, v16
	s_delay_alu instid0(VALU_DEP_1) | instskip(NEXT) | instid1(VALU_DEP_1)
	v_dual_sub_f32 v15, v13, v12 :: v_dual_mov_b32 v17, v12
	v_pk_add_f32 v[12:13], v[12:13], v[14:15] neg_lo:[0,1] neg_hi:[0,1]
	s_delay_alu instid0(VALU_DEP_1) | instskip(NEXT) | instid1(VALU_DEP_1)
	v_pk_add_f32 v[12:13], v[12:13], v[16:17] neg_lo:[0,1] neg_hi:[0,1]
	v_add_f32_e32 v11, v11, v13
	s_delay_alu instid0(VALU_DEP_1) | instskip(NEXT) | instid1(VALU_DEP_1)
	v_add_f32_e32 v11, v12, v11
	v_add_f32_e32 v13, v15, v11
	s_delay_alu instid0(VALU_DEP_1) | instskip(NEXT) | instid1(VALU_DEP_1)
	v_mul_f32_e32 v31, v27, v13
	v_mul_f32_e32 v16, v26, v31
	s_delay_alu instid0(VALU_DEP_1) | instskip(NEXT) | instid1(VALU_DEP_1)
	v_fma_f32 v14, v31, v26, -v16
	v_fmac_f32_e32 v14, v31, v29
	s_delay_alu instid0(VALU_DEP_1) | instskip(NEXT) | instid1(VALU_DEP_1)
	v_dual_add_f32 v12, v16, v14 :: v_dual_sub_f32 v26, v15, v13
	v_dual_mov_b32 v15, v12 :: v_dual_sub_f32 v17, v13, v12
	s_delay_alu instid0(VALU_DEP_2) | instskip(NEXT) | instid1(VALU_DEP_2)
	v_dual_add_f32 v11, v11, v26 :: v_dual_add_f32 v26, v28, v31
	v_pk_add_f32 v[12:13], v[12:13], v[16:17] neg_lo:[0,1] neg_hi:[0,1]
	s_delay_alu instid0(VALU_DEP_1) | instskip(NEXT) | instid1(VALU_DEP_1)
	v_pk_add_f32 v[12:13], v[12:13], v[14:15] neg_lo:[0,1] neg_hi:[0,1]
	v_add_f32_e32 v11, v11, v13
	s_delay_alu instid0(VALU_DEP_1) | instskip(NEXT) | instid1(VALU_DEP_1)
	v_dual_add_f32 v11, v12, v11 :: v_dual_sub_f32 v12, v26, v28
	v_dual_sub_f32 v12, v31, v12 :: v_dual_add_f32 v11, v17, v11
	v_max_num_f32_e64 v31, |v6|, |v6|
	s_delay_alu instid0(VALU_DEP_2) | instskip(NEXT) | instid1(VALU_DEP_1)
	v_mul_f32_e32 v11, v27, v11
	v_add_f32_e32 v11, v12, v11
	v_cvt_f32_i32_e32 v12, v23
	s_delay_alu instid0(VALU_DEP_2) | instskip(NEXT) | instid1(VALU_DEP_1)
	v_add_f32_e32 v27, v26, v11
	v_mul_f32_e32 v14, v27, v27
	v_ldexp_f32 v17, v27, 1
	s_delay_alu instid0(VALU_DEP_2) | instskip(SKIP_1) | instid1(VALU_DEP_2)
	v_fmaak_f32 v15, s10, v14, 0x3ecc95a3
	v_mul_f32_e32 v13, v27, v14
	v_fmaak_f32 v23, v14, v15, 0x3f2aaada
	s_delay_alu instid0(VALU_DEP_1) | instskip(NEXT) | instid1(VALU_DEP_1)
	v_pk_mul_f32 v[14:15], v[12:13], v[22:23]
	v_fma_f32 v16, 0x3f317218, v12, -v14
	s_delay_alu instid0(VALU_DEP_1) | instskip(NEXT) | instid1(VALU_DEP_1)
	v_fmac_f32_e32 v16, 0xb102e308, v12
	v_pk_add_f32 v[12:13], v[14:15], v[16:17]
	s_delay_alu instid0(VALU_DEP_1) | instskip(SKIP_1) | instid1(VALU_DEP_2)
	v_dual_sub_f32 v17, v13, v17 :: v_dual_sub_f32 v23, v27, v26
	v_dual_mov_b32 v26, v14 :: v_dual_mov_b32 v36, v13
	v_sub_f32_e32 v17, v15, v17
	s_delay_alu instid0(VALU_DEP_3) | instskip(SKIP_2) | instid1(VALU_DEP_3)
	v_sub_f32_e32 v11, v11, v23
	v_max_num_f32_e64 v23, |v7|, |v7|
	v_pk_add_f32 v[14:15], v[12:13], v[14:15] neg_lo:[0,1] neg_hi:[0,1]
	v_ldexp_f32 v11, v11, 1
	s_delay_alu instid0(VALU_DEP_1) | instskip(NEXT) | instid1(VALU_DEP_4)
	v_add_f32_e32 v27, v11, v17
	v_dual_max_num_f32 v11, v31, v23 :: v_dual_min_num_f32 v23, v31, v23
	v_mov_b32_e32 v17, v12
	s_delay_alu instid0(VALU_DEP_3) | instskip(NEXT) | instid1(VALU_DEP_3)
	v_pk_add_f32 v[28:29], v[12:13], v[26:27]
	v_frexp_mant_f32_e32 v26, v11
	v_frexp_exp_i32_f32_e32 v11, v11
	s_delay_alu instid0(VALU_DEP_3) | instskip(NEXT) | instid1(VALU_DEP_3)
	v_mov_b32_e32 v15, v29
	v_rcp_f32_e32 v31, v26
	s_delay_alu instid0(VALU_DEP_1) | instskip(SKIP_3) | instid1(VALU_DEP_3)
	v_pk_add_f32 v[32:33], v[16:17], v[14:15]
	v_frexp_exp_i32_f32_e32 v32, v23
	v_frexp_mant_f32_e32 v23, v23
	v_pk_add_f32 v[14:15], v[16:17], v[14:15] neg_lo:[0,1] neg_hi:[0,1]
	v_dual_mov_b32 v26, v33 :: v_dual_sub_nc_u32 v11, v32, v11
	s_delay_alu instid0(TRANS32_DEP_1) | instid1(VALU_DEP_3)
	v_dual_mul_f32 v23, v23, v31 :: v_dual_mov_b32 v32, v29
	s_delay_alu instid0(VALU_DEP_2) | instskip(SKIP_1) | instid1(VALU_DEP_3)
	v_pk_add_f32 v[34:35], v[26:27], v[12:13] neg_lo:[0,1] neg_hi:[0,1]
	v_mov_b32_e32 v13, v12
	v_ldexp_f32 v23, v23, v11
	s_delay_alu instid0(VALU_DEP_3) | instskip(NEXT) | instid1(VALU_DEP_2)
	v_dual_mov_b32 v12, v27 :: v_dual_mov_b32 v11, v34
	v_dual_mov_b32 v37, v34 :: v_dual_mul_f32 v31, v23, v23
	s_delay_alu instid0(VALU_DEP_2) | instskip(NEXT) | instid1(VALU_DEP_2)
	v_pk_add_f32 v[28:29], v[28:29], v[10:11] neg_lo:[0,1] neg_hi:[0,1]
	v_pk_add_f32 v[16:17], v[32:33], v[36:37] neg_lo:[0,1] neg_hi:[0,1]
	v_mov_b32_e32 v28, v14
	s_delay_alu instid0(VALU_DEP_2) | instskip(NEXT) | instid1(VALU_DEP_1)
	v_pk_add_f32 v[12:13], v[12:13], v[16:17] neg_lo:[0,1] neg_hi:[0,1]
	v_pk_add_f32 v[16:17], v[28:29], v[12:13]
	s_delay_alu instid0(VALU_DEP_1) | instskip(NEXT) | instid1(VALU_DEP_1)
	v_dual_fmaak_f32 v11, s11, v31, 0xbc7a590c :: v_dual_mov_b32 v28, v17
	v_fmaak_f32 v11, v31, v11, 0x3d29fb3f
	s_delay_alu instid0(VALU_DEP_2) | instskip(NEXT) | instid1(VALU_DEP_2)
	v_pk_add_f32 v[28:29], v[16:17], v[28:29]
	v_fmaak_f32 v11, v31, v11, 0xbd97d4d7
	s_delay_alu instid0(VALU_DEP_2) | instskip(NEXT) | instid1(VALU_DEP_2)
	v_pk_add_f32 v[26:27], v[26:27], v[28:29]
	v_fmaak_f32 v11, v31, v11, 0x3dd931b2
	s_delay_alu instid0(VALU_DEP_2) | instskip(NEXT) | instid1(VALU_DEP_2)
	v_dual_mov_b32 v15, v33 :: v_dual_mov_b32 v17, v26
	v_fmaak_f32 v11, v31, v11, 0xbe1160e6
	s_delay_alu instid0(VALU_DEP_2) | instskip(NEXT) | instid1(VALU_DEP_2)
	v_pk_add_f32 v[32:33], v[16:17], v[14:15] neg_lo:[0,1] neg_hi:[0,1]
	v_fmaak_f32 v11, v31, v11, 0x3e4cb8bf
	s_delay_alu instid0(VALU_DEP_1) | instskip(NEXT) | instid1(VALU_DEP_1)
	v_fmaak_f32 v11, v31, v11, 0xbeaaaa62
	v_dual_mov_b32 v13, v28 :: v_dual_mul_f32 v11, v31, v11
	s_delay_alu instid0(VALU_DEP_4) | instskip(NEXT) | instid1(VALU_DEP_2)
	v_sub_f32_e32 v15, v16, v32
	v_pk_add_f32 v[12:13], v[12:13], v[32:33] neg_lo:[0,1] neg_hi:[0,1]
	s_delay_alu instid0(VALU_DEP_3) | instskip(NEXT) | instid1(VALU_DEP_3)
	v_fmac_f32_e32 v23, v23, v11
	v_sub_f32_e32 v14, v14, v15
	s_delay_alu instid0(VALU_DEP_1) | instskip(NEXT) | instid1(VALU_DEP_1)
	v_dual_add_f32 v11, v12, v14 :: v_dual_sub_f32 v12, 0x3fc90fdb, v23
	v_add_f32_e32 v11, v11, v13
	s_delay_alu instid0(VALU_DEP_2) | instskip(SKIP_2) | instid1(VALU_DEP_3)
	v_cndmask_b32_e64 v12, v23, v12, s0
	v_cndmask_b32_e64 v13, 0, 0x40490fdb, vcc_lo
	v_cmp_gt_f32_e32 vcc_lo, 0, v6
	v_dual_add_f32 v11, v26, v11 :: v_dual_sub_f32 v14, 0x40490fdb, v12
	s_delay_alu instid0(VALU_DEP_1) | instskip(NEXT) | instid1(VALU_DEP_2)
	v_cndmask_b32_e64 v11, 0x7f800000, v11, s1
	v_cndmask_b32_e32 v12, v12, v14, vcc_lo
	v_cndmask_b32_e32 v14, 0x3f490fdb, v30, vcc_lo
	v_cmp_gt_f32_e64 vcc_lo, 0x33800000, |v10|
	v_cmp_class_f32_e64 s1, v7, 0x204
	v_cndmask_b32_e32 v10, v11, v10, vcc_lo
	v_cmp_eq_f32_e32 vcc_lo, 0, v7
	s_delay_alu instid0(VALU_DEP_2) | instskip(SKIP_1) | instid1(VALU_DEP_1)
	v_dual_mul_f32 v10, 0.5, v10 :: v_dual_cndmask_b32 v11, v12, v13
	s_and_b32 vcc_lo, s4, s1
                                        ; implicit-def: $vgpr12
	v_cndmask_b32_e32 v11, v11, v14, vcc_lo
.LBB174_183:                            ;   in Loop: Header=BB174_162 Depth=1
	s_and_not1_saveexec_b32 s3, s3
	s_cbranch_execz .LBB174_185
; %bb.184:                              ;   in Loop: Header=BB174_162 Depth=1
	v_max_num_f32_e64 v10, |v7|, |v7|
	v_max_num_f32_e64 v11, |v6|, |v6|
	v_cmp_eq_f32_e64 s1, 0, v7
	v_cmp_gt_i32_e32 vcc_lo, 0, v6
	v_cmp_class_f32_e64 s4, v6, 0x204
	v_cmp_class_f32_e64 s5, v7, 0x204
	v_dual_max_num_f32 v13, v11, v10 :: v_dual_min_num_f32 v10, v11, v10
	s_delay_alu instid0(VALU_DEP_1) | instskip(SKIP_1) | instid1(VALU_DEP_2)
	v_frexp_mant_f32_e32 v14, v13
	v_frexp_exp_i32_f32_e32 v11, v13
	v_rcp_f32_e32 v13, v14
	v_nop
	v_frexp_exp_i32_f32_e32 v14, v10
	v_frexp_mant_f32_e32 v10, v10
	s_delay_alu instid0(VALU_DEP_2)
	v_sub_nc_u32_e32 v11, v14, v11
	s_delay_alu instid0(TRANS32_DEP_1) | instid1(VALU_DEP_2)
	v_mul_f32_e32 v10, v10, v13
	s_delay_alu instid0(VALU_DEP_1) | instskip(NEXT) | instid1(VALU_DEP_1)
	v_ldexp_f32 v10, v10, v11
	v_mul_f32_e32 v11, v10, v10
	s_delay_alu instid0(VALU_DEP_1) | instskip(NEXT) | instid1(VALU_DEP_1)
	v_fmaak_f32 v13, s11, v11, 0xbc7a590c
	v_fmaak_f32 v13, v11, v13, 0x3d29fb3f
	s_delay_alu instid0(VALU_DEP_1) | instskip(NEXT) | instid1(VALU_DEP_1)
	v_fmaak_f32 v13, v11, v13, 0xbd97d4d7
	v_fmaak_f32 v13, v11, v13, 0x3dd931b2
	;; [unrolled: 3-line block ×3, first 2 shown]
	s_delay_alu instid0(VALU_DEP_1) | instskip(NEXT) | instid1(VALU_DEP_1)
	v_fmaak_f32 v13, v11, v13, 0xbeaaaa62
	v_mul_f32_e32 v11, v11, v13
	v_cndmask_b32_e64 v13, 0, 0x40490fdb, vcc_lo
	v_cmp_gt_f32_e32 vcc_lo, 0, v6
	s_delay_alu instid0(VALU_DEP_3) | instskip(SKIP_1) | instid1(VALU_DEP_2)
	v_fmac_f32_e32 v10, v10, v11
	v_cndmask_b32_e32 v14, 0x3f490fdb, v30, vcc_lo
	v_sub_f32_e32 v11, 0x3fc90fdb, v10
	s_delay_alu instid0(VALU_DEP_1) | instskip(NEXT) | instid1(VALU_DEP_1)
	v_cndmask_b32_e64 v10, v10, v11, s0
	v_sub_f32_e32 v11, 0x40490fdb, v10
	s_delay_alu instid0(VALU_DEP_1) | instskip(SKIP_1) | instid1(VALU_DEP_1)
	v_dual_cndmask_b32 v10, v10, v11 :: v_dual_mul_f32 v11, 0.5, v12
	s_and_b32 vcc_lo, s4, s5
	v_dual_cndmask_b32 v13, v10, v13, s1 :: v_dual_mul_f32 v10, v12, v11
	s_delay_alu instid0(VALU_DEP_1)
	v_cndmask_b32_e32 v11, v13, v14, vcc_lo
.LBB174_185:                            ;   in Loop: Header=BB174_162 Depth=1
	s_or_b32 exec_lo, exec_lo, s3
.LBB174_186:                            ;   in Loop: Header=BB174_162 Depth=1
	s_delay_alu instid0(SALU_CYCLE_1)
	s_or_b32 exec_lo, exec_lo, s2
.LBB174_187:                            ;   in Loop: Header=BB174_162 Depth=1
	s_and_not1_saveexec_b32 s2, s16
	s_cbranch_execz .LBB174_189
; %bb.188:                              ;   in Loop: Header=BB174_162 Depth=1
	v_div_scale_f32 v10, null, 0x402df854, 0x402df854, v6
	v_div_scale_f32 v11, null, 0x402df854, 0x402df854, v7
	v_div_scale_f32 v16, vcc_lo, v6, 0x402df854, v6
	s_delay_alu instid0(VALU_DEP_3) | instskip(NEXT) | instid1(VALU_DEP_2)
	v_rcp_f32_e32 v12, v10
	v_rcp_f32_e32 v13, v11
	v_cmp_class_f32_e64 s3, v7, 0x204
	s_delay_alu instid0(TRANS32_DEP_2) | instskip(NEXT) | instid1(TRANS32_DEP_1)
	v_fma_f32 v14, -v10, v12, 1.0
	v_fma_f32 v15, -v11, v13, 1.0
	s_delay_alu instid0(VALU_DEP_1) | instskip(SKIP_1) | instid1(VALU_DEP_1)
	v_dual_fmac_f32 v12, v14, v12 :: v_dual_fmac_f32 v13, v15, v13
	v_div_scale_f32 v14, s1, v7, 0x402df854, v7
	v_dual_mul_f32 v15, v16, v12 :: v_dual_mul_f32 v17, v14, v13
	s_delay_alu instid0(VALU_DEP_1) | instskip(NEXT) | instid1(VALU_DEP_1)
	v_dual_fma_f32 v23, -v10, v15, v16 :: v_dual_fma_f32 v26, -v11, v17, v14
	v_dual_fmac_f32 v15, v23, v12 :: v_dual_fmac_f32 v17, v26, v13
	s_delay_alu instid0(VALU_DEP_1) | instskip(NEXT) | instid1(VALU_DEP_1)
	v_dual_fma_f32 v10, -v10, v15, v16 :: v_dual_fma_f32 v11, -v11, v17, v14
	v_div_fmas_f32 v10, v10, v12, v15
	s_mov_b32 vcc_lo, s1
	v_max_num_f32_e64 v15, |v6|, |v6|
	s_delay_alu instid0(VALU_DEP_3) | instskip(SKIP_2) | instid1(VALU_DEP_3)
	v_div_fmas_f32 v11, v11, v13, v17
	v_cmp_class_f32_e64 s1, v6, 0x204
	v_div_fixup_f32 v12, v10, 0x402df854, v6
	v_div_fixup_f32 v13, v11, 0x402df854, v7
	s_delay_alu instid0(VALU_DEP_1) | instskip(NEXT) | instid1(VALU_DEP_1)
	v_max_num_f32_e64 v14, |v12|, |v13|
	v_cvt_f64_f32_e32 v[10:11], v14
	v_cmp_neq_f32_e32 vcc_lo, 0x7f800000, v14
	s_delay_alu instid0(VALU_DEP_2) | instskip(SKIP_1) | instid1(VALU_DEP_1)
	v_frexp_exp_i32_f64_e32 v10, v[10:11]
	v_max_num_f32_e64 v11, |v7|, |v7|
	v_dual_max_num_f32 v16, v15, v11 :: v_dual_min_num_f32 v11, v15, v11
	s_delay_alu instid0(VALU_DEP_1) | instskip(SKIP_1) | instid1(VALU_DEP_2)
	v_frexp_mant_f32_e32 v17, v16
	v_frexp_exp_i32_f32_e32 v15, v16
	v_rcp_f32_e32 v16, v17
	v_nop
	v_frexp_exp_i32_f32_e32 v17, v11
	v_frexp_mant_f32_e32 v11, v11
	s_delay_alu instid0(TRANS32_DEP_1) | instid1(VALU_DEP_1)
	v_dual_sub_nc_u32 v15, v17, v15 :: v_dual_mul_f32 v11, v11, v16
	s_delay_alu instid0(VALU_DEP_1) | instskip(NEXT) | instid1(VALU_DEP_1)
	v_ldexp_f32 v11, v11, v15
	v_dual_mul_f32 v15, v11, v11 :: v_dual_sub_nc_u32 v16, 0, v10
	s_delay_alu instid0(VALU_DEP_1) | instskip(SKIP_1) | instid1(VALU_DEP_2)
	v_ldexp_f32 v13, |v13|, v16
	v_ldexp_f32 v12, |v12|, v16
	v_dual_fmaak_f32 v16, s11, v15, 0xbc7a590c :: v_dual_mul_f32 v13, v13, v13
	s_delay_alu instid0(VALU_DEP_1) | instskip(NEXT) | instid1(VALU_DEP_2)
	v_fmac_f32_e32 v13, v12, v12
	v_fmaak_f32 v12, v15, v16, 0x3d29fb3f
	s_delay_alu instid0(VALU_DEP_1) | instskip(NEXT) | instid1(VALU_DEP_3)
	v_fmaak_f32 v12, v15, v12, 0xbd97d4d7
	v_sqrt_f32_e32 v13, v13
	s_delay_alu instid0(VALU_DEP_1) | instskip(NEXT) | instid1(TRANS32_DEP_1)
	v_fmaak_f32 v12, v15, v12, 0x3dd931b2
	v_ldexp_f32 v10, v13, v10
	s_delay_alu instid0(VALU_DEP_2) | instskip(NEXT) | instid1(VALU_DEP_1)
	v_fmaak_f32 v12, v15, v12, 0xbe1160e6
	v_fmaak_f32 v12, v15, v12, 0x3e4cb8bf
	s_delay_alu instid0(VALU_DEP_1) | instskip(NEXT) | instid1(VALU_DEP_1)
	v_fmaak_f32 v12, v15, v12, 0xbeaaaa62
	v_mul_f32_e32 v12, v15, v12
	s_delay_alu instid0(VALU_DEP_1) | instskip(NEXT) | instid1(VALU_DEP_1)
	v_dual_cndmask_b32 v10, 0x7f800000, v10 :: v_dual_fmac_f32 v11, v11, v12
	v_cmp_gt_f32_e32 vcc_lo, 0x800000, v10
	v_cndmask_b32_e64 v13, 0, 32, vcc_lo
	v_cndmask_b32_e64 v15, 0, 0x41b17218, vcc_lo
	s_delay_alu instid0(VALU_DEP_2) | instskip(NEXT) | instid1(VALU_DEP_1)
	v_ldexp_f32 v10, v10, v13
	v_log_f32_e32 v10, v10
	v_nop
	s_delay_alu instid0(TRANS32_DEP_1) | instskip(SKIP_1) | instid1(VALU_DEP_2)
	v_mul_f32_e32 v13, 0x3f317217, v10
	v_cmp_gt_f32_e64 vcc_lo, 0x7f800000, |v10|
	v_fma_f32 v12, 0x3f317217, v10, -v13
	s_delay_alu instid0(VALU_DEP_1) | instskip(NEXT) | instid1(VALU_DEP_1)
	v_fmac_f32_e32 v12, 0x3377d1cf, v10
	v_fmac_f32_e32 v12, 0x3f317217, v10
	s_delay_alu instid0(VALU_DEP_1) | instskip(NEXT) | instid1(VALU_DEP_1)
	v_dual_sub_f32 v13, 0x3fc90fdb, v11 :: v_dual_cndmask_b32 v10, v10, v12
	v_cndmask_b32_e64 v11, v11, v13, s0
	v_cmp_gt_i32_e64 s0, 0, v6
	v_cmp_eq_f32_e32 vcc_lo, 0, v7
	s_delay_alu instid0(VALU_DEP_4) | instskip(NEXT) | instid1(VALU_DEP_3)
	v_sub_f32_e32 v10, v10, v15
	v_cndmask_b32_e64 v13, 0, 0x40490fdb, s0
	v_cmp_gt_f32_e64 s0, 0, v6
	s_delay_alu instid0(VALU_DEP_3) | instskip(NEXT) | instid1(VALU_DEP_2)
	v_add_f32_e32 v10, 1.0, v10
	v_cndmask_b32_e64 v12, 0x3f490fdb, v30, s0
	v_sub_f32_e32 v14, 0x40490fdb, v11
	s_delay_alu instid0(VALU_DEP_1) | instskip(NEXT) | instid1(VALU_DEP_1)
	v_cndmask_b32_e64 v11, v11, v14, s0
	v_cndmask_b32_e32 v11, v11, v13, vcc_lo
	s_and_b32 vcc_lo, s1, s3
	s_delay_alu instid0(VALU_DEP_1)
	v_cndmask_b32_e32 v11, v11, v12, vcc_lo
.LBB174_189:                            ;   in Loop: Header=BB174_162 Depth=1
	s_or_b32 exec_lo, exec_lo, s2
.LBB174_190:                            ;   in Loop: Header=BB174_162 Depth=1
	s_and_not1_saveexec_b32 s0, s13
	s_cbranch_execz .LBB174_196
; %bb.191:                              ;   in Loop: Header=BB174_162 Depth=1
	v_cmp_ngt_f32_e64 s1, 0x20000000, |v6|
	v_cmp_ngt_f32_e64 s2, 0x20000000, |v7|
                                        ; implicit-def: $vgpr10
	s_or_b32 s1, s1, s2
	s_delay_alu instid0(SALU_CYCLE_1) | instskip(NEXT) | instid1(SALU_CYCLE_1)
	s_and_saveexec_b32 s2, s1
	s_xor_b32 s1, exec_lo, s2
; %bb.192:                              ;   in Loop: Header=BB174_162 Depth=1
	v_pk_mul_f32 v[10:11], v[6:7], v[6:7]
	s_delay_alu instid0(VALU_DEP_1)
	v_add_f32_e32 v10, v10, v11
; %bb.193:                              ;   in Loop: Header=BB174_162 Depth=1
	s_and_not1_saveexec_b32 s1, s1
; %bb.194:                              ;   in Loop: Header=BB174_162 Depth=1
	v_pk_mul_f32 v[10:11], v[6:7], 4.0 op_sel_hi:[1,0]
	s_delay_alu instid0(VALU_DEP_1) | instskip(NEXT) | instid1(VALU_DEP_1)
	v_pk_mul_f32 v[10:11], v[10:11], v[10:11]
	v_add_f32_e32 v6, v10, v11
	s_delay_alu instid0(VALU_DEP_1)
	v_mul_f32_e32 v10, 0x3d800000, v6
; %bb.195:                              ;   in Loop: Header=BB174_162 Depth=1
	s_or_b32 exec_lo, exec_lo, s1
	s_delay_alu instid0(VALU_DEP_1) | instskip(SKIP_2) | instid1(VALU_DEP_2)
	v_cmp_gt_f32_e32 vcc_lo, 0x800000, v10
	v_cndmask_b32_e64 v6, 0, 32, vcc_lo
	v_cndmask_b32_e64 v11, 0, 0x41b17218, vcc_lo
	v_ldexp_f32 v6, v10, v6
	s_delay_alu instid0(VALU_DEP_1) | instskip(SKIP_1) | instid1(TRANS32_DEP_1)
	v_log_f32_e32 v6, v6
	v_nop
	v_mul_f32_e32 v10, 0x3f317217, v6
	v_cmp_gt_f32_e64 vcc_lo, 0x7f800000, |v6|
	s_delay_alu instid0(VALU_DEP_2) | instskip(NEXT) | instid1(VALU_DEP_1)
	v_fma_f32 v10, 0x3f317217, v6, -v10
	v_fmac_f32_e32 v10, 0x3377d1cf, v6
	s_delay_alu instid0(VALU_DEP_1) | instskip(NEXT) | instid1(VALU_DEP_1)
	v_fmac_f32_e32 v10, 0x3f317217, v6
	v_cndmask_b32_e32 v6, v6, v10, vcc_lo
	s_delay_alu instid0(VALU_DEP_1)
	v_dual_sub_f32 v10, v6, v11 :: v_dual_mov_b32 v11, 0x7fc00000
.LBB174_196:                            ;   in Loop: Header=BB174_162 Depth=1
	s_or_b32 exec_lo, exec_lo, s0
                                        ; implicit-def: $vgpr6
	s_delay_alu instid0(SALU_CYCLE_1)
	s_mov_b32 s0, exec_lo
	v_cmpx_o_f32_e32 v9, v8
	s_xor_b32 s13, exec_lo, s0
	s_cbranch_execz .LBB174_224
; %bb.197:                              ;   in Loop: Header=BB174_162 Depth=1
	v_cmp_lt_f32_e64 s0, |v8|, |v9|
                                        ; implicit-def: $vgpr6
	s_mov_b32 s2, exec_lo
	v_cndmask_b32_e64 v12, v9, v8, s0
	s_delay_alu instid0(VALU_DEP_1)
	v_cmpx_nlt_f32_e64 0x77f684df, |v12|
	s_xor_b32 s16, exec_lo, s2
	s_cbranch_execz .LBB174_221
; %bb.198:                              ;   in Loop: Header=BB174_162 Depth=1
	v_cndmask_b32_e64 v6, v8, v9, s0
	v_and_b32_e32 v14, 0x7fffffff, v12
	s_mov_b32 s1, exec_lo
	s_delay_alu instid0(VALU_DEP_2) | instskip(NEXT) | instid1(VALU_DEP_1)
	v_and_b32_e32 v15, 0x7fffffff, v6
                                        ; implicit-def: $vgpr6
	v_cmpx_neq_f32_e32 1.0, v15
	s_xor_b32 s17, exec_lo, s1
	s_cbranch_execz .LBB174_214
; %bb.199:                              ;   in Loop: Header=BB174_162 Depth=1
	v_dual_max_num_f32 v6, v14, v14 :: v_dual_max_num_f32 v12, v15, v15
	s_delay_alu instid0(VALU_DEP_1) | instskip(NEXT) | instid1(VALU_DEP_1)
	v_dual_min_num_f32 v13, v12, v6 :: v_dual_max_num_f32 v6, v12, v6
	v_cmp_ngt_f32_e32 vcc_lo, 0x358637bd, v13
	s_delay_alu instid0(VALU_DEP_2) | instskip(SKIP_1) | instid1(SALU_CYCLE_1)
	v_cmp_nlt_f32_e64 s1, 0x49742400, v6
                                        ; implicit-def: $vgpr6
	s_and_b32 s1, s1, vcc_lo
	s_and_saveexec_b32 s2, s1
	s_delay_alu instid0(SALU_CYCLE_1)
	s_xor_b32 s18, exec_lo, s2
	s_cbranch_execz .LBB174_211
; %bb.200:                              ;   in Loop: Header=BB174_162 Depth=1
                                        ; implicit-def: $vgpr6
	s_mov_b32 s1, exec_lo
	v_cmpx_le_f32_e32 1.0, v15
	s_xor_b32 s2, exec_lo, s1
	s_cbranch_execz .LBB174_202
; %bb.201:                              ;   in Loop: Header=BB174_162 Depth=1
	v_pk_add_f32 v[12:13], v[14:15], v[20:21] op_sel:[1,0]
	v_mov_b32_e32 v16, v14
	v_cmp_class_f32_e64 s3, v8, 0x204
	s_delay_alu instid0(VALU_DEP_3) | instskip(SKIP_1) | instid1(VALU_DEP_1)
	v_dual_mov_b32 v15, v12 :: v_dual_mov_b32 v17, v13
	v_mul_f32_e32 v6, v12, v13
	v_pk_fma_f32 v[12:13], v[14:15], v[16:17], v[6:7] op_sel_hi:[1,1,0]
	s_delay_alu instid0(VALU_DEP_1) | instskip(SKIP_1) | instid1(VALU_DEP_2)
	v_add_f32_e32 v15, 1.0, v12
	v_cmp_neq_f32_e64 s1, -1.0, v12
	v_frexp_mant_f32_e32 v14, v15
	v_add_f32_e32 v13, -1.0, v15
	s_delay_alu instid0(VALU_DEP_2) | instskip(NEXT) | instid1(VALU_DEP_2)
	v_cmp_gt_f32_e32 vcc_lo, 0x3f2aaaab, v14
	v_mov_b32_e32 v14, v13
	v_cvt_f64_f32_e32 v[16:17], v15
	s_delay_alu instid0(VALU_DEP_1) | instskip(NEXT) | instid1(VALU_DEP_1)
	v_frexp_exp_i32_f64_e32 v6, v[16:17]
	v_subrev_co_ci_u32_e64 v6, null, 0, v6, vcc_lo
	v_cmp_neq_f32_e32 vcc_lo, 0x7f800000, v12
	s_delay_alu instid0(VALU_DEP_2) | instskip(SKIP_1) | instid1(VALU_DEP_2)
	v_sub_nc_u32_e32 v23, 0, v6
	v_pk_add_f32 v[16:17], v[12:13], v[14:15] neg_lo:[0,1] neg_hi:[0,1]
	v_ldexp_f32 v13, v15, v23
	s_delay_alu instid0(VALU_DEP_2) | instskip(NEXT) | instid1(VALU_DEP_2)
	v_add_f32_e32 v14, 1.0, v17
	v_add_f32_e32 v17, 1.0, v13
	s_delay_alu instid0(VALU_DEP_1) | instskip(NEXT) | instid1(VALU_DEP_1)
	v_dual_add_f32 v15, -1.0, v17 :: v_dual_add_f32 v14, v16, v14
	v_dual_add_f32 v27, -1.0, v13 :: v_dual_sub_f32 v15, v13, v15
	s_delay_alu instid0(VALU_DEP_2) | instskip(NEXT) | instid1(VALU_DEP_2)
	v_ldexp_f32 v14, v14, v23
	v_add_f32_e32 v16, 1.0, v27
	s_delay_alu instid0(VALU_DEP_1) | instskip(NEXT) | instid1(VALU_DEP_1)
	v_dual_add_f32 v23, v14, v15 :: v_dual_sub_f32 v13, v13, v16
	v_dual_add_f32 v13, v14, v13 :: v_dual_add_f32 v28, v17, v23
	s_delay_alu instid0(VALU_DEP_1) | instskip(NEXT) | instid1(VALU_DEP_2)
	v_add_f32_e32 v15, v27, v13
	v_rcp_f32_e32 v29, v28
	v_nop
	s_delay_alu instid0(TRANS32_DEP_1) | instskip(NEXT) | instid1(VALU_DEP_1)
	v_dual_sub_f32 v32, v15, v27 :: v_dual_mul_f32 v31, v15, v29
	v_dual_sub_f32 v14, v28, v17 :: v_dual_sub_f32 v13, v13, v32
	s_delay_alu instid0(VALU_DEP_1) | instskip(NEXT) | instid1(VALU_DEP_1)
	v_dual_mul_f32 v16, v28, v31 :: v_dual_sub_f32 v23, v23, v14
	v_fma_f32 v26, v31, v28, -v16
	s_delay_alu instid0(VALU_DEP_1) | instskip(NEXT) | instid1(VALU_DEP_1)
	v_fmac_f32_e32 v26, v31, v23
	v_add_f32_e32 v14, v16, v26
	s_delay_alu instid0(VALU_DEP_1) | instskip(NEXT) | instid1(VALU_DEP_1)
	v_dual_sub_f32 v17, v15, v14 :: v_dual_mov_b32 v27, v14
	v_pk_add_f32 v[14:15], v[14:15], v[16:17] neg_lo:[0,1] neg_hi:[0,1]
	s_delay_alu instid0(VALU_DEP_1) | instskip(NEXT) | instid1(VALU_DEP_1)
	v_pk_add_f32 v[14:15], v[14:15], v[26:27] neg_lo:[0,1] neg_hi:[0,1]
	v_add_f32_e32 v13, v13, v15
	s_delay_alu instid0(VALU_DEP_1) | instskip(NEXT) | instid1(VALU_DEP_1)
	v_add_f32_e32 v13, v14, v13
	v_add_f32_e32 v15, v17, v13
	s_delay_alu instid0(VALU_DEP_1) | instskip(NEXT) | instid1(VALU_DEP_1)
	v_mul_f32_e32 v32, v29, v15
	v_mul_f32_e32 v26, v28, v32
	s_delay_alu instid0(VALU_DEP_1) | instskip(NEXT) | instid1(VALU_DEP_1)
	v_fma_f32 v16, v32, v28, -v26
	v_dual_add_f32 v28, v31, v32 :: v_dual_fmac_f32 v16, v32, v23
	s_delay_alu instid0(VALU_DEP_1) | instskip(NEXT) | instid1(VALU_DEP_1)
	v_dual_sub_f32 v23, v17, v15 :: v_dual_add_f32 v14, v26, v16
	v_dual_add_f32 v13, v13, v23 :: v_dual_sub_f32 v27, v15, v14
	v_mov_b32_e32 v17, v14
	s_delay_alu instid0(VALU_DEP_2) | instskip(NEXT) | instid1(VALU_DEP_1)
	v_pk_add_f32 v[14:15], v[14:15], v[26:27] neg_lo:[0,1] neg_hi:[0,1]
	v_pk_add_f32 v[14:15], v[14:15], v[16:17] neg_lo:[0,1] neg_hi:[0,1]
	s_delay_alu instid0(VALU_DEP_1) | instskip(NEXT) | instid1(VALU_DEP_1)
	v_add_f32_e32 v13, v13, v15
	v_dual_add_f32 v13, v14, v13 :: v_dual_sub_f32 v14, v28, v31
	s_delay_alu instid0(VALU_DEP_1) | instskip(NEXT) | instid1(VALU_DEP_1)
	v_dual_add_f32 v13, v27, v13 :: v_dual_sub_f32 v14, v32, v14
	v_mul_f32_e32 v13, v29, v13
	s_delay_alu instid0(VALU_DEP_1) | instskip(SKIP_1) | instid1(VALU_DEP_2)
	v_add_f32_e32 v13, v14, v13
	v_cvt_f32_i32_e32 v14, v6
	v_add_f32_e32 v29, v28, v13
	s_delay_alu instid0(VALU_DEP_1) | instskip(NEXT) | instid1(VALU_DEP_1)
	v_sub_f32_e32 v6, v29, v28
	v_sub_f32_e32 v6, v13, v6
	v_ldexp_f32 v27, v29, 1
	v_mul_f32_e32 v16, v29, v29
	s_delay_alu instid0(VALU_DEP_3) | instskip(NEXT) | instid1(VALU_DEP_2)
	v_ldexp_f32 v6, v6, 1
	v_fmaak_f32 v17, s10, v16, 0x3ecc95a3
	v_mul_f32_e32 v15, v29, v16
	s_delay_alu instid0(VALU_DEP_2) | instskip(NEXT) | instid1(VALU_DEP_1)
	v_fmaak_f32 v23, v16, v17, 0x3f2aaada
	v_pk_mul_f32 v[16:17], v[14:15], v[22:23]
	s_delay_alu instid0(VALU_DEP_1) | instskip(SKIP_1) | instid1(VALU_DEP_2)
	v_fma_f32 v26, 0x3f317218, v14, -v16
	v_mov_b32_e32 v28, v16
	v_fmac_f32_e32 v26, 0xb102e308, v14
	s_delay_alu instid0(VALU_DEP_1) | instskip(NEXT) | instid1(VALU_DEP_1)
	v_pk_add_f32 v[14:15], v[16:17], v[26:27]
	v_dual_sub_f32 v13, v15, v27 :: v_dual_mov_b32 v27, v14
	s_delay_alu instid0(VALU_DEP_1) | instskip(SKIP_1) | instid1(VALU_DEP_2)
	v_sub_f32_e32 v13, v17, v13
	v_pk_add_f32 v[16:17], v[14:15], v[16:17] neg_lo:[0,1] neg_hi:[0,1]
	v_add_f32_e32 v29, v6, v13
	v_max_num_f32_e64 v6, |v9|, |v9|
	v_max_num_f32_e64 v13, |v8|, |v8|
	s_delay_alu instid0(VALU_DEP_3) | instskip(NEXT) | instid1(VALU_DEP_2)
	v_pk_add_f32 v[32:33], v[14:15], v[28:29]
	v_dual_max_num_f32 v23, v13, v6 :: v_dual_min_num_f32 v13, v13, v6
	s_delay_alu instid0(VALU_DEP_2) | instskip(NEXT) | instid1(VALU_DEP_2)
	v_mov_b32_e32 v17, v33
	v_frexp_exp_i32_f32_e32 v28, v23
	s_delay_alu instid0(VALU_DEP_3) | instskip(SKIP_1) | instid1(VALU_DEP_4)
	v_frexp_exp_i32_f32_e32 v31, v13
	v_frexp_mant_f32_e32 v23, v23
	v_pk_add_f32 v[34:35], v[26:27], v[16:17]
	v_mov_b32_e32 v34, v33
	v_frexp_mant_f32_e32 v40, v13
	v_sub_nc_u32_e32 v31, v31, v28
	v_rcp_f32_e32 v23, v23
	v_mov_b32_e32 v6, v35
	v_pk_add_f32 v[16:17], v[26:27], v[16:17] neg_lo:[0,1] neg_hi:[0,1]
	s_delay_alu instid0(VALU_DEP_2) | instskip(SKIP_1) | instid1(TRANS32_DEP_1)
	v_pk_add_f32 v[36:37], v[6:7], v[14:15] neg_lo:[0,1] neg_hi:[0,1]
	v_dual_mov_b32 v38, v15 :: v_dual_mov_b32 v15, v14
	v_dual_mov_b32 v14, v29 :: v_dual_mul_f32 v17, v40, v23
	s_delay_alu instid0(VALU_DEP_3) | instskip(NEXT) | instid1(VALU_DEP_1)
	v_dual_mov_b32 v39, v36 :: v_dual_mov_b32 v13, v36
	v_pk_add_f32 v[26:27], v[34:35], v[38:39] neg_lo:[0,1] neg_hi:[0,1]
	s_delay_alu instid0(VALU_DEP_2) | instskip(SKIP_2) | instid1(VALU_DEP_4)
	v_pk_add_f32 v[28:29], v[32:33], v[12:13] neg_lo:[0,1] neg_hi:[0,1]
	v_mov_b32_e32 v28, v16
	v_ldexp_f32 v13, v17, v31
	v_pk_add_f32 v[14:15], v[14:15], v[26:27] neg_lo:[0,1] neg_hi:[0,1]
	s_delay_alu instid0(VALU_DEP_2) | instskip(NEXT) | instid1(VALU_DEP_2)
	v_mul_f32_e32 v23, v13, v13
	v_pk_add_f32 v[26:27], v[28:29], v[14:15]
	s_delay_alu instid0(VALU_DEP_1) | instskip(NEXT) | instid1(VALU_DEP_1)
	v_dual_fmaak_f32 v15, s11, v23, 0xbc7a590c :: v_dual_mov_b32 v28, v27
	v_pk_add_f32 v[28:29], v[26:27], v[28:29]
	s_delay_alu instid0(VALU_DEP_1) | instskip(NEXT) | instid1(VALU_DEP_1)
	v_pk_add_f32 v[32:33], v[6:7], v[28:29]
	v_dual_mov_b32 v17, v35 :: v_dual_mov_b32 v27, v32
	s_delay_alu instid0(VALU_DEP_1) | instskip(NEXT) | instid1(VALU_DEP_1)
	v_pk_add_f32 v[34:35], v[26:27], v[16:17] neg_lo:[0,1] neg_hi:[0,1]
	v_sub_f32_e32 v17, v26, v34
	s_delay_alu instid0(VALU_DEP_1) | instskip(NEXT) | instid1(VALU_DEP_1)
	v_dual_fmaak_f32 v15, v23, v15, 0x3d29fb3f :: v_dual_sub_f32 v16, v16, v17
	v_dual_fmaak_f32 v6, v23, v15, 0xbd97d4d7 :: v_dual_mov_b32 v15, v28
	s_delay_alu instid0(VALU_DEP_1) | instskip(NEXT) | instid1(VALU_DEP_2)
	v_fmaak_f32 v6, v23, v6, 0x3dd931b2
	v_pk_add_f32 v[14:15], v[14:15], v[34:35] neg_lo:[0,1] neg_hi:[0,1]
	s_delay_alu instid0(VALU_DEP_2) | instskip(NEXT) | instid1(VALU_DEP_1)
	v_fmaak_f32 v6, v23, v6, 0xbe1160e6
	v_fmaak_f32 v6, v23, v6, 0x3e4cb8bf
	s_delay_alu instid0(VALU_DEP_1) | instskip(NEXT) | instid1(VALU_DEP_1)
	v_fmaak_f32 v6, v23, v6, 0xbeaaaa62
	v_dual_add_f32 v14, v14, v16 :: v_dual_mul_f32 v6, v23, v6
	s_delay_alu instid0(VALU_DEP_1) | instskip(NEXT) | instid1(VALU_DEP_1)
	v_dual_add_f32 v14, v14, v15 :: v_dual_fmac_f32 v13, v13, v6
	v_add_f32_e32 v6, v32, v14
	s_delay_alu instid0(VALU_DEP_2) | instskip(NEXT) | instid1(VALU_DEP_1)
	v_sub_f32_e32 v14, 0x3fc90fdb, v13
	v_cndmask_b32_e64 v13, v13, v14, s0
	s_delay_alu instid0(VALU_DEP_3) | instskip(SKIP_3) | instid1(VALU_DEP_4)
	v_cndmask_b32_e32 v6, 0x7f800000, v6, vcc_lo
	v_cmp_gt_i32_e32 vcc_lo, 0, v8
	v_cndmask_b32_e64 v14, 0, 0x40490fdb, vcc_lo
	v_cmp_ngt_f32_e32 vcc_lo, -1.0, v12
	v_cndmask_b32_e32 v6, 0x7fc00000, v6, vcc_lo
	v_cmp_gt_f32_e32 vcc_lo, 0, v8
	s_delay_alu instid0(VALU_DEP_2) | instskip(SKIP_2) | instid1(VALU_DEP_2)
	v_cndmask_b32_e64 v6, 0xff800000, v6, s1
	v_sub_f32_e32 v15, 0x40490fdb, v13
	v_cmp_class_f32_e64 s1, v9, 0x204
	v_cndmask_b32_e32 v13, v13, v15, vcc_lo
	v_cndmask_b32_e32 v15, 0x3f490fdb, v30, vcc_lo
	v_cmp_gt_f32_e64 vcc_lo, 0x33800000, |v12|
	v_cndmask_b32_e32 v6, v6, v12, vcc_lo
	v_cmp_eq_f32_e32 vcc_lo, 0, v9
	v_cndmask_b32_e32 v13, v13, v14, vcc_lo
	s_and_b32 vcc_lo, s3, s1
	s_delay_alu instid0(VALU_DEP_1) | instid1(SALU_CYCLE_1)
	v_dual_mul_f32 v12, 0.5, v6 :: v_dual_cndmask_b32 v6, v13, v15, vcc_lo
                                        ; implicit-def: $vgpr14_vgpr15
.LBB174_202:                            ;   in Loop: Header=BB174_162 Depth=1
	s_and_not1_saveexec_b32 s19, s2
	s_cbranch_execz .LBB174_210
; %bb.203:                              ;   in Loop: Header=BB174_162 Depth=1
	v_pk_mul_f32 v[12:13], v[14:15], v[14:15]
                                        ; implicit-def: $vgpr6
	s_mov_b32 s1, exec_lo
	s_delay_alu instid0(VALU_DEP_1) | instskip(NEXT) | instid1(VALU_DEP_1)
	v_add_f32_e32 v12, v13, v12
	v_cmpx_ge_f32_e32 0x3f333333, v12
	s_xor_b32 s2, exec_lo, s1
	s_cbranch_execz .LBB174_205
; %bb.204:                              ;   in Loop: Header=BB174_162 Depth=1
	v_max_num_f32_e64 v6, |v9|, |v9|
	v_max_num_f32_e64 v13, |v8|, |v8|
	v_cmp_gt_f32_e32 vcc_lo, 0x800000, v12
	v_cmp_gt_i32_e64 s1, 0, v8
	v_cmp_class_f32_e64 s3, v8, 0x204
	v_cmp_class_f32_e64 s4, v9, 0x204
	v_dual_max_num_f32 v14, v13, v6 :: v_dual_min_num_f32 v6, v13, v6
	v_cndmask_b32_e64 v16, 0, 0x41b17218, vcc_lo
	s_delay_alu instid0(VALU_DEP_2) | instskip(SKIP_1) | instid1(VALU_DEP_2)
	v_frexp_mant_f32_e32 v15, v14
	v_frexp_exp_i32_f32_e32 v13, v14
	v_rcp_f32_e32 v14, v15
	v_nop
	v_frexp_exp_i32_f32_e32 v15, v6
	v_frexp_mant_f32_e32 v6, v6
	s_delay_alu instid0(TRANS32_DEP_1) | instid1(VALU_DEP_1)
	v_dual_mul_f32 v6, v6, v14 :: v_dual_sub_nc_u32 v13, v15, v13
	v_cndmask_b32_e64 v15, 0, 32, vcc_lo
	s_delay_alu instid0(VALU_DEP_2) | instskip(NEXT) | instid1(VALU_DEP_2)
	v_ldexp_f32 v6, v6, v13
	v_ldexp_f32 v12, v12, v15
	s_delay_alu instid0(VALU_DEP_1) | instskip(NEXT) | instid1(VALU_DEP_2)
	v_log_f32_e32 v12, v12
	v_mul_f32_e32 v13, v6, v6
	s_delay_alu instid0(VALU_DEP_1) | instskip(NEXT) | instid1(TRANS32_DEP_1)
	v_fmaak_f32 v14, s11, v13, 0xbc7a590c
	v_cmp_gt_f32_e64 vcc_lo, 0x7f800000, |v12|
	s_delay_alu instid0(VALU_DEP_2) | instskip(NEXT) | instid1(VALU_DEP_1)
	v_fmaak_f32 v14, v13, v14, 0x3d29fb3f
	v_fmaak_f32 v14, v13, v14, 0xbd97d4d7
	s_delay_alu instid0(VALU_DEP_1) | instskip(NEXT) | instid1(VALU_DEP_1)
	v_fmaak_f32 v14, v13, v14, 0x3dd931b2
	v_fmaak_f32 v14, v13, v14, 0xbe1160e6
	s_delay_alu instid0(VALU_DEP_1) | instskip(NEXT) | instid1(VALU_DEP_1)
	;; [unrolled: 3-line block ×3, first 2 shown]
	v_dual_mul_f32 v13, v13, v14 :: v_dual_mul_f32 v14, 0x3f317217, v12
	v_fmac_f32_e32 v6, v6, v13
	s_delay_alu instid0(VALU_DEP_2) | instskip(NEXT) | instid1(VALU_DEP_1)
	v_fma_f32 v13, 0x3f317217, v12, -v14
	v_fmac_f32_e32 v13, 0x3377d1cf, v12
	s_delay_alu instid0(VALU_DEP_3) | instskip(NEXT) | instid1(VALU_DEP_1)
	v_sub_f32_e32 v14, 0x3fc90fdb, v6
	v_cndmask_b32_e64 v6, v6, v14, s0
	v_cndmask_b32_e64 v14, 0, 0x40490fdb, s1
	v_cmp_eq_f32_e64 s1, 0, v9
	s_delay_alu instid0(VALU_DEP_3) | instskip(SKIP_1) | instid1(VALU_DEP_1)
	v_sub_f32_e32 v15, 0x40490fdb, v6
	v_fmac_f32_e32 v13, 0x3f317217, v12
	v_cndmask_b32_e32 v12, v12, v13, vcc_lo
	v_cmp_gt_f32_e32 vcc_lo, 0, v8
	s_delay_alu instid0(VALU_DEP_2) | instskip(NEXT) | instid1(VALU_DEP_1)
	v_dual_cndmask_b32 v6, v6, v15, vcc_lo :: v_dual_sub_f32 v12, v12, v16
	v_cndmask_b32_e64 v6, v6, v14, s1
	s_delay_alu instid0(VALU_DEP_2) | instskip(SKIP_1) | instid1(VALU_DEP_1)
	v_dual_cndmask_b32 v13, 0x3f490fdb, v30 :: v_dual_mul_f32 v12, 0.5, v12
	s_and_b32 vcc_lo, s3, s4
                                        ; implicit-def: $vgpr14
	v_cndmask_b32_e32 v6, v6, v13, vcc_lo
.LBB174_205:                            ;   in Loop: Header=BB174_162 Depth=1
	s_and_not1_saveexec_b32 s20, s2
	s_cbranch_execz .LBB174_209
; %bb.206:                              ;   in Loop: Header=BB174_162 Depth=1
	v_and_b32_e32 v13, 0x7fff0000, v14
	v_and_b32_e32 v12, 0x7fff0000, v15
	s_mov_b32 s21, 0
	s_delay_alu instid0(VALU_DEP_1) | instskip(SKIP_2) | instid1(VALU_DEP_2)
	v_dual_add_f32 v28, v13, v13 :: v_dual_add_f32 v23, v12, v12
	v_pk_add_f32 v[14:15], v[14:15], v[12:13] op_sel:[1,0] op_sel_hi:[0,1] neg_lo:[0,1] neg_hi:[0,1]
	v_pk_mul_f32 v[12:13], v[12:13], v[12:13]
	v_and_b32_e32 v17, 0xffff0000, v15
	s_delay_alu instid0(VALU_DEP_3) | instskip(NEXT) | instid1(VALU_DEP_1)
	v_and_b32_e32 v16, 0xffff0000, v14
	v_dual_add_f32 v32, v17, v17 :: v_dual_add_f32 v31, v16, v16
	v_pk_add_f32 v[14:15], v[14:15], v[16:17] neg_lo:[0,1] neg_hi:[0,1]
	v_dual_mul_f32 v6, v23, v16 :: v_dual_mul_f32 v27, v28, v17
	v_pk_mul_f32 v[16:17], v[16:17], v[16:17]
	s_delay_alu instid0(VALU_DEP_3)
	v_dual_mul_f32 v26, v23, v14 :: v_dual_mul_f32 v29, v28, v15
	v_dual_mul_f32 v23, v31, v14 :: v_dual_mul_f32 v28, v32, v15
	v_pk_mul_f32 v[14:15], v[14:15], v[14:15]
.LBB174_207:                            ;   Parent Loop BB174_162 Depth=1
                                        ; =>  This Inner Loop Header: Depth=2
	v_cmp_nlt_f32_e32 vcc_lo, v12, v13
	v_dual_cndmask_b32 v31, v12, v13 :: v_dual_cndmask_b32 v12, v13, v12
	s_delay_alu instid0(VALU_DEP_1) | instskip(NEXT) | instid1(VALU_DEP_1)
	v_cmp_nlt_f32_e64 s1, v31, v6
	v_dual_cndmask_b32 v32, v31, v6, s1 :: v_dual_cndmask_b32 v13, v6, v31, s1
	s_and_b32 s1, vcc_lo, s1
	s_delay_alu instid0(VALU_DEP_1) | instskip(NEXT) | instid1(VALU_DEP_1)
	v_cmp_nlt_f32_e64 s2, v32, v27
	v_dual_cndmask_b32 v33, v32, v27, s2 :: v_dual_cndmask_b32 v6, v27, v32, s2
	s_delay_alu instid0(VALU_DEP_1) | instskip(NEXT) | instid1(VALU_DEP_1)
	v_cmp_nlt_f32_e64 s3, v33, v16
	v_cndmask_b32_e64 v31, v33, v16, s3
	s_and_b32 s22, s2, s3
	s_delay_alu instid0(VALU_DEP_1) | instskip(NEXT) | instid1(VALU_DEP_1)
	v_cmp_nlt_f32_e64 s4, v31, v17
	v_cndmask_b32_e64 v32, v31, v17, s4
	s_delay_alu instid0(VALU_DEP_1) | instskip(NEXT) | instid1(VALU_DEP_1)
	v_cmp_nlt_f32_e64 s5, v32, v26
	v_cndmask_b32_e64 v34, v32, v26, s5
	s_delay_alu instid0(VALU_DEP_1) | instskip(NEXT) | instid1(VALU_DEP_1)
	v_cmp_nlt_f32_e64 s6, v34, v29
	v_cndmask_b32_e64 v35, v34, v29, s6
	s_delay_alu instid0(VALU_DEP_1) | instskip(SKIP_2) | instid1(VALU_DEP_3)
	v_cmp_nlt_f32_e64 s7, v35, v23
	v_dual_cndmask_b32 v27, v16, v33, s3 :: v_dual_cndmask_b32 v16, v17, v31, s4
	v_dual_cndmask_b32 v17, v26, v32, s5 :: v_dual_cndmask_b32 v26, v29, v34, s6
	v_cndmask_b32_e64 v33, v35, v23, s7
	s_and_b32 s4, s4, s5
	s_delay_alu instid0(SALU_CYCLE_1) | instskip(NEXT) | instid1(SALU_CYCLE_1)
	s_and_b32 s4, s4, s6
	s_and_b32 s5, s4, s7
	s_delay_alu instid0(VALU_DEP_1) | instskip(NEXT) | instid1(VALU_DEP_1)
	v_cmp_nlt_f32_e64 s2, v33, v28
	v_dual_cndmask_b32 v31, v33, v28, s2 :: v_dual_cndmask_b32 v29, v23, v35, s7
	v_cndmask_b32_e64 v23, v28, v33, s2
	s_and_b32 s2, s5, s2
	s_delay_alu instid0(VALU_DEP_2) | instskip(NEXT) | instid1(VALU_DEP_1)
	v_cmp_nlt_f32_e64 s3, v31, v14
	v_cndmask_b32_e64 v32, v31, v14, s3
	s_and_b32 s2, s2, s3
	s_delay_alu instid0(VALU_DEP_1) | instskip(NEXT) | instid1(VALU_DEP_1)
	v_cmp_nlt_f32_e64 s4, v32, v15
	v_dual_cndmask_b32 v28, v14, v31, s3 :: v_dual_cndmask_b32 v14, v15, v32, s4
	s_and_b32 s2, s2, s4
	v_cndmask_b32_e64 v15, v32, v15, s4
	s_and_b32 s2, s2, s22
	s_delay_alu instid0(SALU_CYCLE_1) | instskip(NEXT) | instid1(SALU_CYCLE_1)
	s_and_b32 s1, s2, s1
	s_and_b32 s1, exec_lo, s1
	s_delay_alu instid0(SALU_CYCLE_1) | instskip(NEXT) | instid1(SALU_CYCLE_1)
	s_or_b32 s21, s1, s21
	s_and_not1_b32 exec_lo, exec_lo, s21
	s_cbranch_execnz .LBB174_207
; %bb.208:                              ;   in Loop: Header=BB174_162 Depth=1
	s_or_b32 exec_lo, exec_lo, s21
	v_add_f32_e32 v12, -1.0, v12
	v_cmp_class_f32_e64 s2, v8, 0x204
	s_delay_alu instid0(VALU_DEP_2) | instskip(NEXT) | instid1(VALU_DEP_1)
	v_add_f32_e32 v12, v12, v13
	v_add_f32_e32 v6, v12, v6
	s_delay_alu instid0(VALU_DEP_1) | instskip(NEXT) | instid1(VALU_DEP_1)
	v_add_f32_e32 v6, v6, v27
	v_add_f32_e32 v6, v6, v16
	s_delay_alu instid0(VALU_DEP_1) | instskip(NEXT) | instid1(VALU_DEP_1)
	;; [unrolled: 3-line block ×5, first 2 shown]
	v_add_f32_e32 v12, v15, v6
	v_add_f32_e32 v15, 1.0, v12
	s_delay_alu instid0(VALU_DEP_1) | instskip(SKIP_2) | instid1(VALU_DEP_2)
	v_cvt_f64_f32_e32 v[16:17], v15
	v_frexp_mant_f32_e32 v14, v15
	v_add_f32_e32 v13, -1.0, v15
	v_cmp_gt_f32_e32 vcc_lo, 0x3f2aaaab, v14
	s_delay_alu instid0(VALU_DEP_2) | instskip(SKIP_1) | instid1(VALU_DEP_1)
	v_mov_b32_e32 v14, v13
	v_frexp_exp_i32_f64_e32 v6, v[16:17]
	v_subrev_co_ci_u32_e64 v6, null, 0, v6, vcc_lo
	s_delay_alu instid0(VALU_DEP_1) | instskip(NEXT) | instid1(VALU_DEP_4)
	v_sub_nc_u32_e32 v23, 0, v6
	v_pk_add_f32 v[16:17], v[12:13], v[14:15] neg_lo:[0,1] neg_hi:[0,1]
	v_cmp_neq_f32_e32 vcc_lo, 0x7f800000, v12
	v_cmp_neq_f32_e64 s1, -1.0, v12
	s_delay_alu instid0(VALU_DEP_4) | instskip(NEXT) | instid1(VALU_DEP_4)
	v_ldexp_f32 v13, v15, v23
	v_add_f32_e32 v14, 1.0, v17
	s_delay_alu instid0(VALU_DEP_1) | instskip(NEXT) | instid1(VALU_DEP_1)
	v_dual_add_f32 v17, 1.0, v13 :: v_dual_add_f32 v14, v16, v14
	v_add_f32_e32 v15, -1.0, v17
	v_add_f32_e32 v27, -1.0, v13
	s_delay_alu instid0(VALU_DEP_3) | instskip(NEXT) | instid1(VALU_DEP_3)
	v_ldexp_f32 v14, v14, v23
	v_sub_f32_e32 v15, v13, v15
	s_delay_alu instid0(VALU_DEP_3) | instskip(NEXT) | instid1(VALU_DEP_1)
	v_add_f32_e32 v16, 1.0, v27
	v_dual_add_f32 v23, v14, v15 :: v_dual_sub_f32 v13, v13, v16
	s_delay_alu instid0(VALU_DEP_1) | instskip(NEXT) | instid1(VALU_DEP_1)
	v_dual_add_f32 v13, v14, v13 :: v_dual_add_f32 v28, v17, v23
	v_add_f32_e32 v15, v27, v13
	s_delay_alu instid0(VALU_DEP_2) | instskip(SKIP_1) | instid1(TRANS32_DEP_1)
	v_rcp_f32_e32 v29, v28
	v_nop
	v_dual_sub_f32 v32, v15, v27 :: v_dual_mul_f32 v31, v15, v29
	s_delay_alu instid0(VALU_DEP_1) | instskip(NEXT) | instid1(VALU_DEP_1)
	v_dual_sub_f32 v14, v28, v17 :: v_dual_sub_f32 v13, v13, v32
	v_dual_mul_f32 v16, v28, v31 :: v_dual_sub_f32 v23, v23, v14
	s_delay_alu instid0(VALU_DEP_1) | instskip(NEXT) | instid1(VALU_DEP_1)
	v_fma_f32 v26, v31, v28, -v16
	v_fmac_f32_e32 v26, v31, v23
	s_delay_alu instid0(VALU_DEP_1) | instskip(NEXT) | instid1(VALU_DEP_1)
	v_add_f32_e32 v14, v16, v26
	v_dual_sub_f32 v17, v15, v14 :: v_dual_mov_b32 v27, v14
	s_delay_alu instid0(VALU_DEP_1) | instskip(NEXT) | instid1(VALU_DEP_1)
	v_pk_add_f32 v[14:15], v[14:15], v[16:17] neg_lo:[0,1] neg_hi:[0,1]
	v_pk_add_f32 v[14:15], v[14:15], v[26:27] neg_lo:[0,1] neg_hi:[0,1]
	s_delay_alu instid0(VALU_DEP_1) | instskip(NEXT) | instid1(VALU_DEP_1)
	v_add_f32_e32 v13, v13, v15
	v_add_f32_e32 v13, v14, v13
	s_delay_alu instid0(VALU_DEP_1) | instskip(NEXT) | instid1(VALU_DEP_1)
	v_add_f32_e32 v15, v17, v13
	v_mul_f32_e32 v32, v29, v15
	s_delay_alu instid0(VALU_DEP_1) | instskip(NEXT) | instid1(VALU_DEP_1)
	v_mul_f32_e32 v26, v28, v32
	v_fma_f32 v16, v32, v28, -v26
	s_delay_alu instid0(VALU_DEP_1) | instskip(NEXT) | instid1(VALU_DEP_1)
	v_dual_add_f32 v28, v31, v32 :: v_dual_fmac_f32 v16, v32, v23
	v_dual_sub_f32 v23, v17, v15 :: v_dual_add_f32 v14, v26, v16
	s_delay_alu instid0(VALU_DEP_1) | instskip(SKIP_1) | instid1(VALU_DEP_2)
	v_dual_add_f32 v13, v13, v23 :: v_dual_sub_f32 v27, v15, v14
	v_mov_b32_e32 v17, v14
	v_pk_add_f32 v[14:15], v[14:15], v[26:27] neg_lo:[0,1] neg_hi:[0,1]
	s_delay_alu instid0(VALU_DEP_1) | instskip(NEXT) | instid1(VALU_DEP_1)
	v_pk_add_f32 v[14:15], v[14:15], v[16:17] neg_lo:[0,1] neg_hi:[0,1]
	v_add_f32_e32 v13, v13, v15
	s_delay_alu instid0(VALU_DEP_1) | instskip(NEXT) | instid1(VALU_DEP_1)
	v_dual_add_f32 v13, v14, v13 :: v_dual_sub_f32 v14, v28, v31
	v_dual_add_f32 v13, v27, v13 :: v_dual_sub_f32 v14, v32, v14
	s_delay_alu instid0(VALU_DEP_1) | instskip(NEXT) | instid1(VALU_DEP_1)
	v_mul_f32_e32 v13, v29, v13
	v_add_f32_e32 v13, v14, v13
	v_cvt_f32_i32_e32 v14, v6
	s_delay_alu instid0(VALU_DEP_2) | instskip(NEXT) | instid1(VALU_DEP_1)
	v_add_f32_e32 v29, v28, v13
	v_sub_f32_e32 v6, v29, v28
	s_delay_alu instid0(VALU_DEP_1) | instskip(SKIP_2) | instid1(VALU_DEP_3)
	v_sub_f32_e32 v6, v13, v6
	v_ldexp_f32 v27, v29, 1
	v_mul_f32_e32 v16, v29, v29
	v_ldexp_f32 v6, v6, 1
	s_delay_alu instid0(VALU_DEP_2) | instskip(SKIP_1) | instid1(VALU_DEP_2)
	v_fmaak_f32 v17, s10, v16, 0x3ecc95a3
	v_mul_f32_e32 v15, v29, v16
	v_fmaak_f32 v23, v16, v17, 0x3f2aaada
	s_delay_alu instid0(VALU_DEP_1) | instskip(NEXT) | instid1(VALU_DEP_1)
	v_pk_mul_f32 v[16:17], v[14:15], v[22:23]
	v_fma_f32 v26, 0x3f317218, v14, -v16
	v_mov_b32_e32 v28, v16
	s_delay_alu instid0(VALU_DEP_2) | instskip(NEXT) | instid1(VALU_DEP_1)
	v_fmac_f32_e32 v26, 0xb102e308, v14
	v_pk_add_f32 v[14:15], v[16:17], v[26:27]
	s_delay_alu instid0(VALU_DEP_1) | instskip(NEXT) | instid1(VALU_DEP_1)
	v_dual_sub_f32 v13, v15, v27 :: v_dual_mov_b32 v27, v14
	v_sub_f32_e32 v13, v17, v13
	v_pk_add_f32 v[16:17], v[14:15], v[16:17] neg_lo:[0,1] neg_hi:[0,1]
	s_delay_alu instid0(VALU_DEP_2) | instskip(SKIP_2) | instid1(VALU_DEP_3)
	v_add_f32_e32 v29, v6, v13
	v_max_num_f32_e64 v6, |v9|, |v9|
	v_max_num_f32_e64 v13, |v8|, |v8|
	v_pk_add_f32 v[32:33], v[14:15], v[28:29]
	s_delay_alu instid0(VALU_DEP_2) | instskip(NEXT) | instid1(VALU_DEP_2)
	v_dual_max_num_f32 v23, v13, v6 :: v_dual_min_num_f32 v13, v13, v6
	v_mov_b32_e32 v17, v33
	s_delay_alu instid0(VALU_DEP_2) | instskip(NEXT) | instid1(VALU_DEP_3)
	v_frexp_exp_i32_f32_e32 v28, v23
	v_frexp_exp_i32_f32_e32 v31, v13
	v_frexp_mant_f32_e32 v23, v23
	s_delay_alu instid0(VALU_DEP_4)
	v_pk_add_f32 v[34:35], v[26:27], v[16:17]
	v_mov_b32_e32 v34, v33
	v_frexp_mant_f32_e32 v40, v13
	v_sub_nc_u32_e32 v31, v31, v28
	v_rcp_f32_e32 v23, v23
	v_mov_b32_e32 v6, v35
	v_pk_add_f32 v[16:17], v[26:27], v[16:17] neg_lo:[0,1] neg_hi:[0,1]
	s_delay_alu instid0(VALU_DEP_2) | instskip(SKIP_1) | instid1(TRANS32_DEP_1)
	v_pk_add_f32 v[36:37], v[6:7], v[14:15] neg_lo:[0,1] neg_hi:[0,1]
	v_dual_mov_b32 v38, v15 :: v_dual_mov_b32 v15, v14
	v_dual_mov_b32 v14, v29 :: v_dual_mul_f32 v17, v40, v23
	s_delay_alu instid0(VALU_DEP_3) | instskip(NEXT) | instid1(VALU_DEP_1)
	v_dual_mov_b32 v39, v36 :: v_dual_mov_b32 v13, v36
	v_pk_add_f32 v[26:27], v[34:35], v[38:39] neg_lo:[0,1] neg_hi:[0,1]
	s_delay_alu instid0(VALU_DEP_2) | instskip(SKIP_2) | instid1(VALU_DEP_4)
	v_pk_add_f32 v[28:29], v[32:33], v[12:13] neg_lo:[0,1] neg_hi:[0,1]
	v_mov_b32_e32 v28, v16
	v_ldexp_f32 v13, v17, v31
	v_pk_add_f32 v[14:15], v[14:15], v[26:27] neg_lo:[0,1] neg_hi:[0,1]
	s_delay_alu instid0(VALU_DEP_2) | instskip(NEXT) | instid1(VALU_DEP_2)
	v_mul_f32_e32 v23, v13, v13
	v_pk_add_f32 v[26:27], v[28:29], v[14:15]
	s_delay_alu instid0(VALU_DEP_1) | instskip(NEXT) | instid1(VALU_DEP_1)
	v_dual_fmaak_f32 v15, s11, v23, 0xbc7a590c :: v_dual_mov_b32 v28, v27
	v_pk_add_f32 v[28:29], v[26:27], v[28:29]
	s_delay_alu instid0(VALU_DEP_1) | instskip(NEXT) | instid1(VALU_DEP_1)
	v_pk_add_f32 v[32:33], v[6:7], v[28:29]
	v_dual_mov_b32 v17, v35 :: v_dual_mov_b32 v27, v32
	s_delay_alu instid0(VALU_DEP_1) | instskip(NEXT) | instid1(VALU_DEP_1)
	v_pk_add_f32 v[34:35], v[26:27], v[16:17] neg_lo:[0,1] neg_hi:[0,1]
	v_sub_f32_e32 v17, v26, v34
	s_delay_alu instid0(VALU_DEP_1) | instskip(NEXT) | instid1(VALU_DEP_1)
	v_dual_fmaak_f32 v15, v23, v15, 0x3d29fb3f :: v_dual_sub_f32 v16, v16, v17
	v_dual_fmaak_f32 v6, v23, v15, 0xbd97d4d7 :: v_dual_mov_b32 v15, v28
	s_delay_alu instid0(VALU_DEP_1) | instskip(NEXT) | instid1(VALU_DEP_2)
	v_fmaak_f32 v6, v23, v6, 0x3dd931b2
	v_pk_add_f32 v[14:15], v[14:15], v[34:35] neg_lo:[0,1] neg_hi:[0,1]
	s_delay_alu instid0(VALU_DEP_2) | instskip(NEXT) | instid1(VALU_DEP_1)
	v_fmaak_f32 v6, v23, v6, 0xbe1160e6
	v_fmaak_f32 v6, v23, v6, 0x3e4cb8bf
	s_delay_alu instid0(VALU_DEP_1) | instskip(NEXT) | instid1(VALU_DEP_1)
	v_fmaak_f32 v6, v23, v6, 0xbeaaaa62
	v_dual_add_f32 v14, v14, v16 :: v_dual_mul_f32 v6, v23, v6
	s_delay_alu instid0(VALU_DEP_1) | instskip(NEXT) | instid1(VALU_DEP_1)
	v_dual_add_f32 v14, v14, v15 :: v_dual_fmac_f32 v13, v13, v6
	v_add_f32_e32 v6, v32, v14
	s_delay_alu instid0(VALU_DEP_2) | instskip(NEXT) | instid1(VALU_DEP_1)
	v_sub_f32_e32 v14, 0x3fc90fdb, v13
	v_cndmask_b32_e64 v13, v13, v14, s0
	s_delay_alu instid0(VALU_DEP_3) | instskip(SKIP_3) | instid1(VALU_DEP_4)
	v_cndmask_b32_e32 v6, 0x7f800000, v6, vcc_lo
	v_cmp_gt_i32_e32 vcc_lo, 0, v8
	v_cndmask_b32_e64 v14, 0, 0x40490fdb, vcc_lo
	v_cmp_ngt_f32_e32 vcc_lo, -1.0, v12
	v_cndmask_b32_e32 v6, 0x7fc00000, v6, vcc_lo
	v_cmp_gt_f32_e32 vcc_lo, 0, v8
	s_delay_alu instid0(VALU_DEP_2) | instskip(SKIP_2) | instid1(VALU_DEP_2)
	v_cndmask_b32_e64 v6, 0xff800000, v6, s1
	v_sub_f32_e32 v15, 0x40490fdb, v13
	v_cmp_class_f32_e64 s1, v9, 0x204
	v_cndmask_b32_e32 v13, v13, v15, vcc_lo
	v_cndmask_b32_e32 v15, 0x3f490fdb, v30, vcc_lo
	v_cmp_gt_f32_e64 vcc_lo, 0x33800000, |v12|
	v_cndmask_b32_e32 v6, v6, v12, vcc_lo
	v_cmp_eq_f32_e32 vcc_lo, 0, v9
	v_cndmask_b32_e32 v13, v13, v14, vcc_lo
	s_and_b32 vcc_lo, s2, s1
	s_delay_alu instid0(VALU_DEP_1) | instid1(SALU_CYCLE_1)
	v_dual_mul_f32 v12, 0.5, v6 :: v_dual_cndmask_b32 v6, v13, v15, vcc_lo
.LBB174_209:                            ;   in Loop: Header=BB174_162 Depth=1
	s_or_b32 exec_lo, exec_lo, s20
.LBB174_210:                            ;   in Loop: Header=BB174_162 Depth=1
	s_delay_alu instid0(SALU_CYCLE_1)
	s_or_b32 exec_lo, exec_lo, s19
.LBB174_211:                            ;   in Loop: Header=BB174_162 Depth=1
	s_and_not1_saveexec_b32 s2, s18
	s_cbranch_execz .LBB174_213
; %bb.212:                              ;   in Loop: Header=BB174_162 Depth=1
	v_max_num_f32_e64 v6, |v9|, |v9|
	v_max_num_f32_e64 v14, |v8|, |v8|
	v_cmp_gt_i32_e64 s1, 0, v8
	v_cmp_class_f32_e64 s3, v8, 0x204
	v_cmp_class_f32_e64 s4, v9, 0x204
	s_delay_alu instid0(VALU_DEP_4) | instskip(NEXT) | instid1(VALU_DEP_1)
	v_dual_max_num_f32 v15, v14, v6 :: v_dual_min_num_f32 v6, v14, v6
	v_cvt_f64_f32_e32 v[12:13], v15
	v_frexp_exp_i32_f32_e32 v14, v15
	s_delay_alu instid0(VALU_DEP_3) | instskip(SKIP_4) | instid1(VALU_DEP_1)
	v_frexp_exp_i32_f32_e32 v16, v6
	v_frexp_mant_f32_e32 v6, v6
	v_cmp_neq_f32_e32 vcc_lo, 0x7f800000, v15
	v_frexp_exp_i32_f64_e32 v12, v[12:13]
	v_frexp_mant_f32_e32 v13, v15
	v_rcp_f32_e32 v13, v13
	v_nop
	s_delay_alu instid0(TRANS32_DEP_1) | instskip(NEXT) | instid1(VALU_DEP_1)
	v_dual_sub_nc_u32 v14, v16, v14 :: v_dual_mul_f32 v6, v6, v13
	v_ldexp_f32 v6, v6, v14
	s_delay_alu instid0(VALU_DEP_1) | instskip(NEXT) | instid1(VALU_DEP_1)
	v_dual_mul_f32 v14, v6, v6 :: v_dual_sub_nc_u32 v13, 0, v12
	v_ldexp_f32 v16, |v9|, v13
	s_delay_alu instid0(VALU_DEP_2) | instskip(SKIP_1) | instid1(VALU_DEP_3)
	v_fmaak_f32 v17, s11, v14, 0xbc7a590c
	v_ldexp_f32 v13, |v8|, v13
	v_mul_f32_e32 v16, v16, v16
	s_delay_alu instid0(VALU_DEP_1) | instskip(NEXT) | instid1(VALU_DEP_1)
	v_fmac_f32_e32 v16, v13, v13
	v_sqrt_f32_e32 v16, v16
	v_nop
	s_delay_alu instid0(TRANS32_DEP_1) | instskip(NEXT) | instid1(VALU_DEP_1)
	v_ldexp_f32 v12, v16, v12
	v_cndmask_b32_e32 v12, 0x7f800000, v12, vcc_lo
	s_delay_alu instid0(VALU_DEP_1) | instskip(SKIP_3) | instid1(VALU_DEP_2)
	v_cmp_gt_f32_e32 vcc_lo, 0x800000, v12
	v_cndmask_b32_e64 v16, 0, 0x41b17218, vcc_lo
	v_fmaak_f32 v17, v14, v17, 0x3d29fb3f
	v_cndmask_b32_e64 v15, 0, 32, vcc_lo
	v_fmaak_f32 v13, v14, v17, 0xbd97d4d7
	s_delay_alu instid0(VALU_DEP_1) | instskip(NEXT) | instid1(VALU_DEP_1)
	v_fmaak_f32 v13, v14, v13, 0x3dd931b2
	v_fmaak_f32 v13, v14, v13, 0xbe1160e6
	s_delay_alu instid0(VALU_DEP_1) | instskip(NEXT) | instid1(VALU_DEP_1)
	v_fmaak_f32 v13, v14, v13, 0x3e4cb8bf
	v_fmaak_f32 v13, v14, v13, 0xbeaaaa62
	s_delay_alu instid0(VALU_DEP_1) | instskip(SKIP_1) | instid1(VALU_DEP_1)
	v_mul_f32_e32 v13, v14, v13
	v_ldexp_f32 v12, v12, v15
	v_log_f32_e32 v12, v12
	v_nop
	s_delay_alu instid0(TRANS32_DEP_1) | instskip(NEXT) | instid1(VALU_DEP_1)
	v_dual_fmac_f32 v6, v6, v13 :: v_dual_mul_f32 v13, 0x3f317217, v12
	v_sub_f32_e32 v14, 0x3fc90fdb, v6
	v_cmp_gt_f32_e64 vcc_lo, 0x7f800000, |v12|
	s_delay_alu instid0(VALU_DEP_3) | instskip(NEXT) | instid1(VALU_DEP_1)
	v_fma_f32 v13, 0x3f317217, v12, -v13
	v_fmac_f32_e32 v13, 0x3377d1cf, v12
	s_delay_alu instid0(VALU_DEP_1) | instskip(SKIP_3) | instid1(VALU_DEP_3)
	v_fmac_f32_e32 v13, 0x3f317217, v12
	v_cndmask_b32_e64 v6, v6, v14, s0
	v_cndmask_b32_e64 v14, 0, 0x40490fdb, s1
	v_cmp_gt_f32_e64 s1, 0, v8
	v_dual_cndmask_b32 v12, v12, v13 :: v_dual_sub_f32 v15, 0x40490fdb, v6
	v_cmp_eq_f32_e32 vcc_lo, 0, v9
	s_delay_alu instid0(VALU_DEP_2) | instskip(SKIP_1) | instid1(VALU_DEP_2)
	v_dual_sub_f32 v12, v12, v16 :: v_dual_cndmask_b32 v6, v6, v15, s1
	v_cndmask_b32_e64 v15, 0x3f490fdb, v30, s1
	v_cndmask_b32_e32 v6, v6, v14, vcc_lo
	s_and_b32 vcc_lo, s3, s4
	s_delay_alu instid0(VALU_DEP_1)
	v_cndmask_b32_e32 v6, v6, v15, vcc_lo
.LBB174_213:                            ;   in Loop: Header=BB174_162 Depth=1
	s_or_b32 exec_lo, exec_lo, s2
                                        ; implicit-def: $vgpr14
.LBB174_214:                            ;   in Loop: Header=BB174_162 Depth=1
	s_and_not1_saveexec_b32 s2, s17
	s_cbranch_execz .LBB174_220
; %bb.215:                              ;   in Loop: Header=BB174_162 Depth=1
                                        ; implicit-def: $vgpr6
	s_mov_b32 s1, exec_lo
	v_cmpx_ngt_f32_e32 0x1fec1e4a, v14
	s_xor_b32 s3, exec_lo, s1
	s_cbranch_execz .LBB174_217
; %bb.216:                              ;   in Loop: Header=BB174_162 Depth=1
	v_pk_mul_f32 v[12:13], v[14:15], v[14:15]
	v_cmp_class_f32_e64 s4, v8, 0x204
	s_delay_alu instid0(VALU_DEP_2) | instskip(SKIP_1) | instid1(VALU_DEP_2)
	v_add_f32_e32 v15, 1.0, v12
	v_cmp_neq_f32_e64 s1, 0x7f800000, v12
	v_frexp_mant_f32_e32 v14, v15
	v_add_f32_e32 v13, -1.0, v15
	s_delay_alu instid0(VALU_DEP_2) | instskip(NEXT) | instid1(VALU_DEP_2)
	v_cmp_gt_f32_e32 vcc_lo, 0x3f2aaaab, v14
	v_mov_b32_e32 v14, v13
	v_cvt_f64_f32_e32 v[16:17], v15
	s_delay_alu instid0(VALU_DEP_1) | instskip(NEXT) | instid1(VALU_DEP_1)
	v_frexp_exp_i32_f64_e32 v6, v[16:17]
	v_subrev_co_ci_u32_e64 v6, null, 0, v6, vcc_lo
	v_cmp_gt_i32_e32 vcc_lo, 0, v8
	s_delay_alu instid0(VALU_DEP_2) | instskip(SKIP_1) | instid1(VALU_DEP_2)
	v_sub_nc_u32_e32 v23, 0, v6
	v_pk_add_f32 v[16:17], v[12:13], v[14:15] neg_lo:[0,1] neg_hi:[0,1]
	v_ldexp_f32 v13, v15, v23
	s_delay_alu instid0(VALU_DEP_2) | instskip(NEXT) | instid1(VALU_DEP_2)
	v_add_f32_e32 v14, 1.0, v17
	v_add_f32_e32 v17, 1.0, v13
	s_delay_alu instid0(VALU_DEP_1) | instskip(NEXT) | instid1(VALU_DEP_1)
	v_dual_add_f32 v15, -1.0, v17 :: v_dual_add_f32 v14, v16, v14
	v_dual_add_f32 v27, -1.0, v13 :: v_dual_sub_f32 v15, v13, v15
	s_delay_alu instid0(VALU_DEP_2) | instskip(NEXT) | instid1(VALU_DEP_2)
	v_ldexp_f32 v14, v14, v23
	v_add_f32_e32 v16, 1.0, v27
	s_delay_alu instid0(VALU_DEP_1) | instskip(NEXT) | instid1(VALU_DEP_1)
	v_dual_add_f32 v23, v14, v15 :: v_dual_sub_f32 v13, v13, v16
	v_dual_add_f32 v13, v14, v13 :: v_dual_add_f32 v28, v17, v23
	s_delay_alu instid0(VALU_DEP_1) | instskip(NEXT) | instid1(VALU_DEP_2)
	v_add_f32_e32 v15, v27, v13
	v_rcp_f32_e32 v29, v28
	s_delay_alu instid0(VALU_DEP_1) | instskip(NEXT) | instid1(VALU_DEP_1)
	v_dual_sub_f32 v14, v17, v28 :: v_dual_sub_f32 v32, v27, v15
	v_add_f32_e32 v23, v23, v14
	s_delay_alu instid0(TRANS32_DEP_1) | instid1(VALU_DEP_2)
	v_dual_mul_f32 v31, v15, v29 :: v_dual_add_f32 v13, v13, v32
	s_delay_alu instid0(VALU_DEP_1) | instskip(NEXT) | instid1(VALU_DEP_1)
	v_mul_f32_e32 v16, v28, v31
	v_fma_f32 v26, v31, v28, -v16
	s_delay_alu instid0(VALU_DEP_1) | instskip(NEXT) | instid1(VALU_DEP_1)
	v_fmac_f32_e32 v26, v31, v23
	v_add_f32_e32 v14, v16, v26
	s_delay_alu instid0(VALU_DEP_1) | instskip(NEXT) | instid1(VALU_DEP_1)
	v_dual_sub_f32 v17, v15, v14 :: v_dual_mov_b32 v27, v14
	v_pk_add_f32 v[14:15], v[14:15], v[16:17] neg_lo:[0,1] neg_hi:[0,1]
	s_delay_alu instid0(VALU_DEP_1) | instskip(NEXT) | instid1(VALU_DEP_1)
	v_pk_add_f32 v[14:15], v[14:15], v[26:27] neg_lo:[0,1] neg_hi:[0,1]
	v_add_f32_e32 v13, v13, v15
	s_delay_alu instid0(VALU_DEP_1) | instskip(NEXT) | instid1(VALU_DEP_1)
	v_add_f32_e32 v13, v14, v13
	v_add_f32_e32 v15, v17, v13
	s_delay_alu instid0(VALU_DEP_1) | instskip(NEXT) | instid1(VALU_DEP_1)
	v_mul_f32_e32 v32, v29, v15
	v_mul_f32_e32 v26, v28, v32
	s_delay_alu instid0(VALU_DEP_1) | instskip(NEXT) | instid1(VALU_DEP_1)
	v_fma_f32 v16, v32, v28, -v26
	v_fmac_f32_e32 v16, v32, v23
	s_delay_alu instid0(VALU_DEP_1) | instskip(NEXT) | instid1(VALU_DEP_1)
	v_dual_sub_f32 v23, v17, v15 :: v_dual_add_f32 v14, v26, v16
	v_dual_add_f32 v13, v13, v23 :: v_dual_add_f32 v28, v31, v32
	s_delay_alu instid0(VALU_DEP_2) | instskip(NEXT) | instid1(VALU_DEP_1)
	v_dual_sub_f32 v27, v15, v14 :: v_dual_mov_b32 v17, v14
	v_pk_add_f32 v[14:15], v[14:15], v[26:27] neg_lo:[0,1] neg_hi:[0,1]
	s_delay_alu instid0(VALU_DEP_1) | instskip(NEXT) | instid1(VALU_DEP_1)
	v_pk_add_f32 v[14:15], v[14:15], v[16:17] neg_lo:[0,1] neg_hi:[0,1]
	v_add_f32_e32 v13, v13, v15
	s_delay_alu instid0(VALU_DEP_1) | instskip(SKIP_1) | instid1(VALU_DEP_2)
	v_dual_add_f32 v13, v14, v13 :: v_dual_sub_f32 v14, v28, v31
	v_max_num_f32_e64 v31, |v8|, |v8|
	v_dual_add_f32 v13, v27, v13 :: v_dual_sub_f32 v14, v32, v14
	s_delay_alu instid0(VALU_DEP_1) | instskip(NEXT) | instid1(VALU_DEP_1)
	v_mul_f32_e32 v13, v29, v13
	v_add_f32_e32 v13, v14, v13
	v_cvt_f32_i32_e32 v14, v6
	s_delay_alu instid0(VALU_DEP_2) | instskip(NEXT) | instid1(VALU_DEP_1)
	v_add_f32_e32 v29, v28, v13
	v_sub_f32_e32 v6, v29, v28
	s_delay_alu instid0(VALU_DEP_1) | instskip(SKIP_2) | instid1(VALU_DEP_3)
	v_sub_f32_e32 v6, v13, v6
	v_ldexp_f32 v27, v29, 1
	v_mul_f32_e32 v16, v29, v29
	v_ldexp_f32 v6, v6, 1
	s_delay_alu instid0(VALU_DEP_2) | instskip(SKIP_1) | instid1(VALU_DEP_2)
	v_fmaak_f32 v17, s10, v16, 0x3ecc95a3
	v_mul_f32_e32 v15, v29, v16
	v_fmaak_f32 v23, v16, v17, 0x3f2aaada
	s_delay_alu instid0(VALU_DEP_1) | instskip(SKIP_1) | instid1(VALU_DEP_2)
	v_pk_mul_f32 v[16:17], v[14:15], v[22:23]
	v_max_num_f32_e64 v23, |v9|, |v9|
	v_fma_f32 v26, 0x3f317218, v14, -v16
	v_mov_b32_e32 v28, v16
	s_delay_alu instid0(VALU_DEP_2) | instskip(NEXT) | instid1(VALU_DEP_1)
	v_fmac_f32_e32 v26, 0xb102e308, v14
	v_pk_add_f32 v[14:15], v[16:17], v[26:27]
	s_delay_alu instid0(VALU_DEP_1) | instskip(NEXT) | instid1(VALU_DEP_1)
	v_dual_sub_f32 v13, v15, v27 :: v_dual_mov_b32 v27, v14
	v_dual_mov_b32 v38, v15 :: v_dual_sub_f32 v13, v17, v13
	v_pk_add_f32 v[16:17], v[14:15], v[16:17] neg_lo:[0,1] neg_hi:[0,1]
	s_delay_alu instid0(VALU_DEP_2) | instskip(SKIP_1) | instid1(VALU_DEP_2)
	v_dual_add_f32 v29, v6, v13 :: v_dual_max_num_f32 v6, v31, v23
	v_min_num_f32_e32 v23, v31, v23
	v_pk_add_f32 v[32:33], v[14:15], v[28:29]
	s_delay_alu instid0(VALU_DEP_3) | instskip(SKIP_1) | instid1(VALU_DEP_4)
	v_frexp_mant_f32_e32 v13, v6
	v_frexp_exp_i32_f32_e32 v28, v6
	v_frexp_exp_i32_f32_e32 v31, v23
	v_frexp_mant_f32_e32 v23, v23
	v_mov_b32_e32 v17, v33
	v_rcp_f32_e32 v13, v13
	s_delay_alu instid0(VALU_DEP_3) | instskip(NEXT) | instid1(VALU_DEP_2)
	v_sub_nc_u32_e32 v28, v31, v28
	v_pk_add_f32 v[34:35], v[26:27], v[16:17]
	v_mov_b32_e32 v34, v33
	v_pk_add_f32 v[16:17], v[26:27], v[16:17] neg_lo:[0,1] neg_hi:[0,1]
	s_delay_alu instid0(VALU_DEP_3) | instskip(NEXT) | instid1(VALU_DEP_1)
	v_mov_b32_e32 v6, v35
	v_pk_add_f32 v[36:37], v[6:7], v[14:15] neg_lo:[0,1] neg_hi:[0,1]
	v_dual_mul_f32 v13, v23, v13 :: v_dual_mov_b32 v15, v14
	s_delay_alu instid0(VALU_DEP_2) | instskip(NEXT) | instid1(VALU_DEP_2)
	v_dual_mov_b32 v14, v29 :: v_dual_mov_b32 v39, v36
	v_ldexp_f32 v23, v13, v28
	v_mov_b32_e32 v13, v36
	s_delay_alu instid0(VALU_DEP_3) | instskip(NEXT) | instid1(VALU_DEP_3)
	v_pk_add_f32 v[26:27], v[34:35], v[38:39] neg_lo:[0,1] neg_hi:[0,1]
	v_mul_f32_e32 v31, v23, v23
	s_delay_alu instid0(VALU_DEP_3) | instskip(SKIP_1) | instid1(VALU_DEP_4)
	v_pk_add_f32 v[28:29], v[32:33], v[12:13] neg_lo:[0,1] neg_hi:[0,1]
	v_mov_b32_e32 v28, v16
	v_pk_add_f32 v[14:15], v[14:15], v[26:27] neg_lo:[0,1] neg_hi:[0,1]
	s_delay_alu instid0(VALU_DEP_1) | instskip(NEXT) | instid1(VALU_DEP_1)
	v_pk_add_f32 v[26:27], v[28:29], v[14:15]
	v_dual_fmaak_f32 v13, s11, v31, 0xbc7a590c :: v_dual_mov_b32 v28, v27
	s_delay_alu instid0(VALU_DEP_1) | instskip(NEXT) | instid1(VALU_DEP_2)
	v_fmaak_f32 v13, v31, v13, 0x3d29fb3f
	v_pk_add_f32 v[28:29], v[26:27], v[28:29]
	s_delay_alu instid0(VALU_DEP_1) | instskip(SKIP_1) | instid1(VALU_DEP_2)
	v_pk_add_f32 v[32:33], v[6:7], v[28:29]
	v_dual_mov_b32 v17, v35 :: v_dual_mov_b32 v15, v28
	v_mov_b32_e32 v27, v32
	s_delay_alu instid0(VALU_DEP_1) | instskip(NEXT) | instid1(VALU_DEP_1)
	v_pk_add_f32 v[34:35], v[26:27], v[16:17] neg_lo:[0,1] neg_hi:[0,1]
	v_pk_add_f32 v[14:15], v[14:15], v[34:35] neg_lo:[0,1] neg_hi:[0,1]
	v_fmaak_f32 v13, v31, v13, 0xbd97d4d7
	s_delay_alu instid0(VALU_DEP_1) | instskip(NEXT) | instid1(VALU_DEP_1)
	v_fmaak_f32 v13, v31, v13, 0x3dd931b2
	v_dual_fmaak_f32 v6, v31, v13, 0xbe1160e6 :: v_dual_sub_f32 v13, v26, v34
	s_delay_alu instid0(VALU_DEP_1) | instskip(NEXT) | instid1(VALU_DEP_1)
	v_dual_fmaak_f32 v6, v31, v6, 0x3e4cb8bf :: v_dual_sub_f32 v13, v16, v13
	v_fmaak_f32 v6, v31, v6, 0xbeaaaa62
	s_delay_alu instid0(VALU_DEP_1) | instskip(NEXT) | instid1(VALU_DEP_1)
	v_mul_f32_e32 v6, v31, v6
	v_dual_fmac_f32 v23, v23, v6 :: v_dual_add_f32 v6, v14, v13
	v_cndmask_b32_e64 v14, 0, 0x40490fdb, vcc_lo
	v_cmp_gt_f32_e32 vcc_lo, 0, v8
	s_delay_alu instid0(VALU_DEP_3) | instskip(NEXT) | instid1(VALU_DEP_4)
	v_sub_f32_e32 v13, 0x3fc90fdb, v23
	v_add_f32_e32 v6, v6, v15
	s_delay_alu instid0(VALU_DEP_1) | instskip(NEXT) | instid1(VALU_DEP_1)
	v_add_f32_e32 v6, v32, v6
	v_cndmask_b32_e64 v6, 0x7f800000, v6, s1
	s_delay_alu instid0(VALU_DEP_4) | instskip(SKIP_1) | instid1(VALU_DEP_2)
	v_cndmask_b32_e64 v13, v23, v13, s0
	v_cmp_class_f32_e64 s1, v9, 0x204
	v_sub_f32_e32 v15, 0x40490fdb, v13
	s_delay_alu instid0(VALU_DEP_1) | instskip(SKIP_4) | instid1(VALU_DEP_2)
	v_cndmask_b32_e32 v13, v13, v15, vcc_lo
	v_cndmask_b32_e32 v15, 0x3f490fdb, v30, vcc_lo
	v_cmp_gt_f32_e64 vcc_lo, 0x33800000, |v12|
	v_cndmask_b32_e32 v6, v6, v12, vcc_lo
	v_cmp_eq_f32_e32 vcc_lo, 0, v9
	v_mul_f32_e32 v12, 0.5, v6
	v_cndmask_b32_e32 v13, v13, v14, vcc_lo
	s_and_b32 vcc_lo, s4, s1
                                        ; implicit-def: $vgpr14
	s_delay_alu instid0(VALU_DEP_1)
	v_cndmask_b32_e32 v6, v13, v15, vcc_lo
.LBB174_217:                            ;   in Loop: Header=BB174_162 Depth=1
	s_and_not1_saveexec_b32 s3, s3
	s_cbranch_execz .LBB174_219
; %bb.218:                              ;   in Loop: Header=BB174_162 Depth=1
	v_max_num_f32_e64 v6, |v9|, |v9|
	v_max_num_f32_e64 v12, |v8|, |v8|
	v_cmp_eq_f32_e64 s1, 0, v9
	v_cmp_gt_i32_e32 vcc_lo, 0, v8
	v_cmp_class_f32_e64 s4, v8, 0x204
	v_cmp_class_f32_e64 s5, v9, 0x204
	v_dual_max_num_f32 v13, v12, v6 :: v_dual_min_num_f32 v6, v12, v6
	s_delay_alu instid0(VALU_DEP_1) | instskip(SKIP_1) | instid1(VALU_DEP_2)
	v_frexp_mant_f32_e32 v15, v13
	v_frexp_exp_i32_f32_e32 v12, v13
	v_rcp_f32_e32 v13, v15
	v_nop
	v_frexp_exp_i32_f32_e32 v15, v6
	v_frexp_mant_f32_e32 v6, v6
	s_delay_alu instid0(TRANS32_DEP_1) | instid1(VALU_DEP_1)
	v_dual_sub_nc_u32 v12, v15, v12 :: v_dual_mul_f32 v6, v6, v13
	s_delay_alu instid0(VALU_DEP_1) | instskip(NEXT) | instid1(VALU_DEP_1)
	v_ldexp_f32 v6, v6, v12
	v_mul_f32_e32 v12, v6, v6
	s_delay_alu instid0(VALU_DEP_1) | instskip(NEXT) | instid1(VALU_DEP_1)
	v_fmaak_f32 v13, s11, v12, 0xbc7a590c
	v_fmaak_f32 v13, v12, v13, 0x3d29fb3f
	s_delay_alu instid0(VALU_DEP_1) | instskip(NEXT) | instid1(VALU_DEP_1)
	v_fmaak_f32 v13, v12, v13, 0xbd97d4d7
	v_fmaak_f32 v13, v12, v13, 0x3dd931b2
	;; [unrolled: 3-line block ×3, first 2 shown]
	s_delay_alu instid0(VALU_DEP_1) | instskip(NEXT) | instid1(VALU_DEP_1)
	v_fmaak_f32 v13, v12, v13, 0xbeaaaa62
	v_mul_f32_e32 v12, v12, v13
	v_cndmask_b32_e64 v13, 0, 0x40490fdb, vcc_lo
	v_cmp_gt_f32_e32 vcc_lo, 0, v8
	s_delay_alu instid0(VALU_DEP_3) | instskip(NEXT) | instid1(VALU_DEP_1)
	v_fmac_f32_e32 v6, v6, v12
	v_sub_f32_e32 v12, 0x3fc90fdb, v6
	s_delay_alu instid0(VALU_DEP_1) | instskip(NEXT) | instid1(VALU_DEP_1)
	v_cndmask_b32_e64 v6, v6, v12, s0
	v_sub_f32_e32 v12, 0x40490fdb, v6
	s_delay_alu instid0(VALU_DEP_1) | instskip(NEXT) | instid1(VALU_DEP_1)
	v_dual_cndmask_b32 v6, v6, v12, vcc_lo :: v_dual_mul_f32 v12, 0.5, v14
	v_cndmask_b32_e64 v6, v6, v13, s1
	v_cndmask_b32_e32 v13, 0x3f490fdb, v30, vcc_lo
	s_and_b32 vcc_lo, s4, s5
	s_delay_alu instid0(VALU_DEP_3) | instskip(NEXT) | instid1(VALU_DEP_2)
	v_mul_f32_e32 v12, v14, v12
	v_cndmask_b32_e32 v6, v6, v13, vcc_lo
.LBB174_219:                            ;   in Loop: Header=BB174_162 Depth=1
	s_or_b32 exec_lo, exec_lo, s3
.LBB174_220:                            ;   in Loop: Header=BB174_162 Depth=1
	s_delay_alu instid0(SALU_CYCLE_1)
	s_or_b32 exec_lo, exec_lo, s2
.LBB174_221:                            ;   in Loop: Header=BB174_162 Depth=1
	s_and_not1_saveexec_b32 s2, s16
	s_cbranch_execz .LBB174_223
; %bb.222:                              ;   in Loop: Header=BB174_162 Depth=1
	v_div_scale_f32 v6, null, 0x402df854, 0x402df854, v8
	v_div_scale_f32 v12, null, 0x402df854, 0x402df854, v9
	v_div_scale_f32 v17, vcc_lo, v8, 0x402df854, v8
	s_delay_alu instid0(VALU_DEP_3) | instskip(NEXT) | instid1(VALU_DEP_2)
	v_rcp_f32_e32 v13, v6
	v_rcp_f32_e32 v14, v12
	v_cmp_class_f32_e64 s3, v9, 0x204
	s_delay_alu instid0(TRANS32_DEP_2) | instskip(NEXT) | instid1(TRANS32_DEP_1)
	v_fma_f32 v15, -v6, v13, 1.0
	v_fma_f32 v16, -v12, v14, 1.0
	s_delay_alu instid0(VALU_DEP_1) | instskip(SKIP_1) | instid1(VALU_DEP_1)
	v_dual_fmac_f32 v13, v15, v13 :: v_dual_fmac_f32 v14, v16, v14
	v_div_scale_f32 v15, s1, v9, 0x402df854, v9
	v_dual_mul_f32 v16, v17, v13 :: v_dual_mul_f32 v23, v15, v14
	s_delay_alu instid0(VALU_DEP_1) | instskip(NEXT) | instid1(VALU_DEP_1)
	v_dual_fma_f32 v26, -v6, v16, v17 :: v_dual_fma_f32 v27, -v12, v23, v15
	v_dual_fmac_f32 v16, v26, v13 :: v_dual_fmac_f32 v23, v27, v14
	s_delay_alu instid0(VALU_DEP_1) | instskip(NEXT) | instid1(VALU_DEP_1)
	v_dual_fma_f32 v6, -v6, v16, v17 :: v_dual_fma_f32 v12, -v12, v23, v15
	v_div_fmas_f32 v6, v6, v13, v16
	s_mov_b32 vcc_lo, s1
	v_max_num_f32_e64 v16, |v8|, |v8|
	s_delay_alu instid0(VALU_DEP_3) | instskip(SKIP_2) | instid1(VALU_DEP_3)
	v_div_fmas_f32 v12, v12, v14, v23
	v_cmp_class_f32_e64 s1, v8, 0x204
	v_div_fixup_f32 v6, v6, 0x402df854, v8
	v_div_fixup_f32 v14, v12, 0x402df854, v9
	s_delay_alu instid0(VALU_DEP_1) | instskip(NEXT) | instid1(VALU_DEP_1)
	v_max_num_f32_e64 v15, |v6|, |v14|
	v_cvt_f64_f32_e32 v[12:13], v15
	v_cmp_neq_f32_e32 vcc_lo, 0x7f800000, v15
	s_delay_alu instid0(VALU_DEP_2) | instskip(SKIP_1) | instid1(VALU_DEP_1)
	v_frexp_exp_i32_f64_e32 v12, v[12:13]
	v_max_num_f32_e64 v13, |v9|, |v9|
	v_dual_max_num_f32 v17, v16, v13 :: v_dual_min_num_f32 v13, v16, v13
	s_delay_alu instid0(VALU_DEP_1) | instskip(SKIP_1) | instid1(VALU_DEP_2)
	v_frexp_mant_f32_e32 v23, v17
	v_frexp_exp_i32_f32_e32 v16, v17
	v_rcp_f32_e32 v17, v23
	v_nop
	v_frexp_exp_i32_f32_e32 v23, v13
	v_frexp_mant_f32_e32 v13, v13
	s_delay_alu instid0(TRANS32_DEP_1) | instid1(VALU_DEP_1)
	v_dual_mul_f32 v13, v13, v17 :: v_dual_sub_nc_u32 v16, v23, v16
	s_delay_alu instid0(VALU_DEP_1) | instskip(NEXT) | instid1(VALU_DEP_1)
	v_ldexp_f32 v13, v13, v16
	v_dual_mul_f32 v16, v13, v13 :: v_dual_sub_nc_u32 v17, 0, v12
	s_delay_alu instid0(VALU_DEP_1) | instskip(SKIP_1) | instid1(VALU_DEP_2)
	v_ldexp_f32 v14, |v14|, v17
	v_ldexp_f32 v6, |v6|, v17
	v_dual_fmaak_f32 v17, s11, v16, 0xbc7a590c :: v_dual_mul_f32 v14, v14, v14
	s_delay_alu instid0(VALU_DEP_1) | instskip(NEXT) | instid1(VALU_DEP_2)
	v_fmac_f32_e32 v14, v6, v6
	v_fmaak_f32 v6, v16, v17, 0x3d29fb3f
	s_delay_alu instid0(VALU_DEP_1) | instskip(NEXT) | instid1(VALU_DEP_1)
	v_fmaak_f32 v6, v16, v6, 0xbd97d4d7
	v_fmaak_f32 v6, v16, v6, 0x3dd931b2
	s_delay_alu instid0(VALU_DEP_1) | instskip(NEXT) | instid1(VALU_DEP_1)
	v_fmaak_f32 v6, v16, v6, 0xbe1160e6
	;; [unrolled: 3-line block ×3, first 2 shown]
	v_mul_f32_e32 v6, v16, v6
	v_sqrt_f32_e32 v14, v14
	s_delay_alu instid0(VALU_DEP_1) | instskip(NEXT) | instid1(TRANS32_DEP_1)
	v_fmac_f32_e32 v13, v13, v6
	v_ldexp_f32 v12, v14, v12
	s_delay_alu instid0(VALU_DEP_1) | instskip(NEXT) | instid1(VALU_DEP_1)
	v_cndmask_b32_e32 v12, 0x7f800000, v12, vcc_lo
	v_cmp_gt_f32_e32 vcc_lo, 0x800000, v12
	v_cndmask_b32_e64 v14, 0, 32, vcc_lo
	v_cndmask_b32_e64 v16, 0, 0x41b17218, vcc_lo
	s_delay_alu instid0(VALU_DEP_2) | instskip(NEXT) | instid1(VALU_DEP_1)
	v_ldexp_f32 v12, v12, v14
	v_log_f32_e32 v12, v12
	v_nop
	s_delay_alu instid0(TRANS32_DEP_1) | instskip(SKIP_1) | instid1(VALU_DEP_2)
	v_mul_f32_e32 v14, 0x3f317217, v12
	v_cmp_gt_f32_e64 vcc_lo, 0x7f800000, |v12|
	v_fma_f32 v6, 0x3f317217, v12, -v14
	v_sub_f32_e32 v14, 0x3fc90fdb, v13
	s_delay_alu instid0(VALU_DEP_2) | instskip(NEXT) | instid1(VALU_DEP_1)
	v_fmac_f32_e32 v6, 0x3377d1cf, v12
	v_fmac_f32_e32 v6, 0x3f317217, v12
	s_delay_alu instid0(VALU_DEP_1) | instskip(NEXT) | instid1(VALU_DEP_4)
	v_cndmask_b32_e32 v6, v12, v6, vcc_lo
	v_cndmask_b32_e64 v13, v13, v14, s0
	v_cmp_gt_i32_e64 s0, 0, v8
	v_cmp_eq_f32_e32 vcc_lo, 0, v9
	s_delay_alu instid0(VALU_DEP_4) | instskip(NEXT) | instid1(VALU_DEP_3)
	v_sub_f32_e32 v6, v6, v16
	v_cndmask_b32_e64 v14, 0, 0x40490fdb, s0
	v_sub_f32_e32 v15, 0x40490fdb, v13
	v_cmp_gt_f32_e64 s0, 0, v8
	s_delay_alu instid0(VALU_DEP_1) | instskip(SKIP_1) | instid1(VALU_DEP_2)
	v_cndmask_b32_e64 v12, v13, v15, s0
	v_cndmask_b32_e64 v13, 0x3f490fdb, v30, s0
	v_cndmask_b32_e32 v14, v12, v14, vcc_lo
	s_and_b32 vcc_lo, s1, s3
	s_delay_alu instid0(VALU_DEP_1) | instid1(SALU_CYCLE_1)
	v_dual_add_f32 v12, 1.0, v6 :: v_dual_cndmask_b32 v6, v14, v13, vcc_lo
.LBB174_223:                            ;   in Loop: Header=BB174_162 Depth=1
	s_or_b32 exec_lo, exec_lo, s2
.LBB174_224:                            ;   in Loop: Header=BB174_162 Depth=1
	s_and_not1_saveexec_b32 s0, s13
	s_cbranch_execz .LBB174_230
; %bb.225:                              ;   in Loop: Header=BB174_162 Depth=1
	v_cmp_ngt_f32_e64 s1, 0x20000000, |v8|
	v_cmp_ngt_f32_e64 s2, 0x20000000, |v9|
                                        ; implicit-def: $vgpr6
	s_or_b32 s1, s1, s2
	s_delay_alu instid0(SALU_CYCLE_1) | instskip(NEXT) | instid1(SALU_CYCLE_1)
	s_and_saveexec_b32 s2, s1
	s_xor_b32 s1, exec_lo, s2
; %bb.226:                              ;   in Loop: Header=BB174_162 Depth=1
	v_pk_mul_f32 v[12:13], v[8:9], v[8:9]
	s_delay_alu instid0(VALU_DEP_1)
	v_add_f32_e32 v6, v12, v13
; %bb.227:                              ;   in Loop: Header=BB174_162 Depth=1
	s_and_not1_saveexec_b32 s1, s1
; %bb.228:                              ;   in Loop: Header=BB174_162 Depth=1
	v_pk_mul_f32 v[12:13], v[8:9], 4.0 op_sel_hi:[1,0]
	s_delay_alu instid0(VALU_DEP_1) | instskip(NEXT) | instid1(VALU_DEP_1)
	v_pk_mul_f32 v[12:13], v[12:13], v[12:13]
	v_add_f32_e32 v6, v12, v13
	s_delay_alu instid0(VALU_DEP_1)
	v_mul_f32_e32 v6, 0x3d800000, v6
; %bb.229:                              ;   in Loop: Header=BB174_162 Depth=1
	s_or_b32 exec_lo, exec_lo, s1
	s_delay_alu instid0(VALU_DEP_1) | instskip(SKIP_2) | instid1(VALU_DEP_2)
	v_cmp_gt_f32_e32 vcc_lo, 0x800000, v6
	v_cndmask_b32_e64 v8, 0, 32, vcc_lo
	v_cndmask_b32_e64 v12, 0, 0x41b17218, vcc_lo
	v_ldexp_f32 v6, v6, v8
	s_delay_alu instid0(VALU_DEP_1) | instskip(SKIP_1) | instid1(TRANS32_DEP_1)
	v_log_f32_e32 v6, v6
	v_nop
	v_mul_f32_e32 v8, 0x3f317217, v6
	v_cmp_gt_f32_e64 vcc_lo, 0x7f800000, |v6|
	s_delay_alu instid0(VALU_DEP_2) | instskip(NEXT) | instid1(VALU_DEP_1)
	v_fma_f32 v8, 0x3f317217, v6, -v8
	v_fmac_f32_e32 v8, 0x3377d1cf, v6
	s_delay_alu instid0(VALU_DEP_1) | instskip(NEXT) | instid1(VALU_DEP_1)
	v_fmac_f32_e32 v8, 0x3f317217, v6
	v_cndmask_b32_e32 v6, v6, v8, vcc_lo
	s_delay_alu instid0(VALU_DEP_1)
	v_sub_f32_e32 v12, v6, v12
	v_mov_b32_e32 v6, 0x7fc00000
.LBB174_230:                            ;   in Loop: Header=BB174_162 Depth=1
	s_or_b32 exec_lo, exec_lo, s0
                                        ; implicit-def: $vgpr14
                                        ; implicit-def: $vgpr8
	s_delay_alu instid0(SALU_CYCLE_1)
	s_mov_b32 s0, exec_lo
	s_wait_loadcnt 0x0
	v_cmpx_o_f32_e32 v3, v2
	s_xor_b32 s13, exec_lo, s0
	s_cbranch_execz .LBB174_258
; %bb.231:                              ;   in Loop: Header=BB174_162 Depth=1
	v_cmp_lt_f32_e64 s0, |v2|, |v3|
                                        ; implicit-def: $vgpr14
                                        ; implicit-def: $vgpr8
	s_mov_b32 s2, exec_lo
	v_cndmask_b32_e64 v13, v3, v2, s0
	s_delay_alu instid0(VALU_DEP_1)
	v_cmpx_nlt_f32_e64 0x77f684df, |v13|
	s_xor_b32 s16, exec_lo, s2
	s_cbranch_execz .LBB174_255
; %bb.232:                              ;   in Loop: Header=BB174_162 Depth=1
	v_cndmask_b32_e64 v8, v2, v3, s0
	v_and_b32_e32 v16, 0x7fffffff, v13
                                        ; implicit-def: $vgpr14
	s_mov_b32 s1, exec_lo
	s_delay_alu instid0(VALU_DEP_2) | instskip(NEXT) | instid1(VALU_DEP_1)
	v_and_b32_e32 v17, 0x7fffffff, v8
                                        ; implicit-def: $vgpr8
	v_cmpx_neq_f32_e32 1.0, v17
	s_xor_b32 s17, exec_lo, s1
	s_cbranch_execz .LBB174_248
; %bb.233:                              ;   in Loop: Header=BB174_162 Depth=1
	v_dual_max_num_f32 v8, v16, v16 :: v_dual_max_num_f32 v13, v17, v17
	s_delay_alu instid0(VALU_DEP_1) | instskip(NEXT) | instid1(VALU_DEP_1)
	v_dual_min_num_f32 v14, v13, v8 :: v_dual_max_num_f32 v8, v13, v8
	v_cmp_ngt_f32_e32 vcc_lo, 0x358637bd, v14
	s_delay_alu instid0(VALU_DEP_2) | instskip(SKIP_1) | instid1(SALU_CYCLE_1)
	v_cmp_nlt_f32_e64 s1, 0x49742400, v8
                                        ; implicit-def: $vgpr14
                                        ; implicit-def: $vgpr8
	s_and_b32 s1, s1, vcc_lo
	s_and_saveexec_b32 s2, s1
	s_delay_alu instid0(SALU_CYCLE_1)
	s_xor_b32 s18, exec_lo, s2
	s_cbranch_execz .LBB174_245
; %bb.234:                              ;   in Loop: Header=BB174_162 Depth=1
                                        ; implicit-def: $vgpr14
                                        ; implicit-def: $vgpr8
	s_mov_b32 s1, exec_lo
	v_cmpx_le_f32_e32 1.0, v17
	s_xor_b32 s2, exec_lo, s1
	s_cbranch_execz .LBB174_236
; %bb.235:                              ;   in Loop: Header=BB174_162 Depth=1
	v_pk_add_f32 v[14:15], v[16:17], v[20:21] op_sel:[1,0]
	v_mov_b32_e32 v26, v16
	v_cmp_class_f32_e64 s3, v2, 0x204
	s_delay_alu instid0(VALU_DEP_3) | instskip(SKIP_1) | instid1(VALU_DEP_1)
	v_dual_mov_b32 v17, v14 :: v_dual_mov_b32 v27, v15
	v_mul_f32_e32 v8, v14, v15
	v_pk_fma_f32 v[14:15], v[16:17], v[26:27], v[8:9] op_sel_hi:[1,1,0]
	s_delay_alu instid0(VALU_DEP_1) | instskip(SKIP_1) | instid1(VALU_DEP_2)
	v_add_f32_e32 v17, 1.0, v14
	v_cmp_neq_f32_e64 s1, -1.0, v14
	v_add_f32_e32 v15, -1.0, v17
	s_delay_alu instid0(VALU_DEP_1) | instskip(SKIP_2) | instid1(VALU_DEP_1)
	v_mov_b32_e32 v16, v15
	v_cvt_f64_f32_e32 v[26:27], v17
	v_frexp_mant_f32_e32 v13, v17
	v_cmp_gt_f32_e32 vcc_lo, 0x3f2aaaab, v13
	s_delay_alu instid0(VALU_DEP_3) | instskip(NEXT) | instid1(VALU_DEP_1)
	v_frexp_exp_i32_f64_e32 v8, v[26:27]
	v_subrev_co_ci_u32_e64 v8, null, 0, v8, vcc_lo
	v_cmp_neq_f32_e32 vcc_lo, 0x7f800000, v14
	s_delay_alu instid0(VALU_DEP_2) | instskip(SKIP_1) | instid1(VALU_DEP_2)
	v_sub_nc_u32_e32 v13, 0, v8
	v_pk_add_f32 v[26:27], v[14:15], v[16:17] neg_lo:[0,1] neg_hi:[0,1]
	v_ldexp_f32 v15, v17, v13
	s_delay_alu instid0(VALU_DEP_1) | instskip(NEXT) | instid1(VALU_DEP_3)
	v_add_f32_e32 v29, -1.0, v15
	v_add_f32_e32 v16, 1.0, v27
	s_delay_alu instid0(VALU_DEP_1) | instskip(NEXT) | instid1(VALU_DEP_1)
	v_dual_add_f32 v23, 1.0, v15 :: v_dual_add_f32 v16, v26, v16
	v_ldexp_f32 v13, v16, v13
	s_delay_alu instid0(VALU_DEP_2) | instskip(NEXT) | instid1(VALU_DEP_1)
	v_add_f32_e32 v17, -1.0, v23
	v_sub_f32_e32 v16, v15, v17
	s_delay_alu instid0(VALU_DEP_1) | instskip(NEXT) | instid1(VALU_DEP_1)
	v_dual_add_f32 v17, 1.0, v29 :: v_dual_add_f32 v16, v13, v16
	v_add_f32_e32 v31, v23, v16
	s_delay_alu instid0(VALU_DEP_1) | instskip(NEXT) | instid1(VALU_DEP_1)
	v_sub_f32_e32 v23, v31, v23
	v_dual_sub_f32 v15, v15, v17 :: v_dual_sub_f32 v23, v16, v23
	s_delay_alu instid0(VALU_DEP_1) | instskip(SKIP_1) | instid1(VALU_DEP_1)
	v_add_f32_e32 v13, v13, v15
	v_rcp_f32_e32 v15, v31
	v_add_f32_e32 v17, v29, v13
	s_delay_alu instid0(TRANS32_DEP_1) | instid1(VALU_DEP_1)
	v_mul_f32_e32 v32, v17, v15
	s_delay_alu instid0(VALU_DEP_1) | instskip(NEXT) | instid1(VALU_DEP_1)
	v_dual_mul_f32 v26, v31, v32 :: v_dual_sub_f32 v33, v17, v29
	v_dual_fma_f32 v28, v32, v31, -v26 :: v_dual_sub_f32 v13, v13, v33
	s_delay_alu instid0(VALU_DEP_1) | instskip(NEXT) | instid1(VALU_DEP_1)
	v_fmac_f32_e32 v28, v32, v23
	v_add_f32_e32 v16, v26, v28
	s_delay_alu instid0(VALU_DEP_1) | instskip(NEXT) | instid1(VALU_DEP_1)
	v_dual_sub_f32 v27, v17, v16 :: v_dual_mov_b32 v29, v16
	v_pk_add_f32 v[16:17], v[16:17], v[26:27] neg_lo:[0,1] neg_hi:[0,1]
	s_delay_alu instid0(VALU_DEP_1) | instskip(NEXT) | instid1(VALU_DEP_1)
	v_pk_add_f32 v[16:17], v[16:17], v[28:29] neg_lo:[0,1] neg_hi:[0,1]
	v_add_f32_e32 v13, v13, v17
	s_delay_alu instid0(VALU_DEP_1) | instskip(NEXT) | instid1(VALU_DEP_1)
	v_add_f32_e32 v13, v16, v13
	v_add_f32_e32 v17, v27, v13
	s_delay_alu instid0(VALU_DEP_1) | instskip(NEXT) | instid1(VALU_DEP_1)
	v_mul_f32_e32 v33, v15, v17
	v_mul_f32_e32 v28, v31, v33
	s_delay_alu instid0(VALU_DEP_1) | instskip(NEXT) | instid1(VALU_DEP_1)
	v_fma_f32 v26, v33, v31, -v28
	v_fmac_f32_e32 v26, v33, v23
	s_delay_alu instid0(VALU_DEP_1) | instskip(NEXT) | instid1(VALU_DEP_1)
	v_dual_add_f32 v16, v28, v26 :: v_dual_sub_f32 v23, v27, v17
	v_dual_add_f32 v31, v32, v33 :: v_dual_sub_f32 v29, v17, v16
	s_delay_alu instid0(VALU_DEP_2) | instskip(NEXT) | instid1(VALU_DEP_2)
	v_dual_mov_b32 v27, v16 :: v_dual_add_f32 v13, v13, v23
	v_pk_add_f32 v[16:17], v[16:17], v[28:29] neg_lo:[0,1] neg_hi:[0,1]
	s_delay_alu instid0(VALU_DEP_1) | instskip(NEXT) | instid1(VALU_DEP_1)
	v_pk_add_f32 v[16:17], v[16:17], v[26:27] neg_lo:[0,1] neg_hi:[0,1]
	v_add_f32_e32 v13, v13, v17
	s_delay_alu instid0(VALU_DEP_1) | instskip(NEXT) | instid1(VALU_DEP_1)
	v_dual_add_f32 v13, v16, v13 :: v_dual_sub_f32 v16, v31, v32
	v_sub_f32_e32 v16, v33, v16
	s_delay_alu instid0(VALU_DEP_2) | instskip(NEXT) | instid1(VALU_DEP_1)
	v_add_f32_e32 v13, v29, v13
	v_mul_f32_e32 v13, v15, v13
	s_delay_alu instid0(VALU_DEP_1) | instskip(SKIP_1) | instid1(VALU_DEP_2)
	v_add_f32_e32 v13, v16, v13
	v_cvt_f32_i32_e32 v16, v8
	v_add_f32_e32 v15, v31, v13
	s_delay_alu instid0(VALU_DEP_1) | instskip(NEXT) | instid1(VALU_DEP_1)
	v_mul_f32_e32 v23, v15, v15
	v_dual_fmaak_f32 v26, s10, v23, 0x3ecc95a3 :: v_dual_mul_f32 v17, v15, v23
	s_delay_alu instid0(VALU_DEP_1) | instskip(NEXT) | instid1(VALU_DEP_1)
	v_fmaak_f32 v23, v23, v26, 0x3f2aaada
	v_pk_mul_f32 v[26:27], v[16:17], v[22:23]
	s_delay_alu instid0(VALU_DEP_1) | instskip(SKIP_1) | instid1(VALU_DEP_2)
	v_fma_f32 v28, 0x3f317218, v16, -v26
	v_mov_b32_e32 v32, v26
	v_fmac_f32_e32 v28, 0xb102e308, v16
	v_ldexp_f32 v29, v15, 1
	s_delay_alu instid0(VALU_DEP_1) | instskip(NEXT) | instid1(VALU_DEP_1)
	v_pk_add_f32 v[16:17], v[26:27], v[28:29]
	v_dual_sub_f32 v8, v15, v31 :: v_dual_mov_b32 v40, v17
	s_delay_alu instid0(VALU_DEP_1) | instskip(SKIP_1) | instid1(VALU_DEP_2)
	v_sub_f32_e32 v8, v13, v8
	v_sub_f32_e32 v13, v17, v29
	v_ldexp_f32 v8, v8, 1
	s_delay_alu instid0(VALU_DEP_2) | instskip(SKIP_1) | instid1(VALU_DEP_2)
	v_sub_f32_e32 v13, v27, v13
	v_pk_add_f32 v[26:27], v[16:17], v[26:27] neg_lo:[0,1] neg_hi:[0,1]
	v_add_f32_e32 v33, v8, v13
	v_max_num_f32_e64 v8, |v3|, |v3|
	v_max_num_f32_e64 v13, |v2|, |v2|
	v_mov_b32_e32 v29, v16
	s_delay_alu instid0(VALU_DEP_4) | instskip(NEXT) | instid1(VALU_DEP_1)
	v_pk_add_f32 v[34:35], v[16:17], v[32:33]
	v_dual_max_num_f32 v15, v13, v8 :: v_dual_mov_b32 v27, v35
	s_delay_alu instid0(VALU_DEP_1) | instskip(SKIP_2) | instid1(VALU_DEP_4)
	v_frexp_exp_i32_f32_e32 v23, v15
	v_min_num_f32_e32 v13, v13, v8
	v_frexp_mant_f32_e32 v15, v15
	v_pk_add_f32 v[36:37], v[28:29], v[26:27]
	v_pk_add_f32 v[26:27], v[28:29], v[26:27] neg_lo:[0,1] neg_hi:[0,1]
	s_delay_alu instid0(VALU_DEP_4) | instskip(NEXT) | instid1(VALU_DEP_4)
	v_frexp_exp_i32_f32_e32 v31, v13
	v_rcp_f32_e32 v15, v15
	s_delay_alu instid0(VALU_DEP_1) | instskip(SKIP_1) | instid1(VALU_DEP_2)
	v_dual_mov_b32 v8, v37 :: v_dual_sub_nc_u32 v23, v31, v23
	v_frexp_mant_f32_e32 v32, v13
	v_pk_add_f32 v[38:39], v[8:9], v[16:17] neg_lo:[0,1] neg_hi:[0,1]
	v_dual_mov_b32 v36, v35 :: v_dual_mov_b32 v17, v16
	s_delay_alu instid0(TRANS32_DEP_1) | instid1(VALU_DEP_3)
	v_dual_mov_b32 v16, v33 :: v_dual_mul_f32 v15, v32, v15
	s_delay_alu instid0(VALU_DEP_3) | instskip(NEXT) | instid1(VALU_DEP_1)
	v_dual_mov_b32 v13, v38 :: v_dual_mov_b32 v41, v38
	v_pk_add_f32 v[32:33], v[34:35], v[12:13] neg_lo:[0,1] neg_hi:[0,1]
	s_delay_alu instid0(VALU_DEP_2) | instskip(NEXT) | instid1(VALU_DEP_4)
	v_pk_add_f32 v[28:29], v[36:37], v[40:41] neg_lo:[0,1] neg_hi:[0,1]
	v_ldexp_f32 v13, v15, v23
	v_mov_b32_e32 v32, v26
	s_delay_alu instid0(VALU_DEP_3) | instskip(NEXT) | instid1(VALU_DEP_3)
	v_pk_add_f32 v[16:17], v[16:17], v[28:29] neg_lo:[0,1] neg_hi:[0,1]
	v_mul_f32_e32 v15, v13, v13
	s_delay_alu instid0(VALU_DEP_2) | instskip(NEXT) | instid1(VALU_DEP_1)
	v_pk_add_f32 v[28:29], v[32:33], v[16:17]
	v_dual_fmaak_f32 v17, s11, v15, 0xbc7a590c :: v_dual_mov_b32 v32, v29
	s_delay_alu instid0(VALU_DEP_1) | instskip(NEXT) | instid1(VALU_DEP_1)
	v_pk_add_f32 v[32:33], v[28:29], v[32:33]
	v_pk_add_f32 v[34:35], v[8:9], v[32:33]
	s_delay_alu instid0(VALU_DEP_1) | instskip(NEXT) | instid1(VALU_DEP_1)
	v_dual_mov_b32 v27, v37 :: v_dual_mov_b32 v29, v34
	v_pk_add_f32 v[36:37], v[28:29], v[26:27] neg_lo:[0,1] neg_hi:[0,1]
	s_delay_alu instid0(VALU_DEP_1) | instskip(NEXT) | instid1(VALU_DEP_1)
	v_sub_f32_e32 v23, v28, v36
	v_sub_f32_e32 v23, v26, v23
	v_fmaak_f32 v17, v15, v17, 0x3d29fb3f
	s_delay_alu instid0(VALU_DEP_1) | instskip(NEXT) | instid1(VALU_DEP_1)
	v_dual_fmaak_f32 v8, v15, v17, 0xbd97d4d7 :: v_dual_mov_b32 v17, v32
	v_pk_add_f32 v[16:17], v[16:17], v[36:37] neg_lo:[0,1] neg_hi:[0,1]
	s_delay_alu instid0(VALU_DEP_1) | instskip(NEXT) | instid1(VALU_DEP_3)
	v_add_f32_e32 v16, v16, v23
	v_fmaak_f32 v8, v15, v8, 0x3dd931b2
	s_delay_alu instid0(VALU_DEP_1) | instskip(NEXT) | instid1(VALU_DEP_1)
	v_fmaak_f32 v8, v15, v8, 0xbe1160e6
	v_fmaak_f32 v8, v15, v8, 0x3e4cb8bf
	s_delay_alu instid0(VALU_DEP_1) | instskip(NEXT) | instid1(VALU_DEP_1)
	v_fmaak_f32 v8, v15, v8, 0xbeaaaa62
	v_dual_mul_f32 v8, v15, v8 :: v_dual_add_f32 v15, v16, v17
	s_delay_alu instid0(VALU_DEP_1) | instskip(NEXT) | instid1(VALU_DEP_1)
	v_dual_fmac_f32 v13, v13, v8 :: v_dual_add_f32 v8, v34, v15
	v_cndmask_b32_e32 v8, 0x7f800000, v8, vcc_lo
	s_delay_alu instid0(VALU_DEP_2) | instskip(SKIP_1) | instid1(VALU_DEP_2)
	v_sub_f32_e32 v15, 0x3fc90fdb, v13
	v_cmp_gt_i32_e32 vcc_lo, 0, v2
	v_cndmask_b32_e64 v13, v13, v15, s0
	v_cndmask_b32_e64 v15, 0, 0x40490fdb, vcc_lo
	v_cmp_ngt_f32_e32 vcc_lo, -1.0, v14
	s_delay_alu instid0(VALU_DEP_3) | instskip(SKIP_2) | instid1(VALU_DEP_2)
	v_sub_f32_e32 v16, 0x40490fdb, v13
	v_cndmask_b32_e32 v8, 0x7fc00000, v8, vcc_lo
	v_cmp_gt_f32_e32 vcc_lo, 0, v2
	v_cndmask_b32_e64 v8, 0xff800000, v8, s1
	s_delay_alu instid0(VALU_DEP_4)
	v_cndmask_b32_e32 v13, v13, v16, vcc_lo
	v_cndmask_b32_e32 v16, 0x3f490fdb, v30, vcc_lo
	v_cmp_gt_f32_e64 vcc_lo, 0x33800000, |v14|
	v_cmp_class_f32_e64 s1, v3, 0x204
	v_cndmask_b32_e32 v8, v8, v14, vcc_lo
	v_cmp_eq_f32_e32 vcc_lo, 0, v3
	s_delay_alu instid0(VALU_DEP_2) | instskip(SKIP_1) | instid1(VALU_DEP_1)
	v_dual_mul_f32 v14, 0.5, v8 :: v_dual_cndmask_b32 v13, v13, v15
	s_and_b32 vcc_lo, s3, s1
	v_cndmask_b32_e32 v8, v13, v16, vcc_lo
                                        ; implicit-def: $vgpr16_vgpr17
.LBB174_236:                            ;   in Loop: Header=BB174_162 Depth=1
	s_and_not1_saveexec_b32 s19, s2
	s_cbranch_execz .LBB174_244
; %bb.237:                              ;   in Loop: Header=BB174_162 Depth=1
	v_pk_mul_f32 v[14:15], v[16:17], v[16:17]
                                        ; implicit-def: $vgpr8
	s_mov_b32 s1, exec_lo
	s_delay_alu instid0(VALU_DEP_1) | instskip(NEXT) | instid1(VALU_DEP_1)
	v_add_f32_e32 v13, v15, v14
                                        ; implicit-def: $vgpr14
	v_cmpx_ge_f32_e32 0x3f333333, v13
	s_xor_b32 s2, exec_lo, s1
	s_cbranch_execz .LBB174_239
; %bb.238:                              ;   in Loop: Header=BB174_162 Depth=1
	v_max_num_f32_e64 v8, |v3|, |v3|
	v_max_num_f32_e64 v14, |v2|, |v2|
	v_cmp_gt_f32_e32 vcc_lo, 0x800000, v13
	v_cmp_gt_i32_e64 s1, 0, v2
	v_cmp_class_f32_e64 s3, v2, 0x204
	v_cmp_class_f32_e64 s4, v3, 0x204
	v_dual_max_num_f32 v15, v14, v8 :: v_dual_min_num_f32 v8, v14, v8
	v_cndmask_b32_e64 v17, 0, 0x41b17218, vcc_lo
	s_delay_alu instid0(VALU_DEP_2) | instskip(SKIP_1) | instid1(VALU_DEP_2)
	v_frexp_mant_f32_e32 v16, v15
	v_frexp_exp_i32_f32_e32 v14, v15
	v_rcp_f32_e32 v15, v16
	v_nop
	v_frexp_exp_i32_f32_e32 v16, v8
	v_frexp_mant_f32_e32 v8, v8
	s_delay_alu instid0(VALU_DEP_2)
	v_sub_nc_u32_e32 v14, v16, v14
	s_delay_alu instid0(TRANS32_DEP_1) | instid1(VALU_DEP_2)
	v_mul_f32_e32 v8, v8, v15
	v_cndmask_b32_e64 v16, 0, 32, vcc_lo
	s_delay_alu instid0(VALU_DEP_2) | instskip(NEXT) | instid1(VALU_DEP_2)
	v_ldexp_f32 v8, v8, v14
	v_ldexp_f32 v13, v13, v16
	s_delay_alu instid0(VALU_DEP_2) | instskip(NEXT) | instid1(VALU_DEP_2)
	v_mul_f32_e32 v14, v8, v8
	v_log_f32_e32 v13, v13
	s_delay_alu instid0(VALU_DEP_1) | instskip(NEXT) | instid1(TRANS32_DEP_1)
	v_fmaak_f32 v15, s11, v14, 0xbc7a590c
	v_cmp_gt_f32_e64 vcc_lo, 0x7f800000, |v13|
	s_delay_alu instid0(VALU_DEP_2) | instskip(NEXT) | instid1(VALU_DEP_1)
	v_fmaak_f32 v15, v14, v15, 0x3d29fb3f
	v_fmaak_f32 v15, v14, v15, 0xbd97d4d7
	s_delay_alu instid0(VALU_DEP_1) | instskip(NEXT) | instid1(VALU_DEP_1)
	v_fmaak_f32 v15, v14, v15, 0x3dd931b2
	v_fmaak_f32 v15, v14, v15, 0xbe1160e6
	s_delay_alu instid0(VALU_DEP_1) | instskip(NEXT) | instid1(VALU_DEP_1)
	;; [unrolled: 3-line block ×3, first 2 shown]
	v_dual_mul_f32 v14, v14, v15 :: v_dual_mul_f32 v15, 0x3f317217, v13
	v_fmac_f32_e32 v8, v8, v14
	s_delay_alu instid0(VALU_DEP_2) | instskip(NEXT) | instid1(VALU_DEP_2)
	v_fma_f32 v14, 0x3f317217, v13, -v15
	v_sub_f32_e32 v15, 0x3fc90fdb, v8
	s_delay_alu instid0(VALU_DEP_2) | instskip(NEXT) | instid1(VALU_DEP_2)
	v_fmac_f32_e32 v14, 0x3377d1cf, v13
	v_cndmask_b32_e64 v8, v8, v15, s0
	s_delay_alu instid0(VALU_DEP_2) | instskip(SKIP_2) | instid1(VALU_DEP_3)
	v_fmac_f32_e32 v14, 0x3f317217, v13
	v_cndmask_b32_e64 v15, 0, 0x40490fdb, s1
	v_cmp_eq_f32_e64 s1, 0, v3
	v_dual_sub_f32 v16, 0x40490fdb, v8 :: v_dual_cndmask_b32 v13, v13, v14
	v_cmp_gt_f32_e32 vcc_lo, 0, v2
	s_delay_alu instid0(VALU_DEP_2) | instskip(NEXT) | instid1(VALU_DEP_1)
	v_dual_cndmask_b32 v8, v8, v16 :: v_dual_sub_f32 v13, v13, v17
                                        ; implicit-def: $vgpr16
	v_cndmask_b32_e64 v8, v8, v15, s1
	v_cndmask_b32_e32 v15, 0x3f490fdb, v30, vcc_lo
	s_and_b32 vcc_lo, s3, s4
	s_delay_alu instid0(VALU_DEP_1) | instid1(SALU_CYCLE_1)
	v_dual_mul_f32 v14, 0.5, v13 :: v_dual_cndmask_b32 v8, v8, v15, vcc_lo
.LBB174_239:                            ;   in Loop: Header=BB174_162 Depth=1
	s_and_not1_saveexec_b32 s20, s2
	s_cbranch_execz .LBB174_243
; %bb.240:                              ;   in Loop: Header=BB174_162 Depth=1
	v_and_b32_e32 v15, 0x7fff0000, v16
	v_and_b32_e32 v14, 0x7fff0000, v17
	s_mov_b32 s21, 0
	s_delay_alu instid0(VALU_DEP_1) | instskip(SKIP_2) | instid1(VALU_DEP_2)
	v_dual_add_f32 v29, v15, v15 :: v_dual_add_f32 v13, v14, v14
	v_pk_add_f32 v[16:17], v[16:17], v[14:15] op_sel:[1,0] op_sel_hi:[0,1] neg_lo:[0,1] neg_hi:[0,1]
	v_pk_mul_f32 v[14:15], v[14:15], v[14:15]
	v_and_b32_e32 v27, 0xffff0000, v17
	s_delay_alu instid0(VALU_DEP_3) | instskip(NEXT) | instid1(VALU_DEP_2)
	v_and_b32_e32 v26, 0xffff0000, v16
	v_dual_mul_f32 v28, v29, v27 :: v_dual_add_f32 v33, v27, v27
	s_delay_alu instid0(VALU_DEP_2) | instskip(SKIP_2) | instid1(VALU_DEP_3)
	v_pk_add_f32 v[16:17], v[16:17], v[26:27] neg_lo:[0,1] neg_hi:[0,1]
	v_dual_mul_f32 v8, v13, v26 :: v_dual_add_f32 v32, v26, v26
	v_pk_mul_f32 v[26:27], v[26:27], v[26:27]
	v_mul_f32_e32 v23, v13, v16
	s_delay_alu instid0(VALU_DEP_3)
	v_dual_mul_f32 v31, v29, v17 :: v_dual_mul_f32 v13, v32, v16
	v_mul_f32_e32 v29, v33, v17
	v_pk_mul_f32 v[16:17], v[16:17], v[16:17]
.LBB174_241:                            ;   Parent Loop BB174_162 Depth=1
                                        ; =>  This Inner Loop Header: Depth=2
	v_cmp_nlt_f32_e32 vcc_lo, v14, v15
	v_dual_cndmask_b32 v32, v14, v15, vcc_lo :: v_dual_cndmask_b32 v14, v15, v14, vcc_lo
	s_delay_alu instid0(VALU_DEP_1) | instskip(NEXT) | instid1(VALU_DEP_1)
	v_cmp_nlt_f32_e64 s1, v32, v8
	v_cndmask_b32_e64 v33, v32, v8, s1
	v_cndmask_b32_e64 v15, v8, v32, s1
	s_and_b32 s1, vcc_lo, s1
	s_delay_alu instid0(VALU_DEP_2) | instskip(NEXT) | instid1(VALU_DEP_1)
	v_cmp_nlt_f32_e64 s2, v33, v28
	v_cndmask_b32_e64 v34, v33, v28, s2
	s_delay_alu instid0(VALU_DEP_1) | instskip(NEXT) | instid1(VALU_DEP_1)
	v_cmp_nlt_f32_e64 s3, v34, v26
	v_dual_cndmask_b32 v32, v34, v26, s3 :: v_dual_cndmask_b32 v8, v28, v33, s2
	s_and_b32 s22, s2, s3
	v_cndmask_b32_e64 v28, v26, v34, s3
	s_delay_alu instid0(VALU_DEP_2) | instskip(NEXT) | instid1(VALU_DEP_1)
	v_cmp_nlt_f32_e64 s4, v32, v27
	v_dual_cndmask_b32 v33, v32, v27, s4 :: v_dual_cndmask_b32 v26, v27, v32, s4
	s_delay_alu instid0(VALU_DEP_1) | instskip(NEXT) | instid1(VALU_DEP_1)
	v_cmp_nlt_f32_e64 s5, v33, v23
	v_cndmask_b32_e64 v35, v33, v23, s5
	s_and_b32 s4, s4, s5
	s_delay_alu instid0(VALU_DEP_1) | instskip(NEXT) | instid1(VALU_DEP_1)
	v_cmp_nlt_f32_e64 s6, v35, v31
	v_cndmask_b32_e64 v36, v35, v31, s6
	s_and_b32 s4, s4, s6
	s_delay_alu instid0(VALU_DEP_1) | instskip(NEXT) | instid1(VALU_DEP_1)
	v_cmp_nlt_f32_e64 s7, v36, v13
	v_cndmask_b32_e64 v34, v36, v13, s7
	s_delay_alu instid0(VALU_DEP_1) | instskip(NEXT) | instid1(VALU_DEP_1)
	v_cmp_nlt_f32_e64 s2, v34, v29
	v_cndmask_b32_e64 v32, v34, v29, s2
	s_delay_alu instid0(VALU_DEP_1)
	v_cmp_nlt_f32_e64 s3, v32, v16
	v_cndmask_b32_e64 v27, v23, v33, s5
	s_and_b32 s5, s4, s7
	v_dual_cndmask_b32 v23, v31, v35, s6 :: v_dual_cndmask_b32 v31, v13, v36, s7
	v_dual_cndmask_b32 v33, v32, v16, s3 :: v_dual_cndmask_b32 v13, v29, v34, s2
	v_cndmask_b32_e64 v29, v16, v32, s3
	s_and_b32 s2, s5, s2
	s_delay_alu instid0(SALU_CYCLE_1) | instskip(NEXT) | instid1(VALU_DEP_2)
	s_and_b32 s2, s2, s3
	v_cmp_nlt_f32_e64 s4, v33, v17
	s_and_b32 s2, s2, s4
	v_cndmask_b32_e64 v16, v17, v33, s4
	s_and_b32 s2, s2, s22
	v_cndmask_b32_e64 v17, v33, v17, s4
	s_and_b32 s1, s2, s1
	s_delay_alu instid0(SALU_CYCLE_1) | instskip(NEXT) | instid1(SALU_CYCLE_1)
	s_and_b32 s1, exec_lo, s1
	s_or_b32 s21, s1, s21
	s_delay_alu instid0(SALU_CYCLE_1)
	s_and_not1_b32 exec_lo, exec_lo, s21
	s_cbranch_execnz .LBB174_241
; %bb.242:                              ;   in Loop: Header=BB174_162 Depth=1
	s_or_b32 exec_lo, exec_lo, s21
	v_add_f32_e32 v14, -1.0, v14
	v_cmp_class_f32_e64 s2, v2, 0x204
	s_delay_alu instid0(VALU_DEP_2) | instskip(NEXT) | instid1(VALU_DEP_1)
	v_add_f32_e32 v14, v14, v15
	v_add_f32_e32 v8, v14, v8
	s_delay_alu instid0(VALU_DEP_1) | instskip(NEXT) | instid1(VALU_DEP_1)
	v_add_f32_e32 v8, v8, v28
	v_add_f32_e32 v8, v8, v26
	s_delay_alu instid0(VALU_DEP_1) | instskip(NEXT) | instid1(VALU_DEP_1)
	;; [unrolled: 3-line block ×5, first 2 shown]
	v_add_f32_e32 v14, v17, v8
	v_add_f32_e32 v17, 1.0, v14
	s_delay_alu instid0(VALU_DEP_1) | instskip(SKIP_2) | instid1(VALU_DEP_2)
	v_cvt_f64_f32_e32 v[26:27], v17
	v_frexp_mant_f32_e32 v13, v17
	v_add_f32_e32 v15, -1.0, v17
	v_cmp_gt_f32_e32 vcc_lo, 0x3f2aaaab, v13
	s_delay_alu instid0(VALU_DEP_2) | instskip(SKIP_1) | instid1(VALU_DEP_1)
	v_mov_b32_e32 v16, v15
	v_frexp_exp_i32_f64_e32 v8, v[26:27]
	v_subrev_co_ci_u32_e64 v8, null, 0, v8, vcc_lo
	s_delay_alu instid0(VALU_DEP_1) | instskip(NEXT) | instid1(VALU_DEP_4)
	v_sub_nc_u32_e32 v13, 0, v8
	v_pk_add_f32 v[26:27], v[14:15], v[16:17] neg_lo:[0,1] neg_hi:[0,1]
	v_cmp_neq_f32_e32 vcc_lo, 0x7f800000, v14
	v_cmp_neq_f32_e64 s1, -1.0, v14
	s_delay_alu instid0(VALU_DEP_4) | instskip(NEXT) | instid1(VALU_DEP_4)
	v_ldexp_f32 v15, v17, v13
	v_add_f32_e32 v16, 1.0, v27
	s_delay_alu instid0(VALU_DEP_1) | instskip(NEXT) | instid1(VALU_DEP_1)
	v_dual_add_f32 v23, 1.0, v15 :: v_dual_add_f32 v16, v26, v16
	v_add_f32_e32 v17, -1.0, v23
	v_add_f32_e32 v29, -1.0, v15
	s_delay_alu instid0(VALU_DEP_3) | instskip(NEXT) | instid1(VALU_DEP_3)
	v_ldexp_f32 v13, v16, v13
	v_sub_f32_e32 v16, v15, v17
	s_delay_alu instid0(VALU_DEP_1) | instskip(NEXT) | instid1(VALU_DEP_1)
	v_dual_add_f32 v17, 1.0, v29 :: v_dual_add_f32 v16, v13, v16
	v_add_f32_e32 v31, v23, v16
	s_delay_alu instid0(VALU_DEP_1) | instskip(NEXT) | instid1(VALU_DEP_1)
	v_sub_f32_e32 v23, v31, v23
	v_dual_sub_f32 v15, v15, v17 :: v_dual_sub_f32 v23, v16, v23
	s_delay_alu instid0(VALU_DEP_1) | instskip(SKIP_1) | instid1(VALU_DEP_1)
	v_add_f32_e32 v13, v13, v15
	v_rcp_f32_e32 v15, v31
	v_add_f32_e32 v17, v29, v13
	s_delay_alu instid0(TRANS32_DEP_1) | instid1(VALU_DEP_1)
	v_mul_f32_e32 v32, v17, v15
	s_delay_alu instid0(VALU_DEP_1) | instskip(NEXT) | instid1(VALU_DEP_1)
	v_dual_mul_f32 v26, v31, v32 :: v_dual_sub_f32 v33, v17, v29
	v_dual_fma_f32 v28, v32, v31, -v26 :: v_dual_sub_f32 v13, v13, v33
	s_delay_alu instid0(VALU_DEP_1) | instskip(NEXT) | instid1(VALU_DEP_1)
	v_fmac_f32_e32 v28, v32, v23
	v_add_f32_e32 v16, v26, v28
	s_delay_alu instid0(VALU_DEP_1) | instskip(NEXT) | instid1(VALU_DEP_1)
	v_dual_sub_f32 v27, v17, v16 :: v_dual_mov_b32 v29, v16
	v_pk_add_f32 v[16:17], v[16:17], v[26:27] neg_lo:[0,1] neg_hi:[0,1]
	s_delay_alu instid0(VALU_DEP_1) | instskip(NEXT) | instid1(VALU_DEP_1)
	v_pk_add_f32 v[16:17], v[16:17], v[28:29] neg_lo:[0,1] neg_hi:[0,1]
	v_add_f32_e32 v13, v13, v17
	s_delay_alu instid0(VALU_DEP_1) | instskip(NEXT) | instid1(VALU_DEP_1)
	v_add_f32_e32 v13, v16, v13
	v_add_f32_e32 v17, v27, v13
	s_delay_alu instid0(VALU_DEP_1) | instskip(NEXT) | instid1(VALU_DEP_1)
	v_mul_f32_e32 v33, v15, v17
	v_mul_f32_e32 v28, v31, v33
	s_delay_alu instid0(VALU_DEP_1) | instskip(NEXT) | instid1(VALU_DEP_1)
	v_fma_f32 v26, v33, v31, -v28
	v_fmac_f32_e32 v26, v33, v23
	s_delay_alu instid0(VALU_DEP_1) | instskip(NEXT) | instid1(VALU_DEP_1)
	v_dual_add_f32 v16, v28, v26 :: v_dual_sub_f32 v23, v27, v17
	v_dual_add_f32 v31, v32, v33 :: v_dual_sub_f32 v29, v17, v16
	s_delay_alu instid0(VALU_DEP_2) | instskip(NEXT) | instid1(VALU_DEP_2)
	v_dual_mov_b32 v27, v16 :: v_dual_add_f32 v13, v13, v23
	v_pk_add_f32 v[16:17], v[16:17], v[28:29] neg_lo:[0,1] neg_hi:[0,1]
	s_delay_alu instid0(VALU_DEP_1) | instskip(NEXT) | instid1(VALU_DEP_1)
	v_pk_add_f32 v[16:17], v[16:17], v[26:27] neg_lo:[0,1] neg_hi:[0,1]
	v_add_f32_e32 v13, v13, v17
	s_delay_alu instid0(VALU_DEP_1) | instskip(NEXT) | instid1(VALU_DEP_1)
	v_dual_add_f32 v13, v16, v13 :: v_dual_sub_f32 v16, v31, v32
	v_sub_f32_e32 v16, v33, v16
	s_delay_alu instid0(VALU_DEP_2) | instskip(NEXT) | instid1(VALU_DEP_1)
	v_add_f32_e32 v13, v29, v13
	v_mul_f32_e32 v13, v15, v13
	s_delay_alu instid0(VALU_DEP_1) | instskip(SKIP_1) | instid1(VALU_DEP_2)
	v_add_f32_e32 v13, v16, v13
	v_cvt_f32_i32_e32 v16, v8
	v_add_f32_e32 v15, v31, v13
	s_delay_alu instid0(VALU_DEP_1) | instskip(NEXT) | instid1(VALU_DEP_1)
	v_mul_f32_e32 v23, v15, v15
	v_dual_fmaak_f32 v26, s10, v23, 0x3ecc95a3 :: v_dual_mul_f32 v17, v15, v23
	s_delay_alu instid0(VALU_DEP_1) | instskip(NEXT) | instid1(VALU_DEP_1)
	v_fmaak_f32 v23, v23, v26, 0x3f2aaada
	v_pk_mul_f32 v[26:27], v[16:17], v[22:23]
	s_delay_alu instid0(VALU_DEP_1) | instskip(SKIP_1) | instid1(VALU_DEP_2)
	v_fma_f32 v28, 0x3f317218, v16, -v26
	v_mov_b32_e32 v32, v26
	v_fmac_f32_e32 v28, 0xb102e308, v16
	v_ldexp_f32 v29, v15, 1
	s_delay_alu instid0(VALU_DEP_1) | instskip(NEXT) | instid1(VALU_DEP_1)
	v_pk_add_f32 v[16:17], v[26:27], v[28:29]
	v_dual_sub_f32 v8, v15, v31 :: v_dual_mov_b32 v40, v17
	s_delay_alu instid0(VALU_DEP_1) | instskip(SKIP_1) | instid1(VALU_DEP_2)
	v_sub_f32_e32 v8, v13, v8
	v_sub_f32_e32 v13, v17, v29
	v_ldexp_f32 v8, v8, 1
	s_delay_alu instid0(VALU_DEP_2) | instskip(SKIP_1) | instid1(VALU_DEP_2)
	v_sub_f32_e32 v13, v27, v13
	v_pk_add_f32 v[26:27], v[16:17], v[26:27] neg_lo:[0,1] neg_hi:[0,1]
	v_add_f32_e32 v33, v8, v13
	v_max_num_f32_e64 v8, |v3|, |v3|
	v_max_num_f32_e64 v13, |v2|, |v2|
	v_mov_b32_e32 v29, v16
	s_delay_alu instid0(VALU_DEP_4) | instskip(NEXT) | instid1(VALU_DEP_1)
	v_pk_add_f32 v[34:35], v[16:17], v[32:33]
	v_dual_max_num_f32 v15, v13, v8 :: v_dual_mov_b32 v27, v35
	s_delay_alu instid0(VALU_DEP_1) | instskip(SKIP_2) | instid1(VALU_DEP_4)
	v_frexp_exp_i32_f32_e32 v23, v15
	v_min_num_f32_e32 v13, v13, v8
	v_frexp_mant_f32_e32 v15, v15
	v_pk_add_f32 v[36:37], v[28:29], v[26:27]
	v_pk_add_f32 v[26:27], v[28:29], v[26:27] neg_lo:[0,1] neg_hi:[0,1]
	s_delay_alu instid0(VALU_DEP_4) | instskip(NEXT) | instid1(VALU_DEP_4)
	v_frexp_exp_i32_f32_e32 v31, v13
	v_rcp_f32_e32 v15, v15
	s_delay_alu instid0(VALU_DEP_1) | instskip(SKIP_1) | instid1(VALU_DEP_2)
	v_dual_mov_b32 v8, v37 :: v_dual_sub_nc_u32 v23, v31, v23
	v_frexp_mant_f32_e32 v32, v13
	v_pk_add_f32 v[38:39], v[8:9], v[16:17] neg_lo:[0,1] neg_hi:[0,1]
	v_dual_mov_b32 v36, v35 :: v_dual_mov_b32 v17, v16
	s_delay_alu instid0(TRANS32_DEP_1) | instid1(VALU_DEP_3)
	v_dual_mov_b32 v16, v33 :: v_dual_mul_f32 v15, v32, v15
	s_delay_alu instid0(VALU_DEP_3) | instskip(NEXT) | instid1(VALU_DEP_1)
	v_dual_mov_b32 v13, v38 :: v_dual_mov_b32 v41, v38
	v_pk_add_f32 v[32:33], v[34:35], v[12:13] neg_lo:[0,1] neg_hi:[0,1]
	s_delay_alu instid0(VALU_DEP_2) | instskip(NEXT) | instid1(VALU_DEP_4)
	v_pk_add_f32 v[28:29], v[36:37], v[40:41] neg_lo:[0,1] neg_hi:[0,1]
	v_ldexp_f32 v13, v15, v23
	v_mov_b32_e32 v32, v26
	s_delay_alu instid0(VALU_DEP_3) | instskip(NEXT) | instid1(VALU_DEP_3)
	v_pk_add_f32 v[16:17], v[16:17], v[28:29] neg_lo:[0,1] neg_hi:[0,1]
	v_mul_f32_e32 v15, v13, v13
	s_delay_alu instid0(VALU_DEP_2) | instskip(NEXT) | instid1(VALU_DEP_1)
	v_pk_add_f32 v[28:29], v[32:33], v[16:17]
	v_dual_fmaak_f32 v17, s11, v15, 0xbc7a590c :: v_dual_mov_b32 v32, v29
	s_delay_alu instid0(VALU_DEP_1) | instskip(NEXT) | instid1(VALU_DEP_1)
	v_pk_add_f32 v[32:33], v[28:29], v[32:33]
	v_pk_add_f32 v[34:35], v[8:9], v[32:33]
	s_delay_alu instid0(VALU_DEP_1) | instskip(NEXT) | instid1(VALU_DEP_1)
	v_dual_mov_b32 v27, v37 :: v_dual_mov_b32 v29, v34
	v_pk_add_f32 v[36:37], v[28:29], v[26:27] neg_lo:[0,1] neg_hi:[0,1]
	s_delay_alu instid0(VALU_DEP_1) | instskip(NEXT) | instid1(VALU_DEP_1)
	v_sub_f32_e32 v23, v28, v36
	v_sub_f32_e32 v23, v26, v23
	v_fmaak_f32 v17, v15, v17, 0x3d29fb3f
	s_delay_alu instid0(VALU_DEP_1) | instskip(NEXT) | instid1(VALU_DEP_1)
	v_dual_fmaak_f32 v8, v15, v17, 0xbd97d4d7 :: v_dual_mov_b32 v17, v32
	v_pk_add_f32 v[16:17], v[16:17], v[36:37] neg_lo:[0,1] neg_hi:[0,1]
	s_delay_alu instid0(VALU_DEP_1) | instskip(NEXT) | instid1(VALU_DEP_3)
	v_add_f32_e32 v16, v16, v23
	v_fmaak_f32 v8, v15, v8, 0x3dd931b2
	s_delay_alu instid0(VALU_DEP_1) | instskip(NEXT) | instid1(VALU_DEP_1)
	v_fmaak_f32 v8, v15, v8, 0xbe1160e6
	v_fmaak_f32 v8, v15, v8, 0x3e4cb8bf
	s_delay_alu instid0(VALU_DEP_1) | instskip(NEXT) | instid1(VALU_DEP_1)
	v_fmaak_f32 v8, v15, v8, 0xbeaaaa62
	v_dual_mul_f32 v8, v15, v8 :: v_dual_add_f32 v15, v16, v17
	s_delay_alu instid0(VALU_DEP_1) | instskip(NEXT) | instid1(VALU_DEP_1)
	v_dual_fmac_f32 v13, v13, v8 :: v_dual_add_f32 v8, v34, v15
	v_cndmask_b32_e32 v8, 0x7f800000, v8, vcc_lo
	s_delay_alu instid0(VALU_DEP_2) | instskip(SKIP_1) | instid1(VALU_DEP_2)
	v_sub_f32_e32 v15, 0x3fc90fdb, v13
	v_cmp_gt_i32_e32 vcc_lo, 0, v2
	v_cndmask_b32_e64 v13, v13, v15, s0
	v_cndmask_b32_e64 v15, 0, 0x40490fdb, vcc_lo
	v_cmp_ngt_f32_e32 vcc_lo, -1.0, v14
	s_delay_alu instid0(VALU_DEP_3) | instskip(SKIP_2) | instid1(VALU_DEP_2)
	v_sub_f32_e32 v16, 0x40490fdb, v13
	v_cndmask_b32_e32 v8, 0x7fc00000, v8, vcc_lo
	v_cmp_gt_f32_e32 vcc_lo, 0, v2
	v_cndmask_b32_e64 v8, 0xff800000, v8, s1
	s_delay_alu instid0(VALU_DEP_4)
	v_cndmask_b32_e32 v13, v13, v16, vcc_lo
	v_cndmask_b32_e32 v16, 0x3f490fdb, v30, vcc_lo
	v_cmp_gt_f32_e64 vcc_lo, 0x33800000, |v14|
	v_cmp_class_f32_e64 s1, v3, 0x204
	v_cndmask_b32_e32 v8, v8, v14, vcc_lo
	v_cmp_eq_f32_e32 vcc_lo, 0, v3
	s_delay_alu instid0(VALU_DEP_2) | instskip(SKIP_1) | instid1(VALU_DEP_1)
	v_dual_mul_f32 v14, 0.5, v8 :: v_dual_cndmask_b32 v13, v13, v15
	s_and_b32 vcc_lo, s2, s1
	v_cndmask_b32_e32 v8, v13, v16, vcc_lo
.LBB174_243:                            ;   in Loop: Header=BB174_162 Depth=1
	s_or_b32 exec_lo, exec_lo, s20
.LBB174_244:                            ;   in Loop: Header=BB174_162 Depth=1
	s_delay_alu instid0(SALU_CYCLE_1)
	s_or_b32 exec_lo, exec_lo, s19
.LBB174_245:                            ;   in Loop: Header=BB174_162 Depth=1
	s_and_not1_saveexec_b32 s2, s18
	s_cbranch_execz .LBB174_247
; %bb.246:                              ;   in Loop: Header=BB174_162 Depth=1
	v_max_num_f32_e64 v8, |v3|, |v3|
	v_max_num_f32_e64 v13, |v2|, |v2|
	v_cmp_gt_i32_e64 s1, 0, v2
	v_cmp_class_f32_e64 s3, v2, 0x204
	v_cmp_class_f32_e64 s4, v3, 0x204
	s_delay_alu instid0(VALU_DEP_4) | instskip(NEXT) | instid1(VALU_DEP_1)
	v_dual_max_num_f32 v16, v13, v8 :: v_dual_min_num_f32 v8, v13, v8
	v_cvt_f64_f32_e32 v[14:15], v16
	v_frexp_exp_i32_f32_e32 v13, v16
	s_delay_alu instid0(VALU_DEP_3) | instskip(SKIP_4) | instid1(VALU_DEP_1)
	v_frexp_exp_i32_f32_e32 v17, v8
	v_frexp_mant_f32_e32 v8, v8
	v_cmp_neq_f32_e32 vcc_lo, 0x7f800000, v16
	v_frexp_exp_i32_f64_e32 v14, v[14:15]
	v_frexp_mant_f32_e32 v15, v16
	v_rcp_f32_e32 v15, v15
	v_nop
	s_delay_alu instid0(TRANS32_DEP_1) | instskip(NEXT) | instid1(VALU_DEP_1)
	v_dual_mul_f32 v8, v8, v15 :: v_dual_sub_nc_u32 v13, v17, v13
	v_ldexp_f32 v8, v8, v13
	s_delay_alu instid0(VALU_DEP_1) | instskip(NEXT) | instid1(VALU_DEP_1)
	v_mul_f32_e32 v15, v8, v8
	v_fmaak_f32 v23, s11, v15, 0xbc7a590c
	v_sub_nc_u32_e32 v13, 0, v14
	s_delay_alu instid0(VALU_DEP_1) | instskip(SKIP_1) | instid1(VALU_DEP_2)
	v_ldexp_f32 v17, |v3|, v13
	v_ldexp_f32 v13, |v2|, v13
	v_mul_f32_e32 v17, v17, v17
	s_delay_alu instid0(VALU_DEP_1) | instskip(NEXT) | instid1(VALU_DEP_1)
	v_fmac_f32_e32 v17, v13, v13
	v_sqrt_f32_e32 v17, v17
	v_nop
	s_delay_alu instid0(TRANS32_DEP_1) | instskip(NEXT) | instid1(VALU_DEP_1)
	v_ldexp_f32 v14, v17, v14
	v_cndmask_b32_e32 v14, 0x7f800000, v14, vcc_lo
	s_delay_alu instid0(VALU_DEP_1) | instskip(SKIP_3) | instid1(VALU_DEP_2)
	v_cmp_gt_f32_e32 vcc_lo, 0x800000, v14
	v_cndmask_b32_e64 v17, 0, 0x41b17218, vcc_lo
	v_fmaak_f32 v23, v15, v23, 0x3d29fb3f
	v_cndmask_b32_e64 v16, 0, 32, vcc_lo
	v_fmaak_f32 v13, v15, v23, 0xbd97d4d7
	s_delay_alu instid0(VALU_DEP_2) | instskip(NEXT) | instid1(VALU_DEP_2)
	v_ldexp_f32 v14, v14, v16
	v_fmaak_f32 v13, v15, v13, 0x3dd931b2
	s_delay_alu instid0(VALU_DEP_2) | instskip(NEXT) | instid1(VALU_DEP_1)
	v_log_f32_e32 v14, v14
	v_fmaak_f32 v13, v15, v13, 0xbe1160e6
	s_delay_alu instid0(TRANS32_DEP_1) | instskip(NEXT) | instid1(VALU_DEP_2)
	v_cmp_gt_f32_e64 vcc_lo, 0x7f800000, |v14|
	v_fmaak_f32 v13, v15, v13, 0x3e4cb8bf
	s_delay_alu instid0(VALU_DEP_1) | instskip(NEXT) | instid1(VALU_DEP_1)
	v_fmaak_f32 v13, v15, v13, 0xbeaaaa62
	v_mul_f32_e32 v13, v15, v13
	s_delay_alu instid0(VALU_DEP_1) | instskip(NEXT) | instid1(VALU_DEP_1)
	v_dual_fmac_f32 v8, v8, v13 :: v_dual_mul_f32 v13, 0x3f317217, v14
	v_sub_f32_e32 v15, 0x3fc90fdb, v8
	s_delay_alu instid0(VALU_DEP_2) | instskip(NEXT) | instid1(VALU_DEP_1)
	v_fma_f32 v13, 0x3f317217, v14, -v13
	v_fmac_f32_e32 v13, 0x3377d1cf, v14
	s_delay_alu instid0(VALU_DEP_1) | instskip(NEXT) | instid1(VALU_DEP_4)
	v_fmac_f32_e32 v13, 0x3f317217, v14
	v_cndmask_b32_e64 v8, v8, v15, s0
	v_cndmask_b32_e64 v15, 0, 0x40490fdb, s1
	v_cmp_gt_f32_e64 s1, 0, v2
	s_delay_alu instid0(VALU_DEP_3) | instskip(SKIP_1) | instid1(VALU_DEP_2)
	v_dual_cndmask_b32 v13, v14, v13 :: v_dual_sub_f32 v16, 0x40490fdb, v8
	v_cmp_eq_f32_e32 vcc_lo, 0, v3
	v_dual_sub_f32 v14, v13, v17 :: v_dual_cndmask_b32 v8, v8, v16, s1
	v_cndmask_b32_e64 v16, 0x3f490fdb, v30, s1
	s_delay_alu instid0(VALU_DEP_2) | instskip(SKIP_1) | instid1(VALU_DEP_1)
	v_cndmask_b32_e32 v8, v8, v15, vcc_lo
	s_and_b32 vcc_lo, s3, s4
	v_cndmask_b32_e32 v8, v8, v16, vcc_lo
.LBB174_247:                            ;   in Loop: Header=BB174_162 Depth=1
	s_or_b32 exec_lo, exec_lo, s2
                                        ; implicit-def: $vgpr16
.LBB174_248:                            ;   in Loop: Header=BB174_162 Depth=1
	s_and_not1_saveexec_b32 s2, s17
	s_cbranch_execz .LBB174_254
; %bb.249:                              ;   in Loop: Header=BB174_162 Depth=1
                                        ; implicit-def: $vgpr14
                                        ; implicit-def: $vgpr8
	s_mov_b32 s1, exec_lo
	v_cmpx_ngt_f32_e32 0x1fec1e4a, v16
	s_xor_b32 s3, exec_lo, s1
	s_cbranch_execz .LBB174_251
; %bb.250:                              ;   in Loop: Header=BB174_162 Depth=1
	v_pk_mul_f32 v[14:15], v[16:17], v[16:17]
	v_cmp_class_f32_e64 s4, v2, 0x204
	s_delay_alu instid0(VALU_DEP_2) | instskip(SKIP_1) | instid1(VALU_DEP_2)
	v_add_f32_e32 v17, 1.0, v14
	v_cmp_neq_f32_e64 s1, 0x7f800000, v14
	v_add_f32_e32 v15, -1.0, v17
	s_delay_alu instid0(VALU_DEP_1) | instskip(SKIP_2) | instid1(VALU_DEP_1)
	v_mov_b32_e32 v16, v15
	v_cvt_f64_f32_e32 v[26:27], v17
	v_frexp_mant_f32_e32 v13, v17
	v_cmp_gt_f32_e32 vcc_lo, 0x3f2aaaab, v13
	s_delay_alu instid0(VALU_DEP_3) | instskip(NEXT) | instid1(VALU_DEP_1)
	v_frexp_exp_i32_f64_e32 v8, v[26:27]
	v_subrev_co_ci_u32_e64 v8, null, 0, v8, vcc_lo
	v_cmp_gt_i32_e32 vcc_lo, 0, v2
	s_delay_alu instid0(VALU_DEP_2) | instskip(SKIP_1) | instid1(VALU_DEP_2)
	v_sub_nc_u32_e32 v13, 0, v8
	v_pk_add_f32 v[26:27], v[14:15], v[16:17] neg_lo:[0,1] neg_hi:[0,1]
	v_ldexp_f32 v15, v17, v13
	s_delay_alu instid0(VALU_DEP_1) | instskip(NEXT) | instid1(VALU_DEP_3)
	v_add_f32_e32 v29, -1.0, v15
	v_add_f32_e32 v16, 1.0, v27
	s_delay_alu instid0(VALU_DEP_1) | instskip(NEXT) | instid1(VALU_DEP_1)
	v_dual_add_f32 v23, 1.0, v15 :: v_dual_add_f32 v16, v26, v16
	v_ldexp_f32 v13, v16, v13
	s_delay_alu instid0(VALU_DEP_2) | instskip(NEXT) | instid1(VALU_DEP_1)
	v_add_f32_e32 v17, -1.0, v23
	v_sub_f32_e32 v16, v15, v17
	s_delay_alu instid0(VALU_DEP_1) | instskip(NEXT) | instid1(VALU_DEP_1)
	v_dual_add_f32 v17, 1.0, v29 :: v_dual_add_f32 v16, v13, v16
	v_add_f32_e32 v31, v23, v16
	s_delay_alu instid0(VALU_DEP_1) | instskip(NEXT) | instid1(VALU_DEP_1)
	v_sub_f32_e32 v23, v23, v31
	v_dual_sub_f32 v15, v15, v17 :: v_dual_add_f32 v23, v16, v23
	s_delay_alu instid0(VALU_DEP_1) | instskip(SKIP_1) | instid1(VALU_DEP_1)
	v_add_f32_e32 v13, v13, v15
	v_rcp_f32_e32 v15, v31
	v_add_f32_e32 v17, v29, v13
	s_delay_alu instid0(TRANS32_DEP_1) | instid1(VALU_DEP_1)
	v_mul_f32_e32 v32, v17, v15
	s_delay_alu instid0(VALU_DEP_1) | instskip(NEXT) | instid1(VALU_DEP_1)
	v_mul_f32_e32 v26, v31, v32
	v_fma_f32 v28, v32, v31, -v26
	s_delay_alu instid0(VALU_DEP_1) | instskip(NEXT) | instid1(VALU_DEP_1)
	v_fmac_f32_e32 v28, v32, v23
	v_dual_add_f32 v16, v26, v28 :: v_dual_sub_f32 v33, v29, v17
	s_delay_alu instid0(VALU_DEP_1) | instskip(NEXT) | instid1(VALU_DEP_2)
	v_dual_mov_b32 v29, v16 :: v_dual_sub_f32 v27, v17, v16
	v_add_f32_e32 v13, v13, v33
	s_delay_alu instid0(VALU_DEP_2) | instskip(NEXT) | instid1(VALU_DEP_1)
	v_pk_add_f32 v[16:17], v[16:17], v[26:27] neg_lo:[0,1] neg_hi:[0,1]
	v_pk_add_f32 v[16:17], v[16:17], v[28:29] neg_lo:[0,1] neg_hi:[0,1]
	s_delay_alu instid0(VALU_DEP_1) | instskip(NEXT) | instid1(VALU_DEP_1)
	v_add_f32_e32 v13, v13, v17
	v_add_f32_e32 v13, v16, v13
	s_delay_alu instid0(VALU_DEP_1) | instskip(NEXT) | instid1(VALU_DEP_1)
	v_add_f32_e32 v17, v27, v13
	v_mul_f32_e32 v33, v15, v17
	s_delay_alu instid0(VALU_DEP_1) | instskip(NEXT) | instid1(VALU_DEP_1)
	v_mul_f32_e32 v28, v31, v33
	v_dual_fma_f32 v26, v33, v31, -v28 :: v_dual_add_f32 v31, v32, v33
	s_delay_alu instid0(VALU_DEP_1) | instskip(NEXT) | instid1(VALU_DEP_1)
	v_dual_fmac_f32 v26, v33, v23 :: v_dual_sub_f32 v23, v27, v17
	v_dual_add_f32 v16, v28, v26 :: v_dual_add_f32 v13, v13, v23
	s_delay_alu instid0(VALU_DEP_1) | instskip(NEXT) | instid1(VALU_DEP_1)
	v_dual_sub_f32 v29, v17, v16 :: v_dual_mov_b32 v27, v16
	v_pk_add_f32 v[16:17], v[16:17], v[28:29] neg_lo:[0,1] neg_hi:[0,1]
	s_delay_alu instid0(VALU_DEP_1) | instskip(NEXT) | instid1(VALU_DEP_1)
	v_pk_add_f32 v[16:17], v[16:17], v[26:27] neg_lo:[0,1] neg_hi:[0,1]
	v_add_f32_e32 v13, v13, v17
	s_delay_alu instid0(VALU_DEP_1) | instskip(NEXT) | instid1(VALU_DEP_1)
	v_dual_add_f32 v13, v16, v13 :: v_dual_sub_f32 v16, v31, v32
	v_sub_f32_e32 v16, v33, v16
	s_delay_alu instid0(VALU_DEP_2) | instskip(NEXT) | instid1(VALU_DEP_1)
	v_add_f32_e32 v13, v29, v13
	v_mul_f32_e32 v13, v15, v13
	s_delay_alu instid0(VALU_DEP_1) | instskip(SKIP_1) | instid1(VALU_DEP_2)
	v_add_f32_e32 v13, v16, v13
	v_cvt_f32_i32_e32 v16, v8
	v_add_f32_e32 v15, v31, v13
	s_delay_alu instid0(VALU_DEP_1) | instskip(NEXT) | instid1(VALU_DEP_1)
	v_mul_f32_e32 v23, v15, v15
	v_dual_fmaak_f32 v26, s10, v23, 0x3ecc95a3 :: v_dual_mul_f32 v17, v15, v23
	s_delay_alu instid0(VALU_DEP_1) | instskip(NEXT) | instid1(VALU_DEP_1)
	v_fmaak_f32 v23, v23, v26, 0x3f2aaada
	v_pk_mul_f32 v[26:27], v[16:17], v[22:23]
	v_max_num_f32_e64 v23, |v2|, |v2|
	s_delay_alu instid0(VALU_DEP_2) | instskip(SKIP_1) | instid1(VALU_DEP_2)
	v_fma_f32 v28, 0x3f317218, v16, -v26
	v_mov_b32_e32 v32, v26
	v_fmac_f32_e32 v28, 0xb102e308, v16
	v_ldexp_f32 v29, v15, 1
	s_delay_alu instid0(VALU_DEP_1) | instskip(SKIP_2) | instid1(VALU_DEP_3)
	v_pk_add_f32 v[16:17], v[26:27], v[28:29]
	v_sub_f32_e32 v8, v15, v31
	v_max_num_f32_e64 v15, |v3|, |v3|
	v_mov_b32_e32 v40, v17
	s_delay_alu instid0(VALU_DEP_3) | instskip(SKIP_1) | instid1(VALU_DEP_2)
	v_sub_f32_e32 v8, v13, v8
	v_sub_f32_e32 v13, v17, v29
	v_ldexp_f32 v8, v8, 1
	s_delay_alu instid0(VALU_DEP_2) | instskip(SKIP_1) | instid1(VALU_DEP_2)
	v_sub_f32_e32 v13, v27, v13
	v_pk_add_f32 v[26:27], v[16:17], v[26:27] neg_lo:[0,1] neg_hi:[0,1]
	v_dual_add_f32 v33, v8, v13 :: v_dual_max_num_f32 v8, v23, v15
	s_delay_alu instid0(VALU_DEP_1) | instskip(SKIP_1) | instid1(VALU_DEP_3)
	v_pk_add_f32 v[34:35], v[16:17], v[32:33]
	v_mov_b32_e32 v29, v16
	v_frexp_mant_f32_e32 v13, v8
	s_delay_alu instid0(VALU_DEP_3) | instskip(NEXT) | instid1(VALU_DEP_2)
	v_mov_b32_e32 v27, v35
	v_rcp_f32_e32 v13, v13
	s_delay_alu instid0(VALU_DEP_1)
	v_pk_add_f32 v[36:37], v[28:29], v[26:27]
	v_min_num_f32_e32 v15, v23, v15
	v_frexp_exp_i32_f32_e32 v23, v8
	v_mov_b32_e32 v36, v35
	v_pk_add_f32 v[26:27], v[28:29], v[26:27] neg_lo:[0,1] neg_hi:[0,1]
	v_mov_b32_e32 v8, v37
	v_frexp_exp_i32_f32_e32 v31, v15
	v_frexp_mant_f32_e32 v15, v15
	v_mov_b32_e32 v27, v37
	s_delay_alu instid0(VALU_DEP_4) | instskip(NEXT) | instid1(VALU_DEP_4)
	v_pk_add_f32 v[38:39], v[8:9], v[16:17] neg_lo:[0,1] neg_hi:[0,1]
	v_sub_nc_u32_e32 v23, v31, v23
	s_delay_alu instid0(VALU_DEP_4) | instskip(NEXT) | instid1(VALU_DEP_3)
	v_dual_mul_f32 v13, v15, v13 :: v_dual_mov_b32 v17, v16
	v_dual_mov_b32 v16, v33 :: v_dual_mov_b32 v41, v38
	s_delay_alu instid0(VALU_DEP_2) | instskip(SKIP_1) | instid1(VALU_DEP_3)
	v_ldexp_f32 v15, v13, v23
	v_mov_b32_e32 v13, v38
	v_pk_add_f32 v[28:29], v[36:37], v[40:41] neg_lo:[0,1] neg_hi:[0,1]
	s_delay_alu instid0(VALU_DEP_3) | instskip(NEXT) | instid1(VALU_DEP_3)
	v_mul_f32_e32 v23, v15, v15
	v_pk_add_f32 v[32:33], v[34:35], v[12:13] neg_lo:[0,1] neg_hi:[0,1]
	v_mov_b32_e32 v32, v26
	s_delay_alu instid0(VALU_DEP_4) | instskip(NEXT) | instid1(VALU_DEP_1)
	v_pk_add_f32 v[16:17], v[16:17], v[28:29] neg_lo:[0,1] neg_hi:[0,1]
	v_pk_add_f32 v[28:29], v[32:33], v[16:17]
	s_delay_alu instid0(VALU_DEP_1) | instskip(NEXT) | instid1(VALU_DEP_1)
	v_dual_fmaak_f32 v13, s11, v23, 0xbc7a590c :: v_dual_mov_b32 v32, v29
	v_fmaak_f32 v13, v23, v13, 0x3d29fb3f
	s_delay_alu instid0(VALU_DEP_2) | instskip(NEXT) | instid1(VALU_DEP_1)
	v_pk_add_f32 v[32:33], v[28:29], v[32:33]
	v_pk_add_f32 v[34:35], v[8:9], v[32:33]
	s_delay_alu instid0(VALU_DEP_3) | instskip(SKIP_1) | instid1(VALU_DEP_2)
	v_fmaak_f32 v13, v23, v13, 0xbd97d4d7
	v_mov_b32_e32 v17, v32
	v_fmaak_f32 v13, v23, v13, 0x3dd931b2
	s_delay_alu instid0(VALU_DEP_1) | instskip(NEXT) | instid1(VALU_DEP_1)
	v_dual_fmaak_f32 v8, v23, v13, 0xbe1160e6 :: v_dual_mov_b32 v29, v34
	v_fmaak_f32 v8, v23, v8, 0x3e4cb8bf
	s_delay_alu instid0(VALU_DEP_2) | instskip(NEXT) | instid1(VALU_DEP_2)
	v_pk_add_f32 v[36:37], v[28:29], v[26:27] neg_lo:[0,1] neg_hi:[0,1]
	v_fmaak_f32 v8, v23, v8, 0xbeaaaa62
	s_delay_alu instid0(VALU_DEP_2) | instskip(NEXT) | instid1(VALU_DEP_3)
	v_sub_f32_e32 v13, v28, v36
	v_pk_add_f32 v[16:17], v[16:17], v[36:37] neg_lo:[0,1] neg_hi:[0,1]
	s_delay_alu instid0(VALU_DEP_2) | instskip(NEXT) | instid1(VALU_DEP_1)
	v_dual_mul_f32 v8, v23, v8 :: v_dual_sub_f32 v13, v26, v13
	v_dual_fmac_f32 v15, v15, v8 :: v_dual_add_f32 v8, v16, v13
	s_delay_alu instid0(VALU_DEP_1) | instskip(NEXT) | instid1(VALU_DEP_1)
	v_sub_f32_e32 v13, 0x3fc90fdb, v15
	v_cndmask_b32_e64 v13, v15, v13, s0
	v_cndmask_b32_e64 v15, 0, 0x40490fdb, vcc_lo
	v_cmp_gt_f32_e32 vcc_lo, 0, v2
	s_delay_alu instid0(VALU_DEP_3) | instskip(NEXT) | instid1(VALU_DEP_1)
	v_sub_f32_e32 v16, 0x40490fdb, v13
	v_dual_add_f32 v8, v8, v17 :: v_dual_cndmask_b32 v13, v13, v16
	s_delay_alu instid0(VALU_DEP_1) | instskip(SKIP_2) | instid1(VALU_DEP_3)
	v_add_f32_e32 v8, v34, v8
	v_cndmask_b32_e32 v16, 0x3f490fdb, v30, vcc_lo
	v_cmp_gt_f32_e64 vcc_lo, 0x33800000, |v14|
	v_cndmask_b32_e64 v8, 0x7f800000, v8, s1
	v_cmp_class_f32_e64 s1, v3, 0x204
	s_delay_alu instid0(VALU_DEP_2) | instskip(SKIP_1) | instid1(VALU_DEP_2)
	v_cndmask_b32_e32 v8, v8, v14, vcc_lo
	v_cmp_eq_f32_e32 vcc_lo, 0, v3
	v_dual_mul_f32 v14, 0.5, v8 :: v_dual_cndmask_b32 v13, v13, v15
	s_and_b32 vcc_lo, s4, s1
	s_delay_alu instid0(VALU_DEP_1)
	v_cndmask_b32_e32 v8, v13, v16, vcc_lo
                                        ; implicit-def: $vgpr16
.LBB174_251:                            ;   in Loop: Header=BB174_162 Depth=1
	s_and_not1_saveexec_b32 s3, s3
	s_cbranch_execz .LBB174_253
; %bb.252:                              ;   in Loop: Header=BB174_162 Depth=1
	v_max_num_f32_e64 v8, |v3|, |v3|
	v_max_num_f32_e64 v13, |v2|, |v2|
	v_cmp_eq_f32_e64 s1, 0, v3
	v_cmp_gt_i32_e32 vcc_lo, 0, v2
	v_cmp_class_f32_e64 s4, v2, 0x204
	v_cmp_class_f32_e64 s5, v3, 0x204
	v_dual_max_num_f32 v14, v13, v8 :: v_dual_min_num_f32 v8, v13, v8
	s_delay_alu instid0(VALU_DEP_1) | instskip(SKIP_1) | instid1(VALU_DEP_2)
	v_frexp_mant_f32_e32 v15, v14
	v_frexp_exp_i32_f32_e32 v13, v14
	v_rcp_f32_e32 v14, v15
	v_nop
	v_frexp_exp_i32_f32_e32 v15, v8
	v_frexp_mant_f32_e32 v8, v8
	s_delay_alu instid0(TRANS32_DEP_1) | instid1(VALU_DEP_1)
	v_dual_mul_f32 v8, v8, v14 :: v_dual_sub_nc_u32 v13, v15, v13
	s_delay_alu instid0(VALU_DEP_1) | instskip(NEXT) | instid1(VALU_DEP_1)
	v_ldexp_f32 v8, v8, v13
	v_mul_f32_e32 v13, v8, v8
	s_delay_alu instid0(VALU_DEP_1) | instskip(NEXT) | instid1(VALU_DEP_1)
	v_fmaak_f32 v14, s11, v13, 0xbc7a590c
	v_fmaak_f32 v14, v13, v14, 0x3d29fb3f
	s_delay_alu instid0(VALU_DEP_1) | instskip(NEXT) | instid1(VALU_DEP_1)
	v_fmaak_f32 v14, v13, v14, 0xbd97d4d7
	v_fmaak_f32 v14, v13, v14, 0x3dd931b2
	s_delay_alu instid0(VALU_DEP_1) | instskip(NEXT) | instid1(VALU_DEP_1)
	v_fmaak_f32 v14, v13, v14, 0xbe1160e6
	v_fmaak_f32 v14, v13, v14, 0x3e4cb8bf
	s_delay_alu instid0(VALU_DEP_1) | instskip(NEXT) | instid1(VALU_DEP_1)
	v_fmaak_f32 v14, v13, v14, 0xbeaaaa62
	v_mul_f32_e32 v13, v13, v14
	v_cndmask_b32_e64 v14, 0, 0x40490fdb, vcc_lo
	v_cmp_gt_f32_e32 vcc_lo, 0, v2
	s_delay_alu instid0(VALU_DEP_3) | instskip(NEXT) | instid1(VALU_DEP_1)
	v_dual_fmac_f32 v8, v8, v13 :: v_dual_cndmask_b32 v15, 0x3f490fdb, v30
	v_sub_f32_e32 v13, 0x3fc90fdb, v8
	s_delay_alu instid0(VALU_DEP_1) | instskip(NEXT) | instid1(VALU_DEP_1)
	v_cndmask_b32_e64 v8, v8, v13, s0
	v_sub_f32_e32 v13, 0x40490fdb, v8
	s_delay_alu instid0(VALU_DEP_1) | instskip(SKIP_1) | instid1(VALU_DEP_1)
	v_dual_cndmask_b32 v8, v8, v13 :: v_dual_mul_f32 v13, 0.5, v16
	s_and_b32 vcc_lo, s4, s5
	v_cndmask_b32_e64 v8, v8, v14, s1
	s_delay_alu instid0(VALU_DEP_2) | instskip(NEXT) | instid1(VALU_DEP_2)
	v_mul_f32_e32 v14, v16, v13
	v_cndmask_b32_e32 v8, v8, v15, vcc_lo
.LBB174_253:                            ;   in Loop: Header=BB174_162 Depth=1
	s_or_b32 exec_lo, exec_lo, s3
.LBB174_254:                            ;   in Loop: Header=BB174_162 Depth=1
	s_delay_alu instid0(SALU_CYCLE_1)
	s_or_b32 exec_lo, exec_lo, s2
.LBB174_255:                            ;   in Loop: Header=BB174_162 Depth=1
	s_and_not1_saveexec_b32 s2, s16
	s_cbranch_execz .LBB174_257
; %bb.256:                              ;   in Loop: Header=BB174_162 Depth=1
	v_div_scale_f32 v8, null, 0x402df854, 0x402df854, v2
	v_div_scale_f32 v13, null, 0x402df854, 0x402df854, v3
	v_div_scale_f32 v23, vcc_lo, v2, 0x402df854, v2
	s_delay_alu instid0(VALU_DEP_3) | instskip(NEXT) | instid1(VALU_DEP_2)
	v_rcp_f32_e32 v14, v8
	v_rcp_f32_e32 v15, v13
	v_cmp_class_f32_e64 s3, v3, 0x204
	s_delay_alu instid0(TRANS32_DEP_2) | instskip(NEXT) | instid1(TRANS32_DEP_1)
	v_fma_f32 v16, -v8, v14, 1.0
	v_fma_f32 v17, -v13, v15, 1.0
	s_delay_alu instid0(VALU_DEP_1) | instskip(SKIP_1) | instid1(VALU_DEP_1)
	v_dual_fmac_f32 v14, v16, v14 :: v_dual_fmac_f32 v15, v17, v15
	v_div_scale_f32 v16, s1, v3, 0x402df854, v3
	v_dual_mul_f32 v17, v23, v14 :: v_dual_mul_f32 v26, v16, v15
	s_delay_alu instid0(VALU_DEP_1) | instskip(NEXT) | instid1(VALU_DEP_1)
	v_dual_fma_f32 v27, -v8, v17, v23 :: v_dual_fma_f32 v28, -v13, v26, v16
	v_dual_fmac_f32 v17, v27, v14 :: v_dual_fmac_f32 v26, v28, v15
	s_delay_alu instid0(VALU_DEP_1) | instskip(NEXT) | instid1(VALU_DEP_1)
	v_dual_fma_f32 v8, -v8, v17, v23 :: v_dual_fma_f32 v13, -v13, v26, v16
	v_div_fmas_f32 v8, v8, v14, v17
	s_mov_b32 vcc_lo, s1
	v_max_num_f32_e64 v17, |v2|, |v2|
	s_delay_alu instid0(VALU_DEP_3) | instskip(SKIP_2) | instid1(VALU_DEP_3)
	v_div_fmas_f32 v13, v13, v15, v26
	v_cmp_class_f32_e64 s1, v2, 0x204
	v_div_fixup_f32 v8, v8, 0x402df854, v2
	v_div_fixup_f32 v13, v13, 0x402df854, v3
	s_delay_alu instid0(VALU_DEP_1) | instskip(NEXT) | instid1(VALU_DEP_1)
	v_max_num_f32_e64 v16, |v8|, |v13|
	v_cvt_f64_f32_e32 v[14:15], v16
	v_cmp_neq_f32_e32 vcc_lo, 0x7f800000, v16
	s_delay_alu instid0(VALU_DEP_2) | instskip(SKIP_1) | instid1(VALU_DEP_1)
	v_frexp_exp_i32_f64_e32 v14, v[14:15]
	v_max_num_f32_e64 v15, |v3|, |v3|
	v_dual_max_num_f32 v23, v17, v15 :: v_dual_min_num_f32 v15, v17, v15
	s_delay_alu instid0(VALU_DEP_1) | instskip(SKIP_1) | instid1(VALU_DEP_2)
	v_frexp_mant_f32_e32 v26, v23
	v_frexp_exp_i32_f32_e32 v17, v23
	v_rcp_f32_e32 v23, v26
	v_nop
	v_frexp_exp_i32_f32_e32 v26, v15
	v_frexp_mant_f32_e32 v15, v15
	s_delay_alu instid0(TRANS32_DEP_1) | instid1(VALU_DEP_1)
	v_dual_sub_nc_u32 v17, v26, v17 :: v_dual_mul_f32 v15, v15, v23
	s_delay_alu instid0(VALU_DEP_1) | instskip(NEXT) | instid1(VALU_DEP_1)
	v_ldexp_f32 v15, v15, v17
	v_dual_sub_nc_u32 v23, 0, v14 :: v_dual_mul_f32 v17, v15, v15
	s_delay_alu instid0(VALU_DEP_1) | instskip(SKIP_1) | instid1(VALU_DEP_3)
	v_ldexp_f32 v13, |v13|, v23
	v_ldexp_f32 v8, |v8|, v23
	v_fmaak_f32 v23, s11, v17, 0xbc7a590c
	s_delay_alu instid0(VALU_DEP_3) | instskip(NEXT) | instid1(VALU_DEP_1)
	v_mul_f32_e32 v13, v13, v13
	v_dual_fmac_f32 v13, v8, v8 :: v_dual_fmaak_f32 v8, v17, v23, 0x3d29fb3f
	s_delay_alu instid0(VALU_DEP_1) | instskip(NEXT) | instid1(VALU_DEP_1)
	v_sqrt_f32_e32 v13, v13
	v_fmaak_f32 v8, v17, v8, 0xbd97d4d7
	s_delay_alu instid0(VALU_DEP_1) | instskip(NEXT) | instid1(TRANS32_DEP_1)
	v_fmaak_f32 v8, v17, v8, 0x3dd931b2
	v_ldexp_f32 v13, v13, v14
	s_delay_alu instid0(VALU_DEP_2) | instskip(NEXT) | instid1(VALU_DEP_2)
	v_fmaak_f32 v8, v17, v8, 0xbe1160e6
	v_cndmask_b32_e32 v13, 0x7f800000, v13, vcc_lo
	s_delay_alu instid0(VALU_DEP_2) | instskip(NEXT) | instid1(VALU_DEP_2)
	v_fmaak_f32 v8, v17, v8, 0x3e4cb8bf
	v_cmp_gt_f32_e32 vcc_lo, 0x800000, v13
	s_delay_alu instid0(VALU_DEP_2) | instskip(SKIP_1) | instid1(VALU_DEP_2)
	v_fmaak_f32 v8, v17, v8, 0xbeaaaa62
	v_cndmask_b32_e64 v14, 0, 32, vcc_lo
	v_mul_f32_e32 v8, v17, v8
	s_delay_alu instid0(VALU_DEP_2) | instskip(SKIP_1) | instid1(VALU_DEP_3)
	v_ldexp_f32 v13, v13, v14
	v_cndmask_b32_e64 v17, 0, 0x41b17218, vcc_lo
	v_fmac_f32_e32 v15, v15, v8
	s_delay_alu instid0(VALU_DEP_3) | instskip(SKIP_1) | instid1(TRANS32_DEP_1)
	v_log_f32_e32 v13, v13
	v_nop
	v_mul_f32_e32 v14, 0x3f317217, v13
	v_cmp_gt_f32_e64 vcc_lo, 0x7f800000, |v13|
	s_delay_alu instid0(VALU_DEP_2) | instskip(SKIP_1) | instid1(VALU_DEP_2)
	v_fma_f32 v8, 0x3f317217, v13, -v14
	v_sub_f32_e32 v14, 0x3fc90fdb, v15
	v_fmac_f32_e32 v8, 0x3377d1cf, v13
	s_delay_alu instid0(VALU_DEP_1) | instskip(NEXT) | instid1(VALU_DEP_3)
	v_fmac_f32_e32 v8, 0x3f317217, v13
	v_cndmask_b32_e64 v14, v15, v14, s0
	v_cmp_gt_i32_e64 s0, 0, v2
	s_delay_alu instid0(VALU_DEP_3) | instskip(NEXT) | instid1(VALU_DEP_3)
	v_cndmask_b32_e32 v8, v13, v8, vcc_lo
	v_sub_f32_e32 v16, 0x40490fdb, v14
	s_delay_alu instid0(VALU_DEP_3) | instskip(SKIP_2) | instid1(VALU_DEP_2)
	v_cndmask_b32_e64 v15, 0, 0x40490fdb, s0
	v_cmp_gt_f32_e64 s0, 0, v2
	v_cmp_eq_f32_e32 vcc_lo, 0, v3
	v_dual_sub_f32 v8, v8, v17 :: v_dual_cndmask_b32 v13, v14, v16, s0
	v_cndmask_b32_e64 v16, 0x3f490fdb, v30, s0
	s_delay_alu instid0(VALU_DEP_2) | instskip(SKIP_1) | instid1(VALU_DEP_1)
	v_dual_add_f32 v14, 1.0, v8 :: v_dual_cndmask_b32 v13, v13, v15
	s_and_b32 vcc_lo, s1, s3
	v_cndmask_b32_e32 v8, v13, v16, vcc_lo
.LBB174_257:                            ;   in Loop: Header=BB174_162 Depth=1
	s_or_b32 exec_lo, exec_lo, s2
.LBB174_258:                            ;   in Loop: Header=BB174_162 Depth=1
	s_and_not1_saveexec_b32 s0, s13
	s_cbranch_execz .LBB174_264
; %bb.259:                              ;   in Loop: Header=BB174_162 Depth=1
	v_cmp_ngt_f32_e64 s1, 0x20000000, |v2|
	v_cmp_ngt_f32_e64 s2, 0x20000000, |v3|
                                        ; implicit-def: $vgpr8
	s_or_b32 s1, s1, s2
	s_delay_alu instid0(SALU_CYCLE_1) | instskip(NEXT) | instid1(SALU_CYCLE_1)
	s_and_saveexec_b32 s2, s1
	s_xor_b32 s1, exec_lo, s2
; %bb.260:                              ;   in Loop: Header=BB174_162 Depth=1
	v_pk_mul_f32 v[14:15], v[2:3], v[2:3]
	s_delay_alu instid0(VALU_DEP_1)
	v_add_f32_e32 v8, v14, v15
; %bb.261:                              ;   in Loop: Header=BB174_162 Depth=1
	s_and_not1_saveexec_b32 s1, s1
; %bb.262:                              ;   in Loop: Header=BB174_162 Depth=1
	v_pk_mul_f32 v[14:15], v[2:3], 4.0 op_sel_hi:[1,0]
	s_delay_alu instid0(VALU_DEP_1) | instskip(NEXT) | instid1(VALU_DEP_1)
	v_pk_mul_f32 v[14:15], v[14:15], v[14:15]
	v_add_f32_e32 v2, v14, v15
	s_delay_alu instid0(VALU_DEP_1)
	v_mul_f32_e32 v8, 0x3d800000, v2
; %bb.263:                              ;   in Loop: Header=BB174_162 Depth=1
	s_or_b32 exec_lo, exec_lo, s1
	s_delay_alu instid0(VALU_DEP_1) | instskip(SKIP_2) | instid1(VALU_DEP_2)
	v_cmp_gt_f32_e32 vcc_lo, 0x800000, v8
	v_cndmask_b32_e64 v2, 0, 32, vcc_lo
	v_cndmask_b32_e64 v13, 0, 0x41b17218, vcc_lo
	v_ldexp_f32 v2, v8, v2
	s_delay_alu instid0(VALU_DEP_1) | instskip(SKIP_1) | instid1(TRANS32_DEP_1)
	v_log_f32_e32 v2, v2
	v_nop
	v_mul_f32_e32 v8, 0x3f317217, v2
	v_cmp_gt_f32_e64 vcc_lo, 0x7f800000, |v2|
	s_delay_alu instid0(VALU_DEP_2) | instskip(NEXT) | instid1(VALU_DEP_1)
	v_fma_f32 v8, 0x3f317217, v2, -v8
	v_fmac_f32_e32 v8, 0x3377d1cf, v2
	s_delay_alu instid0(VALU_DEP_1) | instskip(NEXT) | instid1(VALU_DEP_1)
	v_fmac_f32_e32 v8, 0x3f317217, v2
	v_cndmask_b32_e32 v2, v2, v8, vcc_lo
	v_mov_b32_e32 v8, 0x7fc00000
	s_delay_alu instid0(VALU_DEP_2)
	v_sub_f32_e32 v14, v2, v13
.LBB174_264:                            ;   in Loop: Header=BB174_162 Depth=1
	s_or_b32 exec_lo, exec_lo, s0
                                        ; implicit-def: $vgpr2
	s_delay_alu instid0(SALU_CYCLE_1)
	s_mov_b32 s0, exec_lo
	v_cmpx_o_f32_e32 v5, v4
	s_xor_b32 s13, exec_lo, s0
	s_cbranch_execz .LBB174_292
; %bb.265:                              ;   in Loop: Header=BB174_162 Depth=1
	v_cmp_lt_f32_e64 s0, |v4|, |v5|
                                        ; implicit-def: $vgpr2
	s_mov_b32 s2, exec_lo
	v_cndmask_b32_e64 v13, v5, v4, s0
	s_delay_alu instid0(VALU_DEP_1)
	v_cmpx_nlt_f32_e64 0x77f684df, |v13|
	s_xor_b32 s16, exec_lo, s2
	s_cbranch_execz .LBB174_289
; %bb.266:                              ;   in Loop: Header=BB174_162 Depth=1
	v_cndmask_b32_e64 v2, v4, v5, s0
	v_and_b32_e32 v26, 0x7fffffff, v13
	s_mov_b32 s1, exec_lo
	s_delay_alu instid0(VALU_DEP_2) | instskip(NEXT) | instid1(VALU_DEP_1)
	v_and_b32_e32 v27, 0x7fffffff, v2
                                        ; implicit-def: $vgpr2
	v_cmpx_neq_f32_e32 1.0, v27
	s_xor_b32 s17, exec_lo, s1
	s_cbranch_execz .LBB174_282
; %bb.267:                              ;   in Loop: Header=BB174_162 Depth=1
	v_dual_max_num_f32 v2, v26, v26 :: v_dual_max_num_f32 v13, v27, v27
	s_delay_alu instid0(VALU_DEP_1) | instskip(NEXT) | instid1(VALU_DEP_1)
	v_dual_min_num_f32 v15, v13, v2 :: v_dual_max_num_f32 v2, v13, v2
	v_cmp_ngt_f32_e32 vcc_lo, 0x358637bd, v15
	s_delay_alu instid0(VALU_DEP_2) | instskip(SKIP_1) | instid1(SALU_CYCLE_1)
	v_cmp_nlt_f32_e64 s1, 0x49742400, v2
                                        ; implicit-def: $vgpr2
	s_and_b32 s1, s1, vcc_lo
	s_and_saveexec_b32 s2, s1
	s_delay_alu instid0(SALU_CYCLE_1)
	s_xor_b32 s18, exec_lo, s2
	s_cbranch_execz .LBB174_279
; %bb.268:                              ;   in Loop: Header=BB174_162 Depth=1
                                        ; implicit-def: $vgpr2
	s_mov_b32 s1, exec_lo
	v_cmpx_le_f32_e32 1.0, v27
	s_xor_b32 s2, exec_lo, s1
	s_cbranch_execz .LBB174_270
; %bb.269:                              ;   in Loop: Header=BB174_162 Depth=1
	v_pk_add_f32 v[16:17], v[26:27], v[20:21] op_sel:[1,0]
	v_mov_b32_e32 v28, v26
	v_cmp_class_f32_e64 s3, v4, 0x204
	s_delay_alu instid0(VALU_DEP_3) | instskip(SKIP_1) | instid1(VALU_DEP_1)
	v_dual_mov_b32 v27, v16 :: v_dual_mov_b32 v29, v17
	v_mul_f32_e32 v2, v16, v17
	v_pk_fma_f32 v[16:17], v[26:27], v[28:29], v[2:3] op_sel_hi:[1,1,0]
	s_delay_alu instid0(VALU_DEP_1) | instskip(SKIP_1) | instid1(VALU_DEP_2)
	v_add_f32_e32 v27, 1.0, v16
	v_cmp_neq_f32_e64 s1, -1.0, v16
	v_add_f32_e32 v17, -1.0, v27
	s_delay_alu instid0(VALU_DEP_1) | instskip(SKIP_2) | instid1(VALU_DEP_1)
	v_mov_b32_e32 v26, v17
	v_cvt_f64_f32_e32 v[28:29], v27
	v_frexp_mant_f32_e32 v13, v27
	v_cmp_gt_f32_e32 vcc_lo, 0x3f2aaaab, v13
	s_delay_alu instid0(VALU_DEP_3) | instskip(NEXT) | instid1(VALU_DEP_1)
	v_frexp_exp_i32_f64_e32 v2, v[28:29]
	v_subrev_co_ci_u32_e64 v2, null, 0, v2, vcc_lo
	v_cmp_neq_f32_e32 vcc_lo, 0x7f800000, v16
	s_delay_alu instid0(VALU_DEP_2) | instskip(SKIP_1) | instid1(VALU_DEP_2)
	v_sub_nc_u32_e32 v13, 0, v2
	v_pk_add_f32 v[28:29], v[16:17], v[26:27] neg_lo:[0,1] neg_hi:[0,1]
	v_ldexp_f32 v15, v27, v13
	s_delay_alu instid0(VALU_DEP_1) | instskip(NEXT) | instid1(VALU_DEP_1)
	v_dual_add_f32 v17, 1.0, v29 :: v_dual_add_f32 v23, 1.0, v15
	v_dual_add_f32 v17, v28, v17 :: v_dual_add_f32 v26, -1.0, v23
	v_add_f32_e32 v31, -1.0, v15
	s_delay_alu instid0(VALU_DEP_2) | instskip(NEXT) | instid1(VALU_DEP_2)
	v_ldexp_f32 v13, v17, v13
	v_dual_sub_f32 v17, v15, v26 :: v_dual_add_f32 v26, 1.0, v31
	s_delay_alu instid0(VALU_DEP_1) | instskip(NEXT) | instid1(VALU_DEP_1)
	v_add_f32_e32 v17, v13, v17
	v_add_f32_e32 v34, v23, v17
	s_delay_alu instid0(VALU_DEP_1) | instskip(NEXT) | instid1(VALU_DEP_1)
	v_dual_sub_f32 v15, v15, v26 :: v_dual_sub_f32 v23, v34, v23
	v_add_f32_e32 v13, v13, v15
	v_rcp_f32_e32 v15, v34
	s_delay_alu instid0(VALU_DEP_1)
	v_add_f32_e32 v27, v31, v13
	s_delay_alu instid0(TRANS32_DEP_1) | instid1(VALU_DEP_1)
	v_mul_f32_e32 v35, v27, v15
	s_delay_alu instid0(VALU_DEP_1) | instskip(SKIP_2) | instid1(VALU_DEP_1)
	v_mul_f32_e32 v28, v34, v35
	v_sub_f32_e32 v17, v17, v23
	v_sub_f32_e32 v23, v27, v31
	v_dual_fma_f32 v32, v35, v34, -v28 :: v_dual_sub_f32 v13, v13, v23
	s_delay_alu instid0(VALU_DEP_1) | instskip(NEXT) | instid1(VALU_DEP_1)
	v_fmac_f32_e32 v32, v35, v17
	v_add_f32_e32 v26, v28, v32
	s_delay_alu instid0(VALU_DEP_1) | instskip(NEXT) | instid1(VALU_DEP_1)
	v_dual_sub_f32 v29, v27, v26 :: v_dual_mov_b32 v33, v26
	v_pk_add_f32 v[26:27], v[26:27], v[28:29] neg_lo:[0,1] neg_hi:[0,1]
	s_delay_alu instid0(VALU_DEP_1) | instskip(NEXT) | instid1(VALU_DEP_1)
	v_pk_add_f32 v[26:27], v[26:27], v[32:33] neg_lo:[0,1] neg_hi:[0,1]
	v_add_f32_e32 v13, v13, v27
	s_delay_alu instid0(VALU_DEP_1) | instskip(NEXT) | instid1(VALU_DEP_1)
	v_add_f32_e32 v13, v26, v13
	v_add_f32_e32 v27, v29, v13
	s_delay_alu instid0(VALU_DEP_1) | instskip(NEXT) | instid1(VALU_DEP_1)
	v_mul_f32_e32 v23, v15, v27
	v_mul_f32_e32 v32, v34, v23
	s_delay_alu instid0(VALU_DEP_1) | instskip(NEXT) | instid1(VALU_DEP_1)
	v_fma_f32 v28, v23, v34, -v32
	v_fmac_f32_e32 v28, v23, v17
	s_delay_alu instid0(VALU_DEP_1) | instskip(NEXT) | instid1(VALU_DEP_1)
	v_dual_add_f32 v26, v32, v28 :: v_dual_sub_f32 v17, v29, v27
	v_dual_sub_f32 v33, v27, v26 :: v_dual_mov_b32 v29, v26
	s_delay_alu instid0(VALU_DEP_2) | instskip(NEXT) | instid1(VALU_DEP_2)
	v_dual_add_f32 v13, v13, v17 :: v_dual_add_f32 v17, v35, v23
	v_pk_add_f32 v[26:27], v[26:27], v[32:33] neg_lo:[0,1] neg_hi:[0,1]
	s_delay_alu instid0(VALU_DEP_1) | instskip(NEXT) | instid1(VALU_DEP_1)
	v_pk_add_f32 v[26:27], v[26:27], v[28:29] neg_lo:[0,1] neg_hi:[0,1]
	v_add_f32_e32 v13, v13, v27
	s_delay_alu instid0(VALU_DEP_1) | instskip(NEXT) | instid1(VALU_DEP_1)
	v_dual_add_f32 v13, v26, v13 :: v_dual_sub_f32 v26, v17, v35
	v_dual_add_f32 v13, v33, v13 :: v_dual_sub_f32 v23, v23, v26
	v_cvt_f32_i32_e32 v26, v2
	s_delay_alu instid0(VALU_DEP_2) | instskip(NEXT) | instid1(VALU_DEP_1)
	v_mul_f32_e32 v13, v15, v13
	v_add_f32_e32 v13, v23, v13
	s_delay_alu instid0(VALU_DEP_1) | instskip(NEXT) | instid1(VALU_DEP_1)
	v_add_f32_e32 v15, v17, v13
	v_mul_f32_e32 v23, v15, v15
	s_delay_alu instid0(VALU_DEP_1) | instskip(NEXT) | instid1(VALU_DEP_1)
	v_dual_fmaak_f32 v28, s10, v23, 0x3ecc95a3 :: v_dual_mul_f32 v27, v15, v23
	v_fmaak_f32 v23, v23, v28, 0x3f2aaada
	s_delay_alu instid0(VALU_DEP_1) | instskip(NEXT) | instid1(VALU_DEP_1)
	v_pk_mul_f32 v[28:29], v[26:27], v[22:23]
	v_fma_f32 v32, 0x3f317218, v26, -v28
	v_mov_b32_e32 v34, v28
	v_ldexp_f32 v33, v15, 1
	v_sub_f32_e32 v2, v15, v17
	s_delay_alu instid0(VALU_DEP_4) | instskip(NEXT) | instid1(VALU_DEP_2)
	v_fmac_f32_e32 v32, 0xb102e308, v26
	v_sub_f32_e32 v2, v13, v2
	s_delay_alu instid0(VALU_DEP_2) | instskip(NEXT) | instid1(VALU_DEP_2)
	v_pk_add_f32 v[26:27], v[28:29], v[32:33]
	v_ldexp_f32 v2, v2, 1
	s_delay_alu instid0(VALU_DEP_2) | instskip(NEXT) | instid1(VALU_DEP_1)
	v_dual_sub_f32 v13, v27, v33 :: v_dual_mov_b32 v33, v26
	v_sub_f32_e32 v13, v29, v13
	v_pk_add_f32 v[28:29], v[26:27], v[28:29] neg_lo:[0,1] neg_hi:[0,1]
	s_delay_alu instid0(VALU_DEP_2) | instskip(SKIP_2) | instid1(VALU_DEP_3)
	v_add_f32_e32 v35, v2, v13
	v_max_num_f32_e64 v2, |v5|, |v5|
	v_max_num_f32_e64 v13, |v4|, |v4|
	v_pk_add_f32 v[36:37], v[26:27], v[34:35]
	s_delay_alu instid0(VALU_DEP_2) | instskip(NEXT) | instid1(VALU_DEP_2)
	v_dual_max_num_f32 v15, v13, v2 :: v_dual_min_num_f32 v13, v13, v2
	v_mov_b32_e32 v29, v37
	s_delay_alu instid0(VALU_DEP_2) | instskip(SKIP_1) | instid1(VALU_DEP_4)
	v_frexp_exp_i32_f32_e32 v17, v15
	v_frexp_mant_f32_e32 v15, v15
	v_frexp_exp_i32_f32_e32 v23, v13
	s_delay_alu instid0(VALU_DEP_4)
	v_pk_add_f32 v[38:39], v[32:33], v[28:29]
	v_frexp_mant_f32_e32 v31, v13
	v_mov_b32_e32 v38, v37
	v_rcp_f32_e32 v15, v15
	v_sub_nc_u32_e32 v17, v23, v17
	v_mov_b32_e32 v2, v39
	v_pk_add_f32 v[28:29], v[32:33], v[28:29] neg_lo:[0,1] neg_hi:[0,1]
	s_delay_alu instid0(VALU_DEP_2) | instskip(SKIP_2) | instid1(VALU_DEP_3)
	v_pk_add_f32 v[40:41], v[2:3], v[26:27] neg_lo:[0,1] neg_hi:[0,1]
	v_dual_mov_b32 v42, v27 :: v_dual_mov_b32 v27, v26
	v_mov_b32_e32 v26, v35
	v_dual_mul_f32 v15, v31, v15 :: v_dual_mov_b32 v13, v40
	v_mov_b32_e32 v43, v40
	s_delay_alu instid0(VALU_DEP_2) | instskip(NEXT) | instid1(VALU_DEP_2)
	v_pk_add_f32 v[34:35], v[36:37], v[12:13] neg_lo:[0,1] neg_hi:[0,1]
	v_pk_add_f32 v[32:33], v[38:39], v[42:43] neg_lo:[0,1] neg_hi:[0,1]
	s_delay_alu instid0(VALU_DEP_4) | instskip(SKIP_1) | instid1(VALU_DEP_3)
	v_ldexp_f32 v13, v15, v17
	v_mov_b32_e32 v34, v28
	v_pk_add_f32 v[26:27], v[26:27], v[32:33] neg_lo:[0,1] neg_hi:[0,1]
	s_delay_alu instid0(VALU_DEP_3) | instskip(NEXT) | instid1(VALU_DEP_2)
	v_mul_f32_e32 v15, v13, v13
	v_pk_add_f32 v[32:33], v[34:35], v[26:27]
	s_delay_alu instid0(VALU_DEP_1) | instskip(NEXT) | instid1(VALU_DEP_1)
	v_dual_fmaak_f32 v17, s11, v15, 0xbc7a590c :: v_dual_mov_b32 v34, v33
	v_fmaak_f32 v17, v15, v17, 0x3d29fb3f
	s_delay_alu instid0(VALU_DEP_2) | instskip(NEXT) | instid1(VALU_DEP_1)
	v_pk_add_f32 v[34:35], v[32:33], v[34:35]
	v_dual_mov_b32 v29, v39 :: v_dual_mov_b32 v27, v34
	s_delay_alu instid0(VALU_DEP_2) | instskip(NEXT) | instid1(VALU_DEP_1)
	v_pk_add_f32 v[36:37], v[2:3], v[34:35]
	v_dual_fmaak_f32 v2, v15, v17, 0xbd97d4d7 :: v_dual_mov_b32 v33, v36
	s_delay_alu instid0(VALU_DEP_1) | instskip(NEXT) | instid1(VALU_DEP_1)
	v_pk_add_f32 v[38:39], v[32:33], v[28:29] neg_lo:[0,1] neg_hi:[0,1]
	v_sub_f32_e32 v17, v32, v38
	s_delay_alu instid0(VALU_DEP_3) | instskip(NEXT) | instid1(VALU_DEP_3)
	v_fmaak_f32 v2, v15, v2, 0x3dd931b2
	v_pk_add_f32 v[26:27], v[26:27], v[38:39] neg_lo:[0,1] neg_hi:[0,1]
	s_delay_alu instid0(VALU_DEP_2) | instskip(NEXT) | instid1(VALU_DEP_1)
	v_dual_sub_f32 v17, v28, v17 :: v_dual_fmaak_f32 v2, v15, v2, 0xbe1160e6
	v_dual_add_f32 v17, v26, v17 :: v_dual_fmaak_f32 v2, v15, v2, 0x3e4cb8bf
	s_delay_alu instid0(VALU_DEP_1) | instskip(NEXT) | instid1(VALU_DEP_1)
	v_fmaak_f32 v2, v15, v2, 0xbeaaaa62
	v_dual_mul_f32 v2, v15, v2 :: v_dual_add_f32 v15, v17, v27
                                        ; implicit-def: $vgpr26_vgpr27
	s_delay_alu instid0(VALU_DEP_1) | instskip(NEXT) | instid1(VALU_DEP_1)
	v_dual_fmac_f32 v13, v13, v2 :: v_dual_add_f32 v2, v36, v15
	v_sub_f32_e32 v15, 0x3fc90fdb, v13
	s_delay_alu instid0(VALU_DEP_2) | instskip(SKIP_1) | instid1(VALU_DEP_3)
	v_cndmask_b32_e32 v2, 0x7f800000, v2, vcc_lo
	v_cmp_gt_i32_e32 vcc_lo, 0, v4
	v_cndmask_b32_e64 v13, v13, v15, s0
	v_cndmask_b32_e64 v15, 0, 0x40490fdb, vcc_lo
	v_cmp_ngt_f32_e32 vcc_lo, -1.0, v16
	s_delay_alu instid0(VALU_DEP_3) | instskip(SKIP_2) | instid1(VALU_DEP_2)
	v_sub_f32_e32 v17, 0x40490fdb, v13
	v_cndmask_b32_e32 v2, 0x7fc00000, v2, vcc_lo
	v_cmp_gt_f32_e32 vcc_lo, 0, v4
	v_cndmask_b32_e64 v2, 0xff800000, v2, s1
	s_delay_alu instid0(VALU_DEP_4)
	v_cndmask_b32_e32 v13, v13, v17, vcc_lo
	v_cndmask_b32_e32 v17, 0x3f490fdb, v30, vcc_lo
	v_cmp_gt_f32_e64 vcc_lo, 0x33800000, |v16|
	v_cmp_class_f32_e64 s1, v5, 0x204
	v_cndmask_b32_e32 v2, v2, v16, vcc_lo
	v_cmp_eq_f32_e32 vcc_lo, 0, v5
	s_delay_alu instid0(VALU_DEP_2) | instskip(SKIP_1) | instid1(VALU_DEP_1)
	v_dual_mul_f32 v16, 0.5, v2 :: v_dual_cndmask_b32 v13, v13, v15
	s_and_b32 vcc_lo, s3, s1
	v_cndmask_b32_e32 v2, v13, v17, vcc_lo
.LBB174_270:                            ;   in Loop: Header=BB174_162 Depth=1
	s_and_not1_saveexec_b32 s19, s2
	s_cbranch_execz .LBB174_278
; %bb.271:                              ;   in Loop: Header=BB174_162 Depth=1
	v_pk_mul_f32 v[16:17], v[26:27], v[26:27]
                                        ; implicit-def: $vgpr2
	s_mov_b32 s1, exec_lo
	s_delay_alu instid0(VALU_DEP_1) | instskip(NEXT) | instid1(VALU_DEP_1)
	v_add_f32_e32 v13, v17, v16
	v_cmpx_ge_f32_e32 0x3f333333, v13
	s_xor_b32 s2, exec_lo, s1
	s_cbranch_execz .LBB174_273
; %bb.272:                              ;   in Loop: Header=BB174_162 Depth=1
	v_max_num_f32_e64 v2, |v5|, |v5|
	v_max_num_f32_e64 v15, |v4|, |v4|
	v_cmp_gt_f32_e32 vcc_lo, 0x800000, v13
	v_cmp_gt_i32_e64 s1, 0, v4
	v_cmp_class_f32_e64 s3, v4, 0x204
	v_cmp_class_f32_e64 s4, v5, 0x204
	v_dual_max_num_f32 v16, v15, v2 :: v_dual_min_num_f32 v2, v15, v2
	v_cndmask_b32_e64 v23, 0, 0x41b17218, vcc_lo
                                        ; implicit-def: $vgpr26
	s_delay_alu instid0(VALU_DEP_2) | instskip(SKIP_1) | instid1(VALU_DEP_2)
	v_frexp_mant_f32_e32 v17, v16
	v_frexp_exp_i32_f32_e32 v15, v16
	v_rcp_f32_e32 v16, v17
	v_nop
	v_frexp_exp_i32_f32_e32 v17, v2
	v_frexp_mant_f32_e32 v2, v2
	s_delay_alu instid0(TRANS32_DEP_1) | instid1(VALU_DEP_1)
	v_dual_mul_f32 v2, v2, v16 :: v_dual_sub_nc_u32 v15, v17, v15
	v_cndmask_b32_e64 v17, 0, 32, vcc_lo
	s_delay_alu instid0(VALU_DEP_2) | instskip(NEXT) | instid1(VALU_DEP_2)
	v_ldexp_f32 v2, v2, v15
	v_ldexp_f32 v13, v13, v17
	s_delay_alu instid0(VALU_DEP_1) | instskip(NEXT) | instid1(VALU_DEP_2)
	v_log_f32_e32 v13, v13
	v_mul_f32_e32 v15, v2, v2
	s_delay_alu instid0(VALU_DEP_1) | instskip(NEXT) | instid1(TRANS32_DEP_1)
	v_fmaak_f32 v16, s11, v15, 0xbc7a590c
	v_cmp_gt_f32_e64 vcc_lo, 0x7f800000, |v13|
	s_delay_alu instid0(VALU_DEP_2) | instskip(NEXT) | instid1(VALU_DEP_1)
	v_fmaak_f32 v16, v15, v16, 0x3d29fb3f
	v_fmaak_f32 v16, v15, v16, 0xbd97d4d7
	s_delay_alu instid0(VALU_DEP_1) | instskip(NEXT) | instid1(VALU_DEP_1)
	v_fmaak_f32 v16, v15, v16, 0x3dd931b2
	v_fmaak_f32 v16, v15, v16, 0xbe1160e6
	s_delay_alu instid0(VALU_DEP_1) | instskip(NEXT) | instid1(VALU_DEP_1)
	;; [unrolled: 3-line block ×3, first 2 shown]
	v_dual_mul_f32 v15, v15, v16 :: v_dual_mul_f32 v16, 0x3f317217, v13
	v_fmac_f32_e32 v2, v2, v15
	s_delay_alu instid0(VALU_DEP_2) | instskip(NEXT) | instid1(VALU_DEP_1)
	v_fma_f32 v15, 0x3f317217, v13, -v16
	v_fmac_f32_e32 v15, 0x3377d1cf, v13
	s_delay_alu instid0(VALU_DEP_3) | instskip(NEXT) | instid1(VALU_DEP_2)
	v_sub_f32_e32 v16, 0x3fc90fdb, v2
	v_fmac_f32_e32 v15, 0x3f317217, v13
	s_delay_alu instid0(VALU_DEP_1) | instskip(SKIP_1) | instid1(VALU_DEP_2)
	v_cndmask_b32_e32 v13, v13, v15, vcc_lo
	v_cmp_gt_f32_e32 vcc_lo, 0, v4
	v_dual_sub_f32 v13, v13, v23 :: v_dual_cndmask_b32 v2, v2, v16, s0
	v_cndmask_b32_e32 v15, 0x3f490fdb, v30, vcc_lo
	v_cndmask_b32_e64 v16, 0, 0x40490fdb, s1
	v_cmp_eq_f32_e64 s1, 0, v5
	s_delay_alu instid0(VALU_DEP_4) | instskip(NEXT) | instid1(VALU_DEP_1)
	v_sub_f32_e32 v17, 0x40490fdb, v2
	v_cndmask_b32_e32 v2, v2, v17, vcc_lo
	s_and_b32 vcc_lo, s3, s4
	s_delay_alu instid0(VALU_DEP_1) | instskip(NEXT) | instid1(VALU_DEP_1)
	v_dual_cndmask_b32 v2, v2, v16, s1 :: v_dual_mul_f32 v16, 0.5, v13
	v_cndmask_b32_e32 v2, v2, v15, vcc_lo
.LBB174_273:                            ;   in Loop: Header=BB174_162 Depth=1
	s_and_not1_saveexec_b32 s20, s2
	s_cbranch_execz .LBB174_277
; %bb.274:                              ;   in Loop: Header=BB174_162 Depth=1
	v_and_b32_e32 v17, 0x7fff0000, v26
	v_and_b32_e32 v16, 0x7fff0000, v27
	s_mov_b32 s21, 0
	s_delay_alu instid0(VALU_DEP_1) | instskip(SKIP_2) | instid1(VALU_DEP_2)
	v_dual_add_f32 v31, v17, v17 :: v_dual_add_f32 v13, v16, v16
	v_pk_add_f32 v[26:27], v[26:27], v[16:17] op_sel:[1,0] op_sel_hi:[0,1] neg_lo:[0,1] neg_hi:[0,1]
	v_pk_mul_f32 v[16:17], v[16:17], v[16:17]
	v_and_b32_e32 v29, 0xffff0000, v27
	s_delay_alu instid0(VALU_DEP_3) | instskip(NEXT) | instid1(VALU_DEP_1)
	v_and_b32_e32 v28, 0xffff0000, v26
	v_dual_add_f32 v34, v29, v29 :: v_dual_add_f32 v33, v28, v28
	v_pk_add_f32 v[26:27], v[26:27], v[28:29] neg_lo:[0,1] neg_hi:[0,1]
	v_dual_mul_f32 v2, v13, v28 :: v_dual_mul_f32 v23, v31, v29
	v_pk_mul_f32 v[28:29], v[28:29], v[28:29]
	s_delay_alu instid0(VALU_DEP_3)
	v_dual_mul_f32 v15, v13, v26 :: v_dual_mul_f32 v32, v31, v27
	v_dual_mul_f32 v13, v33, v26 :: v_dual_mul_f32 v31, v34, v27
	v_pk_mul_f32 v[26:27], v[26:27], v[26:27]
.LBB174_275:                            ;   Parent Loop BB174_162 Depth=1
                                        ; =>  This Inner Loop Header: Depth=2
	v_cmp_nlt_f32_e32 vcc_lo, v16, v17
	v_dual_cndmask_b32 v33, v16, v17 :: v_dual_cndmask_b32 v16, v17, v16
	s_delay_alu instid0(VALU_DEP_1) | instskip(NEXT) | instid1(VALU_DEP_1)
	v_cmp_nlt_f32_e64 s1, v33, v2
	v_dual_cndmask_b32 v34, v33, v2, s1 :: v_dual_cndmask_b32 v17, v2, v33, s1
	s_and_b32 s1, vcc_lo, s1
	s_delay_alu instid0(VALU_DEP_1) | instskip(NEXT) | instid1(VALU_DEP_1)
	v_cmp_nlt_f32_e64 s2, v34, v23
	v_dual_cndmask_b32 v35, v34, v23, s2 :: v_dual_cndmask_b32 v2, v23, v34, s2
	s_delay_alu instid0(VALU_DEP_1) | instskip(NEXT) | instid1(VALU_DEP_1)
	v_cmp_nlt_f32_e64 s3, v35, v28
	v_cndmask_b32_e64 v33, v35, v28, s3
	s_and_b32 s22, s2, s3
	s_delay_alu instid0(VALU_DEP_1) | instskip(NEXT) | instid1(VALU_DEP_1)
	v_cmp_nlt_f32_e64 s4, v33, v29
	v_cndmask_b32_e64 v34, v33, v29, s4
	s_delay_alu instid0(VALU_DEP_1) | instskip(NEXT) | instid1(VALU_DEP_1)
	v_cmp_nlt_f32_e64 s5, v34, v15
	v_cndmask_b32_e64 v36, v34, v15, s5
	s_delay_alu instid0(VALU_DEP_1) | instskip(NEXT) | instid1(VALU_DEP_1)
	v_cmp_nlt_f32_e64 s6, v36, v32
	v_cndmask_b32_e64 v37, v36, v32, s6
	s_delay_alu instid0(VALU_DEP_1) | instskip(NEXT) | instid1(VALU_DEP_1)
	v_cmp_nlt_f32_e64 s7, v37, v13
	v_dual_cndmask_b32 v23, v28, v35, s3 :: v_dual_cndmask_b32 v35, v37, v13, s7
	s_delay_alu instid0(VALU_DEP_1)
	v_cmp_nlt_f32_e64 s2, v35, v31
	v_dual_cndmask_b32 v28, v29, v33, s4 :: v_dual_cndmask_b32 v29, v15, v34, s5
	v_cndmask_b32_e64 v15, v32, v36, s6
	s_and_b32 s4, s4, s5
	v_cndmask_b32_e64 v33, v35, v31, s2
	s_and_b32 s4, s4, s6
	s_delay_alu instid0(SALU_CYCLE_1) | instskip(NEXT) | instid1(VALU_DEP_1)
	s_and_b32 s5, s4, s7
	v_cmp_nlt_f32_e64 s3, v33, v26
	s_delay_alu instid0(VALU_DEP_1) | instskip(SKIP_3) | instid1(VALU_DEP_3)
	v_cndmask_b32_e64 v34, v33, v26, s3
	v_dual_cndmask_b32 v32, v13, v37, s7 :: v_dual_cndmask_b32 v13, v31, v35, s2
	s_and_b32 s2, s5, s2
	v_cndmask_b32_e64 v31, v26, v33, s3
	v_cmp_nlt_f32_e64 s4, v34, v27
	s_and_b32 s2, s2, s3
	s_delay_alu instid0(SALU_CYCLE_1) | instskip(SKIP_4) | instid1(SALU_CYCLE_1)
	s_and_b32 s2, s2, s4
	v_cndmask_b32_e64 v26, v27, v34, s4
	s_and_b32 s2, s2, s22
	v_cndmask_b32_e64 v27, v34, v27, s4
	s_and_b32 s1, s2, s1
	s_and_b32 s1, exec_lo, s1
	s_delay_alu instid0(SALU_CYCLE_1) | instskip(NEXT) | instid1(SALU_CYCLE_1)
	s_or_b32 s21, s1, s21
	s_and_not1_b32 exec_lo, exec_lo, s21
	s_cbranch_execnz .LBB174_275
; %bb.276:                              ;   in Loop: Header=BB174_162 Depth=1
	s_or_b32 exec_lo, exec_lo, s21
	v_add_f32_e32 v16, -1.0, v16
	v_cmp_class_f32_e64 s2, v4, 0x204
	s_delay_alu instid0(VALU_DEP_2) | instskip(NEXT) | instid1(VALU_DEP_1)
	v_add_f32_e32 v16, v16, v17
	v_add_f32_e32 v2, v16, v2
	s_delay_alu instid0(VALU_DEP_1) | instskip(NEXT) | instid1(VALU_DEP_1)
	v_add_f32_e32 v2, v2, v23
	v_add_f32_e32 v2, v2, v28
	s_delay_alu instid0(VALU_DEP_1) | instskip(NEXT) | instid1(VALU_DEP_1)
	;; [unrolled: 3-line block ×5, first 2 shown]
	v_add_f32_e32 v16, v27, v2
	v_add_f32_e32 v27, 1.0, v16
	s_delay_alu instid0(VALU_DEP_1) | instskip(SKIP_2) | instid1(VALU_DEP_2)
	v_cvt_f64_f32_e32 v[28:29], v27
	v_frexp_mant_f32_e32 v13, v27
	v_add_f32_e32 v17, -1.0, v27
	v_cmp_gt_f32_e32 vcc_lo, 0x3f2aaaab, v13
	s_delay_alu instid0(VALU_DEP_2) | instskip(SKIP_1) | instid1(VALU_DEP_1)
	v_mov_b32_e32 v26, v17
	v_frexp_exp_i32_f64_e32 v2, v[28:29]
	v_subrev_co_ci_u32_e64 v2, null, 0, v2, vcc_lo
	s_delay_alu instid0(VALU_DEP_1) | instskip(NEXT) | instid1(VALU_DEP_4)
	v_sub_nc_u32_e32 v13, 0, v2
	v_pk_add_f32 v[28:29], v[16:17], v[26:27] neg_lo:[0,1] neg_hi:[0,1]
	v_cmp_neq_f32_e32 vcc_lo, 0x7f800000, v16
	v_cmp_neq_f32_e64 s1, -1.0, v16
	s_delay_alu instid0(VALU_DEP_4) | instskip(NEXT) | instid1(VALU_DEP_1)
	v_ldexp_f32 v15, v27, v13
	v_dual_add_f32 v17, 1.0, v29 :: v_dual_add_f32 v23, 1.0, v15
	s_delay_alu instid0(VALU_DEP_1) | instskip(SKIP_1) | instid1(VALU_DEP_2)
	v_dual_add_f32 v17, v28, v17 :: v_dual_add_f32 v26, -1.0, v23
	v_add_f32_e32 v31, -1.0, v15
	v_ldexp_f32 v13, v17, v13
	s_delay_alu instid0(VALU_DEP_2) | instskip(NEXT) | instid1(VALU_DEP_1)
	v_dual_sub_f32 v17, v15, v26 :: v_dual_add_f32 v26, 1.0, v31
	v_add_f32_e32 v17, v13, v17
	s_delay_alu instid0(VALU_DEP_1) | instskip(NEXT) | instid1(VALU_DEP_1)
	v_add_f32_e32 v34, v23, v17
	v_dual_sub_f32 v15, v15, v26 :: v_dual_sub_f32 v23, v34, v23
	s_delay_alu instid0(VALU_DEP_1) | instskip(SKIP_1) | instid1(VALU_DEP_1)
	v_add_f32_e32 v13, v13, v15
	v_rcp_f32_e32 v15, v34
	v_add_f32_e32 v27, v31, v13
	s_delay_alu instid0(TRANS32_DEP_1) | instid1(VALU_DEP_1)
	v_mul_f32_e32 v35, v27, v15
	s_delay_alu instid0(VALU_DEP_1) | instskip(SKIP_2) | instid1(VALU_DEP_1)
	v_mul_f32_e32 v28, v34, v35
	v_sub_f32_e32 v17, v17, v23
	v_sub_f32_e32 v23, v27, v31
	v_dual_fma_f32 v32, v35, v34, -v28 :: v_dual_sub_f32 v13, v13, v23
	s_delay_alu instid0(VALU_DEP_1) | instskip(NEXT) | instid1(VALU_DEP_1)
	v_fmac_f32_e32 v32, v35, v17
	v_add_f32_e32 v26, v28, v32
	s_delay_alu instid0(VALU_DEP_1) | instskip(NEXT) | instid1(VALU_DEP_1)
	v_dual_sub_f32 v29, v27, v26 :: v_dual_mov_b32 v33, v26
	v_pk_add_f32 v[26:27], v[26:27], v[28:29] neg_lo:[0,1] neg_hi:[0,1]
	s_delay_alu instid0(VALU_DEP_1) | instskip(NEXT) | instid1(VALU_DEP_1)
	v_pk_add_f32 v[26:27], v[26:27], v[32:33] neg_lo:[0,1] neg_hi:[0,1]
	v_add_f32_e32 v13, v13, v27
	s_delay_alu instid0(VALU_DEP_1) | instskip(NEXT) | instid1(VALU_DEP_1)
	v_add_f32_e32 v13, v26, v13
	v_add_f32_e32 v27, v29, v13
	s_delay_alu instid0(VALU_DEP_1) | instskip(NEXT) | instid1(VALU_DEP_1)
	v_mul_f32_e32 v23, v15, v27
	v_mul_f32_e32 v32, v34, v23
	s_delay_alu instid0(VALU_DEP_1) | instskip(NEXT) | instid1(VALU_DEP_1)
	v_fma_f32 v28, v23, v34, -v32
	v_fmac_f32_e32 v28, v23, v17
	s_delay_alu instid0(VALU_DEP_1) | instskip(NEXT) | instid1(VALU_DEP_1)
	v_dual_add_f32 v26, v32, v28 :: v_dual_sub_f32 v17, v29, v27
	v_dual_sub_f32 v33, v27, v26 :: v_dual_mov_b32 v29, v26
	s_delay_alu instid0(VALU_DEP_2) | instskip(NEXT) | instid1(VALU_DEP_2)
	v_dual_add_f32 v13, v13, v17 :: v_dual_add_f32 v17, v35, v23
	v_pk_add_f32 v[26:27], v[26:27], v[32:33] neg_lo:[0,1] neg_hi:[0,1]
	s_delay_alu instid0(VALU_DEP_1) | instskip(NEXT) | instid1(VALU_DEP_1)
	v_pk_add_f32 v[26:27], v[26:27], v[28:29] neg_lo:[0,1] neg_hi:[0,1]
	v_add_f32_e32 v13, v13, v27
	s_delay_alu instid0(VALU_DEP_1) | instskip(NEXT) | instid1(VALU_DEP_1)
	v_dual_add_f32 v13, v26, v13 :: v_dual_sub_f32 v26, v17, v35
	v_dual_add_f32 v13, v33, v13 :: v_dual_sub_f32 v23, v23, v26
	v_cvt_f32_i32_e32 v26, v2
	s_delay_alu instid0(VALU_DEP_2) | instskip(NEXT) | instid1(VALU_DEP_1)
	v_mul_f32_e32 v13, v15, v13
	v_add_f32_e32 v13, v23, v13
	s_delay_alu instid0(VALU_DEP_1) | instskip(NEXT) | instid1(VALU_DEP_1)
	v_add_f32_e32 v15, v17, v13
	v_mul_f32_e32 v23, v15, v15
	s_delay_alu instid0(VALU_DEP_1) | instskip(NEXT) | instid1(VALU_DEP_1)
	v_dual_fmaak_f32 v28, s10, v23, 0x3ecc95a3 :: v_dual_mul_f32 v27, v15, v23
	v_fmaak_f32 v23, v23, v28, 0x3f2aaada
	s_delay_alu instid0(VALU_DEP_1) | instskip(NEXT) | instid1(VALU_DEP_1)
	v_pk_mul_f32 v[28:29], v[26:27], v[22:23]
	v_fma_f32 v32, 0x3f317218, v26, -v28
	v_mov_b32_e32 v34, v28
	v_ldexp_f32 v33, v15, 1
	v_sub_f32_e32 v2, v15, v17
	s_delay_alu instid0(VALU_DEP_4) | instskip(NEXT) | instid1(VALU_DEP_2)
	v_fmac_f32_e32 v32, 0xb102e308, v26
	v_sub_f32_e32 v2, v13, v2
	s_delay_alu instid0(VALU_DEP_2) | instskip(NEXT) | instid1(VALU_DEP_2)
	v_pk_add_f32 v[26:27], v[28:29], v[32:33]
	v_ldexp_f32 v2, v2, 1
	s_delay_alu instid0(VALU_DEP_2) | instskip(NEXT) | instid1(VALU_DEP_1)
	v_dual_sub_f32 v13, v27, v33 :: v_dual_mov_b32 v33, v26
	v_sub_f32_e32 v13, v29, v13
	v_pk_add_f32 v[28:29], v[26:27], v[28:29] neg_lo:[0,1] neg_hi:[0,1]
	s_delay_alu instid0(VALU_DEP_2) | instskip(SKIP_2) | instid1(VALU_DEP_3)
	v_add_f32_e32 v35, v2, v13
	v_max_num_f32_e64 v2, |v5|, |v5|
	v_max_num_f32_e64 v13, |v4|, |v4|
	v_pk_add_f32 v[36:37], v[26:27], v[34:35]
	s_delay_alu instid0(VALU_DEP_2) | instskip(NEXT) | instid1(VALU_DEP_2)
	v_dual_max_num_f32 v15, v13, v2 :: v_dual_min_num_f32 v13, v13, v2
	v_mov_b32_e32 v29, v37
	s_delay_alu instid0(VALU_DEP_2) | instskip(SKIP_1) | instid1(VALU_DEP_4)
	v_frexp_exp_i32_f32_e32 v17, v15
	v_frexp_mant_f32_e32 v15, v15
	v_frexp_exp_i32_f32_e32 v23, v13
	s_delay_alu instid0(VALU_DEP_4)
	v_pk_add_f32 v[38:39], v[32:33], v[28:29]
	v_frexp_mant_f32_e32 v31, v13
	v_mov_b32_e32 v38, v37
	v_rcp_f32_e32 v15, v15
	v_sub_nc_u32_e32 v17, v23, v17
	v_mov_b32_e32 v2, v39
	v_pk_add_f32 v[28:29], v[32:33], v[28:29] neg_lo:[0,1] neg_hi:[0,1]
	s_delay_alu instid0(VALU_DEP_2) | instskip(SKIP_2) | instid1(VALU_DEP_3)
	v_pk_add_f32 v[40:41], v[2:3], v[26:27] neg_lo:[0,1] neg_hi:[0,1]
	v_dual_mov_b32 v42, v27 :: v_dual_mov_b32 v27, v26
	v_mov_b32_e32 v26, v35
	v_dual_mul_f32 v15, v31, v15 :: v_dual_mov_b32 v13, v40
	v_mov_b32_e32 v43, v40
	s_delay_alu instid0(VALU_DEP_2) | instskip(NEXT) | instid1(VALU_DEP_2)
	v_pk_add_f32 v[34:35], v[36:37], v[12:13] neg_lo:[0,1] neg_hi:[0,1]
	v_pk_add_f32 v[32:33], v[38:39], v[42:43] neg_lo:[0,1] neg_hi:[0,1]
	s_delay_alu instid0(VALU_DEP_4) | instskip(SKIP_1) | instid1(VALU_DEP_3)
	v_ldexp_f32 v13, v15, v17
	v_mov_b32_e32 v34, v28
	v_pk_add_f32 v[26:27], v[26:27], v[32:33] neg_lo:[0,1] neg_hi:[0,1]
	s_delay_alu instid0(VALU_DEP_3) | instskip(NEXT) | instid1(VALU_DEP_2)
	v_mul_f32_e32 v15, v13, v13
	v_pk_add_f32 v[32:33], v[34:35], v[26:27]
	s_delay_alu instid0(VALU_DEP_1) | instskip(NEXT) | instid1(VALU_DEP_1)
	v_dual_fmaak_f32 v17, s11, v15, 0xbc7a590c :: v_dual_mov_b32 v34, v33
	v_fmaak_f32 v17, v15, v17, 0x3d29fb3f
	s_delay_alu instid0(VALU_DEP_2) | instskip(NEXT) | instid1(VALU_DEP_1)
	v_pk_add_f32 v[34:35], v[32:33], v[34:35]
	v_dual_mov_b32 v29, v39 :: v_dual_mov_b32 v27, v34
	s_delay_alu instid0(VALU_DEP_2) | instskip(NEXT) | instid1(VALU_DEP_1)
	v_pk_add_f32 v[36:37], v[2:3], v[34:35]
	v_dual_fmaak_f32 v2, v15, v17, 0xbd97d4d7 :: v_dual_mov_b32 v33, v36
	s_delay_alu instid0(VALU_DEP_1) | instskip(NEXT) | instid1(VALU_DEP_1)
	v_pk_add_f32 v[38:39], v[32:33], v[28:29] neg_lo:[0,1] neg_hi:[0,1]
	v_sub_f32_e32 v17, v32, v38
	s_delay_alu instid0(VALU_DEP_3) | instskip(NEXT) | instid1(VALU_DEP_3)
	v_fmaak_f32 v2, v15, v2, 0x3dd931b2
	v_pk_add_f32 v[26:27], v[26:27], v[38:39] neg_lo:[0,1] neg_hi:[0,1]
	s_delay_alu instid0(VALU_DEP_2) | instskip(NEXT) | instid1(VALU_DEP_1)
	v_dual_sub_f32 v17, v28, v17 :: v_dual_fmaak_f32 v2, v15, v2, 0xbe1160e6
	v_dual_add_f32 v17, v26, v17 :: v_dual_fmaak_f32 v2, v15, v2, 0x3e4cb8bf
	s_delay_alu instid0(VALU_DEP_1) | instskip(NEXT) | instid1(VALU_DEP_1)
	v_fmaak_f32 v2, v15, v2, 0xbeaaaa62
	v_dual_mul_f32 v2, v15, v2 :: v_dual_add_f32 v15, v17, v27
	s_delay_alu instid0(VALU_DEP_1) | instskip(NEXT) | instid1(VALU_DEP_1)
	v_dual_fmac_f32 v13, v13, v2 :: v_dual_add_f32 v2, v36, v15
	v_sub_f32_e32 v15, 0x3fc90fdb, v13
	s_delay_alu instid0(VALU_DEP_2) | instskip(SKIP_1) | instid1(VALU_DEP_3)
	v_cndmask_b32_e32 v2, 0x7f800000, v2, vcc_lo
	v_cmp_gt_i32_e32 vcc_lo, 0, v4
	v_cndmask_b32_e64 v13, v13, v15, s0
	v_cndmask_b32_e64 v15, 0, 0x40490fdb, vcc_lo
	v_cmp_ngt_f32_e32 vcc_lo, -1.0, v16
	s_delay_alu instid0(VALU_DEP_3) | instskip(SKIP_2) | instid1(VALU_DEP_2)
	v_sub_f32_e32 v17, 0x40490fdb, v13
	v_cndmask_b32_e32 v2, 0x7fc00000, v2, vcc_lo
	v_cmp_gt_f32_e32 vcc_lo, 0, v4
	v_cndmask_b32_e64 v2, 0xff800000, v2, s1
	s_delay_alu instid0(VALU_DEP_4)
	v_cndmask_b32_e32 v13, v13, v17, vcc_lo
	v_cndmask_b32_e32 v17, 0x3f490fdb, v30, vcc_lo
	v_cmp_gt_f32_e64 vcc_lo, 0x33800000, |v16|
	v_cmp_class_f32_e64 s1, v5, 0x204
	v_cndmask_b32_e32 v2, v2, v16, vcc_lo
	v_cmp_eq_f32_e32 vcc_lo, 0, v5
	s_delay_alu instid0(VALU_DEP_2) | instskip(SKIP_1) | instid1(VALU_DEP_1)
	v_dual_mul_f32 v16, 0.5, v2 :: v_dual_cndmask_b32 v13, v13, v15
	s_and_b32 vcc_lo, s2, s1
	v_cndmask_b32_e32 v2, v13, v17, vcc_lo
.LBB174_277:                            ;   in Loop: Header=BB174_162 Depth=1
	s_or_b32 exec_lo, exec_lo, s20
.LBB174_278:                            ;   in Loop: Header=BB174_162 Depth=1
	s_delay_alu instid0(SALU_CYCLE_1)
	s_or_b32 exec_lo, exec_lo, s19
.LBB174_279:                            ;   in Loop: Header=BB174_162 Depth=1
	s_and_not1_saveexec_b32 s2, s18
	s_cbranch_execz .LBB174_281
; %bb.280:                              ;   in Loop: Header=BB174_162 Depth=1
	v_max_num_f32_e64 v2, |v5|, |v5|
	v_max_num_f32_e64 v13, |v4|, |v4|
	v_cmp_gt_i32_e64 s1, 0, v4
	v_cmp_class_f32_e64 s3, v4, 0x204
	v_cmp_class_f32_e64 s4, v5, 0x204
	s_delay_alu instid0(VALU_DEP_4) | instskip(NEXT) | instid1(VALU_DEP_1)
	v_dual_max_num_f32 v15, v13, v2 :: v_dual_min_num_f32 v2, v13, v2
	v_cvt_f64_f32_e32 v[16:17], v15
	v_frexp_exp_i32_f32_e32 v13, v15
	s_delay_alu instid0(VALU_DEP_3) | instskip(SKIP_2) | instid1(VALU_DEP_3)
	v_frexp_exp_i32_f32_e32 v23, v2
	v_frexp_mant_f32_e32 v2, v2
	v_cmp_neq_f32_e32 vcc_lo, 0x7f800000, v15
	v_sub_nc_u32_e32 v13, v23, v13
	v_frexp_exp_i32_f64_e32 v16, v[16:17]
	v_frexp_mant_f32_e32 v17, v15
	s_delay_alu instid0(VALU_DEP_1) | instskip(SKIP_1) | instid1(TRANS32_DEP_1)
	v_rcp_f32_e32 v17, v17
	v_nop
	v_mul_f32_e32 v2, v2, v17
	s_delay_alu instid0(VALU_DEP_1) | instskip(NEXT) | instid1(VALU_DEP_1)
	v_ldexp_f32 v2, v2, v13
	v_dual_mul_f32 v17, v2, v2 :: v_dual_sub_nc_u32 v13, 0, v16
	s_delay_alu instid0(VALU_DEP_1) | instskip(NEXT) | instid1(VALU_DEP_2)
	v_ldexp_f32 v23, |v5|, v13
	v_fmaak_f32 v26, s11, v17, 0xbc7a590c
	v_ldexp_f32 v13, |v4|, v13
	s_delay_alu instid0(VALU_DEP_2) | instskip(NEXT) | instid1(VALU_DEP_1)
	v_dual_mul_f32 v23, v23, v23 :: v_dual_fmaak_f32 v26, v17, v26, 0x3d29fb3f
	v_fmac_f32_e32 v23, v13, v13
	s_delay_alu instid0(VALU_DEP_2) | instskip(NEXT) | instid1(VALU_DEP_1)
	v_fmaak_f32 v13, v17, v26, 0xbd97d4d7
	v_fmaak_f32 v13, v17, v13, 0x3dd931b2
	s_delay_alu instid0(VALU_DEP_1) | instskip(NEXT) | instid1(VALU_DEP_1)
	v_fmaak_f32 v13, v17, v13, 0xbe1160e6
	v_fmaak_f32 v13, v17, v13, 0x3e4cb8bf
	s_delay_alu instid0(VALU_DEP_1) | instskip(NEXT) | instid1(VALU_DEP_1)
	v_fmaak_f32 v13, v17, v13, 0xbeaaaa62
	v_mul_f32_e32 v13, v17, v13
	s_delay_alu instid0(VALU_DEP_1) | instskip(SKIP_2) | instid1(TRANS32_DEP_1)
	v_fmac_f32_e32 v2, v2, v13
	v_sqrt_f32_e32 v23, v23
	v_nop
	v_ldexp_f32 v16, v23, v16
	s_delay_alu instid0(VALU_DEP_1) | instskip(NEXT) | instid1(VALU_DEP_1)
	v_cndmask_b32_e32 v15, 0x7f800000, v16, vcc_lo
	v_cmp_gt_f32_e32 vcc_lo, 0x800000, v15
	v_cndmask_b32_e64 v16, 0, 32, vcc_lo
	v_cndmask_b32_e64 v23, 0, 0x41b17218, vcc_lo
	s_delay_alu instid0(VALU_DEP_2) | instskip(NEXT) | instid1(VALU_DEP_1)
	v_ldexp_f32 v15, v15, v16
	v_log_f32_e32 v15, v15
	v_nop
	s_delay_alu instid0(TRANS32_DEP_1) | instskip(SKIP_1) | instid1(VALU_DEP_1)
	v_cmp_gt_f32_e64 vcc_lo, 0x7f800000, |v15|
	v_sub_f32_e32 v16, 0x3fc90fdb, v2
	v_cndmask_b32_e64 v2, v2, v16, s0
	v_cndmask_b32_e64 v16, 0, 0x40490fdb, s1
	v_cmp_gt_f32_e64 s1, 0, v4
	s_delay_alu instid0(VALU_DEP_3) | instskip(NEXT) | instid1(VALU_DEP_1)
	v_sub_f32_e32 v17, 0x40490fdb, v2
	v_cndmask_b32_e64 v2, v2, v17, s1
	v_cndmask_b32_e64 v17, 0x3f490fdb, v30, s1
	v_mul_f32_e32 v13, 0x3f317217, v15
	s_delay_alu instid0(VALU_DEP_1) | instskip(NEXT) | instid1(VALU_DEP_1)
	v_fma_f32 v13, 0x3f317217, v15, -v13
	v_fmac_f32_e32 v13, 0x3377d1cf, v15
	s_delay_alu instid0(VALU_DEP_1) | instskip(NEXT) | instid1(VALU_DEP_1)
	v_fmac_f32_e32 v13, 0x3f317217, v15
	v_cndmask_b32_e32 v13, v15, v13, vcc_lo
	v_cmp_eq_f32_e32 vcc_lo, 0, v5
	v_cndmask_b32_e32 v2, v2, v16, vcc_lo
	s_and_b32 vcc_lo, s3, s4
	s_delay_alu instid0(VALU_DEP_1) | instid1(SALU_CYCLE_1)
	v_dual_sub_f32 v16, v13, v23 :: v_dual_cndmask_b32 v2, v2, v17, vcc_lo
.LBB174_281:                            ;   in Loop: Header=BB174_162 Depth=1
	s_or_b32 exec_lo, exec_lo, s2
                                        ; implicit-def: $vgpr26
.LBB174_282:                            ;   in Loop: Header=BB174_162 Depth=1
	s_and_not1_saveexec_b32 s2, s17
	s_cbranch_execz .LBB174_288
; %bb.283:                              ;   in Loop: Header=BB174_162 Depth=1
                                        ; implicit-def: $vgpr2
	s_mov_b32 s1, exec_lo
	v_cmpx_ngt_f32_e32 0x1fec1e4a, v26
	s_xor_b32 s3, exec_lo, s1
	s_cbranch_execz .LBB174_285
; %bb.284:                              ;   in Loop: Header=BB174_162 Depth=1
	v_pk_mul_f32 v[16:17], v[26:27], v[26:27]
	v_cmp_class_f32_e64 s4, v4, 0x204
	s_delay_alu instid0(VALU_DEP_2) | instskip(SKIP_1) | instid1(VALU_DEP_2)
	v_add_f32_e32 v27, 1.0, v16
	v_cmp_neq_f32_e64 s1, 0x7f800000, v16
	v_add_f32_e32 v17, -1.0, v27
	s_delay_alu instid0(VALU_DEP_1) | instskip(SKIP_2) | instid1(VALU_DEP_1)
	v_mov_b32_e32 v26, v17
	v_cvt_f64_f32_e32 v[28:29], v27
	v_frexp_mant_f32_e32 v13, v27
	v_cmp_gt_f32_e32 vcc_lo, 0x3f2aaaab, v13
	s_delay_alu instid0(VALU_DEP_3) | instskip(NEXT) | instid1(VALU_DEP_1)
	v_frexp_exp_i32_f64_e32 v2, v[28:29]
	v_subrev_co_ci_u32_e64 v2, null, 0, v2, vcc_lo
	v_cmp_gt_i32_e32 vcc_lo, 0, v4
	s_delay_alu instid0(VALU_DEP_2) | instskip(SKIP_1) | instid1(VALU_DEP_2)
	v_sub_nc_u32_e32 v13, 0, v2
	v_pk_add_f32 v[28:29], v[16:17], v[26:27] neg_lo:[0,1] neg_hi:[0,1]
	v_ldexp_f32 v15, v27, v13
	s_delay_alu instid0(VALU_DEP_1) | instskip(NEXT) | instid1(VALU_DEP_1)
	v_dual_add_f32 v17, 1.0, v29 :: v_dual_add_f32 v23, 1.0, v15
	v_dual_add_f32 v17, v28, v17 :: v_dual_add_f32 v26, -1.0, v23
	v_add_f32_e32 v31, -1.0, v15
	s_delay_alu instid0(VALU_DEP_2) | instskip(NEXT) | instid1(VALU_DEP_2)
	v_ldexp_f32 v13, v17, v13
	v_dual_sub_f32 v17, v15, v26 :: v_dual_add_f32 v26, 1.0, v31
	s_delay_alu instid0(VALU_DEP_1) | instskip(NEXT) | instid1(VALU_DEP_1)
	v_add_f32_e32 v17, v13, v17
	v_add_f32_e32 v34, v23, v17
	s_delay_alu instid0(VALU_DEP_3) | instskip(NEXT) | instid1(VALU_DEP_1)
	v_sub_f32_e32 v15, v15, v26
	v_add_f32_e32 v13, v13, v15
	s_delay_alu instid0(VALU_DEP_3) | instskip(SKIP_1) | instid1(VALU_DEP_1)
	v_rcp_f32_e32 v15, v34
	v_sub_f32_e32 v23, v23, v34
	v_dual_add_f32 v27, v31, v13 :: v_dual_add_f32 v17, v17, v23
	s_delay_alu instid0(TRANS32_DEP_1) | instid1(VALU_DEP_1)
	v_mul_f32_e32 v35, v27, v15
	v_sub_f32_e32 v23, v31, v27
	s_delay_alu instid0(VALU_DEP_2) | instskip(NEXT) | instid1(VALU_DEP_1)
	v_mul_f32_e32 v28, v34, v35
	v_dual_add_f32 v13, v13, v23 :: v_dual_fma_f32 v32, v35, v34, -v28
	s_delay_alu instid0(VALU_DEP_1) | instskip(NEXT) | instid1(VALU_DEP_1)
	v_fmac_f32_e32 v32, v35, v17
	v_add_f32_e32 v26, v28, v32
	s_delay_alu instid0(VALU_DEP_1) | instskip(NEXT) | instid1(VALU_DEP_1)
	v_dual_sub_f32 v29, v27, v26 :: v_dual_mov_b32 v33, v26
	v_pk_add_f32 v[26:27], v[26:27], v[28:29] neg_lo:[0,1] neg_hi:[0,1]
	s_delay_alu instid0(VALU_DEP_1) | instskip(NEXT) | instid1(VALU_DEP_1)
	v_pk_add_f32 v[26:27], v[26:27], v[32:33] neg_lo:[0,1] neg_hi:[0,1]
	v_add_f32_e32 v13, v13, v27
	s_delay_alu instid0(VALU_DEP_1) | instskip(NEXT) | instid1(VALU_DEP_1)
	v_add_f32_e32 v13, v26, v13
	v_add_f32_e32 v27, v29, v13
	s_delay_alu instid0(VALU_DEP_1) | instskip(NEXT) | instid1(VALU_DEP_1)
	v_mul_f32_e32 v23, v15, v27
	v_mul_f32_e32 v32, v34, v23
	s_delay_alu instid0(VALU_DEP_1) | instskip(NEXT) | instid1(VALU_DEP_1)
	v_fma_f32 v28, v23, v34, -v32
	v_dual_fmac_f32 v28, v23, v17 :: v_dual_sub_f32 v17, v29, v27
	s_delay_alu instid0(VALU_DEP_1) | instskip(SKIP_1) | instid1(VALU_DEP_2)
	v_dual_add_f32 v26, v32, v28 :: v_dual_add_f32 v13, v13, v17
	v_add_f32_e32 v17, v35, v23
	v_dual_sub_f32 v33, v27, v26 :: v_dual_mov_b32 v29, v26
	s_delay_alu instid0(VALU_DEP_1) | instskip(NEXT) | instid1(VALU_DEP_1)
	v_pk_add_f32 v[26:27], v[26:27], v[32:33] neg_lo:[0,1] neg_hi:[0,1]
	v_pk_add_f32 v[26:27], v[26:27], v[28:29] neg_lo:[0,1] neg_hi:[0,1]
	s_delay_alu instid0(VALU_DEP_1) | instskip(NEXT) | instid1(VALU_DEP_1)
	v_add_f32_e32 v13, v13, v27
	v_dual_add_f32 v13, v26, v13 :: v_dual_sub_f32 v26, v17, v35
	s_delay_alu instid0(VALU_DEP_1) | instskip(SKIP_1) | instid1(VALU_DEP_2)
	v_dual_add_f32 v13, v33, v13 :: v_dual_sub_f32 v23, v23, v26
	v_cvt_f32_i32_e32 v26, v2
	v_mul_f32_e32 v13, v15, v13
	s_delay_alu instid0(VALU_DEP_1) | instskip(NEXT) | instid1(VALU_DEP_1)
	v_add_f32_e32 v13, v23, v13
	v_add_f32_e32 v15, v17, v13
	s_delay_alu instid0(VALU_DEP_1) | instskip(NEXT) | instid1(VALU_DEP_1)
	v_mul_f32_e32 v23, v15, v15
	v_dual_fmaak_f32 v28, s10, v23, 0x3ecc95a3 :: v_dual_mul_f32 v27, v15, v23
	s_delay_alu instid0(VALU_DEP_1) | instskip(NEXT) | instid1(VALU_DEP_1)
	v_fmaak_f32 v23, v23, v28, 0x3f2aaada
	v_pk_mul_f32 v[28:29], v[26:27], v[22:23]
	s_delay_alu instid0(VALU_DEP_1)
	v_fma_f32 v32, 0x3f317218, v26, -v28
	v_mov_b32_e32 v34, v28
	v_ldexp_f32 v33, v15, 1
	v_sub_f32_e32 v2, v15, v17
	v_max_num_f32_e64 v15, |v5|, |v5|
	v_fmac_f32_e32 v32, 0xb102e308, v26
	v_max_num_f32_e64 v17, |v4|, |v4|
	s_delay_alu instid0(VALU_DEP_4) | instskip(NEXT) | instid1(VALU_DEP_3)
	v_sub_f32_e32 v2, v13, v2
	v_pk_add_f32 v[26:27], v[28:29], v[32:33]
	s_delay_alu instid0(VALU_DEP_2) | instskip(NEXT) | instid1(VALU_DEP_2)
	v_ldexp_f32 v2, v2, 1
	v_dual_sub_f32 v13, v27, v33 :: v_dual_mov_b32 v42, v27
	s_delay_alu instid0(VALU_DEP_1) | instskip(SKIP_1) | instid1(VALU_DEP_2)
	v_dual_mov_b32 v33, v26 :: v_dual_sub_f32 v13, v29, v13
	v_pk_add_f32 v[28:29], v[26:27], v[28:29] neg_lo:[0,1] neg_hi:[0,1]
	v_dual_add_f32 v35, v2, v13 :: v_dual_max_num_f32 v2, v17, v15
	s_delay_alu instid0(VALU_DEP_1) | instskip(NEXT) | instid1(VALU_DEP_2)
	v_pk_add_f32 v[36:37], v[26:27], v[34:35]
	v_frexp_mant_f32_e32 v13, v2
	s_delay_alu instid0(VALU_DEP_2) | instskip(NEXT) | instid1(VALU_DEP_2)
	v_mov_b32_e32 v29, v37
	v_rcp_f32_e32 v13, v13
	s_delay_alu instid0(VALU_DEP_1) | instskip(SKIP_3) | instid1(VALU_DEP_4)
	v_pk_add_f32 v[38:39], v[32:33], v[28:29]
	v_min_num_f32_e32 v15, v17, v15
	v_frexp_exp_i32_f32_e32 v17, v2
	v_pk_add_f32 v[28:29], v[32:33], v[28:29] neg_lo:[0,1] neg_hi:[0,1]
	v_dual_mov_b32 v38, v37 :: v_dual_mov_b32 v2, v39
	s_delay_alu instid0(VALU_DEP_4) | instskip(SKIP_1) | instid1(VALU_DEP_3)
	v_frexp_exp_i32_f32_e32 v23, v15
	v_frexp_mant_f32_e32 v15, v15
	v_pk_add_f32 v[40:41], v[2:3], v[26:27] neg_lo:[0,1] neg_hi:[0,1]
	s_delay_alu instid0(VALU_DEP_3) | instskip(NEXT) | instid1(VALU_DEP_3)
	v_sub_nc_u32_e32 v17, v23, v17
	v_dual_mul_f32 v13, v15, v13 :: v_dual_mov_b32 v27, v26
	s_delay_alu instid0(VALU_DEP_3) | instskip(NEXT) | instid1(VALU_DEP_2)
	v_dual_mov_b32 v26, v35 :: v_dual_mov_b32 v43, v40
	v_ldexp_f32 v15, v13, v17
	v_mov_b32_e32 v13, v40
	s_delay_alu instid0(VALU_DEP_3) | instskip(NEXT) | instid1(VALU_DEP_3)
	v_pk_add_f32 v[32:33], v[38:39], v[42:43] neg_lo:[0,1] neg_hi:[0,1]
	v_mul_f32_e32 v17, v15, v15
	s_delay_alu instid0(VALU_DEP_3) | instskip(SKIP_1) | instid1(VALU_DEP_4)
	v_pk_add_f32 v[34:35], v[36:37], v[12:13] neg_lo:[0,1] neg_hi:[0,1]
	v_mov_b32_e32 v34, v28
	v_pk_add_f32 v[26:27], v[26:27], v[32:33] neg_lo:[0,1] neg_hi:[0,1]
	s_delay_alu instid0(VALU_DEP_1) | instskip(NEXT) | instid1(VALU_DEP_1)
	v_pk_add_f32 v[32:33], v[34:35], v[26:27]
	v_dual_fmaak_f32 v13, s11, v17, 0xbc7a590c :: v_dual_mov_b32 v34, v33
	s_delay_alu instid0(VALU_DEP_1) | instskip(NEXT) | instid1(VALU_DEP_2)
	v_fmaak_f32 v13, v17, v13, 0x3d29fb3f
	v_pk_add_f32 v[34:35], v[32:33], v[34:35]
	s_delay_alu instid0(VALU_DEP_1) | instskip(SKIP_1) | instid1(VALU_DEP_2)
	v_pk_add_f32 v[36:37], v[2:3], v[34:35]
	v_dual_mov_b32 v29, v39 :: v_dual_mov_b32 v27, v34
	v_mov_b32_e32 v33, v36
	s_delay_alu instid0(VALU_DEP_1) | instskip(NEXT) | instid1(VALU_DEP_1)
	v_pk_add_f32 v[38:39], v[32:33], v[28:29] neg_lo:[0,1] neg_hi:[0,1]
	v_pk_add_f32 v[26:27], v[26:27], v[38:39] neg_lo:[0,1] neg_hi:[0,1]
	v_fmaak_f32 v13, v17, v13, 0xbd97d4d7
	s_delay_alu instid0(VALU_DEP_1) | instskip(NEXT) | instid1(VALU_DEP_1)
	v_fmaak_f32 v13, v17, v13, 0x3dd931b2
	v_dual_fmaak_f32 v2, v17, v13, 0xbe1160e6 :: v_dual_sub_f32 v13, v32, v38
	s_delay_alu instid0(VALU_DEP_1) | instskip(NEXT) | instid1(VALU_DEP_1)
	v_dual_fmaak_f32 v2, v17, v2, 0x3e4cb8bf :: v_dual_sub_f32 v13, v28, v13
	v_fmaak_f32 v2, v17, v2, 0xbeaaaa62
	s_delay_alu instid0(VALU_DEP_1) | instskip(NEXT) | instid1(VALU_DEP_1)
	v_mul_f32_e32 v2, v17, v2
	v_dual_fmac_f32 v15, v15, v2 :: v_dual_add_f32 v2, v26, v13
                                        ; implicit-def: $vgpr26
	s_delay_alu instid0(VALU_DEP_1) | instskip(NEXT) | instid1(VALU_DEP_2)
	v_sub_f32_e32 v13, 0x3fc90fdb, v15
	v_add_f32_e32 v2, v2, v27
	s_delay_alu instid0(VALU_DEP_1) | instskip(NEXT) | instid1(VALU_DEP_1)
	v_add_f32_e32 v2, v36, v2
	v_cndmask_b32_e64 v2, 0x7f800000, v2, s1
	s_delay_alu instid0(VALU_DEP_4) | instskip(SKIP_3) | instid1(VALU_DEP_4)
	v_cndmask_b32_e64 v13, v15, v13, s0
	v_cndmask_b32_e64 v15, 0, 0x40490fdb, vcc_lo
	v_cmp_gt_f32_e32 vcc_lo, 0, v4
	v_cmp_class_f32_e64 s1, v5, 0x204
	v_sub_f32_e32 v17, 0x40490fdb, v13
	s_delay_alu instid0(VALU_DEP_1) | instskip(SKIP_4) | instid1(VALU_DEP_2)
	v_cndmask_b32_e32 v13, v13, v17, vcc_lo
	v_cndmask_b32_e32 v17, 0x3f490fdb, v30, vcc_lo
	v_cmp_gt_f32_e64 vcc_lo, 0x33800000, |v16|
	v_cndmask_b32_e32 v2, v2, v16, vcc_lo
	v_cmp_eq_f32_e32 vcc_lo, 0, v5
	v_dual_mul_f32 v16, 0.5, v2 :: v_dual_cndmask_b32 v13, v13, v15
	s_and_b32 vcc_lo, s4, s1
	s_delay_alu instid0(VALU_DEP_1)
	v_cndmask_b32_e32 v2, v13, v17, vcc_lo
.LBB174_285:                            ;   in Loop: Header=BB174_162 Depth=1
	s_and_not1_saveexec_b32 s3, s3
	s_cbranch_execz .LBB174_287
; %bb.286:                              ;   in Loop: Header=BB174_162 Depth=1
	v_max_num_f32_e64 v2, |v5|, |v5|
	v_max_num_f32_e64 v13, |v4|, |v4|
	v_cmp_eq_f32_e64 s1, 0, v5
	v_cmp_gt_i32_e32 vcc_lo, 0, v4
	v_cmp_class_f32_e64 s4, v4, 0x204
	v_cmp_class_f32_e64 s5, v5, 0x204
	v_dual_max_num_f32 v15, v13, v2 :: v_dual_min_num_f32 v2, v13, v2
	s_delay_alu instid0(VALU_DEP_1) | instskip(SKIP_1) | instid1(VALU_DEP_2)
	v_frexp_mant_f32_e32 v16, v15
	v_frexp_exp_i32_f32_e32 v13, v15
	v_rcp_f32_e32 v15, v16
	v_nop
	v_frexp_exp_i32_f32_e32 v16, v2
	v_frexp_mant_f32_e32 v2, v2
	s_delay_alu instid0(TRANS32_DEP_1) | instid1(VALU_DEP_1)
	v_dual_mul_f32 v2, v2, v15 :: v_dual_sub_nc_u32 v13, v16, v13
	s_delay_alu instid0(VALU_DEP_1) | instskip(NEXT) | instid1(VALU_DEP_1)
	v_ldexp_f32 v2, v2, v13
	v_mul_f32_e32 v13, v2, v2
	s_delay_alu instid0(VALU_DEP_1) | instskip(NEXT) | instid1(VALU_DEP_1)
	v_fmaak_f32 v15, s11, v13, 0xbc7a590c
	v_fmaak_f32 v15, v13, v15, 0x3d29fb3f
	s_delay_alu instid0(VALU_DEP_1) | instskip(NEXT) | instid1(VALU_DEP_1)
	v_fmaak_f32 v15, v13, v15, 0xbd97d4d7
	v_fmaak_f32 v15, v13, v15, 0x3dd931b2
	;; [unrolled: 3-line block ×3, first 2 shown]
	s_delay_alu instid0(VALU_DEP_1) | instskip(NEXT) | instid1(VALU_DEP_1)
	v_fmaak_f32 v15, v13, v15, 0xbeaaaa62
	v_mul_f32_e32 v13, v13, v15
	v_cndmask_b32_e64 v15, 0, 0x40490fdb, vcc_lo
	v_cmp_gt_f32_e32 vcc_lo, 0, v4
	s_delay_alu instid0(VALU_DEP_3) | instskip(NEXT) | instid1(VALU_DEP_1)
	v_fmac_f32_e32 v2, v2, v13
	v_sub_f32_e32 v13, 0x3fc90fdb, v2
	s_delay_alu instid0(VALU_DEP_1) | instskip(NEXT) | instid1(VALU_DEP_1)
	v_cndmask_b32_e64 v2, v2, v13, s0
	v_sub_f32_e32 v13, 0x40490fdb, v2
	s_delay_alu instid0(VALU_DEP_1) | instskip(NEXT) | instid1(VALU_DEP_1)
	v_dual_cndmask_b32 v2, v2, v13 :: v_dual_mul_f32 v13, 0.5, v26
	v_cndmask_b32_e64 v2, v2, v15, s1
	v_cndmask_b32_e32 v15, 0x3f490fdb, v30, vcc_lo
	s_and_b32 vcc_lo, s4, s5
	s_delay_alu instid0(VALU_DEP_3) | instskip(NEXT) | instid1(VALU_DEP_2)
	v_mul_f32_e32 v16, v26, v13
	v_cndmask_b32_e32 v2, v2, v15, vcc_lo
.LBB174_287:                            ;   in Loop: Header=BB174_162 Depth=1
	s_or_b32 exec_lo, exec_lo, s3
.LBB174_288:                            ;   in Loop: Header=BB174_162 Depth=1
	s_delay_alu instid0(SALU_CYCLE_1)
	s_or_b32 exec_lo, exec_lo, s2
.LBB174_289:                            ;   in Loop: Header=BB174_162 Depth=1
	s_and_not1_saveexec_b32 s2, s16
	s_cbranch_execz .LBB174_291
; %bb.290:                              ;   in Loop: Header=BB174_162 Depth=1
	v_div_scale_f32 v2, null, 0x402df854, 0x402df854, v4
	v_div_scale_f32 v13, null, 0x402df854, 0x402df854, v5
	v_div_scale_f32 v26, vcc_lo, v4, 0x402df854, v4
	s_delay_alu instid0(VALU_DEP_3) | instskip(NEXT) | instid1(VALU_DEP_2)
	v_rcp_f32_e32 v15, v2
	v_rcp_f32_e32 v16, v13
	v_cmp_class_f32_e64 s3, v5, 0x204
	s_delay_alu instid0(TRANS32_DEP_2) | instskip(NEXT) | instid1(TRANS32_DEP_1)
	v_fma_f32 v17, -v2, v15, 1.0
	v_fma_f32 v23, -v13, v16, 1.0
	s_delay_alu instid0(VALU_DEP_1) | instskip(SKIP_1) | instid1(VALU_DEP_1)
	v_dual_fmac_f32 v15, v17, v15 :: v_dual_fmac_f32 v16, v23, v16
	v_div_scale_f32 v17, s1, v5, 0x402df854, v5
	v_dual_mul_f32 v23, v26, v15 :: v_dual_mul_f32 v27, v17, v16
	s_delay_alu instid0(VALU_DEP_1) | instskip(NEXT) | instid1(VALU_DEP_1)
	v_fma_f32 v29, -v13, v27, v17
	v_dual_fma_f32 v28, -v2, v23, v26 :: v_dual_fmac_f32 v27, v29, v16
	s_delay_alu instid0(VALU_DEP_1) | instskip(NEXT) | instid1(VALU_DEP_2)
	v_fmac_f32_e32 v23, v28, v15
	v_fma_f32 v13, -v13, v27, v17
	s_delay_alu instid0(VALU_DEP_2) | instskip(NEXT) | instid1(VALU_DEP_1)
	v_fma_f32 v2, -v2, v23, v26
	v_div_fmas_f32 v2, v2, v15, v23
	s_mov_b32 vcc_lo, s1
	v_max_num_f32_e64 v23, |v4|, |v4|
	v_div_fmas_f32 v13, v13, v16, v27
	v_cmp_class_f32_e64 s1, v4, 0x204
	v_div_fixup_f32 v2, v2, 0x402df854, v4
	s_delay_alu instid0(VALU_DEP_3) | instskip(NEXT) | instid1(VALU_DEP_1)
	v_div_fixup_f32 v13, v13, 0x402df854, v5
	v_max_num_f32_e64 v15, |v2|, |v13|
	s_delay_alu instid0(VALU_DEP_1) | instskip(SKIP_1) | instid1(VALU_DEP_2)
	v_cvt_f64_f32_e32 v[16:17], v15
	v_cmp_neq_f32_e32 vcc_lo, 0x7f800000, v15
	v_frexp_exp_i32_f64_e32 v16, v[16:17]
	v_max_num_f32_e64 v17, |v5|, |v5|
	s_delay_alu instid0(VALU_DEP_1) | instskip(NEXT) | instid1(VALU_DEP_1)
	v_dual_max_num_f32 v26, v23, v17 :: v_dual_min_num_f32 v17, v23, v17
	v_frexp_mant_f32_e32 v27, v26
	v_frexp_exp_i32_f32_e32 v23, v26
	s_delay_alu instid0(VALU_DEP_2)
	v_rcp_f32_e32 v26, v27
	v_nop
	v_frexp_exp_i32_f32_e32 v27, v17
	v_frexp_mant_f32_e32 v17, v17
	s_delay_alu instid0(TRANS32_DEP_1) | instid1(VALU_DEP_1)
	v_dual_mul_f32 v17, v17, v26 :: v_dual_sub_nc_u32 v26, 0, v16
	s_delay_alu instid0(VALU_DEP_1) | instskip(NEXT) | instid1(VALU_DEP_4)
	v_ldexp_f32 v13, |v13|, v26
	v_sub_nc_u32_e32 v23, v27, v23
	v_ldexp_f32 v2, |v2|, v26
	s_delay_alu instid0(VALU_DEP_3) | instskip(NEXT) | instid1(VALU_DEP_3)
	v_mul_f32_e32 v13, v13, v13
	v_ldexp_f32 v17, v17, v23
	s_delay_alu instid0(VALU_DEP_1) | instskip(NEXT) | instid1(VALU_DEP_1)
	v_dual_fmac_f32 v13, v2, v2 :: v_dual_mul_f32 v23, v17, v17
	v_sqrt_f32_e32 v13, v13
	s_delay_alu instid0(VALU_DEP_1) | instskip(NEXT) | instid1(VALU_DEP_1)
	v_fmaak_f32 v26, s11, v23, 0xbc7a590c
	v_fmaak_f32 v2, v23, v26, 0x3d29fb3f
	s_delay_alu instid0(TRANS32_DEP_1) | instskip(NEXT) | instid1(VALU_DEP_2)
	v_ldexp_f32 v13, v13, v16
	v_fmaak_f32 v2, v23, v2, 0xbd97d4d7
	s_delay_alu instid0(VALU_DEP_1) | instskip(NEXT) | instid1(VALU_DEP_1)
	v_fmaak_f32 v2, v23, v2, 0x3dd931b2
	v_fmaak_f32 v2, v23, v2, 0xbe1160e6
	s_delay_alu instid0(VALU_DEP_1) | instskip(NEXT) | instid1(VALU_DEP_1)
	v_fmaak_f32 v2, v23, v2, 0x3e4cb8bf
	v_fmaak_f32 v2, v23, v2, 0xbeaaaa62
	s_delay_alu instid0(VALU_DEP_1) | instskip(NEXT) | instid1(VALU_DEP_1)
	v_dual_cndmask_b32 v13, 0x7f800000, v13 :: v_dual_mul_f32 v2, v23, v2
	v_cmp_gt_f32_e32 vcc_lo, 0x800000, v13
	s_delay_alu instid0(VALU_DEP_2) | instskip(SKIP_2) | instid1(VALU_DEP_2)
	v_fmac_f32_e32 v17, v17, v2
	v_cndmask_b32_e64 v15, 0, 32, vcc_lo
	v_cndmask_b32_e64 v23, 0, 0x41b17218, vcc_lo
	v_ldexp_f32 v13, v13, v15
	s_delay_alu instid0(VALU_DEP_1) | instskip(SKIP_1) | instid1(TRANS32_DEP_1)
	v_log_f32_e32 v13, v13
	v_nop
	v_mul_f32_e32 v15, 0x3f317217, v13
	v_cmp_gt_f32_e64 vcc_lo, 0x7f800000, |v13|
	s_delay_alu instid0(VALU_DEP_2) | instskip(NEXT) | instid1(VALU_DEP_1)
	v_fma_f32 v2, 0x3f317217, v13, -v15
	v_fmac_f32_e32 v2, 0x3377d1cf, v13
	s_delay_alu instid0(VALU_DEP_1) | instskip(NEXT) | instid1(VALU_DEP_1)
	v_fmac_f32_e32 v2, 0x3f317217, v13
	v_dual_sub_f32 v15, 0x3fc90fdb, v17 :: v_dual_cndmask_b32 v2, v13, v2
	v_cmp_eq_f32_e32 vcc_lo, 0, v5
	s_delay_alu instid0(VALU_DEP_2) | instskip(NEXT) | instid1(VALU_DEP_3)
	v_sub_f32_e32 v2, v2, v23
	v_cndmask_b32_e64 v15, v17, v15, s0
	v_cmp_gt_i32_e64 s0, 0, v4
	s_delay_alu instid0(VALU_DEP_2) | instskip(NEXT) | instid1(VALU_DEP_2)
	v_sub_f32_e32 v17, 0x40490fdb, v15
	v_cndmask_b32_e64 v16, 0, 0x40490fdb, s0
	v_cmp_gt_f32_e64 s0, 0, v4
	s_delay_alu instid0(VALU_DEP_1) | instskip(SKIP_1) | instid1(VALU_DEP_2)
	v_cndmask_b32_e64 v13, v15, v17, s0
	v_cndmask_b32_e64 v15, 0x3f490fdb, v30, s0
	v_cndmask_b32_e32 v13, v13, v16, vcc_lo
	s_and_b32 vcc_lo, s1, s3
	s_delay_alu instid0(VALU_DEP_1) | instid1(SALU_CYCLE_1)
	v_dual_add_f32 v16, 1.0, v2 :: v_dual_cndmask_b32 v2, v13, v15, vcc_lo
.LBB174_291:                            ;   in Loop: Header=BB174_162 Depth=1
	s_or_b32 exec_lo, exec_lo, s2
.LBB174_292:                            ;   in Loop: Header=BB174_162 Depth=1
	s_and_not1_saveexec_b32 s0, s13
	s_cbranch_execz .LBB174_161
; %bb.293:                              ;   in Loop: Header=BB174_162 Depth=1
	v_cmp_ngt_f32_e64 s1, 0x20000000, |v4|
	v_cmp_ngt_f32_e64 s2, 0x20000000, |v5|
                                        ; implicit-def: $vgpr2
	s_or_b32 s1, s1, s2
	s_delay_alu instid0(SALU_CYCLE_1) | instskip(NEXT) | instid1(SALU_CYCLE_1)
	s_and_saveexec_b32 s2, s1
	s_xor_b32 s1, exec_lo, s2
; %bb.294:                              ;   in Loop: Header=BB174_162 Depth=1
	v_pk_mul_f32 v[16:17], v[4:5], v[4:5]
	s_delay_alu instid0(VALU_DEP_1)
	v_add_f32_e32 v2, v16, v17
; %bb.295:                              ;   in Loop: Header=BB174_162 Depth=1
	s_and_not1_saveexec_b32 s1, s1
	s_cbranch_execz .LBB174_160
; %bb.296:                              ;   in Loop: Header=BB174_162 Depth=1
	v_pk_mul_f32 v[16:17], v[4:5], 4.0 op_sel_hi:[1,0]
	s_delay_alu instid0(VALU_DEP_1) | instskip(NEXT) | instid1(VALU_DEP_1)
	v_pk_mul_f32 v[16:17], v[16:17], v[16:17]
	v_add_f32_e32 v2, v16, v17
	s_delay_alu instid0(VALU_DEP_1)
	v_mul_f32_e32 v2, 0x3d800000, v2
	s_branch .LBB174_160
.LBB174_297:
	s_endpgm
	.section	.rodata,"a",@progbits
	.p2align	6, 0x0
	.amdhsa_kernel _ZN2at6native12_GLOBAL__N_125multi_tensor_apply_kernelINS1_18TensorListMetadataILi1EEENS1_14UnaryOpFunctorIN3c107complexIfEELi1ELi1ELi0EEEJNS0_3LogIS8_EEEEEvT_T0_DpT1_
		.amdhsa_group_segment_fixed_size 0
		.amdhsa_private_segment_fixed_size 0
		.amdhsa_kernarg_size 3632
		.amdhsa_user_sgpr_count 2
		.amdhsa_user_sgpr_dispatch_ptr 0
		.amdhsa_user_sgpr_queue_ptr 0
		.amdhsa_user_sgpr_kernarg_segment_ptr 1
		.amdhsa_user_sgpr_dispatch_id 0
		.amdhsa_user_sgpr_kernarg_preload_length 0
		.amdhsa_user_sgpr_kernarg_preload_offset 0
		.amdhsa_user_sgpr_private_segment_size 0
		.amdhsa_wavefront_size32 1
		.amdhsa_uses_dynamic_stack 0
		.amdhsa_enable_private_segment 0
		.amdhsa_system_sgpr_workgroup_id_x 1
		.amdhsa_system_sgpr_workgroup_id_y 0
		.amdhsa_system_sgpr_workgroup_id_z 0
		.amdhsa_system_sgpr_workgroup_info 0
		.amdhsa_system_vgpr_workitem_id 0
		.amdhsa_next_free_vgpr 51
		.amdhsa_next_free_sgpr 39
		.amdhsa_named_barrier_count 0
		.amdhsa_reserve_vcc 1
		.amdhsa_float_round_mode_32 0
		.amdhsa_float_round_mode_16_64 0
		.amdhsa_float_denorm_mode_32 3
		.amdhsa_float_denorm_mode_16_64 3
		.amdhsa_fp16_overflow 0
		.amdhsa_memory_ordered 1
		.amdhsa_forward_progress 1
		.amdhsa_inst_pref_size 255
		.amdhsa_round_robin_scheduling 0
		.amdhsa_exception_fp_ieee_invalid_op 0
		.amdhsa_exception_fp_denorm_src 0
		.amdhsa_exception_fp_ieee_div_zero 0
		.amdhsa_exception_fp_ieee_overflow 0
		.amdhsa_exception_fp_ieee_underflow 0
		.amdhsa_exception_fp_ieee_inexact 0
		.amdhsa_exception_int_div_zero 0
	.end_amdhsa_kernel
	.section	.text._ZN2at6native12_GLOBAL__N_125multi_tensor_apply_kernelINS1_18TensorListMetadataILi1EEENS1_14UnaryOpFunctorIN3c107complexIfEELi1ELi1ELi0EEEJNS0_3LogIS8_EEEEEvT_T0_DpT1_,"axG",@progbits,_ZN2at6native12_GLOBAL__N_125multi_tensor_apply_kernelINS1_18TensorListMetadataILi1EEENS1_14UnaryOpFunctorIN3c107complexIfEELi1ELi1ELi0EEEJNS0_3LogIS8_EEEEEvT_T0_DpT1_,comdat
.Lfunc_end174:
	.size	_ZN2at6native12_GLOBAL__N_125multi_tensor_apply_kernelINS1_18TensorListMetadataILi1EEENS1_14UnaryOpFunctorIN3c107complexIfEELi1ELi1ELi0EEEJNS0_3LogIS8_EEEEEvT_T0_DpT1_, .Lfunc_end174-_ZN2at6native12_GLOBAL__N_125multi_tensor_apply_kernelINS1_18TensorListMetadataILi1EEENS1_14UnaryOpFunctorIN3c107complexIfEELi1ELi1ELi0EEEJNS0_3LogIS8_EEEEEvT_T0_DpT1_
                                        ; -- End function
	.set _ZN2at6native12_GLOBAL__N_125multi_tensor_apply_kernelINS1_18TensorListMetadataILi1EEENS1_14UnaryOpFunctorIN3c107complexIfEELi1ELi1ELi0EEEJNS0_3LogIS8_EEEEEvT_T0_DpT1_.num_vgpr, 51
	.set _ZN2at6native12_GLOBAL__N_125multi_tensor_apply_kernelINS1_18TensorListMetadataILi1EEENS1_14UnaryOpFunctorIN3c107complexIfEELi1ELi1ELi0EEEJNS0_3LogIS8_EEEEEvT_T0_DpT1_.num_agpr, 0
	.set _ZN2at6native12_GLOBAL__N_125multi_tensor_apply_kernelINS1_18TensorListMetadataILi1EEENS1_14UnaryOpFunctorIN3c107complexIfEELi1ELi1ELi0EEEJNS0_3LogIS8_EEEEEvT_T0_DpT1_.numbered_sgpr, 39
	.set _ZN2at6native12_GLOBAL__N_125multi_tensor_apply_kernelINS1_18TensorListMetadataILi1EEENS1_14UnaryOpFunctorIN3c107complexIfEELi1ELi1ELi0EEEJNS0_3LogIS8_EEEEEvT_T0_DpT1_.num_named_barrier, 0
	.set _ZN2at6native12_GLOBAL__N_125multi_tensor_apply_kernelINS1_18TensorListMetadataILi1EEENS1_14UnaryOpFunctorIN3c107complexIfEELi1ELi1ELi0EEEJNS0_3LogIS8_EEEEEvT_T0_DpT1_.private_seg_size, 0
	.set _ZN2at6native12_GLOBAL__N_125multi_tensor_apply_kernelINS1_18TensorListMetadataILi1EEENS1_14UnaryOpFunctorIN3c107complexIfEELi1ELi1ELi0EEEJNS0_3LogIS8_EEEEEvT_T0_DpT1_.uses_vcc, 1
	.set _ZN2at6native12_GLOBAL__N_125multi_tensor_apply_kernelINS1_18TensorListMetadataILi1EEENS1_14UnaryOpFunctorIN3c107complexIfEELi1ELi1ELi0EEEJNS0_3LogIS8_EEEEEvT_T0_DpT1_.uses_flat_scratch, 0
	.set _ZN2at6native12_GLOBAL__N_125multi_tensor_apply_kernelINS1_18TensorListMetadataILi1EEENS1_14UnaryOpFunctorIN3c107complexIfEELi1ELi1ELi0EEEJNS0_3LogIS8_EEEEEvT_T0_DpT1_.has_dyn_sized_stack, 0
	.set _ZN2at6native12_GLOBAL__N_125multi_tensor_apply_kernelINS1_18TensorListMetadataILi1EEENS1_14UnaryOpFunctorIN3c107complexIfEELi1ELi1ELi0EEEJNS0_3LogIS8_EEEEEvT_T0_DpT1_.has_recursion, 0
	.set _ZN2at6native12_GLOBAL__N_125multi_tensor_apply_kernelINS1_18TensorListMetadataILi1EEENS1_14UnaryOpFunctorIN3c107complexIfEELi1ELi1ELi0EEEJNS0_3LogIS8_EEEEEvT_T0_DpT1_.has_indirect_call, 0
	.section	.AMDGPU.csdata,"",@progbits
; Kernel info:
; codeLenInByte = 51584
; TotalNumSgprs: 41
; NumVgprs: 51
; ScratchSize: 0
; MemoryBound: 1
; FloatMode: 240
; IeeeMode: 1
; LDSByteSize: 0 bytes/workgroup (compile time only)
; SGPRBlocks: 0
; VGPRBlocks: 3
; NumSGPRsForWavesPerEU: 41
; NumVGPRsForWavesPerEU: 51
; NamedBarCnt: 0
; Occupancy: 16
; WaveLimiterHint : 0
; COMPUTE_PGM_RSRC2:SCRATCH_EN: 0
; COMPUTE_PGM_RSRC2:USER_SGPR: 2
; COMPUTE_PGM_RSRC2:TRAP_HANDLER: 0
; COMPUTE_PGM_RSRC2:TGID_X_EN: 1
; COMPUTE_PGM_RSRC2:TGID_Y_EN: 0
; COMPUTE_PGM_RSRC2:TGID_Z_EN: 0
; COMPUTE_PGM_RSRC2:TIDIG_COMP_CNT: 0
	.section	.text._ZN2at6native12_GLOBAL__N_125multi_tensor_apply_kernelINS1_18TensorListMetadataILi1EEENS1_14UnaryOpFunctorIN3c104HalfELi1ELi1ELi0EEEJNS0_3LogIfEEEEEvT_T0_DpT1_,"axG",@progbits,_ZN2at6native12_GLOBAL__N_125multi_tensor_apply_kernelINS1_18TensorListMetadataILi1EEENS1_14UnaryOpFunctorIN3c104HalfELi1ELi1ELi0EEEJNS0_3LogIfEEEEEvT_T0_DpT1_,comdat
	.globl	_ZN2at6native12_GLOBAL__N_125multi_tensor_apply_kernelINS1_18TensorListMetadataILi1EEENS1_14UnaryOpFunctorIN3c104HalfELi1ELi1ELi0EEEJNS0_3LogIfEEEEEvT_T0_DpT1_ ; -- Begin function _ZN2at6native12_GLOBAL__N_125multi_tensor_apply_kernelINS1_18TensorListMetadataILi1EEENS1_14UnaryOpFunctorIN3c104HalfELi1ELi1ELi0EEEJNS0_3LogIfEEEEEvT_T0_DpT1_
	.p2align	8
	.type	_ZN2at6native12_GLOBAL__N_125multi_tensor_apply_kernelINS1_18TensorListMetadataILi1EEENS1_14UnaryOpFunctorIN3c104HalfELi1ELi1ELi0EEEJNS0_3LogIfEEEEEvT_T0_DpT1_,@function
_ZN2at6native12_GLOBAL__N_125multi_tensor_apply_kernelINS1_18TensorListMetadataILi1EEENS1_14UnaryOpFunctorIN3c104HalfELi1ELi1ELi0EEEJNS0_3LogIfEEEEEvT_T0_DpT1_: ; @_ZN2at6native12_GLOBAL__N_125multi_tensor_apply_kernelINS1_18TensorListMetadataILi1EEENS1_14UnaryOpFunctorIN3c104HalfELi1ELi1ELi0EEEJNS0_3LogIfEEEEEvT_T0_DpT1_
; %bb.0:
	s_bfe_u32 s2, ttmp6, 0x4000c
	s_and_b32 s3, ttmp6, 15
	s_add_co_i32 s2, s2, 1
	s_getreg_b32 s4, hwreg(HW_REG_IB_STS2, 6, 4)
	s_mul_i32 s2, ttmp9, s2
	s_delay_alu instid0(SALU_CYCLE_1)
	s_add_co_i32 s3, s3, s2
	s_cmp_eq_u32 s4, 0
	s_cselect_b32 s2, ttmp9, s3
	s_mov_b32 s3, 0
	s_load_u8 s8, s[0:1], s2 offset:0x6e0
	s_add_nc_u64 s[4:5], s[0:1], s[2:3]
	s_mul_u64 s[6:7], s[2:3], 3
	s_delay_alu instid0(SALU_CYCLE_1)
	s_add_nc_u64 s[4:5], s[4:5], s[6:7]
	s_load_b32 s10, s[4:5], 0x820
	s_wait_kmcnt 0x0
	s_clause 0x1
	s_load_b64 s[6:7], s[0:1], s8 offset:0x0 scale_offset
	s_load_b64 s[12:13], s[0:1], s8 offset:0x370 scale_offset
	s_ashr_i32 s11, s10, 31
	s_wait_kmcnt 0x0
	s_and_b64 s[4:5], s[6:7], 7
	s_and_b32 s2, s12, 3
	s_lshl_b64 s[8:9], s[10:11], 17
	s_or_b64 s[2:3], s[4:5], s[2:3]
	s_lshl_b64 s[4:5], s[10:11], 16
	s_cmp_eq_u64 s[2:3], 0
	s_sub_nc_u64 s[10:11], s[12:13], s[4:5]
	s_cbranch_scc1 .LBB175_21
; %bb.1:
	v_cmp_lt_i64_e64 s2, s[10:11], 1
	s_and_b32 vcc_lo, exec_lo, s2
	s_cbranch_vccnz .LBB175_20
; %bb.2:
	s_load_b32 s2, s[0:1], 0xd3c
	v_min_i64 v[2:3], 0x10000, s[10:11]
	v_min_u64 v[4:5], 0x10000, s[10:11]
	v_dual_mov_b32 v1, 0 :: v_dual_lshlrev_b32 v8, 1, v0
	s_mov_b32 s3, 0
	s_add_nc_u64 s[4:5], s[6:7], s[8:9]
	s_mov_b32 s15, s3
	s_delay_alu instid0(VALU_DEP_1)
	v_mov_b32_e32 v15, v1
	s_mov_b32 s17, s3
	s_mov_b32 s13, s3
	s_mov_b64 s[18:19], 0
	s_wait_kmcnt 0x0
	s_and_b32 s2, s2, 0xffff
	s_delay_alu instid0(SALU_CYCLE_1)
	v_add_nc_u64_e32 v[6:7], s[2:3], v[0:1]
	v_mov_b32_e32 v9, v1
	s_lshl_b32 s14, s2, 1
	s_mul_i32 s16, s2, 3
	v_add_nc_u64_e32 v[12:13], s[14:15], v[0:1]
	v_add_nc_u64_e32 v[10:11], s[16:17], v[0:1]
	s_lshl_b32 s12, s2, 2
	v_lshlrev_b32_e32 v14, 1, v6
	v_add_nc_u64_e32 v[8:9], s[4:5], v[8:9]
	s_lshl_b32 s14, s2, 3
	s_mul_u64 s[16:17], s[2:3], 6
	s_delay_alu instid0(VALU_DEP_2)
	v_add_nc_u64_e32 v[14:15], s[4:5], v[14:15]
	s_branch .LBB175_4
.LBB175_3:                              ;   in Loop: Header=BB175_4 Depth=1
	s_wait_xcnt 0x0
	s_or_b32 exec_lo, exec_lo, s3
	s_add_nc_u64 s[18:19], s[18:19], s[12:13]
	v_add_nc_u64_e32 v[8:9], s[14:15], v[8:9]
	v_cmp_lt_i64_e32 vcc_lo, s[18:19], v[2:3]
	v_add_nc_u64_e32 v[14:15], s[14:15], v[14:15]
	s_cbranch_vccz .LBB175_20
.LBB175_4:                              ; =>This Inner Loop Header: Depth=1
	v_add_nc_u64_e32 v[16:17], s[18:19], v[0:1]
	v_mov_b32_e32 v23, 0
	s_delay_alu instid0(VALU_DEP_2)
	v_cmp_lt_u64_e64 s4, v[16:17], v[4:5]
	s_and_saveexec_b32 s2, s4
	s_cbranch_execz .LBB175_6
; %bb.5:                                ;   in Loop: Header=BB175_4 Depth=1
	global_load_u16 v16, v[8:9], off
	s_wait_loadcnt 0x0
	v_cvt_f32_f16_e32 v23, v16
.LBB175_6:                              ;   in Loop: Header=BB175_4 Depth=1
	s_wait_xcnt 0x0
	s_or_b32 exec_lo, exec_lo, s2
	v_add_nc_u64_e32 v[16:17], s[18:19], v[6:7]
	v_dual_mov_b32 v20, 0 :: v_dual_mov_b32 v22, 0
	s_delay_alu instid0(VALU_DEP_2)
	v_cmp_lt_u64_e64 s3, v[16:17], v[4:5]
	s_and_saveexec_b32 s2, s3
	s_cbranch_execz .LBB175_8
; %bb.7:                                ;   in Loop: Header=BB175_4 Depth=1
	global_load_u16 v16, v[14:15], off
	s_wait_loadcnt 0x0
	v_cvt_f32_f16_e32 v22, v16
.LBB175_8:                              ;   in Loop: Header=BB175_4 Depth=1
	s_wait_xcnt 0x0
	s_or_b32 exec_lo, exec_lo, s2
	v_add_nc_u64_e32 v[16:17], s[18:19], v[12:13]
	v_add_nc_u64_e32 v[18:19], s[12:13], v[8:9]
	s_delay_alu instid0(VALU_DEP_2)
	v_cmp_lt_u64_e64 s2, v[16:17], v[4:5]
	s_and_saveexec_b32 s5, s2
	s_cbranch_execz .LBB175_10
; %bb.9:                                ;   in Loop: Header=BB175_4 Depth=1
	global_load_u16 v16, v[18:19], off
	s_wait_loadcnt 0x0
	v_cvt_f32_f16_e32 v20, v16
.LBB175_10:                             ;   in Loop: Header=BB175_4 Depth=1
	s_wait_xcnt 0x0
	s_or_b32 exec_lo, exec_lo, s5
	v_add_nc_u64_e32 v[16:17], s[18:19], v[10:11]
	v_mov_b32_e32 v21, 0
	s_delay_alu instid0(VALU_DEP_2)
	v_cmp_lt_u64_e32 vcc_lo, v[16:17], v[4:5]
	v_add_nc_u64_e32 v[16:17], s[16:17], v[8:9]
	s_and_saveexec_b32 s5, vcc_lo
	s_cbranch_execnz .LBB175_15
; %bb.11:                               ;   in Loop: Header=BB175_4 Depth=1
	s_or_b32 exec_lo, exec_lo, s5
	s_and_saveexec_b32 s20, s4
	s_cbranch_execnz .LBB175_16
.LBB175_12:                             ;   in Loop: Header=BB175_4 Depth=1
	s_or_b32 exec_lo, exec_lo, s20
	s_and_saveexec_b32 s5, s3
	s_cbranch_execnz .LBB175_17
.LBB175_13:                             ;   in Loop: Header=BB175_4 Depth=1
	s_or_b32 exec_lo, exec_lo, s5
	s_and_saveexec_b32 s4, s2
	s_cbranch_execnz .LBB175_18
.LBB175_14:                             ;   in Loop: Header=BB175_4 Depth=1
	s_or_b32 exec_lo, exec_lo, s4
	s_and_saveexec_b32 s3, vcc_lo
	s_cbranch_execz .LBB175_3
	s_branch .LBB175_19
.LBB175_15:                             ;   in Loop: Header=BB175_4 Depth=1
	global_load_u16 v21, v[16:17], off
	s_wait_loadcnt 0x0
	v_cvt_f32_f16_e32 v21, v21
	s_wait_xcnt 0x0
	s_or_b32 exec_lo, exec_lo, s5
	s_and_saveexec_b32 s20, s4
	s_cbranch_execz .LBB175_12
.LBB175_16:                             ;   in Loop: Header=BB175_4 Depth=1
	v_cmp_gt_f32_e64 s4, 0x800000, v23
	s_delay_alu instid0(VALU_DEP_1) | instskip(NEXT) | instid1(VALU_DEP_1)
	v_cndmask_b32_e64 v24, 0, 32, s4
	v_ldexp_f32 v23, v23, v24
	s_delay_alu instid0(VALU_DEP_1) | instskip(SKIP_1) | instid1(TRANS32_DEP_1)
	v_log_f32_e32 v23, v23
	v_nop
	v_mul_f32_e32 v24, 0x3f317217, v23
	v_cmp_gt_f32_e64 s5, 0x7f800000, |v23|
	s_delay_alu instid0(VALU_DEP_2) | instskip(NEXT) | instid1(VALU_DEP_1)
	v_fma_f32 v24, 0x3f317217, v23, -v24
	v_fmac_f32_e32 v24, 0x3377d1cf, v23
	s_delay_alu instid0(VALU_DEP_1) | instskip(NEXT) | instid1(VALU_DEP_1)
	v_fmac_f32_e32 v24, 0x3f317217, v23
	v_cndmask_b32_e64 v23, v23, v24, s5
	v_cndmask_b32_e64 v24, 0, 0x41b17218, s4
	s_delay_alu instid0(VALU_DEP_1) | instskip(NEXT) | instid1(VALU_DEP_1)
	v_sub_f32_e32 v23, v23, v24
	v_cvt_f16_f32_e32 v23, v23
	global_store_b16 v[8:9], v23, off
	s_wait_xcnt 0x0
	s_or_b32 exec_lo, exec_lo, s20
	s_and_saveexec_b32 s5, s3
	s_cbranch_execz .LBB175_13
.LBB175_17:                             ;   in Loop: Header=BB175_4 Depth=1
	v_cmp_gt_f32_e64 s3, 0x800000, v22
	s_delay_alu instid0(VALU_DEP_1) | instskip(NEXT) | instid1(VALU_DEP_1)
	v_cndmask_b32_e64 v23, 0, 32, s3
	v_ldexp_f32 v22, v22, v23
	s_delay_alu instid0(VALU_DEP_1) | instskip(SKIP_1) | instid1(TRANS32_DEP_1)
	v_log_f32_e32 v22, v22
	v_nop
	v_mul_f32_e32 v23, 0x3f317217, v22
	v_cmp_gt_f32_e64 s4, 0x7f800000, |v22|
	s_delay_alu instid0(VALU_DEP_2) | instskip(NEXT) | instid1(VALU_DEP_1)
	v_fma_f32 v23, 0x3f317217, v22, -v23
	v_fmac_f32_e32 v23, 0x3377d1cf, v22
	s_delay_alu instid0(VALU_DEP_1) | instskip(NEXT) | instid1(VALU_DEP_1)
	v_fmac_f32_e32 v23, 0x3f317217, v22
	v_cndmask_b32_e64 v22, v22, v23, s4
	v_cndmask_b32_e64 v23, 0, 0x41b17218, s3
	s_delay_alu instid0(VALU_DEP_1) | instskip(NEXT) | instid1(VALU_DEP_1)
	v_sub_f32_e32 v22, v22, v23
	v_cvt_f16_f32_e32 v22, v22
	global_store_b16 v[14:15], v22, off
	s_wait_xcnt 0x0
	s_or_b32 exec_lo, exec_lo, s5
	s_and_saveexec_b32 s4, s2
	s_cbranch_execz .LBB175_14
.LBB175_18:                             ;   in Loop: Header=BB175_4 Depth=1
	v_cmp_gt_f32_e64 s2, 0x800000, v20
	s_delay_alu instid0(VALU_DEP_1) | instskip(NEXT) | instid1(VALU_DEP_1)
	v_cndmask_b32_e64 v22, 0, 32, s2
	v_ldexp_f32 v20, v20, v22
	s_delay_alu instid0(VALU_DEP_1) | instskip(SKIP_1) | instid1(TRANS32_DEP_1)
	v_log_f32_e32 v20, v20
	v_nop
	v_mul_f32_e32 v22, 0x3f317217, v20
	v_cmp_gt_f32_e64 s3, 0x7f800000, |v20|
	s_delay_alu instid0(VALU_DEP_2) | instskip(NEXT) | instid1(VALU_DEP_1)
	v_fma_f32 v22, 0x3f317217, v20, -v22
	v_fmac_f32_e32 v22, 0x3377d1cf, v20
	s_delay_alu instid0(VALU_DEP_1) | instskip(NEXT) | instid1(VALU_DEP_1)
	v_fmac_f32_e32 v22, 0x3f317217, v20
	v_cndmask_b32_e64 v20, v20, v22, s3
	v_cndmask_b32_e64 v22, 0, 0x41b17218, s2
	s_delay_alu instid0(VALU_DEP_1) | instskip(NEXT) | instid1(VALU_DEP_1)
	v_sub_f32_e32 v20, v20, v22
	v_cvt_f16_f32_e32 v20, v20
	global_store_b16 v[18:19], v20, off
	s_wait_xcnt 0x0
	s_or_b32 exec_lo, exec_lo, s4
	s_and_saveexec_b32 s3, vcc_lo
	s_cbranch_execz .LBB175_3
.LBB175_19:                             ;   in Loop: Header=BB175_4 Depth=1
	v_cmp_gt_f32_e32 vcc_lo, 0x800000, v21
	v_cndmask_b32_e64 v18, 0, 32, vcc_lo
	s_delay_alu instid0(VALU_DEP_1) | instskip(NEXT) | instid1(VALU_DEP_1)
	v_ldexp_f32 v18, v21, v18
	v_log_f32_e32 v18, v18
	v_nop
	s_delay_alu instid0(TRANS32_DEP_1) | instskip(SKIP_1) | instid1(VALU_DEP_2)
	v_mul_f32_e32 v19, 0x3f317217, v18
	v_cmp_gt_f32_e64 s2, 0x7f800000, |v18|
	v_fma_f32 v19, 0x3f317217, v18, -v19
	s_delay_alu instid0(VALU_DEP_1) | instskip(NEXT) | instid1(VALU_DEP_1)
	v_fmac_f32_e32 v19, 0x3377d1cf, v18
	v_fmac_f32_e32 v19, 0x3f317217, v18
	s_delay_alu instid0(VALU_DEP_1) | instskip(SKIP_1) | instid1(VALU_DEP_1)
	v_cndmask_b32_e64 v18, v18, v19, s2
	v_cndmask_b32_e64 v19, 0, 0x41b17218, vcc_lo
	v_sub_f32_e32 v18, v18, v19
	s_delay_alu instid0(VALU_DEP_1)
	v_cvt_f16_f32_e32 v18, v18
	global_store_b16 v[16:17], v18, off
	s_branch .LBB175_3
.LBB175_20:
	s_cbranch_execz .LBB175_22
	s_branch .LBB175_25
.LBB175_21:
.LBB175_22:
	v_min_i64 v[2:3], 0x10000, s[10:11]
	v_dual_mov_b32 v5, 0 :: v_dual_lshlrev_b32 v4, 2, v0
	s_mov_b32 s2, exec_lo
	s_delay_alu instid0(VALU_DEP_1)
	v_cmpx_lt_i64_e64 v[4:5], v[2:3]
	s_cbranch_execz .LBB175_25
; %bb.23:
	s_load_b32 s2, s[0:1], 0xd3c
	v_dual_mov_b32 v1, v5 :: v_dual_lshlrev_b32 v4, 3, v0
	s_wait_xcnt 0x0
	s_add_nc_u64 s[0:1], s[6:7], s[8:9]
	s_delay_alu instid0(VALU_DEP_1) | instid1(SALU_CYCLE_1)
	v_add_nc_u64_e32 v[6:7], s[0:1], v[4:5]
	s_mov_b32 s1, 0
	s_delay_alu instid0(SALU_CYCLE_1) | instskip(SKIP_1) | instid1(VALU_DEP_1)
	s_mov_b32 s3, s1
	s_mov_b32 s4, s1
	v_add_nc_u64_e32 v[4:5], 4, v[6:7]
	s_wait_kmcnt 0x0
	s_and_b32 s0, s2, 0xffff
	s_delay_alu instid0(SALU_CYCLE_1)
	s_lshl_b32 s2, s0, 3
.LBB175_24:                             ; =>This Inner Loop Header: Depth=1
	global_load_b64 v[6:7], v[4:5], off offset:-4
	v_add_nc_u64_e32 v[0:1], s[0:1], v[0:1]
	s_wait_loadcnt 0x0
	v_cvt_f32_f16_e32 v8, v6
	v_dual_lshrrev_b32 v6, 16, v6 :: v_dual_lshrrev_b32 v9, 16, v7
	v_cvt_f32_f16_e32 v7, v7
	s_delay_alu instid0(VALU_DEP_3) | instskip(NEXT) | instid1(VALU_DEP_2)
	v_log_f32_e32 v8, v8
	v_cvt_f32_f16_e32 v6, v6
	s_delay_alu instid0(VALU_DEP_3) | instskip(NEXT) | instid1(VALU_DEP_3)
	v_cvt_f32_f16_e32 v9, v9
	v_log_f32_e32 v7, v7
	s_delay_alu instid0(VALU_DEP_2) | instskip(NEXT) | instid1(TRANS32_DEP_3)
	v_log_f32_e32 v6, v6
	v_mul_f32_e32 v10, 0x3f317217, v8
	s_delay_alu instid0(VALU_DEP_2) | instskip(SKIP_1) | instid1(TRANS32_DEP_3)
	v_log_f32_e32 v9, v9
	v_cmp_gt_f32_e64 vcc_lo, 0x7f800000, |v8|
	v_mul_f32_e32 v11, 0x3f317217, v7
	s_delay_alu instid0(VALU_DEP_3) | instskip(NEXT) | instid1(TRANS32_DEP_1)
	v_fma_f32 v10, 0x3f317217, v8, -v10
	v_dual_mul_f32 v13, 0x3f317217, v6 :: v_dual_mul_f32 v12, 0x3f317217, v9
	s_delay_alu instid0(VALU_DEP_3) | instskip(NEXT) | instid1(VALU_DEP_3)
	v_fma_f32 v11, 0x3f317217, v7, -v11
	v_fmac_f32_e32 v10, 0x3377d1cf, v8
	s_delay_alu instid0(VALU_DEP_3) | instskip(NEXT) | instid1(VALU_DEP_4)
	v_fma_f32 v13, 0x3f317217, v6, -v13
	v_fma_f32 v12, 0x3f317217, v9, -v12
	s_delay_alu instid0(VALU_DEP_4) | instskip(NEXT) | instid1(VALU_DEP_4)
	v_fmac_f32_e32 v11, 0x3377d1cf, v7
	v_fmac_f32_e32 v10, 0x3f317217, v8
	s_delay_alu instid0(VALU_DEP_3) | instskip(NEXT) | instid1(VALU_DEP_2)
	v_dual_fmac_f32 v13, 0x3377d1cf, v6 :: v_dual_fmac_f32 v12, 0x3377d1cf, v9
	v_dual_fmac_f32 v11, 0x3f317217, v7 :: v_dual_cndmask_b32 v8, v8, v10
	v_cmp_gt_f32_e64 vcc_lo, 0x7f800000, |v7|
	s_delay_alu instid0(VALU_DEP_3) | instskip(NEXT) | instid1(VALU_DEP_3)
	v_dual_fmac_f32 v13, 0x3f317217, v6 :: v_dual_fmac_f32 v12, 0x3f317217, v9
	v_cndmask_b32_e32 v10, v7, v11, vcc_lo
	v_cmp_gt_f32_e64 vcc_lo, 0x7f800000, |v9|
	s_delay_alu instid0(VALU_DEP_3) | instskip(SKIP_3) | instid1(VALU_DEP_4)
	v_cndmask_b32_e32 v9, v9, v12, vcc_lo
	v_cmp_gt_f32_e64 vcc_lo, 0x7f800000, |v6|
	v_cndmask_b32_e32 v11, v6, v13, vcc_lo
	v_lshlrev_b64_e32 v[6:7], 2, v[0:1]
	v_cvt_pk_f16_f32 v9, v10, v9
	s_delay_alu instid0(VALU_DEP_3) | instskip(NEXT) | instid1(VALU_DEP_3)
	v_cvt_pk_f16_f32 v8, v8, v11
	v_cmp_ge_i64_e32 vcc_lo, v[6:7], v[2:3]
	global_store_b64 v[4:5], v[8:9], off offset:-4
	s_wait_xcnt 0x0
	v_add_nc_u64_e32 v[4:5], s[2:3], v[4:5]
	s_or_b32 s4, vcc_lo, s4
	s_delay_alu instid0(SALU_CYCLE_1)
	s_and_not1_b32 exec_lo, exec_lo, s4
	s_cbranch_execnz .LBB175_24
.LBB175_25:
	s_endpgm
	.section	.rodata,"a",@progbits
	.p2align	6, 0x0
	.amdhsa_kernel _ZN2at6native12_GLOBAL__N_125multi_tensor_apply_kernelINS1_18TensorListMetadataILi1EEENS1_14UnaryOpFunctorIN3c104HalfELi1ELi1ELi0EEEJNS0_3LogIfEEEEEvT_T0_DpT1_
		.amdhsa_group_segment_fixed_size 0
		.amdhsa_private_segment_fixed_size 0
		.amdhsa_kernarg_size 3632
		.amdhsa_user_sgpr_count 2
		.amdhsa_user_sgpr_dispatch_ptr 0
		.amdhsa_user_sgpr_queue_ptr 0
		.amdhsa_user_sgpr_kernarg_segment_ptr 1
		.amdhsa_user_sgpr_dispatch_id 0
		.amdhsa_user_sgpr_kernarg_preload_length 0
		.amdhsa_user_sgpr_kernarg_preload_offset 0
		.amdhsa_user_sgpr_private_segment_size 0
		.amdhsa_wavefront_size32 1
		.amdhsa_uses_dynamic_stack 0
		.amdhsa_enable_private_segment 0
		.amdhsa_system_sgpr_workgroup_id_x 1
		.amdhsa_system_sgpr_workgroup_id_y 0
		.amdhsa_system_sgpr_workgroup_id_z 0
		.amdhsa_system_sgpr_workgroup_info 0
		.amdhsa_system_vgpr_workitem_id 0
		.amdhsa_next_free_vgpr 25
		.amdhsa_next_free_sgpr 21
		.amdhsa_named_barrier_count 0
		.amdhsa_reserve_vcc 1
		.amdhsa_float_round_mode_32 0
		.amdhsa_float_round_mode_16_64 0
		.amdhsa_float_denorm_mode_32 3
		.amdhsa_float_denorm_mode_16_64 3
		.amdhsa_fp16_overflow 0
		.amdhsa_memory_ordered 1
		.amdhsa_forward_progress 1
		.amdhsa_inst_pref_size 14
		.amdhsa_round_robin_scheduling 0
		.amdhsa_exception_fp_ieee_invalid_op 0
		.amdhsa_exception_fp_denorm_src 0
		.amdhsa_exception_fp_ieee_div_zero 0
		.amdhsa_exception_fp_ieee_overflow 0
		.amdhsa_exception_fp_ieee_underflow 0
		.amdhsa_exception_fp_ieee_inexact 0
		.amdhsa_exception_int_div_zero 0
	.end_amdhsa_kernel
	.section	.text._ZN2at6native12_GLOBAL__N_125multi_tensor_apply_kernelINS1_18TensorListMetadataILi1EEENS1_14UnaryOpFunctorIN3c104HalfELi1ELi1ELi0EEEJNS0_3LogIfEEEEEvT_T0_DpT1_,"axG",@progbits,_ZN2at6native12_GLOBAL__N_125multi_tensor_apply_kernelINS1_18TensorListMetadataILi1EEENS1_14UnaryOpFunctorIN3c104HalfELi1ELi1ELi0EEEJNS0_3LogIfEEEEEvT_T0_DpT1_,comdat
.Lfunc_end175:
	.size	_ZN2at6native12_GLOBAL__N_125multi_tensor_apply_kernelINS1_18TensorListMetadataILi1EEENS1_14UnaryOpFunctorIN3c104HalfELi1ELi1ELi0EEEJNS0_3LogIfEEEEEvT_T0_DpT1_, .Lfunc_end175-_ZN2at6native12_GLOBAL__N_125multi_tensor_apply_kernelINS1_18TensorListMetadataILi1EEENS1_14UnaryOpFunctorIN3c104HalfELi1ELi1ELi0EEEJNS0_3LogIfEEEEEvT_T0_DpT1_
                                        ; -- End function
	.set _ZN2at6native12_GLOBAL__N_125multi_tensor_apply_kernelINS1_18TensorListMetadataILi1EEENS1_14UnaryOpFunctorIN3c104HalfELi1ELi1ELi0EEEJNS0_3LogIfEEEEEvT_T0_DpT1_.num_vgpr, 25
	.set _ZN2at6native12_GLOBAL__N_125multi_tensor_apply_kernelINS1_18TensorListMetadataILi1EEENS1_14UnaryOpFunctorIN3c104HalfELi1ELi1ELi0EEEJNS0_3LogIfEEEEEvT_T0_DpT1_.num_agpr, 0
	.set _ZN2at6native12_GLOBAL__N_125multi_tensor_apply_kernelINS1_18TensorListMetadataILi1EEENS1_14UnaryOpFunctorIN3c104HalfELi1ELi1ELi0EEEJNS0_3LogIfEEEEEvT_T0_DpT1_.numbered_sgpr, 21
	.set _ZN2at6native12_GLOBAL__N_125multi_tensor_apply_kernelINS1_18TensorListMetadataILi1EEENS1_14UnaryOpFunctorIN3c104HalfELi1ELi1ELi0EEEJNS0_3LogIfEEEEEvT_T0_DpT1_.num_named_barrier, 0
	.set _ZN2at6native12_GLOBAL__N_125multi_tensor_apply_kernelINS1_18TensorListMetadataILi1EEENS1_14UnaryOpFunctorIN3c104HalfELi1ELi1ELi0EEEJNS0_3LogIfEEEEEvT_T0_DpT1_.private_seg_size, 0
	.set _ZN2at6native12_GLOBAL__N_125multi_tensor_apply_kernelINS1_18TensorListMetadataILi1EEENS1_14UnaryOpFunctorIN3c104HalfELi1ELi1ELi0EEEJNS0_3LogIfEEEEEvT_T0_DpT1_.uses_vcc, 1
	.set _ZN2at6native12_GLOBAL__N_125multi_tensor_apply_kernelINS1_18TensorListMetadataILi1EEENS1_14UnaryOpFunctorIN3c104HalfELi1ELi1ELi0EEEJNS0_3LogIfEEEEEvT_T0_DpT1_.uses_flat_scratch, 0
	.set _ZN2at6native12_GLOBAL__N_125multi_tensor_apply_kernelINS1_18TensorListMetadataILi1EEENS1_14UnaryOpFunctorIN3c104HalfELi1ELi1ELi0EEEJNS0_3LogIfEEEEEvT_T0_DpT1_.has_dyn_sized_stack, 0
	.set _ZN2at6native12_GLOBAL__N_125multi_tensor_apply_kernelINS1_18TensorListMetadataILi1EEENS1_14UnaryOpFunctorIN3c104HalfELi1ELi1ELi0EEEJNS0_3LogIfEEEEEvT_T0_DpT1_.has_recursion, 0
	.set _ZN2at6native12_GLOBAL__N_125multi_tensor_apply_kernelINS1_18TensorListMetadataILi1EEENS1_14UnaryOpFunctorIN3c104HalfELi1ELi1ELi0EEEJNS0_3LogIfEEEEEvT_T0_DpT1_.has_indirect_call, 0
	.section	.AMDGPU.csdata,"",@progbits
; Kernel info:
; codeLenInByte = 1736
; TotalNumSgprs: 23
; NumVgprs: 25
; ScratchSize: 0
; MemoryBound: 0
; FloatMode: 240
; IeeeMode: 1
; LDSByteSize: 0 bytes/workgroup (compile time only)
; SGPRBlocks: 0
; VGPRBlocks: 1
; NumSGPRsForWavesPerEU: 23
; NumVGPRsForWavesPerEU: 25
; NamedBarCnt: 0
; Occupancy: 16
; WaveLimiterHint : 0
; COMPUTE_PGM_RSRC2:SCRATCH_EN: 0
; COMPUTE_PGM_RSRC2:USER_SGPR: 2
; COMPUTE_PGM_RSRC2:TRAP_HANDLER: 0
; COMPUTE_PGM_RSRC2:TGID_X_EN: 1
; COMPUTE_PGM_RSRC2:TGID_Y_EN: 0
; COMPUTE_PGM_RSRC2:TGID_Z_EN: 0
; COMPUTE_PGM_RSRC2:TIDIG_COMP_CNT: 0
	.section	.text._ZN2at6native12_GLOBAL__N_125multi_tensor_apply_kernelINS1_18TensorListMetadataILi1EEENS1_14UnaryOpFunctorIN3c108BFloat16ELi1ELi1ELi0EEEJNS0_3LogIfEEEEEvT_T0_DpT1_,"axG",@progbits,_ZN2at6native12_GLOBAL__N_125multi_tensor_apply_kernelINS1_18TensorListMetadataILi1EEENS1_14UnaryOpFunctorIN3c108BFloat16ELi1ELi1ELi0EEEJNS0_3LogIfEEEEEvT_T0_DpT1_,comdat
	.globl	_ZN2at6native12_GLOBAL__N_125multi_tensor_apply_kernelINS1_18TensorListMetadataILi1EEENS1_14UnaryOpFunctorIN3c108BFloat16ELi1ELi1ELi0EEEJNS0_3LogIfEEEEEvT_T0_DpT1_ ; -- Begin function _ZN2at6native12_GLOBAL__N_125multi_tensor_apply_kernelINS1_18TensorListMetadataILi1EEENS1_14UnaryOpFunctorIN3c108BFloat16ELi1ELi1ELi0EEEJNS0_3LogIfEEEEEvT_T0_DpT1_
	.p2align	8
	.type	_ZN2at6native12_GLOBAL__N_125multi_tensor_apply_kernelINS1_18TensorListMetadataILi1EEENS1_14UnaryOpFunctorIN3c108BFloat16ELi1ELi1ELi0EEEJNS0_3LogIfEEEEEvT_T0_DpT1_,@function
_ZN2at6native12_GLOBAL__N_125multi_tensor_apply_kernelINS1_18TensorListMetadataILi1EEENS1_14UnaryOpFunctorIN3c108BFloat16ELi1ELi1ELi0EEEJNS0_3LogIfEEEEEvT_T0_DpT1_: ; @_ZN2at6native12_GLOBAL__N_125multi_tensor_apply_kernelINS1_18TensorListMetadataILi1EEENS1_14UnaryOpFunctorIN3c108BFloat16ELi1ELi1ELi0EEEJNS0_3LogIfEEEEEvT_T0_DpT1_
; %bb.0:
	s_bfe_u32 s2, ttmp6, 0x4000c
	s_and_b32 s3, ttmp6, 15
	s_add_co_i32 s2, s2, 1
	s_getreg_b32 s4, hwreg(HW_REG_IB_STS2, 6, 4)
	s_mul_i32 s2, ttmp9, s2
	s_delay_alu instid0(SALU_CYCLE_1)
	s_add_co_i32 s3, s3, s2
	s_cmp_eq_u32 s4, 0
	s_cselect_b32 s2, ttmp9, s3
	s_mov_b32 s3, 0
	s_load_u8 s8, s[0:1], s2 offset:0x6e0
	s_add_nc_u64 s[4:5], s[0:1], s[2:3]
	s_mul_u64 s[6:7], s[2:3], 3
	s_delay_alu instid0(SALU_CYCLE_1)
	s_add_nc_u64 s[4:5], s[4:5], s[6:7]
	s_load_b32 s10, s[4:5], 0x820
	s_wait_kmcnt 0x0
	s_clause 0x1
	s_load_b64 s[6:7], s[0:1], s8 offset:0x0 scale_offset
	s_load_b64 s[12:13], s[0:1], s8 offset:0x370 scale_offset
	s_ashr_i32 s11, s10, 31
	s_wait_kmcnt 0x0
	s_and_b64 s[4:5], s[6:7], 7
	s_and_b32 s2, s12, 3
	s_lshl_b64 s[8:9], s[10:11], 17
	s_or_b64 s[2:3], s[4:5], s[2:3]
	s_lshl_b64 s[4:5], s[10:11], 16
	s_cmp_eq_u64 s[2:3], 0
	s_sub_nc_u64 s[10:11], s[12:13], s[4:5]
	s_cbranch_scc1 .LBB176_21
; %bb.1:
	v_cmp_lt_i64_e64 s2, s[10:11], 1
	s_and_b32 vcc_lo, exec_lo, s2
	s_cbranch_vccnz .LBB176_20
; %bb.2:
	s_load_b32 s2, s[0:1], 0xd3c
	v_min_i64 v[2:3], 0x10000, s[10:11]
	v_min_u64 v[4:5], 0x10000, s[10:11]
	v_dual_mov_b32 v1, 0 :: v_dual_lshlrev_b32 v8, 1, v0
	s_mov_b32 s3, 0
	s_add_nc_u64 s[4:5], s[6:7], s[8:9]
	s_mov_b32 s15, s3
	s_delay_alu instid0(VALU_DEP_1)
	v_mov_b32_e32 v15, v1
	s_mov_b32 s17, s3
	s_mov_b32 s13, s3
	s_mov_b64 s[18:19], 0
	s_wait_kmcnt 0x0
	s_and_b32 s2, s2, 0xffff
	s_delay_alu instid0(SALU_CYCLE_1)
	v_add_nc_u64_e32 v[6:7], s[2:3], v[0:1]
	v_mov_b32_e32 v9, v1
	s_lshl_b32 s14, s2, 1
	s_mul_i32 s16, s2, 3
	v_add_nc_u64_e32 v[12:13], s[14:15], v[0:1]
	v_add_nc_u64_e32 v[10:11], s[16:17], v[0:1]
	s_lshl_b32 s12, s2, 2
	v_lshlrev_b32_e32 v14, 1, v6
	v_add_nc_u64_e32 v[8:9], s[4:5], v[8:9]
	s_lshl_b32 s14, s2, 3
	s_mul_u64 s[16:17], s[2:3], 6
	s_delay_alu instid0(VALU_DEP_2)
	v_add_nc_u64_e32 v[14:15], s[4:5], v[14:15]
	s_branch .LBB176_4
.LBB176_3:                              ;   in Loop: Header=BB176_4 Depth=1
	s_wait_xcnt 0x0
	s_or_b32 exec_lo, exec_lo, s3
	s_add_nc_u64 s[18:19], s[18:19], s[12:13]
	v_add_nc_u64_e32 v[8:9], s[14:15], v[8:9]
	v_cmp_lt_i64_e32 vcc_lo, s[18:19], v[2:3]
	v_add_nc_u64_e32 v[14:15], s[14:15], v[14:15]
	s_cbranch_vccz .LBB176_20
.LBB176_4:                              ; =>This Inner Loop Header: Depth=1
	v_add_nc_u64_e32 v[16:17], s[18:19], v[0:1]
	v_mov_b32_e32 v23, 0
	s_delay_alu instid0(VALU_DEP_2)
	v_cmp_lt_u64_e64 s4, v[16:17], v[4:5]
	s_and_saveexec_b32 s2, s4
	s_cbranch_execz .LBB176_6
; %bb.5:                                ;   in Loop: Header=BB176_4 Depth=1
	global_load_u16 v16, v[8:9], off
	s_wait_loadcnt 0x0
	v_lshlrev_b32_e32 v23, 16, v16
.LBB176_6:                              ;   in Loop: Header=BB176_4 Depth=1
	s_wait_xcnt 0x0
	s_or_b32 exec_lo, exec_lo, s2
	v_add_nc_u64_e32 v[16:17], s[18:19], v[6:7]
	v_dual_mov_b32 v20, 0 :: v_dual_mov_b32 v22, 0
	s_delay_alu instid0(VALU_DEP_2)
	v_cmp_lt_u64_e64 s3, v[16:17], v[4:5]
	s_and_saveexec_b32 s2, s3
	s_cbranch_execz .LBB176_8
; %bb.7:                                ;   in Loop: Header=BB176_4 Depth=1
	global_load_u16 v16, v[14:15], off
	s_wait_loadcnt 0x0
	v_lshlrev_b32_e32 v22, 16, v16
.LBB176_8:                              ;   in Loop: Header=BB176_4 Depth=1
	s_wait_xcnt 0x0
	s_or_b32 exec_lo, exec_lo, s2
	v_add_nc_u64_e32 v[16:17], s[18:19], v[12:13]
	v_add_nc_u64_e32 v[18:19], s[12:13], v[8:9]
	s_delay_alu instid0(VALU_DEP_2)
	v_cmp_lt_u64_e64 s2, v[16:17], v[4:5]
	s_and_saveexec_b32 s5, s2
	s_cbranch_execz .LBB176_10
; %bb.9:                                ;   in Loop: Header=BB176_4 Depth=1
	global_load_u16 v16, v[18:19], off
	s_wait_loadcnt 0x0
	v_lshlrev_b32_e32 v20, 16, v16
.LBB176_10:                             ;   in Loop: Header=BB176_4 Depth=1
	s_wait_xcnt 0x0
	s_or_b32 exec_lo, exec_lo, s5
	v_add_nc_u64_e32 v[16:17], s[18:19], v[10:11]
	v_mov_b32_e32 v21, 0
	s_delay_alu instid0(VALU_DEP_2)
	v_cmp_lt_u64_e32 vcc_lo, v[16:17], v[4:5]
	v_add_nc_u64_e32 v[16:17], s[16:17], v[8:9]
	s_and_saveexec_b32 s5, vcc_lo
	s_cbranch_execnz .LBB176_15
; %bb.11:                               ;   in Loop: Header=BB176_4 Depth=1
	s_or_b32 exec_lo, exec_lo, s5
	s_and_saveexec_b32 s20, s4
	s_cbranch_execnz .LBB176_16
.LBB176_12:                             ;   in Loop: Header=BB176_4 Depth=1
	s_or_b32 exec_lo, exec_lo, s20
	s_and_saveexec_b32 s5, s3
	s_cbranch_execnz .LBB176_17
.LBB176_13:                             ;   in Loop: Header=BB176_4 Depth=1
	s_or_b32 exec_lo, exec_lo, s5
	s_and_saveexec_b32 s4, s2
	s_cbranch_execnz .LBB176_18
.LBB176_14:                             ;   in Loop: Header=BB176_4 Depth=1
	s_or_b32 exec_lo, exec_lo, s4
	s_and_saveexec_b32 s3, vcc_lo
	s_cbranch_execz .LBB176_3
	s_branch .LBB176_19
.LBB176_15:                             ;   in Loop: Header=BB176_4 Depth=1
	global_load_u16 v21, v[16:17], off
	s_wait_loadcnt 0x0
	v_lshlrev_b32_e32 v21, 16, v21
	s_wait_xcnt 0x0
	s_or_b32 exec_lo, exec_lo, s5
	s_and_saveexec_b32 s20, s4
	s_cbranch_execz .LBB176_12
.LBB176_16:                             ;   in Loop: Header=BB176_4 Depth=1
	v_cmp_gt_f32_e64 s4, 0x800000, v23
	s_delay_alu instid0(VALU_DEP_1) | instskip(NEXT) | instid1(VALU_DEP_1)
	v_cndmask_b32_e64 v24, 0, 32, s4
	v_ldexp_f32 v23, v23, v24
	s_delay_alu instid0(VALU_DEP_1) | instskip(SKIP_1) | instid1(TRANS32_DEP_1)
	v_log_f32_e32 v23, v23
	v_nop
	v_mul_f32_e32 v24, 0x3f317217, v23
	v_cmp_gt_f32_e64 s5, 0x7f800000, |v23|
	s_delay_alu instid0(VALU_DEP_2) | instskip(NEXT) | instid1(VALU_DEP_1)
	v_fma_f32 v24, 0x3f317217, v23, -v24
	v_fmac_f32_e32 v24, 0x3377d1cf, v23
	s_delay_alu instid0(VALU_DEP_1) | instskip(NEXT) | instid1(VALU_DEP_1)
	v_fmac_f32_e32 v24, 0x3f317217, v23
	v_cndmask_b32_e64 v23, v23, v24, s5
	v_cndmask_b32_e64 v24, 0, 0x41b17218, s4
	s_delay_alu instid0(VALU_DEP_1) | instskip(NEXT) | instid1(VALU_DEP_1)
	v_sub_f32_e32 v23, v23, v24
	v_bfe_u32 v24, v23, 16, 1
	v_cmp_o_f32_e64 s4, v23, v23
	s_delay_alu instid0(VALU_DEP_2) | instskip(NEXT) | instid1(VALU_DEP_1)
	v_add3_u32 v24, v23, v24, 0x7fff
	v_lshrrev_b32_e32 v24, 16, v24
	s_delay_alu instid0(VALU_DEP_1)
	v_cndmask_b32_e64 v23, 0x7fc0, v24, s4
	global_store_b16 v[8:9], v23, off
	s_wait_xcnt 0x0
	s_or_b32 exec_lo, exec_lo, s20
	s_and_saveexec_b32 s5, s3
	s_cbranch_execz .LBB176_13
.LBB176_17:                             ;   in Loop: Header=BB176_4 Depth=1
	v_cmp_gt_f32_e64 s3, 0x800000, v22
	s_delay_alu instid0(VALU_DEP_1) | instskip(NEXT) | instid1(VALU_DEP_1)
	v_cndmask_b32_e64 v23, 0, 32, s3
	v_ldexp_f32 v22, v22, v23
	s_delay_alu instid0(VALU_DEP_1) | instskip(SKIP_1) | instid1(TRANS32_DEP_1)
	v_log_f32_e32 v22, v22
	v_nop
	v_mul_f32_e32 v23, 0x3f317217, v22
	v_cmp_gt_f32_e64 s4, 0x7f800000, |v22|
	s_delay_alu instid0(VALU_DEP_2) | instskip(NEXT) | instid1(VALU_DEP_1)
	v_fma_f32 v23, 0x3f317217, v22, -v23
	v_fmac_f32_e32 v23, 0x3377d1cf, v22
	s_delay_alu instid0(VALU_DEP_1) | instskip(NEXT) | instid1(VALU_DEP_1)
	v_fmac_f32_e32 v23, 0x3f317217, v22
	v_cndmask_b32_e64 v22, v22, v23, s4
	v_cndmask_b32_e64 v23, 0, 0x41b17218, s3
	s_delay_alu instid0(VALU_DEP_1) | instskip(NEXT) | instid1(VALU_DEP_1)
	v_sub_f32_e32 v22, v22, v23
	v_bfe_u32 v23, v22, 16, 1
	v_cmp_o_f32_e64 s3, v22, v22
	s_delay_alu instid0(VALU_DEP_2) | instskip(NEXT) | instid1(VALU_DEP_1)
	v_add3_u32 v23, v22, v23, 0x7fff
	v_lshrrev_b32_e32 v23, 16, v23
	s_delay_alu instid0(VALU_DEP_1)
	v_cndmask_b32_e64 v22, 0x7fc0, v23, s3
	global_store_b16 v[14:15], v22, off
	s_wait_xcnt 0x0
	s_or_b32 exec_lo, exec_lo, s5
	s_and_saveexec_b32 s4, s2
	s_cbranch_execz .LBB176_14
.LBB176_18:                             ;   in Loop: Header=BB176_4 Depth=1
	v_cmp_gt_f32_e64 s2, 0x800000, v20
	s_delay_alu instid0(VALU_DEP_1) | instskip(NEXT) | instid1(VALU_DEP_1)
	v_cndmask_b32_e64 v22, 0, 32, s2
	v_ldexp_f32 v20, v20, v22
	s_delay_alu instid0(VALU_DEP_1) | instskip(SKIP_1) | instid1(TRANS32_DEP_1)
	v_log_f32_e32 v20, v20
	v_nop
	v_mul_f32_e32 v22, 0x3f317217, v20
	v_cmp_gt_f32_e64 s3, 0x7f800000, |v20|
	s_delay_alu instid0(VALU_DEP_2) | instskip(NEXT) | instid1(VALU_DEP_1)
	v_fma_f32 v22, 0x3f317217, v20, -v22
	v_fmac_f32_e32 v22, 0x3377d1cf, v20
	s_delay_alu instid0(VALU_DEP_1) | instskip(NEXT) | instid1(VALU_DEP_1)
	v_fmac_f32_e32 v22, 0x3f317217, v20
	v_cndmask_b32_e64 v20, v20, v22, s3
	v_cndmask_b32_e64 v22, 0, 0x41b17218, s2
	s_delay_alu instid0(VALU_DEP_1) | instskip(NEXT) | instid1(VALU_DEP_1)
	v_sub_f32_e32 v20, v20, v22
	v_bfe_u32 v22, v20, 16, 1
	v_cmp_o_f32_e64 s2, v20, v20
	s_delay_alu instid0(VALU_DEP_2) | instskip(NEXT) | instid1(VALU_DEP_1)
	v_add3_u32 v22, v20, v22, 0x7fff
	v_lshrrev_b32_e32 v22, 16, v22
	s_delay_alu instid0(VALU_DEP_1)
	v_cndmask_b32_e64 v20, 0x7fc0, v22, s2
	global_store_b16 v[18:19], v20, off
	s_wait_xcnt 0x0
	s_or_b32 exec_lo, exec_lo, s4
	s_and_saveexec_b32 s3, vcc_lo
	s_cbranch_execz .LBB176_3
.LBB176_19:                             ;   in Loop: Header=BB176_4 Depth=1
	v_cmp_gt_f32_e32 vcc_lo, 0x800000, v21
	v_cndmask_b32_e64 v18, 0, 32, vcc_lo
	s_delay_alu instid0(VALU_DEP_1) | instskip(NEXT) | instid1(VALU_DEP_1)
	v_ldexp_f32 v18, v21, v18
	v_log_f32_e32 v18, v18
	v_nop
	s_delay_alu instid0(TRANS32_DEP_1) | instskip(SKIP_1) | instid1(VALU_DEP_2)
	v_mul_f32_e32 v19, 0x3f317217, v18
	v_cmp_gt_f32_e64 s2, 0x7f800000, |v18|
	v_fma_f32 v19, 0x3f317217, v18, -v19
	s_delay_alu instid0(VALU_DEP_1) | instskip(NEXT) | instid1(VALU_DEP_1)
	v_fmac_f32_e32 v19, 0x3377d1cf, v18
	v_fmac_f32_e32 v19, 0x3f317217, v18
	s_delay_alu instid0(VALU_DEP_1) | instskip(SKIP_1) | instid1(VALU_DEP_1)
	v_cndmask_b32_e64 v18, v18, v19, s2
	v_cndmask_b32_e64 v19, 0, 0x41b17218, vcc_lo
	v_sub_f32_e32 v18, v18, v19
	s_delay_alu instid0(VALU_DEP_1) | instskip(SKIP_1) | instid1(VALU_DEP_2)
	v_bfe_u32 v19, v18, 16, 1
	v_cmp_o_f32_e32 vcc_lo, v18, v18
	v_add3_u32 v19, v18, v19, 0x7fff
	s_delay_alu instid0(VALU_DEP_1) | instskip(NEXT) | instid1(VALU_DEP_1)
	v_lshrrev_b32_e32 v19, 16, v19
	v_cndmask_b32_e32 v18, 0x7fc0, v19, vcc_lo
	global_store_b16 v[16:17], v18, off
	s_branch .LBB176_3
.LBB176_20:
	s_cbranch_execz .LBB176_22
	s_branch .LBB176_25
.LBB176_21:
.LBB176_22:
	v_min_i64 v[2:3], 0x10000, s[10:11]
	v_dual_mov_b32 v5, 0 :: v_dual_lshlrev_b32 v4, 2, v0
	s_mov_b32 s2, exec_lo
	s_delay_alu instid0(VALU_DEP_1)
	v_cmpx_lt_i64_e64 v[4:5], v[2:3]
	s_cbranch_execz .LBB176_25
; %bb.23:
	s_load_b32 s2, s[0:1], 0xd3c
	v_dual_mov_b32 v1, v5 :: v_dual_lshlrev_b32 v4, 3, v0
	s_wait_xcnt 0x0
	s_add_nc_u64 s[0:1], s[6:7], s[8:9]
	s_mov_b32 s5, 0
	s_delay_alu instid0(VALU_DEP_1) | instskip(SKIP_4) | instid1(SALU_CYCLE_1)
	v_add_nc_u64_e32 v[4:5], s[0:1], v[4:5]
	s_mov_b32 s7, s5
	s_mov_b32 s3, s5
	s_wait_kmcnt 0x0
	s_and_b32 s4, s2, 0xffff
	s_lshl_b32 s6, s4, 3
.LBB176_24:                             ; =>This Inner Loop Header: Depth=1
	global_load_b64 v[6:7], v[4:5], off
	v_add_nc_u64_e32 v[0:1], s[4:5], v[0:1]
	s_wait_loadcnt 0x0
	v_alignbit_b32 v9, v7, v6, 16
	v_and_b32_e32 v7, 0xffff0000, v7
	s_delay_alu instid0(VALU_DEP_2) | instskip(NEXT) | instid1(VALU_DEP_2)
	v_and_b32_e32 v9, 0xffff0000, v9
	v_cmp_gt_f32_e64 s1, 0x800000, v7
	s_delay_alu instid0(VALU_DEP_2) | instskip(NEXT) | instid1(VALU_DEP_2)
	v_cmp_gt_f32_e64 s2, 0x800000, v9
	v_cndmask_b32_e64 v12, 0, 32, s1
	v_cndmask_b32_e64 v16, 0, 0x41b17218, s1
	s_delay_alu instid0(VALU_DEP_3) | instskip(NEXT) | instid1(VALU_DEP_3)
	v_cndmask_b32_e64 v17, 0, 0x41b17218, s2
	v_ldexp_f32 v7, v7, v12
	s_delay_alu instid0(VALU_DEP_1) | instskip(SKIP_2) | instid1(VALU_DEP_1)
	v_log_f32_e32 v7, v7
	v_lshlrev_b32_e32 v8, 16, v6
	v_and_b32_e32 v6, 0xffff0000, v6
	v_cmp_gt_f32_e64 s0, 0x800000, v6
	s_delay_alu instid0(TRANS32_DEP_1) | instskip(NEXT) | instid1(VALU_DEP_4)
	v_mul_f32_e32 v13, 0x3f317217, v7
	v_cmp_gt_f32_e32 vcc_lo, 0x800000, v8
	s_delay_alu instid0(VALU_DEP_3) | instskip(NEXT) | instid1(VALU_DEP_3)
	v_cndmask_b32_e64 v11, 0, 32, s0
	v_fma_f32 v13, 0x3f317217, v7, -v13
	v_cndmask_b32_e64 v10, 0, 32, vcc_lo
	v_cndmask_b32_e64 v14, 0, 0x41b17218, s0
	s_delay_alu instid0(VALU_DEP_4) | instskip(SKIP_1) | instid1(VALU_DEP_4)
	v_ldexp_f32 v6, v6, v11
	v_cndmask_b32_e64 v11, 0, 0x41b17218, vcc_lo
	v_ldexp_f32 v8, v8, v10
	v_cndmask_b32_e64 v10, 0, 32, s2
	v_fmac_f32_e32 v13, 0x3377d1cf, v7
	v_log_f32_e32 v6, v6
	s_delay_alu instid0(VALU_DEP_3) | instskip(NEXT) | instid1(VALU_DEP_2)
	v_log_f32_e32 v8, v8
	v_ldexp_f32 v9, v9, v10
	s_delay_alu instid0(TRANS32_DEP_2) | instskip(NEXT) | instid1(VALU_DEP_2)
	v_dual_fmac_f32 v13, 0x3f317217, v7 :: v_dual_mul_f32 v12, 0x3f317217, v6
	v_log_f32_e32 v9, v9
	s_delay_alu instid0(TRANS32_DEP_2) | instskip(SKIP_1) | instid1(VALU_DEP_3)
	v_mul_f32_e32 v10, 0x3f317217, v8
	v_cmp_gt_f32_e64 vcc_lo, 0x7f800000, |v8|
	v_fma_f32 v12, 0x3f317217, v6, -v12
	s_delay_alu instid0(TRANS32_DEP_1) | instskip(NEXT) | instid1(VALU_DEP_4)
	v_mul_f32_e32 v15, 0x3f317217, v9
	v_fma_f32 v10, 0x3f317217, v8, -v10
	s_delay_alu instid0(VALU_DEP_2) | instskip(NEXT) | instid1(VALU_DEP_2)
	v_fma_f32 v15, 0x3f317217, v9, -v15
	v_fmac_f32_e32 v10, 0x3377d1cf, v8
	s_delay_alu instid0(VALU_DEP_2) | instskip(NEXT) | instid1(VALU_DEP_2)
	v_dual_fmac_f32 v12, 0x3377d1cf, v6 :: v_dual_fmac_f32 v15, 0x3377d1cf, v9
	v_fmac_f32_e32 v10, 0x3f317217, v8
	s_delay_alu instid0(VALU_DEP_2) | instskip(NEXT) | instid1(VALU_DEP_2)
	v_dual_fmac_f32 v12, 0x3f317217, v6 :: v_dual_fmac_f32 v15, 0x3f317217, v9
	v_cndmask_b32_e32 v8, v8, v10, vcc_lo
	v_cmp_gt_f32_e64 vcc_lo, 0x7f800000, |v6|
	s_delay_alu instid0(VALU_DEP_3) | instskip(SKIP_1) | instid1(VALU_DEP_2)
	v_cndmask_b32_e32 v6, v6, v12, vcc_lo
	v_cmp_gt_f32_e64 vcc_lo, 0x7f800000, |v7|
	v_dual_sub_f32 v6, v6, v14 :: v_dual_cndmask_b32 v7, v7, v13
	v_cmp_gt_f32_e64 vcc_lo, 0x7f800000, |v9|
	v_sub_f32_e32 v8, v8, v11
	s_delay_alu instid0(VALU_DEP_3) | instskip(NEXT) | instid1(VALU_DEP_3)
	v_bfe_u32 v10, v6, 16, 1
	v_dual_sub_f32 v7, v7, v16 :: v_dual_cndmask_b32 v9, v9, v15, vcc_lo
	s_delay_alu instid0(VALU_DEP_3) | instskip(SKIP_1) | instid1(VALU_DEP_4)
	v_bfe_u32 v11, v8, 16, 1
	v_cmp_o_f32_e32 vcc_lo, v6, v6
	v_add3_u32 v10, v6, v10, 0x7fff
	s_delay_alu instid0(VALU_DEP_4) | instskip(NEXT) | instid1(VALU_DEP_4)
	v_bfe_u32 v12, v7, 16, 1
	v_add3_u32 v11, v8, v11, 0x7fff
	v_sub_f32_e32 v9, v9, v17
	s_delay_alu instid0(VALU_DEP_4) | instskip(NEXT) | instid1(VALU_DEP_4)
	v_and_b32_e32 v10, 0xffff0000, v10
	v_add3_u32 v12, v7, v12, 0x7fff
	s_delay_alu instid0(VALU_DEP_4) | instskip(NEXT) | instid1(VALU_DEP_4)
	v_lshrrev_b32_e32 v11, 16, v11
	v_bfe_u32 v13, v9, 16, 1
	s_delay_alu instid0(VALU_DEP_4) | instskip(SKIP_2) | instid1(VALU_DEP_4)
	v_cndmask_b32_e32 v6, 0x7fc00000, v10, vcc_lo
	v_cmp_o_f32_e32 vcc_lo, v8, v8
	v_and_b32_e32 v12, 0xffff0000, v12
	v_add3_u32 v13, v9, v13, 0x7fff
	v_cndmask_b32_e32 v8, 0x7fc0, v11, vcc_lo
	v_cmp_o_f32_e32 vcc_lo, v7, v7
	s_delay_alu instid0(VALU_DEP_2) | instskip(SKIP_3) | instid1(VALU_DEP_4)
	v_dual_lshrrev_b32 v13, 16, v13 :: v_dual_bitop2_b32 v8, v8, v6 bitop3:0x54
	v_cndmask_b32_e32 v10, 0x7fc00000, v12, vcc_lo
	v_cmp_o_f32_e32 vcc_lo, v9, v9
	v_lshlrev_b64_e32 v[6:7], 2, v[0:1]
	v_or3_b32 v8, v8, 0, 0
	v_cndmask_b32_e32 v9, 0x7fc0, v13, vcc_lo
	s_delay_alu instid0(VALU_DEP_3) | instskip(NEXT) | instid1(VALU_DEP_2)
	v_cmp_ge_i64_e32 vcc_lo, v[6:7], v[2:3]
	v_or3_b32 v9, 0, v9, v10
	s_or_b32 s3, vcc_lo, s3
	global_store_b64 v[4:5], v[8:9], off
	s_wait_xcnt 0x0
	v_add_nc_u64_e32 v[4:5], s[6:7], v[4:5]
	s_and_not1_b32 exec_lo, exec_lo, s3
	s_cbranch_execnz .LBB176_24
.LBB176_25:
	s_endpgm
	.section	.rodata,"a",@progbits
	.p2align	6, 0x0
	.amdhsa_kernel _ZN2at6native12_GLOBAL__N_125multi_tensor_apply_kernelINS1_18TensorListMetadataILi1EEENS1_14UnaryOpFunctorIN3c108BFloat16ELi1ELi1ELi0EEEJNS0_3LogIfEEEEEvT_T0_DpT1_
		.amdhsa_group_segment_fixed_size 0
		.amdhsa_private_segment_fixed_size 0
		.amdhsa_kernarg_size 3632
		.amdhsa_user_sgpr_count 2
		.amdhsa_user_sgpr_dispatch_ptr 0
		.amdhsa_user_sgpr_queue_ptr 0
		.amdhsa_user_sgpr_kernarg_segment_ptr 1
		.amdhsa_user_sgpr_dispatch_id 0
		.amdhsa_user_sgpr_kernarg_preload_length 0
		.amdhsa_user_sgpr_kernarg_preload_offset 0
		.amdhsa_user_sgpr_private_segment_size 0
		.amdhsa_wavefront_size32 1
		.amdhsa_uses_dynamic_stack 0
		.amdhsa_enable_private_segment 0
		.amdhsa_system_sgpr_workgroup_id_x 1
		.amdhsa_system_sgpr_workgroup_id_y 0
		.amdhsa_system_sgpr_workgroup_id_z 0
		.amdhsa_system_sgpr_workgroup_info 0
		.amdhsa_system_vgpr_workitem_id 0
		.amdhsa_next_free_vgpr 25
		.amdhsa_next_free_sgpr 21
		.amdhsa_named_barrier_count 0
		.amdhsa_reserve_vcc 1
		.amdhsa_float_round_mode_32 0
		.amdhsa_float_round_mode_16_64 0
		.amdhsa_float_denorm_mode_32 3
		.amdhsa_float_denorm_mode_16_64 3
		.amdhsa_fp16_overflow 0
		.amdhsa_memory_ordered 1
		.amdhsa_forward_progress 1
		.amdhsa_inst_pref_size 18
		.amdhsa_round_robin_scheduling 0
		.amdhsa_exception_fp_ieee_invalid_op 0
		.amdhsa_exception_fp_denorm_src 0
		.amdhsa_exception_fp_ieee_div_zero 0
		.amdhsa_exception_fp_ieee_overflow 0
		.amdhsa_exception_fp_ieee_underflow 0
		.amdhsa_exception_fp_ieee_inexact 0
		.amdhsa_exception_int_div_zero 0
	.end_amdhsa_kernel
	.section	.text._ZN2at6native12_GLOBAL__N_125multi_tensor_apply_kernelINS1_18TensorListMetadataILi1EEENS1_14UnaryOpFunctorIN3c108BFloat16ELi1ELi1ELi0EEEJNS0_3LogIfEEEEEvT_T0_DpT1_,"axG",@progbits,_ZN2at6native12_GLOBAL__N_125multi_tensor_apply_kernelINS1_18TensorListMetadataILi1EEENS1_14UnaryOpFunctorIN3c108BFloat16ELi1ELi1ELi0EEEJNS0_3LogIfEEEEEvT_T0_DpT1_,comdat
.Lfunc_end176:
	.size	_ZN2at6native12_GLOBAL__N_125multi_tensor_apply_kernelINS1_18TensorListMetadataILi1EEENS1_14UnaryOpFunctorIN3c108BFloat16ELi1ELi1ELi0EEEJNS0_3LogIfEEEEEvT_T0_DpT1_, .Lfunc_end176-_ZN2at6native12_GLOBAL__N_125multi_tensor_apply_kernelINS1_18TensorListMetadataILi1EEENS1_14UnaryOpFunctorIN3c108BFloat16ELi1ELi1ELi0EEEJNS0_3LogIfEEEEEvT_T0_DpT1_
                                        ; -- End function
	.set _ZN2at6native12_GLOBAL__N_125multi_tensor_apply_kernelINS1_18TensorListMetadataILi1EEENS1_14UnaryOpFunctorIN3c108BFloat16ELi1ELi1ELi0EEEJNS0_3LogIfEEEEEvT_T0_DpT1_.num_vgpr, 25
	.set _ZN2at6native12_GLOBAL__N_125multi_tensor_apply_kernelINS1_18TensorListMetadataILi1EEENS1_14UnaryOpFunctorIN3c108BFloat16ELi1ELi1ELi0EEEJNS0_3LogIfEEEEEvT_T0_DpT1_.num_agpr, 0
	.set _ZN2at6native12_GLOBAL__N_125multi_tensor_apply_kernelINS1_18TensorListMetadataILi1EEENS1_14UnaryOpFunctorIN3c108BFloat16ELi1ELi1ELi0EEEJNS0_3LogIfEEEEEvT_T0_DpT1_.numbered_sgpr, 21
	.set _ZN2at6native12_GLOBAL__N_125multi_tensor_apply_kernelINS1_18TensorListMetadataILi1EEENS1_14UnaryOpFunctorIN3c108BFloat16ELi1ELi1ELi0EEEJNS0_3LogIfEEEEEvT_T0_DpT1_.num_named_barrier, 0
	.set _ZN2at6native12_GLOBAL__N_125multi_tensor_apply_kernelINS1_18TensorListMetadataILi1EEENS1_14UnaryOpFunctorIN3c108BFloat16ELi1ELi1ELi0EEEJNS0_3LogIfEEEEEvT_T0_DpT1_.private_seg_size, 0
	.set _ZN2at6native12_GLOBAL__N_125multi_tensor_apply_kernelINS1_18TensorListMetadataILi1EEENS1_14UnaryOpFunctorIN3c108BFloat16ELi1ELi1ELi0EEEJNS0_3LogIfEEEEEvT_T0_DpT1_.uses_vcc, 1
	.set _ZN2at6native12_GLOBAL__N_125multi_tensor_apply_kernelINS1_18TensorListMetadataILi1EEENS1_14UnaryOpFunctorIN3c108BFloat16ELi1ELi1ELi0EEEJNS0_3LogIfEEEEEvT_T0_DpT1_.uses_flat_scratch, 0
	.set _ZN2at6native12_GLOBAL__N_125multi_tensor_apply_kernelINS1_18TensorListMetadataILi1EEENS1_14UnaryOpFunctorIN3c108BFloat16ELi1ELi1ELi0EEEJNS0_3LogIfEEEEEvT_T0_DpT1_.has_dyn_sized_stack, 0
	.set _ZN2at6native12_GLOBAL__N_125multi_tensor_apply_kernelINS1_18TensorListMetadataILi1EEENS1_14UnaryOpFunctorIN3c108BFloat16ELi1ELi1ELi0EEEJNS0_3LogIfEEEEEvT_T0_DpT1_.has_recursion, 0
	.set _ZN2at6native12_GLOBAL__N_125multi_tensor_apply_kernelINS1_18TensorListMetadataILi1EEENS1_14UnaryOpFunctorIN3c108BFloat16ELi1ELi1ELi0EEEJNS0_3LogIfEEEEEvT_T0_DpT1_.has_indirect_call, 0
	.section	.AMDGPU.csdata,"",@progbits
; Kernel info:
; codeLenInByte = 2288
; TotalNumSgprs: 23
; NumVgprs: 25
; ScratchSize: 0
; MemoryBound: 0
; FloatMode: 240
; IeeeMode: 1
; LDSByteSize: 0 bytes/workgroup (compile time only)
; SGPRBlocks: 0
; VGPRBlocks: 1
; NumSGPRsForWavesPerEU: 23
; NumVGPRsForWavesPerEU: 25
; NamedBarCnt: 0
; Occupancy: 16
; WaveLimiterHint : 0
; COMPUTE_PGM_RSRC2:SCRATCH_EN: 0
; COMPUTE_PGM_RSRC2:USER_SGPR: 2
; COMPUTE_PGM_RSRC2:TRAP_HANDLER: 0
; COMPUTE_PGM_RSRC2:TGID_X_EN: 1
; COMPUTE_PGM_RSRC2:TGID_Y_EN: 0
; COMPUTE_PGM_RSRC2:TGID_Z_EN: 0
; COMPUTE_PGM_RSRC2:TIDIG_COMP_CNT: 0
	.section	.text._ZN2at6native12_GLOBAL__N_125multi_tensor_apply_kernelINS1_18TensorListMetadataILi2EEENS1_14UnaryOpFunctorIdLi2ELi1ELi1EEEJNS0_5Log10IdEEEEEvT_T0_DpT1_,"axG",@progbits,_ZN2at6native12_GLOBAL__N_125multi_tensor_apply_kernelINS1_18TensorListMetadataILi2EEENS1_14UnaryOpFunctorIdLi2ELi1ELi1EEEJNS0_5Log10IdEEEEEvT_T0_DpT1_,comdat
	.globl	_ZN2at6native12_GLOBAL__N_125multi_tensor_apply_kernelINS1_18TensorListMetadataILi2EEENS1_14UnaryOpFunctorIdLi2ELi1ELi1EEEJNS0_5Log10IdEEEEEvT_T0_DpT1_ ; -- Begin function _ZN2at6native12_GLOBAL__N_125multi_tensor_apply_kernelINS1_18TensorListMetadataILi2EEENS1_14UnaryOpFunctorIdLi2ELi1ELi1EEEJNS0_5Log10IdEEEEEvT_T0_DpT1_
	.p2align	8
	.type	_ZN2at6native12_GLOBAL__N_125multi_tensor_apply_kernelINS1_18TensorListMetadataILi2EEENS1_14UnaryOpFunctorIdLi2ELi1ELi1EEEJNS0_5Log10IdEEEEEvT_T0_DpT1_,@function
_ZN2at6native12_GLOBAL__N_125multi_tensor_apply_kernelINS1_18TensorListMetadataILi2EEENS1_14UnaryOpFunctorIdLi2ELi1ELi1EEEJNS0_5Log10IdEEEEEvT_T0_DpT1_: ; @_ZN2at6native12_GLOBAL__N_125multi_tensor_apply_kernelINS1_18TensorListMetadataILi2EEENS1_14UnaryOpFunctorIdLi2ELi1ELi1EEEJNS0_5Log10IdEEEEEvT_T0_DpT1_
; %bb.0:
	s_bfe_u32 s2, ttmp6, 0x4000c
	s_and_b32 s3, ttmp6, 15
	s_add_co_i32 s2, s2, 1
	s_getreg_b32 s4, hwreg(HW_REG_IB_STS2, 6, 4)
	s_mul_i32 s2, ttmp9, s2
	s_mov_b32 s9, 0
	s_add_co_i32 s3, s3, s2
	s_cmp_eq_u32 s4, 0
	s_mov_b32 s15, s9
	s_cselect_b32 s8, ttmp9, s3
	s_load_u8 s11, s[0:1], s8 offset:0x600
	s_add_nc_u64 s[2:3], s[0:1], s[8:9]
	s_mul_u64 s[4:5], s[8:9], 3
	s_delay_alu instid0(SALU_CYCLE_1)
	s_add_nc_u64 s[4:5], s[2:3], s[4:5]
	s_load_b32 s10, s[4:5], 0x740
	s_wait_kmcnt 0x0
	s_clause 0x2
	s_load_b64 s[2:3], s[0:1], s11 offset:0x0 scale_offset
	s_load_b64 s[6:7], s[0:1], s11 offset:0x200 scale_offset
	;; [unrolled: 1-line block ×3, first 2 shown]
	s_wait_xcnt 0x0
	s_ashr_i32 s11, s10, 31
	s_delay_alu instid0(SALU_CYCLE_1)
	s_lshl_b64 s[4:5], s[10:11], 19
	s_wait_kmcnt 0x0
	s_and_b64 s[18:19], s[6:7], 31
	s_add_nc_u64 s[16:17], s[2:3], s[4:5]
	s_and_b32 s14, s12, 3
	s_and_b32 s8, s16, 31
	s_or_b64 s[14:15], s[18:19], s[14:15]
	s_lshl_b64 s[10:11], s[10:11], 16
	s_or_b64 s[14:15], s[14:15], s[8:9]
	s_sub_nc_u64 s[8:9], s[12:13], s[10:11]
	s_cmp_eq_u64 s[14:15], 0
	s_mov_b32 s10, -1
	s_cbranch_scc0 .LBB177_5
; %bb.1:
	v_min_i64 v[14:15], 0x10000, s[8:9]
	v_dual_mov_b32 v3, 0 :: v_dual_lshlrev_b32 v2, 2, v0
	s_mov_b32 s20, exec_lo
	s_delay_alu instid0(VALU_DEP_1)
	v_cmpx_lt_i64_e64 v[2:3], v[14:15]
	s_cbranch_execz .LBB177_4
; %bb.2:
	s_load_b32 s10, s[0:1], 0xc5c
	v_dual_mov_b32 v1, v3 :: v_dual_lshlrev_b32 v2, 5, v0
	v_mov_b64_e32 v[16:17], 0x3fc385386b47b09a
	s_mov_b32 s11, 0
	s_mov_b64 s[12:13], 0x3fe5555555555555
	s_delay_alu instid0(VALU_DEP_2)
	v_mov_b64_e32 v[20:21], v[0:1]
	v_add_nc_u64_e32 v[18:19], s[4:5], v[2:3]
	s_mov_b64 s[14:15], 0x3fd34413509f79ff
	s_mov_b64 s[16:17], 0x3fdbcb7b1526e50e
	s_mov_b32 s19, s11
	s_mov_b32 s21, s11
                                        ; implicit-def: $vgpr2_vgpr3
                                        ; implicit-def: $vgpr2_vgpr3
	;; [unrolled: 1-line block ×5, first 2 shown]
	s_wait_kmcnt 0x0
	s_and_b32 s10, s10, 0xffff
	s_delay_alu instid0(SALU_CYCLE_1)
	s_lshl_b32 s18, s10, 5
.LBB177_3:                              ; =>This Inner Loop Header: Depth=1
	s_delay_alu instid0(VALU_DEP_2)
	v_add_nc_u64_e32 v[6:7], s[2:3], v[18:19]
	v_add_nc_u64_e32 v[20:21], s[10:11], v[20:21]
	s_clause 0x1
	global_load_b128 v[2:5], v[6:7], off offset:16
	global_load_b128 v[8:11], v[6:7], off
	s_wait_loadcnt 0x0
	s_wait_xcnt 0x0
	v_frexp_mant_f64_e32 v[6:7], v[8:9]
	v_frexp_exp_i32_f64_e32 v1, v[8:9]
	s_delay_alu instid0(VALU_DEP_2) | instskip(SKIP_1) | instid1(VALU_DEP_3)
	v_cmp_gt_f64_e32 vcc_lo, s[12:13], v[6:7]
	v_cndmask_b32_e64 v12, 0, 1, vcc_lo
	v_subrev_co_ci_u32_e64 v1, null, 0, v1, vcc_lo
	v_cmp_class_f64_e64 vcc_lo, v[8:9], 0x204
	s_delay_alu instid0(VALU_DEP_3) | instskip(NEXT) | instid1(VALU_DEP_1)
	v_ldexp_f64 v[6:7], v[6:7], v12
	v_add_f64_e32 v[22:23], 1.0, v[6:7]
	v_add_f64_e32 v[12:13], -1.0, v[6:7]
	s_delay_alu instid0(VALU_DEP_2) | instskip(NEXT) | instid1(VALU_DEP_1)
	v_add_f64_e32 v[24:25], -1.0, v[22:23]
	v_add_f64_e64 v[6:7], v[6:7], -v[24:25]
	v_rcp_f64_e32 v[24:25], v[22:23]
	v_nop
	s_delay_alu instid0(TRANS32_DEP_1) | instskip(NEXT) | instid1(VALU_DEP_1)
	v_fma_f64 v[26:27], -v[22:23], v[24:25], 1.0
	v_fmac_f64_e32 v[24:25], v[26:27], v[24:25]
	s_delay_alu instid0(VALU_DEP_1) | instskip(NEXT) | instid1(VALU_DEP_1)
	v_fma_f64 v[26:27], -v[22:23], v[24:25], 1.0
	v_fmac_f64_e32 v[24:25], v[26:27], v[24:25]
	s_delay_alu instid0(VALU_DEP_1) | instskip(NEXT) | instid1(VALU_DEP_1)
	v_mul_f64_e32 v[26:27], v[12:13], v[24:25]
	v_mul_f64_e32 v[28:29], v[22:23], v[26:27]
	s_delay_alu instid0(VALU_DEP_1) | instskip(NEXT) | instid1(VALU_DEP_1)
	v_fma_f64 v[22:23], v[26:27], v[22:23], -v[28:29]
	v_fmac_f64_e32 v[22:23], v[26:27], v[6:7]
	s_delay_alu instid0(VALU_DEP_1) | instskip(NEXT) | instid1(VALU_DEP_1)
	v_add_f64_e32 v[6:7], v[28:29], v[22:23]
	v_add_f64_e64 v[30:31], v[12:13], -v[6:7]
	v_add_f64_e64 v[28:29], v[6:7], -v[28:29]
	s_delay_alu instid0(VALU_DEP_2) | instskip(NEXT) | instid1(VALU_DEP_1)
	v_add_f64_e64 v[12:13], v[12:13], -v[30:31]
	v_add_f64_e64 v[6:7], v[12:13], -v[6:7]
	s_delay_alu instid0(VALU_DEP_3) | instskip(NEXT) | instid1(VALU_DEP_1)
	v_add_f64_e64 v[12:13], v[28:29], -v[22:23]
	v_add_f64_e32 v[6:7], v[12:13], v[6:7]
	s_delay_alu instid0(VALU_DEP_1) | instskip(NEXT) | instid1(VALU_DEP_1)
	v_add_f64_e32 v[6:7], v[30:31], v[6:7]
	v_mul_f64_e32 v[6:7], v[24:25], v[6:7]
	s_delay_alu instid0(VALU_DEP_1) | instskip(NEXT) | instid1(VALU_DEP_1)
	v_add_f64_e32 v[12:13], v[26:27], v[6:7]
	v_add_f64_e64 v[22:23], v[12:13], -v[26:27]
	v_ldexp_f64 v[26:27], v[12:13], 1
	s_delay_alu instid0(VALU_DEP_2) | instskip(SKIP_1) | instid1(VALU_DEP_2)
	v_add_f64_e64 v[6:7], v[6:7], -v[22:23]
	v_mul_f64_e32 v[22:23], v[12:13], v[12:13]
	v_ldexp_f64 v[6:7], v[6:7], 1
	s_delay_alu instid0(VALU_DEP_2) | instskip(SKIP_1) | instid1(VALU_DEP_2)
	v_fmamk_f64 v[24:25], v[22:23], 0x3fc3ab76bf559e2b, v[16:17]
	v_mul_f64_e32 v[12:13], v[12:13], v[22:23]
	v_fmaak_f64 v[24:25], v[22:23], v[24:25], 0x3fc7474dd7f4df2e
	s_delay_alu instid0(VALU_DEP_1) | instskip(NEXT) | instid1(VALU_DEP_1)
	v_fmaak_f64 v[24:25], v[22:23], v[24:25], 0x3fcc71c016291751
	v_fmaak_f64 v[24:25], v[22:23], v[24:25], 0x3fd249249b27acf1
	s_delay_alu instid0(VALU_DEP_1) | instskip(NEXT) | instid1(VALU_DEP_1)
	v_fmaak_f64 v[24:25], v[22:23], v[24:25], 0x3fd99999998ef7b6
	v_fmaak_f64 v[24:25], v[22:23], v[24:25], 0x3fe5555555555780
	s_delay_alu instid0(VALU_DEP_1) | instskip(NEXT) | instid1(VALU_DEP_1)
	v_mul_f64_e32 v[12:13], v[12:13], v[24:25]
	v_add_f64_e32 v[22:23], v[26:27], v[12:13]
	s_delay_alu instid0(VALU_DEP_1) | instskip(NEXT) | instid1(VALU_DEP_1)
	v_add_f64_e64 v[24:25], v[22:23], -v[26:27]
	v_add_f64_e64 v[12:13], v[12:13], -v[24:25]
	s_delay_alu instid0(VALU_DEP_1) | instskip(NEXT) | instid1(VALU_DEP_1)
	v_add_f64_e32 v[6:7], v[6:7], v[12:13]
	v_add_f64_e32 v[12:13], v[22:23], v[6:7]
	s_delay_alu instid0(VALU_DEP_1) | instskip(NEXT) | instid1(VALU_DEP_1)
	v_add_f64_e64 v[22:23], v[12:13], -v[22:23]
	v_add_f64_e64 v[6:7], v[6:7], -v[22:23]
	v_cvt_f64_i32_e32 v[22:23], v1
	s_delay_alu instid0(VALU_DEP_1) | instskip(NEXT) | instid1(VALU_DEP_1)
	v_mul_f64_e32 v[24:25], 0x3fd34413509f79ff, v[22:23]
	v_fma_f64 v[26:27], v[22:23], s[14:15], -v[24:25]
	s_delay_alu instid0(VALU_DEP_1) | instskip(NEXT) | instid1(VALU_DEP_1)
	v_fmac_f64_e32 v[26:27], 0xbc49dc1da994fd21, v[22:23]
	v_add_f64_e32 v[22:23], v[24:25], v[26:27]
	s_delay_alu instid0(VALU_DEP_1) | instskip(NEXT) | instid1(VALU_DEP_1)
	v_add_f64_e64 v[24:25], v[22:23], -v[24:25]
	v_add_f64_e64 v[24:25], v[26:27], -v[24:25]
	v_mul_f64_e32 v[26:27], 0x3fdbcb7b1526e50e, v[12:13]
	s_delay_alu instid0(VALU_DEP_1) | instskip(NEXT) | instid1(VALU_DEP_1)
	v_fma_f64 v[28:29], v[12:13], s[16:17], -v[26:27]
	v_fmac_f64_e32 v[28:29], 0x3fdbcb7b1526e50e, v[6:7]
	s_delay_alu instid0(VALU_DEP_1) | instskip(NEXT) | instid1(VALU_DEP_1)
	v_fmac_f64_e32 v[28:29], 0x3c695355baaafad3, v[12:13]
	v_add_f64_e32 v[6:7], v[26:27], v[28:29]
	s_delay_alu instid0(VALU_DEP_1) | instskip(SKIP_1) | instid1(VALU_DEP_2)
	v_add_f64_e64 v[12:13], v[6:7], -v[26:27]
	v_add_f64_e32 v[26:27], v[22:23], v[6:7]
	v_add_f64_e64 v[12:13], v[28:29], -v[12:13]
	s_delay_alu instid0(VALU_DEP_2) | instskip(NEXT) | instid1(VALU_DEP_1)
	v_add_f64_e64 v[28:29], v[26:27], -v[22:23]
	v_add_f64_e64 v[30:31], v[26:27], -v[28:29]
	;; [unrolled: 1-line block ×3, first 2 shown]
	s_delay_alu instid0(VALU_DEP_2) | instskip(NEXT) | instid1(VALU_DEP_1)
	v_add_f64_e64 v[22:23], v[22:23], -v[30:31]
	v_add_f64_e32 v[6:7], v[6:7], v[22:23]
	v_add_f64_e32 v[22:23], v[24:25], v[12:13]
	s_delay_alu instid0(VALU_DEP_1) | instskip(NEXT) | instid1(VALU_DEP_3)
	v_add_f64_e64 v[28:29], v[22:23], -v[24:25]
	v_add_f64_e32 v[6:7], v[22:23], v[6:7]
	s_delay_alu instid0(VALU_DEP_2) | instskip(SKIP_1) | instid1(VALU_DEP_3)
	v_add_f64_e64 v[30:31], v[22:23], -v[28:29]
	v_add_f64_e64 v[12:13], v[12:13], -v[28:29]
	v_add_f64_e32 v[22:23], v[26:27], v[6:7]
	s_delay_alu instid0(VALU_DEP_3) | instskip(NEXT) | instid1(VALU_DEP_1)
	v_add_f64_e64 v[24:25], v[24:25], -v[30:31]
	v_add_f64_e32 v[12:13], v[12:13], v[24:25]
	s_delay_alu instid0(VALU_DEP_3) | instskip(NEXT) | instid1(VALU_DEP_1)
	v_add_f64_e64 v[24:25], v[22:23], -v[26:27]
	v_add_f64_e64 v[6:7], v[6:7], -v[24:25]
	s_delay_alu instid0(VALU_DEP_1) | instskip(NEXT) | instid1(VALU_DEP_1)
	v_add_f64_e32 v[6:7], v[12:13], v[6:7]
	v_add_f64_e32 v[6:7], v[22:23], v[6:7]
	s_delay_alu instid0(VALU_DEP_1) | instskip(SKIP_1) | instid1(VALU_DEP_2)
	v_dual_cndmask_b32 v1, v6, v8 :: v_dual_cndmask_b32 v6, v7, v9
	v_cmp_ngt_f64_e32 vcc_lo, 0, v[8:9]
	v_cndmask_b32_e32 v7, 0x7ff80000, v6, vcc_lo
	v_cmp_nge_f64_e32 vcc_lo, 0, v[8:9]
	s_delay_alu instid0(VALU_DEP_4) | instskip(SKIP_4) | instid1(VALU_DEP_3)
	v_cndmask_b32_e32 v6, 0, v1, vcc_lo
	v_cmp_neq_f64_e32 vcc_lo, 0, v[8:9]
	v_frexp_mant_f64_e32 v[8:9], v[10:11]
	v_frexp_exp_i32_f64_e32 v1, v[10:11]
	v_cndmask_b32_e32 v7, 0xfff00000, v7, vcc_lo
	v_cmp_gt_f64_e32 vcc_lo, s[12:13], v[8:9]
	v_cndmask_b32_e64 v12, 0, 1, vcc_lo
	s_delay_alu instid0(VALU_DEP_4) | instskip(SKIP_1) | instid1(VALU_DEP_3)
	v_subrev_co_ci_u32_e64 v1, null, 0, v1, vcc_lo
	v_cmp_class_f64_e64 vcc_lo, v[10:11], 0x204
	v_ldexp_f64 v[8:9], v[8:9], v12
	s_delay_alu instid0(VALU_DEP_1) | instskip(SKIP_1) | instid1(VALU_DEP_2)
	v_add_f64_e32 v[22:23], 1.0, v[8:9]
	v_add_f64_e32 v[12:13], -1.0, v[8:9]
	v_add_f64_e32 v[24:25], -1.0, v[22:23]
	s_delay_alu instid0(VALU_DEP_1) | instskip(SKIP_2) | instid1(TRANS32_DEP_1)
	v_add_f64_e64 v[8:9], v[8:9], -v[24:25]
	v_rcp_f64_e32 v[24:25], v[22:23]
	v_nop
	v_fma_f64 v[26:27], -v[22:23], v[24:25], 1.0
	s_delay_alu instid0(VALU_DEP_1) | instskip(NEXT) | instid1(VALU_DEP_1)
	v_fmac_f64_e32 v[24:25], v[26:27], v[24:25]
	v_fma_f64 v[26:27], -v[22:23], v[24:25], 1.0
	s_delay_alu instid0(VALU_DEP_1) | instskip(NEXT) | instid1(VALU_DEP_1)
	v_fmac_f64_e32 v[24:25], v[26:27], v[24:25]
	v_mul_f64_e32 v[26:27], v[12:13], v[24:25]
	s_delay_alu instid0(VALU_DEP_1) | instskip(NEXT) | instid1(VALU_DEP_1)
	v_mul_f64_e32 v[28:29], v[22:23], v[26:27]
	v_fma_f64 v[22:23], v[26:27], v[22:23], -v[28:29]
	s_delay_alu instid0(VALU_DEP_1) | instskip(NEXT) | instid1(VALU_DEP_1)
	v_fmac_f64_e32 v[22:23], v[26:27], v[8:9]
	v_add_f64_e32 v[8:9], v[28:29], v[22:23]
	s_delay_alu instid0(VALU_DEP_1) | instskip(SKIP_1) | instid1(VALU_DEP_2)
	v_add_f64_e64 v[30:31], v[12:13], -v[8:9]
	v_add_f64_e64 v[28:29], v[8:9], -v[28:29]
	;; [unrolled: 1-line block ×3, first 2 shown]
	s_delay_alu instid0(VALU_DEP_1) | instskip(NEXT) | instid1(VALU_DEP_3)
	v_add_f64_e64 v[8:9], v[12:13], -v[8:9]
	v_add_f64_e64 v[12:13], v[28:29], -v[22:23]
	s_delay_alu instid0(VALU_DEP_1) | instskip(NEXT) | instid1(VALU_DEP_1)
	v_add_f64_e32 v[8:9], v[12:13], v[8:9]
	v_add_f64_e32 v[8:9], v[30:31], v[8:9]
	s_delay_alu instid0(VALU_DEP_1) | instskip(NEXT) | instid1(VALU_DEP_1)
	v_mul_f64_e32 v[8:9], v[24:25], v[8:9]
	v_add_f64_e32 v[12:13], v[26:27], v[8:9]
	s_delay_alu instid0(VALU_DEP_1) | instskip(SKIP_1) | instid1(VALU_DEP_2)
	v_add_f64_e64 v[22:23], v[12:13], -v[26:27]
	v_ldexp_f64 v[26:27], v[12:13], 1
	v_add_f64_e64 v[8:9], v[8:9], -v[22:23]
	v_mul_f64_e32 v[22:23], v[12:13], v[12:13]
	s_delay_alu instid0(VALU_DEP_2) | instskip(NEXT) | instid1(VALU_DEP_2)
	v_ldexp_f64 v[8:9], v[8:9], 1
	v_fmamk_f64 v[24:25], v[22:23], 0x3fc3ab76bf559e2b, v[16:17]
	v_mul_f64_e32 v[12:13], v[12:13], v[22:23]
	s_delay_alu instid0(VALU_DEP_2) | instskip(NEXT) | instid1(VALU_DEP_1)
	v_fmaak_f64 v[24:25], v[22:23], v[24:25], 0x3fc7474dd7f4df2e
	v_fmaak_f64 v[24:25], v[22:23], v[24:25], 0x3fcc71c016291751
	s_delay_alu instid0(VALU_DEP_1) | instskip(NEXT) | instid1(VALU_DEP_1)
	v_fmaak_f64 v[24:25], v[22:23], v[24:25], 0x3fd249249b27acf1
	v_fmaak_f64 v[24:25], v[22:23], v[24:25], 0x3fd99999998ef7b6
	s_delay_alu instid0(VALU_DEP_1) | instskip(NEXT) | instid1(VALU_DEP_1)
	v_fmaak_f64 v[24:25], v[22:23], v[24:25], 0x3fe5555555555780
	v_mul_f64_e32 v[12:13], v[12:13], v[24:25]
	s_delay_alu instid0(VALU_DEP_1) | instskip(NEXT) | instid1(VALU_DEP_1)
	v_add_f64_e32 v[22:23], v[26:27], v[12:13]
	v_add_f64_e64 v[24:25], v[22:23], -v[26:27]
	s_delay_alu instid0(VALU_DEP_1) | instskip(NEXT) | instid1(VALU_DEP_1)
	v_add_f64_e64 v[12:13], v[12:13], -v[24:25]
	v_add_f64_e32 v[8:9], v[8:9], v[12:13]
	s_delay_alu instid0(VALU_DEP_1) | instskip(NEXT) | instid1(VALU_DEP_1)
	v_add_f64_e32 v[12:13], v[22:23], v[8:9]
	v_add_f64_e64 v[22:23], v[12:13], -v[22:23]
	s_delay_alu instid0(VALU_DEP_1) | instskip(SKIP_1) | instid1(VALU_DEP_1)
	v_add_f64_e64 v[8:9], v[8:9], -v[22:23]
	v_cvt_f64_i32_e32 v[22:23], v1
	v_mul_f64_e32 v[24:25], 0x3fd34413509f79ff, v[22:23]
	s_delay_alu instid0(VALU_DEP_1) | instskip(NEXT) | instid1(VALU_DEP_1)
	v_fma_f64 v[26:27], v[22:23], s[14:15], -v[24:25]
	v_fmac_f64_e32 v[26:27], 0xbc49dc1da994fd21, v[22:23]
	s_delay_alu instid0(VALU_DEP_1) | instskip(NEXT) | instid1(VALU_DEP_1)
	v_add_f64_e32 v[22:23], v[24:25], v[26:27]
	v_add_f64_e64 v[24:25], v[22:23], -v[24:25]
	s_delay_alu instid0(VALU_DEP_1) | instskip(SKIP_1) | instid1(VALU_DEP_1)
	v_add_f64_e64 v[24:25], v[26:27], -v[24:25]
	v_mul_f64_e32 v[26:27], 0x3fdbcb7b1526e50e, v[12:13]
	v_fma_f64 v[28:29], v[12:13], s[16:17], -v[26:27]
	s_delay_alu instid0(VALU_DEP_1) | instskip(NEXT) | instid1(VALU_DEP_1)
	v_fmac_f64_e32 v[28:29], 0x3fdbcb7b1526e50e, v[8:9]
	v_fmac_f64_e32 v[28:29], 0x3c695355baaafad3, v[12:13]
	s_delay_alu instid0(VALU_DEP_1) | instskip(NEXT) | instid1(VALU_DEP_1)
	v_add_f64_e32 v[8:9], v[26:27], v[28:29]
	v_add_f64_e64 v[12:13], v[8:9], -v[26:27]
	v_add_f64_e32 v[26:27], v[22:23], v[8:9]
	s_delay_alu instid0(VALU_DEP_2) | instskip(NEXT) | instid1(VALU_DEP_2)
	v_add_f64_e64 v[12:13], v[28:29], -v[12:13]
	v_add_f64_e64 v[28:29], v[26:27], -v[22:23]
	s_delay_alu instid0(VALU_DEP_1) | instskip(SKIP_1) | instid1(VALU_DEP_2)
	v_add_f64_e64 v[30:31], v[26:27], -v[28:29]
	v_add_f64_e64 v[8:9], v[8:9], -v[28:29]
	;; [unrolled: 1-line block ×3, first 2 shown]
	s_delay_alu instid0(VALU_DEP_1) | instskip(SKIP_1) | instid1(VALU_DEP_1)
	v_add_f64_e32 v[8:9], v[8:9], v[22:23]
	v_add_f64_e32 v[22:23], v[24:25], v[12:13]
	v_add_f64_e64 v[28:29], v[22:23], -v[24:25]
	s_delay_alu instid0(VALU_DEP_3) | instskip(NEXT) | instid1(VALU_DEP_2)
	v_add_f64_e32 v[8:9], v[22:23], v[8:9]
	v_add_f64_e64 v[30:31], v[22:23], -v[28:29]
	v_add_f64_e64 v[12:13], v[12:13], -v[28:29]
	s_delay_alu instid0(VALU_DEP_3) | instskip(NEXT) | instid1(VALU_DEP_3)
	v_add_f64_e32 v[22:23], v[26:27], v[8:9]
	v_add_f64_e64 v[24:25], v[24:25], -v[30:31]
	s_delay_alu instid0(VALU_DEP_1) | instskip(NEXT) | instid1(VALU_DEP_3)
	v_add_f64_e32 v[12:13], v[12:13], v[24:25]
	v_add_f64_e64 v[24:25], v[22:23], -v[26:27]
	s_delay_alu instid0(VALU_DEP_1) | instskip(NEXT) | instid1(VALU_DEP_1)
	v_add_f64_e64 v[8:9], v[8:9], -v[24:25]
	v_add_f64_e32 v[8:9], v[12:13], v[8:9]
	s_delay_alu instid0(VALU_DEP_1) | instskip(NEXT) | instid1(VALU_DEP_1)
	v_add_f64_e32 v[8:9], v[22:23], v[8:9]
	v_dual_cndmask_b32 v1, v8, v10 :: v_dual_cndmask_b32 v8, v9, v11
	v_cmp_ngt_f64_e32 vcc_lo, 0, v[10:11]
	s_delay_alu instid0(VALU_DEP_2) | instskip(SKIP_1) | instid1(VALU_DEP_4)
	v_cndmask_b32_e32 v9, 0x7ff80000, v8, vcc_lo
	v_cmp_nge_f64_e32 vcc_lo, 0, v[10:11]
	v_cndmask_b32_e32 v8, 0, v1, vcc_lo
	v_cmp_neq_f64_e32 vcc_lo, 0, v[10:11]
	v_frexp_mant_f64_e32 v[10:11], v[2:3]
	v_frexp_exp_i32_f64_e32 v1, v[2:3]
	v_cndmask_b32_e32 v9, 0xfff00000, v9, vcc_lo
	s_delay_alu instid0(VALU_DEP_3) | instskip(SKIP_1) | instid1(VALU_DEP_4)
	v_cmp_gt_f64_e32 vcc_lo, s[12:13], v[10:11]
	v_cndmask_b32_e64 v12, 0, 1, vcc_lo
	v_subrev_co_ci_u32_e64 v1, null, 0, v1, vcc_lo
	v_cmp_class_f64_e64 vcc_lo, v[2:3], 0x204
	s_delay_alu instid0(VALU_DEP_3) | instskip(NEXT) | instid1(VALU_DEP_1)
	v_ldexp_f64 v[10:11], v[10:11], v12
	v_add_f64_e32 v[22:23], 1.0, v[10:11]
	v_add_f64_e32 v[12:13], -1.0, v[10:11]
	s_delay_alu instid0(VALU_DEP_2) | instskip(NEXT) | instid1(VALU_DEP_1)
	v_add_f64_e32 v[24:25], -1.0, v[22:23]
	v_add_f64_e64 v[10:11], v[10:11], -v[24:25]
	v_rcp_f64_e32 v[24:25], v[22:23]
	v_nop
	s_delay_alu instid0(TRANS32_DEP_1) | instskip(NEXT) | instid1(VALU_DEP_1)
	v_fma_f64 v[26:27], -v[22:23], v[24:25], 1.0
	v_fmac_f64_e32 v[24:25], v[26:27], v[24:25]
	s_delay_alu instid0(VALU_DEP_1) | instskip(NEXT) | instid1(VALU_DEP_1)
	v_fma_f64 v[26:27], -v[22:23], v[24:25], 1.0
	v_fmac_f64_e32 v[24:25], v[26:27], v[24:25]
	s_delay_alu instid0(VALU_DEP_1) | instskip(NEXT) | instid1(VALU_DEP_1)
	v_mul_f64_e32 v[26:27], v[12:13], v[24:25]
	v_mul_f64_e32 v[28:29], v[22:23], v[26:27]
	s_delay_alu instid0(VALU_DEP_1) | instskip(NEXT) | instid1(VALU_DEP_1)
	v_fma_f64 v[22:23], v[26:27], v[22:23], -v[28:29]
	v_fmac_f64_e32 v[22:23], v[26:27], v[10:11]
	s_delay_alu instid0(VALU_DEP_1) | instskip(NEXT) | instid1(VALU_DEP_1)
	v_add_f64_e32 v[10:11], v[28:29], v[22:23]
	v_add_f64_e64 v[30:31], v[12:13], -v[10:11]
	v_add_f64_e64 v[28:29], v[10:11], -v[28:29]
	s_delay_alu instid0(VALU_DEP_2) | instskip(NEXT) | instid1(VALU_DEP_1)
	v_add_f64_e64 v[12:13], v[12:13], -v[30:31]
	v_add_f64_e64 v[10:11], v[12:13], -v[10:11]
	s_delay_alu instid0(VALU_DEP_3) | instskip(NEXT) | instid1(VALU_DEP_1)
	v_add_f64_e64 v[12:13], v[28:29], -v[22:23]
	v_add_f64_e32 v[10:11], v[12:13], v[10:11]
	s_delay_alu instid0(VALU_DEP_1) | instskip(NEXT) | instid1(VALU_DEP_1)
	v_add_f64_e32 v[10:11], v[30:31], v[10:11]
	v_mul_f64_e32 v[10:11], v[24:25], v[10:11]
	s_delay_alu instid0(VALU_DEP_1) | instskip(NEXT) | instid1(VALU_DEP_1)
	v_add_f64_e32 v[12:13], v[26:27], v[10:11]
	v_add_f64_e64 v[22:23], v[12:13], -v[26:27]
	v_ldexp_f64 v[26:27], v[12:13], 1
	s_delay_alu instid0(VALU_DEP_2) | instskip(SKIP_1) | instid1(VALU_DEP_2)
	v_add_f64_e64 v[10:11], v[10:11], -v[22:23]
	v_mul_f64_e32 v[22:23], v[12:13], v[12:13]
	v_ldexp_f64 v[10:11], v[10:11], 1
	s_delay_alu instid0(VALU_DEP_2) | instskip(SKIP_1) | instid1(VALU_DEP_2)
	v_fmamk_f64 v[24:25], v[22:23], 0x3fc3ab76bf559e2b, v[16:17]
	v_mul_f64_e32 v[12:13], v[12:13], v[22:23]
	v_fmaak_f64 v[24:25], v[22:23], v[24:25], 0x3fc7474dd7f4df2e
	s_delay_alu instid0(VALU_DEP_1) | instskip(NEXT) | instid1(VALU_DEP_1)
	v_fmaak_f64 v[24:25], v[22:23], v[24:25], 0x3fcc71c016291751
	v_fmaak_f64 v[24:25], v[22:23], v[24:25], 0x3fd249249b27acf1
	s_delay_alu instid0(VALU_DEP_1) | instskip(NEXT) | instid1(VALU_DEP_1)
	v_fmaak_f64 v[24:25], v[22:23], v[24:25], 0x3fd99999998ef7b6
	v_fmaak_f64 v[24:25], v[22:23], v[24:25], 0x3fe5555555555780
	s_delay_alu instid0(VALU_DEP_1) | instskip(NEXT) | instid1(VALU_DEP_1)
	v_mul_f64_e32 v[12:13], v[12:13], v[24:25]
	v_add_f64_e32 v[22:23], v[26:27], v[12:13]
	s_delay_alu instid0(VALU_DEP_1) | instskip(NEXT) | instid1(VALU_DEP_1)
	v_add_f64_e64 v[24:25], v[22:23], -v[26:27]
	v_add_f64_e64 v[12:13], v[12:13], -v[24:25]
	s_delay_alu instid0(VALU_DEP_1) | instskip(NEXT) | instid1(VALU_DEP_1)
	v_add_f64_e32 v[10:11], v[10:11], v[12:13]
	v_add_f64_e32 v[12:13], v[22:23], v[10:11]
	s_delay_alu instid0(VALU_DEP_1) | instskip(NEXT) | instid1(VALU_DEP_1)
	v_add_f64_e64 v[22:23], v[12:13], -v[22:23]
	v_add_f64_e64 v[10:11], v[10:11], -v[22:23]
	v_cvt_f64_i32_e32 v[22:23], v1
	s_delay_alu instid0(VALU_DEP_1) | instskip(NEXT) | instid1(VALU_DEP_1)
	v_mul_f64_e32 v[24:25], 0x3fd34413509f79ff, v[22:23]
	v_fma_f64 v[26:27], v[22:23], s[14:15], -v[24:25]
	s_delay_alu instid0(VALU_DEP_1) | instskip(NEXT) | instid1(VALU_DEP_1)
	v_fmac_f64_e32 v[26:27], 0xbc49dc1da994fd21, v[22:23]
	v_add_f64_e32 v[22:23], v[24:25], v[26:27]
	s_delay_alu instid0(VALU_DEP_1) | instskip(NEXT) | instid1(VALU_DEP_1)
	v_add_f64_e64 v[24:25], v[22:23], -v[24:25]
	v_add_f64_e64 v[24:25], v[26:27], -v[24:25]
	v_mul_f64_e32 v[26:27], 0x3fdbcb7b1526e50e, v[12:13]
	s_delay_alu instid0(VALU_DEP_1) | instskip(NEXT) | instid1(VALU_DEP_1)
	v_fma_f64 v[28:29], v[12:13], s[16:17], -v[26:27]
	v_fmac_f64_e32 v[28:29], 0x3fdbcb7b1526e50e, v[10:11]
	s_delay_alu instid0(VALU_DEP_1) | instskip(NEXT) | instid1(VALU_DEP_1)
	v_fmac_f64_e32 v[28:29], 0x3c695355baaafad3, v[12:13]
	v_add_f64_e32 v[10:11], v[26:27], v[28:29]
	s_delay_alu instid0(VALU_DEP_1) | instskip(SKIP_1) | instid1(VALU_DEP_2)
	v_add_f64_e64 v[12:13], v[10:11], -v[26:27]
	v_add_f64_e32 v[26:27], v[22:23], v[10:11]
	v_add_f64_e64 v[12:13], v[28:29], -v[12:13]
	s_delay_alu instid0(VALU_DEP_2) | instskip(NEXT) | instid1(VALU_DEP_1)
	v_add_f64_e64 v[28:29], v[26:27], -v[22:23]
	v_add_f64_e64 v[30:31], v[26:27], -v[28:29]
	;; [unrolled: 1-line block ×3, first 2 shown]
	s_delay_alu instid0(VALU_DEP_2) | instskip(NEXT) | instid1(VALU_DEP_1)
	v_add_f64_e64 v[22:23], v[22:23], -v[30:31]
	v_add_f64_e32 v[10:11], v[10:11], v[22:23]
	v_add_f64_e32 v[22:23], v[24:25], v[12:13]
	s_delay_alu instid0(VALU_DEP_1) | instskip(NEXT) | instid1(VALU_DEP_3)
	v_add_f64_e64 v[28:29], v[22:23], -v[24:25]
	v_add_f64_e32 v[10:11], v[22:23], v[10:11]
	s_delay_alu instid0(VALU_DEP_2) | instskip(SKIP_1) | instid1(VALU_DEP_3)
	v_add_f64_e64 v[30:31], v[22:23], -v[28:29]
	v_add_f64_e64 v[12:13], v[12:13], -v[28:29]
	v_add_f64_e32 v[22:23], v[26:27], v[10:11]
	s_delay_alu instid0(VALU_DEP_3) | instskip(NEXT) | instid1(VALU_DEP_1)
	v_add_f64_e64 v[24:25], v[24:25], -v[30:31]
	v_add_f64_e32 v[12:13], v[12:13], v[24:25]
	s_delay_alu instid0(VALU_DEP_3) | instskip(NEXT) | instid1(VALU_DEP_1)
	v_add_f64_e64 v[24:25], v[22:23], -v[26:27]
	v_add_f64_e64 v[10:11], v[10:11], -v[24:25]
	s_delay_alu instid0(VALU_DEP_1) | instskip(NEXT) | instid1(VALU_DEP_1)
	v_add_f64_e32 v[10:11], v[12:13], v[10:11]
	v_add_f64_e32 v[10:11], v[22:23], v[10:11]
	s_delay_alu instid0(VALU_DEP_1) | instskip(SKIP_1) | instid1(VALU_DEP_2)
	v_dual_cndmask_b32 v1, v10, v2 :: v_dual_cndmask_b32 v10, v11, v3
	v_cmp_ngt_f64_e32 vcc_lo, 0, v[2:3]
	v_cndmask_b32_e32 v11, 0x7ff80000, v10, vcc_lo
	v_cmp_nge_f64_e32 vcc_lo, 0, v[2:3]
	s_delay_alu instid0(VALU_DEP_4) | instskip(SKIP_4) | instid1(VALU_DEP_3)
	v_cndmask_b32_e32 v10, 0, v1, vcc_lo
	v_cmp_neq_f64_e32 vcc_lo, 0, v[2:3]
	v_frexp_mant_f64_e32 v[2:3], v[4:5]
	v_frexp_exp_i32_f64_e32 v1, v[4:5]
	v_cndmask_b32_e32 v11, 0xfff00000, v11, vcc_lo
	v_cmp_gt_f64_e32 vcc_lo, s[12:13], v[2:3]
	v_cndmask_b32_e64 v12, 0, 1, vcc_lo
	s_delay_alu instid0(VALU_DEP_4) | instskip(SKIP_1) | instid1(VALU_DEP_3)
	v_subrev_co_ci_u32_e64 v1, null, 0, v1, vcc_lo
	v_cmp_class_f64_e64 vcc_lo, v[4:5], 0x204
	v_ldexp_f64 v[2:3], v[2:3], v12
	s_delay_alu instid0(VALU_DEP_1) | instskip(SKIP_1) | instid1(VALU_DEP_2)
	v_add_f64_e32 v[22:23], 1.0, v[2:3]
	v_add_f64_e32 v[12:13], -1.0, v[2:3]
	v_add_f64_e32 v[24:25], -1.0, v[22:23]
	s_delay_alu instid0(VALU_DEP_1) | instskip(SKIP_2) | instid1(TRANS32_DEP_1)
	v_add_f64_e64 v[2:3], v[2:3], -v[24:25]
	v_rcp_f64_e32 v[24:25], v[22:23]
	v_nop
	v_fma_f64 v[26:27], -v[22:23], v[24:25], 1.0
	s_delay_alu instid0(VALU_DEP_1) | instskip(NEXT) | instid1(VALU_DEP_1)
	v_fmac_f64_e32 v[24:25], v[26:27], v[24:25]
	v_fma_f64 v[26:27], -v[22:23], v[24:25], 1.0
	s_delay_alu instid0(VALU_DEP_1) | instskip(NEXT) | instid1(VALU_DEP_1)
	v_fmac_f64_e32 v[24:25], v[26:27], v[24:25]
	v_mul_f64_e32 v[26:27], v[12:13], v[24:25]
	s_delay_alu instid0(VALU_DEP_1) | instskip(NEXT) | instid1(VALU_DEP_1)
	v_mul_f64_e32 v[28:29], v[22:23], v[26:27]
	v_fma_f64 v[22:23], v[26:27], v[22:23], -v[28:29]
	s_delay_alu instid0(VALU_DEP_1) | instskip(NEXT) | instid1(VALU_DEP_1)
	v_fmac_f64_e32 v[22:23], v[26:27], v[2:3]
	v_add_f64_e32 v[2:3], v[28:29], v[22:23]
	s_delay_alu instid0(VALU_DEP_1) | instskip(SKIP_1) | instid1(VALU_DEP_2)
	v_add_f64_e64 v[30:31], v[12:13], -v[2:3]
	v_add_f64_e64 v[28:29], v[2:3], -v[28:29]
	;; [unrolled: 1-line block ×3, first 2 shown]
	s_delay_alu instid0(VALU_DEP_1) | instskip(NEXT) | instid1(VALU_DEP_3)
	v_add_f64_e64 v[2:3], v[12:13], -v[2:3]
	v_add_f64_e64 v[12:13], v[28:29], -v[22:23]
	s_delay_alu instid0(VALU_DEP_1) | instskip(NEXT) | instid1(VALU_DEP_1)
	v_add_f64_e32 v[2:3], v[12:13], v[2:3]
	v_add_f64_e32 v[2:3], v[30:31], v[2:3]
	s_delay_alu instid0(VALU_DEP_1) | instskip(NEXT) | instid1(VALU_DEP_1)
	v_mul_f64_e32 v[2:3], v[24:25], v[2:3]
	v_add_f64_e32 v[12:13], v[26:27], v[2:3]
	s_delay_alu instid0(VALU_DEP_1) | instskip(SKIP_1) | instid1(VALU_DEP_2)
	v_add_f64_e64 v[22:23], v[12:13], -v[26:27]
	v_ldexp_f64 v[26:27], v[12:13], 1
	v_add_f64_e64 v[2:3], v[2:3], -v[22:23]
	v_mul_f64_e32 v[22:23], v[12:13], v[12:13]
	s_delay_alu instid0(VALU_DEP_2) | instskip(NEXT) | instid1(VALU_DEP_2)
	v_ldexp_f64 v[2:3], v[2:3], 1
	v_fmamk_f64 v[24:25], v[22:23], 0x3fc3ab76bf559e2b, v[16:17]
	v_mul_f64_e32 v[12:13], v[12:13], v[22:23]
	s_delay_alu instid0(VALU_DEP_2) | instskip(NEXT) | instid1(VALU_DEP_1)
	v_fmaak_f64 v[24:25], v[22:23], v[24:25], 0x3fc7474dd7f4df2e
	v_fmaak_f64 v[24:25], v[22:23], v[24:25], 0x3fcc71c016291751
	s_delay_alu instid0(VALU_DEP_1) | instskip(NEXT) | instid1(VALU_DEP_1)
	v_fmaak_f64 v[24:25], v[22:23], v[24:25], 0x3fd249249b27acf1
	v_fmaak_f64 v[24:25], v[22:23], v[24:25], 0x3fd99999998ef7b6
	s_delay_alu instid0(VALU_DEP_1) | instskip(NEXT) | instid1(VALU_DEP_1)
	v_fmaak_f64 v[24:25], v[22:23], v[24:25], 0x3fe5555555555780
	v_mul_f64_e32 v[12:13], v[12:13], v[24:25]
	s_delay_alu instid0(VALU_DEP_1) | instskip(NEXT) | instid1(VALU_DEP_1)
	v_add_f64_e32 v[22:23], v[26:27], v[12:13]
	v_add_f64_e64 v[24:25], v[22:23], -v[26:27]
	s_delay_alu instid0(VALU_DEP_1) | instskip(NEXT) | instid1(VALU_DEP_1)
	v_add_f64_e64 v[12:13], v[12:13], -v[24:25]
	v_add_f64_e32 v[12:13], v[2:3], v[12:13]
	s_delay_alu instid0(VALU_DEP_1) | instskip(NEXT) | instid1(VALU_DEP_1)
	v_add_f64_e32 v[2:3], v[22:23], v[12:13]
	v_add_f64_e64 v[22:23], v[2:3], -v[22:23]
	s_delay_alu instid0(VALU_DEP_1) | instskip(SKIP_1) | instid1(VALU_DEP_1)
	v_add_f64_e64 v[12:13], v[12:13], -v[22:23]
	v_cvt_f64_i32_e32 v[22:23], v1
	v_mul_f64_e32 v[24:25], 0x3fd34413509f79ff, v[22:23]
	s_delay_alu instid0(VALU_DEP_1) | instskip(NEXT) | instid1(VALU_DEP_1)
	v_fma_f64 v[26:27], v[22:23], s[14:15], -v[24:25]
	v_fmac_f64_e32 v[26:27], 0xbc49dc1da994fd21, v[22:23]
	s_delay_alu instid0(VALU_DEP_1) | instskip(NEXT) | instid1(VALU_DEP_1)
	v_add_f64_e32 v[22:23], v[24:25], v[26:27]
	v_add_f64_e64 v[24:25], v[22:23], -v[24:25]
	s_delay_alu instid0(VALU_DEP_1) | instskip(SKIP_1) | instid1(VALU_DEP_1)
	v_add_f64_e64 v[24:25], v[26:27], -v[24:25]
	v_mul_f64_e32 v[26:27], 0x3fdbcb7b1526e50e, v[2:3]
	v_fma_f64 v[28:29], v[2:3], s[16:17], -v[26:27]
	s_delay_alu instid0(VALU_DEP_1) | instskip(NEXT) | instid1(VALU_DEP_1)
	v_fmac_f64_e32 v[28:29], 0x3fdbcb7b1526e50e, v[12:13]
	v_fmac_f64_e32 v[28:29], 0x3c695355baaafad3, v[2:3]
	s_delay_alu instid0(VALU_DEP_1) | instskip(NEXT) | instid1(VALU_DEP_1)
	v_add_f64_e32 v[2:3], v[26:27], v[28:29]
	v_add_f64_e64 v[12:13], v[2:3], -v[26:27]
	v_add_f64_e32 v[26:27], v[22:23], v[2:3]
	s_delay_alu instid0(VALU_DEP_2) | instskip(NEXT) | instid1(VALU_DEP_2)
	v_add_f64_e64 v[12:13], v[28:29], -v[12:13]
	v_add_f64_e64 v[28:29], v[26:27], -v[22:23]
	s_delay_alu instid0(VALU_DEP_1) | instskip(SKIP_1) | instid1(VALU_DEP_2)
	v_add_f64_e64 v[30:31], v[26:27], -v[28:29]
	v_add_f64_e64 v[2:3], v[2:3], -v[28:29]
	;; [unrolled: 1-line block ×3, first 2 shown]
	s_delay_alu instid0(VALU_DEP_1) | instskip(SKIP_1) | instid1(VALU_DEP_1)
	v_add_f64_e32 v[2:3], v[2:3], v[22:23]
	v_add_f64_e32 v[22:23], v[24:25], v[12:13]
	v_add_f64_e64 v[28:29], v[22:23], -v[24:25]
	s_delay_alu instid0(VALU_DEP_3) | instskip(NEXT) | instid1(VALU_DEP_2)
	v_add_f64_e32 v[2:3], v[22:23], v[2:3]
	v_add_f64_e64 v[30:31], v[22:23], -v[28:29]
	v_add_f64_e64 v[12:13], v[12:13], -v[28:29]
	s_delay_alu instid0(VALU_DEP_3) | instskip(NEXT) | instid1(VALU_DEP_3)
	v_add_f64_e32 v[22:23], v[26:27], v[2:3]
	v_add_f64_e64 v[24:25], v[24:25], -v[30:31]
	s_delay_alu instid0(VALU_DEP_1) | instskip(NEXT) | instid1(VALU_DEP_3)
	v_add_f64_e32 v[12:13], v[12:13], v[24:25]
	v_add_f64_e64 v[24:25], v[22:23], -v[26:27]
	s_delay_alu instid0(VALU_DEP_1) | instskip(NEXT) | instid1(VALU_DEP_1)
	v_add_f64_e64 v[2:3], v[2:3], -v[24:25]
	v_add_f64_e32 v[2:3], v[12:13], v[2:3]
	s_delay_alu instid0(VALU_DEP_1) | instskip(NEXT) | instid1(VALU_DEP_1)
	v_add_f64_e32 v[2:3], v[22:23], v[2:3]
	v_dual_cndmask_b32 v1, v2, v4 :: v_dual_cndmask_b32 v2, v3, v5
	v_cmp_ngt_f64_e32 vcc_lo, 0, v[4:5]
	s_delay_alu instid0(VALU_DEP_2) | instskip(SKIP_1) | instid1(VALU_DEP_4)
	v_cndmask_b32_e32 v2, 0x7ff80000, v2, vcc_lo
	v_cmp_nge_f64_e32 vcc_lo, 0, v[4:5]
	v_cndmask_b32_e32 v12, 0, v1, vcc_lo
	v_cmp_neq_f64_e32 vcc_lo, 0, v[4:5]
	s_delay_alu instid0(VALU_DEP_4)
	v_cndmask_b32_e32 v13, 0xfff00000, v2, vcc_lo
	v_add_nc_u64_e32 v[2:3], s[6:7], v[18:19]
	s_clause 0x1
	global_store_b128 v[2:3], v[6:9], off
	global_store_b128 v[2:3], v[10:13], off offset:16
	s_wait_xcnt 0x0
	v_lshlrev_b64_e32 v[2:3], 2, v[20:21]
	v_add_nc_u64_e32 v[18:19], s[18:19], v[18:19]
	s_delay_alu instid0(VALU_DEP_2) | instskip(SKIP_1) | instid1(SALU_CYCLE_1)
	v_cmp_ge_i64_e32 vcc_lo, v[2:3], v[14:15]
	s_or_b32 s21, vcc_lo, s21
	s_and_not1_b32 exec_lo, exec_lo, s21
	s_cbranch_execnz .LBB177_3
.LBB177_4:
	s_or_b32 exec_lo, exec_lo, s20
	s_mov_b32 s10, 0
.LBB177_5:
	s_delay_alu instid0(SALU_CYCLE_1)
	s_and_not1_b32 vcc_lo, exec_lo, s10
	s_cbranch_vccnz .LBB177_25
; %bb.6:
	v_cmp_lt_i64_e64 s10, s[8:9], 1
	s_and_b32 vcc_lo, exec_lo, s10
	s_cbranch_vccnz .LBB177_25
; %bb.7:
	s_load_b32 s0, s[0:1], 0xc5c
	v_min_i64 v[2:3], 0x10000, s[8:9]
	v_min_u64 v[4:5], 0x10000, s[8:9]
	v_dual_mov_b32 v1, 0 :: v_dual_lshlrev_b32 v12, 3, v0
	s_mov_b32 s15, 0
	v_mov_b64_e32 v[6:7], 0x3fc385386b47b09a
	s_mov_b32 s17, s15
	s_delay_alu instid0(VALU_DEP_2)
	v_dual_mov_b32 v13, v1 :: v_dual_mov_b32 v29, v1
	s_wait_xcnt 0x0
	s_mov_b32 s1, s15
	s_mov_b32 s13, s15
	s_mov_b64 s[8:9], 0x3fe5555555555555
	v_add_nc_u64_e32 v[8:9], s[2:3], v[12:13]
	s_mov_b64 s[10:11], 0x3fd34413509f79ff
                                        ; implicit-def: $vgpr30_vgpr31
                                        ; implicit-def: $vgpr30_vgpr31
	;; [unrolled: 1-line block ×5, first 2 shown]
	s_wait_kmcnt 0x0
	s_and_b32 s14, s0, 0xffff
	s_delay_alu instid0(SALU_CYCLE_1)
	v_add_nc_u64_e32 v[10:11], s[14:15], v[0:1]
	v_mad_nc_u64_u32 v[24:25], s14, 24, v[12:13]
	s_lshl_b32 s16, s14, 4
	s_mul_i32 s12, s14, 3
	v_add_nc_u64_e32 v[20:21], s[16:17], v[12:13]
	s_lshl_b32 s0, s14, 1
	v_add_nc_u64_e32 v[12:13], s[6:7], v[12:13]
	v_lshlrev_b32_e32 v28, 3, v10
	v_add_nc_u64_e32 v[14:15], s[12:13], v[0:1]
	v_add_nc_u64_e32 v[16:17], s[0:1], v[0:1]
	s_lshl_b32 s12, s14, 2
	v_add_nc_u64_e32 v[18:19], s[2:3], v[20:21]
	v_add_nc_u64_e32 v[20:21], s[6:7], v[20:21]
	;; [unrolled: 1-line block ×6, first 2 shown]
	s_mov_b64 s[6:7], 0x3fdbcb7b1526e50e
	s_lshl_b32 s14, s14, 5
	s_mov_b64 s[16:17], 0
	s_branch .LBB177_9
.LBB177_8:                              ;   in Loop: Header=BB177_9 Depth=1
	s_wait_xcnt 0x0
	s_or_b32 exec_lo, exec_lo, s0
	s_add_nc_u64 s[16:17], s[16:17], s[12:13]
	v_add_nc_u64_e32 v[8:9], s[14:15], v[8:9]
	v_cmp_ge_i64_e32 vcc_lo, s[16:17], v[2:3]
	v_add_nc_u64_e32 v[12:13], s[14:15], v[12:13]
	v_add_nc_u64_e32 v[22:23], s[14:15], v[22:23]
	;; [unrolled: 1-line block ×7, first 2 shown]
	s_cbranch_vccnz .LBB177_25
.LBB177_9:                              ; =>This Inner Loop Header: Depth=1
	s_wait_loadcnt 0x0
	v_add_nc_u64_e32 v[30:31], s[16:17], v[0:1]
	v_mov_b64_e32 v[34:35], 0
	v_mov_b64_e32 v[36:37], 0
	s_delay_alu instid0(VALU_DEP_3)
	v_cmp_lt_u64_e64 s2, v[30:31], v[4:5]
	s_and_saveexec_b32 s0, s2
	s_cbranch_execz .LBB177_11
; %bb.10:                               ;   in Loop: Header=BB177_9 Depth=1
	v_add_nc_u64_e32 v[30:31], s[4:5], v[8:9]
	global_load_b64 v[36:37], v[30:31], off
.LBB177_11:                             ;   in Loop: Header=BB177_9 Depth=1
	s_wait_xcnt 0x0
	s_or_b32 exec_lo, exec_lo, s0
	v_add_nc_u64_e32 v[30:31], s[16:17], v[10:11]
	s_delay_alu instid0(VALU_DEP_1)
	v_cmp_lt_u64_e64 s1, v[30:31], v[4:5]
	s_and_saveexec_b32 s0, s1
	s_cbranch_execz .LBB177_13
; %bb.12:                               ;   in Loop: Header=BB177_9 Depth=1
	v_add_nc_u64_e32 v[30:31], s[4:5], v[26:27]
	global_load_b64 v[34:35], v[30:31], off
.LBB177_13:                             ;   in Loop: Header=BB177_9 Depth=1
	s_wait_xcnt 0x0
	s_or_b32 exec_lo, exec_lo, s0
	v_add_nc_u64_e32 v[32:33], s[16:17], v[16:17]
	v_mov_b64_e32 v[30:31], 0
	s_delay_alu instid0(VALU_DEP_2)
	v_cmp_lt_u64_e64 s0, v[32:33], v[4:5]
	v_mov_b64_e32 v[32:33], 0
	s_and_saveexec_b32 s3, s0
	s_cbranch_execz .LBB177_15
; %bb.14:                               ;   in Loop: Header=BB177_9 Depth=1
	v_add_nc_u64_e32 v[32:33], s[4:5], v[18:19]
	global_load_b64 v[32:33], v[32:33], off
.LBB177_15:                             ;   in Loop: Header=BB177_9 Depth=1
	s_wait_xcnt 0x0
	s_or_b32 exec_lo, exec_lo, s3
	v_add_nc_u64_e32 v[38:39], s[16:17], v[14:15]
	s_delay_alu instid0(VALU_DEP_1)
	v_cmp_lt_u64_e32 vcc_lo, v[38:39], v[4:5]
	s_and_saveexec_b32 s3, vcc_lo
	s_cbranch_execnz .LBB177_20
; %bb.16:                               ;   in Loop: Header=BB177_9 Depth=1
	s_or_b32 exec_lo, exec_lo, s3
	s_and_saveexec_b32 s3, s2
	s_cbranch_execnz .LBB177_21
.LBB177_17:                             ;   in Loop: Header=BB177_9 Depth=1
	s_or_b32 exec_lo, exec_lo, s3
	s_and_saveexec_b32 s2, s1
	s_cbranch_execnz .LBB177_22
.LBB177_18:                             ;   in Loop: Header=BB177_9 Depth=1
	s_or_b32 exec_lo, exec_lo, s2
	s_and_saveexec_b32 s1, s0
	s_cbranch_execnz .LBB177_23
.LBB177_19:                             ;   in Loop: Header=BB177_9 Depth=1
	s_or_b32 exec_lo, exec_lo, s1
	s_and_saveexec_b32 s0, vcc_lo
	s_cbranch_execz .LBB177_8
	s_branch .LBB177_24
.LBB177_20:                             ;   in Loop: Header=BB177_9 Depth=1
	v_add_nc_u64_e32 v[30:31], s[4:5], v[22:23]
	global_load_b64 v[30:31], v[30:31], off
	s_wait_xcnt 0x0
	s_or_b32 exec_lo, exec_lo, s3
	s_and_saveexec_b32 s3, s2
	s_cbranch_execz .LBB177_17
.LBB177_21:                             ;   in Loop: Header=BB177_9 Depth=1
	s_wait_loadcnt 0x0
	v_frexp_mant_f64_e32 v[38:39], v[36:37]
	v_frexp_exp_i32_f64_e32 v40, v[36:37]
	s_delay_alu instid0(VALU_DEP_2) | instskip(NEXT) | instid1(VALU_DEP_1)
	v_cmp_gt_f64_e64 s2, s[8:9], v[38:39]
	v_subrev_co_ci_u32_e64 v52, null, 0, v40, s2
	v_cndmask_b32_e64 v40, 0, 1, s2
	v_cmp_class_f64_e64 s2, v[36:37], 0x204
	s_delay_alu instid0(VALU_DEP_2) | instskip(NEXT) | instid1(VALU_DEP_1)
	v_ldexp_f64 v[38:39], v[38:39], v40
	v_add_f64_e32 v[40:41], 1.0, v[38:39]
	v_add_f64_e32 v[46:47], -1.0, v[38:39]
	s_delay_alu instid0(VALU_DEP_2) | instskip(SKIP_1) | instid1(VALU_DEP_1)
	v_rcp_f64_e32 v[42:43], v[40:41]
	v_add_f64_e32 v[48:49], -1.0, v[40:41]
	v_add_f64_e64 v[38:39], v[38:39], -v[48:49]
	s_delay_alu instid0(TRANS32_DEP_1) | instskip(NEXT) | instid1(VALU_DEP_1)
	v_fma_f64 v[44:45], -v[40:41], v[42:43], 1.0
	v_fmac_f64_e32 v[42:43], v[44:45], v[42:43]
	s_delay_alu instid0(VALU_DEP_1) | instskip(NEXT) | instid1(VALU_DEP_1)
	v_fma_f64 v[44:45], -v[40:41], v[42:43], 1.0
	v_fmac_f64_e32 v[42:43], v[44:45], v[42:43]
	s_delay_alu instid0(VALU_DEP_1) | instskip(NEXT) | instid1(VALU_DEP_1)
	v_mul_f64_e32 v[44:45], v[46:47], v[42:43]
	v_mul_f64_e32 v[50:51], v[40:41], v[44:45]
	s_delay_alu instid0(VALU_DEP_1) | instskip(NEXT) | instid1(VALU_DEP_1)
	v_fma_f64 v[40:41], v[44:45], v[40:41], -v[50:51]
	v_fmac_f64_e32 v[40:41], v[44:45], v[38:39]
	s_delay_alu instid0(VALU_DEP_1) | instskip(NEXT) | instid1(VALU_DEP_1)
	v_add_f64_e32 v[38:39], v[50:51], v[40:41]
	v_add_f64_e64 v[48:49], v[46:47], -v[38:39]
	v_add_f64_e64 v[50:51], v[38:39], -v[50:51]
	s_delay_alu instid0(VALU_DEP_2) | instskip(NEXT) | instid1(VALU_DEP_2)
	v_add_f64_e64 v[46:47], v[46:47], -v[48:49]
	v_add_f64_e64 v[40:41], v[50:51], -v[40:41]
	s_delay_alu instid0(VALU_DEP_2) | instskip(NEXT) | instid1(VALU_DEP_1)
	v_add_f64_e64 v[38:39], v[46:47], -v[38:39]
	v_add_f64_e32 v[38:39], v[40:41], v[38:39]
	s_delay_alu instid0(VALU_DEP_1) | instskip(NEXT) | instid1(VALU_DEP_1)
	v_add_f64_e32 v[38:39], v[48:49], v[38:39]
	v_mul_f64_e32 v[38:39], v[42:43], v[38:39]
	s_delay_alu instid0(VALU_DEP_1) | instskip(NEXT) | instid1(VALU_DEP_1)
	v_add_f64_e32 v[40:41], v[44:45], v[38:39]
	v_mul_f64_e32 v[42:43], v[40:41], v[40:41]
	s_delay_alu instid0(VALU_DEP_1) | instskip(SKIP_1) | instid1(VALU_DEP_2)
	v_fmamk_f64 v[46:47], v[42:43], 0x3fc3ab76bf559e2b, v[6:7]
	v_mul_f64_e32 v[48:49], v[40:41], v[42:43]
	v_fmaak_f64 v[46:47], v[42:43], v[46:47], 0x3fc7474dd7f4df2e
	s_delay_alu instid0(VALU_DEP_1) | instskip(NEXT) | instid1(VALU_DEP_1)
	v_fmaak_f64 v[46:47], v[42:43], v[46:47], 0x3fcc71c016291751
	v_fmaak_f64 v[46:47], v[42:43], v[46:47], 0x3fd249249b27acf1
	s_delay_alu instid0(VALU_DEP_1) | instskip(NEXT) | instid1(VALU_DEP_1)
	v_fmaak_f64 v[46:47], v[42:43], v[46:47], 0x3fd99999998ef7b6
	v_fmaak_f64 v[42:43], v[42:43], v[46:47], 0x3fe5555555555780
	v_ldexp_f64 v[46:47], v[40:41], 1
	v_add_f64_e64 v[40:41], v[40:41], -v[44:45]
	s_delay_alu instid0(VALU_DEP_3) | instskip(NEXT) | instid1(VALU_DEP_2)
	v_mul_f64_e32 v[42:43], v[48:49], v[42:43]
	v_add_f64_e64 v[38:39], v[38:39], -v[40:41]
	s_delay_alu instid0(VALU_DEP_2) | instskip(NEXT) | instid1(VALU_DEP_2)
	v_add_f64_e32 v[44:45], v[46:47], v[42:43]
	v_ldexp_f64 v[38:39], v[38:39], 1
	s_delay_alu instid0(VALU_DEP_2) | instskip(NEXT) | instid1(VALU_DEP_1)
	v_add_f64_e64 v[40:41], v[44:45], -v[46:47]
	v_add_f64_e64 v[40:41], v[42:43], -v[40:41]
	v_cvt_f64_i32_e32 v[42:43], v52
	s_delay_alu instid0(VALU_DEP_2) | instskip(NEXT) | instid1(VALU_DEP_2)
	v_add_f64_e32 v[38:39], v[38:39], v[40:41]
	v_mul_f64_e32 v[48:49], 0x3fd34413509f79ff, v[42:43]
	s_delay_alu instid0(VALU_DEP_2) | instskip(NEXT) | instid1(VALU_DEP_2)
	v_add_f64_e32 v[40:41], v[44:45], v[38:39]
	v_fma_f64 v[50:51], v[42:43], s[10:11], -v[48:49]
	s_delay_alu instid0(VALU_DEP_2) | instskip(SKIP_1) | instid1(VALU_DEP_3)
	v_add_f64_e64 v[44:45], v[40:41], -v[44:45]
	v_mul_f64_e32 v[46:47], 0x3fdbcb7b1526e50e, v[40:41]
	v_fmac_f64_e32 v[50:51], 0xbc49dc1da994fd21, v[42:43]
	s_delay_alu instid0(VALU_DEP_3) | instskip(NEXT) | instid1(VALU_DEP_3)
	v_add_f64_e64 v[38:39], v[38:39], -v[44:45]
	v_fma_f64 v[44:45], v[40:41], s[6:7], -v[46:47]
	s_delay_alu instid0(VALU_DEP_1) | instskip(NEXT) | instid1(VALU_DEP_4)
	v_fmac_f64_e32 v[44:45], 0x3fdbcb7b1526e50e, v[38:39]
	v_add_f64_e32 v[38:39], v[48:49], v[50:51]
	s_delay_alu instid0(VALU_DEP_2) | instskip(NEXT) | instid1(VALU_DEP_2)
	v_fmac_f64_e32 v[44:45], 0x3c695355baaafad3, v[40:41]
	v_add_f64_e64 v[48:49], v[38:39], -v[48:49]
	s_delay_alu instid0(VALU_DEP_2) | instskip(NEXT) | instid1(VALU_DEP_2)
	v_add_f64_e32 v[40:41], v[46:47], v[44:45]
	v_add_f64_e64 v[48:49], v[50:51], -v[48:49]
	s_delay_alu instid0(VALU_DEP_2) | instskip(SKIP_1) | instid1(VALU_DEP_2)
	v_add_f64_e32 v[42:43], v[38:39], v[40:41]
	v_add_f64_e64 v[46:47], v[40:41], -v[46:47]
	v_add_f64_e64 v[52:53], v[42:43], -v[38:39]
	s_delay_alu instid0(VALU_DEP_2) | instskip(NEXT) | instid1(VALU_DEP_2)
	v_add_f64_e64 v[44:45], v[44:45], -v[46:47]
	v_add_f64_e64 v[54:55], v[42:43], -v[52:53]
	;; [unrolled: 1-line block ×3, first 2 shown]
	s_delay_alu instid0(VALU_DEP_3) | instskip(NEXT) | instid1(VALU_DEP_3)
	v_add_f64_e32 v[46:47], v[48:49], v[44:45]
	v_add_f64_e64 v[38:39], v[38:39], -v[54:55]
	s_delay_alu instid0(VALU_DEP_1) | instskip(NEXT) | instid1(VALU_DEP_3)
	v_add_f64_e32 v[38:39], v[40:41], v[38:39]
	v_add_f64_e64 v[40:41], v[46:47], -v[48:49]
	s_delay_alu instid0(VALU_DEP_2) | instskip(NEXT) | instid1(VALU_DEP_2)
	v_add_f64_e32 v[38:39], v[46:47], v[38:39]
	v_add_f64_e64 v[46:47], v[46:47], -v[40:41]
	v_add_f64_e64 v[40:41], v[44:45], -v[40:41]
	s_delay_alu instid0(VALU_DEP_3) | instskip(NEXT) | instid1(VALU_DEP_3)
	v_add_f64_e32 v[50:51], v[42:43], v[38:39]
	v_add_f64_e64 v[44:45], v[48:49], -v[46:47]
	s_delay_alu instid0(VALU_DEP_2) | instskip(NEXT) | instid1(VALU_DEP_2)
	v_add_f64_e64 v[42:43], v[50:51], -v[42:43]
	v_add_f64_e32 v[40:41], v[40:41], v[44:45]
	s_delay_alu instid0(VALU_DEP_2) | instskip(NEXT) | instid1(VALU_DEP_1)
	v_add_f64_e64 v[38:39], v[38:39], -v[42:43]
	v_add_f64_e32 v[38:39], v[40:41], v[38:39]
	v_add_nc_u64_e32 v[40:41], s[4:5], v[12:13]
	s_delay_alu instid0(VALU_DEP_2) | instskip(NEXT) | instid1(VALU_DEP_1)
	v_add_f64_e32 v[38:39], v[50:51], v[38:39]
	v_dual_cndmask_b32 v38, v38, v36, s2 :: v_dual_cndmask_b32 v39, v39, v37, s2
	v_cmp_ngt_f64_e64 s2, 0, v[36:37]
	s_delay_alu instid0(VALU_DEP_1) | instskip(SKIP_1) | instid1(VALU_DEP_1)
	v_cndmask_b32_e64 v39, 0x7ff80000, v39, s2
	v_cmp_nge_f64_e64 s2, 0, v[36:37]
	v_cndmask_b32_e64 v38, 0, v38, s2
	v_cmp_neq_f64_e64 s2, 0, v[36:37]
	s_delay_alu instid0(VALU_DEP_1)
	v_cndmask_b32_e64 v39, 0xfff00000, v39, s2
	global_store_b64 v[40:41], v[38:39], off
	s_wait_xcnt 0x0
	s_or_b32 exec_lo, exec_lo, s3
	s_and_saveexec_b32 s2, s1
	s_cbranch_execz .LBB177_18
.LBB177_22:                             ;   in Loop: Header=BB177_9 Depth=1
	s_wait_loadcnt 0x0
	v_frexp_mant_f64_e32 v[36:37], v[34:35]
	s_delay_alu instid0(VALU_DEP_1) | instskip(NEXT) | instid1(VALU_DEP_1)
	v_cmp_gt_f64_e64 s1, s[8:9], v[36:37]
	v_cndmask_b32_e64 v38, 0, 1, s1
	s_delay_alu instid0(VALU_DEP_1) | instskip(NEXT) | instid1(VALU_DEP_1)
	v_ldexp_f64 v[36:37], v[36:37], v38
	v_add_f64_e32 v[38:39], 1.0, v[36:37]
	v_add_f64_e32 v[44:45], -1.0, v[36:37]
	s_delay_alu instid0(VALU_DEP_2) | instskip(SKIP_1) | instid1(VALU_DEP_1)
	v_rcp_f64_e32 v[40:41], v[38:39]
	v_add_f64_e32 v[46:47], -1.0, v[38:39]
	v_add_f64_e64 v[36:37], v[36:37], -v[46:47]
	s_delay_alu instid0(TRANS32_DEP_1) | instskip(NEXT) | instid1(VALU_DEP_1)
	v_fma_f64 v[42:43], -v[38:39], v[40:41], 1.0
	v_fmac_f64_e32 v[40:41], v[42:43], v[40:41]
	s_delay_alu instid0(VALU_DEP_1) | instskip(NEXT) | instid1(VALU_DEP_1)
	v_fma_f64 v[42:43], -v[38:39], v[40:41], 1.0
	v_fmac_f64_e32 v[40:41], v[42:43], v[40:41]
	s_delay_alu instid0(VALU_DEP_1) | instskip(NEXT) | instid1(VALU_DEP_1)
	v_mul_f64_e32 v[42:43], v[44:45], v[40:41]
	v_mul_f64_e32 v[48:49], v[38:39], v[42:43]
	s_delay_alu instid0(VALU_DEP_1) | instskip(NEXT) | instid1(VALU_DEP_1)
	v_fma_f64 v[38:39], v[42:43], v[38:39], -v[48:49]
	v_fmac_f64_e32 v[38:39], v[42:43], v[36:37]
	s_delay_alu instid0(VALU_DEP_1) | instskip(NEXT) | instid1(VALU_DEP_1)
	v_add_f64_e32 v[36:37], v[48:49], v[38:39]
	v_add_f64_e64 v[46:47], v[44:45], -v[36:37]
	v_add_f64_e64 v[48:49], v[36:37], -v[48:49]
	s_delay_alu instid0(VALU_DEP_2) | instskip(NEXT) | instid1(VALU_DEP_2)
	v_add_f64_e64 v[44:45], v[44:45], -v[46:47]
	v_add_f64_e64 v[38:39], v[48:49], -v[38:39]
	s_delay_alu instid0(VALU_DEP_2) | instskip(NEXT) | instid1(VALU_DEP_1)
	v_add_f64_e64 v[36:37], v[44:45], -v[36:37]
	v_add_f64_e32 v[36:37], v[38:39], v[36:37]
	s_delay_alu instid0(VALU_DEP_1) | instskip(NEXT) | instid1(VALU_DEP_1)
	v_add_f64_e32 v[36:37], v[46:47], v[36:37]
	v_mul_f64_e32 v[36:37], v[40:41], v[36:37]
	s_delay_alu instid0(VALU_DEP_1) | instskip(NEXT) | instid1(VALU_DEP_1)
	v_add_f64_e32 v[38:39], v[42:43], v[36:37]
	v_mul_f64_e32 v[40:41], v[38:39], v[38:39]
	s_delay_alu instid0(VALU_DEP_1) | instskip(SKIP_1) | instid1(VALU_DEP_2)
	v_fmamk_f64 v[44:45], v[40:41], 0x3fc3ab76bf559e2b, v[6:7]
	v_mul_f64_e32 v[46:47], v[38:39], v[40:41]
	v_fmaak_f64 v[44:45], v[40:41], v[44:45], 0x3fc7474dd7f4df2e
	s_delay_alu instid0(VALU_DEP_1) | instskip(NEXT) | instid1(VALU_DEP_1)
	v_fmaak_f64 v[44:45], v[40:41], v[44:45], 0x3fcc71c016291751
	v_fmaak_f64 v[44:45], v[40:41], v[44:45], 0x3fd249249b27acf1
	s_delay_alu instid0(VALU_DEP_1) | instskip(NEXT) | instid1(VALU_DEP_1)
	v_fmaak_f64 v[44:45], v[40:41], v[44:45], 0x3fd99999998ef7b6
	v_fmaak_f64 v[40:41], v[40:41], v[44:45], 0x3fe5555555555780
	v_ldexp_f64 v[44:45], v[38:39], 1
	v_add_f64_e64 v[38:39], v[38:39], -v[42:43]
	s_delay_alu instid0(VALU_DEP_3) | instskip(NEXT) | instid1(VALU_DEP_2)
	v_mul_f64_e32 v[40:41], v[46:47], v[40:41]
	v_add_f64_e64 v[36:37], v[36:37], -v[38:39]
	s_delay_alu instid0(VALU_DEP_2) | instskip(NEXT) | instid1(VALU_DEP_2)
	v_add_f64_e32 v[42:43], v[44:45], v[40:41]
	v_ldexp_f64 v[36:37], v[36:37], 1
	s_delay_alu instid0(VALU_DEP_2) | instskip(NEXT) | instid1(VALU_DEP_1)
	v_add_f64_e64 v[38:39], v[42:43], -v[44:45]
	v_add_f64_e64 v[38:39], v[40:41], -v[38:39]
	v_frexp_exp_i32_f64_e32 v40, v[34:35]
	s_delay_alu instid0(VALU_DEP_2) | instskip(NEXT) | instid1(VALU_DEP_2)
	v_add_f64_e32 v[36:37], v[36:37], v[38:39]
	v_subrev_co_ci_u32_e64 v40, null, 0, v40, s1
	v_cmp_class_f64_e64 s1, v[34:35], 0x204
	s_delay_alu instid0(VALU_DEP_2) | instskip(NEXT) | instid1(VALU_DEP_4)
	v_cvt_f64_i32_e32 v[40:41], v40
	v_add_f64_e32 v[38:39], v[42:43], v[36:37]
	s_delay_alu instid0(VALU_DEP_2) | instskip(NEXT) | instid1(VALU_DEP_2)
	v_mul_f64_e32 v[46:47], 0x3fd34413509f79ff, v[40:41]
	v_add_f64_e64 v[42:43], v[38:39], -v[42:43]
	v_mul_f64_e32 v[44:45], 0x3fdbcb7b1526e50e, v[38:39]
	s_delay_alu instid0(VALU_DEP_3) | instskip(NEXT) | instid1(VALU_DEP_3)
	v_fma_f64 v[48:49], v[40:41], s[10:11], -v[46:47]
	v_add_f64_e64 v[36:37], v[36:37], -v[42:43]
	s_delay_alu instid0(VALU_DEP_3) | instskip(NEXT) | instid1(VALU_DEP_3)
	v_fma_f64 v[42:43], v[38:39], s[6:7], -v[44:45]
	v_fmac_f64_e32 v[48:49], 0xbc49dc1da994fd21, v[40:41]
	s_delay_alu instid0(VALU_DEP_2) | instskip(NEXT) | instid1(VALU_DEP_2)
	v_fmac_f64_e32 v[42:43], 0x3fdbcb7b1526e50e, v[36:37]
	v_add_f64_e32 v[36:37], v[46:47], v[48:49]
	s_delay_alu instid0(VALU_DEP_2) | instskip(NEXT) | instid1(VALU_DEP_2)
	v_fmac_f64_e32 v[42:43], 0x3c695355baaafad3, v[38:39]
	v_add_f64_e64 v[46:47], v[36:37], -v[46:47]
	s_delay_alu instid0(VALU_DEP_2) | instskip(NEXT) | instid1(VALU_DEP_2)
	v_add_f64_e32 v[38:39], v[44:45], v[42:43]
	v_add_f64_e64 v[46:47], v[48:49], -v[46:47]
	s_delay_alu instid0(VALU_DEP_2) | instskip(SKIP_1) | instid1(VALU_DEP_2)
	v_add_f64_e32 v[40:41], v[36:37], v[38:39]
	v_add_f64_e64 v[44:45], v[38:39], -v[44:45]
	v_add_f64_e64 v[50:51], v[40:41], -v[36:37]
	s_delay_alu instid0(VALU_DEP_2) | instskip(NEXT) | instid1(VALU_DEP_2)
	v_add_f64_e64 v[42:43], v[42:43], -v[44:45]
	v_add_f64_e64 v[52:53], v[40:41], -v[50:51]
	;; [unrolled: 1-line block ×3, first 2 shown]
	s_delay_alu instid0(VALU_DEP_3) | instskip(NEXT) | instid1(VALU_DEP_3)
	v_add_f64_e32 v[44:45], v[46:47], v[42:43]
	v_add_f64_e64 v[36:37], v[36:37], -v[52:53]
	s_delay_alu instid0(VALU_DEP_1) | instskip(NEXT) | instid1(VALU_DEP_3)
	v_add_f64_e32 v[36:37], v[38:39], v[36:37]
	v_add_f64_e64 v[38:39], v[44:45], -v[46:47]
	s_delay_alu instid0(VALU_DEP_2) | instskip(NEXT) | instid1(VALU_DEP_2)
	v_add_f64_e32 v[36:37], v[44:45], v[36:37]
	v_add_f64_e64 v[44:45], v[44:45], -v[38:39]
	v_add_f64_e64 v[38:39], v[42:43], -v[38:39]
	s_delay_alu instid0(VALU_DEP_3) | instskip(NEXT) | instid1(VALU_DEP_3)
	v_add_f64_e32 v[48:49], v[40:41], v[36:37]
	v_add_f64_e64 v[42:43], v[46:47], -v[44:45]
	s_delay_alu instid0(VALU_DEP_2) | instskip(NEXT) | instid1(VALU_DEP_2)
	v_add_f64_e64 v[40:41], v[48:49], -v[40:41]
	v_add_f64_e32 v[38:39], v[38:39], v[42:43]
	s_delay_alu instid0(VALU_DEP_2) | instskip(NEXT) | instid1(VALU_DEP_1)
	v_add_f64_e64 v[36:37], v[36:37], -v[40:41]
	v_add_f64_e32 v[36:37], v[38:39], v[36:37]
	v_add_nc_u64_e32 v[38:39], s[4:5], v[28:29]
	s_delay_alu instid0(VALU_DEP_2) | instskip(NEXT) | instid1(VALU_DEP_1)
	v_add_f64_e32 v[36:37], v[48:49], v[36:37]
	v_dual_cndmask_b32 v36, v36, v34, s1 :: v_dual_cndmask_b32 v37, v37, v35, s1
	v_cmp_ngt_f64_e64 s1, 0, v[34:35]
	s_delay_alu instid0(VALU_DEP_1) | instskip(SKIP_1) | instid1(VALU_DEP_1)
	v_cndmask_b32_e64 v37, 0x7ff80000, v37, s1
	v_cmp_nge_f64_e64 s1, 0, v[34:35]
	v_cndmask_b32_e64 v36, 0, v36, s1
	v_cmp_neq_f64_e64 s1, 0, v[34:35]
	s_delay_alu instid0(VALU_DEP_1)
	v_cndmask_b32_e64 v37, 0xfff00000, v37, s1
	global_store_b64 v[38:39], v[36:37], off
	s_wait_xcnt 0x0
	s_or_b32 exec_lo, exec_lo, s2
	s_and_saveexec_b32 s1, s0
	s_cbranch_execz .LBB177_19
.LBB177_23:                             ;   in Loop: Header=BB177_9 Depth=1
	s_wait_loadcnt 0x0
	v_frexp_mant_f64_e32 v[34:35], v[32:33]
	s_delay_alu instid0(VALU_DEP_1) | instskip(NEXT) | instid1(VALU_DEP_1)
	v_cmp_gt_f64_e64 s0, s[8:9], v[34:35]
	v_cndmask_b32_e64 v36, 0, 1, s0
	s_delay_alu instid0(VALU_DEP_1) | instskip(NEXT) | instid1(VALU_DEP_1)
	v_ldexp_f64 v[34:35], v[34:35], v36
	v_add_f64_e32 v[36:37], 1.0, v[34:35]
	v_add_f64_e32 v[42:43], -1.0, v[34:35]
	s_delay_alu instid0(VALU_DEP_2) | instskip(SKIP_1) | instid1(VALU_DEP_1)
	v_rcp_f64_e32 v[38:39], v[36:37]
	v_add_f64_e32 v[44:45], -1.0, v[36:37]
	v_add_f64_e64 v[34:35], v[34:35], -v[44:45]
	s_delay_alu instid0(TRANS32_DEP_1) | instskip(NEXT) | instid1(VALU_DEP_1)
	v_fma_f64 v[40:41], -v[36:37], v[38:39], 1.0
	v_fmac_f64_e32 v[38:39], v[40:41], v[38:39]
	s_delay_alu instid0(VALU_DEP_1) | instskip(NEXT) | instid1(VALU_DEP_1)
	v_fma_f64 v[40:41], -v[36:37], v[38:39], 1.0
	v_fmac_f64_e32 v[38:39], v[40:41], v[38:39]
	s_delay_alu instid0(VALU_DEP_1) | instskip(NEXT) | instid1(VALU_DEP_1)
	v_mul_f64_e32 v[40:41], v[42:43], v[38:39]
	v_mul_f64_e32 v[46:47], v[36:37], v[40:41]
	s_delay_alu instid0(VALU_DEP_1) | instskip(NEXT) | instid1(VALU_DEP_1)
	v_fma_f64 v[36:37], v[40:41], v[36:37], -v[46:47]
	v_fmac_f64_e32 v[36:37], v[40:41], v[34:35]
	s_delay_alu instid0(VALU_DEP_1) | instskip(NEXT) | instid1(VALU_DEP_1)
	v_add_f64_e32 v[34:35], v[46:47], v[36:37]
	v_add_f64_e64 v[44:45], v[42:43], -v[34:35]
	v_add_f64_e64 v[46:47], v[34:35], -v[46:47]
	s_delay_alu instid0(VALU_DEP_2) | instskip(NEXT) | instid1(VALU_DEP_2)
	v_add_f64_e64 v[42:43], v[42:43], -v[44:45]
	v_add_f64_e64 v[36:37], v[46:47], -v[36:37]
	s_delay_alu instid0(VALU_DEP_2) | instskip(NEXT) | instid1(VALU_DEP_1)
	v_add_f64_e64 v[34:35], v[42:43], -v[34:35]
	v_add_f64_e32 v[34:35], v[36:37], v[34:35]
	s_delay_alu instid0(VALU_DEP_1) | instskip(NEXT) | instid1(VALU_DEP_1)
	v_add_f64_e32 v[34:35], v[44:45], v[34:35]
	v_mul_f64_e32 v[34:35], v[38:39], v[34:35]
	s_delay_alu instid0(VALU_DEP_1) | instskip(NEXT) | instid1(VALU_DEP_1)
	v_add_f64_e32 v[36:37], v[40:41], v[34:35]
	v_mul_f64_e32 v[38:39], v[36:37], v[36:37]
	s_delay_alu instid0(VALU_DEP_1) | instskip(SKIP_1) | instid1(VALU_DEP_2)
	v_fmamk_f64 v[42:43], v[38:39], 0x3fc3ab76bf559e2b, v[6:7]
	v_mul_f64_e32 v[44:45], v[36:37], v[38:39]
	v_fmaak_f64 v[42:43], v[38:39], v[42:43], 0x3fc7474dd7f4df2e
	s_delay_alu instid0(VALU_DEP_1) | instskip(NEXT) | instid1(VALU_DEP_1)
	v_fmaak_f64 v[42:43], v[38:39], v[42:43], 0x3fcc71c016291751
	v_fmaak_f64 v[42:43], v[38:39], v[42:43], 0x3fd249249b27acf1
	s_delay_alu instid0(VALU_DEP_1) | instskip(NEXT) | instid1(VALU_DEP_1)
	v_fmaak_f64 v[42:43], v[38:39], v[42:43], 0x3fd99999998ef7b6
	v_fmaak_f64 v[38:39], v[38:39], v[42:43], 0x3fe5555555555780
	v_ldexp_f64 v[42:43], v[36:37], 1
	v_add_f64_e64 v[36:37], v[36:37], -v[40:41]
	s_delay_alu instid0(VALU_DEP_3) | instskip(NEXT) | instid1(VALU_DEP_2)
	v_mul_f64_e32 v[38:39], v[44:45], v[38:39]
	v_add_f64_e64 v[34:35], v[34:35], -v[36:37]
	s_delay_alu instid0(VALU_DEP_2) | instskip(NEXT) | instid1(VALU_DEP_2)
	v_add_f64_e32 v[40:41], v[42:43], v[38:39]
	v_ldexp_f64 v[34:35], v[34:35], 1
	s_delay_alu instid0(VALU_DEP_2) | instskip(NEXT) | instid1(VALU_DEP_1)
	v_add_f64_e64 v[36:37], v[40:41], -v[42:43]
	v_add_f64_e64 v[36:37], v[38:39], -v[36:37]
	v_frexp_exp_i32_f64_e32 v38, v[32:33]
	s_delay_alu instid0(VALU_DEP_2) | instskip(NEXT) | instid1(VALU_DEP_2)
	v_add_f64_e32 v[34:35], v[34:35], v[36:37]
	v_subrev_co_ci_u32_e64 v38, null, 0, v38, s0
	v_cmp_class_f64_e64 s0, v[32:33], 0x204
	s_delay_alu instid0(VALU_DEP_2) | instskip(NEXT) | instid1(VALU_DEP_4)
	v_cvt_f64_i32_e32 v[38:39], v38
	v_add_f64_e32 v[36:37], v[40:41], v[34:35]
	s_delay_alu instid0(VALU_DEP_2) | instskip(NEXT) | instid1(VALU_DEP_2)
	v_mul_f64_e32 v[44:45], 0x3fd34413509f79ff, v[38:39]
	v_add_f64_e64 v[40:41], v[36:37], -v[40:41]
	v_mul_f64_e32 v[42:43], 0x3fdbcb7b1526e50e, v[36:37]
	s_delay_alu instid0(VALU_DEP_3) | instskip(NEXT) | instid1(VALU_DEP_3)
	v_fma_f64 v[46:47], v[38:39], s[10:11], -v[44:45]
	v_add_f64_e64 v[34:35], v[34:35], -v[40:41]
	s_delay_alu instid0(VALU_DEP_3) | instskip(NEXT) | instid1(VALU_DEP_3)
	v_fma_f64 v[40:41], v[36:37], s[6:7], -v[42:43]
	v_fmac_f64_e32 v[46:47], 0xbc49dc1da994fd21, v[38:39]
	s_delay_alu instid0(VALU_DEP_2) | instskip(NEXT) | instid1(VALU_DEP_2)
	v_fmac_f64_e32 v[40:41], 0x3fdbcb7b1526e50e, v[34:35]
	v_add_f64_e32 v[34:35], v[44:45], v[46:47]
	s_delay_alu instid0(VALU_DEP_2) | instskip(NEXT) | instid1(VALU_DEP_2)
	v_fmac_f64_e32 v[40:41], 0x3c695355baaafad3, v[36:37]
	v_add_f64_e64 v[44:45], v[34:35], -v[44:45]
	s_delay_alu instid0(VALU_DEP_2) | instskip(NEXT) | instid1(VALU_DEP_2)
	v_add_f64_e32 v[36:37], v[42:43], v[40:41]
	v_add_f64_e64 v[44:45], v[46:47], -v[44:45]
	s_delay_alu instid0(VALU_DEP_2) | instskip(SKIP_1) | instid1(VALU_DEP_2)
	v_add_f64_e32 v[38:39], v[34:35], v[36:37]
	v_add_f64_e64 v[42:43], v[36:37], -v[42:43]
	v_add_f64_e64 v[48:49], v[38:39], -v[34:35]
	s_delay_alu instid0(VALU_DEP_2) | instskip(NEXT) | instid1(VALU_DEP_2)
	v_add_f64_e64 v[40:41], v[40:41], -v[42:43]
	v_add_f64_e64 v[50:51], v[38:39], -v[48:49]
	;; [unrolled: 1-line block ×3, first 2 shown]
	s_delay_alu instid0(VALU_DEP_3) | instskip(NEXT) | instid1(VALU_DEP_3)
	v_add_f64_e32 v[42:43], v[44:45], v[40:41]
	v_add_f64_e64 v[34:35], v[34:35], -v[50:51]
	s_delay_alu instid0(VALU_DEP_1) | instskip(NEXT) | instid1(VALU_DEP_3)
	v_add_f64_e32 v[34:35], v[36:37], v[34:35]
	v_add_f64_e64 v[36:37], v[42:43], -v[44:45]
	s_delay_alu instid0(VALU_DEP_2) | instskip(NEXT) | instid1(VALU_DEP_2)
	v_add_f64_e32 v[34:35], v[42:43], v[34:35]
	v_add_f64_e64 v[42:43], v[42:43], -v[36:37]
	v_add_f64_e64 v[36:37], v[40:41], -v[36:37]
	s_delay_alu instid0(VALU_DEP_3) | instskip(NEXT) | instid1(VALU_DEP_3)
	v_add_f64_e32 v[46:47], v[38:39], v[34:35]
	v_add_f64_e64 v[40:41], v[44:45], -v[42:43]
	s_delay_alu instid0(VALU_DEP_2) | instskip(NEXT) | instid1(VALU_DEP_2)
	v_add_f64_e64 v[38:39], v[46:47], -v[38:39]
	v_add_f64_e32 v[36:37], v[36:37], v[40:41]
	s_delay_alu instid0(VALU_DEP_2) | instskip(NEXT) | instid1(VALU_DEP_1)
	v_add_f64_e64 v[34:35], v[34:35], -v[38:39]
	v_add_f64_e32 v[34:35], v[36:37], v[34:35]
	v_add_nc_u64_e32 v[36:37], s[4:5], v[20:21]
	s_delay_alu instid0(VALU_DEP_2) | instskip(NEXT) | instid1(VALU_DEP_1)
	v_add_f64_e32 v[34:35], v[46:47], v[34:35]
	v_dual_cndmask_b32 v34, v34, v32, s0 :: v_dual_cndmask_b32 v35, v35, v33, s0
	v_cmp_ngt_f64_e64 s0, 0, v[32:33]
	s_delay_alu instid0(VALU_DEP_1) | instskip(SKIP_1) | instid1(VALU_DEP_1)
	v_cndmask_b32_e64 v35, 0x7ff80000, v35, s0
	v_cmp_nge_f64_e64 s0, 0, v[32:33]
	v_cndmask_b32_e64 v34, 0, v34, s0
	v_cmp_neq_f64_e64 s0, 0, v[32:33]
	s_delay_alu instid0(VALU_DEP_1)
	v_cndmask_b32_e64 v35, 0xfff00000, v35, s0
	global_store_b64 v[36:37], v[34:35], off
	s_wait_xcnt 0x0
	s_or_b32 exec_lo, exec_lo, s1
	s_and_saveexec_b32 s0, vcc_lo
	s_cbranch_execz .LBB177_8
.LBB177_24:                             ;   in Loop: Header=BB177_9 Depth=1
	s_wait_loadcnt 0x0
	v_frexp_mant_f64_e32 v[32:33], v[30:31]
	s_delay_alu instid0(VALU_DEP_1) | instskip(SKIP_1) | instid1(VALU_DEP_1)
	v_cmp_gt_f64_e32 vcc_lo, s[8:9], v[32:33]
	v_cndmask_b32_e64 v34, 0, 1, vcc_lo
	v_ldexp_f64 v[32:33], v[32:33], v34
	s_delay_alu instid0(VALU_DEP_1) | instskip(SKIP_1) | instid1(VALU_DEP_2)
	v_add_f64_e32 v[34:35], 1.0, v[32:33]
	v_add_f64_e32 v[40:41], -1.0, v[32:33]
	v_rcp_f64_e32 v[36:37], v[34:35]
	v_add_f64_e32 v[42:43], -1.0, v[34:35]
	s_delay_alu instid0(VALU_DEP_1) | instskip(NEXT) | instid1(TRANS32_DEP_1)
	v_add_f64_e64 v[32:33], v[32:33], -v[42:43]
	v_fma_f64 v[38:39], -v[34:35], v[36:37], 1.0
	s_delay_alu instid0(VALU_DEP_1) | instskip(NEXT) | instid1(VALU_DEP_1)
	v_fmac_f64_e32 v[36:37], v[38:39], v[36:37]
	v_fma_f64 v[38:39], -v[34:35], v[36:37], 1.0
	s_delay_alu instid0(VALU_DEP_1) | instskip(NEXT) | instid1(VALU_DEP_1)
	v_fmac_f64_e32 v[36:37], v[38:39], v[36:37]
	v_mul_f64_e32 v[38:39], v[40:41], v[36:37]
	s_delay_alu instid0(VALU_DEP_1) | instskip(NEXT) | instid1(VALU_DEP_1)
	v_mul_f64_e32 v[44:45], v[34:35], v[38:39]
	v_fma_f64 v[34:35], v[38:39], v[34:35], -v[44:45]
	s_delay_alu instid0(VALU_DEP_1) | instskip(NEXT) | instid1(VALU_DEP_1)
	v_fmac_f64_e32 v[34:35], v[38:39], v[32:33]
	v_add_f64_e32 v[32:33], v[44:45], v[34:35]
	s_delay_alu instid0(VALU_DEP_1) | instskip(SKIP_1) | instid1(VALU_DEP_2)
	v_add_f64_e64 v[42:43], v[40:41], -v[32:33]
	v_add_f64_e64 v[44:45], v[32:33], -v[44:45]
	;; [unrolled: 1-line block ×3, first 2 shown]
	s_delay_alu instid0(VALU_DEP_2) | instskip(NEXT) | instid1(VALU_DEP_2)
	v_add_f64_e64 v[34:35], v[44:45], -v[34:35]
	v_add_f64_e64 v[32:33], v[40:41], -v[32:33]
	s_delay_alu instid0(VALU_DEP_1) | instskip(NEXT) | instid1(VALU_DEP_1)
	v_add_f64_e32 v[32:33], v[34:35], v[32:33]
	v_add_f64_e32 v[32:33], v[42:43], v[32:33]
	s_delay_alu instid0(VALU_DEP_1) | instskip(NEXT) | instid1(VALU_DEP_1)
	v_mul_f64_e32 v[32:33], v[36:37], v[32:33]
	v_add_f64_e32 v[34:35], v[38:39], v[32:33]
	s_delay_alu instid0(VALU_DEP_1) | instskip(NEXT) | instid1(VALU_DEP_1)
	v_mul_f64_e32 v[36:37], v[34:35], v[34:35]
	v_fmamk_f64 v[40:41], v[36:37], 0x3fc3ab76bf559e2b, v[6:7]
	v_mul_f64_e32 v[42:43], v[34:35], v[36:37]
	s_delay_alu instid0(VALU_DEP_2) | instskip(NEXT) | instid1(VALU_DEP_1)
	v_fmaak_f64 v[40:41], v[36:37], v[40:41], 0x3fc7474dd7f4df2e
	v_fmaak_f64 v[40:41], v[36:37], v[40:41], 0x3fcc71c016291751
	s_delay_alu instid0(VALU_DEP_1) | instskip(NEXT) | instid1(VALU_DEP_1)
	v_fmaak_f64 v[40:41], v[36:37], v[40:41], 0x3fd249249b27acf1
	v_fmaak_f64 v[40:41], v[36:37], v[40:41], 0x3fd99999998ef7b6
	s_delay_alu instid0(VALU_DEP_1) | instskip(SKIP_2) | instid1(VALU_DEP_3)
	v_fmaak_f64 v[36:37], v[36:37], v[40:41], 0x3fe5555555555780
	v_ldexp_f64 v[40:41], v[34:35], 1
	v_add_f64_e64 v[34:35], v[34:35], -v[38:39]
	v_mul_f64_e32 v[36:37], v[42:43], v[36:37]
	s_delay_alu instid0(VALU_DEP_2) | instskip(NEXT) | instid1(VALU_DEP_2)
	v_add_f64_e64 v[32:33], v[32:33], -v[34:35]
	v_add_f64_e32 v[38:39], v[40:41], v[36:37]
	s_delay_alu instid0(VALU_DEP_2) | instskip(NEXT) | instid1(VALU_DEP_2)
	v_ldexp_f64 v[32:33], v[32:33], 1
	v_add_f64_e64 v[34:35], v[38:39], -v[40:41]
	s_delay_alu instid0(VALU_DEP_1) | instskip(SKIP_1) | instid1(VALU_DEP_2)
	v_add_f64_e64 v[34:35], v[36:37], -v[34:35]
	v_frexp_exp_i32_f64_e32 v36, v[30:31]
	v_add_f64_e32 v[32:33], v[32:33], v[34:35]
	s_delay_alu instid0(VALU_DEP_2) | instskip(SKIP_1) | instid1(VALU_DEP_2)
	v_subrev_co_ci_u32_e64 v36, null, 0, v36, vcc_lo
	v_cmp_class_f64_e64 vcc_lo, v[30:31], 0x204
	v_cvt_f64_i32_e32 v[36:37], v36
	s_delay_alu instid0(VALU_DEP_4) | instskip(NEXT) | instid1(VALU_DEP_2)
	v_add_f64_e32 v[34:35], v[38:39], v[32:33]
	v_mul_f64_e32 v[42:43], 0x3fd34413509f79ff, v[36:37]
	s_delay_alu instid0(VALU_DEP_2) | instskip(SKIP_1) | instid1(VALU_DEP_3)
	v_add_f64_e64 v[38:39], v[34:35], -v[38:39]
	v_mul_f64_e32 v[40:41], 0x3fdbcb7b1526e50e, v[34:35]
	v_fma_f64 v[44:45], v[36:37], s[10:11], -v[42:43]
	s_delay_alu instid0(VALU_DEP_3) | instskip(NEXT) | instid1(VALU_DEP_3)
	v_add_f64_e64 v[32:33], v[32:33], -v[38:39]
	v_fma_f64 v[38:39], v[34:35], s[6:7], -v[40:41]
	s_delay_alu instid0(VALU_DEP_3) | instskip(NEXT) | instid1(VALU_DEP_2)
	v_fmac_f64_e32 v[44:45], 0xbc49dc1da994fd21, v[36:37]
	v_fmac_f64_e32 v[38:39], 0x3fdbcb7b1526e50e, v[32:33]
	s_delay_alu instid0(VALU_DEP_2) | instskip(NEXT) | instid1(VALU_DEP_2)
	v_add_f64_e32 v[32:33], v[42:43], v[44:45]
	v_fmac_f64_e32 v[38:39], 0x3c695355baaafad3, v[34:35]
	s_delay_alu instid0(VALU_DEP_2) | instskip(NEXT) | instid1(VALU_DEP_2)
	v_add_f64_e64 v[42:43], v[32:33], -v[42:43]
	v_add_f64_e32 v[34:35], v[40:41], v[38:39]
	s_delay_alu instid0(VALU_DEP_2) | instskip(NEXT) | instid1(VALU_DEP_2)
	v_add_f64_e64 v[42:43], v[44:45], -v[42:43]
	v_add_f64_e32 v[36:37], v[32:33], v[34:35]
	v_add_f64_e64 v[40:41], v[34:35], -v[40:41]
	s_delay_alu instid0(VALU_DEP_2) | instskip(NEXT) | instid1(VALU_DEP_2)
	v_add_f64_e64 v[46:47], v[36:37], -v[32:33]
	v_add_f64_e64 v[38:39], v[38:39], -v[40:41]
	s_delay_alu instid0(VALU_DEP_2) | instskip(SKIP_1) | instid1(VALU_DEP_3)
	v_add_f64_e64 v[48:49], v[36:37], -v[46:47]
	v_add_f64_e64 v[34:35], v[34:35], -v[46:47]
	v_add_f64_e32 v[40:41], v[42:43], v[38:39]
	s_delay_alu instid0(VALU_DEP_3) | instskip(NEXT) | instid1(VALU_DEP_1)
	v_add_f64_e64 v[32:33], v[32:33], -v[48:49]
	v_add_f64_e32 v[32:33], v[34:35], v[32:33]
	s_delay_alu instid0(VALU_DEP_3) | instskip(NEXT) | instid1(VALU_DEP_2)
	v_add_f64_e64 v[34:35], v[40:41], -v[42:43]
	v_add_f64_e32 v[32:33], v[40:41], v[32:33]
	s_delay_alu instid0(VALU_DEP_2) | instskip(SKIP_1) | instid1(VALU_DEP_3)
	v_add_f64_e64 v[40:41], v[40:41], -v[34:35]
	v_add_f64_e64 v[34:35], v[38:39], -v[34:35]
	v_add_f64_e32 v[44:45], v[36:37], v[32:33]
	s_delay_alu instid0(VALU_DEP_3) | instskip(NEXT) | instid1(VALU_DEP_2)
	v_add_f64_e64 v[38:39], v[42:43], -v[40:41]
	v_add_f64_e64 v[36:37], v[44:45], -v[36:37]
	s_delay_alu instid0(VALU_DEP_2) | instskip(NEXT) | instid1(VALU_DEP_2)
	v_add_f64_e32 v[34:35], v[34:35], v[38:39]
	v_add_f64_e64 v[32:33], v[32:33], -v[36:37]
	s_delay_alu instid0(VALU_DEP_1) | instskip(SKIP_1) | instid1(VALU_DEP_2)
	v_add_f64_e32 v[32:33], v[34:35], v[32:33]
	v_add_nc_u64_e32 v[34:35], s[4:5], v[24:25]
	v_add_f64_e32 v[32:33], v[44:45], v[32:33]
	s_delay_alu instid0(VALU_DEP_1) | instskip(SKIP_1) | instid1(VALU_DEP_2)
	v_dual_cndmask_b32 v32, v32, v30 :: v_dual_cndmask_b32 v33, v33, v31
	v_cmp_ngt_f64_e32 vcc_lo, 0, v[30:31]
	v_cndmask_b32_e32 v33, 0x7ff80000, v33, vcc_lo
	v_cmp_nge_f64_e32 vcc_lo, 0, v[30:31]
	s_delay_alu instid0(VALU_DEP_4) | instskip(SKIP_1) | instid1(VALU_DEP_4)
	v_cndmask_b32_e32 v32, 0, v32, vcc_lo
	v_cmp_neq_f64_e32 vcc_lo, 0, v[30:31]
	v_cndmask_b32_e32 v33, 0xfff00000, v33, vcc_lo
	global_store_b64 v[34:35], v[32:33], off
	s_branch .LBB177_8
.LBB177_25:
	s_endpgm
	.section	.rodata,"a",@progbits
	.p2align	6, 0x0
	.amdhsa_kernel _ZN2at6native12_GLOBAL__N_125multi_tensor_apply_kernelINS1_18TensorListMetadataILi2EEENS1_14UnaryOpFunctorIdLi2ELi1ELi1EEEJNS0_5Log10IdEEEEEvT_T0_DpT1_
		.amdhsa_group_segment_fixed_size 0
		.amdhsa_private_segment_fixed_size 0
		.amdhsa_kernarg_size 3408
		.amdhsa_user_sgpr_count 2
		.amdhsa_user_sgpr_dispatch_ptr 0
		.amdhsa_user_sgpr_queue_ptr 0
		.amdhsa_user_sgpr_kernarg_segment_ptr 1
		.amdhsa_user_sgpr_dispatch_id 0
		.amdhsa_user_sgpr_kernarg_preload_length 0
		.amdhsa_user_sgpr_kernarg_preload_offset 0
		.amdhsa_user_sgpr_private_segment_size 0
		.amdhsa_wavefront_size32 1
		.amdhsa_uses_dynamic_stack 0
		.amdhsa_enable_private_segment 0
		.amdhsa_system_sgpr_workgroup_id_x 1
		.amdhsa_system_sgpr_workgroup_id_y 0
		.amdhsa_system_sgpr_workgroup_id_z 0
		.amdhsa_system_sgpr_workgroup_info 0
		.amdhsa_system_vgpr_workitem_id 0
		.amdhsa_next_free_vgpr 56
		.amdhsa_next_free_sgpr 22
		.amdhsa_named_barrier_count 0
		.amdhsa_reserve_vcc 1
		.amdhsa_float_round_mode_32 0
		.amdhsa_float_round_mode_16_64 0
		.amdhsa_float_denorm_mode_32 3
		.amdhsa_float_denorm_mode_16_64 3
		.amdhsa_fp16_overflow 0
		.amdhsa_memory_ordered 1
		.amdhsa_forward_progress 1
		.amdhsa_inst_pref_size 57
		.amdhsa_round_robin_scheduling 0
		.amdhsa_exception_fp_ieee_invalid_op 0
		.amdhsa_exception_fp_denorm_src 0
		.amdhsa_exception_fp_ieee_div_zero 0
		.amdhsa_exception_fp_ieee_overflow 0
		.amdhsa_exception_fp_ieee_underflow 0
		.amdhsa_exception_fp_ieee_inexact 0
		.amdhsa_exception_int_div_zero 0
	.end_amdhsa_kernel
	.section	.text._ZN2at6native12_GLOBAL__N_125multi_tensor_apply_kernelINS1_18TensorListMetadataILi2EEENS1_14UnaryOpFunctorIdLi2ELi1ELi1EEEJNS0_5Log10IdEEEEEvT_T0_DpT1_,"axG",@progbits,_ZN2at6native12_GLOBAL__N_125multi_tensor_apply_kernelINS1_18TensorListMetadataILi2EEENS1_14UnaryOpFunctorIdLi2ELi1ELi1EEEJNS0_5Log10IdEEEEEvT_T0_DpT1_,comdat
.Lfunc_end177:
	.size	_ZN2at6native12_GLOBAL__N_125multi_tensor_apply_kernelINS1_18TensorListMetadataILi2EEENS1_14UnaryOpFunctorIdLi2ELi1ELi1EEEJNS0_5Log10IdEEEEEvT_T0_DpT1_, .Lfunc_end177-_ZN2at6native12_GLOBAL__N_125multi_tensor_apply_kernelINS1_18TensorListMetadataILi2EEENS1_14UnaryOpFunctorIdLi2ELi1ELi1EEEJNS0_5Log10IdEEEEEvT_T0_DpT1_
                                        ; -- End function
	.set _ZN2at6native12_GLOBAL__N_125multi_tensor_apply_kernelINS1_18TensorListMetadataILi2EEENS1_14UnaryOpFunctorIdLi2ELi1ELi1EEEJNS0_5Log10IdEEEEEvT_T0_DpT1_.num_vgpr, 56
	.set _ZN2at6native12_GLOBAL__N_125multi_tensor_apply_kernelINS1_18TensorListMetadataILi2EEENS1_14UnaryOpFunctorIdLi2ELi1ELi1EEEJNS0_5Log10IdEEEEEvT_T0_DpT1_.num_agpr, 0
	.set _ZN2at6native12_GLOBAL__N_125multi_tensor_apply_kernelINS1_18TensorListMetadataILi2EEENS1_14UnaryOpFunctorIdLi2ELi1ELi1EEEJNS0_5Log10IdEEEEEvT_T0_DpT1_.numbered_sgpr, 22
	.set _ZN2at6native12_GLOBAL__N_125multi_tensor_apply_kernelINS1_18TensorListMetadataILi2EEENS1_14UnaryOpFunctorIdLi2ELi1ELi1EEEJNS0_5Log10IdEEEEEvT_T0_DpT1_.num_named_barrier, 0
	.set _ZN2at6native12_GLOBAL__N_125multi_tensor_apply_kernelINS1_18TensorListMetadataILi2EEENS1_14UnaryOpFunctorIdLi2ELi1ELi1EEEJNS0_5Log10IdEEEEEvT_T0_DpT1_.private_seg_size, 0
	.set _ZN2at6native12_GLOBAL__N_125multi_tensor_apply_kernelINS1_18TensorListMetadataILi2EEENS1_14UnaryOpFunctorIdLi2ELi1ELi1EEEJNS0_5Log10IdEEEEEvT_T0_DpT1_.uses_vcc, 1
	.set _ZN2at6native12_GLOBAL__N_125multi_tensor_apply_kernelINS1_18TensorListMetadataILi2EEENS1_14UnaryOpFunctorIdLi2ELi1ELi1EEEJNS0_5Log10IdEEEEEvT_T0_DpT1_.uses_flat_scratch, 0
	.set _ZN2at6native12_GLOBAL__N_125multi_tensor_apply_kernelINS1_18TensorListMetadataILi2EEENS1_14UnaryOpFunctorIdLi2ELi1ELi1EEEJNS0_5Log10IdEEEEEvT_T0_DpT1_.has_dyn_sized_stack, 0
	.set _ZN2at6native12_GLOBAL__N_125multi_tensor_apply_kernelINS1_18TensorListMetadataILi2EEENS1_14UnaryOpFunctorIdLi2ELi1ELi1EEEJNS0_5Log10IdEEEEEvT_T0_DpT1_.has_recursion, 0
	.set _ZN2at6native12_GLOBAL__N_125multi_tensor_apply_kernelINS1_18TensorListMetadataILi2EEENS1_14UnaryOpFunctorIdLi2ELi1ELi1EEEJNS0_5Log10IdEEEEEvT_T0_DpT1_.has_indirect_call, 0
	.section	.AMDGPU.csdata,"",@progbits
; Kernel info:
; codeLenInByte = 7268
; TotalNumSgprs: 24
; NumVgprs: 56
; ScratchSize: 0
; MemoryBound: 0
; FloatMode: 240
; IeeeMode: 1
; LDSByteSize: 0 bytes/workgroup (compile time only)
; SGPRBlocks: 0
; VGPRBlocks: 3
; NumSGPRsForWavesPerEU: 24
; NumVGPRsForWavesPerEU: 56
; NamedBarCnt: 0
; Occupancy: 16
; WaveLimiterHint : 0
; COMPUTE_PGM_RSRC2:SCRATCH_EN: 0
; COMPUTE_PGM_RSRC2:USER_SGPR: 2
; COMPUTE_PGM_RSRC2:TRAP_HANDLER: 0
; COMPUTE_PGM_RSRC2:TGID_X_EN: 1
; COMPUTE_PGM_RSRC2:TGID_Y_EN: 0
; COMPUTE_PGM_RSRC2:TGID_Z_EN: 0
; COMPUTE_PGM_RSRC2:TIDIG_COMP_CNT: 0
	.section	.text._ZN2at6native12_GLOBAL__N_125multi_tensor_apply_kernelINS1_18TensorListMetadataILi2EEENS1_14UnaryOpFunctorIfLi2ELi1ELi1EEEJNS0_5Log10IfEEEEEvT_T0_DpT1_,"axG",@progbits,_ZN2at6native12_GLOBAL__N_125multi_tensor_apply_kernelINS1_18TensorListMetadataILi2EEENS1_14UnaryOpFunctorIfLi2ELi1ELi1EEEJNS0_5Log10IfEEEEEvT_T0_DpT1_,comdat
	.globl	_ZN2at6native12_GLOBAL__N_125multi_tensor_apply_kernelINS1_18TensorListMetadataILi2EEENS1_14UnaryOpFunctorIfLi2ELi1ELi1EEEJNS0_5Log10IfEEEEEvT_T0_DpT1_ ; -- Begin function _ZN2at6native12_GLOBAL__N_125multi_tensor_apply_kernelINS1_18TensorListMetadataILi2EEENS1_14UnaryOpFunctorIfLi2ELi1ELi1EEEJNS0_5Log10IfEEEEEvT_T0_DpT1_
	.p2align	8
	.type	_ZN2at6native12_GLOBAL__N_125multi_tensor_apply_kernelINS1_18TensorListMetadataILi2EEENS1_14UnaryOpFunctorIfLi2ELi1ELi1EEEJNS0_5Log10IfEEEEEvT_T0_DpT1_,@function
_ZN2at6native12_GLOBAL__N_125multi_tensor_apply_kernelINS1_18TensorListMetadataILi2EEENS1_14UnaryOpFunctorIfLi2ELi1ELi1EEEJNS0_5Log10IfEEEEEvT_T0_DpT1_: ; @_ZN2at6native12_GLOBAL__N_125multi_tensor_apply_kernelINS1_18TensorListMetadataILi2EEENS1_14UnaryOpFunctorIfLi2ELi1ELi1EEEJNS0_5Log10IfEEEEEvT_T0_DpT1_
; %bb.0:
	s_bfe_u32 s2, ttmp6, 0x4000c
	s_and_b32 s3, ttmp6, 15
	s_add_co_i32 s2, s2, 1
	s_getreg_b32 s4, hwreg(HW_REG_IB_STS2, 6, 4)
	s_mul_i32 s2, ttmp9, s2
	s_delay_alu instid0(SALU_CYCLE_1)
	s_add_co_i32 s3, s3, s2
	s_cmp_eq_u32 s4, 0
	s_cselect_b32 s2, ttmp9, s3
	s_mov_b32 s3, 0
	s_load_u8 s13, s[0:1], s2 offset:0x600
	s_add_nc_u64 s[4:5], s[0:1], s[2:3]
	s_mul_u64 s[6:7], s[2:3], 3
	s_delay_alu instid0(SALU_CYCLE_1)
	s_add_nc_u64 s[4:5], s[4:5], s[6:7]
	s_load_b32 s12, s[4:5], 0x740
	s_wait_kmcnt 0x0
	s_clause 0x2
	s_load_b64 s[8:9], s[0:1], s13 offset:0x0 scale_offset
	s_load_b64 s[10:11], s[0:1], s13 offset:0x200 scale_offset
	;; [unrolled: 1-line block ×3, first 2 shown]
	s_mov_b32 s5, s3
	s_wait_xcnt 0x0
	s_ashr_i32 s13, s12, 31
	s_delay_alu instid0(SALU_CYCLE_1)
	s_lshl_b64 s[6:7], s[12:13], 18
	s_wait_kmcnt 0x0
	s_and_b64 s[18:19], s[10:11], 15
	s_add_nc_u64 s[16:17], s[8:9], s[6:7]
	s_and_b32 s4, s14, 3
	s_and_b32 s2, s16, 15
	s_or_b64 s[4:5], s[18:19], s[4:5]
	s_lshl_b64 s[12:13], s[12:13], 16
	s_or_b64 s[2:3], s[4:5], s[2:3]
	s_sub_nc_u64 s[12:13], s[14:15], s[12:13]
	s_cmp_eq_u64 s[2:3], 0
	s_mov_b32 s2, -1
	s_cbranch_scc0 .LBB178_5
; %bb.1:
	v_min_i64 v[2:3], 0x10000, s[12:13]
	v_dual_mov_b32 v5, 0 :: v_dual_lshlrev_b32 v4, 2, v0
	s_mov_b32 s5, exec_lo
	s_delay_alu instid0(VALU_DEP_1)
	v_cmpx_lt_i64_e64 v[4:5], v[2:3]
	s_cbranch_execz .LBB178_4
; %bb.2:
	s_load_b32 s2, s[0:1], 0xc5c
	v_dual_mov_b32 v1, v5 :: v_dual_lshlrev_b32 v4, 4, v0
	s_mov_b32 s15, 0
	s_delay_alu instid0(SALU_CYCLE_1) | instskip(NEXT) | instid1(VALU_DEP_1)
	s_mov_b32 s17, s15
	v_add_nc_u64_e32 v[4:5], s[6:7], v[4:5]
	s_delay_alu instid0(VALU_DEP_2) | instskip(SKIP_3) | instid1(SALU_CYCLE_1)
	v_mov_b64_e32 v[6:7], v[0:1]
	s_mov_b32 s18, s15
	s_wait_kmcnt 0x0
	s_and_b32 s14, s2, 0xffff
	s_lshl_b32 s16, s14, 4
.LBB178_3:                              ; =>This Inner Loop Header: Depth=1
	s_delay_alu instid0(VALU_DEP_2) | instskip(NEXT) | instid1(VALU_DEP_2)
	v_add_nc_u64_e32 v[8:9], s[8:9], v[4:5]
	v_add_nc_u64_e32 v[6:7], s[14:15], v[6:7]
	;; [unrolled: 1-line block ×4, first 2 shown]
	global_load_b128 v[8:11], v[8:9], off
	v_lshlrev_b64_e32 v[14:15], 2, v[6:7]
	s_wait_loadcnt 0x0
	v_cmp_gt_f32_e32 vcc_lo, 0x800000, v8
	v_cmp_gt_f32_e64 s2, 0x800000, v9
	v_cmp_gt_f32_e64 s3, 0x800000, v10
	;; [unrolled: 1-line block ×3, first 2 shown]
	v_cndmask_b32_e64 v1, 0, 32, vcc_lo
	s_delay_alu instid0(VALU_DEP_4) | instskip(NEXT) | instid1(VALU_DEP_4)
	v_cndmask_b32_e64 v16, 0, 32, s2
	v_cndmask_b32_e64 v17, 0, 32, s3
	s_delay_alu instid0(VALU_DEP_4) | instskip(NEXT) | instid1(VALU_DEP_4)
	v_cndmask_b32_e64 v18, 0, 32, s4
	v_ldexp_f32 v1, v8, v1
	s_wait_xcnt 0x0
	v_ldexp_f32 v9, v9, v16
	v_ldexp_f32 v10, v10, v17
	;; [unrolled: 1-line block ×3, first 2 shown]
	v_cndmask_b32_e64 v8, 0, 0x411a209b, vcc_lo
	v_log_f32_e32 v1, v1
	v_log_f32_e32 v9, v9
	;; [unrolled: 1-line block ×4, first 2 shown]
	v_cndmask_b32_e64 v16, 0, 0x411a209b, s2
	v_cndmask_b32_e64 v17, 0, 0x411a209b, s3
	;; [unrolled: 1-line block ×3, first 2 shown]
	v_mul_f32_e32 v19, 0x3e9a209a, v1
	s_delay_alu instid0(TRANS32_DEP_2) | instskip(NEXT) | instid1(TRANS32_DEP_1)
	v_dual_mul_f32 v20, 0x3e9a209a, v9 :: v_dual_mul_f32 v21, 0x3e9a209a, v10
	v_mul_f32_e32 v22, 0x3e9a209a, v11
	v_cmp_gt_f32_e64 vcc_lo, 0x7f800000, |v9|
	s_delay_alu instid0(VALU_DEP_4) | instskip(NEXT) | instid1(VALU_DEP_4)
	v_fma_f32 v19, 0x3e9a209a, v1, -v19
	v_fma_f32 v20, 0x3e9a209a, v9, -v20
	;; [unrolled: 1-line block ×4, first 2 shown]
	v_cmp_gt_f32_e64 s2, 0x7f800000, |v10|
	v_fmac_f32_e32 v19, 0x3284fbcf, v1
	s_delay_alu instid0(VALU_DEP_4) | instskip(NEXT) | instid1(VALU_DEP_4)
	v_dual_fmac_f32 v20, 0x3284fbcf, v9 :: v_dual_fmac_f32 v21, 0x3284fbcf, v10
	v_fmac_f32_e32 v22, 0x3284fbcf, v11
	v_cmp_gt_f32_e64 s3, 0x7f800000, |v11|
	s_delay_alu instid0(VALU_DEP_4) | instskip(NEXT) | instid1(VALU_DEP_4)
	v_fmac_f32_e32 v19, 0x3e9a209a, v1
	v_dual_fmac_f32 v20, 0x3e9a209a, v9 :: v_dual_fmac_f32 v21, 0x3e9a209a, v10
	s_delay_alu instid0(VALU_DEP_4) | instskip(SKIP_1) | instid1(VALU_DEP_3)
	v_fmac_f32_e32 v22, 0x3e9a209a, v11
	v_cmp_gt_f32_e64 s4, 0x7f800000, |v1|
	v_dual_cndmask_b32 v9, v9, v20, vcc_lo :: v_dual_cndmask_b32 v10, v10, v21, s2
	s_delay_alu instid0(VALU_DEP_2) | instskip(SKIP_1) | instid1(VALU_DEP_3)
	v_dual_cndmask_b32 v11, v11, v22, s3 :: v_dual_cndmask_b32 v1, v1, v19, s4
	v_cmp_ge_i64_e32 vcc_lo, v[14:15], v[2:3]
	v_dual_sub_f32 v9, v9, v16 :: v_dual_sub_f32 v10, v10, v17
	s_delay_alu instid0(VALU_DEP_3)
	v_dual_sub_f32 v11, v11, v18 :: v_dual_sub_f32 v8, v1, v8
	s_or_b32 s18, vcc_lo, s18
	global_store_b128 v[12:13], v[8:11], off
	s_wait_xcnt 0x0
	s_and_not1_b32 exec_lo, exec_lo, s18
	s_cbranch_execnz .LBB178_3
.LBB178_4:
	s_or_b32 exec_lo, exec_lo, s5
	s_mov_b32 s2, 0
.LBB178_5:
	s_delay_alu instid0(SALU_CYCLE_1)
	s_and_not1_b32 vcc_lo, exec_lo, s2
	s_cbranch_vccnz .LBB178_25
; %bb.6:
	v_cmp_lt_i64_e64 s2, s[12:13], 1
	s_and_b32 vcc_lo, exec_lo, s2
	s_cbranch_vccnz .LBB178_25
; %bb.7:
	s_load_b32 s0, s[0:1], 0xc5c
	v_min_i64 v[2:3], 0x10000, s[12:13]
	v_min_u64 v[4:5], 0x10000, s[12:13]
	v_dual_mov_b32 v1, 0 :: v_dual_lshlrev_b32 v10, 2, v0
	s_wait_xcnt 0x0
	s_mov_b32 s1, 0
	s_delay_alu instid0(SALU_CYCLE_1) | instskip(NEXT) | instid1(VALU_DEP_1)
	s_mov_b32 s13, s1
	v_dual_mov_b32 v11, v1 :: v_dual_mov_b32 v27, v1
	s_mov_b32 s3, s1
	s_mov_b32 s5, s1
	s_delay_alu instid0(VALU_DEP_1) | instskip(SKIP_2) | instid1(SALU_CYCLE_1)
	v_add_nc_u64_e32 v[6:7], s[8:9], v[10:11]
	s_wait_kmcnt 0x0
	s_and_b32 s0, s0, 0xffff
	v_add_nc_u64_e32 v[8:9], s[0:1], v[0:1]
	v_mad_nc_u64_u32 v[22:23], s0, 12, v[10:11]
	s_lshl_b32 s12, s0, 3
	s_mul_i32 s4, s0, 3
	v_add_nc_u64_e32 v[18:19], s[12:13], v[10:11]
	s_lshl_b32 s2, s0, 1
	v_add_nc_u64_e32 v[10:11], s[10:11], v[10:11]
	v_lshlrev_b32_e32 v26, 2, v8
	v_add_nc_u64_e32 v[12:13], s[4:5], v[0:1]
	v_add_nc_u64_e32 v[14:15], s[2:3], v[0:1]
	s_lshl_b32 s4, s0, 2
	v_add_nc_u64_e32 v[16:17], s[8:9], v[18:19]
	v_add_nc_u64_e32 v[18:19], s[10:11], v[18:19]
	;; [unrolled: 1-line block ×6, first 2 shown]
	s_lshl_b32 s8, s0, 4
	s_mov_b32 s9, s1
	s_mov_b64 s[10:11], 0
	s_branch .LBB178_9
.LBB178_8:                              ;   in Loop: Header=BB178_9 Depth=1
	s_wait_xcnt 0x0
	s_or_b32 exec_lo, exec_lo, s1
	s_add_nc_u64 s[10:11], s[10:11], s[4:5]
	v_add_nc_u64_e32 v[6:7], s[8:9], v[6:7]
	v_cmp_ge_i64_e32 vcc_lo, s[10:11], v[2:3]
	v_add_nc_u64_e32 v[10:11], s[8:9], v[10:11]
	v_add_nc_u64_e32 v[20:21], s[8:9], v[20:21]
	;; [unrolled: 1-line block ×7, first 2 shown]
	s_cbranch_vccnz .LBB178_25
.LBB178_9:                              ; =>This Inner Loop Header: Depth=1
	s_wait_loadcnt 0x0
	v_add_nc_u64_e32 v[28:29], s[10:11], v[0:1]
	v_mov_b32_e32 v31, 0
	s_delay_alu instid0(VALU_DEP_2)
	v_cmp_lt_u64_e64 s2, v[28:29], v[4:5]
	s_and_saveexec_b32 s0, s2
	s_cbranch_execz .LBB178_11
; %bb.10:                               ;   in Loop: Header=BB178_9 Depth=1
	v_add_nc_u64_e32 v[28:29], s[6:7], v[6:7]
	global_load_b32 v31, v[28:29], off
.LBB178_11:                             ;   in Loop: Header=BB178_9 Depth=1
	s_wait_xcnt 0x0
	s_or_b32 exec_lo, exec_lo, s0
	v_add_nc_u64_e32 v[28:29], s[10:11], v[8:9]
	v_mov_b32_e32 v30, 0
	s_delay_alu instid0(VALU_DEP_2)
	v_cmp_lt_u64_e64 s1, v[28:29], v[4:5]
	v_mov_b32_e32 v28, 0
	s_and_saveexec_b32 s0, s1
	s_cbranch_execz .LBB178_13
; %bb.12:                               ;   in Loop: Header=BB178_9 Depth=1
	v_add_nc_u64_e32 v[32:33], s[6:7], v[24:25]
	global_load_b32 v30, v[32:33], off
.LBB178_13:                             ;   in Loop: Header=BB178_9 Depth=1
	s_wait_xcnt 0x0
	s_or_b32 exec_lo, exec_lo, s0
	v_add_nc_u64_e32 v[32:33], s[10:11], v[14:15]
	s_delay_alu instid0(VALU_DEP_1)
	v_cmp_lt_u64_e64 s0, v[32:33], v[4:5]
	s_and_saveexec_b32 s3, s0
	s_cbranch_execz .LBB178_15
; %bb.14:                               ;   in Loop: Header=BB178_9 Depth=1
	v_add_nc_u64_e32 v[28:29], s[6:7], v[16:17]
	global_load_b32 v28, v[28:29], off
.LBB178_15:                             ;   in Loop: Header=BB178_9 Depth=1
	s_wait_xcnt 0x0
	s_or_b32 exec_lo, exec_lo, s3
	v_add_nc_u64_e32 v[32:33], s[10:11], v[12:13]
	v_mov_b32_e32 v29, 0
	s_delay_alu instid0(VALU_DEP_2)
	v_cmp_lt_u64_e32 vcc_lo, v[32:33], v[4:5]
	s_and_saveexec_b32 s3, vcc_lo
	s_cbranch_execnz .LBB178_20
; %bb.16:                               ;   in Loop: Header=BB178_9 Depth=1
	s_or_b32 exec_lo, exec_lo, s3
	s_and_saveexec_b32 s12, s2
	s_cbranch_execnz .LBB178_21
.LBB178_17:                             ;   in Loop: Header=BB178_9 Depth=1
	s_or_b32 exec_lo, exec_lo, s12
	s_and_saveexec_b32 s3, s1
	s_cbranch_execnz .LBB178_22
.LBB178_18:                             ;   in Loop: Header=BB178_9 Depth=1
	s_or_b32 exec_lo, exec_lo, s3
	s_and_saveexec_b32 s2, s0
	s_cbranch_execnz .LBB178_23
.LBB178_19:                             ;   in Loop: Header=BB178_9 Depth=1
	s_or_b32 exec_lo, exec_lo, s2
	s_and_saveexec_b32 s1, vcc_lo
	s_cbranch_execz .LBB178_8
	s_branch .LBB178_24
.LBB178_20:                             ;   in Loop: Header=BB178_9 Depth=1
	v_add_nc_u64_e32 v[32:33], s[6:7], v[20:21]
	global_load_b32 v29, v[32:33], off
	s_wait_xcnt 0x0
	s_or_b32 exec_lo, exec_lo, s3
	s_and_saveexec_b32 s12, s2
	s_cbranch_execz .LBB178_17
.LBB178_21:                             ;   in Loop: Header=BB178_9 Depth=1
	s_wait_loadcnt 0x0
	v_cmp_gt_f32_e64 s2, 0x800000, v31
	s_delay_alu instid0(VALU_DEP_1) | instskip(SKIP_1) | instid1(VALU_DEP_2)
	v_cndmask_b32_e64 v32, 0, 32, s2
	v_cndmask_b32_e64 v34, 0, 0x411a209b, s2
	v_ldexp_f32 v31, v31, v32
	s_delay_alu instid0(VALU_DEP_1) | instskip(SKIP_1) | instid1(TRANS32_DEP_1)
	v_log_f32_e32 v31, v31
	v_nop
	v_mul_f32_e32 v32, 0x3e9a209a, v31
	v_cmp_gt_f32_e64 s3, 0x7f800000, |v31|
	s_delay_alu instid0(VALU_DEP_2) | instskip(NEXT) | instid1(VALU_DEP_1)
	v_fma_f32 v32, 0x3e9a209a, v31, -v32
	v_fmac_f32_e32 v32, 0x3284fbcf, v31
	s_delay_alu instid0(VALU_DEP_1) | instskip(NEXT) | instid1(VALU_DEP_1)
	v_fmac_f32_e32 v32, 0x3e9a209a, v31
	v_cndmask_b32_e64 v31, v31, v32, s3
	v_add_nc_u64_e32 v[32:33], s[6:7], v[10:11]
	s_delay_alu instid0(VALU_DEP_2)
	v_sub_f32_e32 v31, v31, v34
	global_store_b32 v[32:33], v31, off
	s_wait_xcnt 0x0
	s_or_b32 exec_lo, exec_lo, s12
	s_and_saveexec_b32 s3, s1
	s_cbranch_execz .LBB178_18
.LBB178_22:                             ;   in Loop: Header=BB178_9 Depth=1
	s_wait_loadcnt 0x0
	v_cmp_gt_f32_e64 s1, 0x800000, v30
	s_delay_alu instid0(VALU_DEP_1) | instskip(SKIP_1) | instid1(VALU_DEP_2)
	v_cndmask_b32_e64 v31, 0, 32, s1
	v_cndmask_b32_e64 v33, 0, 0x411a209b, s1
	v_ldexp_f32 v30, v30, v31
	s_delay_alu instid0(VALU_DEP_1) | instskip(SKIP_1) | instid1(TRANS32_DEP_1)
	v_log_f32_e32 v30, v30
	v_nop
	v_mul_f32_e32 v31, 0x3e9a209a, v30
	v_cmp_gt_f32_e64 s2, 0x7f800000, |v30|
	s_delay_alu instid0(VALU_DEP_2) | instskip(NEXT) | instid1(VALU_DEP_1)
	v_fma_f32 v31, 0x3e9a209a, v30, -v31
	v_fmac_f32_e32 v31, 0x3284fbcf, v30
	s_delay_alu instid0(VALU_DEP_1) | instskip(NEXT) | instid1(VALU_DEP_1)
	v_fmac_f32_e32 v31, 0x3e9a209a, v30
	v_cndmask_b32_e64 v32, v30, v31, s2
	v_add_nc_u64_e32 v[30:31], s[6:7], v[26:27]
	s_delay_alu instid0(VALU_DEP_2)
	v_sub_f32_e32 v32, v32, v33
	global_store_b32 v[30:31], v32, off
	s_wait_xcnt 0x0
	s_or_b32 exec_lo, exec_lo, s3
	s_and_saveexec_b32 s2, s0
	s_cbranch_execz .LBB178_19
.LBB178_23:                             ;   in Loop: Header=BB178_9 Depth=1
	s_wait_loadcnt 0x0
	v_cmp_gt_f32_e64 s0, 0x800000, v28
	s_delay_alu instid0(VALU_DEP_1) | instskip(SKIP_1) | instid1(VALU_DEP_2)
	v_cndmask_b32_e64 v30, 0, 32, s0
	v_cndmask_b32_e64 v32, 0, 0x411a209b, s0
	v_ldexp_f32 v28, v28, v30
	s_delay_alu instid0(VALU_DEP_1) | instskip(SKIP_1) | instid1(TRANS32_DEP_1)
	v_log_f32_e32 v28, v28
	v_nop
	v_mul_f32_e32 v30, 0x3e9a209a, v28
	v_cmp_gt_f32_e64 s1, 0x7f800000, |v28|
	s_delay_alu instid0(VALU_DEP_2) | instskip(NEXT) | instid1(VALU_DEP_1)
	v_fma_f32 v30, 0x3e9a209a, v28, -v30
	v_fmac_f32_e32 v30, 0x3284fbcf, v28
	s_delay_alu instid0(VALU_DEP_1) | instskip(NEXT) | instid1(VALU_DEP_1)
	v_fmac_f32_e32 v30, 0x3e9a209a, v28
	v_cndmask_b32_e64 v28, v28, v30, s1
	v_add_nc_u64_e32 v[30:31], s[6:7], v[18:19]
	s_delay_alu instid0(VALU_DEP_2)
	v_sub_f32_e32 v28, v28, v32
	global_store_b32 v[30:31], v28, off
	s_wait_xcnt 0x0
	s_or_b32 exec_lo, exec_lo, s2
	s_and_saveexec_b32 s1, vcc_lo
	s_cbranch_execz .LBB178_8
.LBB178_24:                             ;   in Loop: Header=BB178_9 Depth=1
	s_wait_loadcnt 0x0
	v_cmp_gt_f32_e32 vcc_lo, 0x800000, v29
	v_cndmask_b32_e64 v28, 0, 32, vcc_lo
	v_cndmask_b32_e64 v31, 0, 0x411a209b, vcc_lo
	s_delay_alu instid0(VALU_DEP_2) | instskip(NEXT) | instid1(VALU_DEP_1)
	v_ldexp_f32 v28, v29, v28
	v_log_f32_e32 v28, v28
	v_nop
	s_delay_alu instid0(TRANS32_DEP_1) | instskip(SKIP_1) | instid1(VALU_DEP_2)
	v_mul_f32_e32 v29, 0x3e9a209a, v28
	v_cmp_gt_f32_e64 s0, 0x7f800000, |v28|
	v_fma_f32 v29, 0x3e9a209a, v28, -v29
	s_delay_alu instid0(VALU_DEP_1) | instskip(NEXT) | instid1(VALU_DEP_1)
	v_fmac_f32_e32 v29, 0x3284fbcf, v28
	v_fmac_f32_e32 v29, 0x3e9a209a, v28
	s_delay_alu instid0(VALU_DEP_1) | instskip(SKIP_1) | instid1(VALU_DEP_2)
	v_cndmask_b32_e64 v30, v28, v29, s0
	v_add_nc_u64_e32 v[28:29], s[6:7], v[22:23]
	v_sub_f32_e32 v30, v30, v31
	global_store_b32 v[28:29], v30, off
	s_branch .LBB178_8
.LBB178_25:
	s_endpgm
	.section	.rodata,"a",@progbits
	.p2align	6, 0x0
	.amdhsa_kernel _ZN2at6native12_GLOBAL__N_125multi_tensor_apply_kernelINS1_18TensorListMetadataILi2EEENS1_14UnaryOpFunctorIfLi2ELi1ELi1EEEJNS0_5Log10IfEEEEEvT_T0_DpT1_
		.amdhsa_group_segment_fixed_size 0
		.amdhsa_private_segment_fixed_size 0
		.amdhsa_kernarg_size 3408
		.amdhsa_user_sgpr_count 2
		.amdhsa_user_sgpr_dispatch_ptr 0
		.amdhsa_user_sgpr_queue_ptr 0
		.amdhsa_user_sgpr_kernarg_segment_ptr 1
		.amdhsa_user_sgpr_dispatch_id 0
		.amdhsa_user_sgpr_kernarg_preload_length 0
		.amdhsa_user_sgpr_kernarg_preload_offset 0
		.amdhsa_user_sgpr_private_segment_size 0
		.amdhsa_wavefront_size32 1
		.amdhsa_uses_dynamic_stack 0
		.amdhsa_enable_private_segment 0
		.amdhsa_system_sgpr_workgroup_id_x 1
		.amdhsa_system_sgpr_workgroup_id_y 0
		.amdhsa_system_sgpr_workgroup_id_z 0
		.amdhsa_system_sgpr_workgroup_info 0
		.amdhsa_system_vgpr_workitem_id 0
		.amdhsa_next_free_vgpr 35
		.amdhsa_next_free_sgpr 20
		.amdhsa_named_barrier_count 0
		.amdhsa_reserve_vcc 1
		.amdhsa_float_round_mode_32 0
		.amdhsa_float_round_mode_16_64 0
		.amdhsa_float_denorm_mode_32 3
		.amdhsa_float_denorm_mode_16_64 3
		.amdhsa_fp16_overflow 0
		.amdhsa_memory_ordered 1
		.amdhsa_forward_progress 1
		.amdhsa_inst_pref_size 16
		.amdhsa_round_robin_scheduling 0
		.amdhsa_exception_fp_ieee_invalid_op 0
		.amdhsa_exception_fp_denorm_src 0
		.amdhsa_exception_fp_ieee_div_zero 0
		.amdhsa_exception_fp_ieee_overflow 0
		.amdhsa_exception_fp_ieee_underflow 0
		.amdhsa_exception_fp_ieee_inexact 0
		.amdhsa_exception_int_div_zero 0
	.end_amdhsa_kernel
	.section	.text._ZN2at6native12_GLOBAL__N_125multi_tensor_apply_kernelINS1_18TensorListMetadataILi2EEENS1_14UnaryOpFunctorIfLi2ELi1ELi1EEEJNS0_5Log10IfEEEEEvT_T0_DpT1_,"axG",@progbits,_ZN2at6native12_GLOBAL__N_125multi_tensor_apply_kernelINS1_18TensorListMetadataILi2EEENS1_14UnaryOpFunctorIfLi2ELi1ELi1EEEJNS0_5Log10IfEEEEEvT_T0_DpT1_,comdat
.Lfunc_end178:
	.size	_ZN2at6native12_GLOBAL__N_125multi_tensor_apply_kernelINS1_18TensorListMetadataILi2EEENS1_14UnaryOpFunctorIfLi2ELi1ELi1EEEJNS0_5Log10IfEEEEEvT_T0_DpT1_, .Lfunc_end178-_ZN2at6native12_GLOBAL__N_125multi_tensor_apply_kernelINS1_18TensorListMetadataILi2EEENS1_14UnaryOpFunctorIfLi2ELi1ELi1EEEJNS0_5Log10IfEEEEEvT_T0_DpT1_
                                        ; -- End function
	.set _ZN2at6native12_GLOBAL__N_125multi_tensor_apply_kernelINS1_18TensorListMetadataILi2EEENS1_14UnaryOpFunctorIfLi2ELi1ELi1EEEJNS0_5Log10IfEEEEEvT_T0_DpT1_.num_vgpr, 35
	.set _ZN2at6native12_GLOBAL__N_125multi_tensor_apply_kernelINS1_18TensorListMetadataILi2EEENS1_14UnaryOpFunctorIfLi2ELi1ELi1EEEJNS0_5Log10IfEEEEEvT_T0_DpT1_.num_agpr, 0
	.set _ZN2at6native12_GLOBAL__N_125multi_tensor_apply_kernelINS1_18TensorListMetadataILi2EEENS1_14UnaryOpFunctorIfLi2ELi1ELi1EEEJNS0_5Log10IfEEEEEvT_T0_DpT1_.numbered_sgpr, 20
	.set _ZN2at6native12_GLOBAL__N_125multi_tensor_apply_kernelINS1_18TensorListMetadataILi2EEENS1_14UnaryOpFunctorIfLi2ELi1ELi1EEEJNS0_5Log10IfEEEEEvT_T0_DpT1_.num_named_barrier, 0
	.set _ZN2at6native12_GLOBAL__N_125multi_tensor_apply_kernelINS1_18TensorListMetadataILi2EEENS1_14UnaryOpFunctorIfLi2ELi1ELi1EEEJNS0_5Log10IfEEEEEvT_T0_DpT1_.private_seg_size, 0
	.set _ZN2at6native12_GLOBAL__N_125multi_tensor_apply_kernelINS1_18TensorListMetadataILi2EEENS1_14UnaryOpFunctorIfLi2ELi1ELi1EEEJNS0_5Log10IfEEEEEvT_T0_DpT1_.uses_vcc, 1
	.set _ZN2at6native12_GLOBAL__N_125multi_tensor_apply_kernelINS1_18TensorListMetadataILi2EEENS1_14UnaryOpFunctorIfLi2ELi1ELi1EEEJNS0_5Log10IfEEEEEvT_T0_DpT1_.uses_flat_scratch, 0
	.set _ZN2at6native12_GLOBAL__N_125multi_tensor_apply_kernelINS1_18TensorListMetadataILi2EEENS1_14UnaryOpFunctorIfLi2ELi1ELi1EEEJNS0_5Log10IfEEEEEvT_T0_DpT1_.has_dyn_sized_stack, 0
	.set _ZN2at6native12_GLOBAL__N_125multi_tensor_apply_kernelINS1_18TensorListMetadataILi2EEENS1_14UnaryOpFunctorIfLi2ELi1ELi1EEEJNS0_5Log10IfEEEEEvT_T0_DpT1_.has_recursion, 0
	.set _ZN2at6native12_GLOBAL__N_125multi_tensor_apply_kernelINS1_18TensorListMetadataILi2EEENS1_14UnaryOpFunctorIfLi2ELi1ELi1EEEJNS0_5Log10IfEEEEEvT_T0_DpT1_.has_indirect_call, 0
	.section	.AMDGPU.csdata,"",@progbits
; Kernel info:
; codeLenInByte = 1960
; TotalNumSgprs: 22
; NumVgprs: 35
; ScratchSize: 0
; MemoryBound: 0
; FloatMode: 240
; IeeeMode: 1
; LDSByteSize: 0 bytes/workgroup (compile time only)
; SGPRBlocks: 0
; VGPRBlocks: 2
; NumSGPRsForWavesPerEU: 22
; NumVGPRsForWavesPerEU: 35
; NamedBarCnt: 0
; Occupancy: 16
; WaveLimiterHint : 0
; COMPUTE_PGM_RSRC2:SCRATCH_EN: 0
; COMPUTE_PGM_RSRC2:USER_SGPR: 2
; COMPUTE_PGM_RSRC2:TRAP_HANDLER: 0
; COMPUTE_PGM_RSRC2:TGID_X_EN: 1
; COMPUTE_PGM_RSRC2:TGID_Y_EN: 0
; COMPUTE_PGM_RSRC2:TGID_Z_EN: 0
; COMPUTE_PGM_RSRC2:TIDIG_COMP_CNT: 0
	.section	.text._ZN2at6native12_GLOBAL__N_125multi_tensor_apply_kernelINS1_18TensorListMetadataILi2EEENS1_14UnaryOpFunctorIN3c107complexIdEELi2ELi1ELi1EEEJNS0_5Log10IS8_EEEEEvT_T0_DpT1_,"axG",@progbits,_ZN2at6native12_GLOBAL__N_125multi_tensor_apply_kernelINS1_18TensorListMetadataILi2EEENS1_14UnaryOpFunctorIN3c107complexIdEELi2ELi1ELi1EEEJNS0_5Log10IS8_EEEEEvT_T0_DpT1_,comdat
	.globl	_ZN2at6native12_GLOBAL__N_125multi_tensor_apply_kernelINS1_18TensorListMetadataILi2EEENS1_14UnaryOpFunctorIN3c107complexIdEELi2ELi1ELi1EEEJNS0_5Log10IS8_EEEEEvT_T0_DpT1_ ; -- Begin function _ZN2at6native12_GLOBAL__N_125multi_tensor_apply_kernelINS1_18TensorListMetadataILi2EEENS1_14UnaryOpFunctorIN3c107complexIdEELi2ELi1ELi1EEEJNS0_5Log10IS8_EEEEEvT_T0_DpT1_
	.p2align	8
	.type	_ZN2at6native12_GLOBAL__N_125multi_tensor_apply_kernelINS1_18TensorListMetadataILi2EEENS1_14UnaryOpFunctorIN3c107complexIdEELi2ELi1ELi1EEEJNS0_5Log10IS8_EEEEEvT_T0_DpT1_,@function
_ZN2at6native12_GLOBAL__N_125multi_tensor_apply_kernelINS1_18TensorListMetadataILi2EEENS1_14UnaryOpFunctorIN3c107complexIdEELi2ELi1ELi1EEEJNS0_5Log10IS8_EEEEEvT_T0_DpT1_: ; @_ZN2at6native12_GLOBAL__N_125multi_tensor_apply_kernelINS1_18TensorListMetadataILi2EEENS1_14UnaryOpFunctorIN3c107complexIdEELi2ELi1ELi1EEEJNS0_5Log10IS8_EEEEEvT_T0_DpT1_
; %bb.0:
	s_bfe_u32 s2, ttmp6, 0x4000c
	s_and_b32 s3, ttmp6, 15
	s_add_co_i32 s2, s2, 1
	s_getreg_b32 s4, hwreg(HW_REG_IB_STS2, 6, 4)
	s_mul_i32 s2, ttmp9, s2
	s_delay_alu instid0(SALU_CYCLE_1)
	s_add_co_i32 s3, s3, s2
	s_cmp_eq_u32 s4, 0
	s_cselect_b32 s2, ttmp9, s3
	s_mov_b32 s3, 0
	s_load_u8 s14, s[0:1], s2 offset:0x600
	s_add_nc_u64 s[4:5], s[0:1], s[2:3]
	s_mul_u64 s[6:7], s[2:3], 3
	s_delay_alu instid0(SALU_CYCLE_1)
	s_add_nc_u64 s[4:5], s[4:5], s[6:7]
	s_load_b32 s6, s[4:5], 0x740
	s_wait_kmcnt 0x0
	s_clause 0x2
	s_load_b64 s[8:9], s[0:1], s14 offset:0x0 scale_offset
	s_load_b64 s[10:11], s[0:1], s14 offset:0x200 scale_offset
	;; [unrolled: 1-line block ×3, first 2 shown]
	s_ashr_i32 s7, s6, 31
	s_delay_alu instid0(SALU_CYCLE_1)
	s_lshl_b64 s[4:5], s[6:7], 20
	s_lshl_b64 s[6:7], s[6:7], 16
	s_wait_kmcnt 0x0
	s_add_nc_u64 s[18:19], s[10:11], s[4:5]
	s_add_nc_u64 s[16:17], s[8:9], s[4:5]
	s_and_b32 s4, s12, 3
	s_and_b64 s[8:9], s[18:19], 63
	s_mov_b32 s5, s3
	s_and_b32 s2, s16, 63
	s_or_b64 s[4:5], s[8:9], s[4:5]
	s_sub_nc_u64 s[14:15], s[12:13], s[6:7]
	s_or_b64 s[2:3], s[4:5], s[2:3]
	s_delay_alu instid0(SALU_CYCLE_1)
	s_cmp_eq_u64 s[2:3], 0
	s_mov_b32 s2, -1
	s_cbranch_scc0 .LBB179_141
; %bb.1:
	v_min_i64 v[18:19], 0x10000, s[14:15]
	v_dual_mov_b32 v20, 0 :: v_dual_lshlrev_b32 v2, 2, v0
	s_mov_b32 s13, exec_lo
	s_delay_alu instid0(VALU_DEP_1) | instskip(NEXT) | instid1(VALU_DEP_1)
	v_mov_b32_e32 v3, v20
	v_cmpx_lt_i64_e64 v[2:3], v[18:19]
	s_cbranch_execz .LBB179_140
; %bb.2:
	s_load_b32 s2, s[0:1], 0xc5c
	v_dual_mov_b32 v1, v20 :: v_dual_mov_b32 v62, 0x7f3321d2
	v_mov_b64_e32 v[22:23], 0x3fc385386b47b09a
	v_mov_b64_e32 v[24:25], 0xbf23e260bd3237f4
	v_mov_b32_e32 v63, 0x4002d97c
	s_delay_alu instid0(VALU_DEP_4)
	v_mov_b64_e32 v[26:27], v[0:1]
	s_mov_b32 s45, 0
	s_mov_b64 s[20:21], 0x7fd1ccf385ebc8a0
	s_mov_b64 s[22:23], 0x358dee7a4ad4b81f
	;; [unrolled: 1-line block ×11, first 2 shown]
	s_mov_b32 s33, s45
	s_wait_kmcnt 0x0
	s_and_b32 s44, s2, 0xffff
                                        ; implicit-def: $vgpr2_vgpr3
                                        ; implicit-def: $vgpr2_vgpr3
	;; [unrolled: 1-line block ×23, first 2 shown]
	s_branch .LBB179_5
.LBB179_3:                              ;   in Loop: Header=BB179_5 Depth=1
	s_or_b32 exec_lo, exec_lo, s3
	s_delay_alu instid0(VALU_DEP_1) | instskip(NEXT) | instid1(VALU_DEP_1)
	v_frexp_mant_f64_e32 v[2:3], v[40:41]
	v_cmp_gt_f64_e32 vcc_lo, s[26:27], v[2:3]
	v_cndmask_b32_e64 v1, 0, 1, vcc_lo
	s_delay_alu instid0(VALU_DEP_1) | instskip(SKIP_1) | instid1(VALU_DEP_1)
	v_ldexp_f64 v[2:3], v[2:3], v1
	v_frexp_exp_i32_f64_e32 v1, v[40:41]
	v_subrev_co_ci_u32_e64 v1, null, 0, v1, vcc_lo
	v_cmp_class_f64_e64 vcc_lo, v[40:41], 0x204
	s_delay_alu instid0(VALU_DEP_4) | instskip(SKIP_1) | instid1(VALU_DEP_2)
	v_add_f64_e32 v[14:15], 1.0, v[2:3]
	v_add_f64_e32 v[44:45], -1.0, v[2:3]
	v_rcp_f64_e32 v[38:39], v[14:15]
	v_add_f64_e32 v[46:47], -1.0, v[14:15]
	s_delay_alu instid0(VALU_DEP_1) | instskip(NEXT) | instid1(TRANS32_DEP_1)
	v_add_f64_e64 v[2:3], v[2:3], -v[46:47]
	v_fma_f64 v[42:43], -v[14:15], v[38:39], 1.0
	s_delay_alu instid0(VALU_DEP_1) | instskip(NEXT) | instid1(VALU_DEP_1)
	v_fmac_f64_e32 v[38:39], v[42:43], v[38:39]
	v_fma_f64 v[42:43], -v[14:15], v[38:39], 1.0
	s_delay_alu instid0(VALU_DEP_1) | instskip(NEXT) | instid1(VALU_DEP_1)
	v_fmac_f64_e32 v[38:39], v[42:43], v[38:39]
	v_mul_f64_e32 v[42:43], v[44:45], v[38:39]
	s_delay_alu instid0(VALU_DEP_1) | instskip(NEXT) | instid1(VALU_DEP_1)
	v_mul_f64_e32 v[48:49], v[14:15], v[42:43]
	v_fma_f64 v[14:15], v[42:43], v[14:15], -v[48:49]
	s_delay_alu instid0(VALU_DEP_1) | instskip(NEXT) | instid1(VALU_DEP_1)
	v_fmac_f64_e32 v[14:15], v[42:43], v[2:3]
	v_add_f64_e32 v[2:3], v[48:49], v[14:15]
	s_delay_alu instid0(VALU_DEP_1) | instskip(SKIP_1) | instid1(VALU_DEP_2)
	v_add_f64_e64 v[46:47], v[44:45], -v[2:3]
	v_add_f64_e64 v[48:49], v[2:3], -v[48:49]
	;; [unrolled: 1-line block ×3, first 2 shown]
	s_delay_alu instid0(VALU_DEP_2) | instskip(NEXT) | instid1(VALU_DEP_2)
	v_add_f64_e64 v[14:15], v[48:49], -v[14:15]
	v_add_f64_e64 v[2:3], v[44:45], -v[2:3]
	s_delay_alu instid0(VALU_DEP_1) | instskip(NEXT) | instid1(VALU_DEP_1)
	v_add_f64_e32 v[2:3], v[14:15], v[2:3]
	v_add_f64_e32 v[2:3], v[46:47], v[2:3]
	s_delay_alu instid0(VALU_DEP_1) | instskip(NEXT) | instid1(VALU_DEP_1)
	v_mul_f64_e32 v[2:3], v[38:39], v[2:3]
	v_add_f64_e32 v[14:15], v[42:43], v[2:3]
	s_delay_alu instid0(VALU_DEP_1) | instskip(NEXT) | instid1(VALU_DEP_1)
	v_mul_f64_e32 v[38:39], v[14:15], v[14:15]
	v_fmamk_f64 v[44:45], v[38:39], 0x3fc3ab76bf559e2b, v[22:23]
	v_mul_f64_e32 v[46:47], v[14:15], v[38:39]
	s_delay_alu instid0(VALU_DEP_2) | instskip(NEXT) | instid1(VALU_DEP_1)
	v_fmaak_f64 v[44:45], v[38:39], v[44:45], 0x3fc7474dd7f4df2e
	v_fmaak_f64 v[44:45], v[38:39], v[44:45], 0x3fcc71c016291751
	s_delay_alu instid0(VALU_DEP_1) | instskip(NEXT) | instid1(VALU_DEP_1)
	v_fmaak_f64 v[44:45], v[38:39], v[44:45], 0x3fd249249b27acf1
	v_fmaak_f64 v[44:45], v[38:39], v[44:45], 0x3fd99999998ef7b6
	s_delay_alu instid0(VALU_DEP_1) | instskip(SKIP_2) | instid1(VALU_DEP_3)
	v_fmaak_f64 v[38:39], v[38:39], v[44:45], 0x3fe5555555555780
	v_ldexp_f64 v[44:45], v[14:15], 1
	v_add_f64_e64 v[14:15], v[14:15], -v[42:43]
	v_mul_f64_e32 v[38:39], v[46:47], v[38:39]
	v_cvt_f64_i32_e32 v[46:47], v1
	s_delay_alu instid0(VALU_DEP_3) | instskip(NEXT) | instid1(VALU_DEP_3)
	v_add_f64_e64 v[2:3], v[2:3], -v[14:15]
	v_add_f64_e32 v[42:43], v[44:45], v[38:39]
	s_delay_alu instid0(VALU_DEP_3) | instskip(NEXT) | instid1(VALU_DEP_3)
	v_mul_f64_e32 v[48:49], 0x3fe62e42fefa39ef, v[46:47]
	v_ldexp_f64 v[2:3], v[2:3], 1
	s_delay_alu instid0(VALU_DEP_3) | instskip(NEXT) | instid1(VALU_DEP_3)
	v_add_f64_e64 v[14:15], v[42:43], -v[44:45]
	v_fma_f64 v[44:45], v[46:47], s[28:29], -v[48:49]
	s_delay_alu instid0(VALU_DEP_2) | instskip(NEXT) | instid1(VALU_DEP_2)
	v_add_f64_e64 v[14:15], v[38:39], -v[14:15]
	v_fmac_f64_e32 v[44:45], 0x3c7abc9e3b39803f, v[46:47]
	s_delay_alu instid0(VALU_DEP_2) | instskip(NEXT) | instid1(VALU_DEP_2)
	v_add_f64_e32 v[2:3], v[2:3], v[14:15]
	v_add_f64_e32 v[14:15], v[48:49], v[44:45]
	s_delay_alu instid0(VALU_DEP_2) | instskip(NEXT) | instid1(VALU_DEP_2)
	v_add_f64_e32 v[38:39], v[42:43], v[2:3]
	v_add_f64_e64 v[48:49], v[14:15], -v[48:49]
	s_delay_alu instid0(VALU_DEP_2) | instskip(SKIP_1) | instid1(VALU_DEP_3)
	v_add_f64_e32 v[46:47], v[14:15], v[38:39]
	v_add_f64_e64 v[42:43], v[38:39], -v[42:43]
	v_add_f64_e64 v[44:45], v[44:45], -v[48:49]
	s_delay_alu instid0(VALU_DEP_3) | instskip(NEXT) | instid1(VALU_DEP_3)
	v_add_f64_e64 v[50:51], v[46:47], -v[14:15]
	v_add_f64_e64 v[2:3], v[2:3], -v[42:43]
	s_delay_alu instid0(VALU_DEP_2) | instskip(SKIP_1) | instid1(VALU_DEP_3)
	v_add_f64_e64 v[52:53], v[46:47], -v[50:51]
	v_add_f64_e64 v[38:39], v[38:39], -v[50:51]
	v_add_f64_e32 v[42:43], v[44:45], v[2:3]
	s_delay_alu instid0(VALU_DEP_3) | instskip(NEXT) | instid1(VALU_DEP_1)
	v_add_f64_e64 v[14:15], v[14:15], -v[52:53]
	v_add_f64_e32 v[14:15], v[38:39], v[14:15]
	s_delay_alu instid0(VALU_DEP_3) | instskip(NEXT) | instid1(VALU_DEP_2)
	v_add_f64_e64 v[38:39], v[42:43], -v[44:45]
	v_add_f64_e32 v[14:15], v[42:43], v[14:15]
	s_delay_alu instid0(VALU_DEP_2) | instskip(SKIP_1) | instid1(VALU_DEP_3)
	v_add_f64_e64 v[42:43], v[42:43], -v[38:39]
	v_add_f64_e64 v[2:3], v[2:3], -v[38:39]
	v_add_f64_e32 v[48:49], v[46:47], v[14:15]
	s_delay_alu instid0(VALU_DEP_3) | instskip(NEXT) | instid1(VALU_DEP_2)
	v_add_f64_e64 v[38:39], v[44:45], -v[42:43]
	v_add_f64_e64 v[42:43], v[48:49], -v[46:47]
	s_delay_alu instid0(VALU_DEP_2) | instskip(SKIP_1) | instid1(VALU_DEP_3)
	v_add_f64_e32 v[2:3], v[2:3], v[38:39]
	v_mov_b64_e32 v[38:39], 0x7ff8000000000000
	v_add_f64_e64 v[14:15], v[14:15], -v[42:43]
	s_delay_alu instid0(VALU_DEP_1) | instskip(NEXT) | instid1(VALU_DEP_1)
	v_add_f64_e32 v[2:3], v[2:3], v[14:15]
	v_add_f64_e32 v[2:3], v[48:49], v[2:3]
	s_delay_alu instid0(VALU_DEP_1) | instskip(SKIP_1) | instid1(VALU_DEP_2)
	v_dual_cndmask_b32 v1, v2, v40 :: v_dual_cndmask_b32 v2, v3, v41
	v_cmp_ngt_f64_e32 vcc_lo, 0, v[40:41]
	v_cndmask_b32_e32 v2, 0x7ff80000, v2, vcc_lo
	v_cmp_nge_f64_e32 vcc_lo, 0, v[40:41]
	s_delay_alu instid0(VALU_DEP_4) | instskip(SKIP_1) | instid1(VALU_DEP_4)
	v_cndmask_b32_e32 v14, 0, v1, vcc_lo
	v_cmp_neq_f64_e32 vcc_lo, 0, v[40:41]
	v_cndmask_b32_e32 v15, 0xfff00000, v2, vcc_lo
.LBB179_4:                              ;   in Loop: Header=BB179_5 Depth=1
	s_or_b32 exec_lo, exec_lo, s2
	v_bfi_b32 v37, 0x7fffffff, v37, v17
	v_div_scale_f64 v[2:3], null, s[42:43], s[42:43], v[10:11]
	v_bfi_b32 v35, 0x7fffffff, v35, v13
	v_div_scale_f64 v[12:13], null, s[42:43], s[42:43], v[6:7]
	s_delay_alu instid0(VALU_DEP_4) | instskip(SKIP_1) | instid1(VALU_DEP_4)
	v_div_scale_f64 v[16:17], null, s[42:43], s[42:43], v[36:37]
	v_bfi_b32 v33, 0x7fffffff, v33, v9
	v_div_scale_f64 v[40:41], null, s[42:43], s[42:43], v[34:35]
	v_div_scale_f64 v[8:9], null, s[42:43], s[42:43], v[30:31]
	v_bfi_b32 v39, 0x7fffffff, v39, v5
	s_delay_alu instid0(VALU_DEP_4) | instskip(SKIP_1) | instid1(VALU_DEP_3)
	v_div_scale_f64 v[42:43], null, s[42:43], s[42:43], v[32:33]
	v_div_scale_f64 v[4:5], null, s[42:43], s[42:43], v[14:15]
	;; [unrolled: 1-line block ×3, first 2 shown]
	v_div_scale_f64 v[80:81], vcc_lo, v[10:11], s[42:43], v[10:11]
	v_add_nc_u64_e32 v[26:27], s[44:45], v[26:27]
	v_add_nc_u64_e32 v[28:29], s[18:19], v[28:29]
	v_rcp_f64_e32 v[46:47], v[2:3]
	v_rcp_f64_e32 v[50:51], v[12:13]
	;; [unrolled: 1-line block ×7, first 2 shown]
	s_delay_alu instid0(VALU_DEP_4)
	v_rcp_f64_e32 v[60:61], v[44:45]
	v_fma_f64 v[64:65], -v[2:3], v[46:47], 1.0
	v_fma_f64 v[68:69], -v[12:13], v[50:51], 1.0
	;; [unrolled: 1-line block ×5, first 2 shown]
	s_delay_alu instid0(TRANS32_DEP_3) | instskip(NEXT) | instid1(TRANS32_DEP_2)
	v_fma_f64 v[74:75], -v[42:43], v[56:57], 1.0
	v_fma_f64 v[76:77], -v[4:5], v[58:59], 1.0
	s_delay_alu instid0(TRANS32_DEP_1)
	v_fma_f64 v[78:79], -v[44:45], v[60:61], 1.0
	v_fmac_f64_e32 v[46:47], v[46:47], v[64:65]
	v_fmac_f64_e32 v[50:51], v[50:51], v[68:69]
	;; [unrolled: 1-line block ×8, first 2 shown]
	v_fma_f64 v[64:65], -v[2:3], v[46:47], 1.0
	v_fma_f64 v[68:69], -v[12:13], v[50:51], 1.0
	;; [unrolled: 1-line block ×8, first 2 shown]
	v_fmac_f64_e32 v[46:47], v[46:47], v[64:65]
	v_div_scale_f64 v[64:65], s2, v[36:37], s[42:43], v[36:37]
	v_fmac_f64_e32 v[50:51], v[50:51], v[68:69]
	v_div_scale_f64 v[68:69], s4, v[34:35], s[42:43], v[34:35]
	;; [unrolled: 2-line block ×7, first 2 shown]
	v_fmac_f64_e32 v[60:61], v[60:61], v[78:79]
	v_mul_f64_e32 v[78:79], v[80:81], v[46:47]
	v_mul_f64_e32 v[82:83], v[64:65], v[48:49]
	v_mul_f64_e32 v[84:85], v[66:67], v[50:51]
	v_mul_f64_e32 v[86:87], v[68:69], v[52:53]
	v_mul_f64_e32 v[88:89], v[70:71], v[54:55]
	v_mul_f64_e32 v[90:91], v[72:73], v[56:57]
	v_mul_f64_e32 v[92:93], v[74:75], v[58:59]
	v_mul_f64_e32 v[94:95], v[76:77], v[60:61]
	v_fma_f64 v[2:3], -v[2:3], v[78:79], v[80:81]
	v_fma_f64 v[16:17], -v[16:17], v[82:83], v[64:65]
	;; [unrolled: 1-line block ×8, first 2 shown]
	v_div_fmas_f64 v[2:3], v[2:3], v[46:47], v[78:79]
	s_mov_b32 vcc_lo, s2
	v_div_fmas_f64 v[16:17], v[16:17], v[48:49], v[82:83]
	s_mov_b32 vcc_lo, s3
	;; [unrolled: 2-line block ×7, first 2 shown]
	v_div_fmas_f64 v[44:45], v[44:45], v[60:61], v[94:95]
	v_div_fixup_f64 v[2:3], v[2:3], s[42:43], v[10:11]
	v_div_fixup_f64 v[4:5], v[16:17], s[42:43], v[36:37]
	;; [unrolled: 1-line block ×5, first 2 shown]
	v_lshlrev_b64_e32 v[30:31], 2, v[26:27]
	v_div_fixup_f64 v[12:13], v[42:43], s[42:43], v[32:33]
	s_clause 0x1
	global_store_b128 v[28:29], v[10:13], off
	global_store_b128 v[28:29], v[6:9], off offset:16
	v_div_fixup_f64 v[14:15], v[46:47], s[42:43], v[14:15]
	v_div_fixup_f64 v[16:17], v[44:45], s[42:43], v[38:39]
	v_cmp_ge_i64_e32 vcc_lo, v[30:31], v[18:19]
	s_clause 0x1
	global_store_b128 v[28:29], v[2:5], off offset:32
	global_store_b128 v[28:29], v[14:17], off offset:48
	s_or_b32 s33, vcc_lo, s33
	s_wait_xcnt 0x0
	s_and_not1_b32 exec_lo, exec_lo, s33
	s_cbranch_execz .LBB179_140
.LBB179_5:                              ; =>This Loop Header: Depth=1
                                        ;     Child Loop BB179_16 Depth 2
                                        ;     Child Loop BB179_50 Depth 2
	;; [unrolled: 1-line block ×4, first 2 shown]
	v_lshlrev_b64_e32 v[28:29], 6, v[26:27]
                                        ; implicit-def: $vgpr32_vgpr33
	s_mov_b32 s2, exec_lo
	s_delay_alu instid0(VALU_DEP_1)
	v_add_nc_u64_e32 v[30:31], s[16:17], v[28:29]
	s_clause 0x3
	global_load_b128 v[6:9], v[30:31], off
	global_load_b128 v[10:13], v[30:31], off offset:16
	global_load_b128 v[2:5], v[30:31], off offset:48
	;; [unrolled: 1-line block ×3, first 2 shown]
                                        ; implicit-def: $vgpr30_vgpr31
	s_wait_loadcnt 0x3
	s_wait_xcnt 0x0
	v_cmpx_o_f64_e32 v[6:7], v[8:9]
	s_xor_b32 s46, exec_lo, s2
	s_cbranch_execz .LBB179_33
; %bb.6:                                ;   in Loop: Header=BB179_5 Depth=1
	v_cmp_lt_f64_e64 s2, |v[6:7]|, |v[8:9]|
	v_and_b32_e32 v21, 0x7fffffff, v7
	v_and_b32_e32 v1, 0x7fffffff, v9
	v_mov_b32_e32 v34, v8
                                        ; implicit-def: $vgpr30_vgpr31
                                        ; implicit-def: $vgpr32_vgpr33
	s_mov_b32 s3, exec_lo
	s_delay_alu instid0(VALU_DEP_2) | instskip(NEXT) | instid1(VALU_DEP_1)
	v_dual_cndmask_b32 v37, v1, v21, s2 :: v_dual_cndmask_b32 v36, v8, v6, s2
	v_cmpx_nlt_f64_e32 s[20:21], v[36:37]
	s_xor_b32 s47, exec_lo, s3
	s_cbranch_execz .LBB179_30
; %bb.7:                                ;   in Loop: Header=BB179_5 Depth=1
	v_dual_cndmask_b32 v39, v21, v1, s2 :: v_dual_cndmask_b32 v38, v6, v34, s2
                                        ; implicit-def: $vgpr30_vgpr31
                                        ; implicit-def: $vgpr32_vgpr33
	s_mov_b32 s3, exec_lo
	s_delay_alu instid0(VALU_DEP_1)
	v_cmpx_neq_f64_e32 1.0, v[38:39]
	s_xor_b32 s48, exec_lo, s3
	s_cbranch_execz .LBB179_23
; %bb.8:                                ;   in Loop: Header=BB179_5 Depth=1
	v_max_num_f64_e32 v[30:31], v[36:37], v[36:37]
	v_max_num_f64_e32 v[32:33], v[38:39], v[38:39]
	s_delay_alu instid0(VALU_DEP_1) | instskip(SKIP_1) | instid1(VALU_DEP_2)
	v_min_num_f64_e32 v[34:35], v[32:33], v[30:31]
	v_max_num_f64_e32 v[30:31], v[32:33], v[30:31]
                                        ; implicit-def: $vgpr32_vgpr33
	v_cmp_ngt_f64_e32 vcc_lo, s[22:23], v[34:35]
	s_delay_alu instid0(VALU_DEP_2) | instskip(SKIP_1) | instid1(SALU_CYCLE_1)
	v_cmp_nlt_f64_e64 s3, s[24:25], v[30:31]
                                        ; implicit-def: $vgpr30_vgpr31
	s_and_b32 s3, s3, vcc_lo
	s_and_saveexec_b32 s4, s3
	s_delay_alu instid0(SALU_CYCLE_1)
	s_xor_b32 s49, exec_lo, s4
	s_cbranch_execz .LBB179_20
; %bb.9:                                ;   in Loop: Header=BB179_5 Depth=1
                                        ; implicit-def: $vgpr30_vgpr31
                                        ; implicit-def: $vgpr32_vgpr33
	s_mov_b32 s3, exec_lo
	v_cmpx_le_f64_e32 1.0, v[38:39]
	s_xor_b32 s6, exec_lo, s3
	s_cbranch_execz .LBB179_11
; %bb.10:                               ;   in Loop: Header=BB179_5 Depth=1
	v_add_f64_e32 v[30:31], -1.0, v[38:39]
	v_add_f64_e32 v[32:33], 1.0, v[38:39]
	v_cmp_eq_f64_e64 s3, 0, v[8:9]
	v_cmp_class_f64_e64 s7, v[8:9], 0x204
	v_cmp_class_f64_e64 s8, v[6:7], 0x204
	s_delay_alu instid0(VALU_DEP_4) | instskip(NEXT) | instid1(VALU_DEP_1)
	v_mul_f64_e32 v[34:35], v[30:31], v[32:33]
	v_fmac_f64_e32 v[34:35], v[36:37], v[36:37]
	s_delay_alu instid0(VALU_DEP_1) | instskip(SKIP_2) | instid1(VALU_DEP_3)
	v_add_f64_e32 v[30:31], 1.0, v[34:35]
	v_cmp_nge_f64_e64 s4, -1.0, v[34:35]
	v_cmp_neq_f64_e64 s5, 0x7ff00000, v[34:35]
	v_frexp_mant_f64_e32 v[32:33], v[30:31]
	v_frexp_exp_i32_f64_e32 v1, v[30:31]
	v_add_f64_e32 v[36:37], -1.0, v[30:31]
	s_delay_alu instid0(VALU_DEP_3) | instskip(NEXT) | instid1(VALU_DEP_2)
	v_cmp_gt_f64_e32 vcc_lo, s[26:27], v[32:33]
	v_add_f64_e64 v[32:33], v[36:37], -v[30:31]
	v_add_f64_e64 v[36:37], v[34:35], -v[36:37]
	v_subrev_co_ci_u32_e64 v1, null, 0, v1, vcc_lo
	s_delay_alu instid0(VALU_DEP_3) | instskip(NEXT) | instid1(VALU_DEP_2)
	v_add_f64_e32 v[32:33], 1.0, v[32:33]
	v_sub_nc_u32_e32 v21, 0, v1
	s_delay_alu instid0(VALU_DEP_1) | instskip(NEXT) | instid1(VALU_DEP_3)
	v_ldexp_f64 v[30:31], v[30:31], v21
	v_add_f64_e32 v[32:33], v[36:37], v[32:33]
	s_delay_alu instid0(VALU_DEP_2) | instskip(SKIP_1) | instid1(VALU_DEP_3)
	v_add_f64_e32 v[38:39], 1.0, v[30:31]
	v_add_f64_e32 v[44:45], -1.0, v[30:31]
	v_ldexp_f64 v[32:33], v[32:33], v21
	s_delay_alu instid0(VALU_DEP_3) | instskip(NEXT) | instid1(VALU_DEP_3)
	v_add_f64_e32 v[36:37], -1.0, v[38:39]
	v_add_f64_e32 v[46:47], 1.0, v[44:45]
	s_delay_alu instid0(VALU_DEP_2) | instskip(NEXT) | instid1(VALU_DEP_2)
	v_add_f64_e64 v[36:37], v[30:31], -v[36:37]
	v_add_f64_e64 v[30:31], v[30:31], -v[46:47]
	s_delay_alu instid0(VALU_DEP_2) | instskip(NEXT) | instid1(VALU_DEP_2)
	v_add_f64_e32 v[36:37], v[32:33], v[36:37]
	v_add_f64_e32 v[30:31], v[32:33], v[30:31]
	s_delay_alu instid0(VALU_DEP_2) | instskip(NEXT) | instid1(VALU_DEP_2)
	v_add_f64_e32 v[40:41], v[38:39], v[36:37]
	v_add_f64_e32 v[46:47], v[44:45], v[30:31]
	s_delay_alu instid0(VALU_DEP_2) | instskip(SKIP_1) | instid1(VALU_DEP_2)
	v_rcp_f64_e32 v[42:43], v[40:41]
	v_add_f64_e64 v[38:39], v[40:41], -v[38:39]
	v_add_f64_e64 v[44:45], v[46:47], -v[44:45]
	s_delay_alu instid0(VALU_DEP_2) | instskip(NEXT) | instid1(VALU_DEP_2)
	v_add_f64_e64 v[36:37], v[36:37], -v[38:39]
	v_add_f64_e64 v[30:31], v[30:31], -v[44:45]
	s_delay_alu instid0(TRANS32_DEP_1) | instskip(NEXT) | instid1(VALU_DEP_1)
	v_fma_f64 v[48:49], -v[40:41], v[42:43], 1.0
	v_fmac_f64_e32 v[42:43], v[48:49], v[42:43]
	s_delay_alu instid0(VALU_DEP_1) | instskip(NEXT) | instid1(VALU_DEP_1)
	v_fma_f64 v[32:33], -v[40:41], v[42:43], 1.0
	v_fmac_f64_e32 v[42:43], v[32:33], v[42:43]
	s_delay_alu instid0(VALU_DEP_1) | instskip(NEXT) | instid1(VALU_DEP_1)
	v_mul_f64_e32 v[32:33], v[46:47], v[42:43]
	v_mul_f64_e32 v[48:49], v[40:41], v[32:33]
	s_delay_alu instid0(VALU_DEP_1) | instskip(NEXT) | instid1(VALU_DEP_1)
	v_fma_f64 v[38:39], v[32:33], v[40:41], -v[48:49]
	v_fmac_f64_e32 v[38:39], v[32:33], v[36:37]
	s_delay_alu instid0(VALU_DEP_1) | instskip(NEXT) | instid1(VALU_DEP_1)
	v_add_f64_e32 v[50:51], v[48:49], v[38:39]
	v_add_f64_e64 v[52:53], v[46:47], -v[50:51]
	v_add_f64_e64 v[44:45], v[50:51], -v[48:49]
	s_delay_alu instid0(VALU_DEP_2) | instskip(NEXT) | instid1(VALU_DEP_2)
	v_add_f64_e64 v[46:47], v[46:47], -v[52:53]
	v_add_f64_e64 v[38:39], v[44:45], -v[38:39]
	s_delay_alu instid0(VALU_DEP_2) | instskip(NEXT) | instid1(VALU_DEP_1)
	v_add_f64_e64 v[46:47], v[46:47], -v[50:51]
	v_add_f64_e32 v[30:31], v[30:31], v[46:47]
	s_delay_alu instid0(VALU_DEP_1) | instskip(NEXT) | instid1(VALU_DEP_1)
	v_add_f64_e32 v[30:31], v[38:39], v[30:31]
	v_add_f64_e32 v[38:39], v[52:53], v[30:31]
	s_delay_alu instid0(VALU_DEP_1) | instskip(SKIP_1) | instid1(VALU_DEP_2)
	v_mul_f64_e32 v[44:45], v[42:43], v[38:39]
	v_add_f64_e64 v[50:51], v[52:53], -v[38:39]
	v_mul_f64_e32 v[46:47], v[40:41], v[44:45]
	s_delay_alu instid0(VALU_DEP_2) | instskip(NEXT) | instid1(VALU_DEP_2)
	v_add_f64_e32 v[30:31], v[30:31], v[50:51]
	v_fma_f64 v[40:41], v[44:45], v[40:41], -v[46:47]
	s_delay_alu instid0(VALU_DEP_1) | instskip(NEXT) | instid1(VALU_DEP_1)
	v_fmac_f64_e32 v[40:41], v[44:45], v[36:37]
	v_add_f64_e32 v[36:37], v[46:47], v[40:41]
	s_delay_alu instid0(VALU_DEP_1) | instskip(SKIP_1) | instid1(VALU_DEP_2)
	v_add_f64_e64 v[48:49], v[38:39], -v[36:37]
	v_add_f64_e64 v[46:47], v[36:37], -v[46:47]
	;; [unrolled: 1-line block ×3, first 2 shown]
	s_delay_alu instid0(VALU_DEP_1) | instskip(NEXT) | instid1(VALU_DEP_3)
	v_add_f64_e64 v[36:37], v[38:39], -v[36:37]
	v_add_f64_e64 v[38:39], v[46:47], -v[40:41]
	v_max_num_f64_e64 v[40:41], |v[6:7]|, |v[6:7]|
	s_delay_alu instid0(VALU_DEP_3) | instskip(SKIP_1) | instid1(VALU_DEP_2)
	v_add_f64_e32 v[30:31], v[30:31], v[36:37]
	v_add_f64_e32 v[36:37], v[32:33], v[44:45]
	;; [unrolled: 1-line block ×3, first 2 shown]
	s_delay_alu instid0(VALU_DEP_2) | instskip(SKIP_1) | instid1(VALU_DEP_3)
	v_add_f64_e64 v[32:33], v[36:37], -v[32:33]
	v_max_num_f64_e64 v[38:39], |v[8:9]|, |v[8:9]|
	v_add_f64_e32 v[30:31], v[48:49], v[30:31]
	s_delay_alu instid0(VALU_DEP_3) | instskip(NEXT) | instid1(VALU_DEP_2)
	v_add_f64_e64 v[32:33], v[44:45], -v[32:33]
	v_mul_f64_e32 v[30:31], v[42:43], v[30:31]
	s_delay_alu instid0(VALU_DEP_1) | instskip(SKIP_2) | instid1(VALU_DEP_3)
	v_add_f64_e32 v[30:31], v[32:33], v[30:31]
	v_max_num_f64_e32 v[32:33], v[40:41], v[38:39]
	v_min_num_f64_e32 v[38:39], v[40:41], v[38:39]
	v_add_f64_e32 v[40:41], v[36:37], v[30:31]
	s_delay_alu instid0(VALU_DEP_2) | instskip(NEXT) | instid1(VALU_DEP_2)
	v_div_scale_f64 v[42:43], null, v[32:33], v[32:33], v[38:39]
	v_mul_f64_e32 v[44:45], v[40:41], v[40:41]
	v_add_f64_e64 v[36:37], v[40:41], -v[36:37]
	s_delay_alu instid0(VALU_DEP_3) | instskip(NEXT) | instid1(VALU_DEP_2)
	v_rcp_f64_e32 v[46:47], v[42:43]
	v_fmamk_f64 v[48:49], v[44:45], 0x3fc3ab76bf559e2b, v[22:23]
	v_mul_f64_e32 v[50:51], v[40:41], v[44:45]
	s_delay_alu instid0(VALU_DEP_3) | instskip(NEXT) | instid1(VALU_DEP_3)
	v_add_f64_e64 v[30:31], v[30:31], -v[36:37]
	v_fmaak_f64 v[48:49], v[44:45], v[48:49], 0x3fc7474dd7f4df2e
	s_delay_alu instid0(TRANS32_DEP_1) | instskip(NEXT) | instid1(VALU_DEP_2)
	v_fma_f64 v[52:53], -v[42:43], v[46:47], 1.0
	v_fmaak_f64 v[48:49], v[44:45], v[48:49], 0x3fcc71c016291751
	s_delay_alu instid0(VALU_DEP_1) | instskip(NEXT) | instid1(VALU_DEP_1)
	v_fmaak_f64 v[48:49], v[44:45], v[48:49], 0x3fd249249b27acf1
	v_fmaak_f64 v[48:49], v[44:45], v[48:49], 0x3fd99999998ef7b6
	v_ldexp_f64 v[30:31], v[30:31], 1
	s_delay_alu instid0(VALU_DEP_2) | instskip(SKIP_2) | instid1(VALU_DEP_3)
	v_fmaak_f64 v[44:45], v[44:45], v[48:49], 0x3fe5555555555780
	v_ldexp_f64 v[48:49], v[40:41], 1
	v_fmac_f64_e32 v[46:47], v[46:47], v[52:53]
	v_mul_f64_e32 v[44:45], v[50:51], v[44:45]
	v_cvt_f64_i32_e32 v[50:51], v1
	v_ashrrev_i32_e32 v1, 31, v7
	s_delay_alu instid0(VALU_DEP_4) | instskip(NEXT) | instid1(VALU_DEP_4)
	v_fma_f64 v[52:53], -v[42:43], v[46:47], 1.0
	v_add_f64_e32 v[40:41], v[48:49], v[44:45]
	s_delay_alu instid0(VALU_DEP_4) | instskip(NEXT) | instid1(VALU_DEP_3)
	v_mul_f64_e32 v[54:55], 0x3fe62e42fefa39ef, v[50:51]
	v_fmac_f64_e32 v[46:47], v[46:47], v[52:53]
	s_delay_alu instid0(VALU_DEP_3) | instskip(SKIP_1) | instid1(VALU_DEP_4)
	v_add_f64_e64 v[36:37], v[40:41], -v[48:49]
	v_div_scale_f64 v[48:49], vcc_lo, v[38:39], v[32:33], v[38:39]
	v_fma_f64 v[52:53], v[50:51], s[28:29], -v[54:55]
	s_delay_alu instid0(VALU_DEP_3) | instskip(NEXT) | instid1(VALU_DEP_3)
	v_add_f64_e64 v[36:37], v[44:45], -v[36:37]
	v_mul_f64_e32 v[44:45], v[48:49], v[46:47]
	s_delay_alu instid0(VALU_DEP_3) | instskip(NEXT) | instid1(VALU_DEP_3)
	v_fmac_f64_e32 v[52:53], 0x3c7abc9e3b39803f, v[50:51]
	v_add_f64_e32 v[30:31], v[30:31], v[36:37]
	s_delay_alu instid0(VALU_DEP_3) | instskip(NEXT) | instid1(VALU_DEP_3)
	v_fma_f64 v[36:37], -v[42:43], v[44:45], v[48:49]
	v_add_f64_e32 v[42:43], v[54:55], v[52:53]
	s_delay_alu instid0(VALU_DEP_3) | instskip(NEXT) | instid1(VALU_DEP_3)
	v_add_f64_e32 v[48:49], v[40:41], v[30:31]
	v_div_fmas_f64 v[36:37], v[36:37], v[46:47], v[44:45]
	v_cmp_gt_i32_e32 vcc_lo, 0, v7
	s_delay_alu instid0(VALU_DEP_4)
	v_add_f64_e64 v[46:47], v[42:43], -v[54:55]
	v_cndmask_b32_e32 v21, 0x54442d18, v62, vcc_lo
	v_add_f64_e32 v[44:45], v[42:43], v[48:49]
	v_div_fixup_f64 v[32:33], v[36:37], v[32:33], v[38:39]
	v_add_f64_e64 v[40:41], v[48:49], -v[40:41]
	v_add_f64_e64 v[46:47], v[52:53], -v[46:47]
	s_delay_alu instid0(VALU_DEP_4) | instskip(NEXT) | instid1(VALU_DEP_4)
	v_add_f64_e64 v[36:37], v[44:45], -v[42:43]
	v_mul_f64_e32 v[38:39], v[32:33], v[32:33]
	s_delay_alu instid0(VALU_DEP_4) | instskip(NEXT) | instid1(VALU_DEP_3)
	v_add_f64_e64 v[30:31], v[30:31], -v[40:41]
	v_add_f64_e64 v[50:51], v[44:45], -v[36:37]
	s_delay_alu instid0(VALU_DEP_3) | instskip(SKIP_1) | instid1(VALU_DEP_4)
	v_fmamk_f64 v[54:55], v[38:39], 0x3eeba404b5e68a13, v[24:25]
	v_add_f64_e64 v[36:37], v[48:49], -v[36:37]
	v_add_f64_e32 v[48:49], v[46:47], v[30:31]
	s_delay_alu instid0(VALU_DEP_3) | instskip(SKIP_1) | instid1(VALU_DEP_2)
	v_fmaak_f64 v[54:55], v[38:39], v[54:55], 0x3f4b2bb069efb384
	v_add_f64_e64 v[40:41], v[42:43], -v[50:51]
	v_fmaak_f64 v[42:43], v[38:39], v[54:55], 0xbf67952daf56de9b
	s_delay_alu instid0(VALU_DEP_1) | instskip(NEXT) | instid1(VALU_DEP_1)
	v_fmaak_f64 v[42:43], v[38:39], v[42:43], 0x3f7d6d43a595c56f
	v_fmaak_f64 v[42:43], v[38:39], v[42:43], 0xbf8c6ea4a57d9582
	s_delay_alu instid0(VALU_DEP_1) | instskip(NEXT) | instid1(VALU_DEP_1)
	v_fmaak_f64 v[42:43], v[38:39], v[42:43], 0x3f967e295f08b19f
	v_fmaak_f64 v[42:43], v[38:39], v[42:43], 0xbf9e9ae6fc27006a
	v_add_f64_e32 v[36:37], v[36:37], v[40:41]
	s_delay_alu instid0(VALU_DEP_2) | instskip(SKIP_1) | instid1(VALU_DEP_2)
	v_fmaak_f64 v[40:41], v[38:39], v[42:43], 0x3fa2c15b5711927a
	v_add_f64_e64 v[42:43], v[48:49], -v[46:47]
	v_fmaak_f64 v[40:41], v[38:39], v[40:41], 0xbfa59976e82d3ff0
	s_delay_alu instid0(VALU_DEP_1) | instskip(NEXT) | instid1(VALU_DEP_1)
	v_fmaak_f64 v[40:41], v[38:39], v[40:41], 0x3fa82d5d6ef28734
	v_fmaak_f64 v[40:41], v[38:39], v[40:41], 0xbfaae5ce6a214619
	s_delay_alu instid0(VALU_DEP_1) | instskip(SKIP_3) | instid1(VALU_DEP_4)
	v_fmaak_f64 v[40:41], v[38:39], v[40:41], 0x3fae1bb48427b883
	v_add_f64_e32 v[36:37], v[48:49], v[36:37]
	v_add_f64_e64 v[48:49], v[48:49], -v[42:43]
	v_add_f64_e64 v[30:31], v[30:31], -v[42:43]
	v_fmaak_f64 v[40:41], v[38:39], v[40:41], 0xbfb110e48b207f05
	s_delay_alu instid0(VALU_DEP_1) | instskip(NEXT) | instid1(VALU_DEP_1)
	v_fmaak_f64 v[40:41], v[38:39], v[40:41], 0x3fb3b13657b87036
	v_fmaak_f64 v[40:41], v[38:39], v[40:41], 0xbfb745d119378e4f
	s_delay_alu instid0(VALU_DEP_1) | instskip(SKIP_1) | instid1(VALU_DEP_2)
	v_fmaak_f64 v[40:41], v[38:39], v[40:41], 0x3fbc71c717e1913c
	v_add_f64_e32 v[50:51], v[44:45], v[36:37]
	v_fmaak_f64 v[40:41], v[38:39], v[40:41], 0xbfc2492492376b7d
	s_delay_alu instid0(VALU_DEP_1) | instskip(NEXT) | instid1(VALU_DEP_1)
	v_fmaak_f64 v[40:41], v[38:39], v[40:41], 0x3fc99999999952cc
	v_fmaak_f64 v[40:41], v[38:39], v[40:41], 0xbfd5555555555523
	s_delay_alu instid0(VALU_DEP_1) | instskip(SKIP_2) | instid1(VALU_DEP_3)
	v_mul_f64_e32 v[38:39], v[38:39], v[40:41]
	v_add_f64_e64 v[40:41], v[46:47], -v[48:49]
	v_add_f64_e64 v[42:43], v[50:51], -v[44:45]
	v_fmac_f64_e32 v[32:33], v[32:33], v[38:39]
	s_delay_alu instid0(VALU_DEP_3) | instskip(NEXT) | instid1(VALU_DEP_3)
	v_add_f64_e32 v[30:31], v[30:31], v[40:41]
	v_add_f64_e64 v[36:37], v[36:37], -v[42:43]
	s_delay_alu instid0(VALU_DEP_3) | instskip(NEXT) | instid1(VALU_DEP_1)
	v_add_f64_e64 v[38:39], -v[32:33], s[30:31]
	v_dual_add_f64 v[30:31], v[30:31], v[36:37] :: v_dual_cndmask_b32 v33, v33, v39, s2
	s_delay_alu instid0(VALU_DEP_2) | instskip(SKIP_2) | instid1(VALU_DEP_3)
	v_cndmask_b32_e64 v32, v32, v38, s2
	v_and_b32_e32 v38, 0x54442d18, v1
	v_and_b32_e32 v1, 0x400921fb, v1
	v_add_f64_e64 v[36:37], -v[32:33], s[34:35]
	s_delay_alu instid0(VALU_DEP_1) | instskip(NEXT) | instid1(VALU_DEP_2)
	v_dual_add_f64 v[30:31], v[50:51], v[30:31] :: v_dual_cndmask_b32 v32, v32, v36, vcc_lo
	v_cndmask_b32_e32 v33, v33, v37, vcc_lo
	v_cndmask_b32_e32 v36, 0x3fe921fb, v63, vcc_lo
	s_delay_alu instid0(VALU_DEP_3) | instskip(SKIP_1) | instid1(VALU_DEP_4)
	v_mul_f64_e32 v[30:31], 0.5, v[30:31]
	v_cmp_ngt_f64_e32 vcc_lo, -1.0, v[34:35]
	v_dual_cndmask_b32 v32, v32, v38, s3 :: v_dual_cndmask_b32 v1, v33, v1, s3
	s_and_b32 s3, s4, s5
	v_bfi_b32 v36, 0x7fffffff, v36, v9
                                        ; implicit-def: $vgpr38_vgpr39
	s_delay_alu instid0(VALU_DEP_4) | instskip(SKIP_2) | instid1(VALU_DEP_1)
	v_cndmask_b32_e64 v30, 0, v30, s3
	v_cmp_neq_f64_e64 s3, -1.0, v[34:35]
	v_cndmask_b32_e64 v31, 0x7ff00000, v31, s5
	v_cndmask_b32_e32 v31, 0x7ff80000, v31, vcc_lo
	s_and_b32 vcc_lo, s8, s7
	v_dual_cndmask_b32 v33, v1, v36 :: v_dual_cndmask_b32 v32, v32, v21
                                        ; implicit-def: $vgpr36_vgpr37
	s_delay_alu instid0(VALU_DEP_2)
	v_cndmask_b32_e64 v31, 0xfff00000, v31, s3
.LBB179_11:                             ;   in Loop: Header=BB179_5 Depth=1
	s_and_not1_saveexec_b32 s50, s6
	s_cbranch_execz .LBB179_19
; %bb.12:                               ;   in Loop: Header=BB179_5 Depth=1
	v_mul_f64_e32 v[34:35], v[36:37], v[36:37]
                                        ; implicit-def: $vgpr30_vgpr31
                                        ; implicit-def: $vgpr32_vgpr33
	s_mov_b32 s3, exec_lo
	s_delay_alu instid0(VALU_DEP_1) | instskip(NEXT) | instid1(VALU_DEP_1)
	v_fmac_f64_e32 v[34:35], v[38:39], v[38:39]
	v_cmpx_ge_f64_e32 s[36:37], v[34:35]
	s_xor_b32 s5, exec_lo, s3
	s_cbranch_execz .LBB179_14
; %bb.13:                               ;   in Loop: Header=BB179_5 Depth=1
	v_frexp_mant_f64_e32 v[30:31], v[34:35]
	v_cmp_neq_f64_e64 s4, 0, v[34:35]
	v_cmp_eq_f64_e64 s3, 0, v[8:9]
	v_cmp_class_f64_e64 s6, v[8:9], 0x204
	v_cmp_class_f64_e64 s7, v[6:7], 0x204
	v_cmp_gt_f64_e32 vcc_lo, s[26:27], v[30:31]
	v_cndmask_b32_e64 v1, 0, 1, vcc_lo
	s_delay_alu instid0(VALU_DEP_1) | instskip(SKIP_1) | instid1(VALU_DEP_2)
	v_ldexp_f64 v[30:31], v[30:31], v1
	v_frexp_exp_i32_f64_e32 v1, v[34:35]
	v_add_f64_e32 v[32:33], 1.0, v[30:31]
	v_add_f64_e32 v[40:41], -1.0, v[30:31]
	s_delay_alu instid0(VALU_DEP_3) | instskip(NEXT) | instid1(VALU_DEP_3)
	v_subrev_co_ci_u32_e64 v1, null, 0, v1, vcc_lo
	v_rcp_f64_e32 v[36:37], v[32:33]
	v_add_f64_e32 v[42:43], -1.0, v[32:33]
	s_delay_alu instid0(VALU_DEP_1) | instskip(NEXT) | instid1(TRANS32_DEP_1)
	v_add_f64_e64 v[30:31], v[30:31], -v[42:43]
	v_fma_f64 v[38:39], -v[32:33], v[36:37], 1.0
	s_delay_alu instid0(VALU_DEP_1) | instskip(NEXT) | instid1(VALU_DEP_1)
	v_fmac_f64_e32 v[36:37], v[38:39], v[36:37]
	v_fma_f64 v[38:39], -v[32:33], v[36:37], 1.0
	s_delay_alu instid0(VALU_DEP_1) | instskip(NEXT) | instid1(VALU_DEP_1)
	v_fmac_f64_e32 v[36:37], v[38:39], v[36:37]
	v_mul_f64_e32 v[38:39], v[40:41], v[36:37]
	s_delay_alu instid0(VALU_DEP_1) | instskip(NEXT) | instid1(VALU_DEP_1)
	v_mul_f64_e32 v[44:45], v[32:33], v[38:39]
	v_fma_f64 v[32:33], v[38:39], v[32:33], -v[44:45]
	s_delay_alu instid0(VALU_DEP_1) | instskip(NEXT) | instid1(VALU_DEP_1)
	v_fmac_f64_e32 v[32:33], v[38:39], v[30:31]
	v_add_f64_e32 v[30:31], v[44:45], v[32:33]
	s_delay_alu instid0(VALU_DEP_1) | instskip(SKIP_1) | instid1(VALU_DEP_2)
	v_add_f64_e64 v[42:43], v[40:41], -v[30:31]
	v_add_f64_e64 v[44:45], v[30:31], -v[44:45]
	;; [unrolled: 1-line block ×3, first 2 shown]
	s_delay_alu instid0(VALU_DEP_2) | instskip(NEXT) | instid1(VALU_DEP_2)
	v_add_f64_e64 v[32:33], v[44:45], -v[32:33]
	v_add_f64_e64 v[30:31], v[40:41], -v[30:31]
	v_max_num_f64_e64 v[40:41], |v[6:7]|, |v[6:7]|
	s_delay_alu instid0(VALU_DEP_2) | instskip(SKIP_1) | instid1(VALU_DEP_2)
	v_add_f64_e32 v[30:31], v[32:33], v[30:31]
	v_max_num_f64_e64 v[32:33], |v[8:9]|, |v[8:9]|
	v_add_f64_e32 v[30:31], v[42:43], v[30:31]
	s_delay_alu instid0(VALU_DEP_1) | instskip(NEXT) | instid1(VALU_DEP_3)
	v_mul_f64_e32 v[30:31], v[36:37], v[30:31]
	v_max_num_f64_e32 v[36:37], v[40:41], v[32:33]
	v_min_num_f64_e32 v[32:33], v[40:41], v[32:33]
	s_delay_alu instid0(VALU_DEP_3) | instskip(NEXT) | instid1(VALU_DEP_2)
	v_add_f64_e32 v[40:41], v[38:39], v[30:31]
	v_div_scale_f64 v[42:43], null, v[36:37], v[36:37], v[32:33]
	s_delay_alu instid0(VALU_DEP_2) | instskip(NEXT) | instid1(VALU_DEP_2)
	v_mul_f64_e32 v[44:45], v[40:41], v[40:41]
	v_rcp_f64_e32 v[46:47], v[42:43]
	s_delay_alu instid0(VALU_DEP_1) | instskip(SKIP_1) | instid1(VALU_DEP_2)
	v_fmamk_f64 v[48:49], v[44:45], 0x3fc3ab76bf559e2b, v[22:23]
	v_mul_f64_e32 v[50:51], v[40:41], v[44:45]
	v_fmaak_f64 v[48:49], v[44:45], v[48:49], 0x3fc7474dd7f4df2e
	s_delay_alu instid0(TRANS32_DEP_1) | instskip(NEXT) | instid1(VALU_DEP_2)
	v_fma_f64 v[52:53], -v[42:43], v[46:47], 1.0
	v_fmaak_f64 v[48:49], v[44:45], v[48:49], 0x3fcc71c016291751
	s_delay_alu instid0(VALU_DEP_1) | instskip(NEXT) | instid1(VALU_DEP_1)
	v_fmaak_f64 v[48:49], v[44:45], v[48:49], 0x3fd249249b27acf1
	v_fmaak_f64 v[48:49], v[44:45], v[48:49], 0x3fd99999998ef7b6
	s_delay_alu instid0(VALU_DEP_1) | instskip(SKIP_2) | instid1(VALU_DEP_3)
	v_fmaak_f64 v[44:45], v[44:45], v[48:49], 0x3fe5555555555780
	v_ldexp_f64 v[48:49], v[40:41], 1
	v_fmac_f64_e32 v[46:47], v[46:47], v[52:53]
	v_mul_f64_e32 v[44:45], v[50:51], v[44:45]
	v_cvt_f64_i32_e32 v[50:51], v1
	v_ashrrev_i32_e32 v1, 31, v7
	v_add_f64_e64 v[38:39], v[40:41], -v[38:39]
	v_fma_f64 v[52:53], -v[42:43], v[46:47], 1.0
	v_add_f64_e32 v[40:41], v[48:49], v[44:45]
	v_mul_f64_e32 v[54:55], 0x3fe62e42fefa39ef, v[50:51]
	s_delay_alu instid0(VALU_DEP_4) | instskip(NEXT) | instid1(VALU_DEP_4)
	v_add_f64_e64 v[30:31], v[30:31], -v[38:39]
	v_fmac_f64_e32 v[46:47], v[46:47], v[52:53]
	s_delay_alu instid0(VALU_DEP_4) | instskip(SKIP_3) | instid1(VALU_DEP_4)
	v_add_f64_e64 v[38:39], v[40:41], -v[48:49]
	v_div_scale_f64 v[48:49], vcc_lo, v[32:33], v[36:37], v[32:33]
	v_fma_f64 v[52:53], v[50:51], s[28:29], -v[54:55]
	v_ldexp_f64 v[30:31], v[30:31], 1
	v_add_f64_e64 v[38:39], v[44:45], -v[38:39]
	s_delay_alu instid0(VALU_DEP_4) | instskip(NEXT) | instid1(VALU_DEP_4)
	v_mul_f64_e32 v[44:45], v[48:49], v[46:47]
	v_fmac_f64_e32 v[52:53], 0x3c7abc9e3b39803f, v[50:51]
	s_delay_alu instid0(VALU_DEP_3) | instskip(NEXT) | instid1(VALU_DEP_3)
	v_add_f64_e32 v[30:31], v[30:31], v[38:39]
	v_fma_f64 v[38:39], -v[42:43], v[44:45], v[48:49]
	s_delay_alu instid0(VALU_DEP_3) | instskip(NEXT) | instid1(VALU_DEP_3)
	v_add_f64_e32 v[42:43], v[54:55], v[52:53]
	v_add_f64_e32 v[48:49], v[40:41], v[30:31]
	s_delay_alu instid0(VALU_DEP_3) | instskip(SKIP_1) | instid1(VALU_DEP_4)
	v_div_fmas_f64 v[38:39], v[38:39], v[46:47], v[44:45]
	v_cmp_gt_i32_e32 vcc_lo, 0, v7
	v_add_f64_e64 v[46:47], v[42:43], -v[54:55]
	v_cndmask_b32_e32 v34, 0x3fe921fb, v63, vcc_lo
	v_cndmask_b32_e32 v21, 0x54442d18, v62, vcc_lo
	s_delay_alu instid0(VALU_DEP_2) | instskip(SKIP_4) | instid1(VALU_DEP_4)
	v_bfi_b32 v34, 0x7fffffff, v34, v9
	v_add_f64_e32 v[44:45], v[42:43], v[48:49]
	v_div_fixup_f64 v[32:33], v[38:39], v[36:37], v[32:33]
	v_add_f64_e64 v[40:41], v[48:49], -v[40:41]
	v_add_f64_e64 v[46:47], v[52:53], -v[46:47]
	;; [unrolled: 1-line block ×3, first 2 shown]
	s_delay_alu instid0(VALU_DEP_4) | instskip(NEXT) | instid1(VALU_DEP_4)
	v_mul_f64_e32 v[38:39], v[32:33], v[32:33]
	v_add_f64_e64 v[30:31], v[30:31], -v[40:41]
	s_delay_alu instid0(VALU_DEP_3) | instskip(NEXT) | instid1(VALU_DEP_3)
	v_add_f64_e64 v[50:51], v[44:45], -v[36:37]
	v_fmamk_f64 v[54:55], v[38:39], 0x3eeba404b5e68a13, v[24:25]
	v_add_f64_e64 v[36:37], v[48:49], -v[36:37]
	s_delay_alu instid0(VALU_DEP_4) | instskip(NEXT) | instid1(VALU_DEP_3)
	v_add_f64_e32 v[48:49], v[46:47], v[30:31]
	v_fmaak_f64 v[54:55], v[38:39], v[54:55], 0x3f4b2bb069efb384
	s_delay_alu instid0(VALU_DEP_1) | instskip(SKIP_1) | instid1(VALU_DEP_2)
	v_fmaak_f64 v[54:55], v[38:39], v[54:55], 0xbf67952daf56de9b
	v_add_f64_e64 v[40:41], v[42:43], -v[50:51]
	v_fmaak_f64 v[42:43], v[38:39], v[54:55], 0x3f7d6d43a595c56f
	s_delay_alu instid0(VALU_DEP_1) | instskip(NEXT) | instid1(VALU_DEP_1)
	v_fmaak_f64 v[42:43], v[38:39], v[42:43], 0xbf8c6ea4a57d9582
	v_fmaak_f64 v[42:43], v[38:39], v[42:43], 0x3f967e295f08b19f
	s_delay_alu instid0(VALU_DEP_1) | instskip(NEXT) | instid1(VALU_DEP_1)
	v_fmaak_f64 v[42:43], v[38:39], v[42:43], 0xbf9e9ae6fc27006a
	v_fmaak_f64 v[42:43], v[38:39], v[42:43], 0x3fa2c15b5711927a
	v_add_f64_e32 v[36:37], v[36:37], v[40:41]
	s_delay_alu instid0(VALU_DEP_2) | instskip(SKIP_1) | instid1(VALU_DEP_2)
	v_fmaak_f64 v[40:41], v[38:39], v[42:43], 0xbfa59976e82d3ff0
	v_add_f64_e64 v[42:43], v[48:49], -v[46:47]
	v_fmaak_f64 v[40:41], v[38:39], v[40:41], 0x3fa82d5d6ef28734
	s_delay_alu instid0(VALU_DEP_1) | instskip(NEXT) | instid1(VALU_DEP_1)
	v_fmaak_f64 v[40:41], v[38:39], v[40:41], 0xbfaae5ce6a214619
	v_fmaak_f64 v[40:41], v[38:39], v[40:41], 0x3fae1bb48427b883
	s_delay_alu instid0(VALU_DEP_1) | instskip(SKIP_3) | instid1(VALU_DEP_4)
	v_fmaak_f64 v[40:41], v[38:39], v[40:41], 0xbfb110e48b207f05
	v_add_f64_e32 v[36:37], v[48:49], v[36:37]
	v_add_f64_e64 v[48:49], v[48:49], -v[42:43]
	v_add_f64_e64 v[30:31], v[30:31], -v[42:43]
	v_fmaak_f64 v[40:41], v[38:39], v[40:41], 0x3fb3b13657b87036
	s_delay_alu instid0(VALU_DEP_1) | instskip(NEXT) | instid1(VALU_DEP_1)
	v_fmaak_f64 v[40:41], v[38:39], v[40:41], 0xbfb745d119378e4f
	v_fmaak_f64 v[40:41], v[38:39], v[40:41], 0x3fbc71c717e1913c
	s_delay_alu instid0(VALU_DEP_1) | instskip(SKIP_1) | instid1(VALU_DEP_2)
	v_fmaak_f64 v[40:41], v[38:39], v[40:41], 0xbfc2492492376b7d
	v_add_f64_e32 v[50:51], v[44:45], v[36:37]
	v_fmaak_f64 v[40:41], v[38:39], v[40:41], 0x3fc99999999952cc
	s_delay_alu instid0(VALU_DEP_1) | instskip(NEXT) | instid1(VALU_DEP_1)
	v_fmaak_f64 v[40:41], v[38:39], v[40:41], 0xbfd5555555555523
	v_mul_f64_e32 v[38:39], v[38:39], v[40:41]
	v_add_f64_e64 v[40:41], v[46:47], -v[48:49]
	v_add_f64_e64 v[42:43], v[50:51], -v[44:45]
	s_delay_alu instid0(VALU_DEP_3) | instskip(NEXT) | instid1(VALU_DEP_3)
	v_fmac_f64_e32 v[32:33], v[32:33], v[38:39]
	v_add_f64_e32 v[30:31], v[30:31], v[40:41]
	s_delay_alu instid0(VALU_DEP_3) | instskip(NEXT) | instid1(VALU_DEP_3)
	v_add_f64_e64 v[36:37], v[36:37], -v[42:43]
	v_add_f64_e64 v[38:39], -v[32:33], s[30:31]
	s_delay_alu instid0(VALU_DEP_1) | instskip(NEXT) | instid1(VALU_DEP_2)
	v_dual_add_f64 v[30:31], v[30:31], v[36:37] :: v_dual_cndmask_b32 v33, v33, v39, s2
	v_cndmask_b32_e64 v32, v32, v38, s2
	v_and_b32_e32 v38, 0x54442d18, v1
	v_and_b32_e32 v1, 0x400921fb, v1
	s_delay_alu instid0(VALU_DEP_3) | instskip(NEXT) | instid1(VALU_DEP_1)
	v_add_f64_e64 v[36:37], -v[32:33], s[34:35]
	v_dual_add_f64 v[30:31], v[50:51], v[30:31] :: v_dual_cndmask_b32 v32, v32, v36, vcc_lo
	s_delay_alu instid0(VALU_DEP_2) | instskip(SKIP_1) | instid1(VALU_DEP_1)
	v_cndmask_b32_e32 v33, v33, v37, vcc_lo
	s_and_b32 vcc_lo, s7, s6
                                        ; implicit-def: $vgpr36_vgpr37
	v_dual_cndmask_b32 v32, v32, v38, s3 :: v_dual_cndmask_b32 v1, v33, v1, s3
                                        ; implicit-def: $vgpr38_vgpr39
	s_delay_alu instid0(VALU_DEP_1) | instskip(NEXT) | instid1(VALU_DEP_2)
	v_dual_mul_f64 v[30:31], 0.5, v[30:31] :: v_dual_cndmask_b32 v32, v32, v21, vcc_lo
	v_cndmask_b32_e32 v33, v1, v34, vcc_lo
	s_delay_alu instid0(VALU_DEP_2) | instskip(NEXT) | instid1(VALU_DEP_3)
	v_cndmask_b32_e64 v31, 0xfff00000, v31, s4
	v_cndmask_b32_e64 v30, 0, v30, s4
.LBB179_14:                             ;   in Loop: Header=BB179_5 Depth=1
	s_and_not1_saveexec_b32 s51, s5
	s_cbranch_execz .LBB179_18
; %bb.15:                               ;   in Loop: Header=BB179_5 Depth=1
	v_and_b32_e32 v21, 0x7ffffff8, v39
	v_and_b32_e32 v33, 0x7ffffff8, v37
	v_mov_b32_e32 v32, v20
	s_mov_b32 s52, 0
	s_delay_alu instid0(VALU_DEP_3) | instskip(SKIP_1) | instid1(VALU_DEP_3)
	v_dual_add_f64 v[30:31], v[38:39], -v[20:21] :: v_dual_mov_b32 v40, v20
	v_mov_b32_e32 v38, v20
	v_add_f64_e64 v[34:35], v[36:37], -v[32:33]
	v_add_f64_e32 v[50:51], v[32:33], v[32:33]
	s_delay_alu instid0(VALU_DEP_4) | instskip(NEXT) | instid1(VALU_DEP_3)
	v_dual_mul_f64 v[36:37], v[32:33], v[32:33] :: v_dual_bitop2_b32 v39, -8, v31 bitop3:0x40
	v_dual_add_f64 v[42:43], v[20:21], v[20:21] :: v_dual_bitop2_b32 v41, -8, v35 bitop3:0x40
	s_delay_alu instid0(VALU_DEP_2) | instskip(SKIP_1) | instid1(VALU_DEP_3)
	v_add_f64_e64 v[52:53], v[30:31], -v[38:39]
	v_add_f64_e32 v[56:57], v[38:39], v[38:39]
	v_add_f64_e64 v[54:55], v[34:35], -v[40:41]
	v_add_f64_e32 v[58:59], v[40:41], v[40:41]
	v_mul_f64_e32 v[30:31], v[20:21], v[20:21]
	v_mul_f64_e32 v[34:35], v[50:51], v[40:41]
	;; [unrolled: 1-line block ×11, first 2 shown]
.LBB179_16:                             ;   Parent Loop BB179_5 Depth=1
                                        ; =>  This Inner Loop Header: Depth=2
	v_cmp_nlt_f64_e32 vcc_lo, v[30:31], v[36:37]
	v_dual_cndmask_b32 v55, v31, v37 :: v_dual_cndmask_b32 v54, v30, v36
	v_dual_cndmask_b32 v31, v37, v31 :: v_dual_cndmask_b32 v30, v36, v30
	s_delay_alu instid0(VALU_DEP_2) | instskip(NEXT) | instid1(VALU_DEP_1)
	v_cmp_nlt_f64_e64 s3, v[54:55], v[48:49]
	v_dual_cndmask_b32 v57, v55, v49, s3 :: v_dual_cndmask_b32 v56, v54, v48, s3
	v_dual_cndmask_b32 v37, v49, v55, s3 :: v_dual_cndmask_b32 v36, v48, v54, s3
	s_and_b32 s3, vcc_lo, s3
	s_delay_alu instid0(VALU_DEP_2) | instskip(NEXT) | instid1(VALU_DEP_1)
	v_cmp_nlt_f64_e64 s4, v[56:57], v[34:35]
	v_dual_cndmask_b32 v59, v57, v35, s4 :: v_dual_cndmask_b32 v58, v56, v34, s4
	v_dual_cndmask_b32 v49, v35, v57, s4 :: v_dual_cndmask_b32 v48, v34, v56, s4
	s_delay_alu instid0(VALU_DEP_2) | instskip(NEXT) | instid1(VALU_DEP_1)
	v_cmp_nlt_f64_e64 s5, v[58:59], v[46:47]
	v_dual_cndmask_b32 v61, v59, v47, s5 :: v_dual_cndmask_b32 v60, v58, v46, s5
	v_dual_cndmask_b32 v35, v47, v59, s5 :: v_dual_cndmask_b32 v34, v46, v58, s5
	s_and_b32 s4, s4, s5
	s_delay_alu instid0(VALU_DEP_2) | instskip(NEXT) | instid1(VALU_DEP_1)
	v_cmp_nlt_f64_e64 s6, v[60:61], v[32:33]
	v_dual_cndmask_b32 v65, v61, v33, s6 :: v_dual_cndmask_b32 v64, v60, v32, s6
	v_dual_cndmask_b32 v47, v33, v61, s6 :: v_dual_cndmask_b32 v46, v32, v60, s6
	s_delay_alu instid0(VALU_DEP_2) | instskip(NEXT) | instid1(VALU_DEP_1)
	v_cmp_nlt_f64_e64 s7, v[64:65], v[44:45]
	v_dual_cndmask_b32 v67, v65, v45, s7 :: v_dual_cndmask_b32 v66, v64, v44, s7
	s_and_b32 s5, s6, s7
	v_dual_cndmask_b32 v33, v45, v65, s7 :: v_dual_cndmask_b32 v32, v44, v64, s7
	s_delay_alu instid0(VALU_DEP_2) | instskip(NEXT) | instid1(VALU_DEP_1)
	v_cmp_nlt_f64_e64 s8, v[66:67], v[42:43]
	v_dual_cndmask_b32 v69, v67, v43, s8 :: v_dual_cndmask_b32 v68, v66, v42, s8
	s_and_b32 s5, s5, s8
	;; [unrolled: 5-line block ×6, first 2 shown]
	v_dual_cndmask_b32 v51, v53, v75, s12 :: v_dual_cndmask_b32 v50, v52, v74, s12
	s_and_b32 s4, s5, s4
	s_delay_alu instid0(VALU_DEP_2) | instskip(SKIP_1) | instid1(SALU_CYCLE_1)
	v_mov_b64_e32 v[52:53], v[54:55]
	s_and_b32 s3, s4, s3
	s_and_b32 s3, exec_lo, s3
	s_delay_alu instid0(SALU_CYCLE_1) | instskip(NEXT) | instid1(SALU_CYCLE_1)
	s_or_b32 s52, s3, s52
	s_and_not1_b32 exec_lo, exec_lo, s52
	s_cbranch_execnz .LBB179_16
; %bb.17:                               ;   in Loop: Header=BB179_5 Depth=1
	s_or_b32 exec_lo, exec_lo, s52
	v_add_f64_e32 v[30:31], -1.0, v[30:31]
	v_cmp_eq_f64_e64 s3, 0, v[8:9]
	v_cmp_class_f64_e64 s6, v[8:9], 0x204
	v_cmp_class_f64_e64 s7, v[6:7], 0x204
	s_delay_alu instid0(VALU_DEP_4) | instskip(NEXT) | instid1(VALU_DEP_1)
	v_add_f64_e32 v[30:31], v[30:31], v[36:37]
	v_add_f64_e32 v[30:31], v[30:31], v[48:49]
	s_delay_alu instid0(VALU_DEP_1) | instskip(NEXT) | instid1(VALU_DEP_1)
	v_add_f64_e32 v[30:31], v[30:31], v[34:35]
	v_add_f64_e32 v[30:31], v[30:31], v[46:47]
	s_delay_alu instid0(VALU_DEP_1) | instskip(NEXT) | instid1(VALU_DEP_1)
	;; [unrolled: 3-line block ×5, first 2 shown]
	v_add_f64_e32 v[34:35], v[54:55], v[30:31]
	v_add_f64_e32 v[30:31], 1.0, v[34:35]
	v_cmp_nge_f64_e64 s4, -1.0, v[34:35]
	v_cmp_neq_f64_e64 s5, 0x7ff00000, v[34:35]
	s_delay_alu instid0(VALU_DEP_3) | instskip(SKIP_2) | instid1(VALU_DEP_3)
	v_frexp_mant_f64_e32 v[32:33], v[30:31]
	v_frexp_exp_i32_f64_e32 v1, v[30:31]
	v_add_f64_e32 v[36:37], -1.0, v[30:31]
	v_cmp_gt_f64_e32 vcc_lo, s[26:27], v[32:33]
	s_delay_alu instid0(VALU_DEP_2) | instskip(SKIP_2) | instid1(VALU_DEP_3)
	v_add_f64_e64 v[32:33], v[36:37], -v[30:31]
	v_add_f64_e64 v[36:37], v[34:35], -v[36:37]
	v_subrev_co_ci_u32_e64 v1, null, 0, v1, vcc_lo
	v_add_f64_e32 v[32:33], 1.0, v[32:33]
	s_delay_alu instid0(VALU_DEP_2) | instskip(NEXT) | instid1(VALU_DEP_1)
	v_sub_nc_u32_e32 v21, 0, v1
	v_ldexp_f64 v[30:31], v[30:31], v21
	s_delay_alu instid0(VALU_DEP_3) | instskip(NEXT) | instid1(VALU_DEP_2)
	v_add_f64_e32 v[32:33], v[36:37], v[32:33]
	v_add_f64_e32 v[38:39], 1.0, v[30:31]
	v_add_f64_e32 v[44:45], -1.0, v[30:31]
	s_delay_alu instid0(VALU_DEP_3) | instskip(NEXT) | instid1(VALU_DEP_3)
	v_ldexp_f64 v[32:33], v[32:33], v21
	v_add_f64_e32 v[36:37], -1.0, v[38:39]
	s_delay_alu instid0(VALU_DEP_3) | instskip(NEXT) | instid1(VALU_DEP_2)
	v_add_f64_e32 v[46:47], 1.0, v[44:45]
	v_add_f64_e64 v[36:37], v[30:31], -v[36:37]
	s_delay_alu instid0(VALU_DEP_2) | instskip(NEXT) | instid1(VALU_DEP_2)
	v_add_f64_e64 v[30:31], v[30:31], -v[46:47]
	v_add_f64_e32 v[36:37], v[32:33], v[36:37]
	s_delay_alu instid0(VALU_DEP_2) | instskip(NEXT) | instid1(VALU_DEP_2)
	v_add_f64_e32 v[30:31], v[32:33], v[30:31]
	v_add_f64_e32 v[40:41], v[38:39], v[36:37]
	s_delay_alu instid0(VALU_DEP_2) | instskip(NEXT) | instid1(VALU_DEP_2)
	v_add_f64_e32 v[46:47], v[44:45], v[30:31]
	v_rcp_f64_e32 v[42:43], v[40:41]
	v_add_f64_e64 v[38:39], v[40:41], -v[38:39]
	s_delay_alu instid0(VALU_DEP_2) | instskip(NEXT) | instid1(VALU_DEP_2)
	v_add_f64_e64 v[44:45], v[46:47], -v[44:45]
	v_add_f64_e64 v[36:37], v[36:37], -v[38:39]
	s_delay_alu instid0(VALU_DEP_2) | instskip(NEXT) | instid1(TRANS32_DEP_1)
	v_add_f64_e64 v[30:31], v[30:31], -v[44:45]
	v_fma_f64 v[48:49], -v[40:41], v[42:43], 1.0
	s_delay_alu instid0(VALU_DEP_1) | instskip(NEXT) | instid1(VALU_DEP_1)
	v_fmac_f64_e32 v[42:43], v[48:49], v[42:43]
	v_fma_f64 v[32:33], -v[40:41], v[42:43], 1.0
	s_delay_alu instid0(VALU_DEP_1) | instskip(NEXT) | instid1(VALU_DEP_1)
	v_fmac_f64_e32 v[42:43], v[32:33], v[42:43]
	v_mul_f64_e32 v[32:33], v[46:47], v[42:43]
	s_delay_alu instid0(VALU_DEP_1) | instskip(NEXT) | instid1(VALU_DEP_1)
	v_mul_f64_e32 v[48:49], v[40:41], v[32:33]
	v_fma_f64 v[38:39], v[32:33], v[40:41], -v[48:49]
	s_delay_alu instid0(VALU_DEP_1) | instskip(NEXT) | instid1(VALU_DEP_1)
	v_fmac_f64_e32 v[38:39], v[32:33], v[36:37]
	v_add_f64_e32 v[50:51], v[48:49], v[38:39]
	s_delay_alu instid0(VALU_DEP_1) | instskip(SKIP_1) | instid1(VALU_DEP_2)
	v_add_f64_e64 v[52:53], v[46:47], -v[50:51]
	v_add_f64_e64 v[44:45], v[50:51], -v[48:49]
	;; [unrolled: 1-line block ×3, first 2 shown]
	s_delay_alu instid0(VALU_DEP_2) | instskip(NEXT) | instid1(VALU_DEP_2)
	v_add_f64_e64 v[38:39], v[44:45], -v[38:39]
	v_add_f64_e64 v[46:47], v[46:47], -v[50:51]
	s_delay_alu instid0(VALU_DEP_1) | instskip(NEXT) | instid1(VALU_DEP_1)
	v_add_f64_e32 v[30:31], v[30:31], v[46:47]
	v_add_f64_e32 v[30:31], v[38:39], v[30:31]
	s_delay_alu instid0(VALU_DEP_1) | instskip(NEXT) | instid1(VALU_DEP_1)
	v_add_f64_e32 v[38:39], v[52:53], v[30:31]
	v_mul_f64_e32 v[44:45], v[42:43], v[38:39]
	v_add_f64_e64 v[50:51], v[52:53], -v[38:39]
	s_delay_alu instid0(VALU_DEP_2) | instskip(NEXT) | instid1(VALU_DEP_2)
	v_mul_f64_e32 v[46:47], v[40:41], v[44:45]
	v_add_f64_e32 v[30:31], v[30:31], v[50:51]
	s_delay_alu instid0(VALU_DEP_2) | instskip(NEXT) | instid1(VALU_DEP_1)
	v_fma_f64 v[40:41], v[44:45], v[40:41], -v[46:47]
	v_fmac_f64_e32 v[40:41], v[44:45], v[36:37]
	s_delay_alu instid0(VALU_DEP_1) | instskip(NEXT) | instid1(VALU_DEP_1)
	v_add_f64_e32 v[36:37], v[46:47], v[40:41]
	v_add_f64_e64 v[48:49], v[38:39], -v[36:37]
	v_add_f64_e64 v[46:47], v[36:37], -v[46:47]
	s_delay_alu instid0(VALU_DEP_2) | instskip(NEXT) | instid1(VALU_DEP_1)
	v_add_f64_e64 v[38:39], v[38:39], -v[48:49]
	v_add_f64_e64 v[36:37], v[38:39], -v[36:37]
	s_delay_alu instid0(VALU_DEP_3) | instskip(SKIP_1) | instid1(VALU_DEP_3)
	v_add_f64_e64 v[38:39], v[46:47], -v[40:41]
	v_max_num_f64_e64 v[40:41], |v[6:7]|, |v[6:7]|
	v_add_f64_e32 v[30:31], v[30:31], v[36:37]
	v_add_f64_e32 v[36:37], v[32:33], v[44:45]
	s_delay_alu instid0(VALU_DEP_2) | instskip(NEXT) | instid1(VALU_DEP_2)
	v_add_f64_e32 v[30:31], v[38:39], v[30:31]
	v_add_f64_e64 v[32:33], v[36:37], -v[32:33]
	v_max_num_f64_e64 v[38:39], |v[8:9]|, |v[8:9]|
	s_delay_alu instid0(VALU_DEP_3) | instskip(NEXT) | instid1(VALU_DEP_3)
	v_add_f64_e32 v[30:31], v[48:49], v[30:31]
	v_add_f64_e64 v[32:33], v[44:45], -v[32:33]
	s_delay_alu instid0(VALU_DEP_2) | instskip(NEXT) | instid1(VALU_DEP_1)
	v_mul_f64_e32 v[30:31], v[42:43], v[30:31]
	v_add_f64_e32 v[30:31], v[32:33], v[30:31]
	v_max_num_f64_e32 v[32:33], v[40:41], v[38:39]
	v_min_num_f64_e32 v[38:39], v[40:41], v[38:39]
	s_delay_alu instid0(VALU_DEP_3) | instskip(NEXT) | instid1(VALU_DEP_2)
	v_add_f64_e32 v[40:41], v[36:37], v[30:31]
	v_div_scale_f64 v[42:43], null, v[32:33], v[32:33], v[38:39]
	s_delay_alu instid0(VALU_DEP_2) | instskip(SKIP_1) | instid1(VALU_DEP_3)
	v_mul_f64_e32 v[44:45], v[40:41], v[40:41]
	v_add_f64_e64 v[36:37], v[40:41], -v[36:37]
	v_rcp_f64_e32 v[46:47], v[42:43]
	s_delay_alu instid0(VALU_DEP_2) | instskip(SKIP_1) | instid1(VALU_DEP_3)
	v_fmamk_f64 v[48:49], v[44:45], 0x3fc3ab76bf559e2b, v[22:23]
	v_mul_f64_e32 v[50:51], v[40:41], v[44:45]
	v_add_f64_e64 v[30:31], v[30:31], -v[36:37]
	s_delay_alu instid0(VALU_DEP_3) | instskip(NEXT) | instid1(TRANS32_DEP_1)
	v_fmaak_f64 v[48:49], v[44:45], v[48:49], 0x3fc7474dd7f4df2e
	v_fma_f64 v[52:53], -v[42:43], v[46:47], 1.0
	s_delay_alu instid0(VALU_DEP_2) | instskip(NEXT) | instid1(VALU_DEP_1)
	v_fmaak_f64 v[48:49], v[44:45], v[48:49], 0x3fcc71c016291751
	v_fmaak_f64 v[48:49], v[44:45], v[48:49], 0x3fd249249b27acf1
	s_delay_alu instid0(VALU_DEP_1) | instskip(SKIP_1) | instid1(VALU_DEP_2)
	v_fmaak_f64 v[48:49], v[44:45], v[48:49], 0x3fd99999998ef7b6
	v_ldexp_f64 v[30:31], v[30:31], 1
	v_fmaak_f64 v[44:45], v[44:45], v[48:49], 0x3fe5555555555780
	v_ldexp_f64 v[48:49], v[40:41], 1
	v_fmac_f64_e32 v[46:47], v[46:47], v[52:53]
	s_delay_alu instid0(VALU_DEP_3) | instskip(SKIP_2) | instid1(VALU_DEP_4)
	v_mul_f64_e32 v[44:45], v[50:51], v[44:45]
	v_cvt_f64_i32_e32 v[50:51], v1
	v_ashrrev_i32_e32 v1, 31, v7
	v_fma_f64 v[52:53], -v[42:43], v[46:47], 1.0
	s_delay_alu instid0(VALU_DEP_4) | instskip(NEXT) | instid1(VALU_DEP_4)
	v_add_f64_e32 v[40:41], v[48:49], v[44:45]
	v_mul_f64_e32 v[54:55], 0x3fe62e42fefa39ef, v[50:51]
	s_delay_alu instid0(VALU_DEP_3) | instskip(NEXT) | instid1(VALU_DEP_3)
	v_fmac_f64_e32 v[46:47], v[46:47], v[52:53]
	v_add_f64_e64 v[36:37], v[40:41], -v[48:49]
	v_div_scale_f64 v[48:49], vcc_lo, v[38:39], v[32:33], v[38:39]
	s_delay_alu instid0(VALU_DEP_4) | instskip(NEXT) | instid1(VALU_DEP_3)
	v_fma_f64 v[52:53], v[50:51], s[28:29], -v[54:55]
	v_add_f64_e64 v[36:37], v[44:45], -v[36:37]
	s_delay_alu instid0(VALU_DEP_3) | instskip(NEXT) | instid1(VALU_DEP_3)
	v_mul_f64_e32 v[44:45], v[48:49], v[46:47]
	v_fmac_f64_e32 v[52:53], 0x3c7abc9e3b39803f, v[50:51]
	s_delay_alu instid0(VALU_DEP_3) | instskip(NEXT) | instid1(VALU_DEP_3)
	v_add_f64_e32 v[30:31], v[30:31], v[36:37]
	v_fma_f64 v[36:37], -v[42:43], v[44:45], v[48:49]
	s_delay_alu instid0(VALU_DEP_3) | instskip(NEXT) | instid1(VALU_DEP_3)
	v_add_f64_e32 v[42:43], v[54:55], v[52:53]
	v_add_f64_e32 v[48:49], v[40:41], v[30:31]
	s_delay_alu instid0(VALU_DEP_3) | instskip(SKIP_1) | instid1(VALU_DEP_4)
	v_div_fmas_f64 v[36:37], v[36:37], v[46:47], v[44:45]
	v_cmp_gt_i32_e32 vcc_lo, 0, v7
	v_add_f64_e64 v[46:47], v[42:43], -v[54:55]
	v_cndmask_b32_e32 v21, 0x54442d18, v62, vcc_lo
	v_add_f64_e32 v[44:45], v[42:43], v[48:49]
	v_div_fixup_f64 v[32:33], v[36:37], v[32:33], v[38:39]
	v_add_f64_e64 v[40:41], v[48:49], -v[40:41]
	v_add_f64_e64 v[46:47], v[52:53], -v[46:47]
	s_delay_alu instid0(VALU_DEP_4) | instskip(NEXT) | instid1(VALU_DEP_4)
	v_add_f64_e64 v[36:37], v[44:45], -v[42:43]
	v_mul_f64_e32 v[38:39], v[32:33], v[32:33]
	s_delay_alu instid0(VALU_DEP_4) | instskip(NEXT) | instid1(VALU_DEP_3)
	v_add_f64_e64 v[30:31], v[30:31], -v[40:41]
	v_add_f64_e64 v[50:51], v[44:45], -v[36:37]
	s_delay_alu instid0(VALU_DEP_3) | instskip(SKIP_1) | instid1(VALU_DEP_4)
	v_fmamk_f64 v[54:55], v[38:39], 0x3eeba404b5e68a13, v[24:25]
	v_add_f64_e64 v[36:37], v[48:49], -v[36:37]
	v_add_f64_e32 v[48:49], v[46:47], v[30:31]
	s_delay_alu instid0(VALU_DEP_3) | instskip(SKIP_1) | instid1(VALU_DEP_2)
	v_fmaak_f64 v[54:55], v[38:39], v[54:55], 0x3f4b2bb069efb384
	v_add_f64_e64 v[40:41], v[42:43], -v[50:51]
	v_fmaak_f64 v[42:43], v[38:39], v[54:55], 0xbf67952daf56de9b
	s_delay_alu instid0(VALU_DEP_1) | instskip(NEXT) | instid1(VALU_DEP_1)
	v_fmaak_f64 v[42:43], v[38:39], v[42:43], 0x3f7d6d43a595c56f
	v_fmaak_f64 v[42:43], v[38:39], v[42:43], 0xbf8c6ea4a57d9582
	s_delay_alu instid0(VALU_DEP_1) | instskip(NEXT) | instid1(VALU_DEP_1)
	v_fmaak_f64 v[42:43], v[38:39], v[42:43], 0x3f967e295f08b19f
	v_fmaak_f64 v[42:43], v[38:39], v[42:43], 0xbf9e9ae6fc27006a
	v_add_f64_e32 v[36:37], v[36:37], v[40:41]
	s_delay_alu instid0(VALU_DEP_2) | instskip(SKIP_1) | instid1(VALU_DEP_2)
	v_fmaak_f64 v[40:41], v[38:39], v[42:43], 0x3fa2c15b5711927a
	v_add_f64_e64 v[42:43], v[48:49], -v[46:47]
	v_fmaak_f64 v[40:41], v[38:39], v[40:41], 0xbfa59976e82d3ff0
	s_delay_alu instid0(VALU_DEP_1) | instskip(NEXT) | instid1(VALU_DEP_1)
	v_fmaak_f64 v[40:41], v[38:39], v[40:41], 0x3fa82d5d6ef28734
	v_fmaak_f64 v[40:41], v[38:39], v[40:41], 0xbfaae5ce6a214619
	s_delay_alu instid0(VALU_DEP_1) | instskip(SKIP_3) | instid1(VALU_DEP_4)
	v_fmaak_f64 v[40:41], v[38:39], v[40:41], 0x3fae1bb48427b883
	v_add_f64_e32 v[36:37], v[48:49], v[36:37]
	v_add_f64_e64 v[48:49], v[48:49], -v[42:43]
	v_add_f64_e64 v[30:31], v[30:31], -v[42:43]
	v_fmaak_f64 v[40:41], v[38:39], v[40:41], 0xbfb110e48b207f05
	s_delay_alu instid0(VALU_DEP_1) | instskip(NEXT) | instid1(VALU_DEP_1)
	v_fmaak_f64 v[40:41], v[38:39], v[40:41], 0x3fb3b13657b87036
	v_fmaak_f64 v[40:41], v[38:39], v[40:41], 0xbfb745d119378e4f
	s_delay_alu instid0(VALU_DEP_1) | instskip(SKIP_1) | instid1(VALU_DEP_2)
	v_fmaak_f64 v[40:41], v[38:39], v[40:41], 0x3fbc71c717e1913c
	v_add_f64_e32 v[50:51], v[44:45], v[36:37]
	v_fmaak_f64 v[40:41], v[38:39], v[40:41], 0xbfc2492492376b7d
	s_delay_alu instid0(VALU_DEP_1) | instskip(NEXT) | instid1(VALU_DEP_1)
	v_fmaak_f64 v[40:41], v[38:39], v[40:41], 0x3fc99999999952cc
	v_fmaak_f64 v[40:41], v[38:39], v[40:41], 0xbfd5555555555523
	s_delay_alu instid0(VALU_DEP_1) | instskip(SKIP_2) | instid1(VALU_DEP_3)
	v_mul_f64_e32 v[38:39], v[38:39], v[40:41]
	v_add_f64_e64 v[40:41], v[46:47], -v[48:49]
	v_add_f64_e64 v[42:43], v[50:51], -v[44:45]
	v_fmac_f64_e32 v[32:33], v[32:33], v[38:39]
	s_delay_alu instid0(VALU_DEP_3) | instskip(NEXT) | instid1(VALU_DEP_3)
	v_add_f64_e32 v[30:31], v[30:31], v[40:41]
	v_add_f64_e64 v[36:37], v[36:37], -v[42:43]
	s_delay_alu instid0(VALU_DEP_3) | instskip(NEXT) | instid1(VALU_DEP_1)
	v_add_f64_e64 v[38:39], -v[32:33], s[30:31]
	v_dual_add_f64 v[30:31], v[30:31], v[36:37] :: v_dual_cndmask_b32 v33, v33, v39, s2
	s_delay_alu instid0(VALU_DEP_2) | instskip(SKIP_2) | instid1(VALU_DEP_3)
	v_cndmask_b32_e64 v32, v32, v38, s2
	v_and_b32_e32 v38, 0x54442d18, v1
	v_and_b32_e32 v1, 0x400921fb, v1
	v_add_f64_e64 v[36:37], -v[32:33], s[34:35]
	s_delay_alu instid0(VALU_DEP_1) | instskip(NEXT) | instid1(VALU_DEP_2)
	v_dual_add_f64 v[30:31], v[50:51], v[30:31] :: v_dual_cndmask_b32 v32, v32, v36, vcc_lo
	v_cndmask_b32_e32 v33, v33, v37, vcc_lo
	v_cndmask_b32_e32 v36, 0x3fe921fb, v63, vcc_lo
	s_delay_alu instid0(VALU_DEP_3) | instskip(SKIP_1) | instid1(VALU_DEP_4)
	v_mul_f64_e32 v[30:31], 0.5, v[30:31]
	v_cmp_ngt_f64_e32 vcc_lo, -1.0, v[34:35]
	v_dual_cndmask_b32 v32, v32, v38, s3 :: v_dual_cndmask_b32 v1, v33, v1, s3
	s_and_b32 s3, s4, s5
	v_bfi_b32 v36, 0x7fffffff, v36, v9
	s_delay_alu instid0(VALU_DEP_4) | instskip(SKIP_2) | instid1(VALU_DEP_1)
	v_cndmask_b32_e64 v30, 0, v30, s3
	v_cmp_neq_f64_e64 s3, -1.0, v[34:35]
	v_cndmask_b32_e64 v31, 0x7ff00000, v31, s5
	v_cndmask_b32_e32 v31, 0x7ff80000, v31, vcc_lo
	s_and_b32 vcc_lo, s7, s6
	v_dual_cndmask_b32 v33, v1, v36 :: v_dual_cndmask_b32 v32, v32, v21
	s_delay_alu instid0(VALU_DEP_2)
	v_cndmask_b32_e64 v31, 0xfff00000, v31, s3
.LBB179_18:                             ;   in Loop: Header=BB179_5 Depth=1
	s_or_b32 exec_lo, exec_lo, s51
.LBB179_19:                             ;   in Loop: Header=BB179_5 Depth=1
	s_delay_alu instid0(SALU_CYCLE_1)
	s_or_b32 exec_lo, exec_lo, s50
.LBB179_20:                             ;   in Loop: Header=BB179_5 Depth=1
	s_and_not1_saveexec_b32 s5, s49
	s_cbranch_execz .LBB179_22
; %bb.21:                               ;   in Loop: Header=BB179_5 Depth=1
	v_max_num_f64_e64 v[30:31], |v[8:9]|, |v[8:9]|
	v_max_num_f64_e64 v[32:33], |v[6:7]|, |v[6:7]|
	v_cmp_eq_f64_e64 s4, 0, v[8:9]
	v_cmp_class_f64_e64 s6, v[6:7], 0x204
	v_cmp_class_f64_e64 s7, v[8:9], 0x204
	s_delay_alu instid0(VALU_DEP_4) | instskip(SKIP_2) | instid1(VALU_DEP_2)
	v_max_num_f64_e32 v[34:35], v[32:33], v[30:31]
	v_min_num_f64_e32 v[30:31], v[32:33], v[30:31]
	s_or_b32 s3, s6, s7
	v_frexp_exp_i32_f64_e32 v1, v[34:35]
	s_delay_alu instid0(VALU_DEP_1) | instskip(NEXT) | instid1(VALU_DEP_1)
	v_sub_nc_u32_e32 v21, 0, v1
	v_ldexp_f64 v[36:37], |v[8:9]|, v21
	v_ldexp_f64 v[38:39], |v[6:7]|, v21
	s_delay_alu instid0(VALU_DEP_2) | instskip(NEXT) | instid1(VALU_DEP_1)
	v_mul_f64_e32 v[36:37], v[36:37], v[36:37]
	v_fmac_f64_e32 v[36:37], v[38:39], v[38:39]
	s_delay_alu instid0(VALU_DEP_1) | instskip(SKIP_1) | instid1(TRANS32_DEP_1)
	v_rsq_f64_e32 v[38:39], v[36:37]
	v_cmp_eq_f64_e32 vcc_lo, 0, v[36:37]
	v_mul_f64_e32 v[40:41], v[36:37], v[38:39]
	v_mul_f64_e32 v[38:39], 0.5, v[38:39]
	s_delay_alu instid0(VALU_DEP_1) | instskip(NEXT) | instid1(VALU_DEP_1)
	v_fma_f64 v[42:43], -v[38:39], v[40:41], 0.5
	v_fmac_f64_e32 v[40:41], v[40:41], v[42:43]
	v_fmac_f64_e32 v[38:39], v[38:39], v[42:43]
	s_delay_alu instid0(VALU_DEP_2) | instskip(NEXT) | instid1(VALU_DEP_1)
	v_fma_f64 v[42:43], -v[40:41], v[40:41], v[36:37]
	v_fmac_f64_e32 v[40:41], v[42:43], v[38:39]
	s_delay_alu instid0(VALU_DEP_1) | instskip(NEXT) | instid1(VALU_DEP_1)
	v_dual_cndmask_b32 v37, v41, v37 :: v_dual_cndmask_b32 v36, v40, v36
	v_ldexp_f64 v[36:37], v[36:37], v1
	s_delay_alu instid0(VALU_DEP_1) | instskip(NEXT) | instid1(VALU_DEP_2)
	v_cndmask_b32_e64 v37, v37, 0x7ff00000, s3
	v_cndmask_b32_e64 v36, v36, 0, s3
	s_delay_alu instid0(VALU_DEP_1) | instskip(SKIP_1) | instid1(VALU_DEP_2)
	v_frexp_mant_f64_e32 v[38:39], v[36:37]
	v_cmp_class_f64_e64 s3, v[36:37], 0x204
	v_cmp_gt_f64_e32 vcc_lo, s[26:27], v[38:39]
	v_cndmask_b32_e64 v1, 0, 1, vcc_lo
	s_delay_alu instid0(VALU_DEP_1) | instskip(SKIP_1) | instid1(VALU_DEP_2)
	v_ldexp_f64 v[38:39], v[38:39], v1
	v_frexp_exp_i32_f64_e32 v1, v[36:37]
	v_add_f64_e32 v[40:41], 1.0, v[38:39]
	v_add_f64_e32 v[46:47], -1.0, v[38:39]
	s_delay_alu instid0(VALU_DEP_3) | instskip(SKIP_1) | instid1(VALU_DEP_4)
	v_subrev_co_ci_u32_e64 v1, null, 0, v1, vcc_lo
	v_div_scale_f64 v[54:55], vcc_lo, v[30:31], v[34:35], v[30:31]
	v_rcp_f64_e32 v[42:43], v[40:41]
	v_add_f64_e32 v[48:49], -1.0, v[40:41]
	s_delay_alu instid0(VALU_DEP_1) | instskip(NEXT) | instid1(TRANS32_DEP_1)
	v_add_f64_e64 v[38:39], v[38:39], -v[48:49]
	v_fma_f64 v[44:45], -v[40:41], v[42:43], 1.0
	s_delay_alu instid0(VALU_DEP_1) | instskip(NEXT) | instid1(VALU_DEP_1)
	v_fmac_f64_e32 v[42:43], v[44:45], v[42:43]
	v_fma_f64 v[44:45], -v[40:41], v[42:43], 1.0
	s_delay_alu instid0(VALU_DEP_1) | instskip(NEXT) | instid1(VALU_DEP_1)
	v_fmac_f64_e32 v[42:43], v[44:45], v[42:43]
	v_mul_f64_e32 v[44:45], v[46:47], v[42:43]
	s_delay_alu instid0(VALU_DEP_1) | instskip(NEXT) | instid1(VALU_DEP_1)
	v_mul_f64_e32 v[50:51], v[40:41], v[44:45]
	v_fma_f64 v[40:41], v[44:45], v[40:41], -v[50:51]
	s_delay_alu instid0(VALU_DEP_1) | instskip(NEXT) | instid1(VALU_DEP_1)
	v_fmac_f64_e32 v[40:41], v[44:45], v[38:39]
	v_add_f64_e32 v[38:39], v[50:51], v[40:41]
	s_delay_alu instid0(VALU_DEP_1) | instskip(SKIP_1) | instid1(VALU_DEP_2)
	v_add_f64_e64 v[48:49], v[46:47], -v[38:39]
	v_add_f64_e64 v[50:51], v[38:39], -v[50:51]
	;; [unrolled: 1-line block ×3, first 2 shown]
	s_delay_alu instid0(VALU_DEP_2) | instskip(NEXT) | instid1(VALU_DEP_2)
	v_add_f64_e64 v[40:41], v[50:51], -v[40:41]
	v_add_f64_e64 v[38:39], v[46:47], -v[38:39]
	s_delay_alu instid0(VALU_DEP_1) | instskip(NEXT) | instid1(VALU_DEP_1)
	v_add_f64_e32 v[38:39], v[40:41], v[38:39]
	v_add_f64_e32 v[38:39], v[48:49], v[38:39]
	s_delay_alu instid0(VALU_DEP_1) | instskip(SKIP_1) | instid1(VALU_DEP_2)
	v_mul_f64_e32 v[32:33], v[42:43], v[38:39]
	v_div_scale_f64 v[38:39], null, v[34:35], v[34:35], v[30:31]
	v_add_f64_e32 v[40:41], v[44:45], v[32:33]
	s_delay_alu instid0(VALU_DEP_2) | instskip(NEXT) | instid1(VALU_DEP_1)
	v_rcp_f64_e32 v[42:43], v[38:39]
	v_mul_f64_e32 v[46:47], v[40:41], v[40:41]
	s_delay_alu instid0(TRANS32_DEP_1) | instskip(NEXT) | instid1(VALU_DEP_2)
	v_fma_f64 v[50:51], -v[38:39], v[42:43], 1.0
	v_fmamk_f64 v[48:49], v[46:47], 0x3fc3ab76bf559e2b, v[22:23]
	v_mul_f64_e32 v[52:53], v[40:41], v[46:47]
	s_delay_alu instid0(VALU_DEP_3) | instskip(NEXT) | instid1(VALU_DEP_3)
	v_fmac_f64_e32 v[42:43], v[42:43], v[50:51]
	v_fmaak_f64 v[48:49], v[46:47], v[48:49], 0x3fc7474dd7f4df2e
	s_delay_alu instid0(VALU_DEP_1) | instskip(NEXT) | instid1(VALU_DEP_1)
	v_fmaak_f64 v[48:49], v[46:47], v[48:49], 0x3fcc71c016291751
	v_fmaak_f64 v[48:49], v[46:47], v[48:49], 0x3fd249249b27acf1
	s_delay_alu instid0(VALU_DEP_1) | instskip(NEXT) | instid1(VALU_DEP_1)
	v_fmaak_f64 v[48:49], v[46:47], v[48:49], 0x3fd99999998ef7b6
	v_fmaak_f64 v[46:47], v[46:47], v[48:49], 0x3fe5555555555780
	v_ldexp_f64 v[48:49], v[40:41], 1
	v_add_f64_e64 v[40:41], v[40:41], -v[44:45]
	v_fma_f64 v[50:51], -v[38:39], v[42:43], 1.0
	s_delay_alu instid0(VALU_DEP_4) | instskip(SKIP_1) | instid1(VALU_DEP_4)
	v_mul_f64_e32 v[46:47], v[52:53], v[46:47]
	v_cvt_f64_i32_e32 v[52:53], v1
	v_dual_add_f64 v[32:33], v[32:33], -v[40:41] :: v_dual_ashrrev_i32 v1, 31, v7
	s_delay_alu instid0(VALU_DEP_4) | instskip(NEXT) | instid1(VALU_DEP_4)
	v_fmac_f64_e32 v[42:43], v[42:43], v[50:51]
	v_add_f64_e32 v[44:45], v[48:49], v[46:47]
	s_delay_alu instid0(VALU_DEP_4) | instskip(NEXT) | instid1(VALU_DEP_4)
	v_mul_f64_e32 v[50:51], 0x3fe62e42fefa39ef, v[52:53]
	v_ldexp_f64 v[32:33], v[32:33], 1
	s_delay_alu instid0(VALU_DEP_3) | instskip(SKIP_1) | instid1(VALU_DEP_4)
	v_add_f64_e64 v[40:41], v[44:45], -v[48:49]
	v_mul_f64_e32 v[48:49], v[54:55], v[42:43]
	v_fma_f64 v[56:57], v[52:53], s[28:29], -v[50:51]
	s_delay_alu instid0(VALU_DEP_3) | instskip(NEXT) | instid1(VALU_DEP_3)
	v_add_f64_e64 v[40:41], v[46:47], -v[40:41]
	v_fma_f64 v[38:39], -v[38:39], v[48:49], v[54:55]
	s_delay_alu instid0(VALU_DEP_3) | instskip(NEXT) | instid1(VALU_DEP_3)
	v_fmac_f64_e32 v[56:57], 0x3c7abc9e3b39803f, v[52:53]
	v_add_f64_e32 v[32:33], v[32:33], v[40:41]
	s_delay_alu instid0(VALU_DEP_3) | instskip(NEXT) | instid1(VALU_DEP_3)
	v_div_fmas_f64 v[38:39], v[38:39], v[42:43], v[48:49]
	v_add_f64_e32 v[40:41], v[50:51], v[56:57]
	v_cmp_gt_i32_e32 vcc_lo, 0, v7
	v_cndmask_b32_e32 v21, 0x54442d18, v62, vcc_lo
	v_add_f64_e32 v[42:43], v[44:45], v[32:33]
	v_div_fixup_f64 v[30:31], v[38:39], v[34:35], v[30:31]
	v_add_f64_e64 v[50:51], v[40:41], -v[50:51]
	s_delay_alu instid0(VALU_DEP_3) | instskip(NEXT) | instid1(VALU_DEP_3)
	v_add_f64_e32 v[34:35], v[40:41], v[42:43]
	v_mul_f64_e32 v[38:39], v[30:31], v[30:31]
	v_add_f64_e64 v[44:45], v[42:43], -v[44:45]
	s_delay_alu instid0(VALU_DEP_4) | instskip(NEXT) | instid1(VALU_DEP_4)
	v_add_f64_e64 v[50:51], v[56:57], -v[50:51]
	v_add_f64_e64 v[46:47], v[34:35], -v[40:41]
	s_delay_alu instid0(VALU_DEP_4) | instskip(NEXT) | instid1(VALU_DEP_4)
	v_fmamk_f64 v[48:49], v[38:39], 0x3eeba404b5e68a13, v[24:25]
	v_add_f64_e64 v[32:33], v[32:33], -v[44:45]
	s_delay_alu instid0(VALU_DEP_2) | instskip(NEXT) | instid1(VALU_DEP_1)
	v_fmaak_f64 v[48:49], v[38:39], v[48:49], 0x3f4b2bb069efb384
	v_fmaak_f64 v[48:49], v[38:39], v[48:49], 0xbf67952daf56de9b
	s_delay_alu instid0(VALU_DEP_1) | instskip(NEXT) | instid1(VALU_DEP_1)
	v_fmaak_f64 v[48:49], v[38:39], v[48:49], 0x3f7d6d43a595c56f
	v_fmaak_f64 v[48:49], v[38:39], v[48:49], 0xbf8c6ea4a57d9582
	v_add_f64_e64 v[52:53], v[34:35], -v[46:47]
	v_add_f64_e64 v[42:43], v[42:43], -v[46:47]
	v_add_f64_e32 v[46:47], v[50:51], v[32:33]
	s_delay_alu instid0(VALU_DEP_4) | instskip(NEXT) | instid1(VALU_DEP_1)
	v_fmaak_f64 v[48:49], v[38:39], v[48:49], 0x3f967e295f08b19f
	v_fmaak_f64 v[44:45], v[38:39], v[48:49], 0xbf9e9ae6fc27006a
	s_delay_alu instid0(VALU_DEP_1) | instskip(NEXT) | instid1(VALU_DEP_1)
	v_fmaak_f64 v[44:45], v[38:39], v[44:45], 0x3fa2c15b5711927a
	v_fmaak_f64 v[44:45], v[38:39], v[44:45], 0xbfa59976e82d3ff0
	s_delay_alu instid0(VALU_DEP_1) | instskip(SKIP_1) | instid1(VALU_DEP_2)
	v_fmaak_f64 v[44:45], v[38:39], v[44:45], 0x3fa82d5d6ef28734
	v_add_f64_e64 v[40:41], v[40:41], -v[52:53]
	v_fmaak_f64 v[44:45], v[38:39], v[44:45], 0xbfaae5ce6a214619
	s_delay_alu instid0(VALU_DEP_2) | instskip(NEXT) | instid1(VALU_DEP_2)
	v_add_f64_e32 v[40:41], v[42:43], v[40:41]
	v_fmaak_f64 v[42:43], v[38:39], v[44:45], 0x3fae1bb48427b883
	v_add_f64_e64 v[44:45], v[46:47], -v[50:51]
	s_delay_alu instid0(VALU_DEP_2) | instskip(NEXT) | instid1(VALU_DEP_1)
	v_fmaak_f64 v[42:43], v[38:39], v[42:43], 0xbfb110e48b207f05
	v_fmaak_f64 v[42:43], v[38:39], v[42:43], 0x3fb3b13657b87036
	s_delay_alu instid0(VALU_DEP_1) | instskip(NEXT) | instid1(VALU_DEP_1)
	v_fmaak_f64 v[42:43], v[38:39], v[42:43], 0xbfb745d119378e4f
	v_fmaak_f64 v[42:43], v[38:39], v[42:43], 0x3fbc71c717e1913c
	v_add_f64_e32 v[40:41], v[46:47], v[40:41]
	v_add_f64_e64 v[32:33], v[32:33], -v[44:45]
	s_delay_alu instid0(VALU_DEP_3) | instskip(NEXT) | instid1(VALU_DEP_1)
	v_fmaak_f64 v[42:43], v[38:39], v[42:43], 0xbfc2492492376b7d
	v_fmaak_f64 v[42:43], v[38:39], v[42:43], 0x3fc99999999952cc
	s_delay_alu instid0(VALU_DEP_1) | instskip(NEXT) | instid1(VALU_DEP_1)
	v_fmaak_f64 v[42:43], v[38:39], v[42:43], 0xbfd5555555555523
	v_mul_f64_e32 v[38:39], v[38:39], v[42:43]
	v_add_f64_e64 v[42:43], v[46:47], -v[44:45]
	v_add_f64_e32 v[46:47], v[34:35], v[40:41]
	s_delay_alu instid0(VALU_DEP_3) | instskip(NEXT) | instid1(VALU_DEP_3)
	v_fmac_f64_e32 v[30:31], v[30:31], v[38:39]
	v_add_f64_e64 v[38:39], v[50:51], -v[42:43]
	s_delay_alu instid0(VALU_DEP_3) | instskip(NEXT) | instid1(VALU_DEP_3)
	v_add_f64_e64 v[34:35], v[46:47], -v[34:35]
	v_add_f64_e64 v[42:43], -v[30:31], s[30:31]
	s_delay_alu instid0(VALU_DEP_3) | instskip(SKIP_4) | instid1(VALU_DEP_2)
	v_add_f64_e32 v[32:33], v[32:33], v[38:39]
	v_and_b32_e32 v38, 0x54442d18, v1
	v_and_b32_e32 v1, 0x400921fb, v1
	v_add_f64_e64 v[34:35], v[40:41], -v[34:35]
	v_dual_cndmask_b32 v31, v31, v43, s2 :: v_dual_cndmask_b32 v30, v30, v42, s2
	v_add_f64_e32 v[32:33], v[32:33], v[34:35]
	s_delay_alu instid0(VALU_DEP_2) | instskip(NEXT) | instid1(VALU_DEP_2)
	v_add_f64_e64 v[34:35], -v[30:31], s[34:35]
	v_add_f64_e32 v[32:33], v[46:47], v[32:33]
	s_delay_alu instid0(VALU_DEP_2) | instskip(SKIP_1) | instid1(VALU_DEP_4)
	v_cndmask_b32_e32 v30, v30, v34, vcc_lo
	v_cndmask_b32_e32 v34, 0x3fe921fb, v63, vcc_lo
	;; [unrolled: 1-line block ×3, first 2 shown]
	v_cmp_ngt_f64_e32 vcc_lo, 0, v[36:37]
	s_delay_alu instid0(VALU_DEP_4) | instskip(NEXT) | instid1(VALU_DEP_4)
	v_cndmask_b32_e64 v35, v30, v38, s4
	v_bfi_b32 v34, 0x7fffffff, v34, v9
	s_delay_alu instid0(VALU_DEP_4) | instskip(SKIP_2) | instid1(VALU_DEP_2)
	v_dual_cndmask_b32 v1, v31, v1, s4 :: v_dual_cndmask_b32 v32, v32, v36, s3
	v_cndmask_b32_e64 v33, v33, v37, s3
	v_cmp_nge_f64_e64 s3, 0, v[36:37]
	v_cndmask_b32_e32 v31, 0x7ff80000, v33, vcc_lo
	s_and_b32 vcc_lo, s6, s7
	s_delay_alu instid0(SALU_CYCLE_1) | instskip(SKIP_2) | instid1(VALU_DEP_2)
	v_dual_cndmask_b32 v33, v1, v34, vcc_lo :: v_dual_cndmask_b32 v30, 0, v32, s3
	v_cmp_neq_f64_e64 s3, 0, v[36:37]
	v_cndmask_b32_e32 v32, v35, v21, vcc_lo
	v_cndmask_b32_e64 v31, 0xfff00000, v31, s3
.LBB179_22:                             ;   in Loop: Header=BB179_5 Depth=1
	s_or_b32 exec_lo, exec_lo, s5
                                        ; implicit-def: $vgpr36_vgpr37
.LBB179_23:                             ;   in Loop: Header=BB179_5 Depth=1
	s_and_not1_saveexec_b32 s5, s48
	s_cbranch_execz .LBB179_29
; %bb.24:                               ;   in Loop: Header=BB179_5 Depth=1
                                        ; implicit-def: $vgpr30_vgpr31
                                        ; implicit-def: $vgpr32_vgpr33
	s_mov_b32 s3, exec_lo
	v_cmpx_ngt_f64_e32 s[38:39], v[36:37]
	s_xor_b32 s6, exec_lo, s3
	s_cbranch_execz .LBB179_26
; %bb.25:                               ;   in Loop: Header=BB179_5 Depth=1
	v_mul_f64_e32 v[30:31], v[36:37], v[36:37]
	v_cmp_eq_f64_e64 s3, 0, v[8:9]
	v_cmp_class_f64_e64 s7, v[8:9], 0x204
	v_cmp_class_f64_e64 s8, v[6:7], 0x204
	s_delay_alu instid0(VALU_DEP_4) | instskip(NEXT) | instid1(VALU_DEP_1)
	v_add_f64_e32 v[32:33], 1.0, v[30:31]
	v_frexp_mant_f64_e32 v[34:35], v[32:33]
	v_frexp_exp_i32_f64_e32 v1, v[32:33]
	s_delay_alu instid0(VALU_DEP_2) | instskip(NEXT) | instid1(VALU_DEP_2)
	v_cmp_gt_f64_e32 vcc_lo, s[26:27], v[34:35]
	v_subrev_co_ci_u32_e64 v1, null, 0, v1, vcc_lo
	s_delay_alu instid0(VALU_DEP_1) | instskip(SKIP_1) | instid1(VALU_DEP_1)
	v_sub_nc_u32_e32 v21, 0, v1
	v_add_f64_e32 v[36:37], -1.0, v[32:33]
	v_add_f64_e64 v[34:35], v[36:37], -v[32:33]
	s_delay_alu instid0(VALU_DEP_3) | instskip(SKIP_1) | instid1(VALU_DEP_3)
	v_ldexp_f64 v[32:33], v[32:33], v21
	v_add_f64_e64 v[36:37], v[30:31], -v[36:37]
	v_add_f64_e32 v[34:35], 1.0, v[34:35]
	s_delay_alu instid0(VALU_DEP_3) | instskip(SKIP_1) | instid1(VALU_DEP_3)
	v_add_f64_e32 v[38:39], 1.0, v[32:33]
	v_add_f64_e32 v[44:45], -1.0, v[32:33]
	v_add_f64_e32 v[34:35], v[36:37], v[34:35]
	s_delay_alu instid0(VALU_DEP_3) | instskip(NEXT) | instid1(VALU_DEP_3)
	v_add_f64_e32 v[36:37], -1.0, v[38:39]
	v_add_f64_e32 v[46:47], 1.0, v[44:45]
	s_delay_alu instid0(VALU_DEP_3) | instskip(NEXT) | instid1(VALU_DEP_3)
	v_ldexp_f64 v[34:35], v[34:35], v21
	v_add_f64_e64 v[36:37], v[32:33], -v[36:37]
	s_delay_alu instid0(VALU_DEP_3) | instskip(NEXT) | instid1(VALU_DEP_2)
	v_add_f64_e64 v[32:33], v[32:33], -v[46:47]
	v_add_f64_e32 v[36:37], v[34:35], v[36:37]
	s_delay_alu instid0(VALU_DEP_2) | instskip(NEXT) | instid1(VALU_DEP_2)
	v_add_f64_e32 v[32:33], v[34:35], v[32:33]
	v_add_f64_e32 v[40:41], v[38:39], v[36:37]
	s_delay_alu instid0(VALU_DEP_2) | instskip(NEXT) | instid1(VALU_DEP_2)
	v_add_f64_e32 v[46:47], v[44:45], v[32:33]
	v_rcp_f64_e32 v[42:43], v[40:41]
	v_add_f64_e64 v[38:39], v[38:39], -v[40:41]
	s_delay_alu instid0(VALU_DEP_2) | instskip(NEXT) | instid1(VALU_DEP_2)
	v_add_f64_e64 v[44:45], v[44:45], -v[46:47]
	v_add_f64_e32 v[36:37], v[36:37], v[38:39]
	s_delay_alu instid0(VALU_DEP_2) | instskip(NEXT) | instid1(TRANS32_DEP_1)
	v_add_f64_e32 v[32:33], v[32:33], v[44:45]
	v_fma_f64 v[48:49], -v[40:41], v[42:43], 1.0
	s_delay_alu instid0(VALU_DEP_1) | instskip(NEXT) | instid1(VALU_DEP_1)
	v_fmac_f64_e32 v[42:43], v[48:49], v[42:43]
	v_fma_f64 v[34:35], -v[40:41], v[42:43], 1.0
	s_delay_alu instid0(VALU_DEP_1) | instskip(NEXT) | instid1(VALU_DEP_1)
	v_fmac_f64_e32 v[42:43], v[34:35], v[42:43]
	v_mul_f64_e32 v[34:35], v[46:47], v[42:43]
	s_delay_alu instid0(VALU_DEP_1) | instskip(NEXT) | instid1(VALU_DEP_1)
	v_mul_f64_e32 v[48:49], v[40:41], v[34:35]
	v_fma_f64 v[38:39], v[34:35], v[40:41], -v[48:49]
	s_delay_alu instid0(VALU_DEP_1) | instskip(NEXT) | instid1(VALU_DEP_1)
	v_fmac_f64_e32 v[38:39], v[34:35], v[36:37]
	v_add_f64_e32 v[50:51], v[48:49], v[38:39]
	s_delay_alu instid0(VALU_DEP_1) | instskip(SKIP_1) | instid1(VALU_DEP_2)
	v_add_f64_e64 v[52:53], v[46:47], -v[50:51]
	v_add_f64_e64 v[44:45], v[50:51], -v[48:49]
	;; [unrolled: 1-line block ×3, first 2 shown]
	s_delay_alu instid0(VALU_DEP_2) | instskip(NEXT) | instid1(VALU_DEP_2)
	v_add_f64_e64 v[38:39], v[44:45], -v[38:39]
	v_add_f64_e64 v[46:47], v[46:47], -v[50:51]
	s_delay_alu instid0(VALU_DEP_1) | instskip(NEXT) | instid1(VALU_DEP_1)
	v_add_f64_e32 v[32:33], v[32:33], v[46:47]
	v_add_f64_e32 v[32:33], v[38:39], v[32:33]
	s_delay_alu instid0(VALU_DEP_1) | instskip(NEXT) | instid1(VALU_DEP_1)
	v_add_f64_e32 v[38:39], v[52:53], v[32:33]
	v_mul_f64_e32 v[44:45], v[42:43], v[38:39]
	v_add_f64_e64 v[50:51], v[52:53], -v[38:39]
	s_delay_alu instid0(VALU_DEP_2) | instskip(NEXT) | instid1(VALU_DEP_2)
	v_mul_f64_e32 v[46:47], v[40:41], v[44:45]
	v_add_f64_e32 v[32:33], v[32:33], v[50:51]
	s_delay_alu instid0(VALU_DEP_2) | instskip(NEXT) | instid1(VALU_DEP_1)
	v_fma_f64 v[40:41], v[44:45], v[40:41], -v[46:47]
	v_fmac_f64_e32 v[40:41], v[44:45], v[36:37]
	s_delay_alu instid0(VALU_DEP_1) | instskip(NEXT) | instid1(VALU_DEP_1)
	v_add_f64_e32 v[36:37], v[46:47], v[40:41]
	v_add_f64_e64 v[48:49], v[38:39], -v[36:37]
	v_add_f64_e64 v[46:47], v[36:37], -v[46:47]
	s_delay_alu instid0(VALU_DEP_2) | instskip(NEXT) | instid1(VALU_DEP_1)
	v_add_f64_e64 v[38:39], v[38:39], -v[48:49]
	v_add_f64_e64 v[36:37], v[38:39], -v[36:37]
	s_delay_alu instid0(VALU_DEP_3) | instskip(SKIP_1) | instid1(VALU_DEP_3)
	v_add_f64_e64 v[38:39], v[46:47], -v[40:41]
	v_max_num_f64_e64 v[40:41], |v[6:7]|, |v[6:7]|
	v_add_f64_e32 v[32:33], v[32:33], v[36:37]
	v_add_f64_e32 v[36:37], v[34:35], v[44:45]
	s_delay_alu instid0(VALU_DEP_2) | instskip(NEXT) | instid1(VALU_DEP_2)
	v_add_f64_e32 v[32:33], v[38:39], v[32:33]
	v_add_f64_e64 v[34:35], v[36:37], -v[34:35]
	v_max_num_f64_e64 v[38:39], |v[8:9]|, |v[8:9]|
	s_delay_alu instid0(VALU_DEP_3) | instskip(NEXT) | instid1(VALU_DEP_3)
	v_add_f64_e32 v[32:33], v[48:49], v[32:33]
	v_add_f64_e64 v[34:35], v[44:45], -v[34:35]
	s_delay_alu instid0(VALU_DEP_2) | instskip(NEXT) | instid1(VALU_DEP_1)
	v_mul_f64_e32 v[32:33], v[42:43], v[32:33]
	v_add_f64_e32 v[32:33], v[34:35], v[32:33]
	v_max_num_f64_e32 v[34:35], v[40:41], v[38:39]
	v_min_num_f64_e32 v[38:39], v[40:41], v[38:39]
	s_delay_alu instid0(VALU_DEP_3) | instskip(NEXT) | instid1(VALU_DEP_2)
	v_add_f64_e32 v[40:41], v[36:37], v[32:33]
	v_div_scale_f64 v[42:43], null, v[34:35], v[34:35], v[38:39]
	s_delay_alu instid0(VALU_DEP_2) | instskip(SKIP_1) | instid1(VALU_DEP_3)
	v_mul_f64_e32 v[44:45], v[40:41], v[40:41]
	v_add_f64_e64 v[36:37], v[40:41], -v[36:37]
	v_rcp_f64_e32 v[46:47], v[42:43]
	s_delay_alu instid0(VALU_DEP_2) | instskip(SKIP_1) | instid1(VALU_DEP_3)
	v_fmamk_f64 v[48:49], v[44:45], 0x3fc3ab76bf559e2b, v[22:23]
	v_mul_f64_e32 v[50:51], v[40:41], v[44:45]
	v_add_f64_e64 v[32:33], v[32:33], -v[36:37]
	s_delay_alu instid0(VALU_DEP_3) | instskip(NEXT) | instid1(TRANS32_DEP_1)
	v_fmaak_f64 v[48:49], v[44:45], v[48:49], 0x3fc7474dd7f4df2e
	v_fma_f64 v[52:53], -v[42:43], v[46:47], 1.0
	s_delay_alu instid0(VALU_DEP_2) | instskip(NEXT) | instid1(VALU_DEP_1)
	v_fmaak_f64 v[48:49], v[44:45], v[48:49], 0x3fcc71c016291751
	v_fmaak_f64 v[48:49], v[44:45], v[48:49], 0x3fd249249b27acf1
	s_delay_alu instid0(VALU_DEP_1) | instskip(SKIP_1) | instid1(VALU_DEP_2)
	v_fmaak_f64 v[48:49], v[44:45], v[48:49], 0x3fd99999998ef7b6
	v_ldexp_f64 v[32:33], v[32:33], 1
	v_fmaak_f64 v[44:45], v[44:45], v[48:49], 0x3fe5555555555780
	v_ldexp_f64 v[48:49], v[40:41], 1
	v_fmac_f64_e32 v[46:47], v[46:47], v[52:53]
	s_delay_alu instid0(VALU_DEP_3) | instskip(SKIP_2) | instid1(VALU_DEP_4)
	v_mul_f64_e32 v[44:45], v[50:51], v[44:45]
	v_cvt_f64_i32_e32 v[50:51], v1
	v_ashrrev_i32_e32 v1, 31, v7
	v_fma_f64 v[52:53], -v[42:43], v[46:47], 1.0
	s_delay_alu instid0(VALU_DEP_4) | instskip(NEXT) | instid1(VALU_DEP_4)
	v_add_f64_e32 v[40:41], v[48:49], v[44:45]
	v_mul_f64_e32 v[54:55], 0x3fe62e42fefa39ef, v[50:51]
	s_delay_alu instid0(VALU_DEP_3) | instskip(NEXT) | instid1(VALU_DEP_3)
	v_fmac_f64_e32 v[46:47], v[46:47], v[52:53]
	v_add_f64_e64 v[36:37], v[40:41], -v[48:49]
	v_div_scale_f64 v[48:49], vcc_lo, v[38:39], v[34:35], v[38:39]
	s_delay_alu instid0(VALU_DEP_4) | instskip(NEXT) | instid1(VALU_DEP_3)
	v_fma_f64 v[52:53], v[50:51], s[28:29], -v[54:55]
	v_add_f64_e64 v[36:37], v[44:45], -v[36:37]
	s_delay_alu instid0(VALU_DEP_3) | instskip(NEXT) | instid1(VALU_DEP_3)
	v_mul_f64_e32 v[44:45], v[48:49], v[46:47]
	v_fmac_f64_e32 v[52:53], 0x3c7abc9e3b39803f, v[50:51]
	s_delay_alu instid0(VALU_DEP_3) | instskip(NEXT) | instid1(VALU_DEP_3)
	v_add_f64_e32 v[32:33], v[32:33], v[36:37]
	v_fma_f64 v[36:37], -v[42:43], v[44:45], v[48:49]
	s_delay_alu instid0(VALU_DEP_3) | instskip(NEXT) | instid1(VALU_DEP_3)
	v_add_f64_e32 v[42:43], v[54:55], v[52:53]
	v_add_f64_e32 v[48:49], v[40:41], v[32:33]
	s_delay_alu instid0(VALU_DEP_3) | instskip(SKIP_1) | instid1(VALU_DEP_4)
	v_div_fmas_f64 v[36:37], v[36:37], v[46:47], v[44:45]
	v_cmp_gt_i32_e32 vcc_lo, 0, v7
	v_add_f64_e64 v[46:47], v[42:43], -v[54:55]
	v_cndmask_b32_e32 v21, 0x54442d18, v62, vcc_lo
	v_add_f64_e32 v[44:45], v[42:43], v[48:49]
	v_div_fixup_f64 v[34:35], v[36:37], v[34:35], v[38:39]
	v_add_f64_e64 v[40:41], v[48:49], -v[40:41]
	v_add_f64_e64 v[46:47], v[52:53], -v[46:47]
	s_delay_alu instid0(VALU_DEP_4) | instskip(NEXT) | instid1(VALU_DEP_4)
	v_add_f64_e64 v[36:37], v[44:45], -v[42:43]
	v_mul_f64_e32 v[38:39], v[34:35], v[34:35]
	s_delay_alu instid0(VALU_DEP_4) | instskip(NEXT) | instid1(VALU_DEP_3)
	v_add_f64_e64 v[32:33], v[32:33], -v[40:41]
	v_add_f64_e64 v[50:51], v[44:45], -v[36:37]
	s_delay_alu instid0(VALU_DEP_3) | instskip(SKIP_1) | instid1(VALU_DEP_4)
	v_fmamk_f64 v[54:55], v[38:39], 0x3eeba404b5e68a13, v[24:25]
	v_add_f64_e64 v[36:37], v[48:49], -v[36:37]
	v_add_f64_e32 v[48:49], v[46:47], v[32:33]
	s_delay_alu instid0(VALU_DEP_3) | instskip(NEXT) | instid1(VALU_DEP_1)
	v_fmaak_f64 v[54:55], v[38:39], v[54:55], 0x3f4b2bb069efb384
	v_fmaak_f64 v[54:55], v[38:39], v[54:55], 0xbf67952daf56de9b
	v_add_f64_e64 v[40:41], v[42:43], -v[50:51]
	s_delay_alu instid0(VALU_DEP_2) | instskip(NEXT) | instid1(VALU_DEP_1)
	v_fmaak_f64 v[42:43], v[38:39], v[54:55], 0x3f7d6d43a595c56f
	v_fmaak_f64 v[42:43], v[38:39], v[42:43], 0xbf8c6ea4a57d9582
	s_delay_alu instid0(VALU_DEP_1) | instskip(NEXT) | instid1(VALU_DEP_1)
	v_fmaak_f64 v[42:43], v[38:39], v[42:43], 0x3f967e295f08b19f
	v_fmaak_f64 v[42:43], v[38:39], v[42:43], 0xbf9e9ae6fc27006a
	s_delay_alu instid0(VALU_DEP_1) | instskip(SKIP_1) | instid1(VALU_DEP_2)
	v_fmaak_f64 v[42:43], v[38:39], v[42:43], 0x3fa2c15b5711927a
	v_add_f64_e32 v[36:37], v[36:37], v[40:41]
	v_fmaak_f64 v[40:41], v[38:39], v[42:43], 0xbfa59976e82d3ff0
	v_add_f64_e64 v[42:43], v[48:49], -v[46:47]
	s_delay_alu instid0(VALU_DEP_2) | instskip(NEXT) | instid1(VALU_DEP_1)
	v_fmaak_f64 v[40:41], v[38:39], v[40:41], 0x3fa82d5d6ef28734
	v_fmaak_f64 v[40:41], v[38:39], v[40:41], 0xbfaae5ce6a214619
	s_delay_alu instid0(VALU_DEP_1) | instskip(NEXT) | instid1(VALU_DEP_1)
	v_fmaak_f64 v[40:41], v[38:39], v[40:41], 0x3fae1bb48427b883
	v_fmaak_f64 v[40:41], v[38:39], v[40:41], 0xbfb110e48b207f05
	v_add_f64_e32 v[36:37], v[48:49], v[36:37]
	v_add_f64_e64 v[48:49], v[48:49], -v[42:43]
	v_add_f64_e64 v[32:33], v[32:33], -v[42:43]
	s_delay_alu instid0(VALU_DEP_4) | instskip(NEXT) | instid1(VALU_DEP_1)
	v_fmaak_f64 v[40:41], v[38:39], v[40:41], 0x3fb3b13657b87036
	v_fmaak_f64 v[40:41], v[38:39], v[40:41], 0xbfb745d119378e4f
	s_delay_alu instid0(VALU_DEP_1) | instskip(NEXT) | instid1(VALU_DEP_1)
	v_fmaak_f64 v[40:41], v[38:39], v[40:41], 0x3fbc71c717e1913c
	v_fmaak_f64 v[40:41], v[38:39], v[40:41], 0xbfc2492492376b7d
	v_add_f64_e32 v[50:51], v[44:45], v[36:37]
	s_delay_alu instid0(VALU_DEP_2) | instskip(NEXT) | instid1(VALU_DEP_1)
	v_fmaak_f64 v[40:41], v[38:39], v[40:41], 0x3fc99999999952cc
	v_fmaak_f64 v[40:41], v[38:39], v[40:41], 0xbfd5555555555523
	s_delay_alu instid0(VALU_DEP_1) | instskip(SKIP_2) | instid1(VALU_DEP_3)
	v_mul_f64_e32 v[38:39], v[38:39], v[40:41]
	v_add_f64_e64 v[40:41], v[46:47], -v[48:49]
	v_add_f64_e64 v[42:43], v[50:51], -v[44:45]
	v_fmac_f64_e32 v[34:35], v[34:35], v[38:39]
	s_delay_alu instid0(VALU_DEP_3) | instskip(SKIP_4) | instid1(VALU_DEP_1)
	v_add_f64_e32 v[32:33], v[32:33], v[40:41]
	v_and_b32_e32 v40, 0x54442d18, v1
	v_and_b32_e32 v1, 0x400921fb, v1
	v_add_f64_e64 v[36:37], v[36:37], -v[42:43]
	v_add_f64_e64 v[38:39], -v[34:35], s[30:31]
	v_dual_add_f64 v[32:33], v[32:33], v[36:37] :: v_dual_cndmask_b32 v35, v35, v39, s2
	s_delay_alu instid0(VALU_DEP_2) | instskip(SKIP_2) | instid1(VALU_DEP_3)
	v_cndmask_b32_e64 v34, v34, v38, s2
	v_cmp_neq_f64_e64 s4, 0x7ff00000, v[30:31]
	v_cndmask_b32_e32 v30, 0x3fe921fb, v63, vcc_lo
	v_add_f64_e64 v[36:37], -v[34:35], s[34:35]
	s_delay_alu instid0(VALU_DEP_2) | instskip(SKIP_1) | instid1(VALU_DEP_3)
	v_bfi_b32 v30, 0x7fffffff, v30, v9
	v_add_f64_e32 v[32:33], v[50:51], v[32:33]
	v_dual_cndmask_b32 v34, v34, v36 :: v_dual_cndmask_b32 v31, v35, v37
	s_and_b32 vcc_lo, s8, s7
                                        ; implicit-def: $vgpr36_vgpr37
	s_delay_alu instid0(VALU_DEP_1) | instskip(NEXT) | instid1(VALU_DEP_3)
	v_cndmask_b32_e64 v1, v31, v1, s3
	v_mul_f64_e32 v[38:39], 0.5, v[32:33]
	s_delay_alu instid0(VALU_DEP_2) | instskip(NEXT) | instid1(VALU_DEP_1)
	v_dual_cndmask_b32 v32, v34, v40, s3 :: v_dual_cndmask_b32 v33, v1, v30, vcc_lo
	v_cndmask_b32_e32 v32, v32, v21, vcc_lo
	s_delay_alu instid0(VALU_DEP_3) | instskip(NEXT) | instid1(VALU_DEP_4)
	v_cndmask_b32_e64 v31, 0x7ff00000, v39, s4
	v_cndmask_b32_e64 v30, 0, v38, s4
.LBB179_26:                             ;   in Loop: Header=BB179_5 Depth=1
	s_and_not1_saveexec_b32 s4, s6
	s_cbranch_execz .LBB179_28
; %bb.27:                               ;   in Loop: Header=BB179_5 Depth=1
	v_max_num_f64_e64 v[30:31], |v[8:9]|, |v[8:9]|
	v_max_num_f64_e64 v[32:33], |v[6:7]|, |v[6:7]|
	v_cmp_eq_f64_e64 s3, 0, v[8:9]
	v_cmp_class_f64_e64 s6, v[8:9], 0x204
	v_cmp_class_f64_e64 s7, v[6:7], 0x204
	v_ashrrev_i32_e32 v1, 31, v7
	v_max_num_f64_e32 v[34:35], v[32:33], v[30:31]
	v_min_num_f64_e32 v[30:31], v[32:33], v[30:31]
	s_delay_alu instid0(VALU_DEP_1) | instskip(SKIP_1) | instid1(VALU_DEP_2)
	v_div_scale_f64 v[32:33], null, v[34:35], v[34:35], v[30:31]
	v_div_scale_f64 v[42:43], vcc_lo, v[30:31], v[34:35], v[30:31]
	v_rcp_f64_e32 v[38:39], v[32:33]
	v_nop
	s_delay_alu instid0(TRANS32_DEP_1) | instskip(NEXT) | instid1(VALU_DEP_1)
	v_fma_f64 v[40:41], -v[32:33], v[38:39], 1.0
	v_fmac_f64_e32 v[38:39], v[38:39], v[40:41]
	s_delay_alu instid0(VALU_DEP_1) | instskip(NEXT) | instid1(VALU_DEP_1)
	v_fma_f64 v[40:41], -v[32:33], v[38:39], 1.0
	v_fmac_f64_e32 v[38:39], v[38:39], v[40:41]
	s_delay_alu instid0(VALU_DEP_1) | instskip(NEXT) | instid1(VALU_DEP_1)
	v_mul_f64_e32 v[40:41], v[42:43], v[38:39]
	v_fma_f64 v[32:33], -v[32:33], v[40:41], v[42:43]
	s_delay_alu instid0(VALU_DEP_1)
	v_div_fmas_f64 v[32:33], v[32:33], v[38:39], v[40:41]
	v_cmp_gt_i32_e32 vcc_lo, 0, v7
	v_and_b32_e32 v38, 0x54442d18, v1
	v_and_b32_e32 v1, 0x400921fb, v1
	v_cndmask_b32_e32 v21, 0x54442d18, v62, vcc_lo
	v_div_fixup_f64 v[30:31], v[32:33], v[34:35], v[30:31]
	s_delay_alu instid0(VALU_DEP_1) | instskip(NEXT) | instid1(VALU_DEP_1)
	v_mul_f64_e32 v[32:33], v[30:31], v[30:31]
	v_fmamk_f64 v[34:35], v[32:33], 0x3eeba404b5e68a13, v[24:25]
	s_delay_alu instid0(VALU_DEP_1) | instskip(NEXT) | instid1(VALU_DEP_1)
	v_fmaak_f64 v[34:35], v[32:33], v[34:35], 0x3f4b2bb069efb384
	v_fmaak_f64 v[34:35], v[32:33], v[34:35], 0xbf67952daf56de9b
	s_delay_alu instid0(VALU_DEP_1) | instskip(NEXT) | instid1(VALU_DEP_1)
	v_fmaak_f64 v[34:35], v[32:33], v[34:35], 0x3f7d6d43a595c56f
	v_fmaak_f64 v[34:35], v[32:33], v[34:35], 0xbf8c6ea4a57d9582
	;; [unrolled: 3-line block ×9, first 2 shown]
	s_delay_alu instid0(VALU_DEP_1) | instskip(NEXT) | instid1(VALU_DEP_1)
	v_mul_f64_e32 v[32:33], v[32:33], v[34:35]
	v_fmac_f64_e32 v[30:31], v[30:31], v[32:33]
	s_delay_alu instid0(VALU_DEP_1) | instskip(NEXT) | instid1(VALU_DEP_1)
	v_add_f64_e64 v[32:33], -v[30:31], s[30:31]
	v_dual_cndmask_b32 v33, v31, v33, s2 :: v_dual_cndmask_b32 v32, v30, v32, s2
	v_mul_f64_e32 v[30:31], 0.5, v[36:37]
	s_delay_alu instid0(VALU_DEP_1) | instskip(NEXT) | instid1(VALU_DEP_3)
	v_mul_f64_e32 v[30:31], v[36:37], v[30:31]
	v_add_f64_e64 v[34:35], -v[32:33], s[34:35]
	s_delay_alu instid0(VALU_DEP_1) | instskip(SKIP_1) | instid1(VALU_DEP_3)
	v_cndmask_b32_e32 v32, v32, v34, vcc_lo
	v_cndmask_b32_e32 v34, 0x3fe921fb, v63, vcc_lo
	;; [unrolled: 1-line block ×3, first 2 shown]
	s_and_b32 vcc_lo, s7, s6
	s_delay_alu instid0(VALU_DEP_3) | instskip(NEXT) | instid1(VALU_DEP_3)
	v_cndmask_b32_e64 v32, v32, v38, s3
	v_bfi_b32 v34, 0x7fffffff, v34, v9
	s_delay_alu instid0(VALU_DEP_3) | instskip(NEXT) | instid1(VALU_DEP_1)
	v_cndmask_b32_e64 v1, v33, v1, s3
	v_dual_cndmask_b32 v32, v32, v21 :: v_dual_cndmask_b32 v33, v1, v34
.LBB179_28:                             ;   in Loop: Header=BB179_5 Depth=1
	s_or_b32 exec_lo, exec_lo, s4
.LBB179_29:                             ;   in Loop: Header=BB179_5 Depth=1
	s_delay_alu instid0(SALU_CYCLE_1)
	s_or_b32 exec_lo, exec_lo, s5
.LBB179_30:                             ;   in Loop: Header=BB179_5 Depth=1
	s_and_not1_saveexec_b32 s4, s47
	s_cbranch_execz .LBB179_32
; %bb.31:                               ;   in Loop: Header=BB179_5 Depth=1
	v_div_scale_f64 v[30:31], null, s[40:41], s[40:41], v[6:7]
	v_div_scale_f64 v[32:33], null, s[40:41], s[40:41], v[8:9]
	v_div_scale_f64 v[42:43], vcc_lo, v[6:7], s[40:41], v[6:7]
	s_delay_alu instid0(VALU_DEP_3) | instskip(NEXT) | instid1(VALU_DEP_2)
	v_rcp_f64_e32 v[34:35], v[30:31]
	v_rcp_f64_e32 v[36:37], v[32:33]
	s_delay_alu instid0(TRANS32_DEP_2) | instskip(NEXT) | instid1(TRANS32_DEP_1)
	v_fma_f64 v[38:39], -v[30:31], v[34:35], 1.0
	v_fma_f64 v[40:41], -v[32:33], v[36:37], 1.0
	s_delay_alu instid0(VALU_DEP_2) | instskip(NEXT) | instid1(VALU_DEP_2)
	v_fmac_f64_e32 v[34:35], v[34:35], v[38:39]
	v_fmac_f64_e32 v[36:37], v[36:37], v[40:41]
	s_delay_alu instid0(VALU_DEP_2) | instskip(NEXT) | instid1(VALU_DEP_2)
	v_fma_f64 v[38:39], -v[30:31], v[34:35], 1.0
	v_fma_f64 v[40:41], -v[32:33], v[36:37], 1.0
	s_delay_alu instid0(VALU_DEP_2) | instskip(SKIP_1) | instid1(VALU_DEP_3)
	v_fmac_f64_e32 v[34:35], v[34:35], v[38:39]
	v_div_scale_f64 v[38:39], s3, v[8:9], s[40:41], v[8:9]
	v_fmac_f64_e32 v[36:37], v[36:37], v[40:41]
	s_delay_alu instid0(VALU_DEP_3) | instskip(NEXT) | instid1(VALU_DEP_2)
	v_mul_f64_e32 v[40:41], v[42:43], v[34:35]
	v_mul_f64_e32 v[44:45], v[38:39], v[36:37]
	s_delay_alu instid0(VALU_DEP_2) | instskip(NEXT) | instid1(VALU_DEP_2)
	v_fma_f64 v[30:31], -v[30:31], v[40:41], v[42:43]
	v_fma_f64 v[32:33], -v[32:33], v[44:45], v[38:39]
	s_delay_alu instid0(VALU_DEP_2) | instskip(SKIP_1) | instid1(VALU_DEP_2)
	v_div_fmas_f64 v[30:31], v[30:31], v[34:35], v[40:41]
	s_mov_b32 vcc_lo, s3
	v_div_fmas_f64 v[32:33], v[32:33], v[36:37], v[44:45]
	s_delay_alu instid0(VALU_DEP_2) | instskip(NEXT) | instid1(VALU_DEP_2)
	v_div_fixup_f64 v[30:31], v[30:31], s[40:41], v[6:7]
	v_div_fixup_f64 v[32:33], v[32:33], s[40:41], v[8:9]
	s_delay_alu instid0(VALU_DEP_2) | instskip(NEXT) | instid1(VALU_DEP_2)
	v_cmp_class_f64_e64 s3, v[30:31], 0x204
	v_max_num_f64_e64 v[34:35], |v[30:31]|, |v[32:33]|
	v_cmp_class_f64_e64 s5, v[32:33], 0x204
	s_delay_alu instid0(VALU_DEP_2) | instskip(SKIP_2) | instid1(VALU_DEP_2)
	v_frexp_exp_i32_f64_e32 v1, v[34:35]
	s_or_b32 s3, s3, s5
	v_cmp_class_f64_e64 s5, v[6:7], 0x204
	v_sub_nc_u32_e32 v21, 0, v1
	s_delay_alu instid0(VALU_DEP_1) | instskip(SKIP_1) | instid1(VALU_DEP_2)
	v_ldexp_f64 v[34:35], |v[32:33]|, v21
	v_ldexp_f64 v[36:37], |v[30:31]|, v21
	v_mul_f64_e32 v[34:35], v[34:35], v[34:35]
	s_delay_alu instid0(VALU_DEP_1) | instskip(NEXT) | instid1(VALU_DEP_1)
	v_fmac_f64_e32 v[34:35], v[36:37], v[36:37]
	v_rsq_f64_e32 v[36:37], v[34:35]
	v_cmp_eq_f64_e32 vcc_lo, 0, v[34:35]
	s_delay_alu instid0(TRANS32_DEP_1) | instskip(SKIP_1) | instid1(VALU_DEP_1)
	v_mul_f64_e32 v[38:39], v[34:35], v[36:37]
	v_mul_f64_e32 v[36:37], 0.5, v[36:37]
	v_fma_f64 v[40:41], -v[36:37], v[38:39], 0.5
	s_delay_alu instid0(VALU_DEP_1) | instskip(SKIP_1) | instid1(VALU_DEP_2)
	v_fmac_f64_e32 v[38:39], v[38:39], v[40:41]
	v_fmac_f64_e32 v[36:37], v[36:37], v[40:41]
	v_fma_f64 v[40:41], -v[38:39], v[38:39], v[34:35]
	s_delay_alu instid0(VALU_DEP_1) | instskip(NEXT) | instid1(VALU_DEP_1)
	v_fmac_f64_e32 v[38:39], v[40:41], v[36:37]
	v_dual_cndmask_b32 v35, v39, v35 :: v_dual_cndmask_b32 v34, v38, v34
	v_cmp_o_f64_e32 vcc_lo, v[30:31], v[32:33]
	s_delay_alu instid0(VALU_DEP_2) | instskip(NEXT) | instid1(VALU_DEP_1)
	v_ldexp_f64 v[34:35], v[34:35], v1
	v_cndmask_b32_e32 v1, 0, v34, vcc_lo
	s_delay_alu instid0(VALU_DEP_2) | instskip(NEXT) | instid1(VALU_DEP_2)
	v_cndmask_b32_e32 v21, 0x7ff80000, v35, vcc_lo
	v_cndmask_b32_e64 v34, v1, 0, s3
	s_delay_alu instid0(VALU_DEP_2) | instskip(SKIP_1) | instid1(VALU_DEP_2)
	v_cndmask_b32_e64 v35, v21, 0x7ff00000, s3
	v_cmp_class_f64_e64 s3, v[8:9], 0x204
	v_frexp_mant_f64_e32 v[30:31], v[34:35]
	s_delay_alu instid0(VALU_DEP_1) | instskip(SKIP_1) | instid1(VALU_DEP_1)
	v_cmp_gt_f64_e32 vcc_lo, s[26:27], v[30:31]
	v_cndmask_b32_e64 v1, 0, 1, vcc_lo
	v_ldexp_f64 v[30:31], v[30:31], v1
	v_frexp_exp_i32_f64_e32 v1, v[34:35]
	s_delay_alu instid0(VALU_DEP_2) | instskip(SKIP_1) | instid1(VALU_DEP_3)
	v_add_f64_e32 v[32:33], 1.0, v[30:31]
	v_add_f64_e32 v[40:41], -1.0, v[30:31]
	v_subrev_co_ci_u32_e64 v1, null, 0, v1, vcc_lo
	s_delay_alu instid0(VALU_DEP_3) | instskip(SKIP_1) | instid1(VALU_DEP_1)
	v_rcp_f64_e32 v[36:37], v[32:33]
	v_add_f64_e32 v[42:43], -1.0, v[32:33]
	v_add_f64_e64 v[30:31], v[30:31], -v[42:43]
	s_delay_alu instid0(TRANS32_DEP_1) | instskip(NEXT) | instid1(VALU_DEP_1)
	v_fma_f64 v[38:39], -v[32:33], v[36:37], 1.0
	v_fmac_f64_e32 v[36:37], v[38:39], v[36:37]
	s_delay_alu instid0(VALU_DEP_1) | instskip(NEXT) | instid1(VALU_DEP_1)
	v_fma_f64 v[38:39], -v[32:33], v[36:37], 1.0
	v_fmac_f64_e32 v[36:37], v[38:39], v[36:37]
	s_delay_alu instid0(VALU_DEP_1) | instskip(NEXT) | instid1(VALU_DEP_1)
	v_mul_f64_e32 v[38:39], v[40:41], v[36:37]
	v_mul_f64_e32 v[44:45], v[32:33], v[38:39]
	s_delay_alu instid0(VALU_DEP_1) | instskip(NEXT) | instid1(VALU_DEP_1)
	v_fma_f64 v[32:33], v[38:39], v[32:33], -v[44:45]
	v_fmac_f64_e32 v[32:33], v[38:39], v[30:31]
	s_delay_alu instid0(VALU_DEP_1) | instskip(NEXT) | instid1(VALU_DEP_1)
	v_add_f64_e32 v[30:31], v[44:45], v[32:33]
	v_add_f64_e64 v[42:43], v[40:41], -v[30:31]
	v_add_f64_e64 v[44:45], v[30:31], -v[44:45]
	s_delay_alu instid0(VALU_DEP_2) | instskip(NEXT) | instid1(VALU_DEP_2)
	v_add_f64_e64 v[40:41], v[40:41], -v[42:43]
	v_add_f64_e64 v[32:33], v[44:45], -v[32:33]
	s_delay_alu instid0(VALU_DEP_2) | instskip(SKIP_1) | instid1(VALU_DEP_2)
	v_add_f64_e64 v[30:31], v[40:41], -v[30:31]
	v_max_num_f64_e64 v[40:41], |v[6:7]|, |v[6:7]|
	v_add_f64_e32 v[30:31], v[32:33], v[30:31]
	v_max_num_f64_e64 v[32:33], |v[8:9]|, |v[8:9]|
	s_delay_alu instid0(VALU_DEP_2) | instskip(NEXT) | instid1(VALU_DEP_1)
	v_add_f64_e32 v[30:31], v[42:43], v[30:31]
	v_mul_f64_e32 v[30:31], v[36:37], v[30:31]
	s_delay_alu instid0(VALU_DEP_3) | instskip(SKIP_1) | instid1(VALU_DEP_3)
	v_max_num_f64_e32 v[36:37], v[40:41], v[32:33]
	v_min_num_f64_e32 v[32:33], v[40:41], v[32:33]
	v_add_f64_e32 v[40:41], v[38:39], v[30:31]
	s_delay_alu instid0(VALU_DEP_2) | instskip(NEXT) | instid1(VALU_DEP_2)
	v_div_scale_f64 v[42:43], null, v[36:37], v[36:37], v[32:33]
	v_mul_f64_e32 v[44:45], v[40:41], v[40:41]
	v_add_f64_e64 v[38:39], v[40:41], -v[38:39]
	s_delay_alu instid0(VALU_DEP_3) | instskip(NEXT) | instid1(VALU_DEP_2)
	v_rcp_f64_e32 v[46:47], v[42:43]
	v_fmamk_f64 v[48:49], v[44:45], 0x3fc3ab76bf559e2b, v[22:23]
	v_mul_f64_e32 v[50:51], v[40:41], v[44:45]
	s_delay_alu instid0(VALU_DEP_3) | instskip(NEXT) | instid1(VALU_DEP_3)
	v_add_f64_e64 v[30:31], v[30:31], -v[38:39]
	v_fmaak_f64 v[48:49], v[44:45], v[48:49], 0x3fc7474dd7f4df2e
	s_delay_alu instid0(TRANS32_DEP_1) | instskip(NEXT) | instid1(VALU_DEP_2)
	v_fma_f64 v[52:53], -v[42:43], v[46:47], 1.0
	v_fmaak_f64 v[48:49], v[44:45], v[48:49], 0x3fcc71c016291751
	s_delay_alu instid0(VALU_DEP_1) | instskip(NEXT) | instid1(VALU_DEP_1)
	v_fmaak_f64 v[48:49], v[44:45], v[48:49], 0x3fd249249b27acf1
	v_fmaak_f64 v[48:49], v[44:45], v[48:49], 0x3fd99999998ef7b6
	v_ldexp_f64 v[30:31], v[30:31], 1
	s_delay_alu instid0(VALU_DEP_2) | instskip(SKIP_2) | instid1(VALU_DEP_3)
	v_fmaak_f64 v[44:45], v[44:45], v[48:49], 0x3fe5555555555780
	v_ldexp_f64 v[48:49], v[40:41], 1
	v_fmac_f64_e32 v[46:47], v[46:47], v[52:53]
	v_mul_f64_e32 v[44:45], v[50:51], v[44:45]
	v_cvt_f64_i32_e32 v[50:51], v1
	v_ashrrev_i32_e32 v1, 31, v7
	s_delay_alu instid0(VALU_DEP_4) | instskip(NEXT) | instid1(VALU_DEP_4)
	v_fma_f64 v[52:53], -v[42:43], v[46:47], 1.0
	v_add_f64_e32 v[40:41], v[48:49], v[44:45]
	s_delay_alu instid0(VALU_DEP_4) | instskip(NEXT) | instid1(VALU_DEP_3)
	v_mul_f64_e32 v[54:55], 0x3fe62e42fefa39ef, v[50:51]
	v_fmac_f64_e32 v[46:47], v[46:47], v[52:53]
	s_delay_alu instid0(VALU_DEP_3) | instskip(SKIP_1) | instid1(VALU_DEP_4)
	v_add_f64_e64 v[38:39], v[40:41], -v[48:49]
	v_div_scale_f64 v[48:49], vcc_lo, v[32:33], v[36:37], v[32:33]
	v_fma_f64 v[52:53], v[50:51], s[28:29], -v[54:55]
	s_delay_alu instid0(VALU_DEP_3) | instskip(NEXT) | instid1(VALU_DEP_3)
	v_add_f64_e64 v[38:39], v[44:45], -v[38:39]
	v_mul_f64_e32 v[44:45], v[48:49], v[46:47]
	s_delay_alu instid0(VALU_DEP_3) | instskip(NEXT) | instid1(VALU_DEP_3)
	v_fmac_f64_e32 v[52:53], 0x3c7abc9e3b39803f, v[50:51]
	v_add_f64_e32 v[30:31], v[30:31], v[38:39]
	s_delay_alu instid0(VALU_DEP_3) | instskip(NEXT) | instid1(VALU_DEP_3)
	v_fma_f64 v[38:39], -v[42:43], v[44:45], v[48:49]
	v_add_f64_e32 v[42:43], v[54:55], v[52:53]
	s_delay_alu instid0(VALU_DEP_3) | instskip(NEXT) | instid1(VALU_DEP_3)
	v_add_f64_e32 v[48:49], v[40:41], v[30:31]
	v_div_fmas_f64 v[38:39], v[38:39], v[46:47], v[44:45]
	v_cmp_class_f64_e64 vcc_lo, v[34:35], 0x204
	s_delay_alu instid0(VALU_DEP_4) | instskip(NEXT) | instid1(VALU_DEP_4)
	v_add_f64_e64 v[46:47], v[42:43], -v[54:55]
	v_add_f64_e32 v[44:45], v[42:43], v[48:49]
	s_delay_alu instid0(VALU_DEP_4) | instskip(SKIP_1) | instid1(VALU_DEP_4)
	v_div_fixup_f64 v[32:33], v[38:39], v[36:37], v[32:33]
	v_add_f64_e64 v[40:41], v[48:49], -v[40:41]
	v_add_f64_e64 v[46:47], v[52:53], -v[46:47]
	s_delay_alu instid0(VALU_DEP_4) | instskip(NEXT) | instid1(VALU_DEP_4)
	v_add_f64_e64 v[36:37], v[44:45], -v[42:43]
	v_mul_f64_e32 v[38:39], v[32:33], v[32:33]
	s_delay_alu instid0(VALU_DEP_4) | instskip(NEXT) | instid1(VALU_DEP_3)
	v_add_f64_e64 v[30:31], v[30:31], -v[40:41]
	v_add_f64_e64 v[50:51], v[44:45], -v[36:37]
	s_delay_alu instid0(VALU_DEP_3) | instskip(SKIP_1) | instid1(VALU_DEP_4)
	v_fmamk_f64 v[54:55], v[38:39], 0x3eeba404b5e68a13, v[24:25]
	v_add_f64_e64 v[36:37], v[48:49], -v[36:37]
	v_add_f64_e32 v[48:49], v[46:47], v[30:31]
	s_delay_alu instid0(VALU_DEP_3) | instskip(SKIP_1) | instid1(VALU_DEP_2)
	v_fmaak_f64 v[54:55], v[38:39], v[54:55], 0x3f4b2bb069efb384
	v_add_f64_e64 v[40:41], v[42:43], -v[50:51]
	v_fmaak_f64 v[42:43], v[38:39], v[54:55], 0xbf67952daf56de9b
	s_delay_alu instid0(VALU_DEP_1) | instskip(NEXT) | instid1(VALU_DEP_1)
	v_fmaak_f64 v[42:43], v[38:39], v[42:43], 0x3f7d6d43a595c56f
	v_fmaak_f64 v[42:43], v[38:39], v[42:43], 0xbf8c6ea4a57d9582
	s_delay_alu instid0(VALU_DEP_1) | instskip(SKIP_1) | instid1(VALU_DEP_2)
	v_fmaak_f64 v[42:43], v[38:39], v[42:43], 0x3f967e295f08b19f
	v_add_f64_e32 v[36:37], v[36:37], v[40:41]
	v_fmaak_f64 v[40:41], v[38:39], v[42:43], 0xbf9e9ae6fc27006a
	v_add_f64_e64 v[42:43], v[48:49], -v[46:47]
	s_delay_alu instid0(VALU_DEP_2) | instskip(NEXT) | instid1(VALU_DEP_1)
	v_fmaak_f64 v[40:41], v[38:39], v[40:41], 0x3fa2c15b5711927a
	v_fmaak_f64 v[40:41], v[38:39], v[40:41], 0xbfa59976e82d3ff0
	s_delay_alu instid0(VALU_DEP_1) | instskip(NEXT) | instid1(VALU_DEP_1)
	v_fmaak_f64 v[40:41], v[38:39], v[40:41], 0x3fa82d5d6ef28734
	v_fmaak_f64 v[40:41], v[38:39], v[40:41], 0xbfaae5ce6a214619
	v_add_f64_e32 v[36:37], v[48:49], v[36:37]
	v_add_f64_e64 v[48:49], v[48:49], -v[42:43]
	v_add_f64_e64 v[30:31], v[30:31], -v[42:43]
	s_delay_alu instid0(VALU_DEP_4) | instskip(NEXT) | instid1(VALU_DEP_1)
	v_fmaak_f64 v[40:41], v[38:39], v[40:41], 0x3fae1bb48427b883
	v_fmaak_f64 v[40:41], v[38:39], v[40:41], 0xbfb110e48b207f05
	s_delay_alu instid0(VALU_DEP_1) | instskip(NEXT) | instid1(VALU_DEP_1)
	v_fmaak_f64 v[40:41], v[38:39], v[40:41], 0x3fb3b13657b87036
	v_fmaak_f64 v[40:41], v[38:39], v[40:41], 0xbfb745d119378e4f
	s_delay_alu instid0(VALU_DEP_1) | instskip(SKIP_1) | instid1(VALU_DEP_2)
	v_fmaak_f64 v[40:41], v[38:39], v[40:41], 0x3fbc71c717e1913c
	v_add_f64_e32 v[50:51], v[44:45], v[36:37]
	v_fmaak_f64 v[40:41], v[38:39], v[40:41], 0xbfc2492492376b7d
	s_delay_alu instid0(VALU_DEP_1) | instskip(NEXT) | instid1(VALU_DEP_1)
	v_fmaak_f64 v[40:41], v[38:39], v[40:41], 0x3fc99999999952cc
	v_fmaak_f64 v[40:41], v[38:39], v[40:41], 0xbfd5555555555523
	s_delay_alu instid0(VALU_DEP_1) | instskip(SKIP_2) | instid1(VALU_DEP_3)
	v_mul_f64_e32 v[38:39], v[38:39], v[40:41]
	v_add_f64_e64 v[40:41], v[46:47], -v[48:49]
	v_add_f64_e64 v[42:43], v[50:51], -v[44:45]
	v_fmac_f64_e32 v[32:33], v[32:33], v[38:39]
	s_delay_alu instid0(VALU_DEP_3) | instskip(NEXT) | instid1(VALU_DEP_3)
	v_add_f64_e32 v[30:31], v[30:31], v[40:41]
	v_add_f64_e64 v[36:37], v[36:37], -v[42:43]
	s_delay_alu instid0(VALU_DEP_3) | instskip(NEXT) | instid1(VALU_DEP_1)
	v_add_f64_e64 v[38:39], -v[32:33], s[30:31]
	v_dual_add_f64 v[30:31], v[30:31], v[36:37] :: v_dual_cndmask_b32 v33, v33, v39, s2
	s_delay_alu instid0(VALU_DEP_2)
	v_cndmask_b32_e64 v32, v32, v38, s2
	v_cmp_gt_i32_e64 s2, 0, v7
	v_and_b32_e32 v38, 0x54442d18, v1
	v_and_b32_e32 v1, 0x400921fb, v1
	v_add_f64_e32 v[30:31], v[50:51], v[30:31]
	v_add_f64_e64 v[36:37], -v[32:33], s[34:35]
	v_cndmask_b32_e64 v21, 0x54442d18, v62, s2
	s_delay_alu instid0(VALU_DEP_3) | instskip(SKIP_1) | instid1(VALU_DEP_4)
	v_dual_cndmask_b32 v31, v31, v35 :: v_dual_cndmask_b32 v30, v30, v34
	v_cmp_eq_f64_e32 vcc_lo, 0, v[8:9]
	v_cndmask_b32_e64 v32, v32, v36, s2
	v_cndmask_b32_e64 v36, 0x3fe921fb, v63, s2
	s_delay_alu instid0(VALU_DEP_4) | instskip(SKIP_1) | instid1(VALU_DEP_3)
	v_dual_add_f64 v[30:31], 1.0, v[30:31] :: v_dual_cndmask_b32 v33, v33, v37, s2
	v_cmp_nge_f64_e64 s2, 0, v[34:35]
	v_bfi_b32 v36, 0x7fffffff, v36, v9
	s_delay_alu instid0(VALU_DEP_3) | instskip(SKIP_1) | instid1(VALU_DEP_4)
	v_dual_cndmask_b32 v32, v32, v38 :: v_dual_cndmask_b32 v1, v33, v1
	v_cmp_ngt_f64_e32 vcc_lo, 0, v[34:35]
	v_cndmask_b32_e64 v30, 0, v30, s2
	v_cmp_neq_f64_e64 s2, 0, v[34:35]
	v_cndmask_b32_e32 v31, 0x7ff80000, v31, vcc_lo
	s_and_b32 vcc_lo, s5, s3
	v_dual_cndmask_b32 v33, v1, v36 :: v_dual_cndmask_b32 v32, v32, v21
	s_delay_alu instid0(VALU_DEP_2)
	v_cndmask_b32_e64 v31, 0xfff00000, v31, s2
.LBB179_32:                             ;   in Loop: Header=BB179_5 Depth=1
	s_or_b32 exec_lo, exec_lo, s4
.LBB179_33:                             ;   in Loop: Header=BB179_5 Depth=1
	s_and_not1_saveexec_b32 s2, s46
	s_cbranch_execz .LBB179_39
; %bb.34:                               ;   in Loop: Header=BB179_5 Depth=1
	v_cmp_ngt_f64_e64 s3, 0x20000000, |v[6:7]|
	v_cmp_ngt_f64_e64 s4, 0x20000000, |v[8:9]|
                                        ; implicit-def: $vgpr34_vgpr35
	s_or_b32 s3, s3, s4
	s_delay_alu instid0(SALU_CYCLE_1) | instskip(NEXT) | instid1(SALU_CYCLE_1)
	s_and_saveexec_b32 s4, s3
	s_xor_b32 s3, exec_lo, s4
	s_cbranch_execz .LBB179_36
; %bb.35:                               ;   in Loop: Header=BB179_5 Depth=1
	v_mul_f64_e32 v[34:35], v[8:9], v[8:9]
	s_delay_alu instid0(VALU_DEP_1)
	v_fmac_f64_e32 v[34:35], v[6:7], v[6:7]
.LBB179_36:                             ;   in Loop: Header=BB179_5 Depth=1
	s_and_not1_saveexec_b32 s3, s3
	s_cbranch_execz .LBB179_38
; %bb.37:                               ;   in Loop: Header=BB179_5 Depth=1
	v_mul_f64_e32 v[30:31], 4.0, v[8:9]
	v_mul_f64_e32 v[6:7], 4.0, v[6:7]
	s_delay_alu instid0(VALU_DEP_2) | instskip(NEXT) | instid1(VALU_DEP_1)
	v_mul_f64_e32 v[30:31], v[30:31], v[30:31]
	v_fmac_f64_e32 v[30:31], v[6:7], v[6:7]
	s_delay_alu instid0(VALU_DEP_1)
	v_ldexp_f64 v[34:35], v[30:31], -4
.LBB179_38:                             ;   in Loop: Header=BB179_5 Depth=1
	s_or_b32 exec_lo, exec_lo, s3
	s_delay_alu instid0(VALU_DEP_1) | instskip(NEXT) | instid1(VALU_DEP_1)
	v_frexp_mant_f64_e32 v[6:7], v[34:35]
	v_cmp_gt_f64_e32 vcc_lo, s[26:27], v[6:7]
	v_cndmask_b32_e64 v1, 0, 1, vcc_lo
	s_delay_alu instid0(VALU_DEP_1) | instskip(SKIP_1) | instid1(VALU_DEP_2)
	v_ldexp_f64 v[6:7], v[6:7], v1
	v_frexp_exp_i32_f64_e32 v1, v[34:35]
	v_add_f64_e32 v[30:31], 1.0, v[6:7]
	v_add_f64_e32 v[38:39], -1.0, v[6:7]
	s_delay_alu instid0(VALU_DEP_3) | instskip(SKIP_1) | instid1(VALU_DEP_4)
	v_subrev_co_ci_u32_e64 v1, null, 0, v1, vcc_lo
	v_cmp_class_f64_e64 vcc_lo, v[34:35], 0x204
	v_rcp_f64_e32 v[32:33], v[30:31]
	v_add_f64_e32 v[40:41], -1.0, v[30:31]
	s_delay_alu instid0(VALU_DEP_1) | instskip(NEXT) | instid1(TRANS32_DEP_1)
	v_add_f64_e64 v[6:7], v[6:7], -v[40:41]
	v_fma_f64 v[36:37], -v[30:31], v[32:33], 1.0
	s_delay_alu instid0(VALU_DEP_1) | instskip(NEXT) | instid1(VALU_DEP_1)
	v_fmac_f64_e32 v[32:33], v[36:37], v[32:33]
	v_fma_f64 v[36:37], -v[30:31], v[32:33], 1.0
	s_delay_alu instid0(VALU_DEP_1) | instskip(NEXT) | instid1(VALU_DEP_1)
	v_fmac_f64_e32 v[32:33], v[36:37], v[32:33]
	v_mul_f64_e32 v[36:37], v[38:39], v[32:33]
	s_delay_alu instid0(VALU_DEP_1) | instskip(NEXT) | instid1(VALU_DEP_1)
	v_mul_f64_e32 v[42:43], v[30:31], v[36:37]
	v_fma_f64 v[30:31], v[36:37], v[30:31], -v[42:43]
	s_delay_alu instid0(VALU_DEP_1) | instskip(NEXT) | instid1(VALU_DEP_1)
	v_fmac_f64_e32 v[30:31], v[36:37], v[6:7]
	v_add_f64_e32 v[6:7], v[42:43], v[30:31]
	s_delay_alu instid0(VALU_DEP_1) | instskip(SKIP_1) | instid1(VALU_DEP_2)
	v_add_f64_e64 v[40:41], v[38:39], -v[6:7]
	v_add_f64_e64 v[42:43], v[6:7], -v[42:43]
	;; [unrolled: 1-line block ×3, first 2 shown]
	s_delay_alu instid0(VALU_DEP_2) | instskip(NEXT) | instid1(VALU_DEP_2)
	v_add_f64_e64 v[30:31], v[42:43], -v[30:31]
	v_add_f64_e64 v[6:7], v[38:39], -v[6:7]
	s_delay_alu instid0(VALU_DEP_1) | instskip(NEXT) | instid1(VALU_DEP_1)
	v_add_f64_e32 v[6:7], v[30:31], v[6:7]
	v_add_f64_e32 v[6:7], v[40:41], v[6:7]
	s_delay_alu instid0(VALU_DEP_1) | instskip(NEXT) | instid1(VALU_DEP_1)
	v_mul_f64_e32 v[6:7], v[32:33], v[6:7]
	v_add_f64_e32 v[30:31], v[36:37], v[6:7]
	s_delay_alu instid0(VALU_DEP_1) | instskip(NEXT) | instid1(VALU_DEP_1)
	v_mul_f64_e32 v[32:33], v[30:31], v[30:31]
	v_fmamk_f64 v[38:39], v[32:33], 0x3fc3ab76bf559e2b, v[22:23]
	v_mul_f64_e32 v[40:41], v[30:31], v[32:33]
	s_delay_alu instid0(VALU_DEP_2) | instskip(NEXT) | instid1(VALU_DEP_1)
	v_fmaak_f64 v[38:39], v[32:33], v[38:39], 0x3fc7474dd7f4df2e
	v_fmaak_f64 v[38:39], v[32:33], v[38:39], 0x3fcc71c016291751
	s_delay_alu instid0(VALU_DEP_1) | instskip(NEXT) | instid1(VALU_DEP_1)
	v_fmaak_f64 v[38:39], v[32:33], v[38:39], 0x3fd249249b27acf1
	v_fmaak_f64 v[38:39], v[32:33], v[38:39], 0x3fd99999998ef7b6
	s_delay_alu instid0(VALU_DEP_1) | instskip(SKIP_2) | instid1(VALU_DEP_3)
	v_fmaak_f64 v[32:33], v[32:33], v[38:39], 0x3fe5555555555780
	v_ldexp_f64 v[38:39], v[30:31], 1
	v_add_f64_e64 v[30:31], v[30:31], -v[36:37]
	v_mul_f64_e32 v[32:33], v[40:41], v[32:33]
	v_cvt_f64_i32_e32 v[40:41], v1
	s_delay_alu instid0(VALU_DEP_3) | instskip(NEXT) | instid1(VALU_DEP_3)
	v_add_f64_e64 v[6:7], v[6:7], -v[30:31]
	v_add_f64_e32 v[36:37], v[38:39], v[32:33]
	s_delay_alu instid0(VALU_DEP_3) | instskip(NEXT) | instid1(VALU_DEP_3)
	v_mul_f64_e32 v[42:43], 0x3fe62e42fefa39ef, v[40:41]
	v_ldexp_f64 v[6:7], v[6:7], 1
	s_delay_alu instid0(VALU_DEP_3) | instskip(NEXT) | instid1(VALU_DEP_3)
	v_add_f64_e64 v[30:31], v[36:37], -v[38:39]
	v_fma_f64 v[38:39], v[40:41], s[28:29], -v[42:43]
	s_delay_alu instid0(VALU_DEP_2) | instskip(NEXT) | instid1(VALU_DEP_2)
	v_add_f64_e64 v[30:31], v[32:33], -v[30:31]
	v_fmac_f64_e32 v[38:39], 0x3c7abc9e3b39803f, v[40:41]
	s_delay_alu instid0(VALU_DEP_2) | instskip(NEXT) | instid1(VALU_DEP_2)
	v_add_f64_e32 v[6:7], v[6:7], v[30:31]
	v_add_f64_e32 v[30:31], v[42:43], v[38:39]
	s_delay_alu instid0(VALU_DEP_2) | instskip(NEXT) | instid1(VALU_DEP_2)
	v_add_f64_e32 v[32:33], v[36:37], v[6:7]
	v_add_f64_e64 v[42:43], v[30:31], -v[42:43]
	s_delay_alu instid0(VALU_DEP_2) | instskip(SKIP_1) | instid1(VALU_DEP_3)
	v_add_f64_e32 v[40:41], v[30:31], v[32:33]
	v_add_f64_e64 v[36:37], v[32:33], -v[36:37]
	v_add_f64_e64 v[38:39], v[38:39], -v[42:43]
	s_delay_alu instid0(VALU_DEP_3) | instskip(NEXT) | instid1(VALU_DEP_3)
	v_add_f64_e64 v[44:45], v[40:41], -v[30:31]
	v_add_f64_e64 v[6:7], v[6:7], -v[36:37]
	s_delay_alu instid0(VALU_DEP_2) | instskip(SKIP_1) | instid1(VALU_DEP_3)
	v_add_f64_e64 v[46:47], v[40:41], -v[44:45]
	v_add_f64_e64 v[32:33], v[32:33], -v[44:45]
	v_add_f64_e32 v[36:37], v[38:39], v[6:7]
	s_delay_alu instid0(VALU_DEP_3) | instskip(NEXT) | instid1(VALU_DEP_1)
	v_add_f64_e64 v[30:31], v[30:31], -v[46:47]
	v_add_f64_e32 v[30:31], v[32:33], v[30:31]
	s_delay_alu instid0(VALU_DEP_3) | instskip(NEXT) | instid1(VALU_DEP_2)
	v_add_f64_e64 v[32:33], v[36:37], -v[38:39]
	v_add_f64_e32 v[30:31], v[36:37], v[30:31]
	s_delay_alu instid0(VALU_DEP_2) | instskip(SKIP_1) | instid1(VALU_DEP_3)
	v_add_f64_e64 v[36:37], v[36:37], -v[32:33]
	v_add_f64_e64 v[6:7], v[6:7], -v[32:33]
	v_add_f64_e32 v[42:43], v[40:41], v[30:31]
	s_delay_alu instid0(VALU_DEP_3) | instskip(NEXT) | instid1(VALU_DEP_2)
	v_add_f64_e64 v[32:33], v[38:39], -v[36:37]
	v_add_f64_e64 v[36:37], v[42:43], -v[40:41]
	s_delay_alu instid0(VALU_DEP_2) | instskip(SKIP_1) | instid1(VALU_DEP_3)
	v_add_f64_e32 v[6:7], v[6:7], v[32:33]
	v_mov_b64_e32 v[32:33], 0x7ff8000000000000
	v_add_f64_e64 v[30:31], v[30:31], -v[36:37]
	s_delay_alu instid0(VALU_DEP_1) | instskip(NEXT) | instid1(VALU_DEP_1)
	v_add_f64_e32 v[6:7], v[6:7], v[30:31]
	v_add_f64_e32 v[6:7], v[42:43], v[6:7]
	s_delay_alu instid0(VALU_DEP_1) | instskip(SKIP_1) | instid1(VALU_DEP_2)
	v_dual_cndmask_b32 v1, v6, v34 :: v_dual_cndmask_b32 v6, v7, v35
	v_cmp_ngt_f64_e32 vcc_lo, 0, v[34:35]
	v_cndmask_b32_e32 v6, 0x7ff80000, v6, vcc_lo
	v_cmp_nge_f64_e32 vcc_lo, 0, v[34:35]
	s_delay_alu instid0(VALU_DEP_4) | instskip(SKIP_1) | instid1(VALU_DEP_4)
	v_cndmask_b32_e32 v30, 0, v1, vcc_lo
	v_cmp_neq_f64_e32 vcc_lo, 0, v[34:35]
	v_cndmask_b32_e32 v31, 0xfff00000, v6, vcc_lo
.LBB179_39:                             ;   in Loop: Header=BB179_5 Depth=1
	s_or_b32 exec_lo, exec_lo, s2
                                        ; implicit-def: $vgpr6_vgpr7
                                        ; implicit-def: $vgpr34_vgpr35
	s_delay_alu instid0(SALU_CYCLE_1)
	s_mov_b32 s2, exec_lo
	s_wait_loadcnt 0x2
	v_cmpx_o_f64_e32 v[10:11], v[12:13]
	s_xor_b32 s46, exec_lo, s2
	s_cbranch_execz .LBB179_67
; %bb.40:                               ;   in Loop: Header=BB179_5 Depth=1
	v_cmp_lt_f64_e64 s2, |v[10:11]|, |v[12:13]|
	v_and_b32_e32 v21, 0x7fffffff, v11
	v_and_b32_e32 v1, 0x7fffffff, v13
	v_mov_b32_e32 v8, v12
                                        ; implicit-def: $vgpr6_vgpr7
                                        ; implicit-def: $vgpr34_vgpr35
	s_mov_b32 s3, exec_lo
	s_delay_alu instid0(VALU_DEP_2) | instskip(NEXT) | instid1(VALU_DEP_1)
	v_dual_cndmask_b32 v39, v1, v21, s2 :: v_dual_cndmask_b32 v38, v12, v10, s2
	v_cmpx_nlt_f64_e32 s[20:21], v[38:39]
	s_xor_b32 s47, exec_lo, s3
	s_cbranch_execz .LBB179_64
; %bb.41:                               ;   in Loop: Header=BB179_5 Depth=1
	v_dual_cndmask_b32 v41, v21, v1, s2 :: v_dual_cndmask_b32 v40, v10, v8, s2
                                        ; implicit-def: $vgpr6_vgpr7
                                        ; implicit-def: $vgpr34_vgpr35
	s_mov_b32 s3, exec_lo
	s_delay_alu instid0(VALU_DEP_1)
	v_cmpx_neq_f64_e32 1.0, v[40:41]
	s_xor_b32 s48, exec_lo, s3
	s_cbranch_execz .LBB179_57
; %bb.42:                               ;   in Loop: Header=BB179_5 Depth=1
	v_max_num_f64_e32 v[6:7], v[38:39], v[38:39]
	v_max_num_f64_e32 v[34:35], v[40:41], v[40:41]
	s_delay_alu instid0(VALU_DEP_1) | instskip(SKIP_1) | instid1(VALU_DEP_2)
	v_min_num_f64_e32 v[36:37], v[34:35], v[6:7]
	v_max_num_f64_e32 v[6:7], v[34:35], v[6:7]
                                        ; implicit-def: $vgpr34_vgpr35
	v_cmp_ngt_f64_e32 vcc_lo, s[22:23], v[36:37]
	s_delay_alu instid0(VALU_DEP_2) | instskip(SKIP_1) | instid1(SALU_CYCLE_1)
	v_cmp_nlt_f64_e64 s3, s[24:25], v[6:7]
                                        ; implicit-def: $vgpr6_vgpr7
	s_and_b32 s3, s3, vcc_lo
	s_and_saveexec_b32 s4, s3
	s_delay_alu instid0(SALU_CYCLE_1)
	s_xor_b32 s49, exec_lo, s4
	s_cbranch_execz .LBB179_54
; %bb.43:                               ;   in Loop: Header=BB179_5 Depth=1
                                        ; implicit-def: $vgpr6_vgpr7
                                        ; implicit-def: $vgpr34_vgpr35
	s_mov_b32 s3, exec_lo
	v_cmpx_le_f64_e32 1.0, v[40:41]
	s_xor_b32 s6, exec_lo, s3
	s_cbranch_execz .LBB179_45
; %bb.44:                               ;   in Loop: Header=BB179_5 Depth=1
	v_add_f64_e32 v[6:7], -1.0, v[40:41]
	v_add_f64_e32 v[34:35], 1.0, v[40:41]
	v_cmp_eq_f64_e64 s3, 0, v[12:13]
	v_cmp_class_f64_e64 s7, v[12:13], 0x204
	v_cmp_class_f64_e64 s8, v[10:11], 0x204
	s_delay_alu instid0(VALU_DEP_4) | instskip(NEXT) | instid1(VALU_DEP_1)
	v_mul_f64_e32 v[36:37], v[6:7], v[34:35]
	v_fmac_f64_e32 v[36:37], v[38:39], v[38:39]
	s_delay_alu instid0(VALU_DEP_1) | instskip(SKIP_2) | instid1(VALU_DEP_3)
	v_add_f64_e32 v[6:7], 1.0, v[36:37]
	v_cmp_nge_f64_e64 s4, -1.0, v[36:37]
	v_cmp_neq_f64_e64 s5, 0x7ff00000, v[36:37]
	v_frexp_mant_f64_e32 v[34:35], v[6:7]
	v_frexp_exp_i32_f64_e32 v1, v[6:7]
	v_add_f64_e32 v[38:39], -1.0, v[6:7]
	s_delay_alu instid0(VALU_DEP_3) | instskip(NEXT) | instid1(VALU_DEP_2)
	v_cmp_gt_f64_e32 vcc_lo, s[26:27], v[34:35]
	v_add_f64_e64 v[34:35], v[38:39], -v[6:7]
	v_add_f64_e64 v[38:39], v[36:37], -v[38:39]
	v_subrev_co_ci_u32_e64 v1, null, 0, v1, vcc_lo
	s_delay_alu instid0(VALU_DEP_1) | instskip(NEXT) | instid1(VALU_DEP_1)
	v_dual_add_f64 v[34:35], 1.0, v[34:35] :: v_dual_sub_nc_u32 v8, 0, v1
	v_ldexp_f64 v[6:7], v[6:7], v8
	s_delay_alu instid0(VALU_DEP_2) | instskip(NEXT) | instid1(VALU_DEP_2)
	v_add_f64_e32 v[34:35], v[38:39], v[34:35]
	v_add_f64_e32 v[40:41], 1.0, v[6:7]
	v_add_f64_e32 v[46:47], -1.0, v[6:7]
	s_delay_alu instid0(VALU_DEP_3) | instskip(NEXT) | instid1(VALU_DEP_3)
	v_ldexp_f64 v[34:35], v[34:35], v8
	v_add_f64_e32 v[38:39], -1.0, v[40:41]
	s_delay_alu instid0(VALU_DEP_3) | instskip(NEXT) | instid1(VALU_DEP_2)
	v_add_f64_e32 v[48:49], 1.0, v[46:47]
	v_add_f64_e64 v[38:39], v[6:7], -v[38:39]
	s_delay_alu instid0(VALU_DEP_2) | instskip(NEXT) | instid1(VALU_DEP_2)
	v_add_f64_e64 v[6:7], v[6:7], -v[48:49]
	v_add_f64_e32 v[38:39], v[34:35], v[38:39]
	s_delay_alu instid0(VALU_DEP_2) | instskip(NEXT) | instid1(VALU_DEP_2)
	v_add_f64_e32 v[6:7], v[34:35], v[6:7]
	v_add_f64_e32 v[42:43], v[40:41], v[38:39]
	s_delay_alu instid0(VALU_DEP_2) | instskip(NEXT) | instid1(VALU_DEP_2)
	v_add_f64_e32 v[48:49], v[46:47], v[6:7]
	v_rcp_f64_e32 v[44:45], v[42:43]
	v_add_f64_e64 v[40:41], v[42:43], -v[40:41]
	s_delay_alu instid0(VALU_DEP_2) | instskip(NEXT) | instid1(VALU_DEP_2)
	v_add_f64_e64 v[46:47], v[48:49], -v[46:47]
	v_add_f64_e64 v[38:39], v[38:39], -v[40:41]
	s_delay_alu instid0(VALU_DEP_2) | instskip(NEXT) | instid1(TRANS32_DEP_1)
	v_add_f64_e64 v[6:7], v[6:7], -v[46:47]
	v_fma_f64 v[50:51], -v[42:43], v[44:45], 1.0
	s_delay_alu instid0(VALU_DEP_1) | instskip(NEXT) | instid1(VALU_DEP_1)
	v_fmac_f64_e32 v[44:45], v[50:51], v[44:45]
	v_fma_f64 v[34:35], -v[42:43], v[44:45], 1.0
	s_delay_alu instid0(VALU_DEP_1) | instskip(NEXT) | instid1(VALU_DEP_1)
	v_fmac_f64_e32 v[44:45], v[34:35], v[44:45]
	v_mul_f64_e32 v[34:35], v[48:49], v[44:45]
	s_delay_alu instid0(VALU_DEP_1) | instskip(NEXT) | instid1(VALU_DEP_1)
	v_mul_f64_e32 v[50:51], v[42:43], v[34:35]
	v_fma_f64 v[40:41], v[34:35], v[42:43], -v[50:51]
	s_delay_alu instid0(VALU_DEP_1) | instskip(NEXT) | instid1(VALU_DEP_1)
	v_fmac_f64_e32 v[40:41], v[34:35], v[38:39]
	v_add_f64_e32 v[52:53], v[50:51], v[40:41]
	s_delay_alu instid0(VALU_DEP_1) | instskip(SKIP_1) | instid1(VALU_DEP_2)
	v_add_f64_e64 v[54:55], v[48:49], -v[52:53]
	v_add_f64_e64 v[46:47], v[52:53], -v[50:51]
	;; [unrolled: 1-line block ×3, first 2 shown]
	s_delay_alu instid0(VALU_DEP_2) | instskip(NEXT) | instid1(VALU_DEP_2)
	v_add_f64_e64 v[40:41], v[46:47], -v[40:41]
	v_add_f64_e64 v[48:49], v[48:49], -v[52:53]
	s_delay_alu instid0(VALU_DEP_1) | instskip(NEXT) | instid1(VALU_DEP_1)
	v_add_f64_e32 v[6:7], v[6:7], v[48:49]
	v_add_f64_e32 v[6:7], v[40:41], v[6:7]
	s_delay_alu instid0(VALU_DEP_1) | instskip(NEXT) | instid1(VALU_DEP_1)
	v_add_f64_e32 v[40:41], v[54:55], v[6:7]
	v_mul_f64_e32 v[46:47], v[44:45], v[40:41]
	v_add_f64_e64 v[52:53], v[54:55], -v[40:41]
	s_delay_alu instid0(VALU_DEP_2) | instskip(NEXT) | instid1(VALU_DEP_2)
	v_mul_f64_e32 v[48:49], v[42:43], v[46:47]
	v_add_f64_e32 v[6:7], v[6:7], v[52:53]
	s_delay_alu instid0(VALU_DEP_2) | instskip(NEXT) | instid1(VALU_DEP_1)
	v_fma_f64 v[42:43], v[46:47], v[42:43], -v[48:49]
	v_fmac_f64_e32 v[42:43], v[46:47], v[38:39]
	s_delay_alu instid0(VALU_DEP_1) | instskip(NEXT) | instid1(VALU_DEP_1)
	v_add_f64_e32 v[38:39], v[48:49], v[42:43]
	v_add_f64_e64 v[50:51], v[40:41], -v[38:39]
	v_add_f64_e64 v[48:49], v[38:39], -v[48:49]
	s_delay_alu instid0(VALU_DEP_2) | instskip(NEXT) | instid1(VALU_DEP_1)
	v_add_f64_e64 v[40:41], v[40:41], -v[50:51]
	v_add_f64_e64 v[38:39], v[40:41], -v[38:39]
	s_delay_alu instid0(VALU_DEP_3) | instskip(SKIP_1) | instid1(VALU_DEP_3)
	v_add_f64_e64 v[40:41], v[48:49], -v[42:43]
	v_max_num_f64_e64 v[42:43], |v[10:11]|, |v[10:11]|
	v_add_f64_e32 v[6:7], v[6:7], v[38:39]
	v_add_f64_e32 v[38:39], v[34:35], v[46:47]
	s_delay_alu instid0(VALU_DEP_2) | instskip(NEXT) | instid1(VALU_DEP_2)
	v_add_f64_e32 v[6:7], v[40:41], v[6:7]
	v_add_f64_e64 v[34:35], v[38:39], -v[34:35]
	v_max_num_f64_e64 v[40:41], |v[12:13]|, |v[12:13]|
	s_delay_alu instid0(VALU_DEP_3) | instskip(NEXT) | instid1(VALU_DEP_3)
	v_add_f64_e32 v[6:7], v[50:51], v[6:7]
	v_add_f64_e64 v[34:35], v[46:47], -v[34:35]
	s_delay_alu instid0(VALU_DEP_2) | instskip(NEXT) | instid1(VALU_DEP_1)
	v_mul_f64_e32 v[6:7], v[44:45], v[6:7]
	v_add_f64_e32 v[6:7], v[34:35], v[6:7]
	v_max_num_f64_e32 v[34:35], v[42:43], v[40:41]
	v_min_num_f64_e32 v[40:41], v[42:43], v[40:41]
	s_delay_alu instid0(VALU_DEP_3) | instskip(NEXT) | instid1(VALU_DEP_2)
	v_add_f64_e32 v[42:43], v[38:39], v[6:7]
	v_div_scale_f64 v[44:45], null, v[34:35], v[34:35], v[40:41]
	s_delay_alu instid0(VALU_DEP_2) | instskip(SKIP_1) | instid1(VALU_DEP_3)
	v_mul_f64_e32 v[46:47], v[42:43], v[42:43]
	v_add_f64_e64 v[38:39], v[42:43], -v[38:39]
	v_rcp_f64_e32 v[48:49], v[44:45]
	s_delay_alu instid0(VALU_DEP_2) | instskip(SKIP_1) | instid1(VALU_DEP_3)
	v_fmamk_f64 v[50:51], v[46:47], 0x3fc3ab76bf559e2b, v[22:23]
	v_mul_f64_e32 v[52:53], v[42:43], v[46:47]
	v_add_f64_e64 v[6:7], v[6:7], -v[38:39]
	s_delay_alu instid0(VALU_DEP_3) | instskip(NEXT) | instid1(TRANS32_DEP_1)
	v_fmaak_f64 v[50:51], v[46:47], v[50:51], 0x3fc7474dd7f4df2e
	v_fma_f64 v[54:55], -v[44:45], v[48:49], 1.0
	s_delay_alu instid0(VALU_DEP_2) | instskip(NEXT) | instid1(VALU_DEP_1)
	v_fmaak_f64 v[50:51], v[46:47], v[50:51], 0x3fcc71c016291751
	v_fmaak_f64 v[50:51], v[46:47], v[50:51], 0x3fd249249b27acf1
	s_delay_alu instid0(VALU_DEP_1) | instskip(SKIP_1) | instid1(VALU_DEP_2)
	v_fmaak_f64 v[50:51], v[46:47], v[50:51], 0x3fd99999998ef7b6
	v_ldexp_f64 v[6:7], v[6:7], 1
	v_fmaak_f64 v[46:47], v[46:47], v[50:51], 0x3fe5555555555780
	v_ldexp_f64 v[50:51], v[42:43], 1
	v_fmac_f64_e32 v[48:49], v[48:49], v[54:55]
	s_delay_alu instid0(VALU_DEP_3) | instskip(SKIP_2) | instid1(VALU_DEP_1)
	v_mul_f64_e32 v[46:47], v[52:53], v[46:47]
	v_cvt_f64_i32_e32 v[52:53], v1
	v_ashrrev_i32_e32 v1, 31, v11
	v_and_b32_e32 v21, 0x54442d18, v1
	v_and_b32_e32 v1, 0x400921fb, v1
	v_fma_f64 v[54:55], -v[44:45], v[48:49], 1.0
	v_add_f64_e32 v[42:43], v[50:51], v[46:47]
	v_mul_f64_e32 v[56:57], 0x3fe62e42fefa39ef, v[52:53]
	s_delay_alu instid0(VALU_DEP_3) | instskip(NEXT) | instid1(VALU_DEP_3)
	v_fmac_f64_e32 v[48:49], v[48:49], v[54:55]
	v_add_f64_e64 v[38:39], v[42:43], -v[50:51]
	v_div_scale_f64 v[50:51], vcc_lo, v[40:41], v[34:35], v[40:41]
	s_delay_alu instid0(VALU_DEP_4) | instskip(NEXT) | instid1(VALU_DEP_3)
	v_fma_f64 v[54:55], v[52:53], s[28:29], -v[56:57]
	v_add_f64_e64 v[38:39], v[46:47], -v[38:39]
	s_delay_alu instid0(VALU_DEP_3) | instskip(NEXT) | instid1(VALU_DEP_3)
	v_mul_f64_e32 v[46:47], v[50:51], v[48:49]
	v_fmac_f64_e32 v[54:55], 0x3c7abc9e3b39803f, v[52:53]
	s_delay_alu instid0(VALU_DEP_3) | instskip(NEXT) | instid1(VALU_DEP_3)
	v_add_f64_e32 v[6:7], v[6:7], v[38:39]
	v_fma_f64 v[38:39], -v[44:45], v[46:47], v[50:51]
	s_delay_alu instid0(VALU_DEP_3) | instskip(NEXT) | instid1(VALU_DEP_3)
	v_add_f64_e32 v[44:45], v[56:57], v[54:55]
	v_add_f64_e32 v[50:51], v[42:43], v[6:7]
	s_delay_alu instid0(VALU_DEP_3) | instskip(SKIP_1) | instid1(VALU_DEP_4)
	v_div_fmas_f64 v[38:39], v[38:39], v[48:49], v[46:47]
	v_cmp_gt_i32_e32 vcc_lo, 0, v11
	v_add_f64_e64 v[48:49], v[44:45], -v[56:57]
	v_cndmask_b32_e32 v8, 0x54442d18, v62, vcc_lo
	v_add_f64_e32 v[46:47], v[44:45], v[50:51]
	v_div_fixup_f64 v[34:35], v[38:39], v[34:35], v[40:41]
	v_add_f64_e64 v[42:43], v[50:51], -v[42:43]
	v_add_f64_e64 v[48:49], v[54:55], -v[48:49]
	s_delay_alu instid0(VALU_DEP_4) | instskip(NEXT) | instid1(VALU_DEP_4)
	v_add_f64_e64 v[38:39], v[46:47], -v[44:45]
	v_mul_f64_e32 v[40:41], v[34:35], v[34:35]
	s_delay_alu instid0(VALU_DEP_4) | instskip(NEXT) | instid1(VALU_DEP_3)
	v_add_f64_e64 v[6:7], v[6:7], -v[42:43]
	v_add_f64_e64 v[52:53], v[46:47], -v[38:39]
	s_delay_alu instid0(VALU_DEP_3) | instskip(SKIP_1) | instid1(VALU_DEP_4)
	v_fmamk_f64 v[56:57], v[40:41], 0x3eeba404b5e68a13, v[24:25]
	v_add_f64_e64 v[38:39], v[50:51], -v[38:39]
	v_add_f64_e32 v[50:51], v[48:49], v[6:7]
	s_delay_alu instid0(VALU_DEP_3) | instskip(SKIP_1) | instid1(VALU_DEP_2)
	v_fmaak_f64 v[56:57], v[40:41], v[56:57], 0x3f4b2bb069efb384
	v_add_f64_e64 v[42:43], v[44:45], -v[52:53]
	v_fmaak_f64 v[44:45], v[40:41], v[56:57], 0xbf67952daf56de9b
	s_delay_alu instid0(VALU_DEP_1) | instskip(NEXT) | instid1(VALU_DEP_1)
	v_fmaak_f64 v[44:45], v[40:41], v[44:45], 0x3f7d6d43a595c56f
	v_fmaak_f64 v[44:45], v[40:41], v[44:45], 0xbf8c6ea4a57d9582
	s_delay_alu instid0(VALU_DEP_1) | instskip(NEXT) | instid1(VALU_DEP_1)
	v_fmaak_f64 v[44:45], v[40:41], v[44:45], 0x3f967e295f08b19f
	v_fmaak_f64 v[44:45], v[40:41], v[44:45], 0xbf9e9ae6fc27006a
	v_add_f64_e32 v[38:39], v[38:39], v[42:43]
	s_delay_alu instid0(VALU_DEP_2) | instskip(SKIP_1) | instid1(VALU_DEP_2)
	v_fmaak_f64 v[42:43], v[40:41], v[44:45], 0x3fa2c15b5711927a
	v_add_f64_e64 v[44:45], v[50:51], -v[48:49]
	v_fmaak_f64 v[42:43], v[40:41], v[42:43], 0xbfa59976e82d3ff0
	s_delay_alu instid0(VALU_DEP_1) | instskip(NEXT) | instid1(VALU_DEP_1)
	v_fmaak_f64 v[42:43], v[40:41], v[42:43], 0x3fa82d5d6ef28734
	v_fmaak_f64 v[42:43], v[40:41], v[42:43], 0xbfaae5ce6a214619
	s_delay_alu instid0(VALU_DEP_1) | instskip(SKIP_3) | instid1(VALU_DEP_4)
	v_fmaak_f64 v[42:43], v[40:41], v[42:43], 0x3fae1bb48427b883
	v_add_f64_e32 v[38:39], v[50:51], v[38:39]
	v_add_f64_e64 v[50:51], v[50:51], -v[44:45]
	v_add_f64_e64 v[6:7], v[6:7], -v[44:45]
	v_fmaak_f64 v[42:43], v[40:41], v[42:43], 0xbfb110e48b207f05
	s_delay_alu instid0(VALU_DEP_1) | instskip(NEXT) | instid1(VALU_DEP_1)
	v_fmaak_f64 v[42:43], v[40:41], v[42:43], 0x3fb3b13657b87036
	v_fmaak_f64 v[42:43], v[40:41], v[42:43], 0xbfb745d119378e4f
	s_delay_alu instid0(VALU_DEP_1) | instskip(SKIP_1) | instid1(VALU_DEP_2)
	v_fmaak_f64 v[42:43], v[40:41], v[42:43], 0x3fbc71c717e1913c
	v_add_f64_e32 v[52:53], v[46:47], v[38:39]
	v_fmaak_f64 v[42:43], v[40:41], v[42:43], 0xbfc2492492376b7d
	s_delay_alu instid0(VALU_DEP_1) | instskip(NEXT) | instid1(VALU_DEP_1)
	v_fmaak_f64 v[42:43], v[40:41], v[42:43], 0x3fc99999999952cc
	v_fmaak_f64 v[42:43], v[40:41], v[42:43], 0xbfd5555555555523
	s_delay_alu instid0(VALU_DEP_1) | instskip(SKIP_2) | instid1(VALU_DEP_3)
	v_mul_f64_e32 v[40:41], v[40:41], v[42:43]
	v_add_f64_e64 v[42:43], v[48:49], -v[50:51]
	v_add_f64_e64 v[44:45], v[52:53], -v[46:47]
	v_fmac_f64_e32 v[34:35], v[34:35], v[40:41]
	s_delay_alu instid0(VALU_DEP_3) | instskip(NEXT) | instid1(VALU_DEP_3)
	v_add_f64_e32 v[6:7], v[6:7], v[42:43]
	v_add_f64_e64 v[38:39], v[38:39], -v[44:45]
	s_delay_alu instid0(VALU_DEP_3) | instskip(NEXT) | instid1(VALU_DEP_2)
	v_add_f64_e64 v[40:41], -v[34:35], s[30:31]
	v_add_f64_e32 v[6:7], v[6:7], v[38:39]
	s_delay_alu instid0(VALU_DEP_2) | instskip(NEXT) | instid1(VALU_DEP_1)
	v_dual_cndmask_b32 v35, v35, v41, s2 :: v_dual_cndmask_b32 v34, v34, v40, s2
                                        ; implicit-def: $vgpr40_vgpr41
	v_add_f64_e64 v[38:39], -v[34:35], s[34:35]
	s_delay_alu instid0(VALU_DEP_3) | instskip(NEXT) | instid1(VALU_DEP_2)
	v_add_f64_e32 v[6:7], v[52:53], v[6:7]
	v_dual_cndmask_b32 v34, v34, v38 :: v_dual_cndmask_b32 v35, v35, v39
	v_cndmask_b32_e32 v38, 0x3fe921fb, v63, vcc_lo
	s_delay_alu instid0(VALU_DEP_3) | instskip(SKIP_1) | instid1(VALU_DEP_4)
	v_mul_f64_e32 v[6:7], 0.5, v[6:7]
	v_cmp_ngt_f64_e32 vcc_lo, -1.0, v[36:37]
	v_cndmask_b32_e64 v21, v34, v21, s3
	v_cndmask_b32_e64 v1, v35, v1, s3
	s_and_b32 s3, s4, s5
	v_bfi_b32 v38, 0x7fffffff, v38, v13
	v_cndmask_b32_e64 v6, 0, v6, s3
	v_cmp_neq_f64_e64 s3, -1.0, v[36:37]
	v_cndmask_b32_e64 v7, 0x7ff00000, v7, s5
	s_delay_alu instid0(VALU_DEP_1) | instskip(SKIP_3) | instid1(VALU_DEP_3)
	v_cndmask_b32_e32 v7, 0x7ff80000, v7, vcc_lo
	s_and_b32 vcc_lo, s8, s7
	v_cndmask_b32_e32 v35, v1, v38, vcc_lo
	v_cndmask_b32_e32 v34, v21, v8, vcc_lo
                                        ; implicit-def: $vgpr38_vgpr39
	v_cndmask_b32_e64 v7, 0xfff00000, v7, s3
.LBB179_45:                             ;   in Loop: Header=BB179_5 Depth=1
	s_and_not1_saveexec_b32 s50, s6
	s_cbranch_execz .LBB179_53
; %bb.46:                               ;   in Loop: Header=BB179_5 Depth=1
	v_mul_f64_e32 v[36:37], v[38:39], v[38:39]
                                        ; implicit-def: $vgpr6_vgpr7
                                        ; implicit-def: $vgpr34_vgpr35
	s_mov_b32 s3, exec_lo
	s_delay_alu instid0(VALU_DEP_1) | instskip(NEXT) | instid1(VALU_DEP_1)
	v_fmac_f64_e32 v[36:37], v[40:41], v[40:41]
	v_cmpx_ge_f64_e32 s[36:37], v[36:37]
	s_xor_b32 s5, exec_lo, s3
	s_cbranch_execz .LBB179_48
; %bb.47:                               ;   in Loop: Header=BB179_5 Depth=1
	v_frexp_mant_f64_e32 v[6:7], v[36:37]
	v_cmp_neq_f64_e64 s4, 0, v[36:37]
	v_cmp_eq_f64_e64 s3, 0, v[12:13]
	v_cmp_class_f64_e64 s6, v[12:13], 0x204
	v_cmp_class_f64_e64 s7, v[10:11], 0x204
	v_cmp_gt_f64_e32 vcc_lo, s[26:27], v[6:7]
	v_cndmask_b32_e64 v1, 0, 1, vcc_lo
	s_delay_alu instid0(VALU_DEP_1) | instskip(SKIP_1) | instid1(VALU_DEP_2)
	v_ldexp_f64 v[6:7], v[6:7], v1
	v_frexp_exp_i32_f64_e32 v1, v[36:37]
	v_add_f64_e32 v[34:35], 1.0, v[6:7]
	v_add_f64_e32 v[42:43], -1.0, v[6:7]
	s_delay_alu instid0(VALU_DEP_3) | instskip(NEXT) | instid1(VALU_DEP_3)
	v_subrev_co_ci_u32_e64 v1, null, 0, v1, vcc_lo
	v_rcp_f64_e32 v[38:39], v[34:35]
	v_add_f64_e32 v[44:45], -1.0, v[34:35]
	s_delay_alu instid0(VALU_DEP_1) | instskip(NEXT) | instid1(TRANS32_DEP_1)
	v_add_f64_e64 v[6:7], v[6:7], -v[44:45]
	v_fma_f64 v[40:41], -v[34:35], v[38:39], 1.0
	s_delay_alu instid0(VALU_DEP_1) | instskip(NEXT) | instid1(VALU_DEP_1)
	v_fmac_f64_e32 v[38:39], v[40:41], v[38:39]
	v_fma_f64 v[40:41], -v[34:35], v[38:39], 1.0
	s_delay_alu instid0(VALU_DEP_1) | instskip(NEXT) | instid1(VALU_DEP_1)
	v_fmac_f64_e32 v[38:39], v[40:41], v[38:39]
	v_mul_f64_e32 v[40:41], v[42:43], v[38:39]
	s_delay_alu instid0(VALU_DEP_1) | instskip(NEXT) | instid1(VALU_DEP_1)
	v_mul_f64_e32 v[46:47], v[34:35], v[40:41]
	v_fma_f64 v[34:35], v[40:41], v[34:35], -v[46:47]
	s_delay_alu instid0(VALU_DEP_1) | instskip(NEXT) | instid1(VALU_DEP_1)
	v_fmac_f64_e32 v[34:35], v[40:41], v[6:7]
	v_add_f64_e32 v[6:7], v[46:47], v[34:35]
	s_delay_alu instid0(VALU_DEP_1) | instskip(SKIP_1) | instid1(VALU_DEP_2)
	v_add_f64_e64 v[44:45], v[42:43], -v[6:7]
	v_add_f64_e64 v[46:47], v[6:7], -v[46:47]
	;; [unrolled: 1-line block ×3, first 2 shown]
	s_delay_alu instid0(VALU_DEP_2) | instskip(NEXT) | instid1(VALU_DEP_2)
	v_add_f64_e64 v[34:35], v[46:47], -v[34:35]
	v_add_f64_e64 v[6:7], v[42:43], -v[6:7]
	v_max_num_f64_e64 v[42:43], |v[10:11]|, |v[10:11]|
	s_delay_alu instid0(VALU_DEP_2) | instskip(SKIP_1) | instid1(VALU_DEP_2)
	v_add_f64_e32 v[6:7], v[34:35], v[6:7]
	v_max_num_f64_e64 v[34:35], |v[12:13]|, |v[12:13]|
	v_add_f64_e32 v[6:7], v[44:45], v[6:7]
	s_delay_alu instid0(VALU_DEP_1) | instskip(NEXT) | instid1(VALU_DEP_3)
	v_mul_f64_e32 v[6:7], v[38:39], v[6:7]
	v_max_num_f64_e32 v[38:39], v[42:43], v[34:35]
	v_min_num_f64_e32 v[34:35], v[42:43], v[34:35]
	s_delay_alu instid0(VALU_DEP_3) | instskip(NEXT) | instid1(VALU_DEP_2)
	v_add_f64_e32 v[42:43], v[40:41], v[6:7]
	v_div_scale_f64 v[44:45], null, v[38:39], v[38:39], v[34:35]
	s_delay_alu instid0(VALU_DEP_2) | instskip(SKIP_1) | instid1(VALU_DEP_3)
	v_mul_f64_e32 v[46:47], v[42:43], v[42:43]
	v_add_f64_e64 v[40:41], v[42:43], -v[40:41]
	v_rcp_f64_e32 v[48:49], v[44:45]
	s_delay_alu instid0(VALU_DEP_2) | instskip(SKIP_1) | instid1(VALU_DEP_3)
	v_fmamk_f64 v[50:51], v[46:47], 0x3fc3ab76bf559e2b, v[22:23]
	v_mul_f64_e32 v[52:53], v[42:43], v[46:47]
	v_add_f64_e64 v[6:7], v[6:7], -v[40:41]
	s_delay_alu instid0(VALU_DEP_3) | instskip(NEXT) | instid1(TRANS32_DEP_1)
	v_fmaak_f64 v[50:51], v[46:47], v[50:51], 0x3fc7474dd7f4df2e
	v_fma_f64 v[54:55], -v[44:45], v[48:49], 1.0
	s_delay_alu instid0(VALU_DEP_2) | instskip(NEXT) | instid1(VALU_DEP_1)
	v_fmaak_f64 v[50:51], v[46:47], v[50:51], 0x3fcc71c016291751
	v_fmaak_f64 v[50:51], v[46:47], v[50:51], 0x3fd249249b27acf1
	s_delay_alu instid0(VALU_DEP_1) | instskip(SKIP_1) | instid1(VALU_DEP_2)
	v_fmaak_f64 v[50:51], v[46:47], v[50:51], 0x3fd99999998ef7b6
	v_ldexp_f64 v[6:7], v[6:7], 1
	v_fmaak_f64 v[46:47], v[46:47], v[50:51], 0x3fe5555555555780
	v_ldexp_f64 v[50:51], v[42:43], 1
	v_fmac_f64_e32 v[48:49], v[48:49], v[54:55]
	s_delay_alu instid0(VALU_DEP_3) | instskip(SKIP_2) | instid1(VALU_DEP_1)
	v_mul_f64_e32 v[46:47], v[52:53], v[46:47]
	v_cvt_f64_i32_e32 v[52:53], v1
	v_ashrrev_i32_e32 v1, 31, v11
	v_and_b32_e32 v21, 0x54442d18, v1
	v_and_b32_e32 v1, 0x400921fb, v1
	v_fma_f64 v[54:55], -v[44:45], v[48:49], 1.0
	v_add_f64_e32 v[42:43], v[50:51], v[46:47]
	v_mul_f64_e32 v[56:57], 0x3fe62e42fefa39ef, v[52:53]
	s_delay_alu instid0(VALU_DEP_3) | instskip(NEXT) | instid1(VALU_DEP_3)
	v_fmac_f64_e32 v[48:49], v[48:49], v[54:55]
	v_add_f64_e64 v[40:41], v[42:43], -v[50:51]
	v_div_scale_f64 v[50:51], vcc_lo, v[34:35], v[38:39], v[34:35]
	s_delay_alu instid0(VALU_DEP_4) | instskip(NEXT) | instid1(VALU_DEP_3)
	v_fma_f64 v[54:55], v[52:53], s[28:29], -v[56:57]
	v_add_f64_e64 v[40:41], v[46:47], -v[40:41]
	s_delay_alu instid0(VALU_DEP_3) | instskip(NEXT) | instid1(VALU_DEP_3)
	v_mul_f64_e32 v[46:47], v[50:51], v[48:49]
	v_fmac_f64_e32 v[54:55], 0x3c7abc9e3b39803f, v[52:53]
	s_delay_alu instid0(VALU_DEP_3) | instskip(NEXT) | instid1(VALU_DEP_3)
	v_add_f64_e32 v[6:7], v[6:7], v[40:41]
	v_fma_f64 v[40:41], -v[44:45], v[46:47], v[50:51]
	s_delay_alu instid0(VALU_DEP_3) | instskip(NEXT) | instid1(VALU_DEP_3)
	v_add_f64_e32 v[44:45], v[56:57], v[54:55]
	v_add_f64_e32 v[50:51], v[42:43], v[6:7]
	s_delay_alu instid0(VALU_DEP_3) | instskip(SKIP_1) | instid1(VALU_DEP_4)
	v_div_fmas_f64 v[40:41], v[40:41], v[48:49], v[46:47]
	v_cmp_gt_i32_e32 vcc_lo, 0, v11
	v_add_f64_e64 v[48:49], v[44:45], -v[56:57]
	v_cndmask_b32_e32 v36, 0x3fe921fb, v63, vcc_lo
	v_cndmask_b32_e32 v8, 0x54442d18, v62, vcc_lo
	s_delay_alu instid0(VALU_DEP_2) | instskip(SKIP_4) | instid1(VALU_DEP_4)
	v_bfi_b32 v36, 0x7fffffff, v36, v13
	v_add_f64_e32 v[46:47], v[44:45], v[50:51]
	v_div_fixup_f64 v[34:35], v[40:41], v[38:39], v[34:35]
	v_add_f64_e64 v[42:43], v[50:51], -v[42:43]
	v_add_f64_e64 v[48:49], v[54:55], -v[48:49]
	;; [unrolled: 1-line block ×3, first 2 shown]
	s_delay_alu instid0(VALU_DEP_4) | instskip(NEXT) | instid1(VALU_DEP_4)
	v_mul_f64_e32 v[40:41], v[34:35], v[34:35]
	v_add_f64_e64 v[6:7], v[6:7], -v[42:43]
	s_delay_alu instid0(VALU_DEP_3) | instskip(NEXT) | instid1(VALU_DEP_3)
	v_add_f64_e64 v[52:53], v[46:47], -v[38:39]
	v_fmamk_f64 v[56:57], v[40:41], 0x3eeba404b5e68a13, v[24:25]
	v_add_f64_e64 v[38:39], v[50:51], -v[38:39]
	s_delay_alu instid0(VALU_DEP_4) | instskip(NEXT) | instid1(VALU_DEP_3)
	v_add_f64_e32 v[50:51], v[48:49], v[6:7]
	v_fmaak_f64 v[56:57], v[40:41], v[56:57], 0x3f4b2bb069efb384
	s_delay_alu instid0(VALU_DEP_1) | instskip(SKIP_1) | instid1(VALU_DEP_2)
	v_fmaak_f64 v[56:57], v[40:41], v[56:57], 0xbf67952daf56de9b
	v_add_f64_e64 v[42:43], v[44:45], -v[52:53]
	v_fmaak_f64 v[44:45], v[40:41], v[56:57], 0x3f7d6d43a595c56f
	s_delay_alu instid0(VALU_DEP_1) | instskip(NEXT) | instid1(VALU_DEP_1)
	v_fmaak_f64 v[44:45], v[40:41], v[44:45], 0xbf8c6ea4a57d9582
	v_fmaak_f64 v[44:45], v[40:41], v[44:45], 0x3f967e295f08b19f
	s_delay_alu instid0(VALU_DEP_1) | instskip(NEXT) | instid1(VALU_DEP_1)
	v_fmaak_f64 v[44:45], v[40:41], v[44:45], 0xbf9e9ae6fc27006a
	v_fmaak_f64 v[44:45], v[40:41], v[44:45], 0x3fa2c15b5711927a
	v_add_f64_e32 v[38:39], v[38:39], v[42:43]
	s_delay_alu instid0(VALU_DEP_2) | instskip(SKIP_1) | instid1(VALU_DEP_2)
	v_fmaak_f64 v[42:43], v[40:41], v[44:45], 0xbfa59976e82d3ff0
	v_add_f64_e64 v[44:45], v[50:51], -v[48:49]
	v_fmaak_f64 v[42:43], v[40:41], v[42:43], 0x3fa82d5d6ef28734
	s_delay_alu instid0(VALU_DEP_1) | instskip(NEXT) | instid1(VALU_DEP_1)
	v_fmaak_f64 v[42:43], v[40:41], v[42:43], 0xbfaae5ce6a214619
	v_fmaak_f64 v[42:43], v[40:41], v[42:43], 0x3fae1bb48427b883
	s_delay_alu instid0(VALU_DEP_1) | instskip(SKIP_3) | instid1(VALU_DEP_4)
	v_fmaak_f64 v[42:43], v[40:41], v[42:43], 0xbfb110e48b207f05
	v_add_f64_e32 v[38:39], v[50:51], v[38:39]
	v_add_f64_e64 v[50:51], v[50:51], -v[44:45]
	v_add_f64_e64 v[6:7], v[6:7], -v[44:45]
	v_fmaak_f64 v[42:43], v[40:41], v[42:43], 0x3fb3b13657b87036
	s_delay_alu instid0(VALU_DEP_1) | instskip(NEXT) | instid1(VALU_DEP_1)
	v_fmaak_f64 v[42:43], v[40:41], v[42:43], 0xbfb745d119378e4f
	v_fmaak_f64 v[42:43], v[40:41], v[42:43], 0x3fbc71c717e1913c
	s_delay_alu instid0(VALU_DEP_1) | instskip(SKIP_1) | instid1(VALU_DEP_2)
	v_fmaak_f64 v[42:43], v[40:41], v[42:43], 0xbfc2492492376b7d
	v_add_f64_e32 v[52:53], v[46:47], v[38:39]
	v_fmaak_f64 v[42:43], v[40:41], v[42:43], 0x3fc99999999952cc
	s_delay_alu instid0(VALU_DEP_1) | instskip(NEXT) | instid1(VALU_DEP_1)
	v_fmaak_f64 v[42:43], v[40:41], v[42:43], 0xbfd5555555555523
	v_mul_f64_e32 v[40:41], v[40:41], v[42:43]
	v_add_f64_e64 v[42:43], v[48:49], -v[50:51]
	v_add_f64_e64 v[44:45], v[52:53], -v[46:47]
	s_delay_alu instid0(VALU_DEP_3) | instskip(NEXT) | instid1(VALU_DEP_3)
	v_fmac_f64_e32 v[34:35], v[34:35], v[40:41]
	v_add_f64_e32 v[6:7], v[6:7], v[42:43]
	s_delay_alu instid0(VALU_DEP_3) | instskip(NEXT) | instid1(VALU_DEP_3)
	v_add_f64_e64 v[38:39], v[38:39], -v[44:45]
	v_add_f64_e64 v[40:41], -v[34:35], s[30:31]
	s_delay_alu instid0(VALU_DEP_2) | instskip(NEXT) | instid1(VALU_DEP_2)
	v_add_f64_e32 v[6:7], v[6:7], v[38:39]
	v_dual_cndmask_b32 v35, v35, v41, s2 :: v_dual_cndmask_b32 v34, v34, v40, s2
                                        ; implicit-def: $vgpr40_vgpr41
	s_delay_alu instid0(VALU_DEP_1) | instskip(NEXT) | instid1(VALU_DEP_3)
	v_add_f64_e64 v[38:39], -v[34:35], s[34:35]
	v_add_f64_e32 v[6:7], v[52:53], v[6:7]
	s_delay_alu instid0(VALU_DEP_2) | instskip(SKIP_1) | instid1(VALU_DEP_1)
	v_dual_cndmask_b32 v34, v34, v38 :: v_dual_cndmask_b32 v35, v35, v39
	s_and_b32 vcc_lo, s7, s6
                                        ; implicit-def: $vgpr38_vgpr39
	v_cndmask_b32_e64 v21, v34, v21, s3
	s_delay_alu instid0(VALU_DEP_1) | instskip(NEXT) | instid1(VALU_DEP_1)
	v_dual_cndmask_b32 v1, v35, v1, s3 :: v_dual_cndmask_b32 v34, v21, v8, vcc_lo
	v_dual_mul_f64 v[6:7], 0.5, v[6:7] :: v_dual_cndmask_b32 v35, v1, v36, vcc_lo
	s_delay_alu instid0(VALU_DEP_1) | instskip(NEXT) | instid1(VALU_DEP_2)
	v_cndmask_b32_e64 v7, 0xfff00000, v7, s4
	v_cndmask_b32_e64 v6, 0, v6, s4
.LBB179_48:                             ;   in Loop: Header=BB179_5 Depth=1
	s_and_not1_saveexec_b32 s51, s5
	s_cbranch_execz .LBB179_52
; %bb.49:                               ;   in Loop: Header=BB179_5 Depth=1
	v_and_b32_e32 v21, 0x7ffffff8, v41
	v_and_b32_e32 v35, 0x7ffffff8, v39
	v_mov_b32_e32 v34, v20
	s_mov_b32 s52, 0
	v_mov_b32_e32 v42, v20
	v_add_f64_e64 v[6:7], v[40:41], -v[20:21]
	s_delay_alu instid0(VALU_DEP_3)
	v_dual_add_f64 v[36:37], v[38:39], -v[34:35] :: v_dual_mov_b32 v40, v20
	v_add_f64_e32 v[44:45], v[20:21], v[20:21]
	v_mul_f64_e32 v[38:39], v[34:35], v[34:35]
	v_add_f64_e32 v[52:53], v[34:35], v[34:35]
	v_and_b32_e32 v41, -8, v7
	v_and_b32_e32 v43, -8, v37
	s_delay_alu instid0(VALU_DEP_2) | instskip(SKIP_1) | instid1(VALU_DEP_3)
	v_add_f64_e64 v[54:55], v[6:7], -v[40:41]
	v_add_f64_e32 v[58:59], v[40:41], v[40:41]
	v_add_f64_e64 v[56:57], v[36:37], -v[42:43]
	v_add_f64_e32 v[60:61], v[42:43], v[42:43]
	v_mul_f64_e32 v[6:7], v[20:21], v[20:21]
	v_mul_f64_e32 v[50:51], v[44:45], v[40:41]
	;; [unrolled: 1-line block ×11, first 2 shown]
.LBB179_50:                             ;   Parent Loop BB179_5 Depth=1
                                        ; =>  This Inner Loop Header: Depth=2
	v_cmp_nlt_f64_e32 vcc_lo, v[6:7], v[38:39]
	v_dual_cndmask_b32 v57, v7, v39 :: v_dual_cndmask_b32 v56, v6, v38
	v_dual_cndmask_b32 v7, v39, v7 :: v_dual_cndmask_b32 v6, v38, v6
	s_delay_alu instid0(VALU_DEP_2) | instskip(NEXT) | instid1(VALU_DEP_1)
	v_cmp_nlt_f64_e64 s3, v[56:57], v[50:51]
	v_dual_cndmask_b32 v59, v57, v51, s3 :: v_dual_cndmask_b32 v58, v56, v50, s3
	v_dual_cndmask_b32 v39, v51, v57, s3 :: v_dual_cndmask_b32 v38, v50, v56, s3
	s_and_b32 s3, vcc_lo, s3
	s_delay_alu instid0(VALU_DEP_2) | instskip(NEXT) | instid1(VALU_DEP_1)
	v_cmp_nlt_f64_e64 s4, v[58:59], v[36:37]
	v_dual_cndmask_b32 v61, v59, v37, s4 :: v_dual_cndmask_b32 v60, v58, v36, s4
	v_dual_cndmask_b32 v51, v37, v59, s4 :: v_dual_cndmask_b32 v50, v36, v58, s4
	s_delay_alu instid0(VALU_DEP_2) | instskip(NEXT) | instid1(VALU_DEP_1)
	v_cmp_nlt_f64_e64 s5, v[60:61], v[48:49]
	v_dual_cndmask_b32 v65, v61, v49, s5 :: v_dual_cndmask_b32 v64, v60, v48, s5
	v_dual_cndmask_b32 v37, v49, v61, s5 :: v_dual_cndmask_b32 v36, v48, v60, s5
	s_and_b32 s4, s4, s5
	s_delay_alu instid0(VALU_DEP_2) | instskip(NEXT) | instid1(VALU_DEP_1)
	v_cmp_nlt_f64_e64 s6, v[64:65], v[34:35]
	v_dual_cndmask_b32 v67, v65, v35, s6 :: v_dual_cndmask_b32 v66, v64, v34, s6
	v_dual_cndmask_b32 v49, v35, v65, s6 :: v_dual_cndmask_b32 v48, v34, v64, s6
	s_delay_alu instid0(VALU_DEP_2) | instskip(NEXT) | instid1(VALU_DEP_1)
	v_cmp_nlt_f64_e64 s7, v[66:67], v[46:47]
	v_dual_cndmask_b32 v69, v67, v47, s7 :: v_dual_cndmask_b32 v68, v66, v46, s7
	s_and_b32 s5, s6, s7
	v_dual_cndmask_b32 v35, v47, v67, s7 :: v_dual_cndmask_b32 v34, v46, v66, s7
	s_delay_alu instid0(VALU_DEP_2) | instskip(NEXT) | instid1(VALU_DEP_1)
	v_cmp_nlt_f64_e64 s8, v[68:69], v[44:45]
	v_dual_cndmask_b32 v71, v69, v45, s8 :: v_dual_cndmask_b32 v70, v68, v44, s8
	s_and_b32 s5, s5, s8
	v_dual_cndmask_b32 v47, v45, v69, s8 :: v_dual_cndmask_b32 v46, v44, v68, s8
	s_delay_alu instid0(VALU_DEP_2) | instskip(NEXT) | instid1(VALU_DEP_1)
	v_cmp_nlt_f64_e64 s9, v[70:71], v[42:43]
	v_dual_cndmask_b32 v73, v71, v43, s9 :: v_dual_cndmask_b32 v72, v70, v42, s9
	s_and_b32 s5, s5, s9
	v_dual_cndmask_b32 v45, v43, v71, s9 :: v_dual_cndmask_b32 v44, v42, v70, s9
	s_delay_alu instid0(VALU_DEP_2) | instskip(NEXT) | instid1(VALU_DEP_1)
	v_cmp_nlt_f64_e64 s10, v[72:73], v[40:41]
	v_dual_cndmask_b32 v75, v73, v41, s10 :: v_dual_cndmask_b32 v74, v72, v40, s10
	s_and_b32 s5, s5, s10
	v_dual_cndmask_b32 v43, v41, v73, s10 :: v_dual_cndmask_b32 v42, v40, v72, s10
	s_delay_alu instid0(VALU_DEP_2) | instskip(NEXT) | instid1(VALU_DEP_1)
	v_cmp_nlt_f64_e64 s11, v[74:75], v[52:53]
	v_dual_cndmask_b32 v77, v75, v53, s11 :: v_dual_cndmask_b32 v76, v74, v52, s11
	s_and_b32 s5, s5, s11
	v_dual_cndmask_b32 v41, v53, v75, s11 :: v_dual_cndmask_b32 v40, v52, v74, s11
	s_delay_alu instid0(VALU_DEP_2) | instskip(NEXT) | instid1(VALU_DEP_1)
	v_cmp_nlt_f64_e64 s12, v[76:77], v[54:55]
	v_dual_cndmask_b32 v57, v77, v55, s12 :: v_dual_cndmask_b32 v56, v76, v54, s12
	s_and_b32 s5, s5, s12
	v_dual_cndmask_b32 v53, v55, v77, s12 :: v_dual_cndmask_b32 v52, v54, v76, s12
	s_and_b32 s4, s5, s4
	s_delay_alu instid0(VALU_DEP_2) | instskip(SKIP_1) | instid1(SALU_CYCLE_1)
	v_mov_b64_e32 v[54:55], v[56:57]
	s_and_b32 s3, s4, s3
	s_and_b32 s3, exec_lo, s3
	s_delay_alu instid0(SALU_CYCLE_1) | instskip(NEXT) | instid1(SALU_CYCLE_1)
	s_or_b32 s52, s3, s52
	s_and_not1_b32 exec_lo, exec_lo, s52
	s_cbranch_execnz .LBB179_50
; %bb.51:                               ;   in Loop: Header=BB179_5 Depth=1
	s_or_b32 exec_lo, exec_lo, s52
	v_add_f64_e32 v[6:7], -1.0, v[6:7]
	v_cmp_eq_f64_e64 s3, 0, v[12:13]
	v_cmp_class_f64_e64 s6, v[12:13], 0x204
	v_cmp_class_f64_e64 s7, v[10:11], 0x204
	s_delay_alu instid0(VALU_DEP_4) | instskip(NEXT) | instid1(VALU_DEP_1)
	v_add_f64_e32 v[6:7], v[6:7], v[38:39]
	v_add_f64_e32 v[6:7], v[6:7], v[50:51]
	s_delay_alu instid0(VALU_DEP_1) | instskip(NEXT) | instid1(VALU_DEP_1)
	v_add_f64_e32 v[6:7], v[6:7], v[36:37]
	v_add_f64_e32 v[6:7], v[6:7], v[48:49]
	s_delay_alu instid0(VALU_DEP_1) | instskip(NEXT) | instid1(VALU_DEP_1)
	;; [unrolled: 3-line block ×5, first 2 shown]
	v_add_f64_e32 v[36:37], v[56:57], v[6:7]
	v_add_f64_e32 v[6:7], 1.0, v[36:37]
	s_delay_alu instid0(VALU_DEP_1) | instskip(SKIP_2) | instid1(VALU_DEP_3)
	v_frexp_mant_f64_e32 v[34:35], v[6:7]
	v_frexp_exp_i32_f64_e32 v1, v[6:7]
	v_add_f64_e32 v[38:39], -1.0, v[6:7]
	v_cmp_gt_f64_e32 vcc_lo, s[26:27], v[34:35]
	s_delay_alu instid0(VALU_DEP_2) | instskip(SKIP_2) | instid1(VALU_DEP_1)
	v_add_f64_e64 v[34:35], v[38:39], -v[6:7]
	v_add_f64_e64 v[38:39], v[36:37], -v[38:39]
	v_subrev_co_ci_u32_e64 v1, null, 0, v1, vcc_lo
	v_dual_add_f64 v[34:35], 1.0, v[34:35] :: v_dual_sub_nc_u32 v8, 0, v1
	s_delay_alu instid0(VALU_DEP_1) | instskip(NEXT) | instid1(VALU_DEP_2)
	v_ldexp_f64 v[6:7], v[6:7], v8
	v_add_f64_e32 v[34:35], v[38:39], v[34:35]
	s_delay_alu instid0(VALU_DEP_2) | instskip(SKIP_1) | instid1(VALU_DEP_3)
	v_add_f64_e32 v[40:41], 1.0, v[6:7]
	v_add_f64_e32 v[46:47], -1.0, v[6:7]
	v_ldexp_f64 v[34:35], v[34:35], v8
	s_delay_alu instid0(VALU_DEP_3) | instskip(NEXT) | instid1(VALU_DEP_3)
	v_add_f64_e32 v[38:39], -1.0, v[40:41]
	v_add_f64_e32 v[48:49], 1.0, v[46:47]
	s_delay_alu instid0(VALU_DEP_2) | instskip(NEXT) | instid1(VALU_DEP_2)
	v_add_f64_e64 v[38:39], v[6:7], -v[38:39]
	v_add_f64_e64 v[6:7], v[6:7], -v[48:49]
	s_delay_alu instid0(VALU_DEP_2) | instskip(NEXT) | instid1(VALU_DEP_2)
	v_add_f64_e32 v[38:39], v[34:35], v[38:39]
	v_add_f64_e32 v[6:7], v[34:35], v[6:7]
	s_delay_alu instid0(VALU_DEP_2) | instskip(NEXT) | instid1(VALU_DEP_2)
	v_add_f64_e32 v[42:43], v[40:41], v[38:39]
	v_add_f64_e32 v[48:49], v[46:47], v[6:7]
	s_delay_alu instid0(VALU_DEP_2) | instskip(SKIP_1) | instid1(VALU_DEP_2)
	v_rcp_f64_e32 v[44:45], v[42:43]
	v_add_f64_e64 v[40:41], v[42:43], -v[40:41]
	v_add_f64_e64 v[46:47], v[48:49], -v[46:47]
	s_delay_alu instid0(VALU_DEP_2) | instskip(NEXT) | instid1(VALU_DEP_2)
	v_add_f64_e64 v[38:39], v[38:39], -v[40:41]
	v_add_f64_e64 v[6:7], v[6:7], -v[46:47]
	s_delay_alu instid0(TRANS32_DEP_1) | instskip(NEXT) | instid1(VALU_DEP_1)
	v_fma_f64 v[50:51], -v[42:43], v[44:45], 1.0
	v_fmac_f64_e32 v[44:45], v[50:51], v[44:45]
	s_delay_alu instid0(VALU_DEP_1) | instskip(NEXT) | instid1(VALU_DEP_1)
	v_fma_f64 v[34:35], -v[42:43], v[44:45], 1.0
	v_fmac_f64_e32 v[44:45], v[34:35], v[44:45]
	s_delay_alu instid0(VALU_DEP_1) | instskip(NEXT) | instid1(VALU_DEP_1)
	v_mul_f64_e32 v[34:35], v[48:49], v[44:45]
	v_mul_f64_e32 v[50:51], v[42:43], v[34:35]
	s_delay_alu instid0(VALU_DEP_1) | instskip(NEXT) | instid1(VALU_DEP_1)
	v_fma_f64 v[40:41], v[34:35], v[42:43], -v[50:51]
	v_fmac_f64_e32 v[40:41], v[34:35], v[38:39]
	s_delay_alu instid0(VALU_DEP_1) | instskip(NEXT) | instid1(VALU_DEP_1)
	v_add_f64_e32 v[52:53], v[50:51], v[40:41]
	v_add_f64_e64 v[54:55], v[48:49], -v[52:53]
	v_add_f64_e64 v[46:47], v[52:53], -v[50:51]
	s_delay_alu instid0(VALU_DEP_2) | instskip(NEXT) | instid1(VALU_DEP_2)
	v_add_f64_e64 v[48:49], v[48:49], -v[54:55]
	v_add_f64_e64 v[40:41], v[46:47], -v[40:41]
	s_delay_alu instid0(VALU_DEP_2) | instskip(NEXT) | instid1(VALU_DEP_1)
	v_add_f64_e64 v[48:49], v[48:49], -v[52:53]
	v_add_f64_e32 v[6:7], v[6:7], v[48:49]
	s_delay_alu instid0(VALU_DEP_1) | instskip(NEXT) | instid1(VALU_DEP_1)
	v_add_f64_e32 v[6:7], v[40:41], v[6:7]
	v_add_f64_e32 v[40:41], v[54:55], v[6:7]
	s_delay_alu instid0(VALU_DEP_1) | instskip(SKIP_1) | instid1(VALU_DEP_2)
	v_mul_f64_e32 v[46:47], v[44:45], v[40:41]
	v_add_f64_e64 v[52:53], v[54:55], -v[40:41]
	v_mul_f64_e32 v[48:49], v[42:43], v[46:47]
	s_delay_alu instid0(VALU_DEP_2) | instskip(NEXT) | instid1(VALU_DEP_2)
	v_add_f64_e32 v[6:7], v[6:7], v[52:53]
	v_fma_f64 v[42:43], v[46:47], v[42:43], -v[48:49]
	s_delay_alu instid0(VALU_DEP_1) | instskip(NEXT) | instid1(VALU_DEP_1)
	v_fmac_f64_e32 v[42:43], v[46:47], v[38:39]
	v_add_f64_e32 v[38:39], v[48:49], v[42:43]
	s_delay_alu instid0(VALU_DEP_1) | instskip(SKIP_1) | instid1(VALU_DEP_2)
	v_add_f64_e64 v[50:51], v[40:41], -v[38:39]
	v_add_f64_e64 v[48:49], v[38:39], -v[48:49]
	;; [unrolled: 1-line block ×3, first 2 shown]
	s_delay_alu instid0(VALU_DEP_1) | instskip(NEXT) | instid1(VALU_DEP_3)
	v_add_f64_e64 v[38:39], v[40:41], -v[38:39]
	v_add_f64_e64 v[40:41], v[48:49], -v[42:43]
	v_max_num_f64_e64 v[42:43], |v[10:11]|, |v[10:11]|
	s_delay_alu instid0(VALU_DEP_3) | instskip(SKIP_1) | instid1(VALU_DEP_2)
	v_add_f64_e32 v[6:7], v[6:7], v[38:39]
	v_add_f64_e32 v[38:39], v[34:35], v[46:47]
	;; [unrolled: 1-line block ×3, first 2 shown]
	s_delay_alu instid0(VALU_DEP_2) | instskip(SKIP_1) | instid1(VALU_DEP_3)
	v_add_f64_e64 v[34:35], v[38:39], -v[34:35]
	v_max_num_f64_e64 v[40:41], |v[12:13]|, |v[12:13]|
	v_add_f64_e32 v[6:7], v[50:51], v[6:7]
	s_delay_alu instid0(VALU_DEP_3) | instskip(NEXT) | instid1(VALU_DEP_2)
	v_add_f64_e64 v[34:35], v[46:47], -v[34:35]
	v_mul_f64_e32 v[6:7], v[44:45], v[6:7]
	s_delay_alu instid0(VALU_DEP_1) | instskip(SKIP_2) | instid1(VALU_DEP_3)
	v_add_f64_e32 v[6:7], v[34:35], v[6:7]
	v_max_num_f64_e32 v[34:35], v[42:43], v[40:41]
	v_min_num_f64_e32 v[40:41], v[42:43], v[40:41]
	v_add_f64_e32 v[42:43], v[38:39], v[6:7]
	s_delay_alu instid0(VALU_DEP_2) | instskip(NEXT) | instid1(VALU_DEP_2)
	v_div_scale_f64 v[44:45], null, v[34:35], v[34:35], v[40:41]
	v_mul_f64_e32 v[46:47], v[42:43], v[42:43]
	v_add_f64_e64 v[38:39], v[42:43], -v[38:39]
	s_delay_alu instid0(VALU_DEP_3) | instskip(NEXT) | instid1(VALU_DEP_2)
	v_rcp_f64_e32 v[48:49], v[44:45]
	v_fmamk_f64 v[50:51], v[46:47], 0x3fc3ab76bf559e2b, v[22:23]
	v_mul_f64_e32 v[52:53], v[42:43], v[46:47]
	s_delay_alu instid0(VALU_DEP_3) | instskip(NEXT) | instid1(VALU_DEP_3)
	v_add_f64_e64 v[6:7], v[6:7], -v[38:39]
	v_fmaak_f64 v[50:51], v[46:47], v[50:51], 0x3fc7474dd7f4df2e
	s_delay_alu instid0(TRANS32_DEP_1) | instskip(NEXT) | instid1(VALU_DEP_2)
	v_fma_f64 v[54:55], -v[44:45], v[48:49], 1.0
	v_fmaak_f64 v[50:51], v[46:47], v[50:51], 0x3fcc71c016291751
	s_delay_alu instid0(VALU_DEP_1) | instskip(NEXT) | instid1(VALU_DEP_1)
	v_fmaak_f64 v[50:51], v[46:47], v[50:51], 0x3fd249249b27acf1
	v_fmaak_f64 v[50:51], v[46:47], v[50:51], 0x3fd99999998ef7b6
	v_ldexp_f64 v[6:7], v[6:7], 1
	s_delay_alu instid0(VALU_DEP_2) | instskip(SKIP_2) | instid1(VALU_DEP_3)
	v_fmaak_f64 v[46:47], v[46:47], v[50:51], 0x3fe5555555555780
	v_ldexp_f64 v[50:51], v[42:43], 1
	v_fmac_f64_e32 v[48:49], v[48:49], v[54:55]
	v_mul_f64_e32 v[46:47], v[52:53], v[46:47]
	v_cvt_f64_i32_e32 v[52:53], v1
	v_ashrrev_i32_e32 v1, 31, v11
	s_delay_alu instid0(VALU_DEP_1) | instskip(SKIP_4) | instid1(VALU_DEP_3)
	v_and_b32_e32 v21, 0x54442d18, v1
	v_and_b32_e32 v1, 0x400921fb, v1
	v_fma_f64 v[54:55], -v[44:45], v[48:49], 1.0
	v_add_f64_e32 v[42:43], v[50:51], v[46:47]
	v_mul_f64_e32 v[56:57], 0x3fe62e42fefa39ef, v[52:53]
	v_fmac_f64_e32 v[48:49], v[48:49], v[54:55]
	s_delay_alu instid0(VALU_DEP_3) | instskip(SKIP_1) | instid1(VALU_DEP_4)
	v_add_f64_e64 v[38:39], v[42:43], -v[50:51]
	v_div_scale_f64 v[50:51], vcc_lo, v[40:41], v[34:35], v[40:41]
	v_fma_f64 v[54:55], v[52:53], s[28:29], -v[56:57]
	s_delay_alu instid0(VALU_DEP_3) | instskip(NEXT) | instid1(VALU_DEP_3)
	v_add_f64_e64 v[38:39], v[46:47], -v[38:39]
	v_mul_f64_e32 v[46:47], v[50:51], v[48:49]
	s_delay_alu instid0(VALU_DEP_3) | instskip(NEXT) | instid1(VALU_DEP_3)
	v_fmac_f64_e32 v[54:55], 0x3c7abc9e3b39803f, v[52:53]
	v_add_f64_e32 v[6:7], v[6:7], v[38:39]
	s_delay_alu instid0(VALU_DEP_3) | instskip(NEXT) | instid1(VALU_DEP_3)
	v_fma_f64 v[38:39], -v[44:45], v[46:47], v[50:51]
	v_add_f64_e32 v[44:45], v[56:57], v[54:55]
	s_delay_alu instid0(VALU_DEP_3) | instskip(NEXT) | instid1(VALU_DEP_3)
	v_add_f64_e32 v[50:51], v[42:43], v[6:7]
	v_div_fmas_f64 v[38:39], v[38:39], v[48:49], v[46:47]
	v_cmp_gt_i32_e32 vcc_lo, 0, v11
	s_delay_alu instid0(VALU_DEP_4)
	v_add_f64_e64 v[48:49], v[44:45], -v[56:57]
	v_cndmask_b32_e32 v8, 0x54442d18, v62, vcc_lo
	v_add_f64_e32 v[46:47], v[44:45], v[50:51]
	v_div_fixup_f64 v[34:35], v[38:39], v[34:35], v[40:41]
	v_add_f64_e64 v[42:43], v[50:51], -v[42:43]
	v_add_f64_e64 v[48:49], v[54:55], -v[48:49]
	s_delay_alu instid0(VALU_DEP_4) | instskip(NEXT) | instid1(VALU_DEP_4)
	v_add_f64_e64 v[38:39], v[46:47], -v[44:45]
	v_mul_f64_e32 v[40:41], v[34:35], v[34:35]
	s_delay_alu instid0(VALU_DEP_4) | instskip(NEXT) | instid1(VALU_DEP_3)
	v_add_f64_e64 v[6:7], v[6:7], -v[42:43]
	v_add_f64_e64 v[52:53], v[46:47], -v[38:39]
	s_delay_alu instid0(VALU_DEP_3) | instskip(SKIP_1) | instid1(VALU_DEP_4)
	v_fmamk_f64 v[56:57], v[40:41], 0x3eeba404b5e68a13, v[24:25]
	v_add_f64_e64 v[38:39], v[50:51], -v[38:39]
	v_add_f64_e32 v[50:51], v[48:49], v[6:7]
	s_delay_alu instid0(VALU_DEP_3) | instskip(SKIP_1) | instid1(VALU_DEP_2)
	v_fmaak_f64 v[56:57], v[40:41], v[56:57], 0x3f4b2bb069efb384
	v_add_f64_e64 v[42:43], v[44:45], -v[52:53]
	v_fmaak_f64 v[44:45], v[40:41], v[56:57], 0xbf67952daf56de9b
	s_delay_alu instid0(VALU_DEP_1) | instskip(NEXT) | instid1(VALU_DEP_1)
	v_fmaak_f64 v[44:45], v[40:41], v[44:45], 0x3f7d6d43a595c56f
	v_fmaak_f64 v[44:45], v[40:41], v[44:45], 0xbf8c6ea4a57d9582
	s_delay_alu instid0(VALU_DEP_1) | instskip(NEXT) | instid1(VALU_DEP_1)
	v_fmaak_f64 v[44:45], v[40:41], v[44:45], 0x3f967e295f08b19f
	v_fmaak_f64 v[44:45], v[40:41], v[44:45], 0xbf9e9ae6fc27006a
	v_add_f64_e32 v[38:39], v[38:39], v[42:43]
	s_delay_alu instid0(VALU_DEP_2) | instskip(SKIP_1) | instid1(VALU_DEP_2)
	v_fmaak_f64 v[42:43], v[40:41], v[44:45], 0x3fa2c15b5711927a
	v_add_f64_e64 v[44:45], v[50:51], -v[48:49]
	v_fmaak_f64 v[42:43], v[40:41], v[42:43], 0xbfa59976e82d3ff0
	s_delay_alu instid0(VALU_DEP_1) | instskip(NEXT) | instid1(VALU_DEP_1)
	v_fmaak_f64 v[42:43], v[40:41], v[42:43], 0x3fa82d5d6ef28734
	v_fmaak_f64 v[42:43], v[40:41], v[42:43], 0xbfaae5ce6a214619
	s_delay_alu instid0(VALU_DEP_1) | instskip(SKIP_3) | instid1(VALU_DEP_4)
	v_fmaak_f64 v[42:43], v[40:41], v[42:43], 0x3fae1bb48427b883
	v_add_f64_e32 v[38:39], v[50:51], v[38:39]
	v_add_f64_e64 v[50:51], v[50:51], -v[44:45]
	v_add_f64_e64 v[6:7], v[6:7], -v[44:45]
	v_fmaak_f64 v[42:43], v[40:41], v[42:43], 0xbfb110e48b207f05
	s_delay_alu instid0(VALU_DEP_1) | instskip(NEXT) | instid1(VALU_DEP_1)
	v_fmaak_f64 v[42:43], v[40:41], v[42:43], 0x3fb3b13657b87036
	v_fmaak_f64 v[42:43], v[40:41], v[42:43], 0xbfb745d119378e4f
	s_delay_alu instid0(VALU_DEP_1) | instskip(SKIP_1) | instid1(VALU_DEP_2)
	v_fmaak_f64 v[42:43], v[40:41], v[42:43], 0x3fbc71c717e1913c
	v_add_f64_e32 v[52:53], v[46:47], v[38:39]
	v_fmaak_f64 v[42:43], v[40:41], v[42:43], 0xbfc2492492376b7d
	s_delay_alu instid0(VALU_DEP_1) | instskip(NEXT) | instid1(VALU_DEP_1)
	v_fmaak_f64 v[42:43], v[40:41], v[42:43], 0x3fc99999999952cc
	v_fmaak_f64 v[42:43], v[40:41], v[42:43], 0xbfd5555555555523
	s_delay_alu instid0(VALU_DEP_1) | instskip(SKIP_2) | instid1(VALU_DEP_3)
	v_mul_f64_e32 v[40:41], v[40:41], v[42:43]
	v_add_f64_e64 v[42:43], v[48:49], -v[50:51]
	v_add_f64_e64 v[44:45], v[52:53], -v[46:47]
	v_fmac_f64_e32 v[34:35], v[34:35], v[40:41]
	s_delay_alu instid0(VALU_DEP_3) | instskip(NEXT) | instid1(VALU_DEP_3)
	v_add_f64_e32 v[6:7], v[6:7], v[42:43]
	v_add_f64_e64 v[38:39], v[38:39], -v[44:45]
	s_delay_alu instid0(VALU_DEP_3) | instskip(NEXT) | instid1(VALU_DEP_2)
	v_add_f64_e64 v[40:41], -v[34:35], s[30:31]
	v_add_f64_e32 v[6:7], v[6:7], v[38:39]
	s_delay_alu instid0(VALU_DEP_2) | instskip(SKIP_2) | instid1(VALU_DEP_3)
	v_dual_cndmask_b32 v35, v35, v41, s2 :: v_dual_cndmask_b32 v34, v34, v40, s2
	v_cmp_nge_f64_e64 s4, -1.0, v[36:37]
	v_cmp_neq_f64_e64 s5, 0x7ff00000, v[36:37]
	v_add_f64_e64 v[38:39], -v[34:35], s[34:35]
	v_add_f64_e32 v[6:7], v[52:53], v[6:7]
	s_delay_alu instid0(VALU_DEP_2) | instskip(SKIP_1) | instid1(VALU_DEP_3)
	v_dual_cndmask_b32 v34, v34, v38 :: v_dual_cndmask_b32 v35, v35, v39
	v_cndmask_b32_e32 v38, 0x3fe921fb, v63, vcc_lo
	v_mul_f64_e32 v[6:7], 0.5, v[6:7]
	v_cmp_ngt_f64_e32 vcc_lo, -1.0, v[36:37]
	s_delay_alu instid0(VALU_DEP_4)
	v_cndmask_b32_e64 v21, v34, v21, s3
	v_cndmask_b32_e64 v1, v35, v1, s3
	s_and_b32 s3, s4, s5
	v_bfi_b32 v38, 0x7fffffff, v38, v13
	v_cndmask_b32_e64 v6, 0, v6, s3
	v_cmp_neq_f64_e64 s3, -1.0, v[36:37]
	v_cndmask_b32_e64 v7, 0x7ff00000, v7, s5
	s_delay_alu instid0(VALU_DEP_1) | instskip(SKIP_3) | instid1(VALU_DEP_3)
	v_cndmask_b32_e32 v7, 0x7ff80000, v7, vcc_lo
	s_and_b32 vcc_lo, s7, s6
	v_cndmask_b32_e32 v35, v1, v38, vcc_lo
	v_cndmask_b32_e32 v34, v21, v8, vcc_lo
	v_cndmask_b32_e64 v7, 0xfff00000, v7, s3
.LBB179_52:                             ;   in Loop: Header=BB179_5 Depth=1
	s_or_b32 exec_lo, exec_lo, s51
.LBB179_53:                             ;   in Loop: Header=BB179_5 Depth=1
	s_delay_alu instid0(SALU_CYCLE_1)
	s_or_b32 exec_lo, exec_lo, s50
.LBB179_54:                             ;   in Loop: Header=BB179_5 Depth=1
	s_and_not1_saveexec_b32 s5, s49
	s_cbranch_execz .LBB179_56
; %bb.55:                               ;   in Loop: Header=BB179_5 Depth=1
	v_max_num_f64_e64 v[6:7], |v[12:13]|, |v[12:13]|
	v_max_num_f64_e64 v[34:35], |v[10:11]|, |v[10:11]|
	v_cmp_class_f64_e64 s6, v[10:11], 0x204
	v_cmp_class_f64_e64 s7, v[12:13], 0x204
	v_cmp_eq_f64_e64 s4, 0, v[12:13]
	s_delay_alu instid0(VALU_DEP_4) | instskip(SKIP_2) | instid1(VALU_DEP_2)
	v_max_num_f64_e32 v[36:37], v[34:35], v[6:7]
	v_min_num_f64_e32 v[6:7], v[34:35], v[6:7]
	s_or_b32 s3, s6, s7
	v_frexp_exp_i32_f64_e32 v1, v[36:37]
	s_delay_alu instid0(VALU_DEP_1) | instskip(NEXT) | instid1(VALU_DEP_1)
	v_sub_nc_u32_e32 v8, 0, v1
	v_ldexp_f64 v[38:39], |v[12:13]|, v8
	v_ldexp_f64 v[40:41], |v[10:11]|, v8
	s_delay_alu instid0(VALU_DEP_2) | instskip(NEXT) | instid1(VALU_DEP_1)
	v_mul_f64_e32 v[38:39], v[38:39], v[38:39]
	v_fmac_f64_e32 v[38:39], v[40:41], v[40:41]
	s_delay_alu instid0(VALU_DEP_1) | instskip(SKIP_1) | instid1(TRANS32_DEP_1)
	v_rsq_f64_e32 v[40:41], v[38:39]
	v_cmp_eq_f64_e32 vcc_lo, 0, v[38:39]
	v_mul_f64_e32 v[42:43], v[38:39], v[40:41]
	v_mul_f64_e32 v[40:41], 0.5, v[40:41]
	s_delay_alu instid0(VALU_DEP_1) | instskip(NEXT) | instid1(VALU_DEP_1)
	v_fma_f64 v[44:45], -v[40:41], v[42:43], 0.5
	v_fmac_f64_e32 v[42:43], v[42:43], v[44:45]
	v_fmac_f64_e32 v[40:41], v[40:41], v[44:45]
	s_delay_alu instid0(VALU_DEP_2) | instskip(NEXT) | instid1(VALU_DEP_1)
	v_fma_f64 v[44:45], -v[42:43], v[42:43], v[38:39]
	v_fmac_f64_e32 v[42:43], v[44:45], v[40:41]
	s_delay_alu instid0(VALU_DEP_1) | instskip(NEXT) | instid1(VALU_DEP_1)
	v_dual_cndmask_b32 v39, v43, v39 :: v_dual_cndmask_b32 v38, v42, v38
	v_ldexp_f64 v[38:39], v[38:39], v1
	s_delay_alu instid0(VALU_DEP_1) | instskip(NEXT) | instid1(VALU_DEP_2)
	v_cndmask_b32_e64 v39, v39, 0x7ff00000, s3
	v_cndmask_b32_e64 v38, v38, 0, s3
	s_delay_alu instid0(VALU_DEP_1) | instskip(SKIP_1) | instid1(VALU_DEP_2)
	v_frexp_mant_f64_e32 v[40:41], v[38:39]
	v_cmp_class_f64_e64 s3, v[38:39], 0x204
	v_cmp_gt_f64_e32 vcc_lo, s[26:27], v[40:41]
	v_cndmask_b32_e64 v1, 0, 1, vcc_lo
	s_delay_alu instid0(VALU_DEP_1) | instskip(SKIP_1) | instid1(VALU_DEP_2)
	v_ldexp_f64 v[40:41], v[40:41], v1
	v_frexp_exp_i32_f64_e32 v1, v[38:39]
	v_add_f64_e32 v[42:43], 1.0, v[40:41]
	v_add_f64_e32 v[48:49], -1.0, v[40:41]
	s_delay_alu instid0(VALU_DEP_3) | instskip(SKIP_1) | instid1(VALU_DEP_4)
	v_subrev_co_ci_u32_e64 v1, null, 0, v1, vcc_lo
	v_div_scale_f64 v[56:57], vcc_lo, v[6:7], v[36:37], v[6:7]
	v_rcp_f64_e32 v[44:45], v[42:43]
	v_add_f64_e32 v[50:51], -1.0, v[42:43]
	s_delay_alu instid0(VALU_DEP_1) | instskip(NEXT) | instid1(TRANS32_DEP_1)
	v_add_f64_e64 v[40:41], v[40:41], -v[50:51]
	v_fma_f64 v[46:47], -v[42:43], v[44:45], 1.0
	s_delay_alu instid0(VALU_DEP_1) | instskip(NEXT) | instid1(VALU_DEP_1)
	v_fmac_f64_e32 v[44:45], v[46:47], v[44:45]
	v_fma_f64 v[46:47], -v[42:43], v[44:45], 1.0
	s_delay_alu instid0(VALU_DEP_1) | instskip(NEXT) | instid1(VALU_DEP_1)
	v_fmac_f64_e32 v[44:45], v[46:47], v[44:45]
	v_mul_f64_e32 v[46:47], v[48:49], v[44:45]
	s_delay_alu instid0(VALU_DEP_1) | instskip(NEXT) | instid1(VALU_DEP_1)
	v_mul_f64_e32 v[52:53], v[42:43], v[46:47]
	v_fma_f64 v[42:43], v[46:47], v[42:43], -v[52:53]
	s_delay_alu instid0(VALU_DEP_1) | instskip(NEXT) | instid1(VALU_DEP_1)
	v_fmac_f64_e32 v[42:43], v[46:47], v[40:41]
	v_add_f64_e32 v[40:41], v[52:53], v[42:43]
	s_delay_alu instid0(VALU_DEP_1) | instskip(SKIP_1) | instid1(VALU_DEP_2)
	v_add_f64_e64 v[50:51], v[48:49], -v[40:41]
	v_add_f64_e64 v[52:53], v[40:41], -v[52:53]
	;; [unrolled: 1-line block ×3, first 2 shown]
	s_delay_alu instid0(VALU_DEP_2) | instskip(NEXT) | instid1(VALU_DEP_2)
	v_add_f64_e64 v[42:43], v[52:53], -v[42:43]
	v_add_f64_e64 v[40:41], v[48:49], -v[40:41]
	s_delay_alu instid0(VALU_DEP_1) | instskip(NEXT) | instid1(VALU_DEP_1)
	v_add_f64_e32 v[40:41], v[42:43], v[40:41]
	v_add_f64_e32 v[40:41], v[50:51], v[40:41]
	s_delay_alu instid0(VALU_DEP_1) | instskip(SKIP_1) | instid1(VALU_DEP_2)
	v_mul_f64_e32 v[34:35], v[44:45], v[40:41]
	v_div_scale_f64 v[40:41], null, v[36:37], v[36:37], v[6:7]
	v_add_f64_e32 v[42:43], v[46:47], v[34:35]
	s_delay_alu instid0(VALU_DEP_2) | instskip(NEXT) | instid1(VALU_DEP_1)
	v_rcp_f64_e32 v[44:45], v[40:41]
	v_mul_f64_e32 v[48:49], v[42:43], v[42:43]
	s_delay_alu instid0(TRANS32_DEP_1) | instskip(NEXT) | instid1(VALU_DEP_2)
	v_fma_f64 v[52:53], -v[40:41], v[44:45], 1.0
	v_fmamk_f64 v[50:51], v[48:49], 0x3fc3ab76bf559e2b, v[22:23]
	v_mul_f64_e32 v[54:55], v[42:43], v[48:49]
	s_delay_alu instid0(VALU_DEP_3) | instskip(NEXT) | instid1(VALU_DEP_3)
	v_fmac_f64_e32 v[44:45], v[44:45], v[52:53]
	v_fmaak_f64 v[50:51], v[48:49], v[50:51], 0x3fc7474dd7f4df2e
	s_delay_alu instid0(VALU_DEP_1) | instskip(NEXT) | instid1(VALU_DEP_1)
	v_fmaak_f64 v[50:51], v[48:49], v[50:51], 0x3fcc71c016291751
	v_fmaak_f64 v[50:51], v[48:49], v[50:51], 0x3fd249249b27acf1
	s_delay_alu instid0(VALU_DEP_1) | instskip(NEXT) | instid1(VALU_DEP_1)
	v_fmaak_f64 v[50:51], v[48:49], v[50:51], 0x3fd99999998ef7b6
	v_fmaak_f64 v[48:49], v[48:49], v[50:51], 0x3fe5555555555780
	v_ldexp_f64 v[50:51], v[42:43], 1
	v_add_f64_e64 v[42:43], v[42:43], -v[46:47]
	v_fma_f64 v[52:53], -v[40:41], v[44:45], 1.0
	s_delay_alu instid0(VALU_DEP_4) | instskip(SKIP_2) | instid1(VALU_DEP_1)
	v_mul_f64_e32 v[48:49], v[54:55], v[48:49]
	v_cvt_f64_i32_e32 v[54:55], v1
	v_ashrrev_i32_e32 v1, 31, v11
	v_and_b32_e32 v21, 0x54442d18, v1
	v_and_b32_e32 v1, 0x400921fb, v1
	v_add_f64_e64 v[34:35], v[34:35], -v[42:43]
	v_fmac_f64_e32 v[44:45], v[44:45], v[52:53]
	v_add_f64_e32 v[46:47], v[50:51], v[48:49]
	v_mul_f64_e32 v[52:53], 0x3fe62e42fefa39ef, v[54:55]
	s_delay_alu instid0(VALU_DEP_4) | instskip(NEXT) | instid1(VALU_DEP_3)
	v_ldexp_f64 v[34:35], v[34:35], 1
	v_add_f64_e64 v[42:43], v[46:47], -v[50:51]
	v_mul_f64_e32 v[50:51], v[56:57], v[44:45]
	s_delay_alu instid0(VALU_DEP_4) | instskip(NEXT) | instid1(VALU_DEP_3)
	v_fma_f64 v[58:59], v[54:55], s[28:29], -v[52:53]
	v_add_f64_e64 v[42:43], v[48:49], -v[42:43]
	s_delay_alu instid0(VALU_DEP_3) | instskip(NEXT) | instid1(VALU_DEP_3)
	v_fma_f64 v[40:41], -v[40:41], v[50:51], v[56:57]
	v_fmac_f64_e32 v[58:59], 0x3c7abc9e3b39803f, v[54:55]
	s_delay_alu instid0(VALU_DEP_3) | instskip(NEXT) | instid1(VALU_DEP_3)
	v_add_f64_e32 v[34:35], v[34:35], v[42:43]
	v_div_fmas_f64 v[40:41], v[40:41], v[44:45], v[50:51]
	s_delay_alu instid0(VALU_DEP_3)
	v_add_f64_e32 v[42:43], v[52:53], v[58:59]
	v_cmp_gt_i32_e32 vcc_lo, 0, v11
	v_cndmask_b32_e32 v8, 0x54442d18, v62, vcc_lo
	v_add_f64_e32 v[44:45], v[46:47], v[34:35]
	v_div_fixup_f64 v[6:7], v[40:41], v[36:37], v[6:7]
	v_add_f64_e64 v[52:53], v[42:43], -v[52:53]
	s_delay_alu instid0(VALU_DEP_3) | instskip(NEXT) | instid1(VALU_DEP_3)
	v_add_f64_e32 v[36:37], v[42:43], v[44:45]
	v_mul_f64_e32 v[40:41], v[6:7], v[6:7]
	v_add_f64_e64 v[46:47], v[44:45], -v[46:47]
	s_delay_alu instid0(VALU_DEP_4) | instskip(NEXT) | instid1(VALU_DEP_4)
	v_add_f64_e64 v[52:53], v[58:59], -v[52:53]
	v_add_f64_e64 v[48:49], v[36:37], -v[42:43]
	s_delay_alu instid0(VALU_DEP_4) | instskip(NEXT) | instid1(VALU_DEP_4)
	v_fmamk_f64 v[50:51], v[40:41], 0x3eeba404b5e68a13, v[24:25]
	v_add_f64_e64 v[34:35], v[34:35], -v[46:47]
	s_delay_alu instid0(VALU_DEP_2) | instskip(NEXT) | instid1(VALU_DEP_1)
	v_fmaak_f64 v[50:51], v[40:41], v[50:51], 0x3f4b2bb069efb384
	v_fmaak_f64 v[50:51], v[40:41], v[50:51], 0xbf67952daf56de9b
	s_delay_alu instid0(VALU_DEP_1) | instskip(NEXT) | instid1(VALU_DEP_1)
	v_fmaak_f64 v[50:51], v[40:41], v[50:51], 0x3f7d6d43a595c56f
	v_fmaak_f64 v[50:51], v[40:41], v[50:51], 0xbf8c6ea4a57d9582
	v_add_f64_e64 v[54:55], v[36:37], -v[48:49]
	v_add_f64_e64 v[44:45], v[44:45], -v[48:49]
	v_add_f64_e32 v[48:49], v[52:53], v[34:35]
	s_delay_alu instid0(VALU_DEP_4) | instskip(NEXT) | instid1(VALU_DEP_1)
	v_fmaak_f64 v[50:51], v[40:41], v[50:51], 0x3f967e295f08b19f
	v_fmaak_f64 v[46:47], v[40:41], v[50:51], 0xbf9e9ae6fc27006a
	s_delay_alu instid0(VALU_DEP_1) | instskip(NEXT) | instid1(VALU_DEP_1)
	v_fmaak_f64 v[46:47], v[40:41], v[46:47], 0x3fa2c15b5711927a
	v_fmaak_f64 v[46:47], v[40:41], v[46:47], 0xbfa59976e82d3ff0
	s_delay_alu instid0(VALU_DEP_1) | instskip(SKIP_1) | instid1(VALU_DEP_2)
	v_fmaak_f64 v[46:47], v[40:41], v[46:47], 0x3fa82d5d6ef28734
	v_add_f64_e64 v[42:43], v[42:43], -v[54:55]
	v_fmaak_f64 v[46:47], v[40:41], v[46:47], 0xbfaae5ce6a214619
	s_delay_alu instid0(VALU_DEP_2) | instskip(NEXT) | instid1(VALU_DEP_2)
	v_add_f64_e32 v[42:43], v[44:45], v[42:43]
	v_fmaak_f64 v[44:45], v[40:41], v[46:47], 0x3fae1bb48427b883
	v_add_f64_e64 v[46:47], v[48:49], -v[52:53]
	s_delay_alu instid0(VALU_DEP_2) | instskip(NEXT) | instid1(VALU_DEP_1)
	v_fmaak_f64 v[44:45], v[40:41], v[44:45], 0xbfb110e48b207f05
	v_fmaak_f64 v[44:45], v[40:41], v[44:45], 0x3fb3b13657b87036
	s_delay_alu instid0(VALU_DEP_1) | instskip(NEXT) | instid1(VALU_DEP_1)
	v_fmaak_f64 v[44:45], v[40:41], v[44:45], 0xbfb745d119378e4f
	v_fmaak_f64 v[44:45], v[40:41], v[44:45], 0x3fbc71c717e1913c
	v_add_f64_e32 v[42:43], v[48:49], v[42:43]
	v_add_f64_e64 v[34:35], v[34:35], -v[46:47]
	s_delay_alu instid0(VALU_DEP_3) | instskip(NEXT) | instid1(VALU_DEP_1)
	v_fmaak_f64 v[44:45], v[40:41], v[44:45], 0xbfc2492492376b7d
	v_fmaak_f64 v[44:45], v[40:41], v[44:45], 0x3fc99999999952cc
	s_delay_alu instid0(VALU_DEP_1) | instskip(NEXT) | instid1(VALU_DEP_1)
	v_fmaak_f64 v[44:45], v[40:41], v[44:45], 0xbfd5555555555523
	v_mul_f64_e32 v[40:41], v[40:41], v[44:45]
	v_add_f64_e64 v[44:45], v[48:49], -v[46:47]
	v_add_f64_e32 v[48:49], v[36:37], v[42:43]
	s_delay_alu instid0(VALU_DEP_3) | instskip(NEXT) | instid1(VALU_DEP_3)
	v_fmac_f64_e32 v[6:7], v[6:7], v[40:41]
	v_add_f64_e64 v[40:41], v[52:53], -v[44:45]
	s_delay_alu instid0(VALU_DEP_3) | instskip(NEXT) | instid1(VALU_DEP_3)
	v_add_f64_e64 v[36:37], v[48:49], -v[36:37]
	v_add_f64_e64 v[44:45], -v[6:7], s[30:31]
	s_delay_alu instid0(VALU_DEP_3) | instskip(NEXT) | instid1(VALU_DEP_3)
	v_add_f64_e32 v[34:35], v[34:35], v[40:41]
	v_add_f64_e64 v[36:37], v[42:43], -v[36:37]
	s_delay_alu instid0(VALU_DEP_3) | instskip(NEXT) | instid1(VALU_DEP_2)
	v_dual_cndmask_b32 v7, v7, v45, s2 :: v_dual_cndmask_b32 v6, v6, v44, s2
	v_add_f64_e32 v[34:35], v[34:35], v[36:37]
	s_delay_alu instid0(VALU_DEP_2) | instskip(NEXT) | instid1(VALU_DEP_1)
	v_add_f64_e64 v[36:37], -v[6:7], s[34:35]
	v_dual_add_f64 v[34:35], v[48:49], v[34:35] :: v_dual_cndmask_b32 v6, v6, v36, vcc_lo
	v_cndmask_b32_e32 v36, 0x3fe921fb, v63, vcc_lo
	s_delay_alu instid0(VALU_DEP_3) | instskip(SKIP_1) | instid1(VALU_DEP_4)
	v_cndmask_b32_e32 v7, v7, v37, vcc_lo
	v_cmp_ngt_f64_e32 vcc_lo, 0, v[38:39]
	v_cndmask_b32_e64 v21, v6, v21, s4
	s_delay_alu instid0(VALU_DEP_4) | instskip(NEXT) | instid1(VALU_DEP_4)
	v_bfi_b32 v36, 0x7fffffff, v36, v13
	v_dual_cndmask_b32 v1, v7, v1, s4 :: v_dual_cndmask_b32 v34, v34, v38, s3
	v_cndmask_b32_e64 v35, v35, v39, s3
	v_cmp_nge_f64_e64 s3, 0, v[38:39]
	s_delay_alu instid0(VALU_DEP_2) | instskip(SKIP_1) | instid1(SALU_CYCLE_1)
	v_cndmask_b32_e32 v7, 0x7ff80000, v35, vcc_lo
	s_and_b32 vcc_lo, s6, s7
	v_dual_cndmask_b32 v35, v1, v36, vcc_lo :: v_dual_cndmask_b32 v6, 0, v34, s3
	v_cmp_neq_f64_e64 s3, 0, v[38:39]
	v_cndmask_b32_e32 v34, v21, v8, vcc_lo
	s_delay_alu instid0(VALU_DEP_2)
	v_cndmask_b32_e64 v7, 0xfff00000, v7, s3
.LBB179_56:                             ;   in Loop: Header=BB179_5 Depth=1
	s_or_b32 exec_lo, exec_lo, s5
                                        ; implicit-def: $vgpr38_vgpr39
.LBB179_57:                             ;   in Loop: Header=BB179_5 Depth=1
	s_and_not1_saveexec_b32 s5, s48
	s_cbranch_execz .LBB179_63
; %bb.58:                               ;   in Loop: Header=BB179_5 Depth=1
                                        ; implicit-def: $vgpr6_vgpr7
                                        ; implicit-def: $vgpr34_vgpr35
	s_mov_b32 s3, exec_lo
	v_cmpx_ngt_f64_e32 s[38:39], v[38:39]
	s_xor_b32 s6, exec_lo, s3
	s_cbranch_execz .LBB179_60
; %bb.59:                               ;   in Loop: Header=BB179_5 Depth=1
	v_mul_f64_e32 v[6:7], v[38:39], v[38:39]
	v_cmp_eq_f64_e64 s3, 0, v[12:13]
	v_cmp_class_f64_e64 s7, v[12:13], 0x204
	v_cmp_class_f64_e64 s8, v[10:11], 0x204
	s_delay_alu instid0(VALU_DEP_4) | instskip(NEXT) | instid1(VALU_DEP_1)
	v_add_f64_e32 v[34:35], 1.0, v[6:7]
	v_frexp_mant_f64_e32 v[36:37], v[34:35]
	v_frexp_exp_i32_f64_e32 v1, v[34:35]
	v_add_f64_e32 v[38:39], -1.0, v[34:35]
	s_delay_alu instid0(VALU_DEP_3) | instskip(NEXT) | instid1(VALU_DEP_3)
	v_cmp_gt_f64_e32 vcc_lo, s[26:27], v[36:37]
	v_subrev_co_ci_u32_e64 v1, null, 0, v1, vcc_lo
	s_delay_alu instid0(VALU_DEP_1) | instskip(SKIP_3) | instid1(VALU_DEP_4)
	v_sub_nc_u32_e32 v8, 0, v1
	v_cmp_neq_f64_e64 s4, 0x7ff00000, v[6:7]
	v_add_f64_e64 v[36:37], v[38:39], -v[34:35]
	v_add_f64_e64 v[38:39], v[6:7], -v[38:39]
	v_ldexp_f64 v[34:35], v[34:35], v8
	s_delay_alu instid0(VALU_DEP_3) | instskip(NEXT) | instid1(VALU_DEP_2)
	v_add_f64_e32 v[36:37], 1.0, v[36:37]
	v_add_f64_e32 v[40:41], 1.0, v[34:35]
	v_add_f64_e32 v[46:47], -1.0, v[34:35]
	s_delay_alu instid0(VALU_DEP_3) | instskip(NEXT) | instid1(VALU_DEP_3)
	v_add_f64_e32 v[36:37], v[38:39], v[36:37]
	v_add_f64_e32 v[38:39], -1.0, v[40:41]
	s_delay_alu instid0(VALU_DEP_3) | instskip(NEXT) | instid1(VALU_DEP_3)
	v_add_f64_e32 v[48:49], 1.0, v[46:47]
	v_ldexp_f64 v[36:37], v[36:37], v8
	s_delay_alu instid0(VALU_DEP_3) | instskip(NEXT) | instid1(VALU_DEP_3)
	v_add_f64_e64 v[38:39], v[34:35], -v[38:39]
	v_add_f64_e64 v[34:35], v[34:35], -v[48:49]
	s_delay_alu instid0(VALU_DEP_2) | instskip(NEXT) | instid1(VALU_DEP_2)
	v_add_f64_e32 v[38:39], v[36:37], v[38:39]
	v_add_f64_e32 v[34:35], v[36:37], v[34:35]
	s_delay_alu instid0(VALU_DEP_2) | instskip(NEXT) | instid1(VALU_DEP_2)
	v_add_f64_e32 v[42:43], v[40:41], v[38:39]
	v_add_f64_e32 v[48:49], v[46:47], v[34:35]
	s_delay_alu instid0(VALU_DEP_2) | instskip(SKIP_1) | instid1(VALU_DEP_2)
	v_rcp_f64_e32 v[44:45], v[42:43]
	v_add_f64_e64 v[40:41], v[40:41], -v[42:43]
	v_add_f64_e64 v[46:47], v[46:47], -v[48:49]
	s_delay_alu instid0(VALU_DEP_2) | instskip(NEXT) | instid1(VALU_DEP_2)
	v_add_f64_e32 v[38:39], v[38:39], v[40:41]
	v_add_f64_e32 v[34:35], v[34:35], v[46:47]
	s_delay_alu instid0(TRANS32_DEP_1) | instskip(NEXT) | instid1(VALU_DEP_1)
	v_fma_f64 v[50:51], -v[42:43], v[44:45], 1.0
	v_fmac_f64_e32 v[44:45], v[50:51], v[44:45]
	s_delay_alu instid0(VALU_DEP_1) | instskip(NEXT) | instid1(VALU_DEP_1)
	v_fma_f64 v[36:37], -v[42:43], v[44:45], 1.0
	v_fmac_f64_e32 v[44:45], v[36:37], v[44:45]
	s_delay_alu instid0(VALU_DEP_1) | instskip(NEXT) | instid1(VALU_DEP_1)
	v_mul_f64_e32 v[36:37], v[48:49], v[44:45]
	v_mul_f64_e32 v[50:51], v[42:43], v[36:37]
	s_delay_alu instid0(VALU_DEP_1) | instskip(NEXT) | instid1(VALU_DEP_1)
	v_fma_f64 v[40:41], v[36:37], v[42:43], -v[50:51]
	v_fmac_f64_e32 v[40:41], v[36:37], v[38:39]
	s_delay_alu instid0(VALU_DEP_1) | instskip(NEXT) | instid1(VALU_DEP_1)
	v_add_f64_e32 v[52:53], v[50:51], v[40:41]
	v_add_f64_e64 v[54:55], v[48:49], -v[52:53]
	v_add_f64_e64 v[46:47], v[52:53], -v[50:51]
	s_delay_alu instid0(VALU_DEP_2) | instskip(NEXT) | instid1(VALU_DEP_2)
	v_add_f64_e64 v[48:49], v[48:49], -v[54:55]
	v_add_f64_e64 v[40:41], v[46:47], -v[40:41]
	s_delay_alu instid0(VALU_DEP_2) | instskip(NEXT) | instid1(VALU_DEP_1)
	v_add_f64_e64 v[48:49], v[48:49], -v[52:53]
	v_add_f64_e32 v[34:35], v[34:35], v[48:49]
	s_delay_alu instid0(VALU_DEP_1) | instskip(NEXT) | instid1(VALU_DEP_1)
	v_add_f64_e32 v[34:35], v[40:41], v[34:35]
	v_add_f64_e32 v[40:41], v[54:55], v[34:35]
	s_delay_alu instid0(VALU_DEP_1) | instskip(SKIP_1) | instid1(VALU_DEP_2)
	v_mul_f64_e32 v[46:47], v[44:45], v[40:41]
	v_add_f64_e64 v[52:53], v[54:55], -v[40:41]
	v_mul_f64_e32 v[48:49], v[42:43], v[46:47]
	s_delay_alu instid0(VALU_DEP_2) | instskip(NEXT) | instid1(VALU_DEP_2)
	v_add_f64_e32 v[34:35], v[34:35], v[52:53]
	v_fma_f64 v[42:43], v[46:47], v[42:43], -v[48:49]
	s_delay_alu instid0(VALU_DEP_1) | instskip(NEXT) | instid1(VALU_DEP_1)
	v_fmac_f64_e32 v[42:43], v[46:47], v[38:39]
	v_add_f64_e32 v[38:39], v[48:49], v[42:43]
	s_delay_alu instid0(VALU_DEP_1) | instskip(SKIP_1) | instid1(VALU_DEP_2)
	v_add_f64_e64 v[50:51], v[40:41], -v[38:39]
	v_add_f64_e64 v[48:49], v[38:39], -v[48:49]
	;; [unrolled: 1-line block ×3, first 2 shown]
	s_delay_alu instid0(VALU_DEP_1) | instskip(NEXT) | instid1(VALU_DEP_3)
	v_add_f64_e64 v[38:39], v[40:41], -v[38:39]
	v_add_f64_e64 v[40:41], v[48:49], -v[42:43]
	v_max_num_f64_e64 v[42:43], |v[10:11]|, |v[10:11]|
	s_delay_alu instid0(VALU_DEP_3) | instskip(SKIP_1) | instid1(VALU_DEP_2)
	v_add_f64_e32 v[34:35], v[34:35], v[38:39]
	v_add_f64_e32 v[38:39], v[36:37], v[46:47]
	;; [unrolled: 1-line block ×3, first 2 shown]
	s_delay_alu instid0(VALU_DEP_2) | instskip(SKIP_1) | instid1(VALU_DEP_3)
	v_add_f64_e64 v[36:37], v[38:39], -v[36:37]
	v_max_num_f64_e64 v[40:41], |v[12:13]|, |v[12:13]|
	v_add_f64_e32 v[34:35], v[50:51], v[34:35]
	s_delay_alu instid0(VALU_DEP_3) | instskip(NEXT) | instid1(VALU_DEP_2)
	v_add_f64_e64 v[36:37], v[46:47], -v[36:37]
	v_mul_f64_e32 v[34:35], v[44:45], v[34:35]
	s_delay_alu instid0(VALU_DEP_1) | instskip(SKIP_2) | instid1(VALU_DEP_3)
	v_add_f64_e32 v[34:35], v[36:37], v[34:35]
	v_max_num_f64_e32 v[36:37], v[42:43], v[40:41]
	v_min_num_f64_e32 v[40:41], v[42:43], v[40:41]
	v_add_f64_e32 v[42:43], v[38:39], v[34:35]
	s_delay_alu instid0(VALU_DEP_2) | instskip(NEXT) | instid1(VALU_DEP_2)
	v_div_scale_f64 v[44:45], null, v[36:37], v[36:37], v[40:41]
	v_mul_f64_e32 v[46:47], v[42:43], v[42:43]
	v_add_f64_e64 v[38:39], v[42:43], -v[38:39]
	s_delay_alu instid0(VALU_DEP_3) | instskip(NEXT) | instid1(VALU_DEP_2)
	v_rcp_f64_e32 v[48:49], v[44:45]
	v_fmamk_f64 v[50:51], v[46:47], 0x3fc3ab76bf559e2b, v[22:23]
	v_mul_f64_e32 v[52:53], v[42:43], v[46:47]
	s_delay_alu instid0(VALU_DEP_3) | instskip(NEXT) | instid1(VALU_DEP_3)
	v_add_f64_e64 v[34:35], v[34:35], -v[38:39]
	v_fmaak_f64 v[50:51], v[46:47], v[50:51], 0x3fc7474dd7f4df2e
	s_delay_alu instid0(TRANS32_DEP_1) | instskip(NEXT) | instid1(VALU_DEP_2)
	v_fma_f64 v[54:55], -v[44:45], v[48:49], 1.0
	v_fmaak_f64 v[50:51], v[46:47], v[50:51], 0x3fcc71c016291751
	s_delay_alu instid0(VALU_DEP_1) | instskip(NEXT) | instid1(VALU_DEP_1)
	v_fmaak_f64 v[50:51], v[46:47], v[50:51], 0x3fd249249b27acf1
	v_fmaak_f64 v[50:51], v[46:47], v[50:51], 0x3fd99999998ef7b6
	v_ldexp_f64 v[34:35], v[34:35], 1
	s_delay_alu instid0(VALU_DEP_2) | instskip(SKIP_2) | instid1(VALU_DEP_3)
	v_fmaak_f64 v[46:47], v[46:47], v[50:51], 0x3fe5555555555780
	v_ldexp_f64 v[50:51], v[42:43], 1
	v_fmac_f64_e32 v[48:49], v[48:49], v[54:55]
	v_mul_f64_e32 v[46:47], v[52:53], v[46:47]
	v_cvt_f64_i32_e32 v[52:53], v1
	v_ashrrev_i32_e32 v1, 31, v11
	s_delay_alu instid0(VALU_DEP_1) | instskip(SKIP_4) | instid1(VALU_DEP_3)
	v_and_b32_e32 v21, 0x54442d18, v1
	v_and_b32_e32 v1, 0x400921fb, v1
	v_fma_f64 v[54:55], -v[44:45], v[48:49], 1.0
	v_add_f64_e32 v[42:43], v[50:51], v[46:47]
	v_mul_f64_e32 v[56:57], 0x3fe62e42fefa39ef, v[52:53]
	v_fmac_f64_e32 v[48:49], v[48:49], v[54:55]
	s_delay_alu instid0(VALU_DEP_3) | instskip(SKIP_1) | instid1(VALU_DEP_4)
	v_add_f64_e64 v[38:39], v[42:43], -v[50:51]
	v_div_scale_f64 v[50:51], vcc_lo, v[40:41], v[36:37], v[40:41]
	v_fma_f64 v[54:55], v[52:53], s[28:29], -v[56:57]
	s_delay_alu instid0(VALU_DEP_3) | instskip(NEXT) | instid1(VALU_DEP_3)
	v_add_f64_e64 v[38:39], v[46:47], -v[38:39]
	v_mul_f64_e32 v[46:47], v[50:51], v[48:49]
	s_delay_alu instid0(VALU_DEP_3) | instskip(NEXT) | instid1(VALU_DEP_3)
	v_fmac_f64_e32 v[54:55], 0x3c7abc9e3b39803f, v[52:53]
	v_add_f64_e32 v[34:35], v[34:35], v[38:39]
	s_delay_alu instid0(VALU_DEP_3) | instskip(NEXT) | instid1(VALU_DEP_3)
	v_fma_f64 v[38:39], -v[44:45], v[46:47], v[50:51]
	v_add_f64_e32 v[44:45], v[56:57], v[54:55]
	s_delay_alu instid0(VALU_DEP_3) | instskip(NEXT) | instid1(VALU_DEP_3)
	v_add_f64_e32 v[50:51], v[42:43], v[34:35]
	v_div_fmas_f64 v[38:39], v[38:39], v[48:49], v[46:47]
	v_cmp_gt_i32_e32 vcc_lo, 0, v11
	s_delay_alu instid0(VALU_DEP_4) | instskip(SKIP_2) | instid1(VALU_DEP_2)
	v_add_f64_e64 v[48:49], v[44:45], -v[56:57]
	v_cndmask_b32_e32 v6, 0x3fe921fb, v63, vcc_lo
	v_cndmask_b32_e32 v8, 0x54442d18, v62, vcc_lo
	v_bfi_b32 v6, 0x7fffffff, v6, v13
	v_add_f64_e32 v[46:47], v[44:45], v[50:51]
	v_div_fixup_f64 v[36:37], v[38:39], v[36:37], v[40:41]
	v_add_f64_e64 v[42:43], v[50:51], -v[42:43]
	v_add_f64_e64 v[48:49], v[54:55], -v[48:49]
	s_delay_alu instid0(VALU_DEP_4) | instskip(NEXT) | instid1(VALU_DEP_4)
	v_add_f64_e64 v[38:39], v[46:47], -v[44:45]
	v_mul_f64_e32 v[40:41], v[36:37], v[36:37]
	s_delay_alu instid0(VALU_DEP_4) | instskip(NEXT) | instid1(VALU_DEP_3)
	v_add_f64_e64 v[34:35], v[34:35], -v[42:43]
	v_add_f64_e64 v[52:53], v[46:47], -v[38:39]
	s_delay_alu instid0(VALU_DEP_3) | instskip(SKIP_1) | instid1(VALU_DEP_4)
	v_fmamk_f64 v[56:57], v[40:41], 0x3eeba404b5e68a13, v[24:25]
	v_add_f64_e64 v[38:39], v[50:51], -v[38:39]
	v_add_f64_e32 v[50:51], v[48:49], v[34:35]
	s_delay_alu instid0(VALU_DEP_3) | instskip(NEXT) | instid1(VALU_DEP_1)
	v_fmaak_f64 v[56:57], v[40:41], v[56:57], 0x3f4b2bb069efb384
	v_fmaak_f64 v[56:57], v[40:41], v[56:57], 0xbf67952daf56de9b
	v_add_f64_e64 v[42:43], v[44:45], -v[52:53]
	s_delay_alu instid0(VALU_DEP_2) | instskip(NEXT) | instid1(VALU_DEP_1)
	v_fmaak_f64 v[44:45], v[40:41], v[56:57], 0x3f7d6d43a595c56f
	v_fmaak_f64 v[44:45], v[40:41], v[44:45], 0xbf8c6ea4a57d9582
	s_delay_alu instid0(VALU_DEP_1) | instskip(NEXT) | instid1(VALU_DEP_1)
	v_fmaak_f64 v[44:45], v[40:41], v[44:45], 0x3f967e295f08b19f
	v_fmaak_f64 v[44:45], v[40:41], v[44:45], 0xbf9e9ae6fc27006a
	s_delay_alu instid0(VALU_DEP_1) | instskip(SKIP_1) | instid1(VALU_DEP_2)
	v_fmaak_f64 v[44:45], v[40:41], v[44:45], 0x3fa2c15b5711927a
	v_add_f64_e32 v[38:39], v[38:39], v[42:43]
	v_fmaak_f64 v[42:43], v[40:41], v[44:45], 0xbfa59976e82d3ff0
	v_add_f64_e64 v[44:45], v[50:51], -v[48:49]
	s_delay_alu instid0(VALU_DEP_2) | instskip(NEXT) | instid1(VALU_DEP_1)
	v_fmaak_f64 v[42:43], v[40:41], v[42:43], 0x3fa82d5d6ef28734
	v_fmaak_f64 v[42:43], v[40:41], v[42:43], 0xbfaae5ce6a214619
	s_delay_alu instid0(VALU_DEP_1) | instskip(NEXT) | instid1(VALU_DEP_1)
	v_fmaak_f64 v[42:43], v[40:41], v[42:43], 0x3fae1bb48427b883
	v_fmaak_f64 v[42:43], v[40:41], v[42:43], 0xbfb110e48b207f05
	v_add_f64_e32 v[38:39], v[50:51], v[38:39]
	v_add_f64_e64 v[50:51], v[50:51], -v[44:45]
	v_add_f64_e64 v[34:35], v[34:35], -v[44:45]
	s_delay_alu instid0(VALU_DEP_4) | instskip(NEXT) | instid1(VALU_DEP_1)
	v_fmaak_f64 v[42:43], v[40:41], v[42:43], 0x3fb3b13657b87036
	v_fmaak_f64 v[42:43], v[40:41], v[42:43], 0xbfb745d119378e4f
	s_delay_alu instid0(VALU_DEP_1) | instskip(NEXT) | instid1(VALU_DEP_1)
	v_fmaak_f64 v[42:43], v[40:41], v[42:43], 0x3fbc71c717e1913c
	v_fmaak_f64 v[42:43], v[40:41], v[42:43], 0xbfc2492492376b7d
	v_add_f64_e32 v[52:53], v[46:47], v[38:39]
	s_delay_alu instid0(VALU_DEP_2) | instskip(NEXT) | instid1(VALU_DEP_1)
	v_fmaak_f64 v[42:43], v[40:41], v[42:43], 0x3fc99999999952cc
	v_fmaak_f64 v[42:43], v[40:41], v[42:43], 0xbfd5555555555523
	s_delay_alu instid0(VALU_DEP_1) | instskip(SKIP_2) | instid1(VALU_DEP_3)
	v_mul_f64_e32 v[40:41], v[40:41], v[42:43]
	v_add_f64_e64 v[42:43], v[48:49], -v[50:51]
	v_add_f64_e64 v[44:45], v[52:53], -v[46:47]
	v_fmac_f64_e32 v[36:37], v[36:37], v[40:41]
	s_delay_alu instid0(VALU_DEP_3) | instskip(NEXT) | instid1(VALU_DEP_3)
	v_add_f64_e32 v[34:35], v[34:35], v[42:43]
	v_add_f64_e64 v[38:39], v[38:39], -v[44:45]
	s_delay_alu instid0(VALU_DEP_3) | instskip(NEXT) | instid1(VALU_DEP_1)
	v_add_f64_e64 v[40:41], -v[36:37], s[30:31]
	v_dual_add_f64 v[34:35], v[34:35], v[38:39] :: v_dual_cndmask_b32 v37, v37, v41, s2
	s_delay_alu instid0(VALU_DEP_2) | instskip(NEXT) | instid1(VALU_DEP_1)
	v_cndmask_b32_e64 v36, v36, v40, s2
	v_add_f64_e64 v[38:39], -v[36:37], s[34:35]
	s_delay_alu instid0(VALU_DEP_3) | instskip(NEXT) | instid1(VALU_DEP_2)
	v_add_f64_e32 v[34:35], v[52:53], v[34:35]
	v_dual_cndmask_b32 v36, v36, v38 :: v_dual_cndmask_b32 v7, v37, v39
	s_and_b32 vcc_lo, s8, s7
                                        ; implicit-def: $vgpr38_vgpr39
	s_delay_alu instid0(VALU_DEP_1) | instskip(NEXT) | instid1(VALU_DEP_2)
	v_cndmask_b32_e64 v21, v36, v21, s3
	v_dual_mul_f64 v[40:41], 0.5, v[34:35] :: v_dual_cndmask_b32 v1, v7, v1, s3
	s_delay_alu instid0(VALU_DEP_1) | instskip(NEXT) | instid1(VALU_DEP_3)
	v_cndmask_b32_e32 v35, v1, v6, vcc_lo
	v_cndmask_b32_e32 v34, v21, v8, vcc_lo
	s_delay_alu instid0(VALU_DEP_3) | instskip(NEXT) | instid1(VALU_DEP_4)
	v_cndmask_b32_e64 v7, 0x7ff00000, v41, s4
	v_cndmask_b32_e64 v6, 0, v40, s4
.LBB179_60:                             ;   in Loop: Header=BB179_5 Depth=1
	s_and_not1_saveexec_b32 s4, s6
	s_cbranch_execz .LBB179_62
; %bb.61:                               ;   in Loop: Header=BB179_5 Depth=1
	v_max_num_f64_e64 v[6:7], |v[12:13]|, |v[12:13]|
	v_max_num_f64_e64 v[34:35], |v[10:11]|, |v[10:11]|
	v_cmp_eq_f64_e64 s3, 0, v[12:13]
	v_cmp_class_f64_e64 s6, v[12:13], 0x204
	v_cmp_class_f64_e64 s7, v[10:11], 0x204
	v_ashrrev_i32_e32 v1, 31, v11
	s_delay_alu instid0(VALU_DEP_1) | instskip(SKIP_3) | instid1(VALU_DEP_1)
	v_and_b32_e32 v21, 0x54442d18, v1
	v_and_b32_e32 v1, 0x400921fb, v1
	v_max_num_f64_e32 v[36:37], v[34:35], v[6:7]
	v_min_num_f64_e32 v[6:7], v[34:35], v[6:7]
	v_div_scale_f64 v[34:35], null, v[36:37], v[36:37], v[6:7]
	v_div_scale_f64 v[44:45], vcc_lo, v[6:7], v[36:37], v[6:7]
	s_delay_alu instid0(VALU_DEP_2) | instskip(SKIP_1) | instid1(TRANS32_DEP_1)
	v_rcp_f64_e32 v[40:41], v[34:35]
	v_nop
	v_fma_f64 v[42:43], -v[34:35], v[40:41], 1.0
	s_delay_alu instid0(VALU_DEP_1) | instskip(NEXT) | instid1(VALU_DEP_1)
	v_fmac_f64_e32 v[40:41], v[40:41], v[42:43]
	v_fma_f64 v[42:43], -v[34:35], v[40:41], 1.0
	s_delay_alu instid0(VALU_DEP_1) | instskip(NEXT) | instid1(VALU_DEP_1)
	v_fmac_f64_e32 v[40:41], v[40:41], v[42:43]
	v_mul_f64_e32 v[42:43], v[44:45], v[40:41]
	s_delay_alu instid0(VALU_DEP_1) | instskip(NEXT) | instid1(VALU_DEP_1)
	v_fma_f64 v[34:35], -v[34:35], v[42:43], v[44:45]
	v_div_fmas_f64 v[34:35], v[34:35], v[40:41], v[42:43]
	v_cmp_gt_i32_e32 vcc_lo, 0, v11
	v_cndmask_b32_e32 v8, 0x54442d18, v62, vcc_lo
	s_delay_alu instid0(VALU_DEP_3) | instskip(NEXT) | instid1(VALU_DEP_1)
	v_div_fixup_f64 v[6:7], v[34:35], v[36:37], v[6:7]
	v_mul_f64_e32 v[34:35], v[6:7], v[6:7]
	s_delay_alu instid0(VALU_DEP_1) | instskip(NEXT) | instid1(VALU_DEP_1)
	v_fmamk_f64 v[36:37], v[34:35], 0x3eeba404b5e68a13, v[24:25]
	v_fmaak_f64 v[36:37], v[34:35], v[36:37], 0x3f4b2bb069efb384
	s_delay_alu instid0(VALU_DEP_1) | instskip(NEXT) | instid1(VALU_DEP_1)
	v_fmaak_f64 v[36:37], v[34:35], v[36:37], 0xbf67952daf56de9b
	v_fmaak_f64 v[36:37], v[34:35], v[36:37], 0x3f7d6d43a595c56f
	s_delay_alu instid0(VALU_DEP_1) | instskip(NEXT) | instid1(VALU_DEP_1)
	v_fmaak_f64 v[36:37], v[34:35], v[36:37], 0xbf8c6ea4a57d9582
	;; [unrolled: 3-line block ×9, first 2 shown]
	v_mul_f64_e32 v[34:35], v[34:35], v[36:37]
	s_delay_alu instid0(VALU_DEP_1) | instskip(NEXT) | instid1(VALU_DEP_1)
	v_fmac_f64_e32 v[6:7], v[6:7], v[34:35]
	v_add_f64_e64 v[34:35], -v[6:7], s[30:31]
	s_delay_alu instid0(VALU_DEP_1) | instskip(NEXT) | instid1(VALU_DEP_1)
	v_dual_cndmask_b32 v35, v7, v35, s2 :: v_dual_cndmask_b32 v34, v6, v34, s2
	v_add_f64_e64 v[36:37], -v[34:35], s[34:35]
	s_delay_alu instid0(VALU_DEP_1) | instskip(NEXT) | instid1(VALU_DEP_2)
	v_dual_mul_f64 v[6:7], 0.5, v[38:39] :: v_dual_cndmask_b32 v35, v35, v37, vcc_lo
	v_cndmask_b32_e32 v34, v34, v36, vcc_lo
	v_cndmask_b32_e32 v36, 0x3fe921fb, v63, vcc_lo
	s_and_b32 vcc_lo, s7, s6
	s_delay_alu instid0(VALU_DEP_3) | instskip(NEXT) | instid1(VALU_DEP_3)
	v_cndmask_b32_e64 v1, v35, v1, s3
	v_cndmask_b32_e64 v21, v34, v21, s3
	s_delay_alu instid0(VALU_DEP_3) | instskip(NEXT) | instid1(VALU_DEP_2)
	v_bfi_b32 v36, 0x7fffffff, v36, v13
	v_cndmask_b32_e32 v34, v21, v8, vcc_lo
	s_delay_alu instid0(VALU_DEP_2)
	v_dual_mul_f64 v[6:7], v[38:39], v[6:7] :: v_dual_cndmask_b32 v35, v1, v36, vcc_lo
.LBB179_62:                             ;   in Loop: Header=BB179_5 Depth=1
	s_or_b32 exec_lo, exec_lo, s4
.LBB179_63:                             ;   in Loop: Header=BB179_5 Depth=1
	s_delay_alu instid0(SALU_CYCLE_1)
	s_or_b32 exec_lo, exec_lo, s5
.LBB179_64:                             ;   in Loop: Header=BB179_5 Depth=1
	s_and_not1_saveexec_b32 s4, s47
	s_cbranch_execz .LBB179_66
; %bb.65:                               ;   in Loop: Header=BB179_5 Depth=1
	v_div_scale_f64 v[6:7], null, s[40:41], s[40:41], v[10:11]
	v_div_scale_f64 v[34:35], null, s[40:41], s[40:41], v[12:13]
	v_div_scale_f64 v[44:45], vcc_lo, v[10:11], s[40:41], v[10:11]
	s_delay_alu instid0(VALU_DEP_3) | instskip(NEXT) | instid1(VALU_DEP_2)
	v_rcp_f64_e32 v[36:37], v[6:7]
	v_rcp_f64_e32 v[38:39], v[34:35]
	s_delay_alu instid0(TRANS32_DEP_2) | instskip(NEXT) | instid1(TRANS32_DEP_1)
	v_fma_f64 v[40:41], -v[6:7], v[36:37], 1.0
	v_fma_f64 v[42:43], -v[34:35], v[38:39], 1.0
	s_delay_alu instid0(VALU_DEP_2) | instskip(NEXT) | instid1(VALU_DEP_2)
	v_fmac_f64_e32 v[36:37], v[36:37], v[40:41]
	v_fmac_f64_e32 v[38:39], v[38:39], v[42:43]
	s_delay_alu instid0(VALU_DEP_2) | instskip(NEXT) | instid1(VALU_DEP_2)
	v_fma_f64 v[40:41], -v[6:7], v[36:37], 1.0
	v_fma_f64 v[42:43], -v[34:35], v[38:39], 1.0
	s_delay_alu instid0(VALU_DEP_2) | instskip(SKIP_1) | instid1(VALU_DEP_3)
	v_fmac_f64_e32 v[36:37], v[36:37], v[40:41]
	v_div_scale_f64 v[40:41], s3, v[12:13], s[40:41], v[12:13]
	v_fmac_f64_e32 v[38:39], v[38:39], v[42:43]
	s_delay_alu instid0(VALU_DEP_3) | instskip(NEXT) | instid1(VALU_DEP_2)
	v_mul_f64_e32 v[42:43], v[44:45], v[36:37]
	v_mul_f64_e32 v[46:47], v[40:41], v[38:39]
	s_delay_alu instid0(VALU_DEP_2) | instskip(NEXT) | instid1(VALU_DEP_2)
	v_fma_f64 v[6:7], -v[6:7], v[42:43], v[44:45]
	v_fma_f64 v[34:35], -v[34:35], v[46:47], v[40:41]
	s_delay_alu instid0(VALU_DEP_2) | instskip(SKIP_1) | instid1(VALU_DEP_2)
	v_div_fmas_f64 v[6:7], v[6:7], v[36:37], v[42:43]
	s_mov_b32 vcc_lo, s3
	v_div_fmas_f64 v[34:35], v[34:35], v[38:39], v[46:47]
	s_delay_alu instid0(VALU_DEP_2) | instskip(NEXT) | instid1(VALU_DEP_2)
	v_div_fixup_f64 v[6:7], v[6:7], s[40:41], v[10:11]
	v_div_fixup_f64 v[34:35], v[34:35], s[40:41], v[12:13]
	s_delay_alu instid0(VALU_DEP_2) | instskip(NEXT) | instid1(VALU_DEP_2)
	v_cmp_class_f64_e64 s3, v[6:7], 0x204
	v_max_num_f64_e64 v[36:37], |v[6:7]|, |v[34:35]|
	v_cmp_class_f64_e64 s5, v[34:35], 0x204
	s_delay_alu instid0(VALU_DEP_2) | instskip(SKIP_2) | instid1(VALU_DEP_2)
	v_frexp_exp_i32_f64_e32 v1, v[36:37]
	s_or_b32 s3, s3, s5
	v_cmp_class_f64_e64 s5, v[10:11], 0x204
	v_sub_nc_u32_e32 v8, 0, v1
	s_delay_alu instid0(VALU_DEP_1) | instskip(SKIP_1) | instid1(VALU_DEP_2)
	v_ldexp_f64 v[36:37], |v[34:35]|, v8
	v_ldexp_f64 v[38:39], |v[6:7]|, v8
	v_mul_f64_e32 v[36:37], v[36:37], v[36:37]
	s_delay_alu instid0(VALU_DEP_1) | instskip(NEXT) | instid1(VALU_DEP_1)
	v_fmac_f64_e32 v[36:37], v[38:39], v[38:39]
	v_rsq_f64_e32 v[38:39], v[36:37]
	v_cmp_eq_f64_e32 vcc_lo, 0, v[36:37]
	s_delay_alu instid0(TRANS32_DEP_1) | instskip(SKIP_1) | instid1(VALU_DEP_1)
	v_mul_f64_e32 v[40:41], v[36:37], v[38:39]
	v_mul_f64_e32 v[38:39], 0.5, v[38:39]
	v_fma_f64 v[42:43], -v[38:39], v[40:41], 0.5
	s_delay_alu instid0(VALU_DEP_1) | instskip(SKIP_1) | instid1(VALU_DEP_2)
	v_fmac_f64_e32 v[40:41], v[40:41], v[42:43]
	v_fmac_f64_e32 v[38:39], v[38:39], v[42:43]
	v_fma_f64 v[42:43], -v[40:41], v[40:41], v[36:37]
	s_delay_alu instid0(VALU_DEP_1) | instskip(NEXT) | instid1(VALU_DEP_1)
	v_fmac_f64_e32 v[40:41], v[42:43], v[38:39]
	v_dual_cndmask_b32 v37, v41, v37 :: v_dual_cndmask_b32 v36, v40, v36
	v_cmp_o_f64_e32 vcc_lo, v[6:7], v[34:35]
	s_delay_alu instid0(VALU_DEP_2) | instskip(NEXT) | instid1(VALU_DEP_1)
	v_ldexp_f64 v[36:37], v[36:37], v1
	v_cndmask_b32_e32 v1, 0, v36, vcc_lo
	s_delay_alu instid0(VALU_DEP_2) | instskip(NEXT) | instid1(VALU_DEP_2)
	v_cndmask_b32_e32 v6, 0x7ff80000, v37, vcc_lo
	v_cndmask_b32_e64 v36, v1, 0, s3
	s_delay_alu instid0(VALU_DEP_2) | instskip(SKIP_1) | instid1(VALU_DEP_2)
	v_cndmask_b32_e64 v37, v6, 0x7ff00000, s3
	v_cmp_class_f64_e64 s3, v[12:13], 0x204
	v_frexp_mant_f64_e32 v[6:7], v[36:37]
	s_delay_alu instid0(VALU_DEP_1) | instskip(SKIP_1) | instid1(VALU_DEP_1)
	v_cmp_gt_f64_e32 vcc_lo, s[26:27], v[6:7]
	v_cndmask_b32_e64 v1, 0, 1, vcc_lo
	v_ldexp_f64 v[6:7], v[6:7], v1
	v_frexp_exp_i32_f64_e32 v1, v[36:37]
	s_delay_alu instid0(VALU_DEP_2) | instskip(SKIP_1) | instid1(VALU_DEP_3)
	v_add_f64_e32 v[34:35], 1.0, v[6:7]
	v_add_f64_e32 v[42:43], -1.0, v[6:7]
	v_subrev_co_ci_u32_e64 v1, null, 0, v1, vcc_lo
	s_delay_alu instid0(VALU_DEP_3) | instskip(SKIP_1) | instid1(VALU_DEP_1)
	v_rcp_f64_e32 v[38:39], v[34:35]
	v_add_f64_e32 v[44:45], -1.0, v[34:35]
	v_add_f64_e64 v[6:7], v[6:7], -v[44:45]
	s_delay_alu instid0(TRANS32_DEP_1) | instskip(NEXT) | instid1(VALU_DEP_1)
	v_fma_f64 v[40:41], -v[34:35], v[38:39], 1.0
	v_fmac_f64_e32 v[38:39], v[40:41], v[38:39]
	s_delay_alu instid0(VALU_DEP_1) | instskip(NEXT) | instid1(VALU_DEP_1)
	v_fma_f64 v[40:41], -v[34:35], v[38:39], 1.0
	v_fmac_f64_e32 v[38:39], v[40:41], v[38:39]
	s_delay_alu instid0(VALU_DEP_1) | instskip(NEXT) | instid1(VALU_DEP_1)
	v_mul_f64_e32 v[40:41], v[42:43], v[38:39]
	v_mul_f64_e32 v[46:47], v[34:35], v[40:41]
	s_delay_alu instid0(VALU_DEP_1) | instskip(NEXT) | instid1(VALU_DEP_1)
	v_fma_f64 v[34:35], v[40:41], v[34:35], -v[46:47]
	v_fmac_f64_e32 v[34:35], v[40:41], v[6:7]
	s_delay_alu instid0(VALU_DEP_1) | instskip(NEXT) | instid1(VALU_DEP_1)
	v_add_f64_e32 v[6:7], v[46:47], v[34:35]
	v_add_f64_e64 v[44:45], v[42:43], -v[6:7]
	v_add_f64_e64 v[46:47], v[6:7], -v[46:47]
	s_delay_alu instid0(VALU_DEP_2) | instskip(NEXT) | instid1(VALU_DEP_2)
	v_add_f64_e64 v[42:43], v[42:43], -v[44:45]
	v_add_f64_e64 v[34:35], v[46:47], -v[34:35]
	s_delay_alu instid0(VALU_DEP_2) | instskip(SKIP_1) | instid1(VALU_DEP_2)
	v_add_f64_e64 v[6:7], v[42:43], -v[6:7]
	v_max_num_f64_e64 v[42:43], |v[10:11]|, |v[10:11]|
	v_add_f64_e32 v[6:7], v[34:35], v[6:7]
	v_max_num_f64_e64 v[34:35], |v[12:13]|, |v[12:13]|
	s_delay_alu instid0(VALU_DEP_2) | instskip(NEXT) | instid1(VALU_DEP_1)
	v_add_f64_e32 v[6:7], v[44:45], v[6:7]
	v_mul_f64_e32 v[6:7], v[38:39], v[6:7]
	s_delay_alu instid0(VALU_DEP_3) | instskip(SKIP_1) | instid1(VALU_DEP_3)
	v_max_num_f64_e32 v[38:39], v[42:43], v[34:35]
	v_min_num_f64_e32 v[34:35], v[42:43], v[34:35]
	v_add_f64_e32 v[42:43], v[40:41], v[6:7]
	s_delay_alu instid0(VALU_DEP_2) | instskip(NEXT) | instid1(VALU_DEP_2)
	v_div_scale_f64 v[44:45], null, v[38:39], v[38:39], v[34:35]
	v_mul_f64_e32 v[46:47], v[42:43], v[42:43]
	v_add_f64_e64 v[40:41], v[42:43], -v[40:41]
	s_delay_alu instid0(VALU_DEP_3) | instskip(NEXT) | instid1(VALU_DEP_2)
	v_rcp_f64_e32 v[48:49], v[44:45]
	v_fmamk_f64 v[50:51], v[46:47], 0x3fc3ab76bf559e2b, v[22:23]
	v_mul_f64_e32 v[52:53], v[42:43], v[46:47]
	s_delay_alu instid0(VALU_DEP_3) | instskip(NEXT) | instid1(VALU_DEP_3)
	v_add_f64_e64 v[6:7], v[6:7], -v[40:41]
	v_fmaak_f64 v[50:51], v[46:47], v[50:51], 0x3fc7474dd7f4df2e
	s_delay_alu instid0(TRANS32_DEP_1) | instskip(NEXT) | instid1(VALU_DEP_2)
	v_fma_f64 v[54:55], -v[44:45], v[48:49], 1.0
	v_fmaak_f64 v[50:51], v[46:47], v[50:51], 0x3fcc71c016291751
	s_delay_alu instid0(VALU_DEP_1) | instskip(NEXT) | instid1(VALU_DEP_1)
	v_fmaak_f64 v[50:51], v[46:47], v[50:51], 0x3fd249249b27acf1
	v_fmaak_f64 v[50:51], v[46:47], v[50:51], 0x3fd99999998ef7b6
	v_ldexp_f64 v[6:7], v[6:7], 1
	s_delay_alu instid0(VALU_DEP_2) | instskip(SKIP_2) | instid1(VALU_DEP_3)
	v_fmaak_f64 v[46:47], v[46:47], v[50:51], 0x3fe5555555555780
	v_ldexp_f64 v[50:51], v[42:43], 1
	v_fmac_f64_e32 v[48:49], v[48:49], v[54:55]
	v_mul_f64_e32 v[46:47], v[52:53], v[46:47]
	v_cvt_f64_i32_e32 v[52:53], v1
	v_ashrrev_i32_e32 v1, 31, v11
	s_delay_alu instid0(VALU_DEP_1) | instskip(SKIP_4) | instid1(VALU_DEP_3)
	v_and_b32_e32 v21, 0x54442d18, v1
	v_and_b32_e32 v1, 0x400921fb, v1
	v_fma_f64 v[54:55], -v[44:45], v[48:49], 1.0
	v_add_f64_e32 v[42:43], v[50:51], v[46:47]
	v_mul_f64_e32 v[56:57], 0x3fe62e42fefa39ef, v[52:53]
	v_fmac_f64_e32 v[48:49], v[48:49], v[54:55]
	s_delay_alu instid0(VALU_DEP_3) | instskip(SKIP_1) | instid1(VALU_DEP_4)
	v_add_f64_e64 v[40:41], v[42:43], -v[50:51]
	v_div_scale_f64 v[50:51], vcc_lo, v[34:35], v[38:39], v[34:35]
	v_fma_f64 v[54:55], v[52:53], s[28:29], -v[56:57]
	s_delay_alu instid0(VALU_DEP_3) | instskip(NEXT) | instid1(VALU_DEP_3)
	v_add_f64_e64 v[40:41], v[46:47], -v[40:41]
	v_mul_f64_e32 v[46:47], v[50:51], v[48:49]
	s_delay_alu instid0(VALU_DEP_3) | instskip(NEXT) | instid1(VALU_DEP_3)
	v_fmac_f64_e32 v[54:55], 0x3c7abc9e3b39803f, v[52:53]
	v_add_f64_e32 v[6:7], v[6:7], v[40:41]
	s_delay_alu instid0(VALU_DEP_3) | instskip(NEXT) | instid1(VALU_DEP_3)
	v_fma_f64 v[40:41], -v[44:45], v[46:47], v[50:51]
	v_add_f64_e32 v[44:45], v[56:57], v[54:55]
	s_delay_alu instid0(VALU_DEP_3) | instskip(NEXT) | instid1(VALU_DEP_3)
	v_add_f64_e32 v[50:51], v[42:43], v[6:7]
	v_div_fmas_f64 v[40:41], v[40:41], v[48:49], v[46:47]
	v_cmp_class_f64_e64 vcc_lo, v[36:37], 0x204
	s_delay_alu instid0(VALU_DEP_4) | instskip(NEXT) | instid1(VALU_DEP_4)
	v_add_f64_e64 v[48:49], v[44:45], -v[56:57]
	v_add_f64_e32 v[46:47], v[44:45], v[50:51]
	s_delay_alu instid0(VALU_DEP_4) | instskip(SKIP_1) | instid1(VALU_DEP_4)
	v_div_fixup_f64 v[34:35], v[40:41], v[38:39], v[34:35]
	v_add_f64_e64 v[42:43], v[50:51], -v[42:43]
	v_add_f64_e64 v[48:49], v[54:55], -v[48:49]
	s_delay_alu instid0(VALU_DEP_4) | instskip(NEXT) | instid1(VALU_DEP_4)
	v_add_f64_e64 v[38:39], v[46:47], -v[44:45]
	v_mul_f64_e32 v[40:41], v[34:35], v[34:35]
	s_delay_alu instid0(VALU_DEP_4) | instskip(NEXT) | instid1(VALU_DEP_3)
	v_add_f64_e64 v[6:7], v[6:7], -v[42:43]
	v_add_f64_e64 v[52:53], v[46:47], -v[38:39]
	s_delay_alu instid0(VALU_DEP_3) | instskip(SKIP_1) | instid1(VALU_DEP_4)
	v_fmamk_f64 v[56:57], v[40:41], 0x3eeba404b5e68a13, v[24:25]
	v_add_f64_e64 v[38:39], v[50:51], -v[38:39]
	v_add_f64_e32 v[50:51], v[48:49], v[6:7]
	s_delay_alu instid0(VALU_DEP_3) | instskip(SKIP_1) | instid1(VALU_DEP_2)
	v_fmaak_f64 v[56:57], v[40:41], v[56:57], 0x3f4b2bb069efb384
	v_add_f64_e64 v[42:43], v[44:45], -v[52:53]
	v_fmaak_f64 v[44:45], v[40:41], v[56:57], 0xbf67952daf56de9b
	s_delay_alu instid0(VALU_DEP_1) | instskip(NEXT) | instid1(VALU_DEP_1)
	v_fmaak_f64 v[44:45], v[40:41], v[44:45], 0x3f7d6d43a595c56f
	v_fmaak_f64 v[44:45], v[40:41], v[44:45], 0xbf8c6ea4a57d9582
	s_delay_alu instid0(VALU_DEP_1) | instskip(SKIP_1) | instid1(VALU_DEP_2)
	v_fmaak_f64 v[44:45], v[40:41], v[44:45], 0x3f967e295f08b19f
	v_add_f64_e32 v[38:39], v[38:39], v[42:43]
	v_fmaak_f64 v[42:43], v[40:41], v[44:45], 0xbf9e9ae6fc27006a
	v_add_f64_e64 v[44:45], v[50:51], -v[48:49]
	s_delay_alu instid0(VALU_DEP_2) | instskip(NEXT) | instid1(VALU_DEP_1)
	v_fmaak_f64 v[42:43], v[40:41], v[42:43], 0x3fa2c15b5711927a
	v_fmaak_f64 v[42:43], v[40:41], v[42:43], 0xbfa59976e82d3ff0
	s_delay_alu instid0(VALU_DEP_1) | instskip(NEXT) | instid1(VALU_DEP_1)
	v_fmaak_f64 v[42:43], v[40:41], v[42:43], 0x3fa82d5d6ef28734
	v_fmaak_f64 v[42:43], v[40:41], v[42:43], 0xbfaae5ce6a214619
	v_add_f64_e32 v[38:39], v[50:51], v[38:39]
	v_add_f64_e64 v[50:51], v[50:51], -v[44:45]
	v_add_f64_e64 v[6:7], v[6:7], -v[44:45]
	s_delay_alu instid0(VALU_DEP_4) | instskip(NEXT) | instid1(VALU_DEP_1)
	v_fmaak_f64 v[42:43], v[40:41], v[42:43], 0x3fae1bb48427b883
	v_fmaak_f64 v[42:43], v[40:41], v[42:43], 0xbfb110e48b207f05
	s_delay_alu instid0(VALU_DEP_1) | instskip(NEXT) | instid1(VALU_DEP_1)
	v_fmaak_f64 v[42:43], v[40:41], v[42:43], 0x3fb3b13657b87036
	v_fmaak_f64 v[42:43], v[40:41], v[42:43], 0xbfb745d119378e4f
	s_delay_alu instid0(VALU_DEP_1) | instskip(SKIP_1) | instid1(VALU_DEP_2)
	v_fmaak_f64 v[42:43], v[40:41], v[42:43], 0x3fbc71c717e1913c
	v_add_f64_e32 v[52:53], v[46:47], v[38:39]
	v_fmaak_f64 v[42:43], v[40:41], v[42:43], 0xbfc2492492376b7d
	s_delay_alu instid0(VALU_DEP_1) | instskip(NEXT) | instid1(VALU_DEP_1)
	v_fmaak_f64 v[42:43], v[40:41], v[42:43], 0x3fc99999999952cc
	v_fmaak_f64 v[42:43], v[40:41], v[42:43], 0xbfd5555555555523
	s_delay_alu instid0(VALU_DEP_1) | instskip(SKIP_2) | instid1(VALU_DEP_3)
	v_mul_f64_e32 v[40:41], v[40:41], v[42:43]
	v_add_f64_e64 v[42:43], v[48:49], -v[50:51]
	v_add_f64_e64 v[44:45], v[52:53], -v[46:47]
	v_fmac_f64_e32 v[34:35], v[34:35], v[40:41]
	s_delay_alu instid0(VALU_DEP_3) | instskip(NEXT) | instid1(VALU_DEP_3)
	v_add_f64_e32 v[6:7], v[6:7], v[42:43]
	v_add_f64_e64 v[38:39], v[38:39], -v[44:45]
	s_delay_alu instid0(VALU_DEP_3) | instskip(NEXT) | instid1(VALU_DEP_2)
	v_add_f64_e64 v[40:41], -v[34:35], s[30:31]
	v_add_f64_e32 v[6:7], v[6:7], v[38:39]
	s_delay_alu instid0(VALU_DEP_2) | instskip(SKIP_1) | instid1(VALU_DEP_3)
	v_dual_cndmask_b32 v35, v35, v41, s2 :: v_dual_cndmask_b32 v34, v34, v40, s2
	v_cmp_gt_i32_e64 s2, 0, v11
	v_add_f64_e32 v[6:7], v[52:53], v[6:7]
	s_delay_alu instid0(VALU_DEP_3) | instskip(NEXT) | instid1(VALU_DEP_3)
	v_add_f64_e64 v[38:39], -v[34:35], s[34:35]
	v_cndmask_b32_e64 v8, 0x54442d18, v62, s2
	s_delay_alu instid0(VALU_DEP_3) | instskip(SKIP_1) | instid1(VALU_DEP_4)
	v_dual_cndmask_b32 v7, v7, v37 :: v_dual_cndmask_b32 v6, v6, v36
	v_cmp_eq_f64_e32 vcc_lo, 0, v[12:13]
	v_cndmask_b32_e64 v34, v34, v38, s2
	v_cndmask_b32_e64 v38, 0x3fe921fb, v63, s2
	;; [unrolled: 1-line block ×3, first 2 shown]
	v_add_f64_e32 v[6:7], 1.0, v[6:7]
	v_cmp_nge_f64_e64 s2, 0, v[36:37]
	s_delay_alu instid0(VALU_DEP_4)
	v_bfi_b32 v38, 0x7fffffff, v38, v13
	v_cndmask_b32_e32 v21, v34, v21, vcc_lo
	v_cndmask_b32_e32 v1, v35, v1, vcc_lo
	v_cmp_ngt_f64_e32 vcc_lo, 0, v[36:37]
	v_cndmask_b32_e64 v6, 0, v6, s2
	v_cmp_neq_f64_e64 s2, 0, v[36:37]
	v_cndmask_b32_e32 v7, 0x7ff80000, v7, vcc_lo
	s_and_b32 vcc_lo, s5, s3
	v_cndmask_b32_e32 v35, v1, v38, vcc_lo
	v_cndmask_b32_e32 v34, v21, v8, vcc_lo
	s_delay_alu instid0(VALU_DEP_3)
	v_cndmask_b32_e64 v7, 0xfff00000, v7, s2
.LBB179_66:                             ;   in Loop: Header=BB179_5 Depth=1
	s_or_b32 exec_lo, exec_lo, s4
.LBB179_67:                             ;   in Loop: Header=BB179_5 Depth=1
	s_and_not1_saveexec_b32 s2, s46
	s_cbranch_execz .LBB179_73
; %bb.68:                               ;   in Loop: Header=BB179_5 Depth=1
	v_cmp_ngt_f64_e64 s3, 0x20000000, |v[10:11]|
	v_cmp_ngt_f64_e64 s4, 0x20000000, |v[12:13]|
                                        ; implicit-def: $vgpr36_vgpr37
	s_or_b32 s3, s3, s4
	s_delay_alu instid0(SALU_CYCLE_1) | instskip(NEXT) | instid1(SALU_CYCLE_1)
	s_and_saveexec_b32 s4, s3
	s_xor_b32 s3, exec_lo, s4
	s_cbranch_execz .LBB179_70
; %bb.69:                               ;   in Loop: Header=BB179_5 Depth=1
	v_mul_f64_e32 v[36:37], v[12:13], v[12:13]
	s_delay_alu instid0(VALU_DEP_1)
	v_fmac_f64_e32 v[36:37], v[10:11], v[10:11]
.LBB179_70:                             ;   in Loop: Header=BB179_5 Depth=1
	s_and_not1_saveexec_b32 s3, s3
	s_cbranch_execz .LBB179_72
; %bb.71:                               ;   in Loop: Header=BB179_5 Depth=1
	v_mul_f64_e32 v[6:7], 4.0, v[12:13]
	v_mul_f64_e32 v[10:11], 4.0, v[10:11]
	s_delay_alu instid0(VALU_DEP_2) | instskip(NEXT) | instid1(VALU_DEP_1)
	v_mul_f64_e32 v[6:7], v[6:7], v[6:7]
	v_fmac_f64_e32 v[6:7], v[10:11], v[10:11]
	s_delay_alu instid0(VALU_DEP_1)
	v_ldexp_f64 v[36:37], v[6:7], -4
.LBB179_72:                             ;   in Loop: Header=BB179_5 Depth=1
	s_or_b32 exec_lo, exec_lo, s3
	s_delay_alu instid0(VALU_DEP_1) | instskip(NEXT) | instid1(VALU_DEP_1)
	v_frexp_mant_f64_e32 v[6:7], v[36:37]
	v_cmp_gt_f64_e32 vcc_lo, s[26:27], v[6:7]
	v_cndmask_b32_e64 v1, 0, 1, vcc_lo
	s_delay_alu instid0(VALU_DEP_1) | instskip(SKIP_1) | instid1(VALU_DEP_1)
	v_ldexp_f64 v[6:7], v[6:7], v1
	v_frexp_exp_i32_f64_e32 v1, v[36:37]
	v_subrev_co_ci_u32_e64 v1, null, 0, v1, vcc_lo
	v_cmp_class_f64_e64 vcc_lo, v[36:37], 0x204
	s_delay_alu instid0(VALU_DEP_4) | instskip(SKIP_1) | instid1(VALU_DEP_2)
	v_add_f64_e32 v[10:11], 1.0, v[6:7]
	v_add_f64_e32 v[40:41], -1.0, v[6:7]
	v_rcp_f64_e32 v[34:35], v[10:11]
	v_add_f64_e32 v[42:43], -1.0, v[10:11]
	s_delay_alu instid0(VALU_DEP_1) | instskip(NEXT) | instid1(TRANS32_DEP_1)
	v_add_f64_e64 v[6:7], v[6:7], -v[42:43]
	v_fma_f64 v[38:39], -v[10:11], v[34:35], 1.0
	s_delay_alu instid0(VALU_DEP_1) | instskip(NEXT) | instid1(VALU_DEP_1)
	v_fmac_f64_e32 v[34:35], v[38:39], v[34:35]
	v_fma_f64 v[38:39], -v[10:11], v[34:35], 1.0
	s_delay_alu instid0(VALU_DEP_1) | instskip(NEXT) | instid1(VALU_DEP_1)
	v_fmac_f64_e32 v[34:35], v[38:39], v[34:35]
	v_mul_f64_e32 v[38:39], v[40:41], v[34:35]
	s_delay_alu instid0(VALU_DEP_1) | instskip(NEXT) | instid1(VALU_DEP_1)
	v_mul_f64_e32 v[44:45], v[10:11], v[38:39]
	v_fma_f64 v[10:11], v[38:39], v[10:11], -v[44:45]
	s_delay_alu instid0(VALU_DEP_1) | instskip(NEXT) | instid1(VALU_DEP_1)
	v_fmac_f64_e32 v[10:11], v[38:39], v[6:7]
	v_add_f64_e32 v[6:7], v[44:45], v[10:11]
	s_delay_alu instid0(VALU_DEP_1) | instskip(SKIP_1) | instid1(VALU_DEP_2)
	v_add_f64_e64 v[42:43], v[40:41], -v[6:7]
	v_add_f64_e64 v[44:45], v[6:7], -v[44:45]
	;; [unrolled: 1-line block ×3, first 2 shown]
	s_delay_alu instid0(VALU_DEP_2) | instskip(NEXT) | instid1(VALU_DEP_2)
	v_add_f64_e64 v[10:11], v[44:45], -v[10:11]
	v_add_f64_e64 v[6:7], v[40:41], -v[6:7]
	s_delay_alu instid0(VALU_DEP_1) | instskip(NEXT) | instid1(VALU_DEP_1)
	v_add_f64_e32 v[6:7], v[10:11], v[6:7]
	v_add_f64_e32 v[6:7], v[42:43], v[6:7]
	s_delay_alu instid0(VALU_DEP_1) | instskip(NEXT) | instid1(VALU_DEP_1)
	v_mul_f64_e32 v[6:7], v[34:35], v[6:7]
	v_add_f64_e32 v[10:11], v[38:39], v[6:7]
	s_delay_alu instid0(VALU_DEP_1) | instskip(NEXT) | instid1(VALU_DEP_1)
	v_mul_f64_e32 v[34:35], v[10:11], v[10:11]
	v_fmamk_f64 v[40:41], v[34:35], 0x3fc3ab76bf559e2b, v[22:23]
	v_mul_f64_e32 v[42:43], v[10:11], v[34:35]
	s_delay_alu instid0(VALU_DEP_2) | instskip(NEXT) | instid1(VALU_DEP_1)
	v_fmaak_f64 v[40:41], v[34:35], v[40:41], 0x3fc7474dd7f4df2e
	v_fmaak_f64 v[40:41], v[34:35], v[40:41], 0x3fcc71c016291751
	s_delay_alu instid0(VALU_DEP_1) | instskip(NEXT) | instid1(VALU_DEP_1)
	v_fmaak_f64 v[40:41], v[34:35], v[40:41], 0x3fd249249b27acf1
	v_fmaak_f64 v[40:41], v[34:35], v[40:41], 0x3fd99999998ef7b6
	s_delay_alu instid0(VALU_DEP_1) | instskip(SKIP_2) | instid1(VALU_DEP_3)
	v_fmaak_f64 v[34:35], v[34:35], v[40:41], 0x3fe5555555555780
	v_ldexp_f64 v[40:41], v[10:11], 1
	v_add_f64_e64 v[10:11], v[10:11], -v[38:39]
	v_mul_f64_e32 v[34:35], v[42:43], v[34:35]
	v_cvt_f64_i32_e32 v[42:43], v1
	s_delay_alu instid0(VALU_DEP_3) | instskip(NEXT) | instid1(VALU_DEP_3)
	v_add_f64_e64 v[6:7], v[6:7], -v[10:11]
	v_add_f64_e32 v[38:39], v[40:41], v[34:35]
	s_delay_alu instid0(VALU_DEP_3) | instskip(NEXT) | instid1(VALU_DEP_3)
	v_mul_f64_e32 v[44:45], 0x3fe62e42fefa39ef, v[42:43]
	v_ldexp_f64 v[6:7], v[6:7], 1
	s_delay_alu instid0(VALU_DEP_3) | instskip(NEXT) | instid1(VALU_DEP_3)
	v_add_f64_e64 v[10:11], v[38:39], -v[40:41]
	v_fma_f64 v[40:41], v[42:43], s[28:29], -v[44:45]
	s_delay_alu instid0(VALU_DEP_2) | instskip(NEXT) | instid1(VALU_DEP_2)
	v_add_f64_e64 v[10:11], v[34:35], -v[10:11]
	v_fmac_f64_e32 v[40:41], 0x3c7abc9e3b39803f, v[42:43]
	s_delay_alu instid0(VALU_DEP_2) | instskip(NEXT) | instid1(VALU_DEP_2)
	v_add_f64_e32 v[6:7], v[6:7], v[10:11]
	v_add_f64_e32 v[10:11], v[44:45], v[40:41]
	s_delay_alu instid0(VALU_DEP_2) | instskip(NEXT) | instid1(VALU_DEP_2)
	v_add_f64_e32 v[34:35], v[38:39], v[6:7]
	v_add_f64_e64 v[44:45], v[10:11], -v[44:45]
	s_delay_alu instid0(VALU_DEP_2) | instskip(SKIP_1) | instid1(VALU_DEP_3)
	v_add_f64_e32 v[42:43], v[10:11], v[34:35]
	v_add_f64_e64 v[38:39], v[34:35], -v[38:39]
	v_add_f64_e64 v[40:41], v[40:41], -v[44:45]
	s_delay_alu instid0(VALU_DEP_3) | instskip(NEXT) | instid1(VALU_DEP_3)
	v_add_f64_e64 v[46:47], v[42:43], -v[10:11]
	v_add_f64_e64 v[6:7], v[6:7], -v[38:39]
	s_delay_alu instid0(VALU_DEP_2) | instskip(SKIP_1) | instid1(VALU_DEP_3)
	v_add_f64_e64 v[48:49], v[42:43], -v[46:47]
	v_add_f64_e64 v[34:35], v[34:35], -v[46:47]
	v_add_f64_e32 v[38:39], v[40:41], v[6:7]
	s_delay_alu instid0(VALU_DEP_3) | instskip(NEXT) | instid1(VALU_DEP_1)
	v_add_f64_e64 v[10:11], v[10:11], -v[48:49]
	v_add_f64_e32 v[10:11], v[34:35], v[10:11]
	s_delay_alu instid0(VALU_DEP_3) | instskip(NEXT) | instid1(VALU_DEP_2)
	v_add_f64_e64 v[34:35], v[38:39], -v[40:41]
	v_add_f64_e32 v[10:11], v[38:39], v[10:11]
	s_delay_alu instid0(VALU_DEP_2) | instskip(SKIP_1) | instid1(VALU_DEP_3)
	v_add_f64_e64 v[38:39], v[38:39], -v[34:35]
	v_add_f64_e64 v[6:7], v[6:7], -v[34:35]
	v_add_f64_e32 v[44:45], v[42:43], v[10:11]
	s_delay_alu instid0(VALU_DEP_3) | instskip(NEXT) | instid1(VALU_DEP_2)
	v_add_f64_e64 v[34:35], v[40:41], -v[38:39]
	v_add_f64_e64 v[38:39], v[44:45], -v[42:43]
	s_delay_alu instid0(VALU_DEP_2) | instskip(SKIP_1) | instid1(VALU_DEP_3)
	v_add_f64_e32 v[6:7], v[6:7], v[34:35]
	v_mov_b64_e32 v[34:35], 0x7ff8000000000000
	v_add_f64_e64 v[10:11], v[10:11], -v[38:39]
	s_delay_alu instid0(VALU_DEP_1) | instskip(NEXT) | instid1(VALU_DEP_1)
	v_add_f64_e32 v[6:7], v[6:7], v[10:11]
	v_add_f64_e32 v[6:7], v[44:45], v[6:7]
	s_delay_alu instid0(VALU_DEP_1) | instskip(SKIP_1) | instid1(VALU_DEP_2)
	v_dual_cndmask_b32 v1, v6, v36 :: v_dual_cndmask_b32 v6, v7, v37
	v_cmp_ngt_f64_e32 vcc_lo, 0, v[36:37]
	v_cndmask_b32_e32 v7, 0x7ff80000, v6, vcc_lo
	v_cmp_nge_f64_e32 vcc_lo, 0, v[36:37]
	s_delay_alu instid0(VALU_DEP_4) | instskip(SKIP_1) | instid1(VALU_DEP_4)
	v_cndmask_b32_e32 v6, 0, v1, vcc_lo
	v_cmp_neq_f64_e32 vcc_lo, 0, v[36:37]
	v_cndmask_b32_e32 v7, 0xfff00000, v7, vcc_lo
.LBB179_73:                             ;   in Loop: Header=BB179_5 Depth=1
	s_or_b32 exec_lo, exec_lo, s2
                                        ; implicit-def: $vgpr10_vgpr11
                                        ; implicit-def: $vgpr36_vgpr37
	s_delay_alu instid0(SALU_CYCLE_1)
	s_mov_b32 s2, exec_lo
	s_wait_loadcnt 0x0
	v_cmpx_o_f64_e32 v[14:15], v[16:17]
	s_xor_b32 s46, exec_lo, s2
	s_cbranch_execz .LBB179_101
; %bb.74:                               ;   in Loop: Header=BB179_5 Depth=1
	v_cmp_lt_f64_e64 s2, |v[14:15]|, |v[16:17]|
	v_and_b32_e32 v12, 0x7fffffff, v15
	v_and_b32_e32 v1, 0x7fffffff, v17
	v_mov_b32_e32 v8, v16
                                        ; implicit-def: $vgpr10_vgpr11
                                        ; implicit-def: $vgpr36_vgpr37
	s_mov_b32 s3, exec_lo
	s_delay_alu instid0(VALU_DEP_2) | instskip(NEXT) | instid1(VALU_DEP_1)
	v_dual_cndmask_b32 v41, v1, v12, s2 :: v_dual_cndmask_b32 v40, v16, v14, s2
	v_cmpx_nlt_f64_e32 s[20:21], v[40:41]
	s_xor_b32 s47, exec_lo, s3
	s_cbranch_execz .LBB179_98
; %bb.75:                               ;   in Loop: Header=BB179_5 Depth=1
	v_dual_cndmask_b32 v43, v12, v1, s2 :: v_dual_cndmask_b32 v42, v14, v8, s2
                                        ; implicit-def: $vgpr10_vgpr11
                                        ; implicit-def: $vgpr36_vgpr37
	s_mov_b32 s3, exec_lo
	s_delay_alu instid0(VALU_DEP_1)
	v_cmpx_neq_f64_e32 1.0, v[42:43]
	s_xor_b32 s48, exec_lo, s3
	s_cbranch_execz .LBB179_91
; %bb.76:                               ;   in Loop: Header=BB179_5 Depth=1
	v_max_num_f64_e32 v[10:11], v[40:41], v[40:41]
	v_max_num_f64_e32 v[36:37], v[42:43], v[42:43]
	s_delay_alu instid0(VALU_DEP_1) | instskip(SKIP_1) | instid1(VALU_DEP_2)
	v_min_num_f64_e32 v[38:39], v[36:37], v[10:11]
	v_max_num_f64_e32 v[10:11], v[36:37], v[10:11]
                                        ; implicit-def: $vgpr36_vgpr37
	v_cmp_ngt_f64_e32 vcc_lo, s[22:23], v[38:39]
	s_delay_alu instid0(VALU_DEP_2) | instskip(SKIP_1) | instid1(SALU_CYCLE_1)
	v_cmp_nlt_f64_e64 s3, s[24:25], v[10:11]
                                        ; implicit-def: $vgpr10_vgpr11
	s_and_b32 s3, s3, vcc_lo
	s_and_saveexec_b32 s4, s3
	s_delay_alu instid0(SALU_CYCLE_1)
	s_xor_b32 s49, exec_lo, s4
	s_cbranch_execz .LBB179_88
; %bb.77:                               ;   in Loop: Header=BB179_5 Depth=1
                                        ; implicit-def: $vgpr10_vgpr11
                                        ; implicit-def: $vgpr36_vgpr37
	s_mov_b32 s3, exec_lo
	v_cmpx_le_f64_e32 1.0, v[42:43]
	s_xor_b32 s6, exec_lo, s3
	s_cbranch_execz .LBB179_79
; %bb.78:                               ;   in Loop: Header=BB179_5 Depth=1
	v_add_f64_e32 v[10:11], -1.0, v[42:43]
	v_cmp_eq_f64_e64 s3, 0, v[16:17]
	v_add_f64_e32 v[36:37], 1.0, v[42:43]
	v_cmp_class_f64_e64 s7, v[16:17], 0x204
	v_cmp_class_f64_e64 s8, v[14:15], 0x204
	s_delay_alu instid0(VALU_DEP_3) | instskip(NEXT) | instid1(VALU_DEP_1)
	v_mul_f64_e32 v[38:39], v[10:11], v[36:37]
	v_fmac_f64_e32 v[38:39], v[40:41], v[40:41]
	s_delay_alu instid0(VALU_DEP_1) | instskip(SKIP_2) | instid1(VALU_DEP_3)
	v_add_f64_e32 v[10:11], 1.0, v[38:39]
	v_cmp_nge_f64_e64 s4, -1.0, v[38:39]
	v_cmp_neq_f64_e64 s5, 0x7ff00000, v[38:39]
	v_frexp_mant_f64_e32 v[36:37], v[10:11]
	v_frexp_exp_i32_f64_e32 v1, v[10:11]
	v_add_f64_e32 v[40:41], -1.0, v[10:11]
	s_delay_alu instid0(VALU_DEP_3) | instskip(NEXT) | instid1(VALU_DEP_2)
	v_cmp_gt_f64_e32 vcc_lo, s[26:27], v[36:37]
	v_add_f64_e64 v[36:37], v[40:41], -v[10:11]
	v_add_f64_e64 v[40:41], v[38:39], -v[40:41]
	v_subrev_co_ci_u32_e64 v1, null, 0, v1, vcc_lo
	s_delay_alu instid0(VALU_DEP_3) | instskip(NEXT) | instid1(VALU_DEP_2)
	v_add_f64_e32 v[36:37], 1.0, v[36:37]
	v_sub_nc_u32_e32 v8, 0, v1
	s_delay_alu instid0(VALU_DEP_1) | instskip(NEXT) | instid1(VALU_DEP_3)
	v_ldexp_f64 v[10:11], v[10:11], v8
	v_add_f64_e32 v[36:37], v[40:41], v[36:37]
	s_delay_alu instid0(VALU_DEP_2) | instskip(SKIP_1) | instid1(VALU_DEP_3)
	v_add_f64_e32 v[42:43], 1.0, v[10:11]
	v_add_f64_e32 v[48:49], -1.0, v[10:11]
	v_ldexp_f64 v[36:37], v[36:37], v8
	s_delay_alu instid0(VALU_DEP_3) | instskip(NEXT) | instid1(VALU_DEP_3)
	v_add_f64_e32 v[40:41], -1.0, v[42:43]
	v_add_f64_e32 v[50:51], 1.0, v[48:49]
	s_delay_alu instid0(VALU_DEP_2) | instskip(NEXT) | instid1(VALU_DEP_2)
	v_add_f64_e64 v[40:41], v[10:11], -v[40:41]
	v_add_f64_e64 v[10:11], v[10:11], -v[50:51]
	s_delay_alu instid0(VALU_DEP_2) | instskip(NEXT) | instid1(VALU_DEP_2)
	v_add_f64_e32 v[40:41], v[36:37], v[40:41]
	v_add_f64_e32 v[10:11], v[36:37], v[10:11]
	s_delay_alu instid0(VALU_DEP_2) | instskip(NEXT) | instid1(VALU_DEP_2)
	v_add_f64_e32 v[44:45], v[42:43], v[40:41]
	v_add_f64_e32 v[50:51], v[48:49], v[10:11]
	s_delay_alu instid0(VALU_DEP_2) | instskip(SKIP_1) | instid1(VALU_DEP_2)
	v_rcp_f64_e32 v[46:47], v[44:45]
	v_add_f64_e64 v[42:43], v[44:45], -v[42:43]
	v_add_f64_e64 v[48:49], v[50:51], -v[48:49]
	s_delay_alu instid0(VALU_DEP_2) | instskip(NEXT) | instid1(VALU_DEP_2)
	v_add_f64_e64 v[40:41], v[40:41], -v[42:43]
	v_add_f64_e64 v[10:11], v[10:11], -v[48:49]
	s_delay_alu instid0(TRANS32_DEP_1) | instskip(NEXT) | instid1(VALU_DEP_1)
	v_fma_f64 v[52:53], -v[44:45], v[46:47], 1.0
	v_fmac_f64_e32 v[46:47], v[52:53], v[46:47]
	s_delay_alu instid0(VALU_DEP_1) | instskip(NEXT) | instid1(VALU_DEP_1)
	v_fma_f64 v[36:37], -v[44:45], v[46:47], 1.0
	v_fmac_f64_e32 v[46:47], v[36:37], v[46:47]
	s_delay_alu instid0(VALU_DEP_1) | instskip(NEXT) | instid1(VALU_DEP_1)
	v_mul_f64_e32 v[36:37], v[50:51], v[46:47]
	v_mul_f64_e32 v[52:53], v[44:45], v[36:37]
	s_delay_alu instid0(VALU_DEP_1) | instskip(NEXT) | instid1(VALU_DEP_1)
	v_fma_f64 v[42:43], v[36:37], v[44:45], -v[52:53]
	v_fmac_f64_e32 v[42:43], v[36:37], v[40:41]
	s_delay_alu instid0(VALU_DEP_1) | instskip(NEXT) | instid1(VALU_DEP_1)
	v_add_f64_e32 v[54:55], v[52:53], v[42:43]
	v_add_f64_e64 v[56:57], v[50:51], -v[54:55]
	v_add_f64_e64 v[48:49], v[54:55], -v[52:53]
	s_delay_alu instid0(VALU_DEP_2) | instskip(NEXT) | instid1(VALU_DEP_2)
	v_add_f64_e64 v[50:51], v[50:51], -v[56:57]
	v_add_f64_e64 v[42:43], v[48:49], -v[42:43]
	s_delay_alu instid0(VALU_DEP_2) | instskip(NEXT) | instid1(VALU_DEP_1)
	v_add_f64_e64 v[50:51], v[50:51], -v[54:55]
	v_add_f64_e32 v[10:11], v[10:11], v[50:51]
	s_delay_alu instid0(VALU_DEP_1) | instskip(NEXT) | instid1(VALU_DEP_1)
	v_add_f64_e32 v[10:11], v[42:43], v[10:11]
	v_add_f64_e32 v[42:43], v[56:57], v[10:11]
	s_delay_alu instid0(VALU_DEP_1) | instskip(SKIP_1) | instid1(VALU_DEP_2)
	v_mul_f64_e32 v[48:49], v[46:47], v[42:43]
	v_add_f64_e64 v[54:55], v[56:57], -v[42:43]
	v_mul_f64_e32 v[50:51], v[44:45], v[48:49]
	s_delay_alu instid0(VALU_DEP_2) | instskip(NEXT) | instid1(VALU_DEP_2)
	v_add_f64_e32 v[10:11], v[10:11], v[54:55]
	v_fma_f64 v[44:45], v[48:49], v[44:45], -v[50:51]
	s_delay_alu instid0(VALU_DEP_1) | instskip(NEXT) | instid1(VALU_DEP_1)
	v_fmac_f64_e32 v[44:45], v[48:49], v[40:41]
	v_add_f64_e32 v[40:41], v[50:51], v[44:45]
	s_delay_alu instid0(VALU_DEP_1) | instskip(SKIP_1) | instid1(VALU_DEP_2)
	v_add_f64_e64 v[52:53], v[42:43], -v[40:41]
	v_add_f64_e64 v[50:51], v[40:41], -v[50:51]
	;; [unrolled: 1-line block ×3, first 2 shown]
	s_delay_alu instid0(VALU_DEP_1) | instskip(NEXT) | instid1(VALU_DEP_3)
	v_add_f64_e64 v[40:41], v[42:43], -v[40:41]
	v_add_f64_e64 v[42:43], v[50:51], -v[44:45]
	v_max_num_f64_e64 v[44:45], |v[14:15]|, |v[14:15]|
	s_delay_alu instid0(VALU_DEP_3) | instskip(SKIP_1) | instid1(VALU_DEP_2)
	v_add_f64_e32 v[10:11], v[10:11], v[40:41]
	v_add_f64_e32 v[40:41], v[36:37], v[48:49]
	;; [unrolled: 1-line block ×3, first 2 shown]
	s_delay_alu instid0(VALU_DEP_2) | instskip(SKIP_1) | instid1(VALU_DEP_3)
	v_add_f64_e64 v[36:37], v[40:41], -v[36:37]
	v_max_num_f64_e64 v[42:43], |v[16:17]|, |v[16:17]|
	v_add_f64_e32 v[10:11], v[52:53], v[10:11]
	s_delay_alu instid0(VALU_DEP_3) | instskip(NEXT) | instid1(VALU_DEP_2)
	v_add_f64_e64 v[36:37], v[48:49], -v[36:37]
	v_mul_f64_e32 v[10:11], v[46:47], v[10:11]
	s_delay_alu instid0(VALU_DEP_1) | instskip(SKIP_2) | instid1(VALU_DEP_3)
	v_add_f64_e32 v[10:11], v[36:37], v[10:11]
	v_max_num_f64_e32 v[36:37], v[44:45], v[42:43]
	v_min_num_f64_e32 v[42:43], v[44:45], v[42:43]
	v_add_f64_e32 v[44:45], v[40:41], v[10:11]
	s_delay_alu instid0(VALU_DEP_2) | instskip(NEXT) | instid1(VALU_DEP_2)
	v_div_scale_f64 v[46:47], null, v[36:37], v[36:37], v[42:43]
	v_mul_f64_e32 v[48:49], v[44:45], v[44:45]
	v_add_f64_e64 v[40:41], v[44:45], -v[40:41]
	s_delay_alu instid0(VALU_DEP_3) | instskip(NEXT) | instid1(VALU_DEP_2)
	v_rcp_f64_e32 v[50:51], v[46:47]
	v_fmamk_f64 v[52:53], v[48:49], 0x3fc3ab76bf559e2b, v[22:23]
	v_mul_f64_e32 v[54:55], v[44:45], v[48:49]
	s_delay_alu instid0(VALU_DEP_3) | instskip(NEXT) | instid1(VALU_DEP_3)
	v_add_f64_e64 v[10:11], v[10:11], -v[40:41]
	v_fmaak_f64 v[52:53], v[48:49], v[52:53], 0x3fc7474dd7f4df2e
	s_delay_alu instid0(TRANS32_DEP_1) | instskip(NEXT) | instid1(VALU_DEP_2)
	v_fma_f64 v[56:57], -v[46:47], v[50:51], 1.0
	v_fmaak_f64 v[52:53], v[48:49], v[52:53], 0x3fcc71c016291751
	s_delay_alu instid0(VALU_DEP_1) | instskip(NEXT) | instid1(VALU_DEP_1)
	v_fmaak_f64 v[52:53], v[48:49], v[52:53], 0x3fd249249b27acf1
	v_fmaak_f64 v[52:53], v[48:49], v[52:53], 0x3fd99999998ef7b6
	v_ldexp_f64 v[10:11], v[10:11], 1
	s_delay_alu instid0(VALU_DEP_2) | instskip(SKIP_2) | instid1(VALU_DEP_3)
	v_fmaak_f64 v[48:49], v[48:49], v[52:53], 0x3fe5555555555780
	v_ldexp_f64 v[52:53], v[44:45], 1
	v_fmac_f64_e32 v[50:51], v[50:51], v[56:57]
	v_mul_f64_e32 v[48:49], v[54:55], v[48:49]
	v_cvt_f64_i32_e32 v[54:55], v1
	v_ashrrev_i32_e32 v1, 31, v15
	s_delay_alu instid0(VALU_DEP_1) | instskip(SKIP_4) | instid1(VALU_DEP_3)
	v_and_b32_e32 v12, 0x54442d18, v1
	v_and_b32_e32 v1, 0x400921fb, v1
	v_fma_f64 v[56:57], -v[46:47], v[50:51], 1.0
	v_add_f64_e32 v[44:45], v[52:53], v[48:49]
	v_mul_f64_e32 v[58:59], 0x3fe62e42fefa39ef, v[54:55]
	v_fmac_f64_e32 v[50:51], v[50:51], v[56:57]
	s_delay_alu instid0(VALU_DEP_3) | instskip(SKIP_1) | instid1(VALU_DEP_4)
	v_add_f64_e64 v[40:41], v[44:45], -v[52:53]
	v_div_scale_f64 v[52:53], vcc_lo, v[42:43], v[36:37], v[42:43]
	v_fma_f64 v[56:57], v[54:55], s[28:29], -v[58:59]
	s_delay_alu instid0(VALU_DEP_3) | instskip(NEXT) | instid1(VALU_DEP_3)
	v_add_f64_e64 v[40:41], v[48:49], -v[40:41]
	v_mul_f64_e32 v[48:49], v[52:53], v[50:51]
	s_delay_alu instid0(VALU_DEP_3) | instskip(NEXT) | instid1(VALU_DEP_3)
	v_fmac_f64_e32 v[56:57], 0x3c7abc9e3b39803f, v[54:55]
	v_add_f64_e32 v[10:11], v[10:11], v[40:41]
	s_delay_alu instid0(VALU_DEP_3) | instskip(NEXT) | instid1(VALU_DEP_3)
	v_fma_f64 v[40:41], -v[46:47], v[48:49], v[52:53]
	v_add_f64_e32 v[46:47], v[58:59], v[56:57]
	s_delay_alu instid0(VALU_DEP_3) | instskip(NEXT) | instid1(VALU_DEP_3)
	v_add_f64_e32 v[52:53], v[44:45], v[10:11]
	v_div_fmas_f64 v[40:41], v[40:41], v[50:51], v[48:49]
	v_cmp_gt_i32_e32 vcc_lo, 0, v15
	s_delay_alu instid0(VALU_DEP_4)
	v_add_f64_e64 v[50:51], v[46:47], -v[58:59]
	v_cndmask_b32_e32 v8, 0x54442d18, v62, vcc_lo
	v_add_f64_e32 v[48:49], v[46:47], v[52:53]
	v_div_fixup_f64 v[36:37], v[40:41], v[36:37], v[42:43]
	v_add_f64_e64 v[44:45], v[52:53], -v[44:45]
	v_add_f64_e64 v[50:51], v[56:57], -v[50:51]
	s_delay_alu instid0(VALU_DEP_4) | instskip(NEXT) | instid1(VALU_DEP_4)
	v_add_f64_e64 v[40:41], v[48:49], -v[46:47]
	v_mul_f64_e32 v[42:43], v[36:37], v[36:37]
	s_delay_alu instid0(VALU_DEP_4) | instskip(NEXT) | instid1(VALU_DEP_3)
	v_add_f64_e64 v[10:11], v[10:11], -v[44:45]
	v_add_f64_e64 v[54:55], v[48:49], -v[40:41]
	s_delay_alu instid0(VALU_DEP_3) | instskip(SKIP_1) | instid1(VALU_DEP_4)
	v_fmamk_f64 v[58:59], v[42:43], 0x3eeba404b5e68a13, v[24:25]
	v_add_f64_e64 v[40:41], v[52:53], -v[40:41]
	v_add_f64_e32 v[52:53], v[50:51], v[10:11]
	s_delay_alu instid0(VALU_DEP_3) | instskip(SKIP_1) | instid1(VALU_DEP_2)
	v_fmaak_f64 v[58:59], v[42:43], v[58:59], 0x3f4b2bb069efb384
	v_add_f64_e64 v[44:45], v[46:47], -v[54:55]
	v_fmaak_f64 v[46:47], v[42:43], v[58:59], 0xbf67952daf56de9b
	s_delay_alu instid0(VALU_DEP_1) | instskip(NEXT) | instid1(VALU_DEP_1)
	v_fmaak_f64 v[46:47], v[42:43], v[46:47], 0x3f7d6d43a595c56f
	v_fmaak_f64 v[46:47], v[42:43], v[46:47], 0xbf8c6ea4a57d9582
	s_delay_alu instid0(VALU_DEP_1) | instskip(NEXT) | instid1(VALU_DEP_1)
	v_fmaak_f64 v[46:47], v[42:43], v[46:47], 0x3f967e295f08b19f
	v_fmaak_f64 v[46:47], v[42:43], v[46:47], 0xbf9e9ae6fc27006a
	v_add_f64_e32 v[40:41], v[40:41], v[44:45]
	s_delay_alu instid0(VALU_DEP_2) | instskip(SKIP_1) | instid1(VALU_DEP_2)
	v_fmaak_f64 v[44:45], v[42:43], v[46:47], 0x3fa2c15b5711927a
	v_add_f64_e64 v[46:47], v[52:53], -v[50:51]
	v_fmaak_f64 v[44:45], v[42:43], v[44:45], 0xbfa59976e82d3ff0
	s_delay_alu instid0(VALU_DEP_1) | instskip(NEXT) | instid1(VALU_DEP_1)
	v_fmaak_f64 v[44:45], v[42:43], v[44:45], 0x3fa82d5d6ef28734
	v_fmaak_f64 v[44:45], v[42:43], v[44:45], 0xbfaae5ce6a214619
	s_delay_alu instid0(VALU_DEP_1) | instskip(SKIP_3) | instid1(VALU_DEP_4)
	v_fmaak_f64 v[44:45], v[42:43], v[44:45], 0x3fae1bb48427b883
	v_add_f64_e32 v[40:41], v[52:53], v[40:41]
	v_add_f64_e64 v[52:53], v[52:53], -v[46:47]
	v_add_f64_e64 v[10:11], v[10:11], -v[46:47]
	v_fmaak_f64 v[44:45], v[42:43], v[44:45], 0xbfb110e48b207f05
	s_delay_alu instid0(VALU_DEP_1) | instskip(NEXT) | instid1(VALU_DEP_1)
	v_fmaak_f64 v[44:45], v[42:43], v[44:45], 0x3fb3b13657b87036
	v_fmaak_f64 v[44:45], v[42:43], v[44:45], 0xbfb745d119378e4f
	s_delay_alu instid0(VALU_DEP_1) | instskip(SKIP_1) | instid1(VALU_DEP_2)
	v_fmaak_f64 v[44:45], v[42:43], v[44:45], 0x3fbc71c717e1913c
	v_add_f64_e32 v[54:55], v[48:49], v[40:41]
	v_fmaak_f64 v[44:45], v[42:43], v[44:45], 0xbfc2492492376b7d
	s_delay_alu instid0(VALU_DEP_1) | instskip(NEXT) | instid1(VALU_DEP_1)
	v_fmaak_f64 v[44:45], v[42:43], v[44:45], 0x3fc99999999952cc
	v_fmaak_f64 v[44:45], v[42:43], v[44:45], 0xbfd5555555555523
	s_delay_alu instid0(VALU_DEP_1) | instskip(SKIP_2) | instid1(VALU_DEP_3)
	v_mul_f64_e32 v[42:43], v[42:43], v[44:45]
	v_add_f64_e64 v[44:45], v[50:51], -v[52:53]
	v_add_f64_e64 v[46:47], v[54:55], -v[48:49]
	v_fmac_f64_e32 v[36:37], v[36:37], v[42:43]
	s_delay_alu instid0(VALU_DEP_3) | instskip(NEXT) | instid1(VALU_DEP_3)
	v_add_f64_e32 v[10:11], v[10:11], v[44:45]
	v_add_f64_e64 v[40:41], v[40:41], -v[46:47]
	s_delay_alu instid0(VALU_DEP_3) | instskip(NEXT) | instid1(VALU_DEP_1)
	v_add_f64_e64 v[42:43], -v[36:37], s[30:31]
	v_dual_add_f64 v[10:11], v[10:11], v[40:41] :: v_dual_cndmask_b32 v37, v37, v43, s2
	s_delay_alu instid0(VALU_DEP_2) | instskip(NEXT) | instid1(VALU_DEP_1)
	v_cndmask_b32_e64 v36, v36, v42, s2
                                        ; implicit-def: $vgpr42_vgpr43
	v_add_f64_e64 v[40:41], -v[36:37], s[34:35]
	s_delay_alu instid0(VALU_DEP_1) | instskip(NEXT) | instid1(VALU_DEP_2)
	v_dual_add_f64 v[10:11], v[54:55], v[10:11] :: v_dual_cndmask_b32 v21, v36, v40, vcc_lo
	v_cndmask_b32_e32 v37, v37, v41, vcc_lo
	v_cndmask_b32_e32 v36, 0x3fe921fb, v63, vcc_lo
	s_delay_alu instid0(VALU_DEP_3)
	v_mul_f64_e32 v[10:11], 0.5, v[10:11]
	v_cmp_ngt_f64_e32 vcc_lo, -1.0, v[38:39]
	v_cndmask_b32_e64 v12, v21, v12, s3
	v_cndmask_b32_e64 v1, v37, v1, s3
	s_and_b32 s3, s4, s5
	v_bfi_b32 v36, 0x7fffffff, v36, v17
                                        ; implicit-def: $vgpr40_vgpr41
	v_cndmask_b32_e64 v10, 0, v10, s3
	v_cmp_neq_f64_e64 s3, -1.0, v[38:39]
	v_cndmask_b32_e64 v11, 0x7ff00000, v11, s5
	s_delay_alu instid0(VALU_DEP_1) | instskip(SKIP_3) | instid1(VALU_DEP_3)
	v_cndmask_b32_e32 v11, 0x7ff80000, v11, vcc_lo
	s_and_b32 vcc_lo, s8, s7
	v_cndmask_b32_e32 v37, v1, v36, vcc_lo
	v_cndmask_b32_e32 v36, v12, v8, vcc_lo
	v_cndmask_b32_e64 v11, 0xfff00000, v11, s3
.LBB179_79:                             ;   in Loop: Header=BB179_5 Depth=1
	s_and_not1_saveexec_b32 s50, s6
	s_cbranch_execz .LBB179_87
; %bb.80:                               ;   in Loop: Header=BB179_5 Depth=1
	v_mul_f64_e32 v[38:39], v[40:41], v[40:41]
                                        ; implicit-def: $vgpr10_vgpr11
                                        ; implicit-def: $vgpr36_vgpr37
	s_mov_b32 s3, exec_lo
	s_delay_alu instid0(VALU_DEP_1) | instskip(NEXT) | instid1(VALU_DEP_1)
	v_fmac_f64_e32 v[38:39], v[42:43], v[42:43]
	v_cmpx_ge_f64_e32 s[36:37], v[38:39]
	s_xor_b32 s5, exec_lo, s3
	s_cbranch_execz .LBB179_82
; %bb.81:                               ;   in Loop: Header=BB179_5 Depth=1
	v_frexp_mant_f64_e32 v[10:11], v[38:39]
	v_cmp_eq_f64_e64 s3, 0, v[16:17]
	v_cmp_neq_f64_e64 s4, 0, v[38:39]
	v_cmp_class_f64_e64 s6, v[16:17], 0x204
	v_cmp_class_f64_e64 s7, v[14:15], 0x204
	v_cmp_gt_f64_e32 vcc_lo, s[26:27], v[10:11]
	v_cndmask_b32_e64 v1, 0, 1, vcc_lo
	s_delay_alu instid0(VALU_DEP_1) | instskip(SKIP_1) | instid1(VALU_DEP_2)
	v_ldexp_f64 v[10:11], v[10:11], v1
	v_frexp_exp_i32_f64_e32 v1, v[38:39]
	v_add_f64_e32 v[36:37], 1.0, v[10:11]
	v_add_f64_e32 v[44:45], -1.0, v[10:11]
	s_delay_alu instid0(VALU_DEP_3) | instskip(NEXT) | instid1(VALU_DEP_3)
	v_subrev_co_ci_u32_e64 v1, null, 0, v1, vcc_lo
	v_rcp_f64_e32 v[40:41], v[36:37]
	v_add_f64_e32 v[46:47], -1.0, v[36:37]
	s_delay_alu instid0(VALU_DEP_1) | instskip(NEXT) | instid1(TRANS32_DEP_1)
	v_add_f64_e64 v[10:11], v[10:11], -v[46:47]
	v_fma_f64 v[42:43], -v[36:37], v[40:41], 1.0
	s_delay_alu instid0(VALU_DEP_1) | instskip(NEXT) | instid1(VALU_DEP_1)
	v_fmac_f64_e32 v[40:41], v[42:43], v[40:41]
	v_fma_f64 v[42:43], -v[36:37], v[40:41], 1.0
	s_delay_alu instid0(VALU_DEP_1) | instskip(NEXT) | instid1(VALU_DEP_1)
	v_fmac_f64_e32 v[40:41], v[42:43], v[40:41]
	v_mul_f64_e32 v[42:43], v[44:45], v[40:41]
	s_delay_alu instid0(VALU_DEP_1) | instskip(NEXT) | instid1(VALU_DEP_1)
	v_mul_f64_e32 v[48:49], v[36:37], v[42:43]
	v_fma_f64 v[36:37], v[42:43], v[36:37], -v[48:49]
	s_delay_alu instid0(VALU_DEP_1) | instskip(NEXT) | instid1(VALU_DEP_1)
	v_fmac_f64_e32 v[36:37], v[42:43], v[10:11]
	v_add_f64_e32 v[10:11], v[48:49], v[36:37]
	s_delay_alu instid0(VALU_DEP_1) | instskip(SKIP_1) | instid1(VALU_DEP_2)
	v_add_f64_e64 v[46:47], v[44:45], -v[10:11]
	v_add_f64_e64 v[48:49], v[10:11], -v[48:49]
	;; [unrolled: 1-line block ×3, first 2 shown]
	s_delay_alu instid0(VALU_DEP_2) | instskip(NEXT) | instid1(VALU_DEP_2)
	v_add_f64_e64 v[36:37], v[48:49], -v[36:37]
	v_add_f64_e64 v[10:11], v[44:45], -v[10:11]
	v_max_num_f64_e64 v[44:45], |v[14:15]|, |v[14:15]|
	s_delay_alu instid0(VALU_DEP_2) | instskip(SKIP_1) | instid1(VALU_DEP_2)
	v_add_f64_e32 v[10:11], v[36:37], v[10:11]
	v_max_num_f64_e64 v[36:37], |v[16:17]|, |v[16:17]|
	v_add_f64_e32 v[10:11], v[46:47], v[10:11]
	s_delay_alu instid0(VALU_DEP_1) | instskip(NEXT) | instid1(VALU_DEP_3)
	v_mul_f64_e32 v[10:11], v[40:41], v[10:11]
	v_max_num_f64_e32 v[40:41], v[44:45], v[36:37]
	v_min_num_f64_e32 v[36:37], v[44:45], v[36:37]
	s_delay_alu instid0(VALU_DEP_3) | instskip(NEXT) | instid1(VALU_DEP_2)
	v_add_f64_e32 v[44:45], v[42:43], v[10:11]
	v_div_scale_f64 v[46:47], null, v[40:41], v[40:41], v[36:37]
	s_delay_alu instid0(VALU_DEP_2) | instskip(NEXT) | instid1(VALU_DEP_2)
	v_mul_f64_e32 v[48:49], v[44:45], v[44:45]
	v_rcp_f64_e32 v[50:51], v[46:47]
	s_delay_alu instid0(VALU_DEP_1) | instskip(SKIP_1) | instid1(VALU_DEP_2)
	v_fmamk_f64 v[52:53], v[48:49], 0x3fc3ab76bf559e2b, v[22:23]
	v_mul_f64_e32 v[54:55], v[44:45], v[48:49]
	v_fmaak_f64 v[52:53], v[48:49], v[52:53], 0x3fc7474dd7f4df2e
	s_delay_alu instid0(TRANS32_DEP_1) | instskip(NEXT) | instid1(VALU_DEP_2)
	v_fma_f64 v[56:57], -v[46:47], v[50:51], 1.0
	v_fmaak_f64 v[52:53], v[48:49], v[52:53], 0x3fcc71c016291751
	s_delay_alu instid0(VALU_DEP_1) | instskip(NEXT) | instid1(VALU_DEP_1)
	v_fmaak_f64 v[52:53], v[48:49], v[52:53], 0x3fd249249b27acf1
	v_fmaak_f64 v[52:53], v[48:49], v[52:53], 0x3fd99999998ef7b6
	s_delay_alu instid0(VALU_DEP_1) | instskip(SKIP_2) | instid1(VALU_DEP_3)
	v_fmaak_f64 v[48:49], v[48:49], v[52:53], 0x3fe5555555555780
	v_ldexp_f64 v[52:53], v[44:45], 1
	v_fmac_f64_e32 v[50:51], v[50:51], v[56:57]
	v_mul_f64_e32 v[48:49], v[54:55], v[48:49]
	v_cvt_f64_i32_e32 v[54:55], v1
	v_ashrrev_i32_e32 v1, 31, v15
	v_add_f64_e64 v[42:43], v[44:45], -v[42:43]
	s_delay_alu instid0(VALU_DEP_2)
	v_and_b32_e32 v12, 0x54442d18, v1
	v_and_b32_e32 v1, 0x400921fb, v1
	v_fma_f64 v[56:57], -v[46:47], v[50:51], 1.0
	v_add_f64_e32 v[44:45], v[52:53], v[48:49]
	v_mul_f64_e32 v[58:59], 0x3fe62e42fefa39ef, v[54:55]
	v_add_f64_e64 v[10:11], v[10:11], -v[42:43]
	s_delay_alu instid0(VALU_DEP_4) | instskip(NEXT) | instid1(VALU_DEP_4)
	v_fmac_f64_e32 v[50:51], v[50:51], v[56:57]
	v_add_f64_e64 v[42:43], v[44:45], -v[52:53]
	v_div_scale_f64 v[52:53], vcc_lo, v[36:37], v[40:41], v[36:37]
	v_fma_f64 v[56:57], v[54:55], s[28:29], -v[58:59]
	v_ldexp_f64 v[10:11], v[10:11], 1
	s_delay_alu instid0(VALU_DEP_4) | instskip(NEXT) | instid1(VALU_DEP_4)
	v_add_f64_e64 v[42:43], v[48:49], -v[42:43]
	v_mul_f64_e32 v[48:49], v[52:53], v[50:51]
	s_delay_alu instid0(VALU_DEP_4) | instskip(NEXT) | instid1(VALU_DEP_3)
	v_fmac_f64_e32 v[56:57], 0x3c7abc9e3b39803f, v[54:55]
	v_add_f64_e32 v[10:11], v[10:11], v[42:43]
	s_delay_alu instid0(VALU_DEP_3) | instskip(NEXT) | instid1(VALU_DEP_3)
	v_fma_f64 v[42:43], -v[46:47], v[48:49], v[52:53]
	v_add_f64_e32 v[46:47], v[58:59], v[56:57]
	s_delay_alu instid0(VALU_DEP_3) | instskip(NEXT) | instid1(VALU_DEP_3)
	v_add_f64_e32 v[52:53], v[44:45], v[10:11]
	v_div_fmas_f64 v[42:43], v[42:43], v[50:51], v[48:49]
	v_cmp_gt_i32_e32 vcc_lo, 0, v15
	s_delay_alu instid0(VALU_DEP_4)
	v_add_f64_e64 v[50:51], v[46:47], -v[58:59]
	v_cndmask_b32_e32 v8, 0x54442d18, v62, vcc_lo
	v_add_f64_e32 v[48:49], v[46:47], v[52:53]
	v_div_fixup_f64 v[36:37], v[42:43], v[40:41], v[36:37]
	v_add_f64_e64 v[44:45], v[52:53], -v[44:45]
	v_add_f64_e64 v[50:51], v[56:57], -v[50:51]
	s_delay_alu instid0(VALU_DEP_4) | instskip(NEXT) | instid1(VALU_DEP_4)
	v_add_f64_e64 v[40:41], v[48:49], -v[46:47]
	v_mul_f64_e32 v[42:43], v[36:37], v[36:37]
	s_delay_alu instid0(VALU_DEP_4) | instskip(NEXT) | instid1(VALU_DEP_3)
	v_add_f64_e64 v[10:11], v[10:11], -v[44:45]
	v_add_f64_e64 v[54:55], v[48:49], -v[40:41]
	s_delay_alu instid0(VALU_DEP_3) | instskip(SKIP_1) | instid1(VALU_DEP_4)
	v_fmamk_f64 v[58:59], v[42:43], 0x3eeba404b5e68a13, v[24:25]
	v_add_f64_e64 v[40:41], v[52:53], -v[40:41]
	v_add_f64_e32 v[52:53], v[50:51], v[10:11]
	s_delay_alu instid0(VALU_DEP_3) | instskip(NEXT) | instid1(VALU_DEP_1)
	v_fmaak_f64 v[58:59], v[42:43], v[58:59], 0x3f4b2bb069efb384
	v_fmaak_f64 v[58:59], v[42:43], v[58:59], 0xbf67952daf56de9b
	v_add_f64_e64 v[44:45], v[46:47], -v[54:55]
	s_delay_alu instid0(VALU_DEP_2) | instskip(NEXT) | instid1(VALU_DEP_1)
	v_fmaak_f64 v[46:47], v[42:43], v[58:59], 0x3f7d6d43a595c56f
	v_fmaak_f64 v[46:47], v[42:43], v[46:47], 0xbf8c6ea4a57d9582
	s_delay_alu instid0(VALU_DEP_1) | instskip(NEXT) | instid1(VALU_DEP_1)
	v_fmaak_f64 v[46:47], v[42:43], v[46:47], 0x3f967e295f08b19f
	v_fmaak_f64 v[46:47], v[42:43], v[46:47], 0xbf9e9ae6fc27006a
	s_delay_alu instid0(VALU_DEP_1) | instskip(SKIP_1) | instid1(VALU_DEP_2)
	v_fmaak_f64 v[46:47], v[42:43], v[46:47], 0x3fa2c15b5711927a
	v_add_f64_e32 v[40:41], v[40:41], v[44:45]
	v_fmaak_f64 v[44:45], v[42:43], v[46:47], 0xbfa59976e82d3ff0
	v_add_f64_e64 v[46:47], v[52:53], -v[50:51]
	s_delay_alu instid0(VALU_DEP_2) | instskip(NEXT) | instid1(VALU_DEP_1)
	v_fmaak_f64 v[44:45], v[42:43], v[44:45], 0x3fa82d5d6ef28734
	v_fmaak_f64 v[44:45], v[42:43], v[44:45], 0xbfaae5ce6a214619
	s_delay_alu instid0(VALU_DEP_1) | instskip(NEXT) | instid1(VALU_DEP_1)
	v_fmaak_f64 v[44:45], v[42:43], v[44:45], 0x3fae1bb48427b883
	v_fmaak_f64 v[44:45], v[42:43], v[44:45], 0xbfb110e48b207f05
	v_add_f64_e32 v[40:41], v[52:53], v[40:41]
	v_add_f64_e64 v[52:53], v[52:53], -v[46:47]
	v_add_f64_e64 v[10:11], v[10:11], -v[46:47]
	s_delay_alu instid0(VALU_DEP_4) | instskip(NEXT) | instid1(VALU_DEP_1)
	v_fmaak_f64 v[44:45], v[42:43], v[44:45], 0x3fb3b13657b87036
	v_fmaak_f64 v[44:45], v[42:43], v[44:45], 0xbfb745d119378e4f
	s_delay_alu instid0(VALU_DEP_1) | instskip(NEXT) | instid1(VALU_DEP_1)
	v_fmaak_f64 v[44:45], v[42:43], v[44:45], 0x3fbc71c717e1913c
	v_fmaak_f64 v[44:45], v[42:43], v[44:45], 0xbfc2492492376b7d
	v_add_f64_e32 v[54:55], v[48:49], v[40:41]
	s_delay_alu instid0(VALU_DEP_2) | instskip(NEXT) | instid1(VALU_DEP_1)
	v_fmaak_f64 v[44:45], v[42:43], v[44:45], 0x3fc99999999952cc
	v_fmaak_f64 v[44:45], v[42:43], v[44:45], 0xbfd5555555555523
	s_delay_alu instid0(VALU_DEP_1) | instskip(SKIP_2) | instid1(VALU_DEP_3)
	v_mul_f64_e32 v[42:43], v[42:43], v[44:45]
	v_add_f64_e64 v[44:45], v[50:51], -v[52:53]
	v_add_f64_e64 v[46:47], v[54:55], -v[48:49]
	v_fmac_f64_e32 v[36:37], v[36:37], v[42:43]
	s_delay_alu instid0(VALU_DEP_3) | instskip(NEXT) | instid1(VALU_DEP_3)
	v_add_f64_e32 v[10:11], v[10:11], v[44:45]
	v_add_f64_e64 v[40:41], v[40:41], -v[46:47]
	s_delay_alu instid0(VALU_DEP_3) | instskip(NEXT) | instid1(VALU_DEP_1)
	v_add_f64_e64 v[42:43], -v[36:37], s[30:31]
	v_dual_add_f64 v[10:11], v[10:11], v[40:41] :: v_dual_cndmask_b32 v37, v37, v43, s2
	s_delay_alu instid0(VALU_DEP_2) | instskip(NEXT) | instid1(VALU_DEP_1)
	v_cndmask_b32_e64 v36, v36, v42, s2
                                        ; implicit-def: $vgpr42_vgpr43
	v_add_f64_e64 v[40:41], -v[36:37], s[34:35]
	s_delay_alu instid0(VALU_DEP_1) | instskip(SKIP_1) | instid1(VALU_DEP_3)
	v_dual_add_f64 v[10:11], v[54:55], v[10:11] :: v_dual_cndmask_b32 v21, v36, v40, vcc_lo
	v_cndmask_b32_e32 v36, 0x3fe921fb, v63, vcc_lo
	v_cndmask_b32_e32 v37, v37, v41, vcc_lo
	s_and_b32 vcc_lo, s7, s6
                                        ; implicit-def: $vgpr40_vgpr41
	s_delay_alu instid0(VALU_DEP_3) | instskip(NEXT) | instid1(VALU_DEP_3)
	v_cndmask_b32_e64 v12, v21, v12, s3
	v_bfi_b32 v36, 0x7fffffff, v36, v17
	s_delay_alu instid0(VALU_DEP_3) | instskip(NEXT) | instid1(VALU_DEP_1)
	v_dual_mul_f64 v[10:11], 0.5, v[10:11] :: v_dual_cndmask_b32 v1, v37, v1, s3
	v_cndmask_b32_e32 v37, v1, v36, vcc_lo
	s_delay_alu instid0(VALU_DEP_4) | instskip(NEXT) | instid1(VALU_DEP_3)
	v_cndmask_b32_e32 v36, v12, v8, vcc_lo
	v_cndmask_b32_e64 v11, 0xfff00000, v11, s4
	s_delay_alu instid0(VALU_DEP_4)
	v_cndmask_b32_e64 v10, 0, v10, s4
.LBB179_82:                             ;   in Loop: Header=BB179_5 Depth=1
	s_and_not1_saveexec_b32 s51, s5
	s_cbranch_execz .LBB179_86
; %bb.83:                               ;   in Loop: Header=BB179_5 Depth=1
	v_and_b32_e32 v21, 0x7ffffff8, v43
	v_and_b32_e32 v37, 0x7ffffff8, v41
	v_mov_b32_e32 v36, v20
	s_mov_b32 s52, 0
	s_delay_alu instid0(VALU_DEP_3) | instskip(SKIP_1) | instid1(VALU_DEP_3)
	v_dual_add_f64 v[10:11], v[42:43], -v[20:21] :: v_dual_mov_b32 v44, v20
	v_mov_b32_e32 v42, v20
	v_add_f64_e64 v[38:39], v[40:41], -v[36:37]
	v_add_f64_e32 v[54:55], v[36:37], v[36:37]
	s_delay_alu instid0(VALU_DEP_4) | instskip(NEXT) | instid1(VALU_DEP_3)
	v_dual_mul_f64 v[40:41], v[36:37], v[36:37] :: v_dual_bitop2_b32 v43, -8, v11 bitop3:0x40
	v_dual_add_f64 v[46:47], v[20:21], v[20:21] :: v_dual_bitop2_b32 v45, -8, v39 bitop3:0x40
	s_delay_alu instid0(VALU_DEP_2) | instskip(SKIP_1) | instid1(VALU_DEP_3)
	v_add_f64_e64 v[56:57], v[10:11], -v[42:43]
	v_add_f64_e32 v[60:61], v[42:43], v[42:43]
	v_add_f64_e64 v[58:59], v[38:39], -v[44:45]
	v_add_f64_e32 v[64:65], v[44:45], v[44:45]
	v_mul_f64_e32 v[10:11], v[20:21], v[20:21]
	v_mul_f64_e32 v[38:39], v[54:55], v[44:45]
	;; [unrolled: 1-line block ×11, first 2 shown]
.LBB179_84:                             ;   Parent Loop BB179_5 Depth=1
                                        ; =>  This Inner Loop Header: Depth=2
	v_cmp_nlt_f64_e32 vcc_lo, v[10:11], v[40:41]
	v_dual_cndmask_b32 v59, v11, v41 :: v_dual_cndmask_b32 v58, v10, v40
	v_dual_cndmask_b32 v11, v41, v11 :: v_dual_cndmask_b32 v10, v40, v10
	s_delay_alu instid0(VALU_DEP_2) | instskip(NEXT) | instid1(VALU_DEP_1)
	v_cmp_nlt_f64_e64 s3, v[58:59], v[52:53]
	v_dual_cndmask_b32 v61, v59, v53, s3 :: v_dual_cndmask_b32 v60, v58, v52, s3
	v_dual_cndmask_b32 v41, v53, v59, s3 :: v_dual_cndmask_b32 v40, v52, v58, s3
	s_and_b32 s3, vcc_lo, s3
	s_delay_alu instid0(VALU_DEP_2) | instskip(NEXT) | instid1(VALU_DEP_1)
	v_cmp_nlt_f64_e64 s4, v[60:61], v[38:39]
	v_dual_cndmask_b32 v65, v61, v39, s4 :: v_dual_cndmask_b32 v64, v60, v38, s4
	v_dual_cndmask_b32 v53, v39, v61, s4 :: v_dual_cndmask_b32 v52, v38, v60, s4
	s_delay_alu instid0(VALU_DEP_2) | instskip(NEXT) | instid1(VALU_DEP_1)
	v_cmp_nlt_f64_e64 s5, v[64:65], v[50:51]
	v_dual_cndmask_b32 v67, v65, v51, s5 :: v_dual_cndmask_b32 v66, v64, v50, s5
	v_dual_cndmask_b32 v39, v51, v65, s5 :: v_dual_cndmask_b32 v38, v50, v64, s5
	s_and_b32 s4, s4, s5
	s_delay_alu instid0(VALU_DEP_2) | instskip(NEXT) | instid1(VALU_DEP_1)
	v_cmp_nlt_f64_e64 s6, v[66:67], v[36:37]
	v_dual_cndmask_b32 v69, v67, v37, s6 :: v_dual_cndmask_b32 v68, v66, v36, s6
	v_dual_cndmask_b32 v51, v37, v67, s6 :: v_dual_cndmask_b32 v50, v36, v66, s6
	s_delay_alu instid0(VALU_DEP_2) | instskip(NEXT) | instid1(VALU_DEP_1)
	v_cmp_nlt_f64_e64 s7, v[68:69], v[48:49]
	v_dual_cndmask_b32 v71, v69, v49, s7 :: v_dual_cndmask_b32 v70, v68, v48, s7
	s_and_b32 s5, s6, s7
	v_dual_cndmask_b32 v37, v49, v69, s7 :: v_dual_cndmask_b32 v36, v48, v68, s7
	s_delay_alu instid0(VALU_DEP_2) | instskip(NEXT) | instid1(VALU_DEP_1)
	v_cmp_nlt_f64_e64 s8, v[70:71], v[46:47]
	v_dual_cndmask_b32 v73, v71, v47, s8 :: v_dual_cndmask_b32 v72, v70, v46, s8
	s_and_b32 s5, s5, s8
	;; [unrolled: 5-line block ×6, first 2 shown]
	v_dual_cndmask_b32 v55, v57, v79, s12 :: v_dual_cndmask_b32 v54, v56, v78, s12
	s_and_b32 s4, s5, s4
	s_delay_alu instid0(VALU_DEP_2) | instskip(SKIP_1) | instid1(SALU_CYCLE_1)
	v_mov_b64_e32 v[56:57], v[58:59]
	s_and_b32 s3, s4, s3
	s_and_b32 s3, exec_lo, s3
	s_delay_alu instid0(SALU_CYCLE_1) | instskip(NEXT) | instid1(SALU_CYCLE_1)
	s_or_b32 s52, s3, s52
	s_and_not1_b32 exec_lo, exec_lo, s52
	s_cbranch_execnz .LBB179_84
; %bb.85:                               ;   in Loop: Header=BB179_5 Depth=1
	s_or_b32 exec_lo, exec_lo, s52
	v_add_f64_e32 v[10:11], -1.0, v[10:11]
	v_cmp_eq_f64_e64 s3, 0, v[16:17]
	v_cmp_class_f64_e64 s6, v[16:17], 0x204
	v_cmp_class_f64_e64 s7, v[14:15], 0x204
	s_delay_alu instid0(VALU_DEP_4) | instskip(NEXT) | instid1(VALU_DEP_1)
	v_add_f64_e32 v[10:11], v[10:11], v[40:41]
	v_add_f64_e32 v[10:11], v[10:11], v[52:53]
	s_delay_alu instid0(VALU_DEP_1) | instskip(NEXT) | instid1(VALU_DEP_1)
	v_add_f64_e32 v[10:11], v[10:11], v[38:39]
	v_add_f64_e32 v[10:11], v[10:11], v[50:51]
	s_delay_alu instid0(VALU_DEP_1) | instskip(NEXT) | instid1(VALU_DEP_1)
	;; [unrolled: 3-line block ×5, first 2 shown]
	v_add_f64_e32 v[38:39], v[58:59], v[10:11]
	v_add_f64_e32 v[10:11], 1.0, v[38:39]
	v_cmp_neq_f64_e64 s5, 0x7ff00000, v[38:39]
	s_delay_alu instid0(VALU_DEP_2) | instskip(SKIP_2) | instid1(VALU_DEP_3)
	v_frexp_mant_f64_e32 v[36:37], v[10:11]
	v_frexp_exp_i32_f64_e32 v1, v[10:11]
	v_add_f64_e32 v[40:41], -1.0, v[10:11]
	v_cmp_gt_f64_e32 vcc_lo, s[26:27], v[36:37]
	s_delay_alu instid0(VALU_DEP_2) | instskip(SKIP_2) | instid1(VALU_DEP_3)
	v_add_f64_e64 v[36:37], v[40:41], -v[10:11]
	v_add_f64_e64 v[40:41], v[38:39], -v[40:41]
	v_subrev_co_ci_u32_e64 v1, null, 0, v1, vcc_lo
	v_add_f64_e32 v[36:37], 1.0, v[36:37]
	s_delay_alu instid0(VALU_DEP_2) | instskip(NEXT) | instid1(VALU_DEP_1)
	v_sub_nc_u32_e32 v8, 0, v1
	v_ldexp_f64 v[10:11], v[10:11], v8
	s_delay_alu instid0(VALU_DEP_3) | instskip(NEXT) | instid1(VALU_DEP_2)
	v_add_f64_e32 v[36:37], v[40:41], v[36:37]
	v_add_f64_e32 v[42:43], 1.0, v[10:11]
	v_add_f64_e32 v[48:49], -1.0, v[10:11]
	s_delay_alu instid0(VALU_DEP_3) | instskip(NEXT) | instid1(VALU_DEP_3)
	v_ldexp_f64 v[36:37], v[36:37], v8
	v_add_f64_e32 v[40:41], -1.0, v[42:43]
	s_delay_alu instid0(VALU_DEP_3) | instskip(NEXT) | instid1(VALU_DEP_2)
	v_add_f64_e32 v[50:51], 1.0, v[48:49]
	v_add_f64_e64 v[40:41], v[10:11], -v[40:41]
	s_delay_alu instid0(VALU_DEP_2) | instskip(NEXT) | instid1(VALU_DEP_2)
	v_add_f64_e64 v[10:11], v[10:11], -v[50:51]
	v_add_f64_e32 v[40:41], v[36:37], v[40:41]
	s_delay_alu instid0(VALU_DEP_2) | instskip(NEXT) | instid1(VALU_DEP_2)
	v_add_f64_e32 v[10:11], v[36:37], v[10:11]
	v_add_f64_e32 v[44:45], v[42:43], v[40:41]
	s_delay_alu instid0(VALU_DEP_2) | instskip(NEXT) | instid1(VALU_DEP_2)
	v_add_f64_e32 v[50:51], v[48:49], v[10:11]
	v_rcp_f64_e32 v[46:47], v[44:45]
	v_add_f64_e64 v[42:43], v[44:45], -v[42:43]
	s_delay_alu instid0(VALU_DEP_2) | instskip(NEXT) | instid1(VALU_DEP_2)
	v_add_f64_e64 v[48:49], v[50:51], -v[48:49]
	v_add_f64_e64 v[40:41], v[40:41], -v[42:43]
	s_delay_alu instid0(VALU_DEP_2) | instskip(NEXT) | instid1(TRANS32_DEP_1)
	v_add_f64_e64 v[10:11], v[10:11], -v[48:49]
	v_fma_f64 v[52:53], -v[44:45], v[46:47], 1.0
	s_delay_alu instid0(VALU_DEP_1) | instskip(NEXT) | instid1(VALU_DEP_1)
	v_fmac_f64_e32 v[46:47], v[52:53], v[46:47]
	v_fma_f64 v[36:37], -v[44:45], v[46:47], 1.0
	s_delay_alu instid0(VALU_DEP_1) | instskip(NEXT) | instid1(VALU_DEP_1)
	v_fmac_f64_e32 v[46:47], v[36:37], v[46:47]
	v_mul_f64_e32 v[36:37], v[50:51], v[46:47]
	s_delay_alu instid0(VALU_DEP_1) | instskip(NEXT) | instid1(VALU_DEP_1)
	v_mul_f64_e32 v[52:53], v[44:45], v[36:37]
	v_fma_f64 v[42:43], v[36:37], v[44:45], -v[52:53]
	s_delay_alu instid0(VALU_DEP_1) | instskip(NEXT) | instid1(VALU_DEP_1)
	v_fmac_f64_e32 v[42:43], v[36:37], v[40:41]
	v_add_f64_e32 v[54:55], v[52:53], v[42:43]
	s_delay_alu instid0(VALU_DEP_1) | instskip(SKIP_1) | instid1(VALU_DEP_2)
	v_add_f64_e64 v[56:57], v[50:51], -v[54:55]
	v_add_f64_e64 v[48:49], v[54:55], -v[52:53]
	;; [unrolled: 1-line block ×3, first 2 shown]
	s_delay_alu instid0(VALU_DEP_2) | instskip(NEXT) | instid1(VALU_DEP_2)
	v_add_f64_e64 v[42:43], v[48:49], -v[42:43]
	v_add_f64_e64 v[50:51], v[50:51], -v[54:55]
	s_delay_alu instid0(VALU_DEP_1) | instskip(NEXT) | instid1(VALU_DEP_1)
	v_add_f64_e32 v[10:11], v[10:11], v[50:51]
	v_add_f64_e32 v[10:11], v[42:43], v[10:11]
	s_delay_alu instid0(VALU_DEP_1) | instskip(NEXT) | instid1(VALU_DEP_1)
	v_add_f64_e32 v[42:43], v[56:57], v[10:11]
	v_mul_f64_e32 v[48:49], v[46:47], v[42:43]
	v_add_f64_e64 v[54:55], v[56:57], -v[42:43]
	s_delay_alu instid0(VALU_DEP_2) | instskip(NEXT) | instid1(VALU_DEP_2)
	v_mul_f64_e32 v[50:51], v[44:45], v[48:49]
	v_add_f64_e32 v[10:11], v[10:11], v[54:55]
	s_delay_alu instid0(VALU_DEP_2) | instskip(NEXT) | instid1(VALU_DEP_1)
	v_fma_f64 v[44:45], v[48:49], v[44:45], -v[50:51]
	v_fmac_f64_e32 v[44:45], v[48:49], v[40:41]
	s_delay_alu instid0(VALU_DEP_1) | instskip(NEXT) | instid1(VALU_DEP_1)
	v_add_f64_e32 v[40:41], v[50:51], v[44:45]
	v_add_f64_e64 v[52:53], v[42:43], -v[40:41]
	v_add_f64_e64 v[50:51], v[40:41], -v[50:51]
	s_delay_alu instid0(VALU_DEP_2) | instskip(NEXT) | instid1(VALU_DEP_1)
	v_add_f64_e64 v[42:43], v[42:43], -v[52:53]
	v_add_f64_e64 v[40:41], v[42:43], -v[40:41]
	s_delay_alu instid0(VALU_DEP_3) | instskip(SKIP_1) | instid1(VALU_DEP_3)
	v_add_f64_e64 v[42:43], v[50:51], -v[44:45]
	v_max_num_f64_e64 v[44:45], |v[14:15]|, |v[14:15]|
	v_add_f64_e32 v[10:11], v[10:11], v[40:41]
	v_add_f64_e32 v[40:41], v[36:37], v[48:49]
	s_delay_alu instid0(VALU_DEP_2) | instskip(NEXT) | instid1(VALU_DEP_2)
	v_add_f64_e32 v[10:11], v[42:43], v[10:11]
	v_add_f64_e64 v[36:37], v[40:41], -v[36:37]
	v_max_num_f64_e64 v[42:43], |v[16:17]|, |v[16:17]|
	s_delay_alu instid0(VALU_DEP_3) | instskip(NEXT) | instid1(VALU_DEP_3)
	v_add_f64_e32 v[10:11], v[52:53], v[10:11]
	v_add_f64_e64 v[36:37], v[48:49], -v[36:37]
	s_delay_alu instid0(VALU_DEP_2) | instskip(NEXT) | instid1(VALU_DEP_1)
	v_mul_f64_e32 v[10:11], v[46:47], v[10:11]
	v_add_f64_e32 v[10:11], v[36:37], v[10:11]
	v_max_num_f64_e32 v[36:37], v[44:45], v[42:43]
	v_min_num_f64_e32 v[42:43], v[44:45], v[42:43]
	s_delay_alu instid0(VALU_DEP_3) | instskip(NEXT) | instid1(VALU_DEP_2)
	v_add_f64_e32 v[44:45], v[40:41], v[10:11]
	v_div_scale_f64 v[46:47], null, v[36:37], v[36:37], v[42:43]
	s_delay_alu instid0(VALU_DEP_2) | instskip(SKIP_1) | instid1(VALU_DEP_3)
	v_mul_f64_e32 v[48:49], v[44:45], v[44:45]
	v_add_f64_e64 v[40:41], v[44:45], -v[40:41]
	v_rcp_f64_e32 v[50:51], v[46:47]
	s_delay_alu instid0(VALU_DEP_2) | instskip(SKIP_1) | instid1(VALU_DEP_3)
	v_fmamk_f64 v[52:53], v[48:49], 0x3fc3ab76bf559e2b, v[22:23]
	v_mul_f64_e32 v[54:55], v[44:45], v[48:49]
	v_add_f64_e64 v[10:11], v[10:11], -v[40:41]
	s_delay_alu instid0(VALU_DEP_3) | instskip(NEXT) | instid1(TRANS32_DEP_1)
	v_fmaak_f64 v[52:53], v[48:49], v[52:53], 0x3fc7474dd7f4df2e
	v_fma_f64 v[56:57], -v[46:47], v[50:51], 1.0
	s_delay_alu instid0(VALU_DEP_2) | instskip(NEXT) | instid1(VALU_DEP_1)
	v_fmaak_f64 v[52:53], v[48:49], v[52:53], 0x3fcc71c016291751
	v_fmaak_f64 v[52:53], v[48:49], v[52:53], 0x3fd249249b27acf1
	s_delay_alu instid0(VALU_DEP_1) | instskip(SKIP_1) | instid1(VALU_DEP_2)
	v_fmaak_f64 v[52:53], v[48:49], v[52:53], 0x3fd99999998ef7b6
	v_ldexp_f64 v[10:11], v[10:11], 1
	v_fmaak_f64 v[48:49], v[48:49], v[52:53], 0x3fe5555555555780
	v_ldexp_f64 v[52:53], v[44:45], 1
	v_fmac_f64_e32 v[50:51], v[50:51], v[56:57]
	s_delay_alu instid0(VALU_DEP_3) | instskip(SKIP_2) | instid1(VALU_DEP_1)
	v_mul_f64_e32 v[48:49], v[54:55], v[48:49]
	v_cvt_f64_i32_e32 v[54:55], v1
	v_ashrrev_i32_e32 v1, 31, v15
	v_and_b32_e32 v12, 0x54442d18, v1
	v_and_b32_e32 v1, 0x400921fb, v1
	v_fma_f64 v[56:57], -v[46:47], v[50:51], 1.0
	v_add_f64_e32 v[44:45], v[52:53], v[48:49]
	v_mul_f64_e32 v[58:59], 0x3fe62e42fefa39ef, v[54:55]
	s_delay_alu instid0(VALU_DEP_3) | instskip(NEXT) | instid1(VALU_DEP_3)
	v_fmac_f64_e32 v[50:51], v[50:51], v[56:57]
	v_add_f64_e64 v[40:41], v[44:45], -v[52:53]
	v_div_scale_f64 v[52:53], vcc_lo, v[42:43], v[36:37], v[42:43]
	s_delay_alu instid0(VALU_DEP_4) | instskip(NEXT) | instid1(VALU_DEP_3)
	v_fma_f64 v[56:57], v[54:55], s[28:29], -v[58:59]
	v_add_f64_e64 v[40:41], v[48:49], -v[40:41]
	s_delay_alu instid0(VALU_DEP_3) | instskip(NEXT) | instid1(VALU_DEP_3)
	v_mul_f64_e32 v[48:49], v[52:53], v[50:51]
	v_fmac_f64_e32 v[56:57], 0x3c7abc9e3b39803f, v[54:55]
	s_delay_alu instid0(VALU_DEP_3) | instskip(NEXT) | instid1(VALU_DEP_3)
	v_add_f64_e32 v[10:11], v[10:11], v[40:41]
	v_fma_f64 v[40:41], -v[46:47], v[48:49], v[52:53]
	s_delay_alu instid0(VALU_DEP_3) | instskip(NEXT) | instid1(VALU_DEP_3)
	v_add_f64_e32 v[46:47], v[58:59], v[56:57]
	v_add_f64_e32 v[52:53], v[44:45], v[10:11]
	s_delay_alu instid0(VALU_DEP_3) | instskip(SKIP_1) | instid1(VALU_DEP_4)
	v_div_fmas_f64 v[40:41], v[40:41], v[50:51], v[48:49]
	v_cmp_gt_i32_e32 vcc_lo, 0, v15
	v_add_f64_e64 v[50:51], v[46:47], -v[58:59]
	v_cndmask_b32_e32 v8, 0x54442d18, v62, vcc_lo
	v_add_f64_e32 v[48:49], v[46:47], v[52:53]
	v_div_fixup_f64 v[36:37], v[40:41], v[36:37], v[42:43]
	v_add_f64_e64 v[44:45], v[52:53], -v[44:45]
	v_add_f64_e64 v[50:51], v[56:57], -v[50:51]
	s_delay_alu instid0(VALU_DEP_4) | instskip(NEXT) | instid1(VALU_DEP_4)
	v_add_f64_e64 v[40:41], v[48:49], -v[46:47]
	v_mul_f64_e32 v[42:43], v[36:37], v[36:37]
	s_delay_alu instid0(VALU_DEP_4) | instskip(NEXT) | instid1(VALU_DEP_3)
	v_add_f64_e64 v[10:11], v[10:11], -v[44:45]
	v_add_f64_e64 v[54:55], v[48:49], -v[40:41]
	s_delay_alu instid0(VALU_DEP_3) | instskip(SKIP_1) | instid1(VALU_DEP_4)
	v_fmamk_f64 v[58:59], v[42:43], 0x3eeba404b5e68a13, v[24:25]
	v_add_f64_e64 v[40:41], v[52:53], -v[40:41]
	v_add_f64_e32 v[52:53], v[50:51], v[10:11]
	s_delay_alu instid0(VALU_DEP_3) | instskip(SKIP_1) | instid1(VALU_DEP_2)
	v_fmaak_f64 v[58:59], v[42:43], v[58:59], 0x3f4b2bb069efb384
	v_add_f64_e64 v[44:45], v[46:47], -v[54:55]
	v_fmaak_f64 v[46:47], v[42:43], v[58:59], 0xbf67952daf56de9b
	s_delay_alu instid0(VALU_DEP_1) | instskip(NEXT) | instid1(VALU_DEP_1)
	v_fmaak_f64 v[46:47], v[42:43], v[46:47], 0x3f7d6d43a595c56f
	v_fmaak_f64 v[46:47], v[42:43], v[46:47], 0xbf8c6ea4a57d9582
	s_delay_alu instid0(VALU_DEP_1) | instskip(NEXT) | instid1(VALU_DEP_1)
	v_fmaak_f64 v[46:47], v[42:43], v[46:47], 0x3f967e295f08b19f
	v_fmaak_f64 v[46:47], v[42:43], v[46:47], 0xbf9e9ae6fc27006a
	v_add_f64_e32 v[40:41], v[40:41], v[44:45]
	s_delay_alu instid0(VALU_DEP_2) | instskip(SKIP_1) | instid1(VALU_DEP_2)
	v_fmaak_f64 v[44:45], v[42:43], v[46:47], 0x3fa2c15b5711927a
	v_add_f64_e64 v[46:47], v[52:53], -v[50:51]
	v_fmaak_f64 v[44:45], v[42:43], v[44:45], 0xbfa59976e82d3ff0
	s_delay_alu instid0(VALU_DEP_1) | instskip(NEXT) | instid1(VALU_DEP_1)
	v_fmaak_f64 v[44:45], v[42:43], v[44:45], 0x3fa82d5d6ef28734
	v_fmaak_f64 v[44:45], v[42:43], v[44:45], 0xbfaae5ce6a214619
	s_delay_alu instid0(VALU_DEP_1) | instskip(SKIP_3) | instid1(VALU_DEP_4)
	v_fmaak_f64 v[44:45], v[42:43], v[44:45], 0x3fae1bb48427b883
	v_add_f64_e32 v[40:41], v[52:53], v[40:41]
	v_add_f64_e64 v[52:53], v[52:53], -v[46:47]
	v_add_f64_e64 v[10:11], v[10:11], -v[46:47]
	v_fmaak_f64 v[44:45], v[42:43], v[44:45], 0xbfb110e48b207f05
	s_delay_alu instid0(VALU_DEP_1) | instskip(NEXT) | instid1(VALU_DEP_1)
	v_fmaak_f64 v[44:45], v[42:43], v[44:45], 0x3fb3b13657b87036
	v_fmaak_f64 v[44:45], v[42:43], v[44:45], 0xbfb745d119378e4f
	s_delay_alu instid0(VALU_DEP_1) | instskip(SKIP_1) | instid1(VALU_DEP_2)
	v_fmaak_f64 v[44:45], v[42:43], v[44:45], 0x3fbc71c717e1913c
	v_add_f64_e32 v[54:55], v[48:49], v[40:41]
	v_fmaak_f64 v[44:45], v[42:43], v[44:45], 0xbfc2492492376b7d
	s_delay_alu instid0(VALU_DEP_1) | instskip(NEXT) | instid1(VALU_DEP_1)
	v_fmaak_f64 v[44:45], v[42:43], v[44:45], 0x3fc99999999952cc
	v_fmaak_f64 v[44:45], v[42:43], v[44:45], 0xbfd5555555555523
	s_delay_alu instid0(VALU_DEP_1) | instskip(SKIP_2) | instid1(VALU_DEP_3)
	v_mul_f64_e32 v[42:43], v[42:43], v[44:45]
	v_add_f64_e64 v[44:45], v[50:51], -v[52:53]
	v_add_f64_e64 v[46:47], v[54:55], -v[48:49]
	v_fmac_f64_e32 v[36:37], v[36:37], v[42:43]
	s_delay_alu instid0(VALU_DEP_3) | instskip(NEXT) | instid1(VALU_DEP_3)
	v_add_f64_e32 v[10:11], v[10:11], v[44:45]
	v_add_f64_e64 v[40:41], v[40:41], -v[46:47]
	s_delay_alu instid0(VALU_DEP_3) | instskip(NEXT) | instid1(VALU_DEP_1)
	v_add_f64_e64 v[42:43], -v[36:37], s[30:31]
	v_dual_add_f64 v[10:11], v[10:11], v[40:41] :: v_dual_cndmask_b32 v37, v37, v43, s2
	s_delay_alu instid0(VALU_DEP_2) | instskip(NEXT) | instid1(VALU_DEP_1)
	v_cndmask_b32_e64 v36, v36, v42, s2
	v_add_f64_e64 v[40:41], -v[36:37], s[34:35]
	s_delay_alu instid0(VALU_DEP_1) | instskip(SKIP_1) | instid1(VALU_DEP_2)
	v_dual_add_f64 v[10:11], v[54:55], v[10:11] :: v_dual_cndmask_b32 v21, v36, v40, vcc_lo
	v_cndmask_b32_e32 v36, 0x3fe921fb, v63, vcc_lo
	v_dual_mul_f64 v[10:11], 0.5, v[10:11] :: v_dual_cndmask_b32 v37, v37, v41, vcc_lo
	v_cmp_ngt_f64_e32 vcc_lo, -1.0, v[38:39]
	s_delay_alu instid0(VALU_DEP_4) | instskip(NEXT) | instid1(VALU_DEP_4)
	v_cndmask_b32_e64 v12, v21, v12, s3
	v_bfi_b32 v36, 0x7fffffff, v36, v17
	s_delay_alu instid0(VALU_DEP_4) | instskip(SKIP_1) | instid1(VALU_DEP_1)
	v_cndmask_b32_e64 v1, v37, v1, s3
	v_cndmask_b32_e64 v11, 0x7ff00000, v11, s5
	v_cndmask_b32_e32 v11, 0x7ff80000, v11, vcc_lo
	s_and_b32 vcc_lo, s7, s6
	s_delay_alu instid0(VALU_DEP_3) | instskip(SKIP_3) | instid1(SALU_CYCLE_1)
	v_cndmask_b32_e32 v37, v1, v36, vcc_lo
	v_cndmask_b32_e32 v36, v12, v8, vcc_lo
	v_cmp_nge_f64_e64 s4, -1.0, v[38:39]
	s_and_b32 s3, s4, s5
	v_cndmask_b32_e64 v10, 0, v10, s3
	v_cmp_neq_f64_e64 s3, -1.0, v[38:39]
	s_delay_alu instid0(VALU_DEP_1)
	v_cndmask_b32_e64 v11, 0xfff00000, v11, s3
.LBB179_86:                             ;   in Loop: Header=BB179_5 Depth=1
	s_or_b32 exec_lo, exec_lo, s51
.LBB179_87:                             ;   in Loop: Header=BB179_5 Depth=1
	s_delay_alu instid0(SALU_CYCLE_1)
	s_or_b32 exec_lo, exec_lo, s50
.LBB179_88:                             ;   in Loop: Header=BB179_5 Depth=1
	s_and_not1_saveexec_b32 s5, s49
	s_cbranch_execz .LBB179_90
; %bb.89:                               ;   in Loop: Header=BB179_5 Depth=1
	v_max_num_f64_e64 v[10:11], |v[16:17]|, |v[16:17]|
	v_max_num_f64_e64 v[36:37], |v[14:15]|, |v[14:15]|
	v_cmp_eq_f64_e64 s4, 0, v[16:17]
	v_cmp_class_f64_e64 s6, v[14:15], 0x204
	v_cmp_class_f64_e64 s7, v[16:17], 0x204
	s_delay_alu instid0(VALU_DEP_4) | instskip(SKIP_2) | instid1(VALU_DEP_2)
	v_max_num_f64_e32 v[38:39], v[36:37], v[10:11]
	v_min_num_f64_e32 v[10:11], v[36:37], v[10:11]
	s_or_b32 s3, s6, s7
	v_frexp_exp_i32_f64_e32 v1, v[38:39]
	s_delay_alu instid0(VALU_DEP_1) | instskip(NEXT) | instid1(VALU_DEP_1)
	v_sub_nc_u32_e32 v8, 0, v1
	v_ldexp_f64 v[40:41], |v[16:17]|, v8
	v_ldexp_f64 v[42:43], |v[14:15]|, v8
	s_delay_alu instid0(VALU_DEP_2) | instskip(NEXT) | instid1(VALU_DEP_1)
	v_mul_f64_e32 v[40:41], v[40:41], v[40:41]
	v_fmac_f64_e32 v[40:41], v[42:43], v[42:43]
	s_delay_alu instid0(VALU_DEP_1) | instskip(SKIP_1) | instid1(TRANS32_DEP_1)
	v_rsq_f64_e32 v[42:43], v[40:41]
	v_cmp_eq_f64_e32 vcc_lo, 0, v[40:41]
	v_mul_f64_e32 v[44:45], v[40:41], v[42:43]
	v_mul_f64_e32 v[42:43], 0.5, v[42:43]
	s_delay_alu instid0(VALU_DEP_1) | instskip(NEXT) | instid1(VALU_DEP_1)
	v_fma_f64 v[46:47], -v[42:43], v[44:45], 0.5
	v_fmac_f64_e32 v[44:45], v[44:45], v[46:47]
	v_fmac_f64_e32 v[42:43], v[42:43], v[46:47]
	s_delay_alu instid0(VALU_DEP_2) | instskip(NEXT) | instid1(VALU_DEP_1)
	v_fma_f64 v[46:47], -v[44:45], v[44:45], v[40:41]
	v_fmac_f64_e32 v[44:45], v[46:47], v[42:43]
	s_delay_alu instid0(VALU_DEP_1) | instskip(NEXT) | instid1(VALU_DEP_1)
	v_dual_cndmask_b32 v41, v45, v41 :: v_dual_cndmask_b32 v40, v44, v40
	v_ldexp_f64 v[40:41], v[40:41], v1
	s_delay_alu instid0(VALU_DEP_1) | instskip(NEXT) | instid1(VALU_DEP_2)
	v_cndmask_b32_e64 v41, v41, 0x7ff00000, s3
	v_cndmask_b32_e64 v40, v40, 0, s3
	s_delay_alu instid0(VALU_DEP_1) | instskip(SKIP_1) | instid1(VALU_DEP_2)
	v_frexp_mant_f64_e32 v[42:43], v[40:41]
	v_cmp_class_f64_e64 s3, v[40:41], 0x204
	v_cmp_gt_f64_e32 vcc_lo, s[26:27], v[42:43]
	v_cndmask_b32_e64 v1, 0, 1, vcc_lo
	s_delay_alu instid0(VALU_DEP_1) | instskip(SKIP_1) | instid1(VALU_DEP_2)
	v_ldexp_f64 v[42:43], v[42:43], v1
	v_frexp_exp_i32_f64_e32 v1, v[40:41]
	v_add_f64_e32 v[44:45], 1.0, v[42:43]
	v_add_f64_e32 v[50:51], -1.0, v[42:43]
	s_delay_alu instid0(VALU_DEP_3) | instskip(SKIP_1) | instid1(VALU_DEP_4)
	v_subrev_co_ci_u32_e64 v1, null, 0, v1, vcc_lo
	v_div_scale_f64 v[58:59], vcc_lo, v[10:11], v[38:39], v[10:11]
	v_rcp_f64_e32 v[46:47], v[44:45]
	v_add_f64_e32 v[52:53], -1.0, v[44:45]
	s_delay_alu instid0(VALU_DEP_1) | instskip(NEXT) | instid1(TRANS32_DEP_1)
	v_add_f64_e64 v[42:43], v[42:43], -v[52:53]
	v_fma_f64 v[48:49], -v[44:45], v[46:47], 1.0
	s_delay_alu instid0(VALU_DEP_1) | instskip(NEXT) | instid1(VALU_DEP_1)
	v_fmac_f64_e32 v[46:47], v[48:49], v[46:47]
	v_fma_f64 v[48:49], -v[44:45], v[46:47], 1.0
	s_delay_alu instid0(VALU_DEP_1) | instskip(NEXT) | instid1(VALU_DEP_1)
	v_fmac_f64_e32 v[46:47], v[48:49], v[46:47]
	v_mul_f64_e32 v[48:49], v[50:51], v[46:47]
	s_delay_alu instid0(VALU_DEP_1) | instskip(NEXT) | instid1(VALU_DEP_1)
	v_mul_f64_e32 v[54:55], v[44:45], v[48:49]
	v_fma_f64 v[44:45], v[48:49], v[44:45], -v[54:55]
	s_delay_alu instid0(VALU_DEP_1) | instskip(NEXT) | instid1(VALU_DEP_1)
	v_fmac_f64_e32 v[44:45], v[48:49], v[42:43]
	v_add_f64_e32 v[42:43], v[54:55], v[44:45]
	s_delay_alu instid0(VALU_DEP_1) | instskip(SKIP_1) | instid1(VALU_DEP_2)
	v_add_f64_e64 v[52:53], v[50:51], -v[42:43]
	v_add_f64_e64 v[54:55], v[42:43], -v[54:55]
	;; [unrolled: 1-line block ×3, first 2 shown]
	s_delay_alu instid0(VALU_DEP_2) | instskip(NEXT) | instid1(VALU_DEP_2)
	v_add_f64_e64 v[44:45], v[54:55], -v[44:45]
	v_add_f64_e64 v[42:43], v[50:51], -v[42:43]
	s_delay_alu instid0(VALU_DEP_1) | instskip(NEXT) | instid1(VALU_DEP_1)
	v_add_f64_e32 v[42:43], v[44:45], v[42:43]
	v_add_f64_e32 v[42:43], v[52:53], v[42:43]
	s_delay_alu instid0(VALU_DEP_1) | instskip(SKIP_1) | instid1(VALU_DEP_2)
	v_mul_f64_e32 v[36:37], v[46:47], v[42:43]
	v_div_scale_f64 v[42:43], null, v[38:39], v[38:39], v[10:11]
	v_add_f64_e32 v[44:45], v[48:49], v[36:37]
	s_delay_alu instid0(VALU_DEP_2) | instskip(NEXT) | instid1(VALU_DEP_1)
	v_rcp_f64_e32 v[46:47], v[42:43]
	v_mul_f64_e32 v[50:51], v[44:45], v[44:45]
	s_delay_alu instid0(TRANS32_DEP_1) | instskip(NEXT) | instid1(VALU_DEP_2)
	v_fma_f64 v[54:55], -v[42:43], v[46:47], 1.0
	v_fmamk_f64 v[52:53], v[50:51], 0x3fc3ab76bf559e2b, v[22:23]
	v_mul_f64_e32 v[56:57], v[44:45], v[50:51]
	s_delay_alu instid0(VALU_DEP_3) | instskip(NEXT) | instid1(VALU_DEP_3)
	v_fmac_f64_e32 v[46:47], v[46:47], v[54:55]
	v_fmaak_f64 v[52:53], v[50:51], v[52:53], 0x3fc7474dd7f4df2e
	s_delay_alu instid0(VALU_DEP_1) | instskip(NEXT) | instid1(VALU_DEP_1)
	v_fmaak_f64 v[52:53], v[50:51], v[52:53], 0x3fcc71c016291751
	v_fmaak_f64 v[52:53], v[50:51], v[52:53], 0x3fd249249b27acf1
	s_delay_alu instid0(VALU_DEP_1) | instskip(NEXT) | instid1(VALU_DEP_1)
	v_fmaak_f64 v[52:53], v[50:51], v[52:53], 0x3fd99999998ef7b6
	v_fmaak_f64 v[50:51], v[50:51], v[52:53], 0x3fe5555555555780
	v_ldexp_f64 v[52:53], v[44:45], 1
	v_add_f64_e64 v[44:45], v[44:45], -v[48:49]
	v_fma_f64 v[54:55], -v[42:43], v[46:47], 1.0
	s_delay_alu instid0(VALU_DEP_4) | instskip(SKIP_2) | instid1(VALU_DEP_1)
	v_mul_f64_e32 v[50:51], v[56:57], v[50:51]
	v_cvt_f64_i32_e32 v[56:57], v1
	v_ashrrev_i32_e32 v1, 31, v15
	v_and_b32_e32 v12, 0x54442d18, v1
	v_and_b32_e32 v1, 0x400921fb, v1
	v_add_f64_e64 v[36:37], v[36:37], -v[44:45]
	v_fmac_f64_e32 v[46:47], v[46:47], v[54:55]
	v_add_f64_e32 v[48:49], v[52:53], v[50:51]
	v_mul_f64_e32 v[54:55], 0x3fe62e42fefa39ef, v[56:57]
	s_delay_alu instid0(VALU_DEP_4) | instskip(NEXT) | instid1(VALU_DEP_3)
	v_ldexp_f64 v[36:37], v[36:37], 1
	v_add_f64_e64 v[44:45], v[48:49], -v[52:53]
	v_mul_f64_e32 v[52:53], v[58:59], v[46:47]
	s_delay_alu instid0(VALU_DEP_4) | instskip(NEXT) | instid1(VALU_DEP_3)
	v_fma_f64 v[60:61], v[56:57], s[28:29], -v[54:55]
	v_add_f64_e64 v[44:45], v[50:51], -v[44:45]
	s_delay_alu instid0(VALU_DEP_3) | instskip(NEXT) | instid1(VALU_DEP_3)
	v_fma_f64 v[42:43], -v[42:43], v[52:53], v[58:59]
	v_fmac_f64_e32 v[60:61], 0x3c7abc9e3b39803f, v[56:57]
	s_delay_alu instid0(VALU_DEP_3) | instskip(NEXT) | instid1(VALU_DEP_3)
	v_add_f64_e32 v[36:37], v[36:37], v[44:45]
	v_div_fmas_f64 v[42:43], v[42:43], v[46:47], v[52:53]
	s_delay_alu instid0(VALU_DEP_3) | instskip(SKIP_3) | instid1(VALU_DEP_1)
	v_add_f64_e32 v[44:45], v[54:55], v[60:61]
	v_cmp_gt_i32_e32 vcc_lo, 0, v15
	v_cndmask_b32_e32 v8, 0x54442d18, v62, vcc_lo
	v_cndmask_b32_e32 v21, 0x3fe921fb, v63, vcc_lo
	v_bfi_b32 v21, 0x7fffffff, v21, v17
	v_add_f64_e32 v[46:47], v[48:49], v[36:37]
	v_div_fixup_f64 v[10:11], v[42:43], v[38:39], v[10:11]
	v_add_f64_e64 v[54:55], v[44:45], -v[54:55]
	s_delay_alu instid0(VALU_DEP_3) | instskip(NEXT) | instid1(VALU_DEP_3)
	v_add_f64_e32 v[38:39], v[44:45], v[46:47]
	v_mul_f64_e32 v[42:43], v[10:11], v[10:11]
	v_add_f64_e64 v[48:49], v[46:47], -v[48:49]
	s_delay_alu instid0(VALU_DEP_4) | instskip(NEXT) | instid1(VALU_DEP_4)
	v_add_f64_e64 v[54:55], v[60:61], -v[54:55]
	v_add_f64_e64 v[50:51], v[38:39], -v[44:45]
	s_delay_alu instid0(VALU_DEP_4) | instskip(NEXT) | instid1(VALU_DEP_4)
	v_fmamk_f64 v[52:53], v[42:43], 0x3eeba404b5e68a13, v[24:25]
	v_add_f64_e64 v[36:37], v[36:37], -v[48:49]
	s_delay_alu instid0(VALU_DEP_2) | instskip(NEXT) | instid1(VALU_DEP_1)
	v_fmaak_f64 v[52:53], v[42:43], v[52:53], 0x3f4b2bb069efb384
	v_fmaak_f64 v[52:53], v[42:43], v[52:53], 0xbf67952daf56de9b
	s_delay_alu instid0(VALU_DEP_1) | instskip(NEXT) | instid1(VALU_DEP_1)
	v_fmaak_f64 v[52:53], v[42:43], v[52:53], 0x3f7d6d43a595c56f
	v_fmaak_f64 v[52:53], v[42:43], v[52:53], 0xbf8c6ea4a57d9582
	v_add_f64_e64 v[56:57], v[38:39], -v[50:51]
	v_add_f64_e64 v[46:47], v[46:47], -v[50:51]
	v_add_f64_e32 v[50:51], v[54:55], v[36:37]
	s_delay_alu instid0(VALU_DEP_4) | instskip(NEXT) | instid1(VALU_DEP_1)
	v_fmaak_f64 v[52:53], v[42:43], v[52:53], 0x3f967e295f08b19f
	v_fmaak_f64 v[48:49], v[42:43], v[52:53], 0xbf9e9ae6fc27006a
	s_delay_alu instid0(VALU_DEP_1) | instskip(NEXT) | instid1(VALU_DEP_1)
	v_fmaak_f64 v[48:49], v[42:43], v[48:49], 0x3fa2c15b5711927a
	v_fmaak_f64 v[48:49], v[42:43], v[48:49], 0xbfa59976e82d3ff0
	s_delay_alu instid0(VALU_DEP_1) | instskip(SKIP_1) | instid1(VALU_DEP_2)
	v_fmaak_f64 v[48:49], v[42:43], v[48:49], 0x3fa82d5d6ef28734
	v_add_f64_e64 v[44:45], v[44:45], -v[56:57]
	v_fmaak_f64 v[48:49], v[42:43], v[48:49], 0xbfaae5ce6a214619
	s_delay_alu instid0(VALU_DEP_2) | instskip(NEXT) | instid1(VALU_DEP_2)
	v_add_f64_e32 v[44:45], v[46:47], v[44:45]
	v_fmaak_f64 v[46:47], v[42:43], v[48:49], 0x3fae1bb48427b883
	v_add_f64_e64 v[48:49], v[50:51], -v[54:55]
	s_delay_alu instid0(VALU_DEP_2) | instskip(NEXT) | instid1(VALU_DEP_1)
	v_fmaak_f64 v[46:47], v[42:43], v[46:47], 0xbfb110e48b207f05
	v_fmaak_f64 v[46:47], v[42:43], v[46:47], 0x3fb3b13657b87036
	s_delay_alu instid0(VALU_DEP_1) | instskip(NEXT) | instid1(VALU_DEP_1)
	v_fmaak_f64 v[46:47], v[42:43], v[46:47], 0xbfb745d119378e4f
	v_fmaak_f64 v[46:47], v[42:43], v[46:47], 0x3fbc71c717e1913c
	v_add_f64_e32 v[44:45], v[50:51], v[44:45]
	v_add_f64_e64 v[36:37], v[36:37], -v[48:49]
	s_delay_alu instid0(VALU_DEP_3) | instskip(NEXT) | instid1(VALU_DEP_1)
	v_fmaak_f64 v[46:47], v[42:43], v[46:47], 0xbfc2492492376b7d
	v_fmaak_f64 v[46:47], v[42:43], v[46:47], 0x3fc99999999952cc
	s_delay_alu instid0(VALU_DEP_1) | instskip(NEXT) | instid1(VALU_DEP_1)
	v_fmaak_f64 v[46:47], v[42:43], v[46:47], 0xbfd5555555555523
	v_mul_f64_e32 v[42:43], v[42:43], v[46:47]
	v_add_f64_e64 v[46:47], v[50:51], -v[48:49]
	v_add_f64_e32 v[50:51], v[38:39], v[44:45]
	s_delay_alu instid0(VALU_DEP_3) | instskip(NEXT) | instid1(VALU_DEP_3)
	v_fmac_f64_e32 v[10:11], v[10:11], v[42:43]
	v_add_f64_e64 v[42:43], v[54:55], -v[46:47]
	s_delay_alu instid0(VALU_DEP_3) | instskip(NEXT) | instid1(VALU_DEP_3)
	v_add_f64_e64 v[38:39], v[50:51], -v[38:39]
	v_add_f64_e64 v[46:47], -v[10:11], s[30:31]
	s_delay_alu instid0(VALU_DEP_3) | instskip(NEXT) | instid1(VALU_DEP_3)
	v_add_f64_e32 v[36:37], v[36:37], v[42:43]
	v_add_f64_e64 v[38:39], v[44:45], -v[38:39]
	s_delay_alu instid0(VALU_DEP_3) | instskip(NEXT) | instid1(VALU_DEP_2)
	v_dual_cndmask_b32 v11, v11, v47, s2 :: v_dual_cndmask_b32 v10, v10, v46, s2
	v_add_f64_e32 v[36:37], v[36:37], v[38:39]
	s_delay_alu instid0(VALU_DEP_2) | instskip(NEXT) | instid1(VALU_DEP_2)
	v_add_f64_e64 v[38:39], -v[10:11], s[34:35]
	v_add_f64_e32 v[36:37], v[50:51], v[36:37]
	s_delay_alu instid0(VALU_DEP_2) | instskip(SKIP_1) | instid1(VALU_DEP_2)
	v_dual_cndmask_b32 v10, v10, v38 :: v_dual_cndmask_b32 v11, v11, v39
	v_cmp_ngt_f64_e32 vcc_lo, 0, v[40:41]
	v_dual_cndmask_b32 v12, v10, v12, s4 :: v_dual_cndmask_b32 v1, v11, v1, s4
	s_delay_alu instid0(VALU_DEP_4) | instskip(SKIP_1) | instid1(VALU_DEP_2)
	v_dual_cndmask_b32 v36, v36, v40, s3 :: v_dual_cndmask_b32 v37, v37, v41, s3
	v_cmp_nge_f64_e64 s3, 0, v[40:41]
	v_cndmask_b32_e32 v11, 0x7ff80000, v37, vcc_lo
	s_and_b32 vcc_lo, s6, s7
	s_delay_alu instid0(SALU_CYCLE_1) | instskip(SKIP_2) | instid1(VALU_DEP_2)
	v_dual_cndmask_b32 v37, v1, v21, vcc_lo :: v_dual_cndmask_b32 v10, 0, v36, s3
	v_cmp_neq_f64_e64 s3, 0, v[40:41]
	v_cndmask_b32_e32 v36, v12, v8, vcc_lo
	v_cndmask_b32_e64 v11, 0xfff00000, v11, s3
.LBB179_90:                             ;   in Loop: Header=BB179_5 Depth=1
	s_or_b32 exec_lo, exec_lo, s5
                                        ; implicit-def: $vgpr40_vgpr41
.LBB179_91:                             ;   in Loop: Header=BB179_5 Depth=1
	s_and_not1_saveexec_b32 s5, s48
	s_cbranch_execz .LBB179_97
; %bb.92:                               ;   in Loop: Header=BB179_5 Depth=1
                                        ; implicit-def: $vgpr10_vgpr11
                                        ; implicit-def: $vgpr36_vgpr37
	s_mov_b32 s3, exec_lo
	v_cmpx_ngt_f64_e32 s[38:39], v[40:41]
	s_xor_b32 s6, exec_lo, s3
	s_cbranch_execz .LBB179_94
; %bb.93:                               ;   in Loop: Header=BB179_5 Depth=1
	v_mul_f64_e32 v[10:11], v[40:41], v[40:41]
	v_cmp_eq_f64_e64 s3, 0, v[16:17]
	v_cmp_class_f64_e64 s7, v[16:17], 0x204
	v_cmp_class_f64_e64 s8, v[14:15], 0x204
	s_delay_alu instid0(VALU_DEP_4) | instskip(NEXT) | instid1(VALU_DEP_1)
	v_add_f64_e32 v[36:37], 1.0, v[10:11]
	v_frexp_mant_f64_e32 v[38:39], v[36:37]
	v_frexp_exp_i32_f64_e32 v1, v[36:37]
	s_delay_alu instid0(VALU_DEP_2) | instskip(NEXT) | instid1(VALU_DEP_2)
	v_cmp_gt_f64_e32 vcc_lo, s[26:27], v[38:39]
	v_subrev_co_ci_u32_e64 v1, null, 0, v1, vcc_lo
	s_delay_alu instid0(VALU_DEP_1) | instskip(SKIP_1) | instid1(VALU_DEP_1)
	v_sub_nc_u32_e32 v8, 0, v1
	v_add_f64_e32 v[40:41], -1.0, v[36:37]
	v_add_f64_e64 v[38:39], v[40:41], -v[36:37]
	s_delay_alu instid0(VALU_DEP_3) | instskip(SKIP_1) | instid1(VALU_DEP_3)
	v_ldexp_f64 v[36:37], v[36:37], v8
	v_add_f64_e64 v[40:41], v[10:11], -v[40:41]
	v_add_f64_e32 v[38:39], 1.0, v[38:39]
	s_delay_alu instid0(VALU_DEP_3) | instskip(SKIP_1) | instid1(VALU_DEP_3)
	v_add_f64_e32 v[42:43], 1.0, v[36:37]
	v_add_f64_e32 v[48:49], -1.0, v[36:37]
	v_add_f64_e32 v[38:39], v[40:41], v[38:39]
	s_delay_alu instid0(VALU_DEP_3) | instskip(NEXT) | instid1(VALU_DEP_3)
	v_add_f64_e32 v[40:41], -1.0, v[42:43]
	v_add_f64_e32 v[50:51], 1.0, v[48:49]
	s_delay_alu instid0(VALU_DEP_3) | instskip(NEXT) | instid1(VALU_DEP_3)
	v_ldexp_f64 v[38:39], v[38:39], v8
	v_add_f64_e64 v[40:41], v[36:37], -v[40:41]
	s_delay_alu instid0(VALU_DEP_3) | instskip(NEXT) | instid1(VALU_DEP_2)
	v_add_f64_e64 v[36:37], v[36:37], -v[50:51]
	v_add_f64_e32 v[40:41], v[38:39], v[40:41]
	s_delay_alu instid0(VALU_DEP_2) | instskip(NEXT) | instid1(VALU_DEP_2)
	v_add_f64_e32 v[36:37], v[38:39], v[36:37]
	v_add_f64_e32 v[44:45], v[42:43], v[40:41]
	s_delay_alu instid0(VALU_DEP_2) | instskip(NEXT) | instid1(VALU_DEP_2)
	v_add_f64_e32 v[50:51], v[48:49], v[36:37]
	v_rcp_f64_e32 v[46:47], v[44:45]
	v_add_f64_e64 v[42:43], v[42:43], -v[44:45]
	s_delay_alu instid0(VALU_DEP_2) | instskip(NEXT) | instid1(VALU_DEP_2)
	v_add_f64_e64 v[48:49], v[48:49], -v[50:51]
	v_add_f64_e32 v[40:41], v[40:41], v[42:43]
	s_delay_alu instid0(VALU_DEP_2) | instskip(NEXT) | instid1(TRANS32_DEP_1)
	v_add_f64_e32 v[36:37], v[36:37], v[48:49]
	v_fma_f64 v[52:53], -v[44:45], v[46:47], 1.0
	s_delay_alu instid0(VALU_DEP_1) | instskip(NEXT) | instid1(VALU_DEP_1)
	v_fmac_f64_e32 v[46:47], v[52:53], v[46:47]
	v_fma_f64 v[38:39], -v[44:45], v[46:47], 1.0
	s_delay_alu instid0(VALU_DEP_1) | instskip(NEXT) | instid1(VALU_DEP_1)
	v_fmac_f64_e32 v[46:47], v[38:39], v[46:47]
	v_mul_f64_e32 v[38:39], v[50:51], v[46:47]
	s_delay_alu instid0(VALU_DEP_1) | instskip(NEXT) | instid1(VALU_DEP_1)
	v_mul_f64_e32 v[52:53], v[44:45], v[38:39]
	v_fma_f64 v[42:43], v[38:39], v[44:45], -v[52:53]
	s_delay_alu instid0(VALU_DEP_1) | instskip(NEXT) | instid1(VALU_DEP_1)
	v_fmac_f64_e32 v[42:43], v[38:39], v[40:41]
	v_add_f64_e32 v[54:55], v[52:53], v[42:43]
	s_delay_alu instid0(VALU_DEP_1) | instskip(SKIP_1) | instid1(VALU_DEP_2)
	v_add_f64_e64 v[56:57], v[50:51], -v[54:55]
	v_add_f64_e64 v[48:49], v[54:55], -v[52:53]
	v_add_f64_e64 v[50:51], v[50:51], -v[56:57]
	s_delay_alu instid0(VALU_DEP_2) | instskip(NEXT) | instid1(VALU_DEP_2)
	v_add_f64_e64 v[42:43], v[48:49], -v[42:43]
	v_add_f64_e64 v[50:51], v[50:51], -v[54:55]
	s_delay_alu instid0(VALU_DEP_1) | instskip(NEXT) | instid1(VALU_DEP_1)
	v_add_f64_e32 v[36:37], v[36:37], v[50:51]
	v_add_f64_e32 v[36:37], v[42:43], v[36:37]
	s_delay_alu instid0(VALU_DEP_1) | instskip(NEXT) | instid1(VALU_DEP_1)
	v_add_f64_e32 v[42:43], v[56:57], v[36:37]
	v_mul_f64_e32 v[48:49], v[46:47], v[42:43]
	v_add_f64_e64 v[54:55], v[56:57], -v[42:43]
	s_delay_alu instid0(VALU_DEP_2) | instskip(NEXT) | instid1(VALU_DEP_2)
	v_mul_f64_e32 v[50:51], v[44:45], v[48:49]
	v_add_f64_e32 v[36:37], v[36:37], v[54:55]
	s_delay_alu instid0(VALU_DEP_2) | instskip(NEXT) | instid1(VALU_DEP_1)
	v_fma_f64 v[44:45], v[48:49], v[44:45], -v[50:51]
	v_fmac_f64_e32 v[44:45], v[48:49], v[40:41]
	s_delay_alu instid0(VALU_DEP_1) | instskip(NEXT) | instid1(VALU_DEP_1)
	v_add_f64_e32 v[40:41], v[50:51], v[44:45]
	v_add_f64_e64 v[52:53], v[42:43], -v[40:41]
	v_add_f64_e64 v[50:51], v[40:41], -v[50:51]
	s_delay_alu instid0(VALU_DEP_2) | instskip(NEXT) | instid1(VALU_DEP_1)
	v_add_f64_e64 v[42:43], v[42:43], -v[52:53]
	v_add_f64_e64 v[40:41], v[42:43], -v[40:41]
	s_delay_alu instid0(VALU_DEP_3) | instskip(SKIP_1) | instid1(VALU_DEP_3)
	v_add_f64_e64 v[42:43], v[50:51], -v[44:45]
	v_max_num_f64_e64 v[44:45], |v[14:15]|, |v[14:15]|
	v_add_f64_e32 v[36:37], v[36:37], v[40:41]
	v_add_f64_e32 v[40:41], v[38:39], v[48:49]
	s_delay_alu instid0(VALU_DEP_2) | instskip(NEXT) | instid1(VALU_DEP_2)
	v_add_f64_e32 v[36:37], v[42:43], v[36:37]
	v_add_f64_e64 v[38:39], v[40:41], -v[38:39]
	v_max_num_f64_e64 v[42:43], |v[16:17]|, |v[16:17]|
	s_delay_alu instid0(VALU_DEP_3) | instskip(NEXT) | instid1(VALU_DEP_3)
	v_add_f64_e32 v[36:37], v[52:53], v[36:37]
	v_add_f64_e64 v[38:39], v[48:49], -v[38:39]
	s_delay_alu instid0(VALU_DEP_2) | instskip(NEXT) | instid1(VALU_DEP_1)
	v_mul_f64_e32 v[36:37], v[46:47], v[36:37]
	v_add_f64_e32 v[36:37], v[38:39], v[36:37]
	v_max_num_f64_e32 v[38:39], v[44:45], v[42:43]
	v_min_num_f64_e32 v[42:43], v[44:45], v[42:43]
	s_delay_alu instid0(VALU_DEP_3) | instskip(NEXT) | instid1(VALU_DEP_2)
	v_add_f64_e32 v[44:45], v[40:41], v[36:37]
	v_div_scale_f64 v[46:47], null, v[38:39], v[38:39], v[42:43]
	s_delay_alu instid0(VALU_DEP_2) | instskip(SKIP_1) | instid1(VALU_DEP_3)
	v_mul_f64_e32 v[48:49], v[44:45], v[44:45]
	v_add_f64_e64 v[40:41], v[44:45], -v[40:41]
	v_rcp_f64_e32 v[50:51], v[46:47]
	s_delay_alu instid0(VALU_DEP_2) | instskip(SKIP_1) | instid1(VALU_DEP_3)
	v_fmamk_f64 v[52:53], v[48:49], 0x3fc3ab76bf559e2b, v[22:23]
	v_mul_f64_e32 v[54:55], v[44:45], v[48:49]
	v_add_f64_e64 v[36:37], v[36:37], -v[40:41]
	s_delay_alu instid0(VALU_DEP_3) | instskip(NEXT) | instid1(TRANS32_DEP_1)
	v_fmaak_f64 v[52:53], v[48:49], v[52:53], 0x3fc7474dd7f4df2e
	v_fma_f64 v[56:57], -v[46:47], v[50:51], 1.0
	s_delay_alu instid0(VALU_DEP_2) | instskip(NEXT) | instid1(VALU_DEP_1)
	v_fmaak_f64 v[52:53], v[48:49], v[52:53], 0x3fcc71c016291751
	v_fmaak_f64 v[52:53], v[48:49], v[52:53], 0x3fd249249b27acf1
	s_delay_alu instid0(VALU_DEP_1) | instskip(SKIP_1) | instid1(VALU_DEP_2)
	v_fmaak_f64 v[52:53], v[48:49], v[52:53], 0x3fd99999998ef7b6
	v_ldexp_f64 v[36:37], v[36:37], 1
	v_fmaak_f64 v[48:49], v[48:49], v[52:53], 0x3fe5555555555780
	v_ldexp_f64 v[52:53], v[44:45], 1
	v_fmac_f64_e32 v[50:51], v[50:51], v[56:57]
	s_delay_alu instid0(VALU_DEP_3) | instskip(SKIP_2) | instid1(VALU_DEP_1)
	v_mul_f64_e32 v[48:49], v[54:55], v[48:49]
	v_cvt_f64_i32_e32 v[54:55], v1
	v_ashrrev_i32_e32 v1, 31, v15
	v_and_b32_e32 v12, 0x54442d18, v1
	v_and_b32_e32 v1, 0x400921fb, v1
	v_fma_f64 v[56:57], -v[46:47], v[50:51], 1.0
	v_add_f64_e32 v[44:45], v[52:53], v[48:49]
	v_mul_f64_e32 v[58:59], 0x3fe62e42fefa39ef, v[54:55]
	s_delay_alu instid0(VALU_DEP_3) | instskip(NEXT) | instid1(VALU_DEP_3)
	v_fmac_f64_e32 v[50:51], v[50:51], v[56:57]
	v_add_f64_e64 v[40:41], v[44:45], -v[52:53]
	v_div_scale_f64 v[52:53], vcc_lo, v[42:43], v[38:39], v[42:43]
	s_delay_alu instid0(VALU_DEP_4) | instskip(NEXT) | instid1(VALU_DEP_3)
	v_fma_f64 v[56:57], v[54:55], s[28:29], -v[58:59]
	v_add_f64_e64 v[40:41], v[48:49], -v[40:41]
	s_delay_alu instid0(VALU_DEP_3) | instskip(NEXT) | instid1(VALU_DEP_3)
	v_mul_f64_e32 v[48:49], v[52:53], v[50:51]
	v_fmac_f64_e32 v[56:57], 0x3c7abc9e3b39803f, v[54:55]
	s_delay_alu instid0(VALU_DEP_3) | instskip(NEXT) | instid1(VALU_DEP_3)
	v_add_f64_e32 v[36:37], v[36:37], v[40:41]
	v_fma_f64 v[40:41], -v[46:47], v[48:49], v[52:53]
	s_delay_alu instid0(VALU_DEP_3) | instskip(NEXT) | instid1(VALU_DEP_3)
	v_add_f64_e32 v[46:47], v[58:59], v[56:57]
	v_add_f64_e32 v[52:53], v[44:45], v[36:37]
	s_delay_alu instid0(VALU_DEP_3) | instskip(SKIP_1) | instid1(VALU_DEP_4)
	v_div_fmas_f64 v[40:41], v[40:41], v[50:51], v[48:49]
	v_cmp_gt_i32_e32 vcc_lo, 0, v15
	v_add_f64_e64 v[50:51], v[46:47], -v[58:59]
	v_cndmask_b32_e32 v8, 0x54442d18, v62, vcc_lo
	v_add_f64_e32 v[48:49], v[46:47], v[52:53]
	v_div_fixup_f64 v[38:39], v[40:41], v[38:39], v[42:43]
	v_add_f64_e64 v[44:45], v[52:53], -v[44:45]
	v_add_f64_e64 v[50:51], v[56:57], -v[50:51]
	s_delay_alu instid0(VALU_DEP_4) | instskip(NEXT) | instid1(VALU_DEP_4)
	v_add_f64_e64 v[40:41], v[48:49], -v[46:47]
	v_mul_f64_e32 v[42:43], v[38:39], v[38:39]
	s_delay_alu instid0(VALU_DEP_4) | instskip(NEXT) | instid1(VALU_DEP_3)
	v_add_f64_e64 v[36:37], v[36:37], -v[44:45]
	v_add_f64_e64 v[54:55], v[48:49], -v[40:41]
	s_delay_alu instid0(VALU_DEP_3) | instskip(SKIP_1) | instid1(VALU_DEP_4)
	v_fmamk_f64 v[58:59], v[42:43], 0x3eeba404b5e68a13, v[24:25]
	v_add_f64_e64 v[40:41], v[52:53], -v[40:41]
	v_add_f64_e32 v[52:53], v[50:51], v[36:37]
	s_delay_alu instid0(VALU_DEP_3) | instskip(NEXT) | instid1(VALU_DEP_1)
	v_fmaak_f64 v[58:59], v[42:43], v[58:59], 0x3f4b2bb069efb384
	v_fmaak_f64 v[58:59], v[42:43], v[58:59], 0xbf67952daf56de9b
	v_add_f64_e64 v[44:45], v[46:47], -v[54:55]
	s_delay_alu instid0(VALU_DEP_2) | instskip(NEXT) | instid1(VALU_DEP_1)
	v_fmaak_f64 v[46:47], v[42:43], v[58:59], 0x3f7d6d43a595c56f
	v_fmaak_f64 v[46:47], v[42:43], v[46:47], 0xbf8c6ea4a57d9582
	s_delay_alu instid0(VALU_DEP_1) | instskip(NEXT) | instid1(VALU_DEP_1)
	v_fmaak_f64 v[46:47], v[42:43], v[46:47], 0x3f967e295f08b19f
	v_fmaak_f64 v[46:47], v[42:43], v[46:47], 0xbf9e9ae6fc27006a
	s_delay_alu instid0(VALU_DEP_1) | instskip(SKIP_1) | instid1(VALU_DEP_2)
	v_fmaak_f64 v[46:47], v[42:43], v[46:47], 0x3fa2c15b5711927a
	v_add_f64_e32 v[40:41], v[40:41], v[44:45]
	v_fmaak_f64 v[44:45], v[42:43], v[46:47], 0xbfa59976e82d3ff0
	v_add_f64_e64 v[46:47], v[52:53], -v[50:51]
	s_delay_alu instid0(VALU_DEP_2) | instskip(NEXT) | instid1(VALU_DEP_1)
	v_fmaak_f64 v[44:45], v[42:43], v[44:45], 0x3fa82d5d6ef28734
	v_fmaak_f64 v[44:45], v[42:43], v[44:45], 0xbfaae5ce6a214619
	s_delay_alu instid0(VALU_DEP_1) | instskip(NEXT) | instid1(VALU_DEP_1)
	v_fmaak_f64 v[44:45], v[42:43], v[44:45], 0x3fae1bb48427b883
	v_fmaak_f64 v[44:45], v[42:43], v[44:45], 0xbfb110e48b207f05
	v_add_f64_e32 v[40:41], v[52:53], v[40:41]
	v_add_f64_e64 v[52:53], v[52:53], -v[46:47]
	v_add_f64_e64 v[36:37], v[36:37], -v[46:47]
	s_delay_alu instid0(VALU_DEP_4) | instskip(NEXT) | instid1(VALU_DEP_1)
	v_fmaak_f64 v[44:45], v[42:43], v[44:45], 0x3fb3b13657b87036
	v_fmaak_f64 v[44:45], v[42:43], v[44:45], 0xbfb745d119378e4f
	s_delay_alu instid0(VALU_DEP_1) | instskip(NEXT) | instid1(VALU_DEP_1)
	v_fmaak_f64 v[44:45], v[42:43], v[44:45], 0x3fbc71c717e1913c
	v_fmaak_f64 v[44:45], v[42:43], v[44:45], 0xbfc2492492376b7d
	v_add_f64_e32 v[54:55], v[48:49], v[40:41]
	s_delay_alu instid0(VALU_DEP_2) | instskip(NEXT) | instid1(VALU_DEP_1)
	v_fmaak_f64 v[44:45], v[42:43], v[44:45], 0x3fc99999999952cc
	v_fmaak_f64 v[44:45], v[42:43], v[44:45], 0xbfd5555555555523
	s_delay_alu instid0(VALU_DEP_1) | instskip(SKIP_2) | instid1(VALU_DEP_3)
	v_mul_f64_e32 v[42:43], v[42:43], v[44:45]
	v_add_f64_e64 v[44:45], v[50:51], -v[52:53]
	v_add_f64_e64 v[46:47], v[54:55], -v[48:49]
	v_fmac_f64_e32 v[38:39], v[38:39], v[42:43]
	s_delay_alu instid0(VALU_DEP_3) | instskip(NEXT) | instid1(VALU_DEP_3)
	v_add_f64_e32 v[36:37], v[36:37], v[44:45]
	v_add_f64_e64 v[40:41], v[40:41], -v[46:47]
	s_delay_alu instid0(VALU_DEP_3) | instskip(NEXT) | instid1(VALU_DEP_1)
	v_add_f64_e64 v[42:43], -v[38:39], s[30:31]
	v_dual_add_f64 v[36:37], v[36:37], v[40:41] :: v_dual_cndmask_b32 v39, v39, v43, s2
	s_delay_alu instid0(VALU_DEP_2) | instskip(SKIP_2) | instid1(VALU_DEP_3)
	v_cndmask_b32_e64 v38, v38, v42, s2
	v_cmp_neq_f64_e64 s4, 0x7ff00000, v[10:11]
	v_cndmask_b32_e32 v10, 0x3fe921fb, v63, vcc_lo
	v_add_f64_e64 v[40:41], -v[38:39], s[34:35]
	s_delay_alu instid0(VALU_DEP_2) | instskip(SKIP_1) | instid1(VALU_DEP_3)
	v_bfi_b32 v10, 0x7fffffff, v10, v17
	v_add_f64_e32 v[36:37], v[54:55], v[36:37]
	v_dual_cndmask_b32 v21, v38, v40, vcc_lo :: v_dual_cndmask_b32 v11, v39, v41, vcc_lo
	s_and_b32 vcc_lo, s8, s7
                                        ; implicit-def: $vgpr40_vgpr41
	s_delay_alu instid0(VALU_DEP_1) | instskip(NEXT) | instid1(VALU_DEP_1)
	v_dual_cndmask_b32 v12, v21, v12, s3 :: v_dual_cndmask_b32 v1, v11, v1, s3
	v_dual_mul_f64 v[42:43], 0.5, v[36:37] :: v_dual_cndmask_b32 v37, v1, v10, vcc_lo
	s_delay_alu instid0(VALU_DEP_2) | instskip(NEXT) | instid1(VALU_DEP_2)
	v_cndmask_b32_e32 v36, v12, v8, vcc_lo
	v_cndmask_b32_e64 v11, 0x7ff00000, v43, s4
	s_delay_alu instid0(VALU_DEP_3)
	v_cndmask_b32_e64 v10, 0, v42, s4
.LBB179_94:                             ;   in Loop: Header=BB179_5 Depth=1
	s_and_not1_saveexec_b32 s4, s6
	s_cbranch_execz .LBB179_96
; %bb.95:                               ;   in Loop: Header=BB179_5 Depth=1
	v_max_num_f64_e64 v[10:11], |v[16:17]|, |v[16:17]|
	v_max_num_f64_e64 v[36:37], |v[14:15]|, |v[14:15]|
	v_ashrrev_i32_e32 v1, 31, v15
	v_cmp_eq_f64_e64 s3, 0, v[16:17]
	v_cmp_class_f64_e64 s6, v[16:17], 0x204
	v_cmp_class_f64_e64 s7, v[14:15], 0x204
	s_delay_alu instid0(VALU_DEP_4) | instskip(SKIP_2) | instid1(VALU_DEP_1)
	v_and_b32_e32 v12, 0x54442d18, v1
	v_max_num_f64_e32 v[38:39], v[36:37], v[10:11]
	v_min_num_f64_e32 v[10:11], v[36:37], v[10:11]
	v_div_scale_f64 v[36:37], null, v[38:39], v[38:39], v[10:11]
	v_div_scale_f64 v[46:47], vcc_lo, v[10:11], v[38:39], v[10:11]
	s_delay_alu instid0(VALU_DEP_2) | instskip(SKIP_1) | instid1(TRANS32_DEP_1)
	v_rcp_f64_e32 v[42:43], v[36:37]
	v_nop
	v_fma_f64 v[44:45], -v[36:37], v[42:43], 1.0
	s_delay_alu instid0(VALU_DEP_1) | instskip(NEXT) | instid1(VALU_DEP_1)
	v_fmac_f64_e32 v[42:43], v[42:43], v[44:45]
	v_fma_f64 v[44:45], -v[36:37], v[42:43], 1.0
	s_delay_alu instid0(VALU_DEP_1) | instskip(NEXT) | instid1(VALU_DEP_1)
	v_fmac_f64_e32 v[42:43], v[42:43], v[44:45]
	v_mul_f64_e32 v[44:45], v[46:47], v[42:43]
	s_delay_alu instid0(VALU_DEP_1) | instskip(NEXT) | instid1(VALU_DEP_1)
	v_fma_f64 v[36:37], -v[36:37], v[44:45], v[46:47]
	v_div_fmas_f64 v[36:37], v[36:37], v[42:43], v[44:45]
	v_cmp_gt_i32_e32 vcc_lo, 0, v15
	v_cndmask_b32_e32 v8, 0x54442d18, v62, vcc_lo
	v_and_b32_e32 v1, 0x400921fb, v1
	s_delay_alu instid0(VALU_DEP_4) | instskip(NEXT) | instid1(VALU_DEP_1)
	v_div_fixup_f64 v[10:11], v[36:37], v[38:39], v[10:11]
	v_mul_f64_e32 v[36:37], v[10:11], v[10:11]
	s_delay_alu instid0(VALU_DEP_1) | instskip(NEXT) | instid1(VALU_DEP_1)
	v_fmamk_f64 v[38:39], v[36:37], 0x3eeba404b5e68a13, v[24:25]
	v_fmaak_f64 v[38:39], v[36:37], v[38:39], 0x3f4b2bb069efb384
	s_delay_alu instid0(VALU_DEP_1) | instskip(NEXT) | instid1(VALU_DEP_1)
	v_fmaak_f64 v[38:39], v[36:37], v[38:39], 0xbf67952daf56de9b
	v_fmaak_f64 v[38:39], v[36:37], v[38:39], 0x3f7d6d43a595c56f
	s_delay_alu instid0(VALU_DEP_1) | instskip(NEXT) | instid1(VALU_DEP_1)
	v_fmaak_f64 v[38:39], v[36:37], v[38:39], 0xbf8c6ea4a57d9582
	v_fmaak_f64 v[38:39], v[36:37], v[38:39], 0x3f967e295f08b19f
	s_delay_alu instid0(VALU_DEP_1) | instskip(NEXT) | instid1(VALU_DEP_1)
	v_fmaak_f64 v[38:39], v[36:37], v[38:39], 0xbf9e9ae6fc27006a
	v_fmaak_f64 v[38:39], v[36:37], v[38:39], 0x3fa2c15b5711927a
	s_delay_alu instid0(VALU_DEP_1) | instskip(NEXT) | instid1(VALU_DEP_1)
	v_fmaak_f64 v[38:39], v[36:37], v[38:39], 0xbfa59976e82d3ff0
	v_fmaak_f64 v[38:39], v[36:37], v[38:39], 0x3fa82d5d6ef28734
	s_delay_alu instid0(VALU_DEP_1) | instskip(NEXT) | instid1(VALU_DEP_1)
	v_fmaak_f64 v[38:39], v[36:37], v[38:39], 0xbfaae5ce6a214619
	v_fmaak_f64 v[38:39], v[36:37], v[38:39], 0x3fae1bb48427b883
	s_delay_alu instid0(VALU_DEP_1) | instskip(NEXT) | instid1(VALU_DEP_1)
	v_fmaak_f64 v[38:39], v[36:37], v[38:39], 0xbfb110e48b207f05
	v_fmaak_f64 v[38:39], v[36:37], v[38:39], 0x3fb3b13657b87036
	s_delay_alu instid0(VALU_DEP_1) | instskip(NEXT) | instid1(VALU_DEP_1)
	v_fmaak_f64 v[38:39], v[36:37], v[38:39], 0xbfb745d119378e4f
	v_fmaak_f64 v[38:39], v[36:37], v[38:39], 0x3fbc71c717e1913c
	s_delay_alu instid0(VALU_DEP_1) | instskip(NEXT) | instid1(VALU_DEP_1)
	v_fmaak_f64 v[38:39], v[36:37], v[38:39], 0xbfc2492492376b7d
	v_fmaak_f64 v[38:39], v[36:37], v[38:39], 0x3fc99999999952cc
	s_delay_alu instid0(VALU_DEP_1) | instskip(NEXT) | instid1(VALU_DEP_1)
	v_fmaak_f64 v[38:39], v[36:37], v[38:39], 0xbfd5555555555523
	v_mul_f64_e32 v[36:37], v[36:37], v[38:39]
	s_delay_alu instid0(VALU_DEP_1) | instskip(NEXT) | instid1(VALU_DEP_1)
	v_fmac_f64_e32 v[10:11], v[10:11], v[36:37]
	v_add_f64_e64 v[36:37], -v[10:11], s[30:31]
	s_delay_alu instid0(VALU_DEP_1) | instskip(SKIP_1) | instid1(VALU_DEP_1)
	v_dual_cndmask_b32 v37, v11, v37, s2 :: v_dual_cndmask_b32 v36, v10, v36, s2
	v_mul_f64_e32 v[10:11], 0.5, v[40:41]
	v_mul_f64_e32 v[10:11], v[40:41], v[10:11]
	s_delay_alu instid0(VALU_DEP_3) | instskip(NEXT) | instid1(VALU_DEP_1)
	v_add_f64_e64 v[38:39], -v[36:37], s[34:35]
	v_cndmask_b32_e32 v21, v36, v38, vcc_lo
	v_cndmask_b32_e32 v36, 0x3fe921fb, v63, vcc_lo
	s_delay_alu instid0(VALU_DEP_2) | instskip(NEXT) | instid1(VALU_DEP_4)
	v_cndmask_b32_e64 v12, v21, v12, s3
	v_cndmask_b32_e32 v37, v37, v39, vcc_lo
	s_delay_alu instid0(VALU_DEP_3) | instskip(SKIP_1) | instid1(VALU_DEP_2)
	v_bfi_b32 v36, 0x7fffffff, v36, v17
	s_and_b32 vcc_lo, s7, s6
	v_cndmask_b32_e64 v1, v37, v1, s3
	s_delay_alu instid0(VALU_DEP_1)
	v_cndmask_b32_e32 v37, v1, v36, vcc_lo
	v_cndmask_b32_e32 v36, v12, v8, vcc_lo
.LBB179_96:                             ;   in Loop: Header=BB179_5 Depth=1
	s_or_b32 exec_lo, exec_lo, s4
.LBB179_97:                             ;   in Loop: Header=BB179_5 Depth=1
	s_delay_alu instid0(SALU_CYCLE_1)
	s_or_b32 exec_lo, exec_lo, s5
.LBB179_98:                             ;   in Loop: Header=BB179_5 Depth=1
	s_and_not1_saveexec_b32 s4, s47
	s_cbranch_execz .LBB179_100
; %bb.99:                               ;   in Loop: Header=BB179_5 Depth=1
	v_div_scale_f64 v[10:11], null, s[40:41], s[40:41], v[14:15]
	v_div_scale_f64 v[36:37], null, s[40:41], s[40:41], v[16:17]
	v_div_scale_f64 v[46:47], vcc_lo, v[14:15], s[40:41], v[14:15]
	s_delay_alu instid0(VALU_DEP_3) | instskip(NEXT) | instid1(VALU_DEP_2)
	v_rcp_f64_e32 v[38:39], v[10:11]
	v_rcp_f64_e32 v[40:41], v[36:37]
	s_delay_alu instid0(TRANS32_DEP_2) | instskip(NEXT) | instid1(TRANS32_DEP_1)
	v_fma_f64 v[42:43], -v[10:11], v[38:39], 1.0
	v_fma_f64 v[44:45], -v[36:37], v[40:41], 1.0
	s_delay_alu instid0(VALU_DEP_2) | instskip(NEXT) | instid1(VALU_DEP_2)
	v_fmac_f64_e32 v[38:39], v[38:39], v[42:43]
	v_fmac_f64_e32 v[40:41], v[40:41], v[44:45]
	s_delay_alu instid0(VALU_DEP_2) | instskip(NEXT) | instid1(VALU_DEP_2)
	v_fma_f64 v[42:43], -v[10:11], v[38:39], 1.0
	v_fma_f64 v[44:45], -v[36:37], v[40:41], 1.0
	s_delay_alu instid0(VALU_DEP_2) | instskip(SKIP_1) | instid1(VALU_DEP_3)
	v_fmac_f64_e32 v[38:39], v[38:39], v[42:43]
	v_div_scale_f64 v[42:43], s3, v[16:17], s[40:41], v[16:17]
	v_fmac_f64_e32 v[40:41], v[40:41], v[44:45]
	s_delay_alu instid0(VALU_DEP_3) | instskip(NEXT) | instid1(VALU_DEP_2)
	v_mul_f64_e32 v[44:45], v[46:47], v[38:39]
	v_mul_f64_e32 v[48:49], v[42:43], v[40:41]
	s_delay_alu instid0(VALU_DEP_2) | instskip(NEXT) | instid1(VALU_DEP_2)
	v_fma_f64 v[10:11], -v[10:11], v[44:45], v[46:47]
	v_fma_f64 v[36:37], -v[36:37], v[48:49], v[42:43]
	s_delay_alu instid0(VALU_DEP_2) | instskip(SKIP_1) | instid1(VALU_DEP_2)
	v_div_fmas_f64 v[10:11], v[10:11], v[38:39], v[44:45]
	s_mov_b32 vcc_lo, s3
	v_div_fmas_f64 v[36:37], v[36:37], v[40:41], v[48:49]
	s_delay_alu instid0(VALU_DEP_2) | instskip(NEXT) | instid1(VALU_DEP_2)
	v_div_fixup_f64 v[10:11], v[10:11], s[40:41], v[14:15]
	v_div_fixup_f64 v[36:37], v[36:37], s[40:41], v[16:17]
	s_delay_alu instid0(VALU_DEP_2) | instskip(NEXT) | instid1(VALU_DEP_2)
	v_cmp_class_f64_e64 s3, v[10:11], 0x204
	v_max_num_f64_e64 v[38:39], |v[10:11]|, |v[36:37]|
	v_cmp_class_f64_e64 s5, v[36:37], 0x204
	s_delay_alu instid0(VALU_DEP_2) | instskip(SKIP_2) | instid1(VALU_DEP_2)
	v_frexp_exp_i32_f64_e32 v1, v[38:39]
	s_or_b32 s3, s3, s5
	v_cmp_class_f64_e64 s5, v[14:15], 0x204
	v_sub_nc_u32_e32 v8, 0, v1
	s_delay_alu instid0(VALU_DEP_1) | instskip(SKIP_1) | instid1(VALU_DEP_2)
	v_ldexp_f64 v[38:39], |v[36:37]|, v8
	v_ldexp_f64 v[40:41], |v[10:11]|, v8
	v_mul_f64_e32 v[38:39], v[38:39], v[38:39]
	s_delay_alu instid0(VALU_DEP_1) | instskip(NEXT) | instid1(VALU_DEP_1)
	v_fmac_f64_e32 v[38:39], v[40:41], v[40:41]
	v_rsq_f64_e32 v[40:41], v[38:39]
	v_cmp_eq_f64_e32 vcc_lo, 0, v[38:39]
	s_delay_alu instid0(TRANS32_DEP_1) | instskip(SKIP_1) | instid1(VALU_DEP_1)
	v_mul_f64_e32 v[42:43], v[38:39], v[40:41]
	v_mul_f64_e32 v[40:41], 0.5, v[40:41]
	v_fma_f64 v[44:45], -v[40:41], v[42:43], 0.5
	s_delay_alu instid0(VALU_DEP_1) | instskip(SKIP_1) | instid1(VALU_DEP_2)
	v_fmac_f64_e32 v[42:43], v[42:43], v[44:45]
	v_fmac_f64_e32 v[40:41], v[40:41], v[44:45]
	v_fma_f64 v[44:45], -v[42:43], v[42:43], v[38:39]
	s_delay_alu instid0(VALU_DEP_1) | instskip(NEXT) | instid1(VALU_DEP_1)
	v_fmac_f64_e32 v[42:43], v[44:45], v[40:41]
	v_dual_cndmask_b32 v39, v43, v39 :: v_dual_cndmask_b32 v38, v42, v38
	v_cmp_o_f64_e32 vcc_lo, v[10:11], v[36:37]
	s_delay_alu instid0(VALU_DEP_2) | instskip(NEXT) | instid1(VALU_DEP_1)
	v_ldexp_f64 v[38:39], v[38:39], v1
	v_cndmask_b32_e32 v1, 0, v38, vcc_lo
	s_delay_alu instid0(VALU_DEP_2) | instskip(NEXT) | instid1(VALU_DEP_2)
	v_cndmask_b32_e32 v8, 0x7ff80000, v39, vcc_lo
	v_cndmask_b32_e64 v38, v1, 0, s3
	s_delay_alu instid0(VALU_DEP_2) | instskip(SKIP_1) | instid1(VALU_DEP_2)
	v_cndmask_b32_e64 v39, v8, 0x7ff00000, s3
	v_cmp_class_f64_e64 s3, v[16:17], 0x204
	v_frexp_mant_f64_e32 v[10:11], v[38:39]
	s_delay_alu instid0(VALU_DEP_1) | instskip(SKIP_1) | instid1(VALU_DEP_1)
	v_cmp_gt_f64_e32 vcc_lo, s[26:27], v[10:11]
	v_cndmask_b32_e64 v1, 0, 1, vcc_lo
	v_ldexp_f64 v[10:11], v[10:11], v1
	v_frexp_exp_i32_f64_e32 v1, v[38:39]
	s_delay_alu instid0(VALU_DEP_2) | instskip(SKIP_1) | instid1(VALU_DEP_3)
	v_add_f64_e32 v[36:37], 1.0, v[10:11]
	v_add_f64_e32 v[44:45], -1.0, v[10:11]
	v_subrev_co_ci_u32_e64 v1, null, 0, v1, vcc_lo
	s_delay_alu instid0(VALU_DEP_3) | instskip(SKIP_1) | instid1(VALU_DEP_1)
	v_rcp_f64_e32 v[40:41], v[36:37]
	v_add_f64_e32 v[46:47], -1.0, v[36:37]
	v_add_f64_e64 v[10:11], v[10:11], -v[46:47]
	s_delay_alu instid0(TRANS32_DEP_1) | instskip(NEXT) | instid1(VALU_DEP_1)
	v_fma_f64 v[42:43], -v[36:37], v[40:41], 1.0
	v_fmac_f64_e32 v[40:41], v[42:43], v[40:41]
	s_delay_alu instid0(VALU_DEP_1) | instskip(NEXT) | instid1(VALU_DEP_1)
	v_fma_f64 v[42:43], -v[36:37], v[40:41], 1.0
	v_fmac_f64_e32 v[40:41], v[42:43], v[40:41]
	s_delay_alu instid0(VALU_DEP_1) | instskip(NEXT) | instid1(VALU_DEP_1)
	v_mul_f64_e32 v[42:43], v[44:45], v[40:41]
	v_mul_f64_e32 v[48:49], v[36:37], v[42:43]
	s_delay_alu instid0(VALU_DEP_1) | instskip(NEXT) | instid1(VALU_DEP_1)
	v_fma_f64 v[36:37], v[42:43], v[36:37], -v[48:49]
	v_fmac_f64_e32 v[36:37], v[42:43], v[10:11]
	s_delay_alu instid0(VALU_DEP_1) | instskip(NEXT) | instid1(VALU_DEP_1)
	v_add_f64_e32 v[10:11], v[48:49], v[36:37]
	v_add_f64_e64 v[46:47], v[44:45], -v[10:11]
	v_add_f64_e64 v[48:49], v[10:11], -v[48:49]
	s_delay_alu instid0(VALU_DEP_2) | instskip(NEXT) | instid1(VALU_DEP_2)
	v_add_f64_e64 v[44:45], v[44:45], -v[46:47]
	v_add_f64_e64 v[36:37], v[48:49], -v[36:37]
	s_delay_alu instid0(VALU_DEP_2) | instskip(SKIP_1) | instid1(VALU_DEP_2)
	v_add_f64_e64 v[10:11], v[44:45], -v[10:11]
	v_max_num_f64_e64 v[44:45], |v[14:15]|, |v[14:15]|
	v_add_f64_e32 v[10:11], v[36:37], v[10:11]
	v_max_num_f64_e64 v[36:37], |v[16:17]|, |v[16:17]|
	s_delay_alu instid0(VALU_DEP_2) | instskip(NEXT) | instid1(VALU_DEP_1)
	v_add_f64_e32 v[10:11], v[46:47], v[10:11]
	v_mul_f64_e32 v[10:11], v[40:41], v[10:11]
	s_delay_alu instid0(VALU_DEP_3) | instskip(SKIP_1) | instid1(VALU_DEP_3)
	v_max_num_f64_e32 v[40:41], v[44:45], v[36:37]
	v_min_num_f64_e32 v[36:37], v[44:45], v[36:37]
	v_add_f64_e32 v[44:45], v[42:43], v[10:11]
	s_delay_alu instid0(VALU_DEP_2) | instskip(NEXT) | instid1(VALU_DEP_2)
	v_div_scale_f64 v[46:47], null, v[40:41], v[40:41], v[36:37]
	v_mul_f64_e32 v[48:49], v[44:45], v[44:45]
	v_add_f64_e64 v[42:43], v[44:45], -v[42:43]
	s_delay_alu instid0(VALU_DEP_3) | instskip(NEXT) | instid1(VALU_DEP_2)
	v_rcp_f64_e32 v[50:51], v[46:47]
	v_fmamk_f64 v[52:53], v[48:49], 0x3fc3ab76bf559e2b, v[22:23]
	v_mul_f64_e32 v[54:55], v[44:45], v[48:49]
	s_delay_alu instid0(VALU_DEP_3) | instskip(NEXT) | instid1(VALU_DEP_3)
	v_add_f64_e64 v[10:11], v[10:11], -v[42:43]
	v_fmaak_f64 v[52:53], v[48:49], v[52:53], 0x3fc7474dd7f4df2e
	s_delay_alu instid0(TRANS32_DEP_1) | instskip(NEXT) | instid1(VALU_DEP_2)
	v_fma_f64 v[56:57], -v[46:47], v[50:51], 1.0
	v_fmaak_f64 v[52:53], v[48:49], v[52:53], 0x3fcc71c016291751
	s_delay_alu instid0(VALU_DEP_1) | instskip(NEXT) | instid1(VALU_DEP_1)
	v_fmaak_f64 v[52:53], v[48:49], v[52:53], 0x3fd249249b27acf1
	v_fmaak_f64 v[52:53], v[48:49], v[52:53], 0x3fd99999998ef7b6
	v_ldexp_f64 v[10:11], v[10:11], 1
	s_delay_alu instid0(VALU_DEP_2) | instskip(SKIP_2) | instid1(VALU_DEP_3)
	v_fmaak_f64 v[48:49], v[48:49], v[52:53], 0x3fe5555555555780
	v_ldexp_f64 v[52:53], v[44:45], 1
	v_fmac_f64_e32 v[50:51], v[50:51], v[56:57]
	v_mul_f64_e32 v[48:49], v[54:55], v[48:49]
	v_cvt_f64_i32_e32 v[54:55], v1
	v_ashrrev_i32_e32 v1, 31, v15
	s_delay_alu instid0(VALU_DEP_1) | instskip(SKIP_4) | instid1(VALU_DEP_3)
	v_and_b32_e32 v12, 0x54442d18, v1
	v_and_b32_e32 v1, 0x400921fb, v1
	v_fma_f64 v[56:57], -v[46:47], v[50:51], 1.0
	v_add_f64_e32 v[44:45], v[52:53], v[48:49]
	v_mul_f64_e32 v[58:59], 0x3fe62e42fefa39ef, v[54:55]
	v_fmac_f64_e32 v[50:51], v[50:51], v[56:57]
	s_delay_alu instid0(VALU_DEP_3) | instskip(SKIP_1) | instid1(VALU_DEP_4)
	v_add_f64_e64 v[42:43], v[44:45], -v[52:53]
	v_div_scale_f64 v[52:53], vcc_lo, v[36:37], v[40:41], v[36:37]
	v_fma_f64 v[56:57], v[54:55], s[28:29], -v[58:59]
	s_delay_alu instid0(VALU_DEP_3) | instskip(NEXT) | instid1(VALU_DEP_3)
	v_add_f64_e64 v[42:43], v[48:49], -v[42:43]
	v_mul_f64_e32 v[48:49], v[52:53], v[50:51]
	s_delay_alu instid0(VALU_DEP_3) | instskip(NEXT) | instid1(VALU_DEP_3)
	v_fmac_f64_e32 v[56:57], 0x3c7abc9e3b39803f, v[54:55]
	v_add_f64_e32 v[10:11], v[10:11], v[42:43]
	s_delay_alu instid0(VALU_DEP_3) | instskip(NEXT) | instid1(VALU_DEP_3)
	v_fma_f64 v[42:43], -v[46:47], v[48:49], v[52:53]
	v_add_f64_e32 v[46:47], v[58:59], v[56:57]
	s_delay_alu instid0(VALU_DEP_3) | instskip(NEXT) | instid1(VALU_DEP_3)
	v_add_f64_e32 v[52:53], v[44:45], v[10:11]
	v_div_fmas_f64 v[42:43], v[42:43], v[50:51], v[48:49]
	v_cmp_class_f64_e64 vcc_lo, v[38:39], 0x204
	s_delay_alu instid0(VALU_DEP_4) | instskip(NEXT) | instid1(VALU_DEP_4)
	v_add_f64_e64 v[50:51], v[46:47], -v[58:59]
	v_add_f64_e32 v[48:49], v[46:47], v[52:53]
	s_delay_alu instid0(VALU_DEP_4) | instskip(SKIP_1) | instid1(VALU_DEP_4)
	v_div_fixup_f64 v[36:37], v[42:43], v[40:41], v[36:37]
	v_add_f64_e64 v[44:45], v[52:53], -v[44:45]
	v_add_f64_e64 v[50:51], v[56:57], -v[50:51]
	s_delay_alu instid0(VALU_DEP_4) | instskip(NEXT) | instid1(VALU_DEP_4)
	v_add_f64_e64 v[40:41], v[48:49], -v[46:47]
	v_mul_f64_e32 v[42:43], v[36:37], v[36:37]
	s_delay_alu instid0(VALU_DEP_4) | instskip(NEXT) | instid1(VALU_DEP_3)
	v_add_f64_e64 v[10:11], v[10:11], -v[44:45]
	v_add_f64_e64 v[54:55], v[48:49], -v[40:41]
	s_delay_alu instid0(VALU_DEP_3) | instskip(SKIP_1) | instid1(VALU_DEP_4)
	v_fmamk_f64 v[58:59], v[42:43], 0x3eeba404b5e68a13, v[24:25]
	v_add_f64_e64 v[40:41], v[52:53], -v[40:41]
	v_add_f64_e32 v[52:53], v[50:51], v[10:11]
	s_delay_alu instid0(VALU_DEP_3) | instskip(SKIP_1) | instid1(VALU_DEP_2)
	v_fmaak_f64 v[58:59], v[42:43], v[58:59], 0x3f4b2bb069efb384
	v_add_f64_e64 v[44:45], v[46:47], -v[54:55]
	v_fmaak_f64 v[46:47], v[42:43], v[58:59], 0xbf67952daf56de9b
	s_delay_alu instid0(VALU_DEP_1) | instskip(NEXT) | instid1(VALU_DEP_1)
	v_fmaak_f64 v[46:47], v[42:43], v[46:47], 0x3f7d6d43a595c56f
	v_fmaak_f64 v[46:47], v[42:43], v[46:47], 0xbf8c6ea4a57d9582
	s_delay_alu instid0(VALU_DEP_1) | instskip(SKIP_1) | instid1(VALU_DEP_2)
	v_fmaak_f64 v[46:47], v[42:43], v[46:47], 0x3f967e295f08b19f
	v_add_f64_e32 v[40:41], v[40:41], v[44:45]
	v_fmaak_f64 v[44:45], v[42:43], v[46:47], 0xbf9e9ae6fc27006a
	v_add_f64_e64 v[46:47], v[52:53], -v[50:51]
	s_delay_alu instid0(VALU_DEP_2) | instskip(NEXT) | instid1(VALU_DEP_1)
	v_fmaak_f64 v[44:45], v[42:43], v[44:45], 0x3fa2c15b5711927a
	v_fmaak_f64 v[44:45], v[42:43], v[44:45], 0xbfa59976e82d3ff0
	s_delay_alu instid0(VALU_DEP_1) | instskip(NEXT) | instid1(VALU_DEP_1)
	v_fmaak_f64 v[44:45], v[42:43], v[44:45], 0x3fa82d5d6ef28734
	v_fmaak_f64 v[44:45], v[42:43], v[44:45], 0xbfaae5ce6a214619
	v_add_f64_e32 v[40:41], v[52:53], v[40:41]
	v_add_f64_e64 v[52:53], v[52:53], -v[46:47]
	v_add_f64_e64 v[10:11], v[10:11], -v[46:47]
	s_delay_alu instid0(VALU_DEP_4) | instskip(NEXT) | instid1(VALU_DEP_1)
	v_fmaak_f64 v[44:45], v[42:43], v[44:45], 0x3fae1bb48427b883
	v_fmaak_f64 v[44:45], v[42:43], v[44:45], 0xbfb110e48b207f05
	s_delay_alu instid0(VALU_DEP_1) | instskip(NEXT) | instid1(VALU_DEP_1)
	v_fmaak_f64 v[44:45], v[42:43], v[44:45], 0x3fb3b13657b87036
	v_fmaak_f64 v[44:45], v[42:43], v[44:45], 0xbfb745d119378e4f
	s_delay_alu instid0(VALU_DEP_1) | instskip(SKIP_1) | instid1(VALU_DEP_2)
	v_fmaak_f64 v[44:45], v[42:43], v[44:45], 0x3fbc71c717e1913c
	v_add_f64_e32 v[54:55], v[48:49], v[40:41]
	v_fmaak_f64 v[44:45], v[42:43], v[44:45], 0xbfc2492492376b7d
	s_delay_alu instid0(VALU_DEP_1) | instskip(NEXT) | instid1(VALU_DEP_1)
	v_fmaak_f64 v[44:45], v[42:43], v[44:45], 0x3fc99999999952cc
	v_fmaak_f64 v[44:45], v[42:43], v[44:45], 0xbfd5555555555523
	s_delay_alu instid0(VALU_DEP_1) | instskip(SKIP_2) | instid1(VALU_DEP_3)
	v_mul_f64_e32 v[42:43], v[42:43], v[44:45]
	v_add_f64_e64 v[44:45], v[50:51], -v[52:53]
	v_add_f64_e64 v[46:47], v[54:55], -v[48:49]
	v_fmac_f64_e32 v[36:37], v[36:37], v[42:43]
	s_delay_alu instid0(VALU_DEP_3) | instskip(NEXT) | instid1(VALU_DEP_3)
	v_add_f64_e32 v[10:11], v[10:11], v[44:45]
	v_add_f64_e64 v[40:41], v[40:41], -v[46:47]
	s_delay_alu instid0(VALU_DEP_3) | instskip(NEXT) | instid1(VALU_DEP_1)
	v_add_f64_e64 v[42:43], -v[36:37], s[30:31]
	v_dual_add_f64 v[10:11], v[10:11], v[40:41] :: v_dual_cndmask_b32 v37, v37, v43, s2
	s_delay_alu instid0(VALU_DEP_2) | instskip(SKIP_1) | instid1(VALU_DEP_3)
	v_cndmask_b32_e64 v36, v36, v42, s2
	v_cmp_gt_i32_e64 s2, 0, v15
	v_add_f64_e32 v[10:11], v[54:55], v[10:11]
	s_delay_alu instid0(VALU_DEP_3) | instskip(NEXT) | instid1(VALU_DEP_3)
	v_add_f64_e64 v[40:41], -v[36:37], s[34:35]
	v_cndmask_b32_e64 v8, 0x54442d18, v62, s2
	s_delay_alu instid0(VALU_DEP_3) | instskip(SKIP_1) | instid1(VALU_DEP_4)
	v_dual_cndmask_b32 v11, v11, v39 :: v_dual_cndmask_b32 v10, v10, v38
	v_cmp_eq_f64_e32 vcc_lo, 0, v[16:17]
	v_cndmask_b32_e64 v21, v36, v40, s2
	v_cndmask_b32_e64 v36, 0x3fe921fb, v63, s2
	s_delay_alu instid0(VALU_DEP_4) | instskip(SKIP_1) | instid1(VALU_DEP_3)
	v_dual_add_f64 v[10:11], 1.0, v[10:11] :: v_dual_cndmask_b32 v37, v37, v41, s2
	v_cmp_nge_f64_e64 s2, 0, v[38:39]
	v_bfi_b32 v36, 0x7fffffff, v36, v17
	v_cndmask_b32_e32 v12, v21, v12, vcc_lo
	s_delay_alu instid0(VALU_DEP_4)
	v_cndmask_b32_e32 v1, v37, v1, vcc_lo
	v_cmp_ngt_f64_e32 vcc_lo, 0, v[38:39]
	v_cndmask_b32_e64 v10, 0, v10, s2
	v_cmp_neq_f64_e64 s2, 0, v[38:39]
	v_cndmask_b32_e32 v11, 0x7ff80000, v11, vcc_lo
	s_and_b32 vcc_lo, s5, s3
	v_cndmask_b32_e32 v37, v1, v36, vcc_lo
	v_cndmask_b32_e32 v36, v12, v8, vcc_lo
	s_delay_alu instid0(VALU_DEP_3)
	v_cndmask_b32_e64 v11, 0xfff00000, v11, s2
.LBB179_100:                            ;   in Loop: Header=BB179_5 Depth=1
	s_or_b32 exec_lo, exec_lo, s4
.LBB179_101:                            ;   in Loop: Header=BB179_5 Depth=1
	s_and_not1_saveexec_b32 s2, s46
	s_cbranch_execz .LBB179_107
; %bb.102:                              ;   in Loop: Header=BB179_5 Depth=1
	v_cmp_ngt_f64_e64 s3, 0x20000000, |v[14:15]|
	v_cmp_ngt_f64_e64 s4, 0x20000000, |v[16:17]|
                                        ; implicit-def: $vgpr38_vgpr39
	s_or_b32 s3, s3, s4
	s_delay_alu instid0(SALU_CYCLE_1) | instskip(NEXT) | instid1(SALU_CYCLE_1)
	s_and_saveexec_b32 s4, s3
	s_xor_b32 s3, exec_lo, s4
	s_cbranch_execz .LBB179_104
; %bb.103:                              ;   in Loop: Header=BB179_5 Depth=1
	v_mul_f64_e32 v[38:39], v[16:17], v[16:17]
	s_delay_alu instid0(VALU_DEP_1)
	v_fmac_f64_e32 v[38:39], v[14:15], v[14:15]
.LBB179_104:                            ;   in Loop: Header=BB179_5 Depth=1
	s_and_not1_saveexec_b32 s3, s3
	s_cbranch_execz .LBB179_106
; %bb.105:                              ;   in Loop: Header=BB179_5 Depth=1
	v_mul_f64_e32 v[10:11], 4.0, v[16:17]
	v_mul_f64_e32 v[14:15], 4.0, v[14:15]
	s_delay_alu instid0(VALU_DEP_2) | instskip(NEXT) | instid1(VALU_DEP_1)
	v_mul_f64_e32 v[10:11], v[10:11], v[10:11]
	v_fmac_f64_e32 v[10:11], v[14:15], v[14:15]
	s_delay_alu instid0(VALU_DEP_1)
	v_ldexp_f64 v[38:39], v[10:11], -4
.LBB179_106:                            ;   in Loop: Header=BB179_5 Depth=1
	s_or_b32 exec_lo, exec_lo, s3
	s_delay_alu instid0(VALU_DEP_1) | instskip(NEXT) | instid1(VALU_DEP_1)
	v_frexp_mant_f64_e32 v[10:11], v[38:39]
	v_cmp_gt_f64_e32 vcc_lo, s[26:27], v[10:11]
	v_cndmask_b32_e64 v1, 0, 1, vcc_lo
	s_delay_alu instid0(VALU_DEP_1) | instskip(SKIP_1) | instid1(VALU_DEP_2)
	v_ldexp_f64 v[10:11], v[10:11], v1
	v_frexp_exp_i32_f64_e32 v1, v[38:39]
	v_add_f64_e32 v[14:15], 1.0, v[10:11]
	v_add_f64_e32 v[42:43], -1.0, v[10:11]
	s_delay_alu instid0(VALU_DEP_3) | instskip(SKIP_1) | instid1(VALU_DEP_4)
	v_subrev_co_ci_u32_e64 v1, null, 0, v1, vcc_lo
	v_cmp_class_f64_e64 vcc_lo, v[38:39], 0x204
	v_rcp_f64_e32 v[36:37], v[14:15]
	v_add_f64_e32 v[44:45], -1.0, v[14:15]
	s_delay_alu instid0(VALU_DEP_1) | instskip(NEXT) | instid1(TRANS32_DEP_1)
	v_add_f64_e64 v[10:11], v[10:11], -v[44:45]
	v_fma_f64 v[40:41], -v[14:15], v[36:37], 1.0
	s_delay_alu instid0(VALU_DEP_1) | instskip(NEXT) | instid1(VALU_DEP_1)
	v_fmac_f64_e32 v[36:37], v[40:41], v[36:37]
	v_fma_f64 v[40:41], -v[14:15], v[36:37], 1.0
	s_delay_alu instid0(VALU_DEP_1) | instskip(NEXT) | instid1(VALU_DEP_1)
	v_fmac_f64_e32 v[36:37], v[40:41], v[36:37]
	v_mul_f64_e32 v[40:41], v[42:43], v[36:37]
	s_delay_alu instid0(VALU_DEP_1) | instskip(NEXT) | instid1(VALU_DEP_1)
	v_mul_f64_e32 v[46:47], v[14:15], v[40:41]
	v_fma_f64 v[14:15], v[40:41], v[14:15], -v[46:47]
	s_delay_alu instid0(VALU_DEP_1) | instskip(NEXT) | instid1(VALU_DEP_1)
	v_fmac_f64_e32 v[14:15], v[40:41], v[10:11]
	v_add_f64_e32 v[10:11], v[46:47], v[14:15]
	s_delay_alu instid0(VALU_DEP_1) | instskip(SKIP_1) | instid1(VALU_DEP_2)
	v_add_f64_e64 v[44:45], v[42:43], -v[10:11]
	v_add_f64_e64 v[46:47], v[10:11], -v[46:47]
	;; [unrolled: 1-line block ×3, first 2 shown]
	s_delay_alu instid0(VALU_DEP_2) | instskip(NEXT) | instid1(VALU_DEP_2)
	v_add_f64_e64 v[14:15], v[46:47], -v[14:15]
	v_add_f64_e64 v[10:11], v[42:43], -v[10:11]
	s_delay_alu instid0(VALU_DEP_1) | instskip(NEXT) | instid1(VALU_DEP_1)
	v_add_f64_e32 v[10:11], v[14:15], v[10:11]
	v_add_f64_e32 v[10:11], v[44:45], v[10:11]
	s_delay_alu instid0(VALU_DEP_1) | instskip(NEXT) | instid1(VALU_DEP_1)
	v_mul_f64_e32 v[10:11], v[36:37], v[10:11]
	v_add_f64_e32 v[14:15], v[40:41], v[10:11]
	s_delay_alu instid0(VALU_DEP_1) | instskip(NEXT) | instid1(VALU_DEP_1)
	v_mul_f64_e32 v[36:37], v[14:15], v[14:15]
	v_fmamk_f64 v[42:43], v[36:37], 0x3fc3ab76bf559e2b, v[22:23]
	v_mul_f64_e32 v[44:45], v[14:15], v[36:37]
	s_delay_alu instid0(VALU_DEP_2) | instskip(NEXT) | instid1(VALU_DEP_1)
	v_fmaak_f64 v[42:43], v[36:37], v[42:43], 0x3fc7474dd7f4df2e
	v_fmaak_f64 v[42:43], v[36:37], v[42:43], 0x3fcc71c016291751
	s_delay_alu instid0(VALU_DEP_1) | instskip(NEXT) | instid1(VALU_DEP_1)
	v_fmaak_f64 v[42:43], v[36:37], v[42:43], 0x3fd249249b27acf1
	v_fmaak_f64 v[42:43], v[36:37], v[42:43], 0x3fd99999998ef7b6
	s_delay_alu instid0(VALU_DEP_1) | instskip(SKIP_2) | instid1(VALU_DEP_3)
	v_fmaak_f64 v[36:37], v[36:37], v[42:43], 0x3fe5555555555780
	v_ldexp_f64 v[42:43], v[14:15], 1
	v_add_f64_e64 v[14:15], v[14:15], -v[40:41]
	v_mul_f64_e32 v[36:37], v[44:45], v[36:37]
	v_cvt_f64_i32_e32 v[44:45], v1
	s_delay_alu instid0(VALU_DEP_3) | instskip(NEXT) | instid1(VALU_DEP_3)
	v_add_f64_e64 v[10:11], v[10:11], -v[14:15]
	v_add_f64_e32 v[40:41], v[42:43], v[36:37]
	s_delay_alu instid0(VALU_DEP_3) | instskip(NEXT) | instid1(VALU_DEP_3)
	v_mul_f64_e32 v[46:47], 0x3fe62e42fefa39ef, v[44:45]
	v_ldexp_f64 v[10:11], v[10:11], 1
	s_delay_alu instid0(VALU_DEP_3) | instskip(NEXT) | instid1(VALU_DEP_3)
	v_add_f64_e64 v[14:15], v[40:41], -v[42:43]
	v_fma_f64 v[42:43], v[44:45], s[28:29], -v[46:47]
	s_delay_alu instid0(VALU_DEP_2) | instskip(NEXT) | instid1(VALU_DEP_2)
	v_add_f64_e64 v[14:15], v[36:37], -v[14:15]
	v_fmac_f64_e32 v[42:43], 0x3c7abc9e3b39803f, v[44:45]
	s_delay_alu instid0(VALU_DEP_2) | instskip(NEXT) | instid1(VALU_DEP_2)
	v_add_f64_e32 v[10:11], v[10:11], v[14:15]
	v_add_f64_e32 v[14:15], v[46:47], v[42:43]
	s_delay_alu instid0(VALU_DEP_2) | instskip(NEXT) | instid1(VALU_DEP_2)
	v_add_f64_e32 v[36:37], v[40:41], v[10:11]
	v_add_f64_e64 v[46:47], v[14:15], -v[46:47]
	s_delay_alu instid0(VALU_DEP_2) | instskip(SKIP_1) | instid1(VALU_DEP_3)
	v_add_f64_e32 v[44:45], v[14:15], v[36:37]
	v_add_f64_e64 v[40:41], v[36:37], -v[40:41]
	v_add_f64_e64 v[42:43], v[42:43], -v[46:47]
	s_delay_alu instid0(VALU_DEP_3) | instskip(NEXT) | instid1(VALU_DEP_3)
	v_add_f64_e64 v[48:49], v[44:45], -v[14:15]
	v_add_f64_e64 v[10:11], v[10:11], -v[40:41]
	s_delay_alu instid0(VALU_DEP_2) | instskip(SKIP_1) | instid1(VALU_DEP_3)
	v_add_f64_e64 v[50:51], v[44:45], -v[48:49]
	v_add_f64_e64 v[36:37], v[36:37], -v[48:49]
	v_add_f64_e32 v[40:41], v[42:43], v[10:11]
	s_delay_alu instid0(VALU_DEP_3) | instskip(NEXT) | instid1(VALU_DEP_1)
	v_add_f64_e64 v[14:15], v[14:15], -v[50:51]
	v_add_f64_e32 v[14:15], v[36:37], v[14:15]
	s_delay_alu instid0(VALU_DEP_3) | instskip(NEXT) | instid1(VALU_DEP_2)
	v_add_f64_e64 v[36:37], v[40:41], -v[42:43]
	v_add_f64_e32 v[14:15], v[40:41], v[14:15]
	s_delay_alu instid0(VALU_DEP_2) | instskip(SKIP_1) | instid1(VALU_DEP_3)
	v_add_f64_e64 v[40:41], v[40:41], -v[36:37]
	v_add_f64_e64 v[10:11], v[10:11], -v[36:37]
	v_add_f64_e32 v[46:47], v[44:45], v[14:15]
	s_delay_alu instid0(VALU_DEP_3) | instskip(NEXT) | instid1(VALU_DEP_2)
	v_add_f64_e64 v[36:37], v[42:43], -v[40:41]
	v_add_f64_e64 v[40:41], v[46:47], -v[44:45]
	s_delay_alu instid0(VALU_DEP_2) | instskip(SKIP_1) | instid1(VALU_DEP_3)
	v_add_f64_e32 v[10:11], v[10:11], v[36:37]
	v_mov_b64_e32 v[36:37], 0x7ff8000000000000
	v_add_f64_e64 v[14:15], v[14:15], -v[40:41]
	s_delay_alu instid0(VALU_DEP_1) | instskip(NEXT) | instid1(VALU_DEP_1)
	v_add_f64_e32 v[10:11], v[10:11], v[14:15]
	v_add_f64_e32 v[10:11], v[46:47], v[10:11]
	s_delay_alu instid0(VALU_DEP_1) | instskip(SKIP_1) | instid1(VALU_DEP_2)
	v_dual_cndmask_b32 v1, v10, v38 :: v_dual_cndmask_b32 v8, v11, v39
	v_cmp_ngt_f64_e32 vcc_lo, 0, v[38:39]
	v_cndmask_b32_e32 v8, 0x7ff80000, v8, vcc_lo
	v_cmp_nge_f64_e32 vcc_lo, 0, v[38:39]
	s_delay_alu instid0(VALU_DEP_4) | instskip(SKIP_1) | instid1(VALU_DEP_4)
	v_cndmask_b32_e32 v10, 0, v1, vcc_lo
	v_cmp_neq_f64_e32 vcc_lo, 0, v[38:39]
	v_cndmask_b32_e32 v11, 0xfff00000, v8, vcc_lo
.LBB179_107:                            ;   in Loop: Header=BB179_5 Depth=1
	s_or_b32 exec_lo, exec_lo, s2
                                        ; implicit-def: $vgpr14_vgpr15
                                        ; implicit-def: $vgpr38_vgpr39
	s_delay_alu instid0(SALU_CYCLE_1)
	s_mov_b32 s2, exec_lo
	v_cmpx_o_f64_e32 v[2:3], v[4:5]
	s_xor_b32 s46, exec_lo, s2
	s_cbranch_execz .LBB179_135
; %bb.108:                              ;   in Loop: Header=BB179_5 Depth=1
	v_cmp_lt_f64_e64 s2, |v[2:3]|, |v[4:5]|
	v_and_b32_e32 v12, 0x7fffffff, v3
	v_and_b32_e32 v1, 0x7fffffff, v5
	v_mov_b32_e32 v8, v4
                                        ; implicit-def: $vgpr14_vgpr15
                                        ; implicit-def: $vgpr38_vgpr39
	s_mov_b32 s3, exec_lo
	s_delay_alu instid0(VALU_DEP_2) | instskip(NEXT) | instid1(VALU_DEP_1)
	v_dual_cndmask_b32 v43, v1, v12, s2 :: v_dual_cndmask_b32 v42, v4, v2, s2
	v_cmpx_nlt_f64_e32 s[20:21], v[42:43]
	s_xor_b32 s47, exec_lo, s3
	s_cbranch_execz .LBB179_132
; %bb.109:                              ;   in Loop: Header=BB179_5 Depth=1
	v_dual_cndmask_b32 v45, v12, v1, s2 :: v_dual_cndmask_b32 v44, v2, v8, s2
                                        ; implicit-def: $vgpr14_vgpr15
                                        ; implicit-def: $vgpr38_vgpr39
	s_mov_b32 s3, exec_lo
	s_delay_alu instid0(VALU_DEP_1)
	v_cmpx_neq_f64_e32 1.0, v[44:45]
	s_xor_b32 s48, exec_lo, s3
	s_cbranch_execz .LBB179_125
; %bb.110:                              ;   in Loop: Header=BB179_5 Depth=1
	v_max_num_f64_e32 v[14:15], v[42:43], v[42:43]
	v_max_num_f64_e32 v[38:39], v[44:45], v[44:45]
	s_delay_alu instid0(VALU_DEP_1) | instskip(SKIP_1) | instid1(VALU_DEP_2)
	v_min_num_f64_e32 v[40:41], v[38:39], v[14:15]
	v_max_num_f64_e32 v[14:15], v[38:39], v[14:15]
                                        ; implicit-def: $vgpr38_vgpr39
	v_cmp_ngt_f64_e32 vcc_lo, s[22:23], v[40:41]
	s_delay_alu instid0(VALU_DEP_2) | instskip(SKIP_1) | instid1(SALU_CYCLE_1)
	v_cmp_nlt_f64_e64 s3, s[24:25], v[14:15]
                                        ; implicit-def: $vgpr14_vgpr15
	s_and_b32 s3, s3, vcc_lo
	s_and_saveexec_b32 s4, s3
	s_delay_alu instid0(SALU_CYCLE_1)
	s_xor_b32 s49, exec_lo, s4
	s_cbranch_execz .LBB179_122
; %bb.111:                              ;   in Loop: Header=BB179_5 Depth=1
                                        ; implicit-def: $vgpr14_vgpr15
                                        ; implicit-def: $vgpr38_vgpr39
	s_mov_b32 s3, exec_lo
	v_cmpx_le_f64_e32 1.0, v[44:45]
	s_xor_b32 s6, exec_lo, s3
	s_cbranch_execz .LBB179_113
; %bb.112:                              ;   in Loop: Header=BB179_5 Depth=1
	v_add_f64_e32 v[14:15], -1.0, v[44:45]
	v_add_f64_e32 v[38:39], 1.0, v[44:45]
	v_cmp_eq_f64_e64 s3, 0, v[4:5]
	v_cmp_class_f64_e64 s7, v[4:5], 0x204
	v_cmp_class_f64_e64 s8, v[2:3], 0x204
	s_delay_alu instid0(VALU_DEP_4) | instskip(NEXT) | instid1(VALU_DEP_1)
	v_mul_f64_e32 v[40:41], v[14:15], v[38:39]
	v_fmac_f64_e32 v[40:41], v[42:43], v[42:43]
	s_delay_alu instid0(VALU_DEP_1) | instskip(SKIP_2) | instid1(VALU_DEP_3)
	v_add_f64_e32 v[14:15], 1.0, v[40:41]
	v_cmp_nge_f64_e64 s4, -1.0, v[40:41]
	v_cmp_neq_f64_e64 s5, 0x7ff00000, v[40:41]
	v_frexp_mant_f64_e32 v[38:39], v[14:15]
	v_frexp_exp_i32_f64_e32 v1, v[14:15]
	v_add_f64_e32 v[42:43], -1.0, v[14:15]
	s_delay_alu instid0(VALU_DEP_3) | instskip(NEXT) | instid1(VALU_DEP_2)
	v_cmp_gt_f64_e32 vcc_lo, s[26:27], v[38:39]
	v_add_f64_e64 v[38:39], v[42:43], -v[14:15]
	v_add_f64_e64 v[42:43], v[40:41], -v[42:43]
	v_subrev_co_ci_u32_e64 v1, null, 0, v1, vcc_lo
	s_delay_alu instid0(VALU_DEP_1) | instskip(NEXT) | instid1(VALU_DEP_1)
	v_dual_add_f64 v[38:39], 1.0, v[38:39] :: v_dual_sub_nc_u32 v8, 0, v1
	v_ldexp_f64 v[14:15], v[14:15], v8
	s_delay_alu instid0(VALU_DEP_2) | instskip(NEXT) | instid1(VALU_DEP_2)
	v_add_f64_e32 v[38:39], v[42:43], v[38:39]
	v_add_f64_e32 v[44:45], 1.0, v[14:15]
	v_add_f64_e32 v[50:51], -1.0, v[14:15]
	s_delay_alu instid0(VALU_DEP_3) | instskip(NEXT) | instid1(VALU_DEP_3)
	v_ldexp_f64 v[38:39], v[38:39], v8
	v_add_f64_e32 v[42:43], -1.0, v[44:45]
	s_delay_alu instid0(VALU_DEP_3) | instskip(NEXT) | instid1(VALU_DEP_2)
	v_add_f64_e32 v[52:53], 1.0, v[50:51]
	v_add_f64_e64 v[42:43], v[14:15], -v[42:43]
	s_delay_alu instid0(VALU_DEP_2) | instskip(NEXT) | instid1(VALU_DEP_2)
	v_add_f64_e64 v[14:15], v[14:15], -v[52:53]
	v_add_f64_e32 v[42:43], v[38:39], v[42:43]
	s_delay_alu instid0(VALU_DEP_2) | instskip(NEXT) | instid1(VALU_DEP_2)
	v_add_f64_e32 v[14:15], v[38:39], v[14:15]
	v_add_f64_e32 v[46:47], v[44:45], v[42:43]
	s_delay_alu instid0(VALU_DEP_2) | instskip(NEXT) | instid1(VALU_DEP_2)
	v_add_f64_e32 v[52:53], v[50:51], v[14:15]
	v_rcp_f64_e32 v[48:49], v[46:47]
	v_add_f64_e64 v[44:45], v[46:47], -v[44:45]
	s_delay_alu instid0(VALU_DEP_2) | instskip(NEXT) | instid1(VALU_DEP_2)
	v_add_f64_e64 v[50:51], v[52:53], -v[50:51]
	v_add_f64_e64 v[42:43], v[42:43], -v[44:45]
	s_delay_alu instid0(VALU_DEP_2) | instskip(NEXT) | instid1(TRANS32_DEP_1)
	v_add_f64_e64 v[14:15], v[14:15], -v[50:51]
	v_fma_f64 v[54:55], -v[46:47], v[48:49], 1.0
	s_delay_alu instid0(VALU_DEP_1) | instskip(NEXT) | instid1(VALU_DEP_1)
	v_fmac_f64_e32 v[48:49], v[54:55], v[48:49]
	v_fma_f64 v[38:39], -v[46:47], v[48:49], 1.0
	s_delay_alu instid0(VALU_DEP_1) | instskip(NEXT) | instid1(VALU_DEP_1)
	v_fmac_f64_e32 v[48:49], v[38:39], v[48:49]
	v_mul_f64_e32 v[38:39], v[52:53], v[48:49]
	s_delay_alu instid0(VALU_DEP_1) | instskip(NEXT) | instid1(VALU_DEP_1)
	v_mul_f64_e32 v[54:55], v[46:47], v[38:39]
	v_fma_f64 v[44:45], v[38:39], v[46:47], -v[54:55]
	s_delay_alu instid0(VALU_DEP_1) | instskip(NEXT) | instid1(VALU_DEP_1)
	v_fmac_f64_e32 v[44:45], v[38:39], v[42:43]
	v_add_f64_e32 v[56:57], v[54:55], v[44:45]
	s_delay_alu instid0(VALU_DEP_1) | instskip(SKIP_1) | instid1(VALU_DEP_2)
	v_add_f64_e64 v[58:59], v[52:53], -v[56:57]
	v_add_f64_e64 v[50:51], v[56:57], -v[54:55]
	v_add_f64_e64 v[52:53], v[52:53], -v[58:59]
	s_delay_alu instid0(VALU_DEP_2) | instskip(NEXT) | instid1(VALU_DEP_2)
	v_add_f64_e64 v[44:45], v[50:51], -v[44:45]
	v_add_f64_e64 v[52:53], v[52:53], -v[56:57]
	s_delay_alu instid0(VALU_DEP_1) | instskip(NEXT) | instid1(VALU_DEP_1)
	v_add_f64_e32 v[14:15], v[14:15], v[52:53]
	v_add_f64_e32 v[14:15], v[44:45], v[14:15]
	s_delay_alu instid0(VALU_DEP_1) | instskip(NEXT) | instid1(VALU_DEP_1)
	v_add_f64_e32 v[44:45], v[58:59], v[14:15]
	v_mul_f64_e32 v[50:51], v[48:49], v[44:45]
	v_add_f64_e64 v[56:57], v[58:59], -v[44:45]
	s_delay_alu instid0(VALU_DEP_2) | instskip(NEXT) | instid1(VALU_DEP_2)
	v_mul_f64_e32 v[52:53], v[46:47], v[50:51]
	v_add_f64_e32 v[14:15], v[14:15], v[56:57]
	s_delay_alu instid0(VALU_DEP_2) | instskip(NEXT) | instid1(VALU_DEP_1)
	v_fma_f64 v[46:47], v[50:51], v[46:47], -v[52:53]
	v_fmac_f64_e32 v[46:47], v[50:51], v[42:43]
	s_delay_alu instid0(VALU_DEP_1) | instskip(NEXT) | instid1(VALU_DEP_1)
	v_add_f64_e32 v[42:43], v[52:53], v[46:47]
	v_add_f64_e64 v[54:55], v[44:45], -v[42:43]
	v_add_f64_e64 v[52:53], v[42:43], -v[52:53]
	s_delay_alu instid0(VALU_DEP_2) | instskip(NEXT) | instid1(VALU_DEP_1)
	v_add_f64_e64 v[44:45], v[44:45], -v[54:55]
	v_add_f64_e64 v[42:43], v[44:45], -v[42:43]
	s_delay_alu instid0(VALU_DEP_3) | instskip(SKIP_1) | instid1(VALU_DEP_3)
	v_add_f64_e64 v[44:45], v[52:53], -v[46:47]
	v_max_num_f64_e64 v[46:47], |v[2:3]|, |v[2:3]|
	v_add_f64_e32 v[14:15], v[14:15], v[42:43]
	v_add_f64_e32 v[42:43], v[38:39], v[50:51]
	s_delay_alu instid0(VALU_DEP_2) | instskip(NEXT) | instid1(VALU_DEP_2)
	v_add_f64_e32 v[14:15], v[44:45], v[14:15]
	v_add_f64_e64 v[38:39], v[42:43], -v[38:39]
	v_max_num_f64_e64 v[44:45], |v[4:5]|, |v[4:5]|
	s_delay_alu instid0(VALU_DEP_3) | instskip(NEXT) | instid1(VALU_DEP_3)
	v_add_f64_e32 v[14:15], v[54:55], v[14:15]
	v_add_f64_e64 v[38:39], v[50:51], -v[38:39]
	s_delay_alu instid0(VALU_DEP_2) | instskip(NEXT) | instid1(VALU_DEP_1)
	v_mul_f64_e32 v[14:15], v[48:49], v[14:15]
	v_add_f64_e32 v[14:15], v[38:39], v[14:15]
	v_max_num_f64_e32 v[38:39], v[46:47], v[44:45]
	v_min_num_f64_e32 v[44:45], v[46:47], v[44:45]
	s_delay_alu instid0(VALU_DEP_3) | instskip(NEXT) | instid1(VALU_DEP_2)
	v_add_f64_e32 v[46:47], v[42:43], v[14:15]
	v_div_scale_f64 v[48:49], null, v[38:39], v[38:39], v[44:45]
	s_delay_alu instid0(VALU_DEP_2) | instskip(SKIP_1) | instid1(VALU_DEP_3)
	v_mul_f64_e32 v[50:51], v[46:47], v[46:47]
	v_add_f64_e64 v[42:43], v[46:47], -v[42:43]
	v_rcp_f64_e32 v[52:53], v[48:49]
	s_delay_alu instid0(VALU_DEP_2) | instskip(SKIP_1) | instid1(VALU_DEP_3)
	v_fmamk_f64 v[54:55], v[50:51], 0x3fc3ab76bf559e2b, v[22:23]
	v_mul_f64_e32 v[56:57], v[46:47], v[50:51]
	v_add_f64_e64 v[14:15], v[14:15], -v[42:43]
	s_delay_alu instid0(VALU_DEP_3) | instskip(NEXT) | instid1(TRANS32_DEP_1)
	v_fmaak_f64 v[54:55], v[50:51], v[54:55], 0x3fc7474dd7f4df2e
	v_fma_f64 v[58:59], -v[48:49], v[52:53], 1.0
	s_delay_alu instid0(VALU_DEP_2) | instskip(NEXT) | instid1(VALU_DEP_1)
	v_fmaak_f64 v[54:55], v[50:51], v[54:55], 0x3fcc71c016291751
	v_fmaak_f64 v[54:55], v[50:51], v[54:55], 0x3fd249249b27acf1
	s_delay_alu instid0(VALU_DEP_1) | instskip(SKIP_1) | instid1(VALU_DEP_2)
	v_fmaak_f64 v[54:55], v[50:51], v[54:55], 0x3fd99999998ef7b6
	v_ldexp_f64 v[14:15], v[14:15], 1
	v_fmaak_f64 v[50:51], v[50:51], v[54:55], 0x3fe5555555555780
	v_ldexp_f64 v[54:55], v[46:47], 1
	v_fmac_f64_e32 v[52:53], v[52:53], v[58:59]
	s_delay_alu instid0(VALU_DEP_3) | instskip(SKIP_2) | instid1(VALU_DEP_1)
	v_mul_f64_e32 v[50:51], v[56:57], v[50:51]
	v_cvt_f64_i32_e32 v[56:57], v1
	v_ashrrev_i32_e32 v1, 31, v3
	v_and_b32_e32 v12, 0x54442d18, v1
	v_and_b32_e32 v1, 0x400921fb, v1
	v_fma_f64 v[58:59], -v[48:49], v[52:53], 1.0
	v_add_f64_e32 v[46:47], v[54:55], v[50:51]
	v_mul_f64_e32 v[60:61], 0x3fe62e42fefa39ef, v[56:57]
	s_delay_alu instid0(VALU_DEP_3) | instskip(NEXT) | instid1(VALU_DEP_3)
	v_fmac_f64_e32 v[52:53], v[52:53], v[58:59]
	v_add_f64_e64 v[42:43], v[46:47], -v[54:55]
	v_div_scale_f64 v[54:55], vcc_lo, v[44:45], v[38:39], v[44:45]
	s_delay_alu instid0(VALU_DEP_4) | instskip(NEXT) | instid1(VALU_DEP_3)
	v_fma_f64 v[58:59], v[56:57], s[28:29], -v[60:61]
	v_add_f64_e64 v[42:43], v[50:51], -v[42:43]
	s_delay_alu instid0(VALU_DEP_3) | instskip(NEXT) | instid1(VALU_DEP_3)
	v_mul_f64_e32 v[50:51], v[54:55], v[52:53]
	v_fmac_f64_e32 v[58:59], 0x3c7abc9e3b39803f, v[56:57]
	s_delay_alu instid0(VALU_DEP_3) | instskip(NEXT) | instid1(VALU_DEP_3)
	v_add_f64_e32 v[14:15], v[14:15], v[42:43]
	v_fma_f64 v[42:43], -v[48:49], v[50:51], v[54:55]
	s_delay_alu instid0(VALU_DEP_3) | instskip(NEXT) | instid1(VALU_DEP_3)
	v_add_f64_e32 v[48:49], v[60:61], v[58:59]
	v_add_f64_e32 v[54:55], v[46:47], v[14:15]
	s_delay_alu instid0(VALU_DEP_3) | instskip(SKIP_1) | instid1(VALU_DEP_4)
	v_div_fmas_f64 v[42:43], v[42:43], v[52:53], v[50:51]
	v_cmp_gt_i32_e32 vcc_lo, 0, v3
	v_add_f64_e64 v[52:53], v[48:49], -v[60:61]
	v_cndmask_b32_e32 v8, 0x54442d18, v62, vcc_lo
	v_cndmask_b32_e32 v21, 0x3fe921fb, v63, vcc_lo
	s_delay_alu instid0(VALU_DEP_1) | instskip(SKIP_4) | instid1(VALU_DEP_4)
	v_bfi_b32 v21, 0x7fffffff, v21, v5
	v_add_f64_e32 v[50:51], v[48:49], v[54:55]
	v_div_fixup_f64 v[38:39], v[42:43], v[38:39], v[44:45]
	v_add_f64_e64 v[46:47], v[54:55], -v[46:47]
	v_add_f64_e64 v[52:53], v[58:59], -v[52:53]
	;; [unrolled: 1-line block ×3, first 2 shown]
	s_delay_alu instid0(VALU_DEP_4) | instskip(NEXT) | instid1(VALU_DEP_4)
	v_mul_f64_e32 v[44:45], v[38:39], v[38:39]
	v_add_f64_e64 v[14:15], v[14:15], -v[46:47]
	s_delay_alu instid0(VALU_DEP_3) | instskip(NEXT) | instid1(VALU_DEP_3)
	v_add_f64_e64 v[56:57], v[50:51], -v[42:43]
	v_fmamk_f64 v[60:61], v[44:45], 0x3eeba404b5e68a13, v[24:25]
	v_add_f64_e64 v[42:43], v[54:55], -v[42:43]
	s_delay_alu instid0(VALU_DEP_4) | instskip(NEXT) | instid1(VALU_DEP_3)
	v_add_f64_e32 v[54:55], v[52:53], v[14:15]
	v_fmaak_f64 v[60:61], v[44:45], v[60:61], 0x3f4b2bb069efb384
	v_add_f64_e64 v[46:47], v[48:49], -v[56:57]
	s_delay_alu instid0(VALU_DEP_2) | instskip(NEXT) | instid1(VALU_DEP_1)
	v_fmaak_f64 v[48:49], v[44:45], v[60:61], 0xbf67952daf56de9b
	v_fmaak_f64 v[48:49], v[44:45], v[48:49], 0x3f7d6d43a595c56f
	s_delay_alu instid0(VALU_DEP_1) | instskip(NEXT) | instid1(VALU_DEP_1)
	v_fmaak_f64 v[48:49], v[44:45], v[48:49], 0xbf8c6ea4a57d9582
	v_fmaak_f64 v[48:49], v[44:45], v[48:49], 0x3f967e295f08b19f
	s_delay_alu instid0(VALU_DEP_1) | instskip(SKIP_1) | instid1(VALU_DEP_2)
	v_fmaak_f64 v[48:49], v[44:45], v[48:49], 0xbf9e9ae6fc27006a
	v_add_f64_e32 v[42:43], v[42:43], v[46:47]
	v_fmaak_f64 v[46:47], v[44:45], v[48:49], 0x3fa2c15b5711927a
	v_add_f64_e64 v[48:49], v[54:55], -v[52:53]
	s_delay_alu instid0(VALU_DEP_2) | instskip(NEXT) | instid1(VALU_DEP_1)
	v_fmaak_f64 v[46:47], v[44:45], v[46:47], 0xbfa59976e82d3ff0
	v_fmaak_f64 v[46:47], v[44:45], v[46:47], 0x3fa82d5d6ef28734
	s_delay_alu instid0(VALU_DEP_1) | instskip(NEXT) | instid1(VALU_DEP_1)
	v_fmaak_f64 v[46:47], v[44:45], v[46:47], 0xbfaae5ce6a214619
	v_fmaak_f64 v[46:47], v[44:45], v[46:47], 0x3fae1bb48427b883
	v_add_f64_e32 v[42:43], v[54:55], v[42:43]
	v_add_f64_e64 v[54:55], v[54:55], -v[48:49]
	v_add_f64_e64 v[14:15], v[14:15], -v[48:49]
	s_delay_alu instid0(VALU_DEP_4) | instskip(NEXT) | instid1(VALU_DEP_1)
	v_fmaak_f64 v[46:47], v[44:45], v[46:47], 0xbfb110e48b207f05
	v_fmaak_f64 v[46:47], v[44:45], v[46:47], 0x3fb3b13657b87036
	s_delay_alu instid0(VALU_DEP_1) | instskip(NEXT) | instid1(VALU_DEP_1)
	v_fmaak_f64 v[46:47], v[44:45], v[46:47], 0xbfb745d119378e4f
	v_fmaak_f64 v[46:47], v[44:45], v[46:47], 0x3fbc71c717e1913c
	v_add_f64_e32 v[56:57], v[50:51], v[42:43]
	s_delay_alu instid0(VALU_DEP_2) | instskip(NEXT) | instid1(VALU_DEP_1)
	v_fmaak_f64 v[46:47], v[44:45], v[46:47], 0xbfc2492492376b7d
	v_fmaak_f64 v[46:47], v[44:45], v[46:47], 0x3fc99999999952cc
	s_delay_alu instid0(VALU_DEP_1) | instskip(NEXT) | instid1(VALU_DEP_1)
	v_fmaak_f64 v[46:47], v[44:45], v[46:47], 0xbfd5555555555523
	v_mul_f64_e32 v[44:45], v[44:45], v[46:47]
	v_add_f64_e64 v[46:47], v[52:53], -v[54:55]
	v_add_f64_e64 v[48:49], v[56:57], -v[50:51]
	s_delay_alu instid0(VALU_DEP_3) | instskip(NEXT) | instid1(VALU_DEP_3)
	v_fmac_f64_e32 v[38:39], v[38:39], v[44:45]
	v_add_f64_e32 v[14:15], v[14:15], v[46:47]
	s_delay_alu instid0(VALU_DEP_3) | instskip(NEXT) | instid1(VALU_DEP_3)
	v_add_f64_e64 v[42:43], v[42:43], -v[48:49]
	v_add_f64_e64 v[44:45], -v[38:39], s[30:31]
	s_delay_alu instid0(VALU_DEP_2) | instskip(NEXT) | instid1(VALU_DEP_2)
	v_add_f64_e32 v[14:15], v[14:15], v[42:43]
	v_dual_cndmask_b32 v39, v39, v45, s2 :: v_dual_cndmask_b32 v38, v38, v44, s2
                                        ; implicit-def: $vgpr44_vgpr45
	s_delay_alu instid0(VALU_DEP_1) | instskip(NEXT) | instid1(VALU_DEP_3)
	v_add_f64_e64 v[42:43], -v[38:39], s[34:35]
	v_add_f64_e32 v[14:15], v[56:57], v[14:15]
	s_delay_alu instid0(VALU_DEP_2) | instskip(SKIP_1) | instid1(VALU_DEP_3)
	v_dual_cndmask_b32 v16, v38, v42, vcc_lo :: v_dual_cndmask_b32 v38, v39, v43, vcc_lo
	v_cmp_ngt_f64_e32 vcc_lo, -1.0, v[40:41]
	v_mul_f64_e32 v[14:15], 0.5, v[14:15]
                                        ; implicit-def: $vgpr42_vgpr43
	s_delay_alu instid0(VALU_DEP_3)
	v_dual_cndmask_b32 v12, v16, v12, s3 :: v_dual_cndmask_b32 v1, v38, v1, s3
	s_and_b32 s3, s4, s5
	s_delay_alu instid0(VALU_DEP_2) | instid1(SALU_CYCLE_1)
	v_cndmask_b32_e64 v14, 0, v14, s3
	v_cmp_neq_f64_e64 s3, -1.0, v[40:41]
	s_delay_alu instid0(VALU_DEP_4) | instskip(NEXT) | instid1(VALU_DEP_1)
	v_cndmask_b32_e64 v15, 0x7ff00000, v15, s5
	v_cndmask_b32_e32 v15, 0x7ff80000, v15, vcc_lo
	s_and_b32 vcc_lo, s8, s7
	v_dual_cndmask_b32 v39, v1, v21 :: v_dual_cndmask_b32 v38, v12, v8
	s_delay_alu instid0(VALU_DEP_2)
	v_cndmask_b32_e64 v15, 0xfff00000, v15, s3
.LBB179_113:                            ;   in Loop: Header=BB179_5 Depth=1
	s_and_not1_saveexec_b32 s50, s6
	s_cbranch_execz .LBB179_121
; %bb.114:                              ;   in Loop: Header=BB179_5 Depth=1
	v_mul_f64_e32 v[40:41], v[42:43], v[42:43]
                                        ; implicit-def: $vgpr14_vgpr15
                                        ; implicit-def: $vgpr38_vgpr39
	s_mov_b32 s3, exec_lo
	s_delay_alu instid0(VALU_DEP_1) | instskip(NEXT) | instid1(VALU_DEP_1)
	v_fmac_f64_e32 v[40:41], v[44:45], v[44:45]
	v_cmpx_ge_f64_e32 s[36:37], v[40:41]
	s_xor_b32 s5, exec_lo, s3
	s_cbranch_execz .LBB179_116
; %bb.115:                              ;   in Loop: Header=BB179_5 Depth=1
	v_frexp_mant_f64_e32 v[14:15], v[40:41]
	v_cmp_eq_f64_e64 s3, 0, v[4:5]
	v_cmp_neq_f64_e64 s4, 0, v[40:41]
	v_cmp_class_f64_e64 s6, v[4:5], 0x204
	v_cmp_class_f64_e64 s7, v[2:3], 0x204
	v_cmp_gt_f64_e32 vcc_lo, s[26:27], v[14:15]
	v_cndmask_b32_e64 v1, 0, 1, vcc_lo
	s_delay_alu instid0(VALU_DEP_1) | instskip(SKIP_1) | instid1(VALU_DEP_2)
	v_ldexp_f64 v[14:15], v[14:15], v1
	v_frexp_exp_i32_f64_e32 v1, v[40:41]
	v_add_f64_e32 v[38:39], 1.0, v[14:15]
	v_add_f64_e32 v[46:47], -1.0, v[14:15]
	s_delay_alu instid0(VALU_DEP_3) | instskip(NEXT) | instid1(VALU_DEP_3)
	v_subrev_co_ci_u32_e64 v1, null, 0, v1, vcc_lo
	v_rcp_f64_e32 v[42:43], v[38:39]
	v_add_f64_e32 v[48:49], -1.0, v[38:39]
	s_delay_alu instid0(VALU_DEP_1) | instskip(NEXT) | instid1(TRANS32_DEP_1)
	v_add_f64_e64 v[14:15], v[14:15], -v[48:49]
	v_fma_f64 v[44:45], -v[38:39], v[42:43], 1.0
	s_delay_alu instid0(VALU_DEP_1) | instskip(NEXT) | instid1(VALU_DEP_1)
	v_fmac_f64_e32 v[42:43], v[44:45], v[42:43]
	v_fma_f64 v[44:45], -v[38:39], v[42:43], 1.0
	s_delay_alu instid0(VALU_DEP_1) | instskip(NEXT) | instid1(VALU_DEP_1)
	v_fmac_f64_e32 v[42:43], v[44:45], v[42:43]
	v_mul_f64_e32 v[44:45], v[46:47], v[42:43]
	s_delay_alu instid0(VALU_DEP_1) | instskip(NEXT) | instid1(VALU_DEP_1)
	v_mul_f64_e32 v[50:51], v[38:39], v[44:45]
	v_fma_f64 v[38:39], v[44:45], v[38:39], -v[50:51]
	s_delay_alu instid0(VALU_DEP_1) | instskip(NEXT) | instid1(VALU_DEP_1)
	v_fmac_f64_e32 v[38:39], v[44:45], v[14:15]
	v_add_f64_e32 v[14:15], v[50:51], v[38:39]
	s_delay_alu instid0(VALU_DEP_1) | instskip(SKIP_1) | instid1(VALU_DEP_2)
	v_add_f64_e64 v[48:49], v[46:47], -v[14:15]
	v_add_f64_e64 v[50:51], v[14:15], -v[50:51]
	;; [unrolled: 1-line block ×3, first 2 shown]
	s_delay_alu instid0(VALU_DEP_2) | instskip(NEXT) | instid1(VALU_DEP_2)
	v_add_f64_e64 v[38:39], v[50:51], -v[38:39]
	v_add_f64_e64 v[14:15], v[46:47], -v[14:15]
	v_max_num_f64_e64 v[46:47], |v[2:3]|, |v[2:3]|
	s_delay_alu instid0(VALU_DEP_2) | instskip(SKIP_1) | instid1(VALU_DEP_2)
	v_add_f64_e32 v[14:15], v[38:39], v[14:15]
	v_max_num_f64_e64 v[38:39], |v[4:5]|, |v[4:5]|
	v_add_f64_e32 v[14:15], v[48:49], v[14:15]
	s_delay_alu instid0(VALU_DEP_1) | instskip(NEXT) | instid1(VALU_DEP_3)
	v_mul_f64_e32 v[14:15], v[42:43], v[14:15]
	v_max_num_f64_e32 v[42:43], v[46:47], v[38:39]
	v_min_num_f64_e32 v[38:39], v[46:47], v[38:39]
	s_delay_alu instid0(VALU_DEP_3) | instskip(NEXT) | instid1(VALU_DEP_2)
	v_add_f64_e32 v[46:47], v[44:45], v[14:15]
	v_div_scale_f64 v[48:49], null, v[42:43], v[42:43], v[38:39]
	s_delay_alu instid0(VALU_DEP_2) | instskip(SKIP_1) | instid1(VALU_DEP_3)
	v_mul_f64_e32 v[50:51], v[46:47], v[46:47]
	v_add_f64_e64 v[44:45], v[46:47], -v[44:45]
	v_rcp_f64_e32 v[52:53], v[48:49]
	s_delay_alu instid0(VALU_DEP_2) | instskip(SKIP_1) | instid1(VALU_DEP_3)
	v_fmamk_f64 v[54:55], v[50:51], 0x3fc3ab76bf559e2b, v[22:23]
	v_mul_f64_e32 v[56:57], v[46:47], v[50:51]
	v_add_f64_e64 v[14:15], v[14:15], -v[44:45]
	s_delay_alu instid0(VALU_DEP_3) | instskip(NEXT) | instid1(TRANS32_DEP_1)
	v_fmaak_f64 v[54:55], v[50:51], v[54:55], 0x3fc7474dd7f4df2e
	v_fma_f64 v[58:59], -v[48:49], v[52:53], 1.0
	s_delay_alu instid0(VALU_DEP_2) | instskip(NEXT) | instid1(VALU_DEP_1)
	v_fmaak_f64 v[54:55], v[50:51], v[54:55], 0x3fcc71c016291751
	v_fmaak_f64 v[54:55], v[50:51], v[54:55], 0x3fd249249b27acf1
	s_delay_alu instid0(VALU_DEP_1) | instskip(SKIP_1) | instid1(VALU_DEP_2)
	v_fmaak_f64 v[54:55], v[50:51], v[54:55], 0x3fd99999998ef7b6
	v_ldexp_f64 v[14:15], v[14:15], 1
	v_fmaak_f64 v[50:51], v[50:51], v[54:55], 0x3fe5555555555780
	v_ldexp_f64 v[54:55], v[46:47], 1
	v_fmac_f64_e32 v[52:53], v[52:53], v[58:59]
	s_delay_alu instid0(VALU_DEP_3) | instskip(SKIP_2) | instid1(VALU_DEP_1)
	v_mul_f64_e32 v[50:51], v[56:57], v[50:51]
	v_cvt_f64_i32_e32 v[56:57], v1
	v_ashrrev_i32_e32 v1, 31, v3
	v_and_b32_e32 v12, 0x54442d18, v1
	v_and_b32_e32 v1, 0x400921fb, v1
	v_fma_f64 v[58:59], -v[48:49], v[52:53], 1.0
	v_add_f64_e32 v[46:47], v[54:55], v[50:51]
	v_mul_f64_e32 v[60:61], 0x3fe62e42fefa39ef, v[56:57]
	s_delay_alu instid0(VALU_DEP_3) | instskip(NEXT) | instid1(VALU_DEP_3)
	v_fmac_f64_e32 v[52:53], v[52:53], v[58:59]
	v_add_f64_e64 v[44:45], v[46:47], -v[54:55]
	v_div_scale_f64 v[54:55], vcc_lo, v[38:39], v[42:43], v[38:39]
	s_delay_alu instid0(VALU_DEP_4) | instskip(NEXT) | instid1(VALU_DEP_3)
	v_fma_f64 v[58:59], v[56:57], s[28:29], -v[60:61]
	v_add_f64_e64 v[44:45], v[50:51], -v[44:45]
	s_delay_alu instid0(VALU_DEP_3) | instskip(NEXT) | instid1(VALU_DEP_3)
	v_mul_f64_e32 v[50:51], v[54:55], v[52:53]
	v_fmac_f64_e32 v[58:59], 0x3c7abc9e3b39803f, v[56:57]
	s_delay_alu instid0(VALU_DEP_3) | instskip(NEXT) | instid1(VALU_DEP_3)
	v_add_f64_e32 v[14:15], v[14:15], v[44:45]
	v_fma_f64 v[44:45], -v[48:49], v[50:51], v[54:55]
	s_delay_alu instid0(VALU_DEP_3) | instskip(NEXT) | instid1(VALU_DEP_3)
	v_add_f64_e32 v[48:49], v[60:61], v[58:59]
	v_add_f64_e32 v[54:55], v[46:47], v[14:15]
	s_delay_alu instid0(VALU_DEP_3) | instskip(SKIP_1) | instid1(VALU_DEP_4)
	v_div_fmas_f64 v[44:45], v[44:45], v[52:53], v[50:51]
	v_cmp_gt_i32_e32 vcc_lo, 0, v3
	v_add_f64_e64 v[52:53], v[48:49], -v[60:61]
	v_cndmask_b32_e32 v21, 0x3fe921fb, v63, vcc_lo
	v_cndmask_b32_e32 v8, 0x54442d18, v62, vcc_lo
	s_delay_alu instid0(VALU_DEP_2) | instskip(SKIP_4) | instid1(VALU_DEP_4)
	v_bfi_b32 v21, 0x7fffffff, v21, v5
	v_add_f64_e32 v[50:51], v[48:49], v[54:55]
	v_div_fixup_f64 v[38:39], v[44:45], v[42:43], v[38:39]
	v_add_f64_e64 v[46:47], v[54:55], -v[46:47]
	v_add_f64_e64 v[52:53], v[58:59], -v[52:53]
	;; [unrolled: 1-line block ×3, first 2 shown]
	s_delay_alu instid0(VALU_DEP_4) | instskip(NEXT) | instid1(VALU_DEP_4)
	v_mul_f64_e32 v[44:45], v[38:39], v[38:39]
	v_add_f64_e64 v[14:15], v[14:15], -v[46:47]
	s_delay_alu instid0(VALU_DEP_3) | instskip(NEXT) | instid1(VALU_DEP_3)
	v_add_f64_e64 v[56:57], v[50:51], -v[42:43]
	v_fmamk_f64 v[60:61], v[44:45], 0x3eeba404b5e68a13, v[24:25]
	v_add_f64_e64 v[42:43], v[54:55], -v[42:43]
	s_delay_alu instid0(VALU_DEP_4) | instskip(NEXT) | instid1(VALU_DEP_3)
	v_add_f64_e32 v[54:55], v[52:53], v[14:15]
	v_fmaak_f64 v[60:61], v[44:45], v[60:61], 0x3f4b2bb069efb384
	s_delay_alu instid0(VALU_DEP_1) | instskip(SKIP_1) | instid1(VALU_DEP_2)
	v_fmaak_f64 v[60:61], v[44:45], v[60:61], 0xbf67952daf56de9b
	v_add_f64_e64 v[46:47], v[48:49], -v[56:57]
	v_fmaak_f64 v[48:49], v[44:45], v[60:61], 0x3f7d6d43a595c56f
	s_delay_alu instid0(VALU_DEP_1) | instskip(NEXT) | instid1(VALU_DEP_1)
	v_fmaak_f64 v[48:49], v[44:45], v[48:49], 0xbf8c6ea4a57d9582
	v_fmaak_f64 v[48:49], v[44:45], v[48:49], 0x3f967e295f08b19f
	s_delay_alu instid0(VALU_DEP_1) | instskip(NEXT) | instid1(VALU_DEP_1)
	v_fmaak_f64 v[48:49], v[44:45], v[48:49], 0xbf9e9ae6fc27006a
	v_fmaak_f64 v[48:49], v[44:45], v[48:49], 0x3fa2c15b5711927a
	v_add_f64_e32 v[42:43], v[42:43], v[46:47]
	s_delay_alu instid0(VALU_DEP_2) | instskip(SKIP_1) | instid1(VALU_DEP_2)
	v_fmaak_f64 v[46:47], v[44:45], v[48:49], 0xbfa59976e82d3ff0
	v_add_f64_e64 v[48:49], v[54:55], -v[52:53]
	v_fmaak_f64 v[46:47], v[44:45], v[46:47], 0x3fa82d5d6ef28734
	s_delay_alu instid0(VALU_DEP_1) | instskip(NEXT) | instid1(VALU_DEP_1)
	v_fmaak_f64 v[46:47], v[44:45], v[46:47], 0xbfaae5ce6a214619
	v_fmaak_f64 v[46:47], v[44:45], v[46:47], 0x3fae1bb48427b883
	s_delay_alu instid0(VALU_DEP_1) | instskip(SKIP_3) | instid1(VALU_DEP_4)
	v_fmaak_f64 v[46:47], v[44:45], v[46:47], 0xbfb110e48b207f05
	v_add_f64_e32 v[42:43], v[54:55], v[42:43]
	v_add_f64_e64 v[54:55], v[54:55], -v[48:49]
	v_add_f64_e64 v[14:15], v[14:15], -v[48:49]
	v_fmaak_f64 v[46:47], v[44:45], v[46:47], 0x3fb3b13657b87036
	s_delay_alu instid0(VALU_DEP_1) | instskip(NEXT) | instid1(VALU_DEP_1)
	v_fmaak_f64 v[46:47], v[44:45], v[46:47], 0xbfb745d119378e4f
	v_fmaak_f64 v[46:47], v[44:45], v[46:47], 0x3fbc71c717e1913c
	s_delay_alu instid0(VALU_DEP_1) | instskip(SKIP_1) | instid1(VALU_DEP_2)
	v_fmaak_f64 v[46:47], v[44:45], v[46:47], 0xbfc2492492376b7d
	v_add_f64_e32 v[56:57], v[50:51], v[42:43]
	v_fmaak_f64 v[46:47], v[44:45], v[46:47], 0x3fc99999999952cc
	s_delay_alu instid0(VALU_DEP_1) | instskip(NEXT) | instid1(VALU_DEP_1)
	v_fmaak_f64 v[46:47], v[44:45], v[46:47], 0xbfd5555555555523
	v_mul_f64_e32 v[44:45], v[44:45], v[46:47]
	v_add_f64_e64 v[46:47], v[52:53], -v[54:55]
	v_add_f64_e64 v[48:49], v[56:57], -v[50:51]
	s_delay_alu instid0(VALU_DEP_3) | instskip(NEXT) | instid1(VALU_DEP_3)
	v_fmac_f64_e32 v[38:39], v[38:39], v[44:45]
	v_add_f64_e32 v[14:15], v[14:15], v[46:47]
	s_delay_alu instid0(VALU_DEP_3) | instskip(NEXT) | instid1(VALU_DEP_3)
	v_add_f64_e64 v[42:43], v[42:43], -v[48:49]
	v_add_f64_e64 v[44:45], -v[38:39], s[30:31]
	s_delay_alu instid0(VALU_DEP_2) | instskip(NEXT) | instid1(VALU_DEP_2)
	v_add_f64_e32 v[14:15], v[14:15], v[42:43]
	v_dual_cndmask_b32 v39, v39, v45, s2 :: v_dual_cndmask_b32 v38, v38, v44, s2
                                        ; implicit-def: $vgpr44_vgpr45
	s_delay_alu instid0(VALU_DEP_1) | instskip(NEXT) | instid1(VALU_DEP_3)
	v_add_f64_e64 v[42:43], -v[38:39], s[34:35]
	v_add_f64_e32 v[14:15], v[56:57], v[14:15]
	s_delay_alu instid0(VALU_DEP_2) | instskip(SKIP_1) | instid1(VALU_DEP_1)
	v_dual_cndmask_b32 v16, v38, v42, vcc_lo :: v_dual_cndmask_b32 v38, v39, v43, vcc_lo
	s_and_b32 vcc_lo, s7, s6
                                        ; implicit-def: $vgpr42_vgpr43
	v_dual_cndmask_b32 v12, v16, v12, s3 :: v_dual_cndmask_b32 v1, v38, v1, s3
	s_delay_alu instid0(VALU_DEP_1) | instskip(NEXT) | instid1(VALU_DEP_2)
	v_dual_mul_f64 v[14:15], 0.5, v[14:15] :: v_dual_cndmask_b32 v38, v12, v8, vcc_lo
	v_cndmask_b32_e32 v39, v1, v21, vcc_lo
	s_delay_alu instid0(VALU_DEP_2) | instskip(NEXT) | instid1(VALU_DEP_3)
	v_cndmask_b32_e64 v15, 0xfff00000, v15, s4
	v_cndmask_b32_e64 v14, 0, v14, s4
.LBB179_116:                            ;   in Loop: Header=BB179_5 Depth=1
	s_and_not1_saveexec_b32 s51, s5
	s_cbranch_execz .LBB179_120
; %bb.117:                              ;   in Loop: Header=BB179_5 Depth=1
	v_and_b32_e32 v21, 0x7ffffff8, v45
	v_and_b32_e32 v39, 0x7ffffff8, v43
	v_mov_b32_e32 v38, v20
	s_mov_b32 s52, 0
	v_mov_b32_e32 v46, v20
	v_add_f64_e64 v[14:15], v[44:45], -v[20:21]
	s_delay_alu instid0(VALU_DEP_3)
	v_dual_add_f64 v[40:41], v[42:43], -v[38:39] :: v_dual_mov_b32 v44, v20
	v_add_f64_e32 v[48:49], v[20:21], v[20:21]
	v_mul_f64_e32 v[42:43], v[38:39], v[38:39]
	v_add_f64_e32 v[56:57], v[38:39], v[38:39]
	v_and_b32_e32 v45, -8, v15
	v_and_b32_e32 v47, -8, v41
	s_delay_alu instid0(VALU_DEP_2) | instskip(SKIP_1) | instid1(VALU_DEP_3)
	v_add_f64_e64 v[58:59], v[14:15], -v[44:45]
	v_add_f64_e32 v[64:65], v[44:45], v[44:45]
	v_add_f64_e64 v[60:61], v[40:41], -v[46:47]
	v_add_f64_e32 v[66:67], v[46:47], v[46:47]
	v_mul_f64_e32 v[14:15], v[20:21], v[20:21]
	v_mul_f64_e32 v[54:55], v[48:49], v[44:45]
	;; [unrolled: 1-line block ×11, first 2 shown]
.LBB179_118:                            ;   Parent Loop BB179_5 Depth=1
                                        ; =>  This Inner Loop Header: Depth=2
	v_cmp_nlt_f64_e32 vcc_lo, v[14:15], v[42:43]
	v_dual_cndmask_b32 v61, v15, v43 :: v_dual_cndmask_b32 v60, v14, v42
	v_dual_cndmask_b32 v15, v43, v15 :: v_dual_cndmask_b32 v14, v42, v14
	s_delay_alu instid0(VALU_DEP_2) | instskip(NEXT) | instid1(VALU_DEP_1)
	v_cmp_nlt_f64_e64 s3, v[60:61], v[54:55]
	v_dual_cndmask_b32 v65, v61, v55, s3 :: v_dual_cndmask_b32 v64, v60, v54, s3
	v_dual_cndmask_b32 v43, v55, v61, s3 :: v_dual_cndmask_b32 v42, v54, v60, s3
	s_and_b32 s3, vcc_lo, s3
	s_delay_alu instid0(VALU_DEP_2) | instskip(NEXT) | instid1(VALU_DEP_1)
	v_cmp_nlt_f64_e64 s4, v[64:65], v[40:41]
	v_dual_cndmask_b32 v67, v65, v41, s4 :: v_dual_cndmask_b32 v66, v64, v40, s4
	v_dual_cndmask_b32 v55, v41, v65, s4 :: v_dual_cndmask_b32 v54, v40, v64, s4
	s_delay_alu instid0(VALU_DEP_2) | instskip(NEXT) | instid1(VALU_DEP_1)
	v_cmp_nlt_f64_e64 s5, v[66:67], v[52:53]
	v_dual_cndmask_b32 v69, v67, v53, s5 :: v_dual_cndmask_b32 v68, v66, v52, s5
	v_dual_cndmask_b32 v41, v53, v67, s5 :: v_dual_cndmask_b32 v40, v52, v66, s5
	s_and_b32 s4, s4, s5
	s_delay_alu instid0(VALU_DEP_2) | instskip(NEXT) | instid1(VALU_DEP_1)
	v_cmp_nlt_f64_e64 s6, v[68:69], v[38:39]
	v_dual_cndmask_b32 v71, v69, v39, s6 :: v_dual_cndmask_b32 v70, v68, v38, s6
	v_dual_cndmask_b32 v53, v39, v69, s6 :: v_dual_cndmask_b32 v52, v38, v68, s6
	s_delay_alu instid0(VALU_DEP_2) | instskip(NEXT) | instid1(VALU_DEP_1)
	v_cmp_nlt_f64_e64 s7, v[70:71], v[50:51]
	v_dual_cndmask_b32 v73, v71, v51, s7 :: v_dual_cndmask_b32 v72, v70, v50, s7
	s_and_b32 s5, s6, s7
	v_dual_cndmask_b32 v39, v51, v71, s7 :: v_dual_cndmask_b32 v38, v50, v70, s7
	s_delay_alu instid0(VALU_DEP_2) | instskip(NEXT) | instid1(VALU_DEP_1)
	v_cmp_nlt_f64_e64 s8, v[72:73], v[48:49]
	v_dual_cndmask_b32 v75, v73, v49, s8 :: v_dual_cndmask_b32 v74, v72, v48, s8
	s_and_b32 s5, s5, s8
	v_dual_cndmask_b32 v51, v49, v73, s8 :: v_dual_cndmask_b32 v50, v48, v72, s8
	s_delay_alu instid0(VALU_DEP_2) | instskip(NEXT) | instid1(VALU_DEP_1)
	v_cmp_nlt_f64_e64 s9, v[74:75], v[46:47]
	v_dual_cndmask_b32 v77, v75, v47, s9 :: v_dual_cndmask_b32 v76, v74, v46, s9
	s_and_b32 s5, s5, s9
	v_dual_cndmask_b32 v49, v47, v75, s9 :: v_dual_cndmask_b32 v48, v46, v74, s9
	s_delay_alu instid0(VALU_DEP_2) | instskip(NEXT) | instid1(VALU_DEP_1)
	v_cmp_nlt_f64_e64 s10, v[76:77], v[44:45]
	v_dual_cndmask_b32 v79, v77, v45, s10 :: v_dual_cndmask_b32 v78, v76, v44, s10
	s_and_b32 s5, s5, s10
	v_dual_cndmask_b32 v47, v45, v77, s10 :: v_dual_cndmask_b32 v46, v44, v76, s10
	s_delay_alu instid0(VALU_DEP_2) | instskip(NEXT) | instid1(VALU_DEP_1)
	v_cmp_nlt_f64_e64 s11, v[78:79], v[56:57]
	v_dual_cndmask_b32 v81, v79, v57, s11 :: v_dual_cndmask_b32 v80, v78, v56, s11
	s_and_b32 s5, s5, s11
	v_dual_cndmask_b32 v45, v57, v79, s11 :: v_dual_cndmask_b32 v44, v56, v78, s11
	s_delay_alu instid0(VALU_DEP_2) | instskip(NEXT) | instid1(VALU_DEP_1)
	v_cmp_nlt_f64_e64 s12, v[80:81], v[58:59]
	v_dual_cndmask_b32 v61, v81, v59, s12 :: v_dual_cndmask_b32 v60, v80, v58, s12
	s_and_b32 s5, s5, s12
	v_dual_cndmask_b32 v57, v59, v81, s12 :: v_dual_cndmask_b32 v56, v58, v80, s12
	s_and_b32 s4, s5, s4
	s_delay_alu instid0(VALU_DEP_2) | instskip(SKIP_1) | instid1(SALU_CYCLE_1)
	v_mov_b64_e32 v[58:59], v[60:61]
	s_and_b32 s3, s4, s3
	s_and_b32 s3, exec_lo, s3
	s_delay_alu instid0(SALU_CYCLE_1) | instskip(NEXT) | instid1(SALU_CYCLE_1)
	s_or_b32 s52, s3, s52
	s_and_not1_b32 exec_lo, exec_lo, s52
	s_cbranch_execnz .LBB179_118
; %bb.119:                              ;   in Loop: Header=BB179_5 Depth=1
	s_or_b32 exec_lo, exec_lo, s52
	v_add_f64_e32 v[14:15], -1.0, v[14:15]
	v_cmp_eq_f64_e64 s3, 0, v[4:5]
	v_cmp_class_f64_e64 s6, v[4:5], 0x204
	v_cmp_class_f64_e64 s7, v[2:3], 0x204
	s_delay_alu instid0(VALU_DEP_4) | instskip(NEXT) | instid1(VALU_DEP_1)
	v_add_f64_e32 v[14:15], v[14:15], v[42:43]
	v_add_f64_e32 v[14:15], v[14:15], v[54:55]
	s_delay_alu instid0(VALU_DEP_1) | instskip(NEXT) | instid1(VALU_DEP_1)
	v_add_f64_e32 v[14:15], v[14:15], v[40:41]
	v_add_f64_e32 v[14:15], v[14:15], v[52:53]
	s_delay_alu instid0(VALU_DEP_1) | instskip(NEXT) | instid1(VALU_DEP_1)
	;; [unrolled: 3-line block ×5, first 2 shown]
	v_add_f64_e32 v[40:41], v[60:61], v[14:15]
	v_add_f64_e32 v[14:15], 1.0, v[40:41]
	s_delay_alu instid0(VALU_DEP_1) | instskip(SKIP_2) | instid1(VALU_DEP_3)
	v_frexp_mant_f64_e32 v[38:39], v[14:15]
	v_frexp_exp_i32_f64_e32 v1, v[14:15]
	v_add_f64_e32 v[42:43], -1.0, v[14:15]
	v_cmp_gt_f64_e32 vcc_lo, s[26:27], v[38:39]
	s_delay_alu instid0(VALU_DEP_2) | instskip(SKIP_2) | instid1(VALU_DEP_1)
	v_add_f64_e64 v[38:39], v[42:43], -v[14:15]
	v_add_f64_e64 v[42:43], v[40:41], -v[42:43]
	v_subrev_co_ci_u32_e64 v1, null, 0, v1, vcc_lo
	v_dual_add_f64 v[38:39], 1.0, v[38:39] :: v_dual_sub_nc_u32 v8, 0, v1
	s_delay_alu instid0(VALU_DEP_1) | instskip(NEXT) | instid1(VALU_DEP_2)
	v_ldexp_f64 v[14:15], v[14:15], v8
	v_add_f64_e32 v[38:39], v[42:43], v[38:39]
	s_delay_alu instid0(VALU_DEP_2) | instskip(SKIP_1) | instid1(VALU_DEP_3)
	v_add_f64_e32 v[44:45], 1.0, v[14:15]
	v_add_f64_e32 v[50:51], -1.0, v[14:15]
	v_ldexp_f64 v[38:39], v[38:39], v8
	s_delay_alu instid0(VALU_DEP_3) | instskip(NEXT) | instid1(VALU_DEP_3)
	v_add_f64_e32 v[42:43], -1.0, v[44:45]
	v_add_f64_e32 v[52:53], 1.0, v[50:51]
	s_delay_alu instid0(VALU_DEP_2) | instskip(NEXT) | instid1(VALU_DEP_2)
	v_add_f64_e64 v[42:43], v[14:15], -v[42:43]
	v_add_f64_e64 v[14:15], v[14:15], -v[52:53]
	s_delay_alu instid0(VALU_DEP_2) | instskip(NEXT) | instid1(VALU_DEP_2)
	v_add_f64_e32 v[42:43], v[38:39], v[42:43]
	v_add_f64_e32 v[14:15], v[38:39], v[14:15]
	s_delay_alu instid0(VALU_DEP_2) | instskip(NEXT) | instid1(VALU_DEP_2)
	v_add_f64_e32 v[46:47], v[44:45], v[42:43]
	v_add_f64_e32 v[52:53], v[50:51], v[14:15]
	s_delay_alu instid0(VALU_DEP_2) | instskip(SKIP_1) | instid1(VALU_DEP_2)
	v_rcp_f64_e32 v[48:49], v[46:47]
	v_add_f64_e64 v[44:45], v[46:47], -v[44:45]
	v_add_f64_e64 v[50:51], v[52:53], -v[50:51]
	s_delay_alu instid0(VALU_DEP_2) | instskip(NEXT) | instid1(VALU_DEP_2)
	v_add_f64_e64 v[42:43], v[42:43], -v[44:45]
	v_add_f64_e64 v[14:15], v[14:15], -v[50:51]
	s_delay_alu instid0(TRANS32_DEP_1) | instskip(NEXT) | instid1(VALU_DEP_1)
	v_fma_f64 v[54:55], -v[46:47], v[48:49], 1.0
	v_fmac_f64_e32 v[48:49], v[54:55], v[48:49]
	s_delay_alu instid0(VALU_DEP_1) | instskip(NEXT) | instid1(VALU_DEP_1)
	v_fma_f64 v[38:39], -v[46:47], v[48:49], 1.0
	v_fmac_f64_e32 v[48:49], v[38:39], v[48:49]
	s_delay_alu instid0(VALU_DEP_1) | instskip(NEXT) | instid1(VALU_DEP_1)
	v_mul_f64_e32 v[38:39], v[52:53], v[48:49]
	v_mul_f64_e32 v[54:55], v[46:47], v[38:39]
	s_delay_alu instid0(VALU_DEP_1) | instskip(NEXT) | instid1(VALU_DEP_1)
	v_fma_f64 v[44:45], v[38:39], v[46:47], -v[54:55]
	v_fmac_f64_e32 v[44:45], v[38:39], v[42:43]
	s_delay_alu instid0(VALU_DEP_1) | instskip(NEXT) | instid1(VALU_DEP_1)
	v_add_f64_e32 v[56:57], v[54:55], v[44:45]
	v_add_f64_e64 v[58:59], v[52:53], -v[56:57]
	v_add_f64_e64 v[50:51], v[56:57], -v[54:55]
	s_delay_alu instid0(VALU_DEP_2) | instskip(NEXT) | instid1(VALU_DEP_2)
	v_add_f64_e64 v[52:53], v[52:53], -v[58:59]
	v_add_f64_e64 v[44:45], v[50:51], -v[44:45]
	s_delay_alu instid0(VALU_DEP_2) | instskip(NEXT) | instid1(VALU_DEP_1)
	v_add_f64_e64 v[52:53], v[52:53], -v[56:57]
	v_add_f64_e32 v[14:15], v[14:15], v[52:53]
	s_delay_alu instid0(VALU_DEP_1) | instskip(NEXT) | instid1(VALU_DEP_1)
	v_add_f64_e32 v[14:15], v[44:45], v[14:15]
	v_add_f64_e32 v[44:45], v[58:59], v[14:15]
	s_delay_alu instid0(VALU_DEP_1) | instskip(SKIP_1) | instid1(VALU_DEP_2)
	v_mul_f64_e32 v[50:51], v[48:49], v[44:45]
	v_add_f64_e64 v[56:57], v[58:59], -v[44:45]
	v_mul_f64_e32 v[52:53], v[46:47], v[50:51]
	s_delay_alu instid0(VALU_DEP_2) | instskip(NEXT) | instid1(VALU_DEP_2)
	v_add_f64_e32 v[14:15], v[14:15], v[56:57]
	v_fma_f64 v[46:47], v[50:51], v[46:47], -v[52:53]
	s_delay_alu instid0(VALU_DEP_1) | instskip(NEXT) | instid1(VALU_DEP_1)
	v_fmac_f64_e32 v[46:47], v[50:51], v[42:43]
	v_add_f64_e32 v[42:43], v[52:53], v[46:47]
	s_delay_alu instid0(VALU_DEP_1) | instskip(SKIP_1) | instid1(VALU_DEP_2)
	v_add_f64_e64 v[54:55], v[44:45], -v[42:43]
	v_add_f64_e64 v[52:53], v[42:43], -v[52:53]
	;; [unrolled: 1-line block ×3, first 2 shown]
	s_delay_alu instid0(VALU_DEP_1) | instskip(NEXT) | instid1(VALU_DEP_3)
	v_add_f64_e64 v[42:43], v[44:45], -v[42:43]
	v_add_f64_e64 v[44:45], v[52:53], -v[46:47]
	v_max_num_f64_e64 v[46:47], |v[2:3]|, |v[2:3]|
	s_delay_alu instid0(VALU_DEP_3) | instskip(SKIP_1) | instid1(VALU_DEP_2)
	v_add_f64_e32 v[14:15], v[14:15], v[42:43]
	v_add_f64_e32 v[42:43], v[38:39], v[50:51]
	;; [unrolled: 1-line block ×3, first 2 shown]
	s_delay_alu instid0(VALU_DEP_2) | instskip(SKIP_1) | instid1(VALU_DEP_3)
	v_add_f64_e64 v[38:39], v[42:43], -v[38:39]
	v_max_num_f64_e64 v[44:45], |v[4:5]|, |v[4:5]|
	v_add_f64_e32 v[14:15], v[54:55], v[14:15]
	s_delay_alu instid0(VALU_DEP_3) | instskip(NEXT) | instid1(VALU_DEP_2)
	v_add_f64_e64 v[38:39], v[50:51], -v[38:39]
	v_mul_f64_e32 v[14:15], v[48:49], v[14:15]
	s_delay_alu instid0(VALU_DEP_1) | instskip(SKIP_2) | instid1(VALU_DEP_3)
	v_add_f64_e32 v[14:15], v[38:39], v[14:15]
	v_max_num_f64_e32 v[38:39], v[46:47], v[44:45]
	v_min_num_f64_e32 v[44:45], v[46:47], v[44:45]
	v_add_f64_e32 v[46:47], v[42:43], v[14:15]
	s_delay_alu instid0(VALU_DEP_2) | instskip(NEXT) | instid1(VALU_DEP_2)
	v_div_scale_f64 v[48:49], null, v[38:39], v[38:39], v[44:45]
	v_mul_f64_e32 v[50:51], v[46:47], v[46:47]
	v_add_f64_e64 v[42:43], v[46:47], -v[42:43]
	s_delay_alu instid0(VALU_DEP_3) | instskip(NEXT) | instid1(VALU_DEP_2)
	v_rcp_f64_e32 v[52:53], v[48:49]
	v_fmamk_f64 v[54:55], v[50:51], 0x3fc3ab76bf559e2b, v[22:23]
	v_mul_f64_e32 v[56:57], v[46:47], v[50:51]
	s_delay_alu instid0(VALU_DEP_3) | instskip(NEXT) | instid1(VALU_DEP_3)
	v_add_f64_e64 v[14:15], v[14:15], -v[42:43]
	v_fmaak_f64 v[54:55], v[50:51], v[54:55], 0x3fc7474dd7f4df2e
	s_delay_alu instid0(TRANS32_DEP_1) | instskip(NEXT) | instid1(VALU_DEP_2)
	v_fma_f64 v[58:59], -v[48:49], v[52:53], 1.0
	v_fmaak_f64 v[54:55], v[50:51], v[54:55], 0x3fcc71c016291751
	s_delay_alu instid0(VALU_DEP_1) | instskip(NEXT) | instid1(VALU_DEP_1)
	v_fmaak_f64 v[54:55], v[50:51], v[54:55], 0x3fd249249b27acf1
	v_fmaak_f64 v[54:55], v[50:51], v[54:55], 0x3fd99999998ef7b6
	v_ldexp_f64 v[14:15], v[14:15], 1
	s_delay_alu instid0(VALU_DEP_2) | instskip(SKIP_2) | instid1(VALU_DEP_3)
	v_fmaak_f64 v[50:51], v[50:51], v[54:55], 0x3fe5555555555780
	v_ldexp_f64 v[54:55], v[46:47], 1
	v_fmac_f64_e32 v[52:53], v[52:53], v[58:59]
	v_mul_f64_e32 v[50:51], v[56:57], v[50:51]
	v_cvt_f64_i32_e32 v[56:57], v1
	v_ashrrev_i32_e32 v1, 31, v3
	s_delay_alu instid0(VALU_DEP_1) | instskip(SKIP_4) | instid1(VALU_DEP_3)
	v_and_b32_e32 v12, 0x54442d18, v1
	v_and_b32_e32 v1, 0x400921fb, v1
	v_fma_f64 v[58:59], -v[48:49], v[52:53], 1.0
	v_add_f64_e32 v[46:47], v[54:55], v[50:51]
	v_mul_f64_e32 v[60:61], 0x3fe62e42fefa39ef, v[56:57]
	v_fmac_f64_e32 v[52:53], v[52:53], v[58:59]
	s_delay_alu instid0(VALU_DEP_3) | instskip(SKIP_1) | instid1(VALU_DEP_4)
	v_add_f64_e64 v[42:43], v[46:47], -v[54:55]
	v_div_scale_f64 v[54:55], vcc_lo, v[44:45], v[38:39], v[44:45]
	v_fma_f64 v[58:59], v[56:57], s[28:29], -v[60:61]
	s_delay_alu instid0(VALU_DEP_3) | instskip(NEXT) | instid1(VALU_DEP_3)
	v_add_f64_e64 v[42:43], v[50:51], -v[42:43]
	v_mul_f64_e32 v[50:51], v[54:55], v[52:53]
	s_delay_alu instid0(VALU_DEP_3) | instskip(NEXT) | instid1(VALU_DEP_3)
	v_fmac_f64_e32 v[58:59], 0x3c7abc9e3b39803f, v[56:57]
	v_add_f64_e32 v[14:15], v[14:15], v[42:43]
	s_delay_alu instid0(VALU_DEP_3) | instskip(NEXT) | instid1(VALU_DEP_3)
	v_fma_f64 v[42:43], -v[48:49], v[50:51], v[54:55]
	v_add_f64_e32 v[48:49], v[60:61], v[58:59]
	s_delay_alu instid0(VALU_DEP_3) | instskip(NEXT) | instid1(VALU_DEP_3)
	v_add_f64_e32 v[54:55], v[46:47], v[14:15]
	v_div_fmas_f64 v[42:43], v[42:43], v[52:53], v[50:51]
	v_cmp_gt_i32_e32 vcc_lo, 0, v3
	s_delay_alu instid0(VALU_DEP_4) | instskip(SKIP_2) | instid1(VALU_DEP_1)
	v_add_f64_e64 v[52:53], v[48:49], -v[60:61]
	v_cndmask_b32_e32 v8, 0x54442d18, v62, vcc_lo
	v_cndmask_b32_e32 v21, 0x3fe921fb, v63, vcc_lo
	v_bfi_b32 v21, 0x7fffffff, v21, v5
	v_add_f64_e32 v[50:51], v[48:49], v[54:55]
	v_div_fixup_f64 v[38:39], v[42:43], v[38:39], v[44:45]
	v_add_f64_e64 v[46:47], v[54:55], -v[46:47]
	v_add_f64_e64 v[52:53], v[58:59], -v[52:53]
	s_delay_alu instid0(VALU_DEP_4) | instskip(NEXT) | instid1(VALU_DEP_4)
	v_add_f64_e64 v[42:43], v[50:51], -v[48:49]
	v_mul_f64_e32 v[44:45], v[38:39], v[38:39]
	s_delay_alu instid0(VALU_DEP_4) | instskip(NEXT) | instid1(VALU_DEP_3)
	v_add_f64_e64 v[14:15], v[14:15], -v[46:47]
	v_add_f64_e64 v[56:57], v[50:51], -v[42:43]
	s_delay_alu instid0(VALU_DEP_3) | instskip(SKIP_1) | instid1(VALU_DEP_4)
	v_fmamk_f64 v[60:61], v[44:45], 0x3eeba404b5e68a13, v[24:25]
	v_add_f64_e64 v[42:43], v[54:55], -v[42:43]
	v_add_f64_e32 v[54:55], v[52:53], v[14:15]
	s_delay_alu instid0(VALU_DEP_3) | instskip(SKIP_1) | instid1(VALU_DEP_2)
	v_fmaak_f64 v[60:61], v[44:45], v[60:61], 0x3f4b2bb069efb384
	v_add_f64_e64 v[46:47], v[48:49], -v[56:57]
	v_fmaak_f64 v[48:49], v[44:45], v[60:61], 0xbf67952daf56de9b
	s_delay_alu instid0(VALU_DEP_1) | instskip(NEXT) | instid1(VALU_DEP_1)
	v_fmaak_f64 v[48:49], v[44:45], v[48:49], 0x3f7d6d43a595c56f
	v_fmaak_f64 v[48:49], v[44:45], v[48:49], 0xbf8c6ea4a57d9582
	s_delay_alu instid0(VALU_DEP_1) | instskip(NEXT) | instid1(VALU_DEP_1)
	v_fmaak_f64 v[48:49], v[44:45], v[48:49], 0x3f967e295f08b19f
	v_fmaak_f64 v[48:49], v[44:45], v[48:49], 0xbf9e9ae6fc27006a
	v_add_f64_e32 v[42:43], v[42:43], v[46:47]
	s_delay_alu instid0(VALU_DEP_2) | instskip(SKIP_1) | instid1(VALU_DEP_2)
	v_fmaak_f64 v[46:47], v[44:45], v[48:49], 0x3fa2c15b5711927a
	v_add_f64_e64 v[48:49], v[54:55], -v[52:53]
	v_fmaak_f64 v[46:47], v[44:45], v[46:47], 0xbfa59976e82d3ff0
	s_delay_alu instid0(VALU_DEP_1) | instskip(NEXT) | instid1(VALU_DEP_1)
	v_fmaak_f64 v[46:47], v[44:45], v[46:47], 0x3fa82d5d6ef28734
	v_fmaak_f64 v[46:47], v[44:45], v[46:47], 0xbfaae5ce6a214619
	s_delay_alu instid0(VALU_DEP_1) | instskip(SKIP_3) | instid1(VALU_DEP_4)
	v_fmaak_f64 v[46:47], v[44:45], v[46:47], 0x3fae1bb48427b883
	v_add_f64_e32 v[42:43], v[54:55], v[42:43]
	v_add_f64_e64 v[54:55], v[54:55], -v[48:49]
	v_add_f64_e64 v[14:15], v[14:15], -v[48:49]
	v_fmaak_f64 v[46:47], v[44:45], v[46:47], 0xbfb110e48b207f05
	s_delay_alu instid0(VALU_DEP_1) | instskip(NEXT) | instid1(VALU_DEP_1)
	v_fmaak_f64 v[46:47], v[44:45], v[46:47], 0x3fb3b13657b87036
	v_fmaak_f64 v[46:47], v[44:45], v[46:47], 0xbfb745d119378e4f
	s_delay_alu instid0(VALU_DEP_1) | instskip(SKIP_1) | instid1(VALU_DEP_2)
	v_fmaak_f64 v[46:47], v[44:45], v[46:47], 0x3fbc71c717e1913c
	v_add_f64_e32 v[56:57], v[50:51], v[42:43]
	v_fmaak_f64 v[46:47], v[44:45], v[46:47], 0xbfc2492492376b7d
	s_delay_alu instid0(VALU_DEP_1) | instskip(NEXT) | instid1(VALU_DEP_1)
	v_fmaak_f64 v[46:47], v[44:45], v[46:47], 0x3fc99999999952cc
	v_fmaak_f64 v[46:47], v[44:45], v[46:47], 0xbfd5555555555523
	s_delay_alu instid0(VALU_DEP_1) | instskip(SKIP_2) | instid1(VALU_DEP_3)
	v_mul_f64_e32 v[44:45], v[44:45], v[46:47]
	v_add_f64_e64 v[46:47], v[52:53], -v[54:55]
	v_add_f64_e64 v[48:49], v[56:57], -v[50:51]
	v_fmac_f64_e32 v[38:39], v[38:39], v[44:45]
	s_delay_alu instid0(VALU_DEP_3) | instskip(NEXT) | instid1(VALU_DEP_3)
	v_add_f64_e32 v[14:15], v[14:15], v[46:47]
	v_add_f64_e64 v[42:43], v[42:43], -v[48:49]
	s_delay_alu instid0(VALU_DEP_3) | instskip(NEXT) | instid1(VALU_DEP_2)
	v_add_f64_e64 v[44:45], -v[38:39], s[30:31]
	v_add_f64_e32 v[14:15], v[14:15], v[42:43]
	s_delay_alu instid0(VALU_DEP_2) | instskip(SKIP_2) | instid1(VALU_DEP_3)
	v_dual_cndmask_b32 v39, v39, v45, s2 :: v_dual_cndmask_b32 v38, v38, v44, s2
	v_cmp_nge_f64_e64 s4, -1.0, v[40:41]
	v_cmp_neq_f64_e64 s5, 0x7ff00000, v[40:41]
	v_add_f64_e64 v[42:43], -v[38:39], s[34:35]
	v_add_f64_e32 v[14:15], v[56:57], v[14:15]
	s_delay_alu instid0(VALU_DEP_2) | instskip(SKIP_1) | instid1(VALU_DEP_2)
	v_dual_cndmask_b32 v16, v38, v42, vcc_lo :: v_dual_cndmask_b32 v38, v39, v43, vcc_lo
	v_cmp_ngt_f64_e32 vcc_lo, -1.0, v[40:41]
	v_dual_mul_f64 v[14:15], 0.5, v[14:15] :: v_dual_cndmask_b32 v12, v16, v12, s3
	s_delay_alu instid0(VALU_DEP_3)
	v_cndmask_b32_e64 v1, v38, v1, s3
	s_and_b32 s3, s4, s5
	s_delay_alu instid0(VALU_DEP_2) | instid1(SALU_CYCLE_1)
	v_cndmask_b32_e64 v14, 0, v14, s3
	v_cmp_neq_f64_e64 s3, -1.0, v[40:41]
	s_delay_alu instid0(VALU_DEP_4) | instskip(NEXT) | instid1(VALU_DEP_1)
	v_cndmask_b32_e64 v15, 0x7ff00000, v15, s5
	v_cndmask_b32_e32 v15, 0x7ff80000, v15, vcc_lo
	s_and_b32 vcc_lo, s7, s6
	v_dual_cndmask_b32 v39, v1, v21 :: v_dual_cndmask_b32 v38, v12, v8
	s_delay_alu instid0(VALU_DEP_2)
	v_cndmask_b32_e64 v15, 0xfff00000, v15, s3
.LBB179_120:                            ;   in Loop: Header=BB179_5 Depth=1
	s_or_b32 exec_lo, exec_lo, s51
.LBB179_121:                            ;   in Loop: Header=BB179_5 Depth=1
	s_delay_alu instid0(SALU_CYCLE_1)
	s_or_b32 exec_lo, exec_lo, s50
.LBB179_122:                            ;   in Loop: Header=BB179_5 Depth=1
	s_and_not1_saveexec_b32 s5, s49
	s_cbranch_execz .LBB179_124
; %bb.123:                              ;   in Loop: Header=BB179_5 Depth=1
	v_max_num_f64_e64 v[14:15], |v[4:5]|, |v[4:5]|
	v_max_num_f64_e64 v[38:39], |v[2:3]|, |v[2:3]|
	v_cmp_class_f64_e64 s6, v[2:3], 0x204
	v_cmp_class_f64_e64 s7, v[4:5], 0x204
	v_cmp_eq_f64_e64 s4, 0, v[4:5]
	s_delay_alu instid0(VALU_DEP_4) | instskip(SKIP_2) | instid1(VALU_DEP_2)
	v_max_num_f64_e32 v[40:41], v[38:39], v[14:15]
	v_min_num_f64_e32 v[14:15], v[38:39], v[14:15]
	s_or_b32 s3, s6, s7
	v_frexp_exp_i32_f64_e32 v1, v[40:41]
	s_delay_alu instid0(VALU_DEP_1) | instskip(NEXT) | instid1(VALU_DEP_1)
	v_sub_nc_u32_e32 v8, 0, v1
	v_ldexp_f64 v[42:43], |v[4:5]|, v8
	v_ldexp_f64 v[44:45], |v[2:3]|, v8
	s_delay_alu instid0(VALU_DEP_2) | instskip(NEXT) | instid1(VALU_DEP_1)
	v_mul_f64_e32 v[42:43], v[42:43], v[42:43]
	v_fmac_f64_e32 v[42:43], v[44:45], v[44:45]
	s_delay_alu instid0(VALU_DEP_1) | instskip(SKIP_1) | instid1(TRANS32_DEP_1)
	v_rsq_f64_e32 v[44:45], v[42:43]
	v_cmp_eq_f64_e32 vcc_lo, 0, v[42:43]
	v_mul_f64_e32 v[46:47], v[42:43], v[44:45]
	v_mul_f64_e32 v[44:45], 0.5, v[44:45]
	s_delay_alu instid0(VALU_DEP_1) | instskip(NEXT) | instid1(VALU_DEP_1)
	v_fma_f64 v[48:49], -v[44:45], v[46:47], 0.5
	v_fmac_f64_e32 v[46:47], v[46:47], v[48:49]
	v_fmac_f64_e32 v[44:45], v[44:45], v[48:49]
	s_delay_alu instid0(VALU_DEP_2) | instskip(NEXT) | instid1(VALU_DEP_1)
	v_fma_f64 v[48:49], -v[46:47], v[46:47], v[42:43]
	v_fmac_f64_e32 v[46:47], v[48:49], v[44:45]
	s_delay_alu instid0(VALU_DEP_1) | instskip(NEXT) | instid1(VALU_DEP_1)
	v_dual_cndmask_b32 v43, v47, v43 :: v_dual_cndmask_b32 v42, v46, v42
	v_ldexp_f64 v[42:43], v[42:43], v1
	s_delay_alu instid0(VALU_DEP_1) | instskip(NEXT) | instid1(VALU_DEP_2)
	v_cndmask_b32_e64 v43, v43, 0x7ff00000, s3
	v_cndmask_b32_e64 v42, v42, 0, s3
	s_delay_alu instid0(VALU_DEP_1) | instskip(SKIP_1) | instid1(VALU_DEP_2)
	v_frexp_mant_f64_e32 v[44:45], v[42:43]
	v_cmp_class_f64_e64 s3, v[42:43], 0x204
	v_cmp_gt_f64_e32 vcc_lo, s[26:27], v[44:45]
	v_cndmask_b32_e64 v1, 0, 1, vcc_lo
	s_delay_alu instid0(VALU_DEP_1) | instskip(SKIP_1) | instid1(VALU_DEP_2)
	v_ldexp_f64 v[44:45], v[44:45], v1
	v_frexp_exp_i32_f64_e32 v1, v[42:43]
	v_add_f64_e32 v[46:47], 1.0, v[44:45]
	v_add_f64_e32 v[52:53], -1.0, v[44:45]
	s_delay_alu instid0(VALU_DEP_3) | instskip(SKIP_1) | instid1(VALU_DEP_4)
	v_subrev_co_ci_u32_e64 v1, null, 0, v1, vcc_lo
	v_div_scale_f64 v[60:61], vcc_lo, v[14:15], v[40:41], v[14:15]
	v_rcp_f64_e32 v[48:49], v[46:47]
	v_add_f64_e32 v[54:55], -1.0, v[46:47]
	s_delay_alu instid0(VALU_DEP_1) | instskip(NEXT) | instid1(TRANS32_DEP_1)
	v_add_f64_e64 v[44:45], v[44:45], -v[54:55]
	v_fma_f64 v[50:51], -v[46:47], v[48:49], 1.0
	s_delay_alu instid0(VALU_DEP_1) | instskip(NEXT) | instid1(VALU_DEP_1)
	v_fmac_f64_e32 v[48:49], v[50:51], v[48:49]
	v_fma_f64 v[50:51], -v[46:47], v[48:49], 1.0
	s_delay_alu instid0(VALU_DEP_1) | instskip(NEXT) | instid1(VALU_DEP_1)
	v_fmac_f64_e32 v[48:49], v[50:51], v[48:49]
	v_mul_f64_e32 v[50:51], v[52:53], v[48:49]
	s_delay_alu instid0(VALU_DEP_1) | instskip(NEXT) | instid1(VALU_DEP_1)
	v_mul_f64_e32 v[56:57], v[46:47], v[50:51]
	v_fma_f64 v[46:47], v[50:51], v[46:47], -v[56:57]
	s_delay_alu instid0(VALU_DEP_1) | instskip(NEXT) | instid1(VALU_DEP_1)
	v_fmac_f64_e32 v[46:47], v[50:51], v[44:45]
	v_add_f64_e32 v[44:45], v[56:57], v[46:47]
	s_delay_alu instid0(VALU_DEP_1) | instskip(SKIP_1) | instid1(VALU_DEP_2)
	v_add_f64_e64 v[54:55], v[52:53], -v[44:45]
	v_add_f64_e64 v[56:57], v[44:45], -v[56:57]
	;; [unrolled: 1-line block ×3, first 2 shown]
	s_delay_alu instid0(VALU_DEP_2) | instskip(NEXT) | instid1(VALU_DEP_2)
	v_add_f64_e64 v[46:47], v[56:57], -v[46:47]
	v_add_f64_e64 v[44:45], v[52:53], -v[44:45]
	s_delay_alu instid0(VALU_DEP_1) | instskip(NEXT) | instid1(VALU_DEP_1)
	v_add_f64_e32 v[44:45], v[46:47], v[44:45]
	v_add_f64_e32 v[44:45], v[54:55], v[44:45]
	s_delay_alu instid0(VALU_DEP_1) | instskip(SKIP_1) | instid1(VALU_DEP_2)
	v_mul_f64_e32 v[38:39], v[48:49], v[44:45]
	v_div_scale_f64 v[44:45], null, v[40:41], v[40:41], v[14:15]
	v_add_f64_e32 v[46:47], v[50:51], v[38:39]
	s_delay_alu instid0(VALU_DEP_2) | instskip(NEXT) | instid1(VALU_DEP_1)
	v_rcp_f64_e32 v[48:49], v[44:45]
	v_mul_f64_e32 v[52:53], v[46:47], v[46:47]
	s_delay_alu instid0(TRANS32_DEP_1) | instskip(NEXT) | instid1(VALU_DEP_2)
	v_fma_f64 v[56:57], -v[44:45], v[48:49], 1.0
	v_fmamk_f64 v[54:55], v[52:53], 0x3fc3ab76bf559e2b, v[22:23]
	v_mul_f64_e32 v[58:59], v[46:47], v[52:53]
	s_delay_alu instid0(VALU_DEP_3) | instskip(NEXT) | instid1(VALU_DEP_3)
	v_fmac_f64_e32 v[48:49], v[48:49], v[56:57]
	v_fmaak_f64 v[54:55], v[52:53], v[54:55], 0x3fc7474dd7f4df2e
	s_delay_alu instid0(VALU_DEP_1) | instskip(NEXT) | instid1(VALU_DEP_1)
	v_fmaak_f64 v[54:55], v[52:53], v[54:55], 0x3fcc71c016291751
	v_fmaak_f64 v[54:55], v[52:53], v[54:55], 0x3fd249249b27acf1
	s_delay_alu instid0(VALU_DEP_1) | instskip(NEXT) | instid1(VALU_DEP_1)
	v_fmaak_f64 v[54:55], v[52:53], v[54:55], 0x3fd99999998ef7b6
	v_fmaak_f64 v[52:53], v[52:53], v[54:55], 0x3fe5555555555780
	v_ldexp_f64 v[54:55], v[46:47], 1
	v_add_f64_e64 v[46:47], v[46:47], -v[50:51]
	v_fma_f64 v[56:57], -v[44:45], v[48:49], 1.0
	s_delay_alu instid0(VALU_DEP_4) | instskip(SKIP_2) | instid1(VALU_DEP_1)
	v_mul_f64_e32 v[52:53], v[58:59], v[52:53]
	v_cvt_f64_i32_e32 v[58:59], v1
	v_ashrrev_i32_e32 v1, 31, v3
	v_and_b32_e32 v12, 0x54442d18, v1
	v_and_b32_e32 v1, 0x400921fb, v1
	v_add_f64_e64 v[38:39], v[38:39], -v[46:47]
	v_fmac_f64_e32 v[48:49], v[48:49], v[56:57]
	v_add_f64_e32 v[50:51], v[54:55], v[52:53]
	v_mul_f64_e32 v[56:57], 0x3fe62e42fefa39ef, v[58:59]
	s_delay_alu instid0(VALU_DEP_4) | instskip(NEXT) | instid1(VALU_DEP_3)
	v_ldexp_f64 v[38:39], v[38:39], 1
	v_add_f64_e64 v[46:47], v[50:51], -v[54:55]
	v_mul_f64_e32 v[54:55], v[60:61], v[48:49]
	s_delay_alu instid0(VALU_DEP_4) | instskip(NEXT) | instid1(VALU_DEP_3)
	v_fma_f64 v[64:65], v[58:59], s[28:29], -v[56:57]
	v_add_f64_e64 v[46:47], v[52:53], -v[46:47]
	s_delay_alu instid0(VALU_DEP_3) | instskip(NEXT) | instid1(VALU_DEP_3)
	v_fma_f64 v[44:45], -v[44:45], v[54:55], v[60:61]
	v_fmac_f64_e32 v[64:65], 0x3c7abc9e3b39803f, v[58:59]
	s_delay_alu instid0(VALU_DEP_3) | instskip(NEXT) | instid1(VALU_DEP_3)
	v_add_f64_e32 v[38:39], v[38:39], v[46:47]
	v_div_fmas_f64 v[44:45], v[44:45], v[48:49], v[54:55]
	s_delay_alu instid0(VALU_DEP_3) | instskip(SKIP_3) | instid1(VALU_DEP_1)
	v_add_f64_e32 v[46:47], v[56:57], v[64:65]
	v_cmp_gt_i32_e32 vcc_lo, 0, v3
	v_cndmask_b32_e32 v8, 0x54442d18, v62, vcc_lo
	v_cndmask_b32_e32 v16, 0x3fe921fb, v63, vcc_lo
	v_bfi_b32 v16, 0x7fffffff, v16, v5
	v_add_f64_e32 v[48:49], v[50:51], v[38:39]
	v_div_fixup_f64 v[14:15], v[44:45], v[40:41], v[14:15]
	v_add_f64_e64 v[56:57], v[46:47], -v[56:57]
	s_delay_alu instid0(VALU_DEP_3) | instskip(NEXT) | instid1(VALU_DEP_3)
	v_add_f64_e32 v[40:41], v[46:47], v[48:49]
	v_mul_f64_e32 v[44:45], v[14:15], v[14:15]
	v_add_f64_e64 v[50:51], v[48:49], -v[50:51]
	s_delay_alu instid0(VALU_DEP_4) | instskip(NEXT) | instid1(VALU_DEP_4)
	v_add_f64_e64 v[56:57], v[64:65], -v[56:57]
	v_add_f64_e64 v[52:53], v[40:41], -v[46:47]
	s_delay_alu instid0(VALU_DEP_4) | instskip(NEXT) | instid1(VALU_DEP_4)
	v_fmamk_f64 v[54:55], v[44:45], 0x3eeba404b5e68a13, v[24:25]
	v_add_f64_e64 v[38:39], v[38:39], -v[50:51]
	s_delay_alu instid0(VALU_DEP_2) | instskip(NEXT) | instid1(VALU_DEP_1)
	v_fmaak_f64 v[54:55], v[44:45], v[54:55], 0x3f4b2bb069efb384
	v_fmaak_f64 v[54:55], v[44:45], v[54:55], 0xbf67952daf56de9b
	s_delay_alu instid0(VALU_DEP_1) | instskip(NEXT) | instid1(VALU_DEP_1)
	v_fmaak_f64 v[54:55], v[44:45], v[54:55], 0x3f7d6d43a595c56f
	v_fmaak_f64 v[54:55], v[44:45], v[54:55], 0xbf8c6ea4a57d9582
	v_add_f64_e64 v[58:59], v[40:41], -v[52:53]
	v_add_f64_e64 v[48:49], v[48:49], -v[52:53]
	v_add_f64_e32 v[52:53], v[56:57], v[38:39]
	s_delay_alu instid0(VALU_DEP_4) | instskip(NEXT) | instid1(VALU_DEP_1)
	v_fmaak_f64 v[54:55], v[44:45], v[54:55], 0x3f967e295f08b19f
	v_fmaak_f64 v[50:51], v[44:45], v[54:55], 0xbf9e9ae6fc27006a
	s_delay_alu instid0(VALU_DEP_1) | instskip(NEXT) | instid1(VALU_DEP_1)
	v_fmaak_f64 v[50:51], v[44:45], v[50:51], 0x3fa2c15b5711927a
	v_fmaak_f64 v[50:51], v[44:45], v[50:51], 0xbfa59976e82d3ff0
	s_delay_alu instid0(VALU_DEP_1) | instskip(SKIP_1) | instid1(VALU_DEP_2)
	v_fmaak_f64 v[50:51], v[44:45], v[50:51], 0x3fa82d5d6ef28734
	v_add_f64_e64 v[46:47], v[46:47], -v[58:59]
	v_fmaak_f64 v[50:51], v[44:45], v[50:51], 0xbfaae5ce6a214619
	s_delay_alu instid0(VALU_DEP_2) | instskip(NEXT) | instid1(VALU_DEP_2)
	v_add_f64_e32 v[46:47], v[48:49], v[46:47]
	v_fmaak_f64 v[48:49], v[44:45], v[50:51], 0x3fae1bb48427b883
	v_add_f64_e64 v[50:51], v[52:53], -v[56:57]
	s_delay_alu instid0(VALU_DEP_2) | instskip(NEXT) | instid1(VALU_DEP_1)
	v_fmaak_f64 v[48:49], v[44:45], v[48:49], 0xbfb110e48b207f05
	v_fmaak_f64 v[48:49], v[44:45], v[48:49], 0x3fb3b13657b87036
	s_delay_alu instid0(VALU_DEP_1) | instskip(NEXT) | instid1(VALU_DEP_1)
	v_fmaak_f64 v[48:49], v[44:45], v[48:49], 0xbfb745d119378e4f
	v_fmaak_f64 v[48:49], v[44:45], v[48:49], 0x3fbc71c717e1913c
	v_add_f64_e32 v[46:47], v[52:53], v[46:47]
	v_add_f64_e64 v[38:39], v[38:39], -v[50:51]
	s_delay_alu instid0(VALU_DEP_3) | instskip(NEXT) | instid1(VALU_DEP_1)
	v_fmaak_f64 v[48:49], v[44:45], v[48:49], 0xbfc2492492376b7d
	v_fmaak_f64 v[48:49], v[44:45], v[48:49], 0x3fc99999999952cc
	s_delay_alu instid0(VALU_DEP_1) | instskip(NEXT) | instid1(VALU_DEP_1)
	v_fmaak_f64 v[48:49], v[44:45], v[48:49], 0xbfd5555555555523
	v_mul_f64_e32 v[44:45], v[44:45], v[48:49]
	v_add_f64_e64 v[48:49], v[52:53], -v[50:51]
	v_add_f64_e32 v[52:53], v[40:41], v[46:47]
	s_delay_alu instid0(VALU_DEP_3) | instskip(NEXT) | instid1(VALU_DEP_3)
	v_fmac_f64_e32 v[14:15], v[14:15], v[44:45]
	v_add_f64_e64 v[44:45], v[56:57], -v[48:49]
	s_delay_alu instid0(VALU_DEP_3) | instskip(NEXT) | instid1(VALU_DEP_3)
	v_add_f64_e64 v[40:41], v[52:53], -v[40:41]
	v_add_f64_e64 v[48:49], -v[14:15], s[30:31]
	s_delay_alu instid0(VALU_DEP_3) | instskip(NEXT) | instid1(VALU_DEP_3)
	v_add_f64_e32 v[38:39], v[38:39], v[44:45]
	v_add_f64_e64 v[40:41], v[46:47], -v[40:41]
	s_delay_alu instid0(VALU_DEP_3) | instskip(NEXT) | instid1(VALU_DEP_2)
	v_dual_cndmask_b32 v15, v15, v49, s2 :: v_dual_cndmask_b32 v14, v14, v48, s2
	v_add_f64_e32 v[38:39], v[38:39], v[40:41]
	s_delay_alu instid0(VALU_DEP_2) | instskip(NEXT) | instid1(VALU_DEP_1)
	v_add_f64_e64 v[40:41], -v[14:15], s[34:35]
	v_dual_add_f64 v[38:39], v[52:53], v[38:39] :: v_dual_cndmask_b32 v14, v14, v40, vcc_lo
	s_delay_alu instid0(VALU_DEP_2) | instskip(SKIP_1) | instid1(VALU_DEP_2)
	v_cndmask_b32_e32 v15, v15, v41, vcc_lo
	v_cmp_ngt_f64_e32 vcc_lo, 0, v[42:43]
	v_dual_cndmask_b32 v12, v14, v12, s4 :: v_dual_cndmask_b32 v1, v15, v1, s4
	s_delay_alu instid0(VALU_DEP_4) | instskip(SKIP_1) | instid1(VALU_DEP_2)
	v_dual_cndmask_b32 v21, v38, v42, s3 :: v_dual_cndmask_b32 v38, v39, v43, s3
	v_cmp_nge_f64_e64 s3, 0, v[42:43]
	v_cndmask_b32_e32 v15, 0x7ff80000, v38, vcc_lo
	s_and_b32 vcc_lo, s6, s7
	v_cndmask_b32_e32 v39, v1, v16, vcc_lo
	v_dual_cndmask_b32 v38, v12, v8, vcc_lo :: v_dual_cndmask_b32 v14, 0, v21, s3
	v_cmp_neq_f64_e64 s3, 0, v[42:43]
	s_delay_alu instid0(VALU_DEP_1)
	v_cndmask_b32_e64 v15, 0xfff00000, v15, s3
.LBB179_124:                            ;   in Loop: Header=BB179_5 Depth=1
	s_or_b32 exec_lo, exec_lo, s5
                                        ; implicit-def: $vgpr42_vgpr43
.LBB179_125:                            ;   in Loop: Header=BB179_5 Depth=1
	s_and_not1_saveexec_b32 s5, s48
	s_cbranch_execz .LBB179_131
; %bb.126:                              ;   in Loop: Header=BB179_5 Depth=1
                                        ; implicit-def: $vgpr14_vgpr15
                                        ; implicit-def: $vgpr38_vgpr39
	s_mov_b32 s3, exec_lo
	v_cmpx_ngt_f64_e32 s[38:39], v[42:43]
	s_xor_b32 s6, exec_lo, s3
	s_cbranch_execz .LBB179_128
; %bb.127:                              ;   in Loop: Header=BB179_5 Depth=1
	v_mul_f64_e32 v[14:15], v[42:43], v[42:43]
	v_cmp_eq_f64_e64 s3, 0, v[4:5]
	v_cmp_class_f64_e64 s7, v[4:5], 0x204
	v_cmp_class_f64_e64 s8, v[2:3], 0x204
	s_delay_alu instid0(VALU_DEP_4) | instskip(NEXT) | instid1(VALU_DEP_1)
	v_add_f64_e32 v[38:39], 1.0, v[14:15]
	v_frexp_mant_f64_e32 v[40:41], v[38:39]
	v_frexp_exp_i32_f64_e32 v1, v[38:39]
	v_add_f64_e32 v[42:43], -1.0, v[38:39]
	s_delay_alu instid0(VALU_DEP_3) | instskip(NEXT) | instid1(VALU_DEP_2)
	v_cmp_gt_f64_e32 vcc_lo, s[26:27], v[40:41]
	v_add_f64_e64 v[40:41], v[42:43], -v[38:39]
	s_delay_alu instid0(VALU_DEP_4) | instskip(NEXT) | instid1(VALU_DEP_2)
	v_subrev_co_ci_u32_e64 v1, null, 0, v1, vcc_lo
	v_add_f64_e32 v[40:41], 1.0, v[40:41]
	s_delay_alu instid0(VALU_DEP_2) | instskip(SKIP_2) | instid1(VALU_DEP_3)
	v_sub_nc_u32_e32 v8, 0, v1
	v_cmp_neq_f64_e64 s4, 0x7ff00000, v[14:15]
	v_add_f64_e64 v[42:43], v[14:15], -v[42:43]
	v_ldexp_f64 v[38:39], v[38:39], v8
	s_delay_alu instid0(VALU_DEP_2) | instskip(NEXT) | instid1(VALU_DEP_2)
	v_add_f64_e32 v[40:41], v[42:43], v[40:41]
	v_add_f64_e32 v[44:45], 1.0, v[38:39]
	v_add_f64_e32 v[50:51], -1.0, v[38:39]
	s_delay_alu instid0(VALU_DEP_3) | instskip(NEXT) | instid1(VALU_DEP_3)
	v_ldexp_f64 v[40:41], v[40:41], v8
	v_add_f64_e32 v[42:43], -1.0, v[44:45]
	s_delay_alu instid0(VALU_DEP_3) | instskip(NEXT) | instid1(VALU_DEP_2)
	v_add_f64_e32 v[52:53], 1.0, v[50:51]
	v_add_f64_e64 v[42:43], v[38:39], -v[42:43]
	s_delay_alu instid0(VALU_DEP_2) | instskip(NEXT) | instid1(VALU_DEP_2)
	v_add_f64_e64 v[38:39], v[38:39], -v[52:53]
	v_add_f64_e32 v[42:43], v[40:41], v[42:43]
	s_delay_alu instid0(VALU_DEP_2) | instskip(NEXT) | instid1(VALU_DEP_2)
	v_add_f64_e32 v[38:39], v[40:41], v[38:39]
	v_add_f64_e32 v[46:47], v[44:45], v[42:43]
	s_delay_alu instid0(VALU_DEP_2) | instskip(NEXT) | instid1(VALU_DEP_2)
	v_add_f64_e32 v[52:53], v[50:51], v[38:39]
	v_rcp_f64_e32 v[48:49], v[46:47]
	v_add_f64_e64 v[44:45], v[44:45], -v[46:47]
	s_delay_alu instid0(VALU_DEP_2) | instskip(NEXT) | instid1(VALU_DEP_2)
	v_add_f64_e64 v[50:51], v[50:51], -v[52:53]
	v_add_f64_e32 v[42:43], v[42:43], v[44:45]
	s_delay_alu instid0(VALU_DEP_2) | instskip(NEXT) | instid1(TRANS32_DEP_1)
	v_add_f64_e32 v[38:39], v[38:39], v[50:51]
	v_fma_f64 v[54:55], -v[46:47], v[48:49], 1.0
	s_delay_alu instid0(VALU_DEP_1) | instskip(NEXT) | instid1(VALU_DEP_1)
	v_fmac_f64_e32 v[48:49], v[54:55], v[48:49]
	v_fma_f64 v[40:41], -v[46:47], v[48:49], 1.0
	s_delay_alu instid0(VALU_DEP_1) | instskip(NEXT) | instid1(VALU_DEP_1)
	v_fmac_f64_e32 v[48:49], v[40:41], v[48:49]
	v_mul_f64_e32 v[40:41], v[52:53], v[48:49]
	s_delay_alu instid0(VALU_DEP_1) | instskip(NEXT) | instid1(VALU_DEP_1)
	v_mul_f64_e32 v[54:55], v[46:47], v[40:41]
	v_fma_f64 v[44:45], v[40:41], v[46:47], -v[54:55]
	s_delay_alu instid0(VALU_DEP_1) | instskip(NEXT) | instid1(VALU_DEP_1)
	v_fmac_f64_e32 v[44:45], v[40:41], v[42:43]
	v_add_f64_e32 v[56:57], v[54:55], v[44:45]
	s_delay_alu instid0(VALU_DEP_1) | instskip(SKIP_1) | instid1(VALU_DEP_2)
	v_add_f64_e64 v[58:59], v[52:53], -v[56:57]
	v_add_f64_e64 v[50:51], v[56:57], -v[54:55]
	;; [unrolled: 1-line block ×3, first 2 shown]
	s_delay_alu instid0(VALU_DEP_2) | instskip(NEXT) | instid1(VALU_DEP_2)
	v_add_f64_e64 v[44:45], v[50:51], -v[44:45]
	v_add_f64_e64 v[52:53], v[52:53], -v[56:57]
	s_delay_alu instid0(VALU_DEP_1) | instskip(NEXT) | instid1(VALU_DEP_1)
	v_add_f64_e32 v[38:39], v[38:39], v[52:53]
	v_add_f64_e32 v[38:39], v[44:45], v[38:39]
	s_delay_alu instid0(VALU_DEP_1) | instskip(NEXT) | instid1(VALU_DEP_1)
	v_add_f64_e32 v[44:45], v[58:59], v[38:39]
	v_mul_f64_e32 v[50:51], v[48:49], v[44:45]
	v_add_f64_e64 v[56:57], v[58:59], -v[44:45]
	s_delay_alu instid0(VALU_DEP_2) | instskip(NEXT) | instid1(VALU_DEP_2)
	v_mul_f64_e32 v[52:53], v[46:47], v[50:51]
	v_add_f64_e32 v[38:39], v[38:39], v[56:57]
	s_delay_alu instid0(VALU_DEP_2) | instskip(NEXT) | instid1(VALU_DEP_1)
	v_fma_f64 v[46:47], v[50:51], v[46:47], -v[52:53]
	v_fmac_f64_e32 v[46:47], v[50:51], v[42:43]
	s_delay_alu instid0(VALU_DEP_1) | instskip(NEXT) | instid1(VALU_DEP_1)
	v_add_f64_e32 v[42:43], v[52:53], v[46:47]
	v_add_f64_e64 v[54:55], v[44:45], -v[42:43]
	v_add_f64_e64 v[52:53], v[42:43], -v[52:53]
	s_delay_alu instid0(VALU_DEP_2) | instskip(NEXT) | instid1(VALU_DEP_1)
	v_add_f64_e64 v[44:45], v[44:45], -v[54:55]
	v_add_f64_e64 v[42:43], v[44:45], -v[42:43]
	s_delay_alu instid0(VALU_DEP_3) | instskip(SKIP_1) | instid1(VALU_DEP_3)
	v_add_f64_e64 v[44:45], v[52:53], -v[46:47]
	v_max_num_f64_e64 v[46:47], |v[2:3]|, |v[2:3]|
	v_add_f64_e32 v[38:39], v[38:39], v[42:43]
	v_add_f64_e32 v[42:43], v[40:41], v[50:51]
	s_delay_alu instid0(VALU_DEP_2) | instskip(NEXT) | instid1(VALU_DEP_2)
	v_add_f64_e32 v[38:39], v[44:45], v[38:39]
	v_add_f64_e64 v[40:41], v[42:43], -v[40:41]
	v_max_num_f64_e64 v[44:45], |v[4:5]|, |v[4:5]|
	s_delay_alu instid0(VALU_DEP_3) | instskip(NEXT) | instid1(VALU_DEP_3)
	v_add_f64_e32 v[38:39], v[54:55], v[38:39]
	v_add_f64_e64 v[40:41], v[50:51], -v[40:41]
	s_delay_alu instid0(VALU_DEP_2) | instskip(NEXT) | instid1(VALU_DEP_1)
	v_mul_f64_e32 v[38:39], v[48:49], v[38:39]
	v_add_f64_e32 v[38:39], v[40:41], v[38:39]
	v_max_num_f64_e32 v[40:41], v[46:47], v[44:45]
	v_min_num_f64_e32 v[44:45], v[46:47], v[44:45]
	s_delay_alu instid0(VALU_DEP_3) | instskip(NEXT) | instid1(VALU_DEP_2)
	v_add_f64_e32 v[46:47], v[42:43], v[38:39]
	v_div_scale_f64 v[48:49], null, v[40:41], v[40:41], v[44:45]
	s_delay_alu instid0(VALU_DEP_2) | instskip(SKIP_1) | instid1(VALU_DEP_3)
	v_mul_f64_e32 v[50:51], v[46:47], v[46:47]
	v_add_f64_e64 v[42:43], v[46:47], -v[42:43]
	v_rcp_f64_e32 v[52:53], v[48:49]
	s_delay_alu instid0(VALU_DEP_2) | instskip(SKIP_1) | instid1(VALU_DEP_3)
	v_fmamk_f64 v[54:55], v[50:51], 0x3fc3ab76bf559e2b, v[22:23]
	v_mul_f64_e32 v[56:57], v[46:47], v[50:51]
	v_add_f64_e64 v[38:39], v[38:39], -v[42:43]
	s_delay_alu instid0(VALU_DEP_3) | instskip(NEXT) | instid1(TRANS32_DEP_1)
	v_fmaak_f64 v[54:55], v[50:51], v[54:55], 0x3fc7474dd7f4df2e
	v_fma_f64 v[58:59], -v[48:49], v[52:53], 1.0
	s_delay_alu instid0(VALU_DEP_2) | instskip(NEXT) | instid1(VALU_DEP_1)
	v_fmaak_f64 v[54:55], v[50:51], v[54:55], 0x3fcc71c016291751
	v_fmaak_f64 v[54:55], v[50:51], v[54:55], 0x3fd249249b27acf1
	s_delay_alu instid0(VALU_DEP_1) | instskip(SKIP_1) | instid1(VALU_DEP_2)
	v_fmaak_f64 v[54:55], v[50:51], v[54:55], 0x3fd99999998ef7b6
	v_ldexp_f64 v[38:39], v[38:39], 1
	v_fmaak_f64 v[50:51], v[50:51], v[54:55], 0x3fe5555555555780
	v_ldexp_f64 v[54:55], v[46:47], 1
	v_fmac_f64_e32 v[52:53], v[52:53], v[58:59]
	s_delay_alu instid0(VALU_DEP_3) | instskip(SKIP_2) | instid1(VALU_DEP_1)
	v_mul_f64_e32 v[50:51], v[56:57], v[50:51]
	v_cvt_f64_i32_e32 v[56:57], v1
	v_ashrrev_i32_e32 v1, 31, v3
	v_and_b32_e32 v12, 0x54442d18, v1
	v_and_b32_e32 v1, 0x400921fb, v1
	v_fma_f64 v[58:59], -v[48:49], v[52:53], 1.0
	v_add_f64_e32 v[46:47], v[54:55], v[50:51]
	v_mul_f64_e32 v[60:61], 0x3fe62e42fefa39ef, v[56:57]
	s_delay_alu instid0(VALU_DEP_3) | instskip(NEXT) | instid1(VALU_DEP_3)
	v_fmac_f64_e32 v[52:53], v[52:53], v[58:59]
	v_add_f64_e64 v[42:43], v[46:47], -v[54:55]
	v_div_scale_f64 v[54:55], vcc_lo, v[44:45], v[40:41], v[44:45]
	s_delay_alu instid0(VALU_DEP_4) | instskip(NEXT) | instid1(VALU_DEP_3)
	v_fma_f64 v[58:59], v[56:57], s[28:29], -v[60:61]
	v_add_f64_e64 v[42:43], v[50:51], -v[42:43]
	s_delay_alu instid0(VALU_DEP_3) | instskip(NEXT) | instid1(VALU_DEP_3)
	v_mul_f64_e32 v[50:51], v[54:55], v[52:53]
	v_fmac_f64_e32 v[58:59], 0x3c7abc9e3b39803f, v[56:57]
	s_delay_alu instid0(VALU_DEP_3) | instskip(NEXT) | instid1(VALU_DEP_3)
	v_add_f64_e32 v[38:39], v[38:39], v[42:43]
	v_fma_f64 v[42:43], -v[48:49], v[50:51], v[54:55]
	s_delay_alu instid0(VALU_DEP_3) | instskip(NEXT) | instid1(VALU_DEP_3)
	v_add_f64_e32 v[48:49], v[60:61], v[58:59]
	v_add_f64_e32 v[54:55], v[46:47], v[38:39]
	s_delay_alu instid0(VALU_DEP_3) | instskip(SKIP_1) | instid1(VALU_DEP_4)
	v_div_fmas_f64 v[42:43], v[42:43], v[52:53], v[50:51]
	v_cmp_gt_i32_e32 vcc_lo, 0, v3
	v_add_f64_e64 v[52:53], v[48:49], -v[60:61]
	v_cndmask_b32_e32 v14, 0x3fe921fb, v63, vcc_lo
	v_cndmask_b32_e32 v8, 0x54442d18, v62, vcc_lo
	s_delay_alu instid0(VALU_DEP_2) | instskip(SKIP_4) | instid1(VALU_DEP_4)
	v_bfi_b32 v14, 0x7fffffff, v14, v5
	v_add_f64_e32 v[50:51], v[48:49], v[54:55]
	v_div_fixup_f64 v[40:41], v[42:43], v[40:41], v[44:45]
	v_add_f64_e64 v[46:47], v[54:55], -v[46:47]
	v_add_f64_e64 v[52:53], v[58:59], -v[52:53]
	v_add_f64_e64 v[42:43], v[50:51], -v[48:49]
	s_delay_alu instid0(VALU_DEP_4) | instskip(NEXT) | instid1(VALU_DEP_4)
	v_mul_f64_e32 v[44:45], v[40:41], v[40:41]
	v_add_f64_e64 v[38:39], v[38:39], -v[46:47]
	s_delay_alu instid0(VALU_DEP_3) | instskip(NEXT) | instid1(VALU_DEP_3)
	v_add_f64_e64 v[56:57], v[50:51], -v[42:43]
	v_fmamk_f64 v[60:61], v[44:45], 0x3eeba404b5e68a13, v[24:25]
	v_add_f64_e64 v[42:43], v[54:55], -v[42:43]
	s_delay_alu instid0(VALU_DEP_4) | instskip(NEXT) | instid1(VALU_DEP_3)
	v_add_f64_e32 v[54:55], v[52:53], v[38:39]
	v_fmaak_f64 v[60:61], v[44:45], v[60:61], 0x3f4b2bb069efb384
	s_delay_alu instid0(VALU_DEP_1) | instskip(SKIP_1) | instid1(VALU_DEP_2)
	v_fmaak_f64 v[60:61], v[44:45], v[60:61], 0xbf67952daf56de9b
	v_add_f64_e64 v[46:47], v[48:49], -v[56:57]
	v_fmaak_f64 v[48:49], v[44:45], v[60:61], 0x3f7d6d43a595c56f
	s_delay_alu instid0(VALU_DEP_1) | instskip(NEXT) | instid1(VALU_DEP_1)
	v_fmaak_f64 v[48:49], v[44:45], v[48:49], 0xbf8c6ea4a57d9582
	v_fmaak_f64 v[48:49], v[44:45], v[48:49], 0x3f967e295f08b19f
	s_delay_alu instid0(VALU_DEP_1) | instskip(NEXT) | instid1(VALU_DEP_1)
	v_fmaak_f64 v[48:49], v[44:45], v[48:49], 0xbf9e9ae6fc27006a
	v_fmaak_f64 v[48:49], v[44:45], v[48:49], 0x3fa2c15b5711927a
	v_add_f64_e32 v[42:43], v[42:43], v[46:47]
	s_delay_alu instid0(VALU_DEP_2) | instskip(SKIP_1) | instid1(VALU_DEP_2)
	v_fmaak_f64 v[46:47], v[44:45], v[48:49], 0xbfa59976e82d3ff0
	v_add_f64_e64 v[48:49], v[54:55], -v[52:53]
	v_fmaak_f64 v[46:47], v[44:45], v[46:47], 0x3fa82d5d6ef28734
	s_delay_alu instid0(VALU_DEP_1) | instskip(NEXT) | instid1(VALU_DEP_1)
	v_fmaak_f64 v[46:47], v[44:45], v[46:47], 0xbfaae5ce6a214619
	v_fmaak_f64 v[46:47], v[44:45], v[46:47], 0x3fae1bb48427b883
	s_delay_alu instid0(VALU_DEP_1) | instskip(SKIP_3) | instid1(VALU_DEP_4)
	v_fmaak_f64 v[46:47], v[44:45], v[46:47], 0xbfb110e48b207f05
	v_add_f64_e32 v[42:43], v[54:55], v[42:43]
	v_add_f64_e64 v[54:55], v[54:55], -v[48:49]
	v_add_f64_e64 v[38:39], v[38:39], -v[48:49]
	v_fmaak_f64 v[46:47], v[44:45], v[46:47], 0x3fb3b13657b87036
	s_delay_alu instid0(VALU_DEP_1) | instskip(NEXT) | instid1(VALU_DEP_1)
	v_fmaak_f64 v[46:47], v[44:45], v[46:47], 0xbfb745d119378e4f
	v_fmaak_f64 v[46:47], v[44:45], v[46:47], 0x3fbc71c717e1913c
	s_delay_alu instid0(VALU_DEP_1) | instskip(SKIP_1) | instid1(VALU_DEP_2)
	v_fmaak_f64 v[46:47], v[44:45], v[46:47], 0xbfc2492492376b7d
	v_add_f64_e32 v[56:57], v[50:51], v[42:43]
	v_fmaak_f64 v[46:47], v[44:45], v[46:47], 0x3fc99999999952cc
	s_delay_alu instid0(VALU_DEP_1) | instskip(NEXT) | instid1(VALU_DEP_1)
	v_fmaak_f64 v[46:47], v[44:45], v[46:47], 0xbfd5555555555523
	v_mul_f64_e32 v[44:45], v[44:45], v[46:47]
	v_add_f64_e64 v[46:47], v[52:53], -v[54:55]
	v_add_f64_e64 v[48:49], v[56:57], -v[50:51]
	s_delay_alu instid0(VALU_DEP_3) | instskip(NEXT) | instid1(VALU_DEP_3)
	v_fmac_f64_e32 v[40:41], v[40:41], v[44:45]
	v_add_f64_e32 v[38:39], v[38:39], v[46:47]
	s_delay_alu instid0(VALU_DEP_3) | instskip(NEXT) | instid1(VALU_DEP_3)
	v_add_f64_e64 v[42:43], v[42:43], -v[48:49]
	v_add_f64_e64 v[44:45], -v[40:41], s[30:31]
	s_delay_alu instid0(VALU_DEP_1) | instskip(NEXT) | instid1(VALU_DEP_2)
	v_dual_add_f64 v[38:39], v[38:39], v[42:43] :: v_dual_cndmask_b32 v41, v41, v45, s2
	v_cndmask_b32_e64 v40, v40, v44, s2
	s_delay_alu instid0(VALU_DEP_1) | instskip(NEXT) | instid1(VALU_DEP_3)
	v_add_f64_e64 v[42:43], -v[40:41], s[34:35]
	v_add_f64_e32 v[38:39], v[56:57], v[38:39]
	s_delay_alu instid0(VALU_DEP_2) | instskip(SKIP_1) | instid1(VALU_DEP_1)
	v_dual_cndmask_b32 v16, v40, v42 :: v_dual_cndmask_b32 v15, v41, v43
	s_and_b32 vcc_lo, s8, s7
                                        ; implicit-def: $vgpr42_vgpr43
	v_dual_cndmask_b32 v12, v16, v12, s3 :: v_dual_cndmask_b32 v1, v15, v1, s3
	s_delay_alu instid0(VALU_DEP_3) | instskip(NEXT) | instid1(VALU_DEP_2)
	v_mul_f64_e32 v[44:45], 0.5, v[38:39]
	v_dual_cndmask_b32 v39, v1, v14 :: v_dual_cndmask_b32 v38, v12, v8
	s_delay_alu instid0(VALU_DEP_2) | instskip(NEXT) | instid1(VALU_DEP_3)
	v_cndmask_b32_e64 v15, 0x7ff00000, v45, s4
	v_cndmask_b32_e64 v14, 0, v44, s4
.LBB179_128:                            ;   in Loop: Header=BB179_5 Depth=1
	s_and_not1_saveexec_b32 s4, s6
	s_cbranch_execz .LBB179_130
; %bb.129:                              ;   in Loop: Header=BB179_5 Depth=1
	v_max_num_f64_e64 v[14:15], |v[4:5]|, |v[4:5]|
	v_max_num_f64_e64 v[38:39], |v[2:3]|, |v[2:3]|
	v_ashrrev_i32_e32 v1, 31, v3
	v_cmp_eq_f64_e64 s3, 0, v[4:5]
	v_cmp_class_f64_e64 s6, v[4:5], 0x204
	v_cmp_class_f64_e64 s7, v[2:3], 0x204
	s_delay_alu instid0(VALU_DEP_4) | instskip(SKIP_2) | instid1(VALU_DEP_1)
	v_and_b32_e32 v12, 0x54442d18, v1
	v_max_num_f64_e32 v[40:41], v[38:39], v[14:15]
	v_min_num_f64_e32 v[14:15], v[38:39], v[14:15]
	v_div_scale_f64 v[38:39], null, v[40:41], v[40:41], v[14:15]
	v_div_scale_f64 v[48:49], vcc_lo, v[14:15], v[40:41], v[14:15]
	s_delay_alu instid0(VALU_DEP_2) | instskip(SKIP_1) | instid1(TRANS32_DEP_1)
	v_rcp_f64_e32 v[44:45], v[38:39]
	v_nop
	v_fma_f64 v[46:47], -v[38:39], v[44:45], 1.0
	s_delay_alu instid0(VALU_DEP_1) | instskip(NEXT) | instid1(VALU_DEP_1)
	v_fmac_f64_e32 v[44:45], v[44:45], v[46:47]
	v_fma_f64 v[46:47], -v[38:39], v[44:45], 1.0
	s_delay_alu instid0(VALU_DEP_1) | instskip(NEXT) | instid1(VALU_DEP_1)
	v_fmac_f64_e32 v[44:45], v[44:45], v[46:47]
	v_mul_f64_e32 v[46:47], v[48:49], v[44:45]
	s_delay_alu instid0(VALU_DEP_1) | instskip(NEXT) | instid1(VALU_DEP_1)
	v_fma_f64 v[38:39], -v[38:39], v[46:47], v[48:49]
	v_div_fmas_f64 v[38:39], v[38:39], v[44:45], v[46:47]
	v_cmp_gt_i32_e32 vcc_lo, 0, v3
	v_cndmask_b32_e32 v8, 0x54442d18, v62, vcc_lo
	v_cndmask_b32_e32 v21, 0x3fe921fb, v63, vcc_lo
	v_and_b32_e32 v1, 0x400921fb, v1
	s_delay_alu instid0(VALU_DEP_2) | instskip(SKIP_1) | instid1(VALU_DEP_1)
	v_bfi_b32 v21, 0x7fffffff, v21, v5
	v_div_fixup_f64 v[14:15], v[38:39], v[40:41], v[14:15]
	v_mul_f64_e32 v[38:39], v[14:15], v[14:15]
	s_delay_alu instid0(VALU_DEP_1) | instskip(NEXT) | instid1(VALU_DEP_1)
	v_fmamk_f64 v[40:41], v[38:39], 0x3eeba404b5e68a13, v[24:25]
	v_fmaak_f64 v[40:41], v[38:39], v[40:41], 0x3f4b2bb069efb384
	s_delay_alu instid0(VALU_DEP_1) | instskip(NEXT) | instid1(VALU_DEP_1)
	v_fmaak_f64 v[40:41], v[38:39], v[40:41], 0xbf67952daf56de9b
	v_fmaak_f64 v[40:41], v[38:39], v[40:41], 0x3f7d6d43a595c56f
	s_delay_alu instid0(VALU_DEP_1) | instskip(NEXT) | instid1(VALU_DEP_1)
	v_fmaak_f64 v[40:41], v[38:39], v[40:41], 0xbf8c6ea4a57d9582
	;; [unrolled: 3-line block ×9, first 2 shown]
	v_mul_f64_e32 v[38:39], v[38:39], v[40:41]
	s_delay_alu instid0(VALU_DEP_1) | instskip(NEXT) | instid1(VALU_DEP_1)
	v_fmac_f64_e32 v[14:15], v[14:15], v[38:39]
	v_add_f64_e64 v[38:39], -v[14:15], s[30:31]
	s_delay_alu instid0(VALU_DEP_1) | instskip(NEXT) | instid1(VALU_DEP_1)
	v_dual_cndmask_b32 v39, v15, v39, s2 :: v_dual_cndmask_b32 v38, v14, v38, s2
	v_add_f64_e64 v[40:41], -v[38:39], s[34:35]
	s_delay_alu instid0(VALU_DEP_1) | instskip(NEXT) | instid1(VALU_DEP_2)
	v_dual_mul_f64 v[14:15], 0.5, v[42:43] :: v_dual_cndmask_b32 v16, v38, v40, vcc_lo
	v_cndmask_b32_e32 v38, v39, v41, vcc_lo
	s_and_b32 vcc_lo, s7, s6
	s_delay_alu instid0(VALU_DEP_2) | instskip(NEXT) | instid1(VALU_DEP_1)
	v_dual_mul_f64 v[14:15], v[42:43], v[14:15] :: v_dual_cndmask_b32 v12, v16, v12, s3
	v_dual_cndmask_b32 v1, v38, v1, s3 :: v_dual_cndmask_b32 v38, v12, v8, vcc_lo
	s_delay_alu instid0(VALU_DEP_1)
	v_cndmask_b32_e32 v39, v1, v21, vcc_lo
.LBB179_130:                            ;   in Loop: Header=BB179_5 Depth=1
	s_or_b32 exec_lo, exec_lo, s4
.LBB179_131:                            ;   in Loop: Header=BB179_5 Depth=1
	s_delay_alu instid0(SALU_CYCLE_1)
	s_or_b32 exec_lo, exec_lo, s5
.LBB179_132:                            ;   in Loop: Header=BB179_5 Depth=1
	s_and_not1_saveexec_b32 s4, s47
	s_cbranch_execz .LBB179_134
; %bb.133:                              ;   in Loop: Header=BB179_5 Depth=1
	v_div_scale_f64 v[14:15], null, s[40:41], s[40:41], v[2:3]
	v_div_scale_f64 v[38:39], null, s[40:41], s[40:41], v[4:5]
	v_div_scale_f64 v[48:49], vcc_lo, v[2:3], s[40:41], v[2:3]
	s_delay_alu instid0(VALU_DEP_3) | instskip(NEXT) | instid1(VALU_DEP_2)
	v_rcp_f64_e32 v[40:41], v[14:15]
	v_rcp_f64_e32 v[42:43], v[38:39]
	s_delay_alu instid0(TRANS32_DEP_2) | instskip(NEXT) | instid1(TRANS32_DEP_1)
	v_fma_f64 v[44:45], -v[14:15], v[40:41], 1.0
	v_fma_f64 v[46:47], -v[38:39], v[42:43], 1.0
	s_delay_alu instid0(VALU_DEP_2) | instskip(NEXT) | instid1(VALU_DEP_2)
	v_fmac_f64_e32 v[40:41], v[40:41], v[44:45]
	v_fmac_f64_e32 v[42:43], v[42:43], v[46:47]
	s_delay_alu instid0(VALU_DEP_2) | instskip(NEXT) | instid1(VALU_DEP_2)
	v_fma_f64 v[44:45], -v[14:15], v[40:41], 1.0
	v_fma_f64 v[46:47], -v[38:39], v[42:43], 1.0
	s_delay_alu instid0(VALU_DEP_2) | instskip(SKIP_1) | instid1(VALU_DEP_3)
	v_fmac_f64_e32 v[40:41], v[40:41], v[44:45]
	v_div_scale_f64 v[44:45], s3, v[4:5], s[40:41], v[4:5]
	v_fmac_f64_e32 v[42:43], v[42:43], v[46:47]
	s_delay_alu instid0(VALU_DEP_3) | instskip(NEXT) | instid1(VALU_DEP_2)
	v_mul_f64_e32 v[46:47], v[48:49], v[40:41]
	v_mul_f64_e32 v[50:51], v[44:45], v[42:43]
	s_delay_alu instid0(VALU_DEP_2) | instskip(NEXT) | instid1(VALU_DEP_2)
	v_fma_f64 v[14:15], -v[14:15], v[46:47], v[48:49]
	v_fma_f64 v[38:39], -v[38:39], v[50:51], v[44:45]
	s_delay_alu instid0(VALU_DEP_2) | instskip(SKIP_1) | instid1(VALU_DEP_2)
	v_div_fmas_f64 v[14:15], v[14:15], v[40:41], v[46:47]
	s_mov_b32 vcc_lo, s3
	v_div_fmas_f64 v[38:39], v[38:39], v[42:43], v[50:51]
	s_delay_alu instid0(VALU_DEP_2) | instskip(NEXT) | instid1(VALU_DEP_2)
	v_div_fixup_f64 v[14:15], v[14:15], s[40:41], v[2:3]
	v_div_fixup_f64 v[38:39], v[38:39], s[40:41], v[4:5]
	s_delay_alu instid0(VALU_DEP_2) | instskip(NEXT) | instid1(VALU_DEP_2)
	v_cmp_class_f64_e64 s3, v[14:15], 0x204
	v_max_num_f64_e64 v[40:41], |v[14:15]|, |v[38:39]|
	v_cmp_class_f64_e64 s5, v[38:39], 0x204
	s_delay_alu instid0(VALU_DEP_2) | instskip(SKIP_2) | instid1(VALU_DEP_2)
	v_frexp_exp_i32_f64_e32 v1, v[40:41]
	s_or_b32 s3, s3, s5
	v_cmp_class_f64_e64 s5, v[2:3], 0x204
	v_sub_nc_u32_e32 v8, 0, v1
	s_delay_alu instid0(VALU_DEP_1) | instskip(SKIP_1) | instid1(VALU_DEP_2)
	v_ldexp_f64 v[40:41], |v[38:39]|, v8
	v_ldexp_f64 v[42:43], |v[14:15]|, v8
	v_mul_f64_e32 v[40:41], v[40:41], v[40:41]
	s_delay_alu instid0(VALU_DEP_1) | instskip(NEXT) | instid1(VALU_DEP_1)
	v_fmac_f64_e32 v[40:41], v[42:43], v[42:43]
	v_rsq_f64_e32 v[42:43], v[40:41]
	v_cmp_eq_f64_e32 vcc_lo, 0, v[40:41]
	s_delay_alu instid0(TRANS32_DEP_1) | instskip(SKIP_1) | instid1(VALU_DEP_1)
	v_mul_f64_e32 v[44:45], v[40:41], v[42:43]
	v_mul_f64_e32 v[42:43], 0.5, v[42:43]
	v_fma_f64 v[46:47], -v[42:43], v[44:45], 0.5
	s_delay_alu instid0(VALU_DEP_1) | instskip(SKIP_1) | instid1(VALU_DEP_2)
	v_fmac_f64_e32 v[44:45], v[44:45], v[46:47]
	v_fmac_f64_e32 v[42:43], v[42:43], v[46:47]
	v_fma_f64 v[46:47], -v[44:45], v[44:45], v[40:41]
	s_delay_alu instid0(VALU_DEP_1) | instskip(NEXT) | instid1(VALU_DEP_1)
	v_fmac_f64_e32 v[44:45], v[46:47], v[42:43]
	v_dual_cndmask_b32 v41, v45, v41 :: v_dual_cndmask_b32 v40, v44, v40
	v_cmp_o_f64_e32 vcc_lo, v[14:15], v[38:39]
	s_delay_alu instid0(VALU_DEP_2) | instskip(NEXT) | instid1(VALU_DEP_1)
	v_ldexp_f64 v[40:41], v[40:41], v1
	v_cndmask_b32_e32 v1, 0, v40, vcc_lo
	s_delay_alu instid0(VALU_DEP_2) | instskip(NEXT) | instid1(VALU_DEP_2)
	v_cndmask_b32_e32 v8, 0x7ff80000, v41, vcc_lo
	v_cndmask_b32_e64 v40, v1, 0, s3
	s_delay_alu instid0(VALU_DEP_2) | instskip(SKIP_1) | instid1(VALU_DEP_2)
	v_cndmask_b32_e64 v41, v8, 0x7ff00000, s3
	v_cmp_class_f64_e64 s3, v[4:5], 0x204
	v_frexp_mant_f64_e32 v[14:15], v[40:41]
	s_delay_alu instid0(VALU_DEP_1) | instskip(SKIP_1) | instid1(VALU_DEP_1)
	v_cmp_gt_f64_e32 vcc_lo, s[26:27], v[14:15]
	v_cndmask_b32_e64 v1, 0, 1, vcc_lo
	v_ldexp_f64 v[14:15], v[14:15], v1
	v_frexp_exp_i32_f64_e32 v1, v[40:41]
	s_delay_alu instid0(VALU_DEP_2) | instskip(SKIP_1) | instid1(VALU_DEP_3)
	v_add_f64_e32 v[38:39], 1.0, v[14:15]
	v_add_f64_e32 v[46:47], -1.0, v[14:15]
	v_subrev_co_ci_u32_e64 v1, null, 0, v1, vcc_lo
	s_delay_alu instid0(VALU_DEP_3) | instskip(SKIP_1) | instid1(VALU_DEP_1)
	v_rcp_f64_e32 v[42:43], v[38:39]
	v_add_f64_e32 v[48:49], -1.0, v[38:39]
	v_add_f64_e64 v[14:15], v[14:15], -v[48:49]
	s_delay_alu instid0(TRANS32_DEP_1) | instskip(NEXT) | instid1(VALU_DEP_1)
	v_fma_f64 v[44:45], -v[38:39], v[42:43], 1.0
	v_fmac_f64_e32 v[42:43], v[44:45], v[42:43]
	s_delay_alu instid0(VALU_DEP_1) | instskip(NEXT) | instid1(VALU_DEP_1)
	v_fma_f64 v[44:45], -v[38:39], v[42:43], 1.0
	v_fmac_f64_e32 v[42:43], v[44:45], v[42:43]
	s_delay_alu instid0(VALU_DEP_1) | instskip(NEXT) | instid1(VALU_DEP_1)
	v_mul_f64_e32 v[44:45], v[46:47], v[42:43]
	v_mul_f64_e32 v[50:51], v[38:39], v[44:45]
	s_delay_alu instid0(VALU_DEP_1) | instskip(NEXT) | instid1(VALU_DEP_1)
	v_fma_f64 v[38:39], v[44:45], v[38:39], -v[50:51]
	v_fmac_f64_e32 v[38:39], v[44:45], v[14:15]
	s_delay_alu instid0(VALU_DEP_1) | instskip(NEXT) | instid1(VALU_DEP_1)
	v_add_f64_e32 v[14:15], v[50:51], v[38:39]
	v_add_f64_e64 v[48:49], v[46:47], -v[14:15]
	v_add_f64_e64 v[50:51], v[14:15], -v[50:51]
	s_delay_alu instid0(VALU_DEP_2) | instskip(NEXT) | instid1(VALU_DEP_2)
	v_add_f64_e64 v[46:47], v[46:47], -v[48:49]
	v_add_f64_e64 v[38:39], v[50:51], -v[38:39]
	s_delay_alu instid0(VALU_DEP_2) | instskip(SKIP_1) | instid1(VALU_DEP_2)
	v_add_f64_e64 v[14:15], v[46:47], -v[14:15]
	v_max_num_f64_e64 v[46:47], |v[2:3]|, |v[2:3]|
	v_add_f64_e32 v[14:15], v[38:39], v[14:15]
	v_max_num_f64_e64 v[38:39], |v[4:5]|, |v[4:5]|
	s_delay_alu instid0(VALU_DEP_2) | instskip(NEXT) | instid1(VALU_DEP_1)
	v_add_f64_e32 v[14:15], v[48:49], v[14:15]
	v_mul_f64_e32 v[14:15], v[42:43], v[14:15]
	s_delay_alu instid0(VALU_DEP_3) | instskip(SKIP_1) | instid1(VALU_DEP_3)
	v_max_num_f64_e32 v[42:43], v[46:47], v[38:39]
	v_min_num_f64_e32 v[38:39], v[46:47], v[38:39]
	v_add_f64_e32 v[46:47], v[44:45], v[14:15]
	s_delay_alu instid0(VALU_DEP_2) | instskip(NEXT) | instid1(VALU_DEP_2)
	v_div_scale_f64 v[48:49], null, v[42:43], v[42:43], v[38:39]
	v_mul_f64_e32 v[50:51], v[46:47], v[46:47]
	v_add_f64_e64 v[44:45], v[46:47], -v[44:45]
	s_delay_alu instid0(VALU_DEP_3) | instskip(NEXT) | instid1(VALU_DEP_2)
	v_rcp_f64_e32 v[52:53], v[48:49]
	v_fmamk_f64 v[54:55], v[50:51], 0x3fc3ab76bf559e2b, v[22:23]
	v_mul_f64_e32 v[56:57], v[46:47], v[50:51]
	s_delay_alu instid0(VALU_DEP_3) | instskip(NEXT) | instid1(VALU_DEP_3)
	v_add_f64_e64 v[14:15], v[14:15], -v[44:45]
	v_fmaak_f64 v[54:55], v[50:51], v[54:55], 0x3fc7474dd7f4df2e
	s_delay_alu instid0(TRANS32_DEP_1) | instskip(NEXT) | instid1(VALU_DEP_2)
	v_fma_f64 v[58:59], -v[48:49], v[52:53], 1.0
	v_fmaak_f64 v[54:55], v[50:51], v[54:55], 0x3fcc71c016291751
	s_delay_alu instid0(VALU_DEP_1) | instskip(NEXT) | instid1(VALU_DEP_1)
	v_fmaak_f64 v[54:55], v[50:51], v[54:55], 0x3fd249249b27acf1
	v_fmaak_f64 v[54:55], v[50:51], v[54:55], 0x3fd99999998ef7b6
	v_ldexp_f64 v[14:15], v[14:15], 1
	s_delay_alu instid0(VALU_DEP_2) | instskip(SKIP_2) | instid1(VALU_DEP_3)
	v_fmaak_f64 v[50:51], v[50:51], v[54:55], 0x3fe5555555555780
	v_ldexp_f64 v[54:55], v[46:47], 1
	v_fmac_f64_e32 v[52:53], v[52:53], v[58:59]
	v_mul_f64_e32 v[50:51], v[56:57], v[50:51]
	v_cvt_f64_i32_e32 v[56:57], v1
	v_ashrrev_i32_e32 v1, 31, v3
	s_delay_alu instid0(VALU_DEP_1) | instskip(SKIP_4) | instid1(VALU_DEP_3)
	v_and_b32_e32 v12, 0x54442d18, v1
	v_and_b32_e32 v1, 0x400921fb, v1
	v_fma_f64 v[58:59], -v[48:49], v[52:53], 1.0
	v_add_f64_e32 v[46:47], v[54:55], v[50:51]
	v_mul_f64_e32 v[60:61], 0x3fe62e42fefa39ef, v[56:57]
	v_fmac_f64_e32 v[52:53], v[52:53], v[58:59]
	s_delay_alu instid0(VALU_DEP_3) | instskip(SKIP_1) | instid1(VALU_DEP_4)
	v_add_f64_e64 v[44:45], v[46:47], -v[54:55]
	v_div_scale_f64 v[54:55], vcc_lo, v[38:39], v[42:43], v[38:39]
	v_fma_f64 v[58:59], v[56:57], s[28:29], -v[60:61]
	s_delay_alu instid0(VALU_DEP_3) | instskip(NEXT) | instid1(VALU_DEP_3)
	v_add_f64_e64 v[44:45], v[50:51], -v[44:45]
	v_mul_f64_e32 v[50:51], v[54:55], v[52:53]
	s_delay_alu instid0(VALU_DEP_3) | instskip(NEXT) | instid1(VALU_DEP_3)
	v_fmac_f64_e32 v[58:59], 0x3c7abc9e3b39803f, v[56:57]
	v_add_f64_e32 v[14:15], v[14:15], v[44:45]
	s_delay_alu instid0(VALU_DEP_3) | instskip(NEXT) | instid1(VALU_DEP_3)
	v_fma_f64 v[44:45], -v[48:49], v[50:51], v[54:55]
	v_add_f64_e32 v[48:49], v[60:61], v[58:59]
	s_delay_alu instid0(VALU_DEP_3) | instskip(NEXT) | instid1(VALU_DEP_3)
	v_add_f64_e32 v[54:55], v[46:47], v[14:15]
	v_div_fmas_f64 v[44:45], v[44:45], v[52:53], v[50:51]
	v_cmp_class_f64_e64 vcc_lo, v[40:41], 0x204
	s_delay_alu instid0(VALU_DEP_4) | instskip(NEXT) | instid1(VALU_DEP_4)
	v_add_f64_e64 v[52:53], v[48:49], -v[60:61]
	v_add_f64_e32 v[50:51], v[48:49], v[54:55]
	s_delay_alu instid0(VALU_DEP_4) | instskip(SKIP_1) | instid1(VALU_DEP_4)
	v_div_fixup_f64 v[38:39], v[44:45], v[42:43], v[38:39]
	v_add_f64_e64 v[46:47], v[54:55], -v[46:47]
	v_add_f64_e64 v[52:53], v[58:59], -v[52:53]
	s_delay_alu instid0(VALU_DEP_4) | instskip(NEXT) | instid1(VALU_DEP_4)
	v_add_f64_e64 v[42:43], v[50:51], -v[48:49]
	v_mul_f64_e32 v[44:45], v[38:39], v[38:39]
	s_delay_alu instid0(VALU_DEP_4) | instskip(NEXT) | instid1(VALU_DEP_3)
	v_add_f64_e64 v[14:15], v[14:15], -v[46:47]
	v_add_f64_e64 v[56:57], v[50:51], -v[42:43]
	s_delay_alu instid0(VALU_DEP_3) | instskip(SKIP_1) | instid1(VALU_DEP_4)
	v_fmamk_f64 v[60:61], v[44:45], 0x3eeba404b5e68a13, v[24:25]
	v_add_f64_e64 v[42:43], v[54:55], -v[42:43]
	v_add_f64_e32 v[54:55], v[52:53], v[14:15]
	s_delay_alu instid0(VALU_DEP_3) | instskip(SKIP_1) | instid1(VALU_DEP_2)
	v_fmaak_f64 v[60:61], v[44:45], v[60:61], 0x3f4b2bb069efb384
	v_add_f64_e64 v[46:47], v[48:49], -v[56:57]
	v_fmaak_f64 v[48:49], v[44:45], v[60:61], 0xbf67952daf56de9b
	s_delay_alu instid0(VALU_DEP_1) | instskip(NEXT) | instid1(VALU_DEP_1)
	v_fmaak_f64 v[48:49], v[44:45], v[48:49], 0x3f7d6d43a595c56f
	v_fmaak_f64 v[48:49], v[44:45], v[48:49], 0xbf8c6ea4a57d9582
	s_delay_alu instid0(VALU_DEP_1) | instskip(SKIP_1) | instid1(VALU_DEP_2)
	v_fmaak_f64 v[48:49], v[44:45], v[48:49], 0x3f967e295f08b19f
	v_add_f64_e32 v[42:43], v[42:43], v[46:47]
	v_fmaak_f64 v[46:47], v[44:45], v[48:49], 0xbf9e9ae6fc27006a
	v_add_f64_e64 v[48:49], v[54:55], -v[52:53]
	s_delay_alu instid0(VALU_DEP_2) | instskip(NEXT) | instid1(VALU_DEP_1)
	v_fmaak_f64 v[46:47], v[44:45], v[46:47], 0x3fa2c15b5711927a
	v_fmaak_f64 v[46:47], v[44:45], v[46:47], 0xbfa59976e82d3ff0
	s_delay_alu instid0(VALU_DEP_1) | instskip(NEXT) | instid1(VALU_DEP_1)
	v_fmaak_f64 v[46:47], v[44:45], v[46:47], 0x3fa82d5d6ef28734
	v_fmaak_f64 v[46:47], v[44:45], v[46:47], 0xbfaae5ce6a214619
	v_add_f64_e32 v[42:43], v[54:55], v[42:43]
	v_add_f64_e64 v[54:55], v[54:55], -v[48:49]
	v_add_f64_e64 v[14:15], v[14:15], -v[48:49]
	s_delay_alu instid0(VALU_DEP_4) | instskip(NEXT) | instid1(VALU_DEP_1)
	v_fmaak_f64 v[46:47], v[44:45], v[46:47], 0x3fae1bb48427b883
	v_fmaak_f64 v[46:47], v[44:45], v[46:47], 0xbfb110e48b207f05
	s_delay_alu instid0(VALU_DEP_1) | instskip(NEXT) | instid1(VALU_DEP_1)
	v_fmaak_f64 v[46:47], v[44:45], v[46:47], 0x3fb3b13657b87036
	v_fmaak_f64 v[46:47], v[44:45], v[46:47], 0xbfb745d119378e4f
	s_delay_alu instid0(VALU_DEP_1) | instskip(SKIP_1) | instid1(VALU_DEP_2)
	v_fmaak_f64 v[46:47], v[44:45], v[46:47], 0x3fbc71c717e1913c
	v_add_f64_e32 v[56:57], v[50:51], v[42:43]
	v_fmaak_f64 v[46:47], v[44:45], v[46:47], 0xbfc2492492376b7d
	s_delay_alu instid0(VALU_DEP_1) | instskip(NEXT) | instid1(VALU_DEP_1)
	v_fmaak_f64 v[46:47], v[44:45], v[46:47], 0x3fc99999999952cc
	v_fmaak_f64 v[46:47], v[44:45], v[46:47], 0xbfd5555555555523
	s_delay_alu instid0(VALU_DEP_1) | instskip(SKIP_2) | instid1(VALU_DEP_3)
	v_mul_f64_e32 v[44:45], v[44:45], v[46:47]
	v_add_f64_e64 v[46:47], v[52:53], -v[54:55]
	v_add_f64_e64 v[48:49], v[56:57], -v[50:51]
	v_fmac_f64_e32 v[38:39], v[38:39], v[44:45]
	s_delay_alu instid0(VALU_DEP_3) | instskip(NEXT) | instid1(VALU_DEP_3)
	v_add_f64_e32 v[14:15], v[14:15], v[46:47]
	v_add_f64_e64 v[42:43], v[42:43], -v[48:49]
	s_delay_alu instid0(VALU_DEP_3) | instskip(NEXT) | instid1(VALU_DEP_2)
	v_add_f64_e64 v[44:45], -v[38:39], s[30:31]
	v_add_f64_e32 v[14:15], v[14:15], v[42:43]
	s_delay_alu instid0(VALU_DEP_2) | instskip(SKIP_1) | instid1(VALU_DEP_3)
	v_dual_cndmask_b32 v39, v39, v45, s2 :: v_dual_cndmask_b32 v38, v38, v44, s2
	v_cmp_gt_i32_e64 s2, 0, v3
	v_add_f64_e32 v[14:15], v[56:57], v[14:15]
	s_delay_alu instid0(VALU_DEP_3) | instskip(NEXT) | instid1(VALU_DEP_3)
	v_add_f64_e64 v[42:43], -v[38:39], s[34:35]
	v_cndmask_b32_e64 v8, 0x54442d18, v62, s2
	v_cndmask_b32_e64 v21, 0x3fe921fb, v63, s2
	s_delay_alu instid0(VALU_DEP_1) | instskip(SKIP_4) | instid1(VALU_DEP_2)
	v_bfi_b32 v21, 0x7fffffff, v21, v5
	v_dual_cndmask_b32 v15, v15, v41 :: v_dual_cndmask_b32 v14, v14, v40
	v_cmp_eq_f64_e32 vcc_lo, 0, v[4:5]
	v_dual_cndmask_b32 v16, v38, v42, s2 :: v_dual_cndmask_b32 v38, v39, v43, s2
	v_cmp_nge_f64_e64 s2, 0, v[40:41]
	v_dual_add_f64 v[14:15], 1.0, v[14:15] :: v_dual_cndmask_b32 v12, v16, v12, vcc_lo
	s_delay_alu instid0(VALU_DEP_3) | instskip(SKIP_1) | instid1(VALU_DEP_3)
	v_cndmask_b32_e32 v1, v38, v1, vcc_lo
	v_cmp_ngt_f64_e32 vcc_lo, 0, v[40:41]
	v_cndmask_b32_e64 v14, 0, v14, s2
	v_cmp_neq_f64_e64 s2, 0, v[40:41]
	v_cndmask_b32_e32 v15, 0x7ff80000, v15, vcc_lo
	s_and_b32 vcc_lo, s5, s3
	v_dual_cndmask_b32 v39, v1, v21 :: v_dual_cndmask_b32 v38, v12, v8
	s_delay_alu instid0(VALU_DEP_2)
	v_cndmask_b32_e64 v15, 0xfff00000, v15, s2
.LBB179_134:                            ;   in Loop: Header=BB179_5 Depth=1
	s_or_b32 exec_lo, exec_lo, s4
.LBB179_135:                            ;   in Loop: Header=BB179_5 Depth=1
	s_and_not1_saveexec_b32 s2, s46
	s_cbranch_execz .LBB179_4
; %bb.136:                              ;   in Loop: Header=BB179_5 Depth=1
	v_cmp_ngt_f64_e64 s3, 0x20000000, |v[2:3]|
	v_cmp_ngt_f64_e64 s4, 0x20000000, |v[4:5]|
                                        ; implicit-def: $vgpr40_vgpr41
	s_or_b32 s3, s3, s4
	s_delay_alu instid0(SALU_CYCLE_1) | instskip(NEXT) | instid1(SALU_CYCLE_1)
	s_and_saveexec_b32 s4, s3
	s_xor_b32 s3, exec_lo, s4
	s_cbranch_execz .LBB179_138
; %bb.137:                              ;   in Loop: Header=BB179_5 Depth=1
	v_mul_f64_e32 v[40:41], v[4:5], v[4:5]
	s_delay_alu instid0(VALU_DEP_1)
	v_fmac_f64_e32 v[40:41], v[2:3], v[2:3]
.LBB179_138:                            ;   in Loop: Header=BB179_5 Depth=1
	s_and_not1_saveexec_b32 s3, s3
	s_cbranch_execz .LBB179_3
; %bb.139:                              ;   in Loop: Header=BB179_5 Depth=1
	v_mul_f64_e32 v[14:15], 4.0, v[4:5]
	v_mul_f64_e32 v[2:3], 4.0, v[2:3]
	s_delay_alu instid0(VALU_DEP_2) | instskip(NEXT) | instid1(VALU_DEP_1)
	v_mul_f64_e32 v[14:15], v[14:15], v[14:15]
	v_fmac_f64_e32 v[14:15], v[2:3], v[2:3]
	s_delay_alu instid0(VALU_DEP_1)
	v_ldexp_f64 v[40:41], v[14:15], -4
	s_branch .LBB179_3
.LBB179_140:
	s_or_b32 exec_lo, exec_lo, s13
	s_mov_b32 s2, 0
.LBB179_141:
	s_delay_alu instid0(SALU_CYCLE_1)
	s_and_not1_b32 vcc_lo, exec_lo, s2
	s_cbranch_vccnz .LBB179_297
; %bb.142:
	v_cmp_lt_i64_e64 s2, s[14:15], 1
	s_and_b32 vcc_lo, exec_lo, s2
	s_cbranch_vccnz .LBB179_297
; %bb.143:
	v_min_i64 v[18:19], 0x10000, s[14:15]
	v_min_u64 v[22:23], 0x10000, s[14:15]
	s_load_b32 s0, s[0:1], 0xc5c
	v_dual_mov_b32 v20, 0 :: v_dual_mov_b32 v69, 0x4002d97c
	v_mov_b64_e32 v[24:25], 0x3fc385386b47b09a
	v_mov_b64_e32 v[26:27], 0xbf23e260bd3237f4
	s_delay_alu instid0(VALU_DEP_3)
	v_dual_mov_b32 v68, 0x7f3321d2 :: v_dual_mov_b32 v1, v20
	s_mov_b32 s21, 0
	s_mov_b64 s[22:23], 0x7fd1ccf385ebc8a0
	s_mov_b64 s[24:25], 0x358dee7a4ad4b81f
	;; [unrolled: 1-line block ×5, first 2 shown]
	s_mov_b32 s35, s21
	s_mov_b32 s37, s21
	s_mov_b64 s[38:39], 0x3ff921fb54442d18
	s_mov_b64 s[40:41], 0x400921fb54442d18
	;; [unrolled: 1-line block ×5, first 2 shown]
	s_wait_kmcnt 0x0
	s_and_b32 s20, s0, 0xffff
	s_mov_b64 s[48:49], 0x40026bb1bbb55516
	s_lshl_b32 s34, s20, 1
	s_mul_i32 s36, s20, 3
	s_lshl_b32 s50, s20, 2
	s_mov_b32 s51, s21
	s_mov_b64 s[52:53], 0
                                        ; implicit-def: $vgpr2_vgpr3
                                        ; implicit-def: $vgpr2_vgpr3
	;; [unrolled: 1-line block ×23, first 2 shown]
	s_branch .LBB179_145
.LBB179_144:                            ;   in Loop: Header=BB179_145 Depth=1
	s_wait_xcnt 0x0
	s_or_b32 exec_lo, exec_lo, s1
	s_add_nc_u64 s[52:53], s[52:53], s[50:51]
	s_delay_alu instid0(SALU_CYCLE_1)
	v_cmp_ge_i64_e32 vcc_lo, s[52:53], v[18:19]
	s_cbranch_vccnz .LBB179_297
.LBB179_145:                            ; =>This Loop Header: Depth=1
                                        ;     Child Loop BB179_164 Depth 2
                                        ;     Child Loop BB179_198 Depth 2
	;; [unrolled: 1-line block ×4, first 2 shown]
	v_add_nc_u64_e32 v[34:35], s[52:53], v[0:1]
	v_mov_b64_e32 v[12:13], 0
	v_mov_b64_e32 v[16:17], 0
	;; [unrolled: 1-line block ×3, first 2 shown]
	s_delay_alu instid0(VALU_DEP_4)
	v_cmp_lt_u64_e64 s3, v[34:35], v[22:23]
	s_and_saveexec_b32 s0, s3
	s_cbranch_execz .LBB179_147
; %bb.146:                              ;   in Loop: Header=BB179_145 Depth=1
	v_lshl_add_u64 v[2:3], v[34:35], 4, s[16:17]
	global_load_b128 v[14:17], v[2:3], off
.LBB179_147:                            ;   in Loop: Header=BB179_145 Depth=1
	s_wait_xcnt 0x0
	s_or_b32 exec_lo, exec_lo, s0
	v_add_nc_u64_e32 v[32:33], s[20:21], v[34:35]
	v_mov_b64_e32 v[10:11], 0
	s_delay_alu instid0(VALU_DEP_2)
	v_cmp_lt_u64_e64 s2, v[32:33], v[22:23]
	s_and_saveexec_b32 s0, s2
	s_cbranch_execz .LBB179_149
; %bb.148:                              ;   in Loop: Header=BB179_145 Depth=1
	v_lshl_add_u64 v[2:3], v[32:33], 4, s[16:17]
	global_load_b128 v[10:13], v[2:3], off
.LBB179_149:                            ;   in Loop: Header=BB179_145 Depth=1
	s_wait_xcnt 0x0
	s_or_b32 exec_lo, exec_lo, s0
	v_add_nc_u64_e32 v[30:31], s[34:35], v[34:35]
	v_mov_b64_e32 v[4:5], 0
	v_mov_b64_e32 v[8:9], 0
	;; [unrolled: 1-line block ×3, first 2 shown]
	s_delay_alu instid0(VALU_DEP_4)
	v_cmp_lt_u64_e64 s1, v[30:31], v[22:23]
	s_and_saveexec_b32 s0, s1
	s_cbranch_execz .LBB179_151
; %bb.150:                              ;   in Loop: Header=BB179_145 Depth=1
	v_lshl_add_u64 v[2:3], v[30:31], 4, s[16:17]
	global_load_b128 v[6:9], v[2:3], off
.LBB179_151:                            ;   in Loop: Header=BB179_145 Depth=1
	s_wait_xcnt 0x0
	s_or_b32 exec_lo, exec_lo, s0
	v_add_nc_u64_e32 v[28:29], s[36:37], v[34:35]
	v_mov_b64_e32 v[2:3], 0
	s_delay_alu instid0(VALU_DEP_2)
	v_cmp_lt_u64_e64 s0, v[28:29], v[22:23]
	s_and_saveexec_b32 s4, s0
	s_cbranch_execz .LBB179_153
; %bb.152:                              ;   in Loop: Header=BB179_145 Depth=1
	v_lshl_add_u64 v[2:3], v[28:29], 4, s[16:17]
	global_load_b128 v[2:5], v[2:3], off
.LBB179_153:                            ;   in Loop: Header=BB179_145 Depth=1
	s_wait_xcnt 0x0
	s_or_b32 exec_lo, exec_lo, s4
                                        ; implicit-def: $vgpr36_vgpr37
                                        ; implicit-def: $vgpr38_vgpr39
	s_delay_alu instid0(SALU_CYCLE_1)
	s_mov_b32 s4, exec_lo
	s_wait_loadcnt 0x0
	v_cmpx_o_f64_e32 v[14:15], v[16:17]
	s_xor_b32 s15, exec_lo, s4
	s_cbranch_execz .LBB179_181
; %bb.154:                              ;   in Loop: Header=BB179_145 Depth=1
	v_cmp_lt_f64_e64 s4, |v[14:15]|, |v[16:17]|
	v_and_b32_e32 v41, 0x7fffffff, v15
	v_and_b32_e32 v21, 0x7fffffff, v17
	v_mov_b32_e32 v40, v16
                                        ; implicit-def: $vgpr36_vgpr37
                                        ; implicit-def: $vgpr38_vgpr39
	s_mov_b32 s5, exec_lo
	s_delay_alu instid0(VALU_DEP_2) | instskip(NEXT) | instid1(VALU_DEP_1)
	v_dual_cndmask_b32 v43, v21, v41, s4 :: v_dual_cndmask_b32 v42, v16, v14, s4
	v_cmpx_nlt_f64_e32 s[22:23], v[42:43]
	s_xor_b32 s33, exec_lo, s5
	s_cbranch_execz .LBB179_178
; %bb.155:                              ;   in Loop: Header=BB179_145 Depth=1
	v_dual_cndmask_b32 v45, v41, v21, s4 :: v_dual_cndmask_b32 v44, v14, v40, s4
                                        ; implicit-def: $vgpr36_vgpr37
                                        ; implicit-def: $vgpr38_vgpr39
	s_mov_b32 s5, exec_lo
	s_delay_alu instid0(VALU_DEP_1)
	v_cmpx_neq_f64_e32 1.0, v[44:45]
	s_xor_b32 s54, exec_lo, s5
	s_cbranch_execz .LBB179_171
; %bb.156:                              ;   in Loop: Header=BB179_145 Depth=1
	v_max_num_f64_e32 v[36:37], v[42:43], v[42:43]
	v_max_num_f64_e32 v[38:39], v[44:45], v[44:45]
	s_delay_alu instid0(VALU_DEP_1) | instskip(SKIP_1) | instid1(VALU_DEP_2)
	v_min_num_f64_e32 v[40:41], v[38:39], v[36:37]
	v_max_num_f64_e32 v[36:37], v[38:39], v[36:37]
                                        ; implicit-def: $vgpr38_vgpr39
	v_cmp_ngt_f64_e32 vcc_lo, s[24:25], v[40:41]
	s_delay_alu instid0(VALU_DEP_2) | instskip(SKIP_1) | instid1(SALU_CYCLE_1)
	v_cmp_nlt_f64_e64 s5, s[26:27], v[36:37]
                                        ; implicit-def: $vgpr36_vgpr37
	s_and_b32 s5, s5, vcc_lo
	s_and_saveexec_b32 s6, s5
	s_delay_alu instid0(SALU_CYCLE_1)
	s_xor_b32 s55, exec_lo, s6
	s_cbranch_execz .LBB179_168
; %bb.157:                              ;   in Loop: Header=BB179_145 Depth=1
                                        ; implicit-def: $vgpr36_vgpr37
                                        ; implicit-def: $vgpr38_vgpr39
	s_mov_b32 s5, exec_lo
	v_cmpx_le_f64_e32 1.0, v[44:45]
	s_xor_b32 s8, exec_lo, s5
	s_cbranch_execz .LBB179_159
; %bb.158:                              ;   in Loop: Header=BB179_145 Depth=1
	v_add_f64_e32 v[36:37], -1.0, v[44:45]
	v_cmp_eq_f64_e64 s5, 0, v[16:17]
	v_add_f64_e32 v[38:39], 1.0, v[44:45]
	v_cmp_class_f64_e64 s10, v[14:15], 0x204
	v_cmp_class_f64_e64 s9, v[16:17], 0x204
	s_delay_alu instid0(VALU_DEP_3) | instskip(NEXT) | instid1(VALU_DEP_1)
	v_mul_f64_e32 v[40:41], v[36:37], v[38:39]
	v_fmac_f64_e32 v[40:41], v[42:43], v[42:43]
	s_delay_alu instid0(VALU_DEP_1) | instskip(SKIP_2) | instid1(VALU_DEP_3)
	v_add_f64_e32 v[36:37], 1.0, v[40:41]
	v_cmp_nge_f64_e64 s6, -1.0, v[40:41]
	v_cmp_neq_f64_e64 s7, 0x7ff00000, v[40:41]
	v_frexp_mant_f64_e32 v[38:39], v[36:37]
	v_frexp_exp_i32_f64_e32 v21, v[36:37]
	v_add_f64_e32 v[42:43], -1.0, v[36:37]
	s_delay_alu instid0(VALU_DEP_3) | instskip(NEXT) | instid1(VALU_DEP_2)
	v_cmp_gt_f64_e32 vcc_lo, s[28:29], v[38:39]
	v_add_f64_e64 v[38:39], v[42:43], -v[36:37]
	v_add_f64_e64 v[42:43], v[40:41], -v[42:43]
	v_subrev_co_ci_u32_e64 v21, null, 0, v21, vcc_lo
	s_delay_alu instid0(VALU_DEP_1) | instskip(NEXT) | instid1(VALU_DEP_1)
	v_dual_add_f64 v[38:39], 1.0, v[38:39] :: v_dual_sub_nc_u32 v46, 0, v21
	v_ldexp_f64 v[36:37], v[36:37], v46
	s_delay_alu instid0(VALU_DEP_2) | instskip(NEXT) | instid1(VALU_DEP_2)
	v_add_f64_e32 v[38:39], v[42:43], v[38:39]
	v_add_f64_e32 v[44:45], 1.0, v[36:37]
	v_add_f64_e32 v[50:51], -1.0, v[36:37]
	s_delay_alu instid0(VALU_DEP_3) | instskip(NEXT) | instid1(VALU_DEP_3)
	v_ldexp_f64 v[38:39], v[38:39], v46
	v_add_f64_e32 v[42:43], -1.0, v[44:45]
	s_delay_alu instid0(VALU_DEP_3) | instskip(NEXT) | instid1(VALU_DEP_2)
	v_add_f64_e32 v[52:53], 1.0, v[50:51]
	v_add_f64_e64 v[42:43], v[36:37], -v[42:43]
	s_delay_alu instid0(VALU_DEP_2) | instskip(NEXT) | instid1(VALU_DEP_2)
	v_add_f64_e64 v[36:37], v[36:37], -v[52:53]
	v_add_f64_e32 v[42:43], v[38:39], v[42:43]
	s_delay_alu instid0(VALU_DEP_2) | instskip(NEXT) | instid1(VALU_DEP_2)
	v_add_f64_e32 v[36:37], v[38:39], v[36:37]
	v_add_f64_e32 v[46:47], v[44:45], v[42:43]
	s_delay_alu instid0(VALU_DEP_2) | instskip(NEXT) | instid1(VALU_DEP_2)
	v_add_f64_e32 v[52:53], v[50:51], v[36:37]
	v_rcp_f64_e32 v[48:49], v[46:47]
	v_add_f64_e64 v[44:45], v[46:47], -v[44:45]
	s_delay_alu instid0(VALU_DEP_2) | instskip(NEXT) | instid1(VALU_DEP_2)
	v_add_f64_e64 v[50:51], v[52:53], -v[50:51]
	v_add_f64_e64 v[42:43], v[42:43], -v[44:45]
	s_delay_alu instid0(VALU_DEP_2) | instskip(NEXT) | instid1(TRANS32_DEP_1)
	v_add_f64_e64 v[36:37], v[36:37], -v[50:51]
	v_fma_f64 v[54:55], -v[46:47], v[48:49], 1.0
	s_delay_alu instid0(VALU_DEP_1) | instskip(NEXT) | instid1(VALU_DEP_1)
	v_fmac_f64_e32 v[48:49], v[54:55], v[48:49]
	v_fma_f64 v[38:39], -v[46:47], v[48:49], 1.0
	s_delay_alu instid0(VALU_DEP_1) | instskip(NEXT) | instid1(VALU_DEP_1)
	v_fmac_f64_e32 v[48:49], v[38:39], v[48:49]
	v_mul_f64_e32 v[38:39], v[52:53], v[48:49]
	s_delay_alu instid0(VALU_DEP_1) | instskip(NEXT) | instid1(VALU_DEP_1)
	v_mul_f64_e32 v[54:55], v[46:47], v[38:39]
	v_fma_f64 v[44:45], v[38:39], v[46:47], -v[54:55]
	s_delay_alu instid0(VALU_DEP_1) | instskip(NEXT) | instid1(VALU_DEP_1)
	v_fmac_f64_e32 v[44:45], v[38:39], v[42:43]
	v_add_f64_e32 v[56:57], v[54:55], v[44:45]
	s_delay_alu instid0(VALU_DEP_1) | instskip(SKIP_1) | instid1(VALU_DEP_2)
	v_add_f64_e64 v[58:59], v[52:53], -v[56:57]
	v_add_f64_e64 v[50:51], v[56:57], -v[54:55]
	;; [unrolled: 1-line block ×3, first 2 shown]
	s_delay_alu instid0(VALU_DEP_2) | instskip(NEXT) | instid1(VALU_DEP_2)
	v_add_f64_e64 v[44:45], v[50:51], -v[44:45]
	v_add_f64_e64 v[52:53], v[52:53], -v[56:57]
	s_delay_alu instid0(VALU_DEP_1) | instskip(NEXT) | instid1(VALU_DEP_1)
	v_add_f64_e32 v[36:37], v[36:37], v[52:53]
	v_add_f64_e32 v[36:37], v[44:45], v[36:37]
	s_delay_alu instid0(VALU_DEP_1) | instskip(NEXT) | instid1(VALU_DEP_1)
	v_add_f64_e32 v[44:45], v[58:59], v[36:37]
	v_mul_f64_e32 v[50:51], v[48:49], v[44:45]
	v_add_f64_e64 v[56:57], v[58:59], -v[44:45]
	s_delay_alu instid0(VALU_DEP_2) | instskip(NEXT) | instid1(VALU_DEP_2)
	v_mul_f64_e32 v[52:53], v[46:47], v[50:51]
	v_add_f64_e32 v[36:37], v[36:37], v[56:57]
	s_delay_alu instid0(VALU_DEP_2) | instskip(NEXT) | instid1(VALU_DEP_1)
	v_fma_f64 v[46:47], v[50:51], v[46:47], -v[52:53]
	v_fmac_f64_e32 v[46:47], v[50:51], v[42:43]
	s_delay_alu instid0(VALU_DEP_1) | instskip(NEXT) | instid1(VALU_DEP_1)
	v_add_f64_e32 v[42:43], v[52:53], v[46:47]
	v_add_f64_e64 v[54:55], v[44:45], -v[42:43]
	v_add_f64_e64 v[52:53], v[42:43], -v[52:53]
	s_delay_alu instid0(VALU_DEP_2) | instskip(NEXT) | instid1(VALU_DEP_1)
	v_add_f64_e64 v[44:45], v[44:45], -v[54:55]
	v_add_f64_e64 v[42:43], v[44:45], -v[42:43]
	s_delay_alu instid0(VALU_DEP_3) | instskip(SKIP_1) | instid1(VALU_DEP_3)
	v_add_f64_e64 v[44:45], v[52:53], -v[46:47]
	v_max_num_f64_e64 v[46:47], |v[14:15]|, |v[14:15]|
	v_add_f64_e32 v[36:37], v[36:37], v[42:43]
	v_add_f64_e32 v[42:43], v[38:39], v[50:51]
	s_delay_alu instid0(VALU_DEP_2) | instskip(NEXT) | instid1(VALU_DEP_2)
	v_add_f64_e32 v[36:37], v[44:45], v[36:37]
	v_add_f64_e64 v[38:39], v[42:43], -v[38:39]
	v_max_num_f64_e64 v[44:45], |v[16:17]|, |v[16:17]|
	s_delay_alu instid0(VALU_DEP_3) | instskip(NEXT) | instid1(VALU_DEP_3)
	v_add_f64_e32 v[36:37], v[54:55], v[36:37]
	v_add_f64_e64 v[38:39], v[50:51], -v[38:39]
	s_delay_alu instid0(VALU_DEP_2) | instskip(NEXT) | instid1(VALU_DEP_1)
	v_mul_f64_e32 v[36:37], v[48:49], v[36:37]
	v_add_f64_e32 v[36:37], v[38:39], v[36:37]
	v_max_num_f64_e32 v[38:39], v[46:47], v[44:45]
	v_min_num_f64_e32 v[44:45], v[46:47], v[44:45]
	s_delay_alu instid0(VALU_DEP_3) | instskip(NEXT) | instid1(VALU_DEP_2)
	v_add_f64_e32 v[46:47], v[42:43], v[36:37]
	v_div_scale_f64 v[48:49], null, v[38:39], v[38:39], v[44:45]
	s_delay_alu instid0(VALU_DEP_2) | instskip(SKIP_1) | instid1(VALU_DEP_3)
	v_mul_f64_e32 v[50:51], v[46:47], v[46:47]
	v_add_f64_e64 v[42:43], v[46:47], -v[42:43]
	v_rcp_f64_e32 v[52:53], v[48:49]
	s_delay_alu instid0(VALU_DEP_2) | instskip(SKIP_1) | instid1(VALU_DEP_3)
	v_fmamk_f64 v[54:55], v[50:51], 0x3fc3ab76bf559e2b, v[24:25]
	v_mul_f64_e32 v[56:57], v[46:47], v[50:51]
	v_add_f64_e64 v[36:37], v[36:37], -v[42:43]
	s_delay_alu instid0(VALU_DEP_3) | instskip(NEXT) | instid1(TRANS32_DEP_1)
	v_fmaak_f64 v[54:55], v[50:51], v[54:55], 0x3fc7474dd7f4df2e
	v_fma_f64 v[58:59], -v[48:49], v[52:53], 1.0
	s_delay_alu instid0(VALU_DEP_2) | instskip(NEXT) | instid1(VALU_DEP_1)
	v_fmaak_f64 v[54:55], v[50:51], v[54:55], 0x3fcc71c016291751
	v_fmaak_f64 v[54:55], v[50:51], v[54:55], 0x3fd249249b27acf1
	s_delay_alu instid0(VALU_DEP_1) | instskip(SKIP_1) | instid1(VALU_DEP_2)
	v_fmaak_f64 v[54:55], v[50:51], v[54:55], 0x3fd99999998ef7b6
	v_ldexp_f64 v[36:37], v[36:37], 1
	v_fmaak_f64 v[50:51], v[50:51], v[54:55], 0x3fe5555555555780
	v_ldexp_f64 v[54:55], v[46:47], 1
	v_fmac_f64_e32 v[52:53], v[52:53], v[58:59]
	s_delay_alu instid0(VALU_DEP_3) | instskip(SKIP_2) | instid1(VALU_DEP_4)
	v_mul_f64_e32 v[50:51], v[56:57], v[50:51]
	v_cvt_f64_i32_e32 v[56:57], v21
	v_ashrrev_i32_e32 v21, 31, v15
	v_fma_f64 v[58:59], -v[48:49], v[52:53], 1.0
	s_delay_alu instid0(VALU_DEP_4) | instskip(NEXT) | instid1(VALU_DEP_4)
	v_add_f64_e32 v[46:47], v[54:55], v[50:51]
	v_mul_f64_e32 v[60:61], 0x3fe62e42fefa39ef, v[56:57]
	s_delay_alu instid0(VALU_DEP_3) | instskip(NEXT) | instid1(VALU_DEP_3)
	v_fmac_f64_e32 v[52:53], v[52:53], v[58:59]
	v_add_f64_e64 v[42:43], v[46:47], -v[54:55]
	v_div_scale_f64 v[54:55], vcc_lo, v[44:45], v[38:39], v[44:45]
	s_delay_alu instid0(VALU_DEP_4) | instskip(NEXT) | instid1(VALU_DEP_3)
	v_fma_f64 v[58:59], v[56:57], s[30:31], -v[60:61]
	v_add_f64_e64 v[42:43], v[50:51], -v[42:43]
	s_delay_alu instid0(VALU_DEP_3) | instskip(NEXT) | instid1(VALU_DEP_3)
	v_mul_f64_e32 v[50:51], v[54:55], v[52:53]
	v_fmac_f64_e32 v[58:59], 0x3c7abc9e3b39803f, v[56:57]
	s_delay_alu instid0(VALU_DEP_3) | instskip(NEXT) | instid1(VALU_DEP_3)
	v_add_f64_e32 v[36:37], v[36:37], v[42:43]
	v_fma_f64 v[42:43], -v[48:49], v[50:51], v[54:55]
	s_delay_alu instid0(VALU_DEP_3) | instskip(NEXT) | instid1(VALU_DEP_3)
	v_add_f64_e32 v[48:49], v[60:61], v[58:59]
	v_add_f64_e32 v[54:55], v[46:47], v[36:37]
	s_delay_alu instid0(VALU_DEP_3) | instskip(SKIP_1) | instid1(VALU_DEP_4)
	v_div_fmas_f64 v[42:43], v[42:43], v[52:53], v[50:51]
	v_cmp_gt_i32_e32 vcc_lo, 0, v15
	v_add_f64_e64 v[52:53], v[48:49], -v[60:61]
	v_and_b32_e32 v15, 0x400921fb, v21
	v_cndmask_b32_e32 v14, 0x3fe921fb, v69, vcc_lo
	s_delay_alu instid0(VALU_DEP_1) | instskip(SKIP_4) | instid1(VALU_DEP_4)
	v_bfi_b32 v14, 0x7fffffff, v14, v17
	v_add_f64_e32 v[50:51], v[48:49], v[54:55]
	v_div_fixup_f64 v[38:39], v[42:43], v[38:39], v[44:45]
	v_add_f64_e64 v[46:47], v[54:55], -v[46:47]
	v_add_f64_e64 v[52:53], v[58:59], -v[52:53]
	;; [unrolled: 1-line block ×3, first 2 shown]
	s_delay_alu instid0(VALU_DEP_4) | instskip(NEXT) | instid1(VALU_DEP_4)
	v_mul_f64_e32 v[44:45], v[38:39], v[38:39]
	v_add_f64_e64 v[36:37], v[36:37], -v[46:47]
	s_delay_alu instid0(VALU_DEP_3) | instskip(NEXT) | instid1(VALU_DEP_3)
	v_add_f64_e64 v[56:57], v[50:51], -v[42:43]
	v_fmamk_f64 v[60:61], v[44:45], 0x3eeba404b5e68a13, v[26:27]
	v_add_f64_e64 v[42:43], v[54:55], -v[42:43]
	s_delay_alu instid0(VALU_DEP_4) | instskip(NEXT) | instid1(VALU_DEP_3)
	v_add_f64_e32 v[54:55], v[52:53], v[36:37]
	v_fmaak_f64 v[60:61], v[44:45], v[60:61], 0x3f4b2bb069efb384
	v_add_f64_e64 v[46:47], v[48:49], -v[56:57]
	s_delay_alu instid0(VALU_DEP_2) | instskip(NEXT) | instid1(VALU_DEP_1)
	v_fmaak_f64 v[48:49], v[44:45], v[60:61], 0xbf67952daf56de9b
	v_fmaak_f64 v[48:49], v[44:45], v[48:49], 0x3f7d6d43a595c56f
	s_delay_alu instid0(VALU_DEP_1) | instskip(NEXT) | instid1(VALU_DEP_1)
	v_fmaak_f64 v[48:49], v[44:45], v[48:49], 0xbf8c6ea4a57d9582
	v_fmaak_f64 v[48:49], v[44:45], v[48:49], 0x3f967e295f08b19f
	s_delay_alu instid0(VALU_DEP_1) | instskip(SKIP_1) | instid1(VALU_DEP_2)
	v_fmaak_f64 v[48:49], v[44:45], v[48:49], 0xbf9e9ae6fc27006a
	v_add_f64_e32 v[42:43], v[42:43], v[46:47]
	v_fmaak_f64 v[46:47], v[44:45], v[48:49], 0x3fa2c15b5711927a
	v_add_f64_e64 v[48:49], v[54:55], -v[52:53]
	s_delay_alu instid0(VALU_DEP_2) | instskip(NEXT) | instid1(VALU_DEP_1)
	v_fmaak_f64 v[46:47], v[44:45], v[46:47], 0xbfa59976e82d3ff0
	v_fmaak_f64 v[46:47], v[44:45], v[46:47], 0x3fa82d5d6ef28734
	s_delay_alu instid0(VALU_DEP_1) | instskip(NEXT) | instid1(VALU_DEP_1)
	v_fmaak_f64 v[46:47], v[44:45], v[46:47], 0xbfaae5ce6a214619
	v_fmaak_f64 v[46:47], v[44:45], v[46:47], 0x3fae1bb48427b883
	v_add_f64_e32 v[42:43], v[54:55], v[42:43]
	v_add_f64_e64 v[54:55], v[54:55], -v[48:49]
	v_add_f64_e64 v[36:37], v[36:37], -v[48:49]
	s_delay_alu instid0(VALU_DEP_4) | instskip(NEXT) | instid1(VALU_DEP_1)
	v_fmaak_f64 v[46:47], v[44:45], v[46:47], 0xbfb110e48b207f05
	v_fmaak_f64 v[46:47], v[44:45], v[46:47], 0x3fb3b13657b87036
	s_delay_alu instid0(VALU_DEP_1) | instskip(NEXT) | instid1(VALU_DEP_1)
	v_fmaak_f64 v[46:47], v[44:45], v[46:47], 0xbfb745d119378e4f
	v_fmaak_f64 v[46:47], v[44:45], v[46:47], 0x3fbc71c717e1913c
	v_add_f64_e32 v[56:57], v[50:51], v[42:43]
	s_delay_alu instid0(VALU_DEP_2) | instskip(NEXT) | instid1(VALU_DEP_1)
	v_fmaak_f64 v[46:47], v[44:45], v[46:47], 0xbfc2492492376b7d
	v_fmaak_f64 v[46:47], v[44:45], v[46:47], 0x3fc99999999952cc
	s_delay_alu instid0(VALU_DEP_1) | instskip(NEXT) | instid1(VALU_DEP_1)
	v_fmaak_f64 v[46:47], v[44:45], v[46:47], 0xbfd5555555555523
	v_mul_f64_e32 v[44:45], v[44:45], v[46:47]
	v_add_f64_e64 v[46:47], v[52:53], -v[54:55]
	v_add_f64_e64 v[48:49], v[56:57], -v[50:51]
	s_delay_alu instid0(VALU_DEP_3) | instskip(NEXT) | instid1(VALU_DEP_3)
	v_fmac_f64_e32 v[38:39], v[38:39], v[44:45]
	v_add_f64_e32 v[36:37], v[36:37], v[46:47]
	s_delay_alu instid0(VALU_DEP_3) | instskip(NEXT) | instid1(VALU_DEP_3)
	v_add_f64_e64 v[42:43], v[42:43], -v[48:49]
	v_add_f64_e64 v[44:45], -v[38:39], s[38:39]
	s_delay_alu instid0(VALU_DEP_1) | instskip(NEXT) | instid1(VALU_DEP_2)
	v_dual_add_f64 v[36:37], v[36:37], v[42:43] :: v_dual_cndmask_b32 v39, v39, v45, s4
	v_cndmask_b32_e64 v38, v38, v44, s4
	v_and_b32_e32 v45, 0x54442d18, v21
	v_cndmask_b32_e32 v44, 0x54442d18, v68, vcc_lo
	s_delay_alu instid0(VALU_DEP_3) | instskip(NEXT) | instid1(VALU_DEP_1)
	v_add_f64_e64 v[42:43], -v[38:39], s[40:41]
	v_dual_add_f64 v[36:37], v[56:57], v[36:37] :: v_dual_cndmask_b32 v38, v38, v42, vcc_lo
	s_delay_alu instid0(VALU_DEP_2) | instskip(SKIP_1) | instid1(VALU_DEP_3)
	v_cndmask_b32_e32 v21, v39, v43, vcc_lo
	v_cmp_ngt_f64_e32 vcc_lo, -1.0, v[40:41]
	v_mul_f64_e32 v[36:37], 0.5, v[36:37]
                                        ; implicit-def: $vgpr42_vgpr43
	s_delay_alu instid0(VALU_DEP_3)
	v_dual_cndmask_b32 v38, v38, v45, s5 :: v_dual_cndmask_b32 v15, v21, v15, s5
	s_and_b32 s5, s6, s7
	s_delay_alu instid0(VALU_DEP_2) | instid1(SALU_CYCLE_1)
	v_cndmask_b32_e64 v36, 0, v36, s5
	v_cmp_neq_f64_e64 s5, -1.0, v[40:41]
	s_delay_alu instid0(VALU_DEP_4) | instskip(NEXT) | instid1(VALU_DEP_1)
	v_cndmask_b32_e64 v37, 0x7ff00000, v37, s7
	v_cndmask_b32_e32 v21, 0x7ff80000, v37, vcc_lo
	s_and_b32 vcc_lo, s9, s10
	v_dual_cndmask_b32 v39, v15, v14 :: v_dual_cndmask_b32 v38, v38, v44
                                        ; implicit-def: $vgpr44_vgpr45
	s_delay_alu instid0(VALU_DEP_2)
	v_cndmask_b32_e64 v37, 0xfff00000, v21, s5
.LBB179_159:                            ;   in Loop: Header=BB179_145 Depth=1
	s_and_not1_saveexec_b32 s56, s8
	s_cbranch_execz .LBB179_167
; %bb.160:                              ;   in Loop: Header=BB179_145 Depth=1
	v_mul_f64_e32 v[40:41], v[42:43], v[42:43]
                                        ; implicit-def: $vgpr36_vgpr37
                                        ; implicit-def: $vgpr38_vgpr39
	s_mov_b32 s5, exec_lo
	s_delay_alu instid0(VALU_DEP_1) | instskip(NEXT) | instid1(VALU_DEP_1)
	v_fmac_f64_e32 v[40:41], v[44:45], v[44:45]
	v_cmpx_ge_f64_e32 s[42:43], v[40:41]
	s_xor_b32 s7, exec_lo, s5
	s_cbranch_execz .LBB179_162
; %bb.161:                              ;   in Loop: Header=BB179_145 Depth=1
	v_frexp_mant_f64_e32 v[36:37], v[40:41]
	v_cmp_eq_f64_e64 s5, 0, v[16:17]
	v_cmp_neq_f64_e64 s6, 0, v[40:41]
	v_cmp_class_f64_e64 s8, v[16:17], 0x204
	v_cmp_class_f64_e64 s9, v[14:15], 0x204
	v_cmp_gt_f64_e32 vcc_lo, s[28:29], v[36:37]
	v_cndmask_b32_e64 v21, 0, 1, vcc_lo
	s_delay_alu instid0(VALU_DEP_1) | instskip(SKIP_1) | instid1(VALU_DEP_2)
	v_ldexp_f64 v[36:37], v[36:37], v21
	v_frexp_exp_i32_f64_e32 v21, v[40:41]
	v_add_f64_e32 v[38:39], 1.0, v[36:37]
	v_add_f64_e32 v[46:47], -1.0, v[36:37]
	s_delay_alu instid0(VALU_DEP_3) | instskip(NEXT) | instid1(VALU_DEP_3)
	v_subrev_co_ci_u32_e64 v21, null, 0, v21, vcc_lo
	v_rcp_f64_e32 v[42:43], v[38:39]
	v_add_f64_e32 v[48:49], -1.0, v[38:39]
	s_delay_alu instid0(VALU_DEP_1) | instskip(NEXT) | instid1(TRANS32_DEP_1)
	v_add_f64_e64 v[36:37], v[36:37], -v[48:49]
	v_fma_f64 v[44:45], -v[38:39], v[42:43], 1.0
	s_delay_alu instid0(VALU_DEP_1) | instskip(NEXT) | instid1(VALU_DEP_1)
	v_fmac_f64_e32 v[42:43], v[44:45], v[42:43]
	v_fma_f64 v[44:45], -v[38:39], v[42:43], 1.0
	s_delay_alu instid0(VALU_DEP_1) | instskip(NEXT) | instid1(VALU_DEP_1)
	v_fmac_f64_e32 v[42:43], v[44:45], v[42:43]
	v_mul_f64_e32 v[44:45], v[46:47], v[42:43]
	s_delay_alu instid0(VALU_DEP_1) | instskip(NEXT) | instid1(VALU_DEP_1)
	v_mul_f64_e32 v[50:51], v[38:39], v[44:45]
	v_fma_f64 v[38:39], v[44:45], v[38:39], -v[50:51]
	s_delay_alu instid0(VALU_DEP_1) | instskip(NEXT) | instid1(VALU_DEP_1)
	v_fmac_f64_e32 v[38:39], v[44:45], v[36:37]
	v_add_f64_e32 v[36:37], v[50:51], v[38:39]
	s_delay_alu instid0(VALU_DEP_1) | instskip(SKIP_1) | instid1(VALU_DEP_2)
	v_add_f64_e64 v[48:49], v[46:47], -v[36:37]
	v_add_f64_e64 v[50:51], v[36:37], -v[50:51]
	;; [unrolled: 1-line block ×3, first 2 shown]
	s_delay_alu instid0(VALU_DEP_2) | instskip(NEXT) | instid1(VALU_DEP_2)
	v_add_f64_e64 v[38:39], v[50:51], -v[38:39]
	v_add_f64_e64 v[36:37], v[46:47], -v[36:37]
	v_max_num_f64_e64 v[46:47], |v[14:15]|, |v[14:15]|
	s_delay_alu instid0(VALU_DEP_2) | instskip(SKIP_1) | instid1(VALU_DEP_2)
	v_add_f64_e32 v[36:37], v[38:39], v[36:37]
	v_max_num_f64_e64 v[38:39], |v[16:17]|, |v[16:17]|
	v_add_f64_e32 v[36:37], v[48:49], v[36:37]
	s_delay_alu instid0(VALU_DEP_1) | instskip(NEXT) | instid1(VALU_DEP_3)
	v_mul_f64_e32 v[36:37], v[42:43], v[36:37]
	v_max_num_f64_e32 v[42:43], v[46:47], v[38:39]
	v_min_num_f64_e32 v[38:39], v[46:47], v[38:39]
	s_delay_alu instid0(VALU_DEP_3) | instskip(NEXT) | instid1(VALU_DEP_2)
	v_add_f64_e32 v[46:47], v[44:45], v[36:37]
	v_div_scale_f64 v[48:49], null, v[42:43], v[42:43], v[38:39]
	s_delay_alu instid0(VALU_DEP_2) | instskip(SKIP_1) | instid1(VALU_DEP_3)
	v_mul_f64_e32 v[50:51], v[46:47], v[46:47]
	v_add_f64_e64 v[44:45], v[46:47], -v[44:45]
	v_rcp_f64_e32 v[52:53], v[48:49]
	s_delay_alu instid0(VALU_DEP_2) | instskip(SKIP_1) | instid1(VALU_DEP_3)
	v_fmamk_f64 v[54:55], v[50:51], 0x3fc3ab76bf559e2b, v[24:25]
	v_mul_f64_e32 v[56:57], v[46:47], v[50:51]
	v_add_f64_e64 v[36:37], v[36:37], -v[44:45]
	s_delay_alu instid0(VALU_DEP_3) | instskip(NEXT) | instid1(TRANS32_DEP_1)
	v_fmaak_f64 v[54:55], v[50:51], v[54:55], 0x3fc7474dd7f4df2e
	v_fma_f64 v[58:59], -v[48:49], v[52:53], 1.0
	s_delay_alu instid0(VALU_DEP_2) | instskip(NEXT) | instid1(VALU_DEP_1)
	v_fmaak_f64 v[54:55], v[50:51], v[54:55], 0x3fcc71c016291751
	v_fmaak_f64 v[54:55], v[50:51], v[54:55], 0x3fd249249b27acf1
	s_delay_alu instid0(VALU_DEP_1) | instskip(SKIP_1) | instid1(VALU_DEP_2)
	v_fmaak_f64 v[54:55], v[50:51], v[54:55], 0x3fd99999998ef7b6
	v_ldexp_f64 v[36:37], v[36:37], 1
	v_fmaak_f64 v[50:51], v[50:51], v[54:55], 0x3fe5555555555780
	v_ldexp_f64 v[54:55], v[46:47], 1
	v_fmac_f64_e32 v[52:53], v[52:53], v[58:59]
	s_delay_alu instid0(VALU_DEP_3) | instskip(SKIP_2) | instid1(VALU_DEP_4)
	v_mul_f64_e32 v[50:51], v[56:57], v[50:51]
	v_cvt_f64_i32_e32 v[56:57], v21
	v_ashrrev_i32_e32 v21, 31, v15
	v_fma_f64 v[58:59], -v[48:49], v[52:53], 1.0
	s_delay_alu instid0(VALU_DEP_4) | instskip(NEXT) | instid1(VALU_DEP_4)
	v_add_f64_e32 v[46:47], v[54:55], v[50:51]
	v_mul_f64_e32 v[60:61], 0x3fe62e42fefa39ef, v[56:57]
	s_delay_alu instid0(VALU_DEP_3) | instskip(NEXT) | instid1(VALU_DEP_3)
	v_fmac_f64_e32 v[52:53], v[52:53], v[58:59]
	v_add_f64_e64 v[44:45], v[46:47], -v[54:55]
	v_div_scale_f64 v[54:55], vcc_lo, v[38:39], v[42:43], v[38:39]
	s_delay_alu instid0(VALU_DEP_4) | instskip(NEXT) | instid1(VALU_DEP_3)
	v_fma_f64 v[58:59], v[56:57], s[30:31], -v[60:61]
	v_add_f64_e64 v[44:45], v[50:51], -v[44:45]
	s_delay_alu instid0(VALU_DEP_3) | instskip(NEXT) | instid1(VALU_DEP_3)
	v_mul_f64_e32 v[50:51], v[54:55], v[52:53]
	v_fmac_f64_e32 v[58:59], 0x3c7abc9e3b39803f, v[56:57]
	s_delay_alu instid0(VALU_DEP_3) | instskip(NEXT) | instid1(VALU_DEP_3)
	v_add_f64_e32 v[36:37], v[36:37], v[44:45]
	v_fma_f64 v[44:45], -v[48:49], v[50:51], v[54:55]
	s_delay_alu instid0(VALU_DEP_3) | instskip(NEXT) | instid1(VALU_DEP_3)
	v_add_f64_e32 v[48:49], v[60:61], v[58:59]
	v_add_f64_e32 v[54:55], v[46:47], v[36:37]
	s_delay_alu instid0(VALU_DEP_3) | instskip(SKIP_1) | instid1(VALU_DEP_4)
	v_div_fmas_f64 v[44:45], v[44:45], v[52:53], v[50:51]
	v_cmp_gt_i32_e32 vcc_lo, 0, v15
	v_add_f64_e64 v[52:53], v[48:49], -v[60:61]
	s_delay_alu instid0(VALU_DEP_4) | instskip(NEXT) | instid1(VALU_DEP_4)
	v_add_f64_e32 v[50:51], v[48:49], v[54:55]
	v_div_fixup_f64 v[38:39], v[44:45], v[42:43], v[38:39]
	v_add_f64_e64 v[46:47], v[54:55], -v[46:47]
	s_delay_alu instid0(VALU_DEP_4) | instskip(NEXT) | instid1(VALU_DEP_4)
	v_add_f64_e64 v[52:53], v[58:59], -v[52:53]
	v_add_f64_e64 v[42:43], v[50:51], -v[48:49]
	s_delay_alu instid0(VALU_DEP_4) | instskip(NEXT) | instid1(VALU_DEP_4)
	v_mul_f64_e32 v[44:45], v[38:39], v[38:39]
	v_add_f64_e64 v[36:37], v[36:37], -v[46:47]
	s_delay_alu instid0(VALU_DEP_3) | instskip(NEXT) | instid1(VALU_DEP_3)
	v_add_f64_e64 v[56:57], v[50:51], -v[42:43]
	v_fmamk_f64 v[60:61], v[44:45], 0x3eeba404b5e68a13, v[26:27]
	v_add_f64_e64 v[42:43], v[54:55], -v[42:43]
	s_delay_alu instid0(VALU_DEP_4) | instskip(NEXT) | instid1(VALU_DEP_3)
	v_add_f64_e32 v[54:55], v[52:53], v[36:37]
	v_fmaak_f64 v[60:61], v[44:45], v[60:61], 0x3f4b2bb069efb384
	s_delay_alu instid0(VALU_DEP_1) | instskip(SKIP_1) | instid1(VALU_DEP_2)
	v_fmaak_f64 v[60:61], v[44:45], v[60:61], 0xbf67952daf56de9b
	v_add_f64_e64 v[46:47], v[48:49], -v[56:57]
	v_fmaak_f64 v[48:49], v[44:45], v[60:61], 0x3f7d6d43a595c56f
	s_delay_alu instid0(VALU_DEP_1) | instskip(NEXT) | instid1(VALU_DEP_1)
	v_fmaak_f64 v[48:49], v[44:45], v[48:49], 0xbf8c6ea4a57d9582
	v_fmaak_f64 v[48:49], v[44:45], v[48:49], 0x3f967e295f08b19f
	s_delay_alu instid0(VALU_DEP_1) | instskip(NEXT) | instid1(VALU_DEP_1)
	v_fmaak_f64 v[48:49], v[44:45], v[48:49], 0xbf9e9ae6fc27006a
	v_fmaak_f64 v[48:49], v[44:45], v[48:49], 0x3fa2c15b5711927a
	v_add_f64_e32 v[42:43], v[42:43], v[46:47]
	s_delay_alu instid0(VALU_DEP_2) | instskip(SKIP_1) | instid1(VALU_DEP_2)
	v_fmaak_f64 v[46:47], v[44:45], v[48:49], 0xbfa59976e82d3ff0
	v_add_f64_e64 v[48:49], v[54:55], -v[52:53]
	v_fmaak_f64 v[46:47], v[44:45], v[46:47], 0x3fa82d5d6ef28734
	s_delay_alu instid0(VALU_DEP_1) | instskip(NEXT) | instid1(VALU_DEP_1)
	v_fmaak_f64 v[46:47], v[44:45], v[46:47], 0xbfaae5ce6a214619
	v_fmaak_f64 v[46:47], v[44:45], v[46:47], 0x3fae1bb48427b883
	s_delay_alu instid0(VALU_DEP_1) | instskip(SKIP_3) | instid1(VALU_DEP_4)
	v_fmaak_f64 v[46:47], v[44:45], v[46:47], 0xbfb110e48b207f05
	v_add_f64_e32 v[42:43], v[54:55], v[42:43]
	v_add_f64_e64 v[54:55], v[54:55], -v[48:49]
	v_add_f64_e64 v[36:37], v[36:37], -v[48:49]
	v_fmaak_f64 v[46:47], v[44:45], v[46:47], 0x3fb3b13657b87036
	s_delay_alu instid0(VALU_DEP_1) | instskip(NEXT) | instid1(VALU_DEP_1)
	v_fmaak_f64 v[46:47], v[44:45], v[46:47], 0xbfb745d119378e4f
	v_fmaak_f64 v[46:47], v[44:45], v[46:47], 0x3fbc71c717e1913c
	s_delay_alu instid0(VALU_DEP_1) | instskip(SKIP_1) | instid1(VALU_DEP_2)
	v_fmaak_f64 v[46:47], v[44:45], v[46:47], 0xbfc2492492376b7d
	v_add_f64_e32 v[56:57], v[50:51], v[42:43]
	v_fmaak_f64 v[46:47], v[44:45], v[46:47], 0x3fc99999999952cc
	s_delay_alu instid0(VALU_DEP_1) | instskip(NEXT) | instid1(VALU_DEP_1)
	v_fmaak_f64 v[46:47], v[44:45], v[46:47], 0xbfd5555555555523
	v_mul_f64_e32 v[44:45], v[44:45], v[46:47]
	v_add_f64_e64 v[46:47], v[52:53], -v[54:55]
	v_add_f64_e64 v[48:49], v[56:57], -v[50:51]
	s_delay_alu instid0(VALU_DEP_3) | instskip(NEXT) | instid1(VALU_DEP_3)
	v_fmac_f64_e32 v[38:39], v[38:39], v[44:45]
	v_add_f64_e32 v[36:37], v[36:37], v[46:47]
	s_delay_alu instid0(VALU_DEP_3) | instskip(NEXT) | instid1(VALU_DEP_3)
	v_add_f64_e64 v[42:43], v[42:43], -v[48:49]
	v_add_f64_e64 v[44:45], -v[38:39], s[38:39]
	s_delay_alu instid0(VALU_DEP_1) | instskip(NEXT) | instid1(VALU_DEP_2)
	v_dual_add_f64 v[36:37], v[36:37], v[42:43] :: v_dual_cndmask_b32 v39, v39, v45, s4
	v_cndmask_b32_e64 v38, v38, v44, s4
	v_and_b32_e32 v45, 0x54442d18, v21
	v_and_b32_e32 v21, 0x400921fb, v21
	v_cndmask_b32_e32 v44, 0x54442d18, v68, vcc_lo
	s_delay_alu instid0(VALU_DEP_4) | instskip(NEXT) | instid1(VALU_DEP_1)
	v_add_f64_e64 v[42:43], -v[38:39], s[40:41]
	v_dual_add_f64 v[36:37], v[56:57], v[36:37] :: v_dual_cndmask_b32 v38, v38, v42, vcc_lo
	s_delay_alu instid0(VALU_DEP_1) | instskip(NEXT) | instid1(VALU_DEP_2)
	v_cndmask_b32_e64 v38, v38, v45, s5
	v_mul_f64_e32 v[14:15], 0.5, v[36:37]
	v_cndmask_b32_e32 v36, 0x3fe921fb, v69, vcc_lo
	v_cndmask_b32_e32 v37, v39, v43, vcc_lo
	s_and_b32 vcc_lo, s8, s9
                                        ; implicit-def: $vgpr42_vgpr43
	v_cndmask_b32_e32 v38, v38, v44, vcc_lo
	s_delay_alu instid0(VALU_DEP_3) | instskip(NEXT) | instid1(VALU_DEP_3)
	v_bfi_b32 v36, 0x7fffffff, v36, v17
	v_cndmask_b32_e64 v21, v37, v21, s5
                                        ; implicit-def: $vgpr44_vgpr45
	s_delay_alu instid0(VALU_DEP_1)
	v_cndmask_b32_e32 v39, v21, v36, vcc_lo
	v_cndmask_b32_e64 v37, 0xfff00000, v15, s6
	v_cndmask_b32_e64 v36, 0, v14, s6
.LBB179_162:                            ;   in Loop: Header=BB179_145 Depth=1
	s_and_not1_saveexec_b32 s57, s7
	s_cbranch_execz .LBB179_166
; %bb.163:                              ;   in Loop: Header=BB179_145 Depth=1
	v_and_b32_e32 v21, 0x7ffffff8, v45
	v_and_b32_e32 v39, 0x7ffffff8, v43
	v_mov_b32_e32 v38, v20
	s_mov_b32 s58, 0
	v_mov_b32_e32 v46, v20
	v_add_f64_e64 v[36:37], v[44:45], -v[20:21]
	s_delay_alu instid0(VALU_DEP_3) | instskip(SKIP_2) | instid1(VALU_DEP_4)
	v_dual_add_f64 v[40:41], v[42:43], -v[38:39] :: v_dual_mov_b32 v44, v20
	v_add_f64_e32 v[48:49], v[20:21], v[20:21]
	v_add_f64_e32 v[56:57], v[38:39], v[38:39]
	v_dual_mul_f64 v[42:43], v[38:39], v[38:39] :: v_dual_bitop2_b32 v45, -8, v37 bitop3:0x40
	s_delay_alu instid0(VALU_DEP_4) | instskip(NEXT) | instid1(VALU_DEP_2)
	v_and_b32_e32 v47, -8, v41
	v_add_f64_e64 v[58:59], v[36:37], -v[44:45]
	v_add_f64_e32 v[62:63], v[44:45], v[44:45]
	s_delay_alu instid0(VALU_DEP_3)
	v_add_f64_e64 v[60:61], v[40:41], -v[46:47]
	v_add_f64_e32 v[64:65], v[46:47], v[46:47]
	v_mul_f64_e32 v[36:37], v[20:21], v[20:21]
	v_mul_f64_e32 v[54:55], v[48:49], v[44:45]
	;; [unrolled: 1-line block ×11, first 2 shown]
.LBB179_164:                            ;   Parent Loop BB179_145 Depth=1
                                        ; =>  This Inner Loop Header: Depth=2
	v_cmp_nlt_f64_e32 vcc_lo, v[36:37], v[42:43]
	v_dual_cndmask_b32 v61, v37, v43 :: v_dual_cndmask_b32 v60, v36, v42
	v_dual_cndmask_b32 v37, v43, v37 :: v_dual_cndmask_b32 v36, v42, v36
	s_delay_alu instid0(VALU_DEP_2) | instskip(NEXT) | instid1(VALU_DEP_1)
	v_cmp_nlt_f64_e64 s5, v[60:61], v[54:55]
	v_dual_cndmask_b32 v63, v61, v55, s5 :: v_dual_cndmask_b32 v62, v60, v54, s5
	v_dual_cndmask_b32 v43, v55, v61, s5 :: v_dual_cndmask_b32 v42, v54, v60, s5
	s_and_b32 s5, vcc_lo, s5
	s_delay_alu instid0(VALU_DEP_2) | instskip(NEXT) | instid1(VALU_DEP_1)
	v_cmp_nlt_f64_e64 s6, v[62:63], v[40:41]
	v_dual_cndmask_b32 v65, v63, v41, s6 :: v_dual_cndmask_b32 v64, v62, v40, s6
	v_dual_cndmask_b32 v55, v41, v63, s6 :: v_dual_cndmask_b32 v54, v40, v62, s6
	s_delay_alu instid0(VALU_DEP_2) | instskip(NEXT) | instid1(VALU_DEP_1)
	v_cmp_nlt_f64_e64 s7, v[64:65], v[52:53]
	v_dual_cndmask_b32 v67, v65, v53, s7 :: v_dual_cndmask_b32 v66, v64, v52, s7
	v_dual_cndmask_b32 v41, v53, v65, s7 :: v_dual_cndmask_b32 v40, v52, v64, s7
	s_and_b32 s6, s6, s7
	s_delay_alu instid0(VALU_DEP_2) | instskip(NEXT) | instid1(VALU_DEP_1)
	v_cmp_nlt_f64_e64 s8, v[66:67], v[38:39]
	v_dual_cndmask_b32 v71, v67, v39, s8 :: v_dual_cndmask_b32 v70, v66, v38, s8
	v_dual_cndmask_b32 v53, v39, v67, s8 :: v_dual_cndmask_b32 v52, v38, v66, s8
	s_delay_alu instid0(VALU_DEP_2) | instskip(NEXT) | instid1(VALU_DEP_1)
	v_cmp_nlt_f64_e64 s9, v[70:71], v[50:51]
	v_dual_cndmask_b32 v73, v71, v51, s9 :: v_dual_cndmask_b32 v72, v70, v50, s9
	s_and_b32 s7, s8, s9
	v_dual_cndmask_b32 v39, v51, v71, s9 :: v_dual_cndmask_b32 v38, v50, v70, s9
	s_delay_alu instid0(VALU_DEP_2) | instskip(NEXT) | instid1(VALU_DEP_1)
	v_cmp_nlt_f64_e64 s10, v[72:73], v[48:49]
	v_dual_cndmask_b32 v75, v73, v49, s10 :: v_dual_cndmask_b32 v74, v72, v48, s10
	s_and_b32 s7, s7, s10
	;; [unrolled: 5-line block ×6, first 2 shown]
	v_dual_cndmask_b32 v57, v59, v81, s14 :: v_dual_cndmask_b32 v56, v58, v80, s14
	s_and_b32 s6, s7, s6
	s_delay_alu instid0(VALU_DEP_2) | instskip(SKIP_1) | instid1(SALU_CYCLE_1)
	v_mov_b64_e32 v[58:59], v[60:61]
	s_and_b32 s5, s6, s5
	s_and_b32 s5, exec_lo, s5
	s_delay_alu instid0(SALU_CYCLE_1) | instskip(NEXT) | instid1(SALU_CYCLE_1)
	s_or_b32 s58, s5, s58
	s_and_not1_b32 exec_lo, exec_lo, s58
	s_cbranch_execnz .LBB179_164
; %bb.165:                              ;   in Loop: Header=BB179_145 Depth=1
	s_or_b32 exec_lo, exec_lo, s58
	v_add_f64_e32 v[36:37], -1.0, v[36:37]
	v_cmp_eq_f64_e64 s5, 0, v[16:17]
	v_cmp_class_f64_e64 s9, v[14:15], 0x204
	v_cmp_class_f64_e64 s8, v[16:17], 0x204
	s_delay_alu instid0(VALU_DEP_4) | instskip(NEXT) | instid1(VALU_DEP_1)
	v_add_f64_e32 v[36:37], v[36:37], v[42:43]
	v_add_f64_e32 v[36:37], v[36:37], v[54:55]
	s_delay_alu instid0(VALU_DEP_1) | instskip(NEXT) | instid1(VALU_DEP_1)
	v_add_f64_e32 v[36:37], v[36:37], v[40:41]
	v_add_f64_e32 v[36:37], v[36:37], v[52:53]
	s_delay_alu instid0(VALU_DEP_1) | instskip(NEXT) | instid1(VALU_DEP_1)
	v_add_f64_e32 v[36:37], v[36:37], v[38:39]
	v_add_f64_e32 v[36:37], v[36:37], v[50:51]
	s_delay_alu instid0(VALU_DEP_1) | instskip(NEXT) | instid1(VALU_DEP_1)
	v_add_f64_e32 v[36:37], v[36:37], v[48:49]
	v_add_f64_e32 v[36:37], v[36:37], v[46:47]
	s_delay_alu instid0(VALU_DEP_1) | instskip(NEXT) | instid1(VALU_DEP_1)
	v_add_f64_e32 v[36:37], v[36:37], v[44:45]
	v_add_f64_e32 v[36:37], v[36:37], v[56:57]
	s_delay_alu instid0(VALU_DEP_1) | instskip(NEXT) | instid1(VALU_DEP_1)
	v_add_f64_e32 v[40:41], v[60:61], v[36:37]
	v_add_f64_e32 v[36:37], 1.0, v[40:41]
	v_cmp_nge_f64_e64 s6, -1.0, v[40:41]
	v_cmp_neq_f64_e64 s7, 0x7ff00000, v[40:41]
	s_delay_alu instid0(VALU_DEP_3) | instskip(SKIP_2) | instid1(VALU_DEP_3)
	v_frexp_mant_f64_e32 v[38:39], v[36:37]
	v_frexp_exp_i32_f64_e32 v21, v[36:37]
	v_add_f64_e32 v[42:43], -1.0, v[36:37]
	v_cmp_gt_f64_e32 vcc_lo, s[28:29], v[38:39]
	s_delay_alu instid0(VALU_DEP_2) | instskip(SKIP_2) | instid1(VALU_DEP_1)
	v_add_f64_e64 v[38:39], v[42:43], -v[36:37]
	v_add_f64_e64 v[42:43], v[40:41], -v[42:43]
	v_subrev_co_ci_u32_e64 v21, null, 0, v21, vcc_lo
	v_dual_add_f64 v[38:39], 1.0, v[38:39] :: v_dual_sub_nc_u32 v46, 0, v21
	s_delay_alu instid0(VALU_DEP_1) | instskip(NEXT) | instid1(VALU_DEP_2)
	v_ldexp_f64 v[36:37], v[36:37], v46
	v_add_f64_e32 v[38:39], v[42:43], v[38:39]
	s_delay_alu instid0(VALU_DEP_2) | instskip(SKIP_1) | instid1(VALU_DEP_3)
	v_add_f64_e32 v[44:45], 1.0, v[36:37]
	v_add_f64_e32 v[50:51], -1.0, v[36:37]
	v_ldexp_f64 v[38:39], v[38:39], v46
	s_delay_alu instid0(VALU_DEP_3) | instskip(NEXT) | instid1(VALU_DEP_3)
	v_add_f64_e32 v[42:43], -1.0, v[44:45]
	v_add_f64_e32 v[52:53], 1.0, v[50:51]
	s_delay_alu instid0(VALU_DEP_2) | instskip(NEXT) | instid1(VALU_DEP_2)
	v_add_f64_e64 v[42:43], v[36:37], -v[42:43]
	v_add_f64_e64 v[36:37], v[36:37], -v[52:53]
	s_delay_alu instid0(VALU_DEP_2) | instskip(NEXT) | instid1(VALU_DEP_2)
	v_add_f64_e32 v[42:43], v[38:39], v[42:43]
	v_add_f64_e32 v[36:37], v[38:39], v[36:37]
	s_delay_alu instid0(VALU_DEP_2) | instskip(NEXT) | instid1(VALU_DEP_2)
	v_add_f64_e32 v[46:47], v[44:45], v[42:43]
	v_add_f64_e32 v[52:53], v[50:51], v[36:37]
	s_delay_alu instid0(VALU_DEP_2) | instskip(SKIP_1) | instid1(VALU_DEP_2)
	v_rcp_f64_e32 v[48:49], v[46:47]
	v_add_f64_e64 v[44:45], v[46:47], -v[44:45]
	v_add_f64_e64 v[50:51], v[52:53], -v[50:51]
	s_delay_alu instid0(VALU_DEP_2) | instskip(NEXT) | instid1(VALU_DEP_2)
	v_add_f64_e64 v[42:43], v[42:43], -v[44:45]
	v_add_f64_e64 v[36:37], v[36:37], -v[50:51]
	s_delay_alu instid0(TRANS32_DEP_1) | instskip(NEXT) | instid1(VALU_DEP_1)
	v_fma_f64 v[54:55], -v[46:47], v[48:49], 1.0
	v_fmac_f64_e32 v[48:49], v[54:55], v[48:49]
	s_delay_alu instid0(VALU_DEP_1) | instskip(NEXT) | instid1(VALU_DEP_1)
	v_fma_f64 v[38:39], -v[46:47], v[48:49], 1.0
	v_fmac_f64_e32 v[48:49], v[38:39], v[48:49]
	s_delay_alu instid0(VALU_DEP_1) | instskip(NEXT) | instid1(VALU_DEP_1)
	v_mul_f64_e32 v[38:39], v[52:53], v[48:49]
	v_mul_f64_e32 v[54:55], v[46:47], v[38:39]
	s_delay_alu instid0(VALU_DEP_1) | instskip(NEXT) | instid1(VALU_DEP_1)
	v_fma_f64 v[44:45], v[38:39], v[46:47], -v[54:55]
	v_fmac_f64_e32 v[44:45], v[38:39], v[42:43]
	s_delay_alu instid0(VALU_DEP_1) | instskip(NEXT) | instid1(VALU_DEP_1)
	v_add_f64_e32 v[56:57], v[54:55], v[44:45]
	v_add_f64_e64 v[58:59], v[52:53], -v[56:57]
	v_add_f64_e64 v[50:51], v[56:57], -v[54:55]
	s_delay_alu instid0(VALU_DEP_2) | instskip(NEXT) | instid1(VALU_DEP_2)
	v_add_f64_e64 v[52:53], v[52:53], -v[58:59]
	v_add_f64_e64 v[44:45], v[50:51], -v[44:45]
	s_delay_alu instid0(VALU_DEP_2) | instskip(NEXT) | instid1(VALU_DEP_1)
	v_add_f64_e64 v[52:53], v[52:53], -v[56:57]
	v_add_f64_e32 v[36:37], v[36:37], v[52:53]
	s_delay_alu instid0(VALU_DEP_1) | instskip(NEXT) | instid1(VALU_DEP_1)
	v_add_f64_e32 v[36:37], v[44:45], v[36:37]
	v_add_f64_e32 v[44:45], v[58:59], v[36:37]
	s_delay_alu instid0(VALU_DEP_1) | instskip(SKIP_1) | instid1(VALU_DEP_2)
	v_mul_f64_e32 v[50:51], v[48:49], v[44:45]
	v_add_f64_e64 v[56:57], v[58:59], -v[44:45]
	v_mul_f64_e32 v[52:53], v[46:47], v[50:51]
	s_delay_alu instid0(VALU_DEP_2) | instskip(NEXT) | instid1(VALU_DEP_2)
	v_add_f64_e32 v[36:37], v[36:37], v[56:57]
	v_fma_f64 v[46:47], v[50:51], v[46:47], -v[52:53]
	s_delay_alu instid0(VALU_DEP_1) | instskip(NEXT) | instid1(VALU_DEP_1)
	v_fmac_f64_e32 v[46:47], v[50:51], v[42:43]
	v_add_f64_e32 v[42:43], v[52:53], v[46:47]
	s_delay_alu instid0(VALU_DEP_1) | instskip(SKIP_1) | instid1(VALU_DEP_2)
	v_add_f64_e64 v[54:55], v[44:45], -v[42:43]
	v_add_f64_e64 v[52:53], v[42:43], -v[52:53]
	;; [unrolled: 1-line block ×3, first 2 shown]
	s_delay_alu instid0(VALU_DEP_1) | instskip(NEXT) | instid1(VALU_DEP_3)
	v_add_f64_e64 v[42:43], v[44:45], -v[42:43]
	v_add_f64_e64 v[44:45], v[52:53], -v[46:47]
	v_max_num_f64_e64 v[46:47], |v[14:15]|, |v[14:15]|
	s_delay_alu instid0(VALU_DEP_3) | instskip(SKIP_1) | instid1(VALU_DEP_2)
	v_add_f64_e32 v[36:37], v[36:37], v[42:43]
	v_add_f64_e32 v[42:43], v[38:39], v[50:51]
	;; [unrolled: 1-line block ×3, first 2 shown]
	s_delay_alu instid0(VALU_DEP_2) | instskip(SKIP_1) | instid1(VALU_DEP_3)
	v_add_f64_e64 v[38:39], v[42:43], -v[38:39]
	v_max_num_f64_e64 v[44:45], |v[16:17]|, |v[16:17]|
	v_add_f64_e32 v[36:37], v[54:55], v[36:37]
	s_delay_alu instid0(VALU_DEP_3) | instskip(NEXT) | instid1(VALU_DEP_2)
	v_add_f64_e64 v[38:39], v[50:51], -v[38:39]
	v_mul_f64_e32 v[36:37], v[48:49], v[36:37]
	s_delay_alu instid0(VALU_DEP_1) | instskip(SKIP_2) | instid1(VALU_DEP_3)
	v_add_f64_e32 v[36:37], v[38:39], v[36:37]
	v_max_num_f64_e32 v[38:39], v[46:47], v[44:45]
	v_min_num_f64_e32 v[44:45], v[46:47], v[44:45]
	v_add_f64_e32 v[46:47], v[42:43], v[36:37]
	s_delay_alu instid0(VALU_DEP_2) | instskip(NEXT) | instid1(VALU_DEP_2)
	v_div_scale_f64 v[48:49], null, v[38:39], v[38:39], v[44:45]
	v_mul_f64_e32 v[50:51], v[46:47], v[46:47]
	v_add_f64_e64 v[42:43], v[46:47], -v[42:43]
	s_delay_alu instid0(VALU_DEP_3) | instskip(NEXT) | instid1(VALU_DEP_2)
	v_rcp_f64_e32 v[52:53], v[48:49]
	v_fmamk_f64 v[54:55], v[50:51], 0x3fc3ab76bf559e2b, v[24:25]
	v_mul_f64_e32 v[56:57], v[46:47], v[50:51]
	s_delay_alu instid0(VALU_DEP_3) | instskip(NEXT) | instid1(VALU_DEP_3)
	v_add_f64_e64 v[36:37], v[36:37], -v[42:43]
	v_fmaak_f64 v[54:55], v[50:51], v[54:55], 0x3fc7474dd7f4df2e
	s_delay_alu instid0(TRANS32_DEP_1) | instskip(NEXT) | instid1(VALU_DEP_2)
	v_fma_f64 v[58:59], -v[48:49], v[52:53], 1.0
	v_fmaak_f64 v[54:55], v[50:51], v[54:55], 0x3fcc71c016291751
	s_delay_alu instid0(VALU_DEP_1) | instskip(NEXT) | instid1(VALU_DEP_1)
	v_fmaak_f64 v[54:55], v[50:51], v[54:55], 0x3fd249249b27acf1
	v_fmaak_f64 v[54:55], v[50:51], v[54:55], 0x3fd99999998ef7b6
	v_ldexp_f64 v[36:37], v[36:37], 1
	s_delay_alu instid0(VALU_DEP_2) | instskip(SKIP_2) | instid1(VALU_DEP_3)
	v_fmaak_f64 v[50:51], v[50:51], v[54:55], 0x3fe5555555555780
	v_ldexp_f64 v[54:55], v[46:47], 1
	v_fmac_f64_e32 v[52:53], v[52:53], v[58:59]
	v_mul_f64_e32 v[50:51], v[56:57], v[50:51]
	v_cvt_f64_i32_e32 v[56:57], v21
	v_ashrrev_i32_e32 v21, 31, v15
	s_delay_alu instid0(VALU_DEP_4) | instskip(NEXT) | instid1(VALU_DEP_4)
	v_fma_f64 v[58:59], -v[48:49], v[52:53], 1.0
	v_add_f64_e32 v[46:47], v[54:55], v[50:51]
	s_delay_alu instid0(VALU_DEP_4) | instskip(NEXT) | instid1(VALU_DEP_3)
	v_mul_f64_e32 v[60:61], 0x3fe62e42fefa39ef, v[56:57]
	v_fmac_f64_e32 v[52:53], v[52:53], v[58:59]
	s_delay_alu instid0(VALU_DEP_3) | instskip(SKIP_1) | instid1(VALU_DEP_4)
	v_add_f64_e64 v[42:43], v[46:47], -v[54:55]
	v_div_scale_f64 v[54:55], vcc_lo, v[44:45], v[38:39], v[44:45]
	v_fma_f64 v[58:59], v[56:57], s[30:31], -v[60:61]
	s_delay_alu instid0(VALU_DEP_3) | instskip(NEXT) | instid1(VALU_DEP_3)
	v_add_f64_e64 v[42:43], v[50:51], -v[42:43]
	v_mul_f64_e32 v[50:51], v[54:55], v[52:53]
	s_delay_alu instid0(VALU_DEP_3) | instskip(NEXT) | instid1(VALU_DEP_3)
	v_fmac_f64_e32 v[58:59], 0x3c7abc9e3b39803f, v[56:57]
	v_add_f64_e32 v[36:37], v[36:37], v[42:43]
	s_delay_alu instid0(VALU_DEP_3) | instskip(NEXT) | instid1(VALU_DEP_3)
	v_fma_f64 v[42:43], -v[48:49], v[50:51], v[54:55]
	v_add_f64_e32 v[48:49], v[60:61], v[58:59]
	s_delay_alu instid0(VALU_DEP_3) | instskip(NEXT) | instid1(VALU_DEP_3)
	v_add_f64_e32 v[54:55], v[46:47], v[36:37]
	v_div_fmas_f64 v[42:43], v[42:43], v[52:53], v[50:51]
	v_cmp_gt_i32_e32 vcc_lo, 0, v15
	s_delay_alu instid0(VALU_DEP_4) | instskip(SKIP_2) | instid1(VALU_DEP_1)
	v_add_f64_e64 v[52:53], v[48:49], -v[60:61]
	v_and_b32_e32 v15, 0x400921fb, v21
	v_cndmask_b32_e32 v14, 0x3fe921fb, v69, vcc_lo
	v_bfi_b32 v14, 0x7fffffff, v14, v17
	v_add_f64_e32 v[50:51], v[48:49], v[54:55]
	v_div_fixup_f64 v[38:39], v[42:43], v[38:39], v[44:45]
	v_add_f64_e64 v[46:47], v[54:55], -v[46:47]
	v_add_f64_e64 v[52:53], v[58:59], -v[52:53]
	s_delay_alu instid0(VALU_DEP_4) | instskip(NEXT) | instid1(VALU_DEP_4)
	v_add_f64_e64 v[42:43], v[50:51], -v[48:49]
	v_mul_f64_e32 v[44:45], v[38:39], v[38:39]
	s_delay_alu instid0(VALU_DEP_4) | instskip(NEXT) | instid1(VALU_DEP_3)
	v_add_f64_e64 v[36:37], v[36:37], -v[46:47]
	v_add_f64_e64 v[56:57], v[50:51], -v[42:43]
	s_delay_alu instid0(VALU_DEP_3) | instskip(SKIP_1) | instid1(VALU_DEP_4)
	v_fmamk_f64 v[60:61], v[44:45], 0x3eeba404b5e68a13, v[26:27]
	v_add_f64_e64 v[42:43], v[54:55], -v[42:43]
	v_add_f64_e32 v[54:55], v[52:53], v[36:37]
	s_delay_alu instid0(VALU_DEP_3) | instskip(SKIP_1) | instid1(VALU_DEP_2)
	v_fmaak_f64 v[60:61], v[44:45], v[60:61], 0x3f4b2bb069efb384
	v_add_f64_e64 v[46:47], v[48:49], -v[56:57]
	v_fmaak_f64 v[48:49], v[44:45], v[60:61], 0xbf67952daf56de9b
	s_delay_alu instid0(VALU_DEP_1) | instskip(NEXT) | instid1(VALU_DEP_1)
	v_fmaak_f64 v[48:49], v[44:45], v[48:49], 0x3f7d6d43a595c56f
	v_fmaak_f64 v[48:49], v[44:45], v[48:49], 0xbf8c6ea4a57d9582
	s_delay_alu instid0(VALU_DEP_1) | instskip(NEXT) | instid1(VALU_DEP_1)
	v_fmaak_f64 v[48:49], v[44:45], v[48:49], 0x3f967e295f08b19f
	v_fmaak_f64 v[48:49], v[44:45], v[48:49], 0xbf9e9ae6fc27006a
	v_add_f64_e32 v[42:43], v[42:43], v[46:47]
	s_delay_alu instid0(VALU_DEP_2) | instskip(SKIP_1) | instid1(VALU_DEP_2)
	v_fmaak_f64 v[46:47], v[44:45], v[48:49], 0x3fa2c15b5711927a
	v_add_f64_e64 v[48:49], v[54:55], -v[52:53]
	v_fmaak_f64 v[46:47], v[44:45], v[46:47], 0xbfa59976e82d3ff0
	s_delay_alu instid0(VALU_DEP_1) | instskip(NEXT) | instid1(VALU_DEP_1)
	v_fmaak_f64 v[46:47], v[44:45], v[46:47], 0x3fa82d5d6ef28734
	v_fmaak_f64 v[46:47], v[44:45], v[46:47], 0xbfaae5ce6a214619
	s_delay_alu instid0(VALU_DEP_1) | instskip(SKIP_3) | instid1(VALU_DEP_4)
	v_fmaak_f64 v[46:47], v[44:45], v[46:47], 0x3fae1bb48427b883
	v_add_f64_e32 v[42:43], v[54:55], v[42:43]
	v_add_f64_e64 v[54:55], v[54:55], -v[48:49]
	v_add_f64_e64 v[36:37], v[36:37], -v[48:49]
	v_fmaak_f64 v[46:47], v[44:45], v[46:47], 0xbfb110e48b207f05
	s_delay_alu instid0(VALU_DEP_1) | instskip(NEXT) | instid1(VALU_DEP_1)
	v_fmaak_f64 v[46:47], v[44:45], v[46:47], 0x3fb3b13657b87036
	v_fmaak_f64 v[46:47], v[44:45], v[46:47], 0xbfb745d119378e4f
	s_delay_alu instid0(VALU_DEP_1) | instskip(SKIP_1) | instid1(VALU_DEP_2)
	v_fmaak_f64 v[46:47], v[44:45], v[46:47], 0x3fbc71c717e1913c
	v_add_f64_e32 v[56:57], v[50:51], v[42:43]
	v_fmaak_f64 v[46:47], v[44:45], v[46:47], 0xbfc2492492376b7d
	s_delay_alu instid0(VALU_DEP_1) | instskip(NEXT) | instid1(VALU_DEP_1)
	v_fmaak_f64 v[46:47], v[44:45], v[46:47], 0x3fc99999999952cc
	v_fmaak_f64 v[46:47], v[44:45], v[46:47], 0xbfd5555555555523
	s_delay_alu instid0(VALU_DEP_1) | instskip(SKIP_2) | instid1(VALU_DEP_3)
	v_mul_f64_e32 v[44:45], v[44:45], v[46:47]
	v_add_f64_e64 v[46:47], v[52:53], -v[54:55]
	v_add_f64_e64 v[48:49], v[56:57], -v[50:51]
	v_fmac_f64_e32 v[38:39], v[38:39], v[44:45]
	s_delay_alu instid0(VALU_DEP_3) | instskip(NEXT) | instid1(VALU_DEP_3)
	v_add_f64_e32 v[36:37], v[36:37], v[46:47]
	v_add_f64_e64 v[42:43], v[42:43], -v[48:49]
	s_delay_alu instid0(VALU_DEP_3) | instskip(NEXT) | instid1(VALU_DEP_1)
	v_add_f64_e64 v[44:45], -v[38:39], s[38:39]
	v_dual_add_f64 v[36:37], v[36:37], v[42:43] :: v_dual_cndmask_b32 v39, v39, v45, s4
	s_delay_alu instid0(VALU_DEP_2) | instskip(SKIP_2) | instid1(VALU_DEP_3)
	v_cndmask_b32_e64 v38, v38, v44, s4
	v_and_b32_e32 v45, 0x54442d18, v21
	v_cndmask_b32_e32 v44, 0x54442d18, v68, vcc_lo
	v_add_f64_e64 v[42:43], -v[38:39], s[40:41]
	s_delay_alu instid0(VALU_DEP_1) | instskip(NEXT) | instid1(VALU_DEP_2)
	v_dual_add_f64 v[36:37], v[56:57], v[36:37] :: v_dual_cndmask_b32 v38, v38, v42, vcc_lo
	v_cndmask_b32_e32 v21, v39, v43, vcc_lo
	v_cmp_ngt_f64_e32 vcc_lo, -1.0, v[40:41]
	s_delay_alu instid0(VALU_DEP_3) | instskip(NEXT) | instid1(VALU_DEP_3)
	v_mul_f64_e32 v[36:37], 0.5, v[36:37]
	v_dual_cndmask_b32 v38, v38, v45, s5 :: v_dual_cndmask_b32 v15, v21, v15, s5
	s_and_b32 s5, s6, s7
	s_delay_alu instid0(VALU_DEP_2) | instid1(SALU_CYCLE_1)
	v_cndmask_b32_e64 v36, 0, v36, s5
	v_cmp_neq_f64_e64 s5, -1.0, v[40:41]
	s_delay_alu instid0(VALU_DEP_4) | instskip(NEXT) | instid1(VALU_DEP_1)
	v_cndmask_b32_e64 v37, 0x7ff00000, v37, s7
	v_cndmask_b32_e32 v21, 0x7ff80000, v37, vcc_lo
	s_and_b32 vcc_lo, s8, s9
	v_dual_cndmask_b32 v39, v15, v14 :: v_dual_cndmask_b32 v38, v38, v44
	s_delay_alu instid0(VALU_DEP_2)
	v_cndmask_b32_e64 v37, 0xfff00000, v21, s5
.LBB179_166:                            ;   in Loop: Header=BB179_145 Depth=1
	s_or_b32 exec_lo, exec_lo, s57
.LBB179_167:                            ;   in Loop: Header=BB179_145 Depth=1
	s_delay_alu instid0(SALU_CYCLE_1)
	s_or_b32 exec_lo, exec_lo, s56
.LBB179_168:                            ;   in Loop: Header=BB179_145 Depth=1
	s_and_not1_saveexec_b32 s7, s55
	s_cbranch_execz .LBB179_170
; %bb.169:                              ;   in Loop: Header=BB179_145 Depth=1
	v_max_num_f64_e64 v[36:37], |v[16:17]|, |v[16:17]|
	v_max_num_f64_e64 v[38:39], |v[14:15]|, |v[14:15]|
	v_cmp_class_f64_e64 s8, v[14:15], 0x204
	v_cmp_class_f64_e64 s9, v[16:17], 0x204
	v_cmp_eq_f64_e64 s6, 0, v[16:17]
	s_delay_alu instid0(VALU_DEP_4) | instskip(SKIP_2) | instid1(VALU_DEP_2)
	v_max_num_f64_e32 v[40:41], v[38:39], v[36:37]
	v_min_num_f64_e32 v[36:37], v[38:39], v[36:37]
	s_or_b32 s5, s9, s8
	v_frexp_exp_i32_f64_e32 v21, v[40:41]
	s_delay_alu instid0(VALU_DEP_1) | instskip(NEXT) | instid1(VALU_DEP_1)
	v_sub_nc_u32_e32 v44, 0, v21
	v_ldexp_f64 v[42:43], |v[16:17]|, v44
	s_delay_alu instid0(VALU_DEP_1) | instskip(SKIP_1) | instid1(VALU_DEP_1)
	v_mul_f64_e32 v[42:43], v[42:43], v[42:43]
	v_ldexp_f64 v[44:45], |v[14:15]|, v44
	v_fmac_f64_e32 v[42:43], v[44:45], v[44:45]
	s_delay_alu instid0(VALU_DEP_1) | instskip(SKIP_1) | instid1(TRANS32_DEP_1)
	v_rsq_f64_e32 v[44:45], v[42:43]
	v_cmp_eq_f64_e32 vcc_lo, 0, v[42:43]
	v_mul_f64_e32 v[46:47], v[42:43], v[44:45]
	v_mul_f64_e32 v[44:45], 0.5, v[44:45]
	s_delay_alu instid0(VALU_DEP_1) | instskip(NEXT) | instid1(VALU_DEP_1)
	v_fma_f64 v[48:49], -v[44:45], v[46:47], 0.5
	v_fmac_f64_e32 v[46:47], v[46:47], v[48:49]
	v_fmac_f64_e32 v[44:45], v[44:45], v[48:49]
	s_delay_alu instid0(VALU_DEP_2) | instskip(NEXT) | instid1(VALU_DEP_1)
	v_fma_f64 v[48:49], -v[46:47], v[46:47], v[42:43]
	v_fmac_f64_e32 v[46:47], v[48:49], v[44:45]
	s_delay_alu instid0(VALU_DEP_1) | instskip(NEXT) | instid1(VALU_DEP_1)
	v_dual_cndmask_b32 v43, v47, v43 :: v_dual_cndmask_b32 v42, v46, v42
	v_ldexp_f64 v[42:43], v[42:43], v21
	v_ashrrev_i32_e32 v21, 31, v15
	s_delay_alu instid0(VALU_DEP_2) | instskip(NEXT) | instid1(VALU_DEP_3)
	v_cndmask_b32_e64 v43, v43, 0x7ff00000, s5
	v_cndmask_b32_e64 v42, v42, 0, s5
	s_delay_alu instid0(VALU_DEP_1) | instskip(SKIP_1) | instid1(VALU_DEP_2)
	v_frexp_mant_f64_e32 v[44:45], v[42:43]
	v_cmp_class_f64_e64 s5, v[42:43], 0x204
	v_cmp_gt_f64_e32 vcc_lo, s[28:29], v[44:45]
	v_cndmask_b32_e64 v14, 0, 1, vcc_lo
	s_delay_alu instid0(VALU_DEP_1) | instskip(SKIP_1) | instid1(VALU_DEP_2)
	v_ldexp_f64 v[44:45], v[44:45], v14
	v_frexp_exp_i32_f64_e32 v14, v[42:43]
	v_add_f64_e32 v[46:47], 1.0, v[44:45]
	v_add_f64_e32 v[52:53], -1.0, v[44:45]
	s_delay_alu instid0(VALU_DEP_3) | instskip(SKIP_1) | instid1(VALU_DEP_4)
	v_subrev_co_ci_u32_e64 v14, null, 0, v14, vcc_lo
	v_div_scale_f64 v[60:61], vcc_lo, v[36:37], v[40:41], v[36:37]
	v_rcp_f64_e32 v[48:49], v[46:47]
	v_add_f64_e32 v[54:55], -1.0, v[46:47]
	s_delay_alu instid0(VALU_DEP_1) | instskip(NEXT) | instid1(TRANS32_DEP_1)
	v_add_f64_e64 v[44:45], v[44:45], -v[54:55]
	v_fma_f64 v[50:51], -v[46:47], v[48:49], 1.0
	s_delay_alu instid0(VALU_DEP_1) | instskip(NEXT) | instid1(VALU_DEP_1)
	v_fmac_f64_e32 v[48:49], v[50:51], v[48:49]
	v_fma_f64 v[50:51], -v[46:47], v[48:49], 1.0
	s_delay_alu instid0(VALU_DEP_1) | instskip(NEXT) | instid1(VALU_DEP_1)
	v_fmac_f64_e32 v[48:49], v[50:51], v[48:49]
	v_mul_f64_e32 v[50:51], v[52:53], v[48:49]
	s_delay_alu instid0(VALU_DEP_1) | instskip(NEXT) | instid1(VALU_DEP_1)
	v_mul_f64_e32 v[56:57], v[46:47], v[50:51]
	v_fma_f64 v[46:47], v[50:51], v[46:47], -v[56:57]
	s_delay_alu instid0(VALU_DEP_1) | instskip(NEXT) | instid1(VALU_DEP_1)
	v_fmac_f64_e32 v[46:47], v[50:51], v[44:45]
	v_add_f64_e32 v[44:45], v[56:57], v[46:47]
	s_delay_alu instid0(VALU_DEP_1) | instskip(SKIP_1) | instid1(VALU_DEP_2)
	v_add_f64_e64 v[54:55], v[52:53], -v[44:45]
	v_add_f64_e64 v[56:57], v[44:45], -v[56:57]
	;; [unrolled: 1-line block ×3, first 2 shown]
	s_delay_alu instid0(VALU_DEP_2) | instskip(NEXT) | instid1(VALU_DEP_2)
	v_add_f64_e64 v[46:47], v[56:57], -v[46:47]
	v_add_f64_e64 v[44:45], v[52:53], -v[44:45]
	s_delay_alu instid0(VALU_DEP_1) | instskip(NEXT) | instid1(VALU_DEP_1)
	v_add_f64_e32 v[44:45], v[46:47], v[44:45]
	v_add_f64_e32 v[44:45], v[54:55], v[44:45]
	s_delay_alu instid0(VALU_DEP_1) | instskip(SKIP_1) | instid1(VALU_DEP_2)
	v_mul_f64_e32 v[38:39], v[48:49], v[44:45]
	v_div_scale_f64 v[44:45], null, v[40:41], v[40:41], v[36:37]
	v_add_f64_e32 v[46:47], v[50:51], v[38:39]
	s_delay_alu instid0(VALU_DEP_2) | instskip(NEXT) | instid1(VALU_DEP_1)
	v_rcp_f64_e32 v[48:49], v[44:45]
	v_mul_f64_e32 v[52:53], v[46:47], v[46:47]
	s_delay_alu instid0(TRANS32_DEP_1) | instskip(NEXT) | instid1(VALU_DEP_2)
	v_fma_f64 v[56:57], -v[44:45], v[48:49], 1.0
	v_fmamk_f64 v[54:55], v[52:53], 0x3fc3ab76bf559e2b, v[24:25]
	v_mul_f64_e32 v[58:59], v[46:47], v[52:53]
	s_delay_alu instid0(VALU_DEP_2) | instskip(NEXT) | instid1(VALU_DEP_4)
	v_fmaak_f64 v[54:55], v[52:53], v[54:55], 0x3fc7474dd7f4df2e
	v_fmac_f64_e32 v[48:49], v[48:49], v[56:57]
	s_delay_alu instid0(VALU_DEP_2) | instskip(NEXT) | instid1(VALU_DEP_1)
	v_fmaak_f64 v[54:55], v[52:53], v[54:55], 0x3fcc71c016291751
	v_fmaak_f64 v[54:55], v[52:53], v[54:55], 0x3fd249249b27acf1
	s_delay_alu instid0(VALU_DEP_1) | instskip(NEXT) | instid1(VALU_DEP_1)
	v_fmaak_f64 v[54:55], v[52:53], v[54:55], 0x3fd99999998ef7b6
	v_fmaak_f64 v[52:53], v[52:53], v[54:55], 0x3fe5555555555780
	v_ldexp_f64 v[54:55], v[46:47], 1
	v_add_f64_e64 v[46:47], v[46:47], -v[50:51]
	v_fma_f64 v[56:57], -v[44:45], v[48:49], 1.0
	s_delay_alu instid0(VALU_DEP_4) | instskip(SKIP_1) | instid1(VALU_DEP_4)
	v_mul_f64_e32 v[52:53], v[58:59], v[52:53]
	v_cvt_f64_i32_e32 v[58:59], v14
	v_add_f64_e64 v[38:39], v[38:39], -v[46:47]
	s_delay_alu instid0(VALU_DEP_4) | instskip(NEXT) | instid1(VALU_DEP_4)
	v_fmac_f64_e32 v[48:49], v[48:49], v[56:57]
	v_add_f64_e32 v[50:51], v[54:55], v[52:53]
	s_delay_alu instid0(VALU_DEP_4) | instskip(NEXT) | instid1(VALU_DEP_4)
	v_mul_f64_e32 v[56:57], 0x3fe62e42fefa39ef, v[58:59]
	v_ldexp_f64 v[38:39], v[38:39], 1
	s_delay_alu instid0(VALU_DEP_3) | instskip(SKIP_1) | instid1(VALU_DEP_4)
	v_add_f64_e64 v[46:47], v[50:51], -v[54:55]
	v_mul_f64_e32 v[54:55], v[60:61], v[48:49]
	v_fma_f64 v[62:63], v[58:59], s[30:31], -v[56:57]
	s_delay_alu instid0(VALU_DEP_3) | instskip(NEXT) | instid1(VALU_DEP_3)
	v_add_f64_e64 v[46:47], v[52:53], -v[46:47]
	v_fma_f64 v[44:45], -v[44:45], v[54:55], v[60:61]
	s_delay_alu instid0(VALU_DEP_3) | instskip(NEXT) | instid1(VALU_DEP_3)
	v_fmac_f64_e32 v[62:63], 0x3c7abc9e3b39803f, v[58:59]
	v_add_f64_e32 v[38:39], v[38:39], v[46:47]
	s_delay_alu instid0(VALU_DEP_3) | instskip(NEXT) | instid1(VALU_DEP_3)
	v_div_fmas_f64 v[44:45], v[44:45], v[48:49], v[54:55]
	v_add_f64_e32 v[46:47], v[56:57], v[62:63]
	v_cmp_gt_i32_e32 vcc_lo, 0, v15
	s_delay_alu instid0(VALU_DEP_4) | instskip(NEXT) | instid1(VALU_DEP_4)
	v_add_f64_e32 v[48:49], v[50:51], v[38:39]
	v_div_fixup_f64 v[36:37], v[44:45], v[40:41], v[36:37]
	s_delay_alu instid0(VALU_DEP_4) | instskip(NEXT) | instid1(VALU_DEP_3)
	v_add_f64_e64 v[56:57], v[46:47], -v[56:57]
	v_add_f64_e32 v[40:41], v[46:47], v[48:49]
	s_delay_alu instid0(VALU_DEP_3) | instskip(SKIP_1) | instid1(VALU_DEP_4)
	v_mul_f64_e32 v[44:45], v[36:37], v[36:37]
	v_add_f64_e64 v[50:51], v[48:49], -v[50:51]
	v_add_f64_e64 v[56:57], v[62:63], -v[56:57]
	s_delay_alu instid0(VALU_DEP_4) | instskip(NEXT) | instid1(VALU_DEP_4)
	v_add_f64_e64 v[52:53], v[40:41], -v[46:47]
	v_fmamk_f64 v[54:55], v[44:45], 0x3eeba404b5e68a13, v[26:27]
	s_delay_alu instid0(VALU_DEP_4) | instskip(NEXT) | instid1(VALU_DEP_2)
	v_add_f64_e64 v[38:39], v[38:39], -v[50:51]
	v_fmaak_f64 v[54:55], v[44:45], v[54:55], 0x3f4b2bb069efb384
	s_delay_alu instid0(VALU_DEP_1) | instskip(NEXT) | instid1(VALU_DEP_1)
	v_fmaak_f64 v[54:55], v[44:45], v[54:55], 0xbf67952daf56de9b
	v_fmaak_f64 v[54:55], v[44:45], v[54:55], 0x3f7d6d43a595c56f
	s_delay_alu instid0(VALU_DEP_1) | instskip(SKIP_3) | instid1(VALU_DEP_4)
	v_fmaak_f64 v[54:55], v[44:45], v[54:55], 0xbf8c6ea4a57d9582
	v_add_f64_e64 v[58:59], v[40:41], -v[52:53]
	v_add_f64_e64 v[48:49], v[48:49], -v[52:53]
	v_add_f64_e32 v[52:53], v[56:57], v[38:39]
	v_fmaak_f64 v[54:55], v[44:45], v[54:55], 0x3f967e295f08b19f
	s_delay_alu instid0(VALU_DEP_1) | instskip(NEXT) | instid1(VALU_DEP_1)
	v_fmaak_f64 v[50:51], v[44:45], v[54:55], 0xbf9e9ae6fc27006a
	v_fmaak_f64 v[50:51], v[44:45], v[50:51], 0x3fa2c15b5711927a
	s_delay_alu instid0(VALU_DEP_1) | instskip(NEXT) | instid1(VALU_DEP_1)
	v_fmaak_f64 v[50:51], v[44:45], v[50:51], 0xbfa59976e82d3ff0
	v_fmaak_f64 v[50:51], v[44:45], v[50:51], 0x3fa82d5d6ef28734
	v_add_f64_e64 v[46:47], v[46:47], -v[58:59]
	s_delay_alu instid0(VALU_DEP_2) | instskip(NEXT) | instid1(VALU_DEP_2)
	v_fmaak_f64 v[50:51], v[44:45], v[50:51], 0xbfaae5ce6a214619
	v_add_f64_e32 v[46:47], v[48:49], v[46:47]
	s_delay_alu instid0(VALU_DEP_2) | instskip(SKIP_1) | instid1(VALU_DEP_2)
	v_fmaak_f64 v[48:49], v[44:45], v[50:51], 0x3fae1bb48427b883
	v_add_f64_e64 v[50:51], v[52:53], -v[56:57]
	v_fmaak_f64 v[48:49], v[44:45], v[48:49], 0xbfb110e48b207f05
	s_delay_alu instid0(VALU_DEP_1) | instskip(NEXT) | instid1(VALU_DEP_1)
	v_fmaak_f64 v[48:49], v[44:45], v[48:49], 0x3fb3b13657b87036
	v_fmaak_f64 v[48:49], v[44:45], v[48:49], 0xbfb745d119378e4f
	s_delay_alu instid0(VALU_DEP_1) | instskip(SKIP_2) | instid1(VALU_DEP_3)
	v_fmaak_f64 v[48:49], v[44:45], v[48:49], 0x3fbc71c717e1913c
	v_add_f64_e32 v[46:47], v[52:53], v[46:47]
	v_add_f64_e64 v[38:39], v[38:39], -v[50:51]
	v_fmaak_f64 v[48:49], v[44:45], v[48:49], 0xbfc2492492376b7d
	s_delay_alu instid0(VALU_DEP_1) | instskip(NEXT) | instid1(VALU_DEP_1)
	v_fmaak_f64 v[48:49], v[44:45], v[48:49], 0x3fc99999999952cc
	v_fmaak_f64 v[48:49], v[44:45], v[48:49], 0xbfd5555555555523
	s_delay_alu instid0(VALU_DEP_1) | instskip(SKIP_2) | instid1(VALU_DEP_3)
	v_mul_f64_e32 v[44:45], v[44:45], v[48:49]
	v_add_f64_e64 v[48:49], v[52:53], -v[50:51]
	v_add_f64_e32 v[52:53], v[40:41], v[46:47]
	v_fmac_f64_e32 v[36:37], v[36:37], v[44:45]
	s_delay_alu instid0(VALU_DEP_3) | instskip(NEXT) | instid1(VALU_DEP_3)
	v_add_f64_e64 v[44:45], v[56:57], -v[48:49]
	v_add_f64_e64 v[40:41], v[52:53], -v[40:41]
	s_delay_alu instid0(VALU_DEP_3) | instskip(NEXT) | instid1(VALU_DEP_3)
	v_add_f64_e64 v[48:49], -v[36:37], s[38:39]
	v_add_f64_e32 v[38:39], v[38:39], v[44:45]
	v_cndmask_b32_e32 v44, 0x54442d18, v68, vcc_lo
	v_and_b32_e32 v45, 0x54442d18, v21
	v_and_b32_e32 v21, 0x400921fb, v21
	v_add_f64_e64 v[40:41], v[46:47], -v[40:41]
	v_dual_cndmask_b32 v37, v37, v49, s4 :: v_dual_cndmask_b32 v36, v36, v48, s4
	s_delay_alu instid0(VALU_DEP_2) | instskip(NEXT) | instid1(VALU_DEP_2)
	v_add_f64_e32 v[38:39], v[38:39], v[40:41]
	v_add_f64_e64 v[40:41], -v[36:37], s[40:41]
	s_delay_alu instid0(VALU_DEP_2) | instskip(NEXT) | instid1(VALU_DEP_2)
	v_add_f64_e32 v[14:15], v[52:53], v[38:39]
	v_cndmask_b32_e32 v36, v36, v40, vcc_lo
	v_cndmask_b32_e32 v38, 0x3fe921fb, v69, vcc_lo
	s_delay_alu instid0(VALU_DEP_4) | instskip(SKIP_1) | instid1(VALU_DEP_4)
	v_cndmask_b32_e32 v37, v37, v41, vcc_lo
	v_cmp_ngt_f64_e32 vcc_lo, 0, v[42:43]
	v_cndmask_b32_e64 v40, v36, v45, s6
	s_delay_alu instid0(VALU_DEP_4) | instskip(NEXT) | instid1(VALU_DEP_4)
	v_bfi_b32 v38, 0x7fffffff, v38, v17
	v_dual_cndmask_b32 v21, v37, v21, s6 :: v_dual_cndmask_b32 v14, v14, v42, s5
	v_cndmask_b32_e64 v15, v15, v43, s5
	v_cmp_nge_f64_e64 s5, 0, v[42:43]
	s_delay_alu instid0(VALU_DEP_2) | instskip(SKIP_4) | instid1(VALU_DEP_1)
	v_cndmask_b32_e32 v15, 0x7ff80000, v15, vcc_lo
	s_and_b32 vcc_lo, s9, s8
	v_dual_cndmask_b32 v39, v21, v38 :: v_dual_cndmask_b32 v38, v40, v44
	v_cndmask_b32_e64 v36, 0, v14, s5
	v_cmp_neq_f64_e64 s5, 0, v[42:43]
	v_cndmask_b32_e64 v37, 0xfff00000, v15, s5
.LBB179_170:                            ;   in Loop: Header=BB179_145 Depth=1
	s_or_b32 exec_lo, exec_lo, s7
                                        ; implicit-def: $vgpr42_vgpr43
.LBB179_171:                            ;   in Loop: Header=BB179_145 Depth=1
	s_and_not1_saveexec_b32 s7, s54
	s_cbranch_execz .LBB179_177
; %bb.172:                              ;   in Loop: Header=BB179_145 Depth=1
                                        ; implicit-def: $vgpr36_vgpr37
                                        ; implicit-def: $vgpr38_vgpr39
	s_mov_b32 s5, exec_lo
	v_cmpx_ngt_f64_e32 s[44:45], v[42:43]
	s_xor_b32 s8, exec_lo, s5
	s_cbranch_execz .LBB179_174
; %bb.173:                              ;   in Loop: Header=BB179_145 Depth=1
	v_mul_f64_e32 v[36:37], v[42:43], v[42:43]
	v_cmp_eq_f64_e64 s5, 0, v[16:17]
	v_cmp_class_f64_e64 s9, v[16:17], 0x204
	v_cmp_class_f64_e64 s10, v[14:15], 0x204
	s_delay_alu instid0(VALU_DEP_4) | instskip(NEXT) | instid1(VALU_DEP_1)
	v_add_f64_e32 v[38:39], 1.0, v[36:37]
	v_frexp_mant_f64_e32 v[40:41], v[38:39]
	v_frexp_exp_i32_f64_e32 v21, v[38:39]
	v_add_f64_e32 v[42:43], -1.0, v[38:39]
	s_delay_alu instid0(VALU_DEP_3) | instskip(NEXT) | instid1(VALU_DEP_2)
	v_cmp_gt_f64_e32 vcc_lo, s[28:29], v[40:41]
	v_add_f64_e64 v[40:41], v[42:43], -v[38:39]
	s_delay_alu instid0(VALU_DEP_4) | instskip(NEXT) | instid1(VALU_DEP_1)
	v_subrev_co_ci_u32_e64 v21, null, 0, v21, vcc_lo
	v_dual_add_f64 v[42:43], v[36:37], -v[42:43] :: v_dual_sub_nc_u32 v46, 0, v21
	v_cmp_neq_f64_e64 s6, 0x7ff00000, v[36:37]
	s_delay_alu instid0(VALU_DEP_4) | instskip(NEXT) | instid1(VALU_DEP_3)
	v_add_f64_e32 v[40:41], 1.0, v[40:41]
	v_ldexp_f64 v[38:39], v[38:39], v46
	s_delay_alu instid0(VALU_DEP_2) | instskip(NEXT) | instid1(VALU_DEP_2)
	v_add_f64_e32 v[40:41], v[42:43], v[40:41]
	v_add_f64_e32 v[44:45], 1.0, v[38:39]
	v_add_f64_e32 v[50:51], -1.0, v[38:39]
	s_delay_alu instid0(VALU_DEP_3) | instskip(NEXT) | instid1(VALU_DEP_3)
	v_ldexp_f64 v[40:41], v[40:41], v46
	v_add_f64_e32 v[42:43], -1.0, v[44:45]
	s_delay_alu instid0(VALU_DEP_3) | instskip(NEXT) | instid1(VALU_DEP_2)
	v_add_f64_e32 v[52:53], 1.0, v[50:51]
	v_add_f64_e64 v[42:43], v[38:39], -v[42:43]
	s_delay_alu instid0(VALU_DEP_2) | instskip(NEXT) | instid1(VALU_DEP_2)
	v_add_f64_e64 v[38:39], v[38:39], -v[52:53]
	v_add_f64_e32 v[42:43], v[40:41], v[42:43]
	s_delay_alu instid0(VALU_DEP_2) | instskip(NEXT) | instid1(VALU_DEP_2)
	v_add_f64_e32 v[38:39], v[40:41], v[38:39]
	v_add_f64_e32 v[46:47], v[44:45], v[42:43]
	s_delay_alu instid0(VALU_DEP_2) | instskip(NEXT) | instid1(VALU_DEP_2)
	v_add_f64_e32 v[52:53], v[50:51], v[38:39]
	v_rcp_f64_e32 v[48:49], v[46:47]
	v_add_f64_e64 v[44:45], v[44:45], -v[46:47]
	s_delay_alu instid0(VALU_DEP_2) | instskip(NEXT) | instid1(VALU_DEP_2)
	v_add_f64_e64 v[50:51], v[50:51], -v[52:53]
	v_add_f64_e32 v[42:43], v[42:43], v[44:45]
	s_delay_alu instid0(VALU_DEP_2) | instskip(NEXT) | instid1(TRANS32_DEP_1)
	v_add_f64_e32 v[38:39], v[38:39], v[50:51]
	v_fma_f64 v[54:55], -v[46:47], v[48:49], 1.0
	s_delay_alu instid0(VALU_DEP_1) | instskip(NEXT) | instid1(VALU_DEP_1)
	v_fmac_f64_e32 v[48:49], v[54:55], v[48:49]
	v_fma_f64 v[40:41], -v[46:47], v[48:49], 1.0
	s_delay_alu instid0(VALU_DEP_1) | instskip(NEXT) | instid1(VALU_DEP_1)
	v_fmac_f64_e32 v[48:49], v[40:41], v[48:49]
	v_mul_f64_e32 v[40:41], v[52:53], v[48:49]
	s_delay_alu instid0(VALU_DEP_1) | instskip(NEXT) | instid1(VALU_DEP_1)
	v_mul_f64_e32 v[54:55], v[46:47], v[40:41]
	v_fma_f64 v[44:45], v[40:41], v[46:47], -v[54:55]
	s_delay_alu instid0(VALU_DEP_1) | instskip(NEXT) | instid1(VALU_DEP_1)
	v_fmac_f64_e32 v[44:45], v[40:41], v[42:43]
	v_add_f64_e32 v[56:57], v[54:55], v[44:45]
	s_delay_alu instid0(VALU_DEP_1) | instskip(SKIP_1) | instid1(VALU_DEP_2)
	v_add_f64_e64 v[58:59], v[52:53], -v[56:57]
	v_add_f64_e64 v[50:51], v[56:57], -v[54:55]
	;; [unrolled: 1-line block ×3, first 2 shown]
	s_delay_alu instid0(VALU_DEP_2) | instskip(NEXT) | instid1(VALU_DEP_2)
	v_add_f64_e64 v[44:45], v[50:51], -v[44:45]
	v_add_f64_e64 v[52:53], v[52:53], -v[56:57]
	s_delay_alu instid0(VALU_DEP_1) | instskip(NEXT) | instid1(VALU_DEP_1)
	v_add_f64_e32 v[38:39], v[38:39], v[52:53]
	v_add_f64_e32 v[38:39], v[44:45], v[38:39]
	s_delay_alu instid0(VALU_DEP_1) | instskip(NEXT) | instid1(VALU_DEP_1)
	v_add_f64_e32 v[44:45], v[58:59], v[38:39]
	v_mul_f64_e32 v[50:51], v[48:49], v[44:45]
	v_add_f64_e64 v[56:57], v[58:59], -v[44:45]
	s_delay_alu instid0(VALU_DEP_2) | instskip(NEXT) | instid1(VALU_DEP_2)
	v_mul_f64_e32 v[52:53], v[46:47], v[50:51]
	v_add_f64_e32 v[38:39], v[38:39], v[56:57]
	s_delay_alu instid0(VALU_DEP_2) | instskip(NEXT) | instid1(VALU_DEP_1)
	v_fma_f64 v[46:47], v[50:51], v[46:47], -v[52:53]
	v_fmac_f64_e32 v[46:47], v[50:51], v[42:43]
	s_delay_alu instid0(VALU_DEP_1) | instskip(NEXT) | instid1(VALU_DEP_1)
	v_add_f64_e32 v[42:43], v[52:53], v[46:47]
	v_add_f64_e64 v[54:55], v[44:45], -v[42:43]
	v_add_f64_e64 v[52:53], v[42:43], -v[52:53]
	s_delay_alu instid0(VALU_DEP_2) | instskip(NEXT) | instid1(VALU_DEP_1)
	v_add_f64_e64 v[44:45], v[44:45], -v[54:55]
	v_add_f64_e64 v[42:43], v[44:45], -v[42:43]
	s_delay_alu instid0(VALU_DEP_3) | instskip(SKIP_1) | instid1(VALU_DEP_3)
	v_add_f64_e64 v[44:45], v[52:53], -v[46:47]
	v_max_num_f64_e64 v[46:47], |v[14:15]|, |v[14:15]|
	v_add_f64_e32 v[38:39], v[38:39], v[42:43]
	v_add_f64_e32 v[42:43], v[40:41], v[50:51]
	s_delay_alu instid0(VALU_DEP_2) | instskip(NEXT) | instid1(VALU_DEP_2)
	v_add_f64_e32 v[38:39], v[44:45], v[38:39]
	v_add_f64_e64 v[40:41], v[42:43], -v[40:41]
	v_max_num_f64_e64 v[44:45], |v[16:17]|, |v[16:17]|
	s_delay_alu instid0(VALU_DEP_3) | instskip(NEXT) | instid1(VALU_DEP_3)
	v_add_f64_e32 v[38:39], v[54:55], v[38:39]
	v_add_f64_e64 v[40:41], v[50:51], -v[40:41]
	s_delay_alu instid0(VALU_DEP_2) | instskip(NEXT) | instid1(VALU_DEP_1)
	v_mul_f64_e32 v[38:39], v[48:49], v[38:39]
	v_add_f64_e32 v[38:39], v[40:41], v[38:39]
	v_max_num_f64_e32 v[40:41], v[46:47], v[44:45]
	v_min_num_f64_e32 v[44:45], v[46:47], v[44:45]
	s_delay_alu instid0(VALU_DEP_3) | instskip(NEXT) | instid1(VALU_DEP_2)
	v_add_f64_e32 v[46:47], v[42:43], v[38:39]
	v_div_scale_f64 v[48:49], null, v[40:41], v[40:41], v[44:45]
	s_delay_alu instid0(VALU_DEP_2) | instskip(SKIP_1) | instid1(VALU_DEP_3)
	v_mul_f64_e32 v[50:51], v[46:47], v[46:47]
	v_add_f64_e64 v[42:43], v[46:47], -v[42:43]
	v_rcp_f64_e32 v[52:53], v[48:49]
	s_delay_alu instid0(VALU_DEP_2) | instskip(SKIP_1) | instid1(VALU_DEP_3)
	v_fmamk_f64 v[54:55], v[50:51], 0x3fc3ab76bf559e2b, v[24:25]
	v_mul_f64_e32 v[56:57], v[46:47], v[50:51]
	v_add_f64_e64 v[38:39], v[38:39], -v[42:43]
	s_delay_alu instid0(VALU_DEP_3) | instskip(NEXT) | instid1(TRANS32_DEP_1)
	v_fmaak_f64 v[54:55], v[50:51], v[54:55], 0x3fc7474dd7f4df2e
	v_fma_f64 v[58:59], -v[48:49], v[52:53], 1.0
	s_delay_alu instid0(VALU_DEP_2) | instskip(NEXT) | instid1(VALU_DEP_1)
	v_fmaak_f64 v[54:55], v[50:51], v[54:55], 0x3fcc71c016291751
	v_fmaak_f64 v[54:55], v[50:51], v[54:55], 0x3fd249249b27acf1
	s_delay_alu instid0(VALU_DEP_1) | instskip(SKIP_1) | instid1(VALU_DEP_2)
	v_fmaak_f64 v[54:55], v[50:51], v[54:55], 0x3fd99999998ef7b6
	v_ldexp_f64 v[38:39], v[38:39], 1
	v_fmaak_f64 v[50:51], v[50:51], v[54:55], 0x3fe5555555555780
	v_ldexp_f64 v[54:55], v[46:47], 1
	v_fmac_f64_e32 v[52:53], v[52:53], v[58:59]
	s_delay_alu instid0(VALU_DEP_3) | instskip(SKIP_2) | instid1(VALU_DEP_4)
	v_mul_f64_e32 v[50:51], v[56:57], v[50:51]
	v_cvt_f64_i32_e32 v[56:57], v21
	v_ashrrev_i32_e32 v21, 31, v15
	v_fma_f64 v[58:59], -v[48:49], v[52:53], 1.0
	s_delay_alu instid0(VALU_DEP_4) | instskip(NEXT) | instid1(VALU_DEP_4)
	v_add_f64_e32 v[46:47], v[54:55], v[50:51]
	v_mul_f64_e32 v[60:61], 0x3fe62e42fefa39ef, v[56:57]
	s_delay_alu instid0(VALU_DEP_3) | instskip(NEXT) | instid1(VALU_DEP_3)
	v_fmac_f64_e32 v[52:53], v[52:53], v[58:59]
	v_add_f64_e64 v[42:43], v[46:47], -v[54:55]
	v_div_scale_f64 v[54:55], vcc_lo, v[44:45], v[40:41], v[44:45]
	s_delay_alu instid0(VALU_DEP_4) | instskip(NEXT) | instid1(VALU_DEP_3)
	v_fma_f64 v[58:59], v[56:57], s[30:31], -v[60:61]
	v_add_f64_e64 v[42:43], v[50:51], -v[42:43]
	s_delay_alu instid0(VALU_DEP_3) | instskip(NEXT) | instid1(VALU_DEP_3)
	v_mul_f64_e32 v[50:51], v[54:55], v[52:53]
	v_fmac_f64_e32 v[58:59], 0x3c7abc9e3b39803f, v[56:57]
	s_delay_alu instid0(VALU_DEP_3) | instskip(NEXT) | instid1(VALU_DEP_3)
	v_add_f64_e32 v[38:39], v[38:39], v[42:43]
	v_fma_f64 v[42:43], -v[48:49], v[50:51], v[54:55]
	s_delay_alu instid0(VALU_DEP_3) | instskip(NEXT) | instid1(VALU_DEP_3)
	v_add_f64_e32 v[48:49], v[60:61], v[58:59]
	v_add_f64_e32 v[54:55], v[46:47], v[38:39]
	s_delay_alu instid0(VALU_DEP_3) | instskip(SKIP_1) | instid1(VALU_DEP_4)
	v_div_fmas_f64 v[42:43], v[42:43], v[52:53], v[50:51]
	v_cmp_gt_i32_e32 vcc_lo, 0, v15
	v_add_f64_e64 v[52:53], v[48:49], -v[60:61]
	v_cndmask_b32_e32 v36, 0x3fe921fb, v69, vcc_lo
	s_delay_alu instid0(VALU_DEP_1) | instskip(SKIP_4) | instid1(VALU_DEP_4)
	v_bfi_b32 v36, 0x7fffffff, v36, v17
	v_add_f64_e32 v[50:51], v[48:49], v[54:55]
	v_div_fixup_f64 v[40:41], v[42:43], v[40:41], v[44:45]
	v_add_f64_e64 v[46:47], v[54:55], -v[46:47]
	v_add_f64_e64 v[52:53], v[58:59], -v[52:53]
	;; [unrolled: 1-line block ×3, first 2 shown]
	s_delay_alu instid0(VALU_DEP_4) | instskip(NEXT) | instid1(VALU_DEP_4)
	v_mul_f64_e32 v[44:45], v[40:41], v[40:41]
	v_add_f64_e64 v[38:39], v[38:39], -v[46:47]
	s_delay_alu instid0(VALU_DEP_3) | instskip(NEXT) | instid1(VALU_DEP_3)
	v_add_f64_e64 v[56:57], v[50:51], -v[42:43]
	v_fmamk_f64 v[60:61], v[44:45], 0x3eeba404b5e68a13, v[26:27]
	v_add_f64_e64 v[42:43], v[54:55], -v[42:43]
	s_delay_alu instid0(VALU_DEP_4) | instskip(NEXT) | instid1(VALU_DEP_3)
	v_add_f64_e32 v[54:55], v[52:53], v[38:39]
	v_fmaak_f64 v[60:61], v[44:45], v[60:61], 0x3f4b2bb069efb384
	s_delay_alu instid0(VALU_DEP_1) | instskip(SKIP_1) | instid1(VALU_DEP_2)
	v_fmaak_f64 v[60:61], v[44:45], v[60:61], 0xbf67952daf56de9b
	v_add_f64_e64 v[46:47], v[48:49], -v[56:57]
	v_fmaak_f64 v[48:49], v[44:45], v[60:61], 0x3f7d6d43a595c56f
	s_delay_alu instid0(VALU_DEP_1) | instskip(NEXT) | instid1(VALU_DEP_1)
	v_fmaak_f64 v[48:49], v[44:45], v[48:49], 0xbf8c6ea4a57d9582
	v_fmaak_f64 v[48:49], v[44:45], v[48:49], 0x3f967e295f08b19f
	s_delay_alu instid0(VALU_DEP_1) | instskip(NEXT) | instid1(VALU_DEP_1)
	v_fmaak_f64 v[48:49], v[44:45], v[48:49], 0xbf9e9ae6fc27006a
	v_fmaak_f64 v[48:49], v[44:45], v[48:49], 0x3fa2c15b5711927a
	v_add_f64_e32 v[42:43], v[42:43], v[46:47]
	s_delay_alu instid0(VALU_DEP_2) | instskip(SKIP_1) | instid1(VALU_DEP_2)
	v_fmaak_f64 v[46:47], v[44:45], v[48:49], 0xbfa59976e82d3ff0
	v_add_f64_e64 v[48:49], v[54:55], -v[52:53]
	v_fmaak_f64 v[46:47], v[44:45], v[46:47], 0x3fa82d5d6ef28734
	s_delay_alu instid0(VALU_DEP_1) | instskip(NEXT) | instid1(VALU_DEP_1)
	v_fmaak_f64 v[46:47], v[44:45], v[46:47], 0xbfaae5ce6a214619
	v_fmaak_f64 v[46:47], v[44:45], v[46:47], 0x3fae1bb48427b883
	s_delay_alu instid0(VALU_DEP_1) | instskip(SKIP_3) | instid1(VALU_DEP_4)
	v_fmaak_f64 v[46:47], v[44:45], v[46:47], 0xbfb110e48b207f05
	v_add_f64_e32 v[42:43], v[54:55], v[42:43]
	v_add_f64_e64 v[54:55], v[54:55], -v[48:49]
	v_add_f64_e64 v[38:39], v[38:39], -v[48:49]
	v_fmaak_f64 v[46:47], v[44:45], v[46:47], 0x3fb3b13657b87036
	s_delay_alu instid0(VALU_DEP_1) | instskip(NEXT) | instid1(VALU_DEP_1)
	v_fmaak_f64 v[46:47], v[44:45], v[46:47], 0xbfb745d119378e4f
	v_fmaak_f64 v[46:47], v[44:45], v[46:47], 0x3fbc71c717e1913c
	s_delay_alu instid0(VALU_DEP_1) | instskip(SKIP_1) | instid1(VALU_DEP_2)
	v_fmaak_f64 v[46:47], v[44:45], v[46:47], 0xbfc2492492376b7d
	v_add_f64_e32 v[56:57], v[50:51], v[42:43]
	v_fmaak_f64 v[46:47], v[44:45], v[46:47], 0x3fc99999999952cc
	s_delay_alu instid0(VALU_DEP_1) | instskip(NEXT) | instid1(VALU_DEP_1)
	v_fmaak_f64 v[46:47], v[44:45], v[46:47], 0xbfd5555555555523
	v_mul_f64_e32 v[44:45], v[44:45], v[46:47]
	v_add_f64_e64 v[46:47], v[52:53], -v[54:55]
	v_add_f64_e64 v[48:49], v[56:57], -v[50:51]
	s_delay_alu instid0(VALU_DEP_3) | instskip(NEXT) | instid1(VALU_DEP_3)
	v_fmac_f64_e32 v[40:41], v[40:41], v[44:45]
	v_add_f64_e32 v[38:39], v[38:39], v[46:47]
	s_delay_alu instid0(VALU_DEP_3) | instskip(NEXT) | instid1(VALU_DEP_3)
	v_add_f64_e64 v[42:43], v[42:43], -v[48:49]
	v_add_f64_e64 v[44:45], -v[40:41], s[38:39]
	s_delay_alu instid0(VALU_DEP_1) | instskip(NEXT) | instid1(VALU_DEP_2)
	v_dual_add_f64 v[38:39], v[38:39], v[42:43] :: v_dual_cndmask_b32 v41, v41, v45, s4
	v_cndmask_b32_e64 v40, v40, v44, s4
	v_and_b32_e32 v45, 0x54442d18, v21
	v_and_b32_e32 v21, 0x400921fb, v21
	v_cndmask_b32_e32 v44, 0x54442d18, v68, vcc_lo
	s_delay_alu instid0(VALU_DEP_4) | instskip(SKIP_1) | instid1(VALU_DEP_2)
	v_add_f64_e64 v[42:43], -v[40:41], s[40:41]
	v_add_f64_e32 v[38:39], v[56:57], v[38:39]
	v_dual_cndmask_b32 v40, v40, v42 :: v_dual_cndmask_b32 v37, v41, v43
	s_and_b32 vcc_lo, s9, s10
                                        ; implicit-def: $vgpr42_vgpr43
	s_delay_alu instid0(VALU_DEP_1) | instskip(NEXT) | instid1(VALU_DEP_1)
	v_dual_mul_f64 v[14:15], 0.5, v[38:39] :: v_dual_cndmask_b32 v21, v37, v21, s5
	v_dual_cndmask_b32 v38, v40, v45, s5 :: v_dual_cndmask_b32 v39, v21, v36, vcc_lo
	s_delay_alu instid0(VALU_DEP_1) | instskip(NEXT) | instid1(VALU_DEP_3)
	v_cndmask_b32_e32 v38, v38, v44, vcc_lo
	v_cndmask_b32_e64 v37, 0x7ff00000, v15, s6
	s_delay_alu instid0(VALU_DEP_4)
	v_cndmask_b32_e64 v36, 0, v14, s6
.LBB179_174:                            ;   in Loop: Header=BB179_145 Depth=1
	s_and_not1_saveexec_b32 s6, s8
	s_cbranch_execz .LBB179_176
; %bb.175:                              ;   in Loop: Header=BB179_145 Depth=1
	v_max_num_f64_e64 v[36:37], |v[16:17]|, |v[16:17]|
	v_max_num_f64_e64 v[38:39], |v[14:15]|, |v[14:15]|
	v_cmp_eq_f64_e64 s5, 0, v[16:17]
	v_cmp_class_f64_e64 s9, v[14:15], 0x204
	v_cmp_class_f64_e64 s8, v[16:17], 0x204
	s_delay_alu instid0(VALU_DEP_4) | instskip(SKIP_1) | instid1(VALU_DEP_1)
	v_dual_max_num_f64 v[40:41], v[38:39], v[36:37] :: v_dual_ashrrev_i32 v21, 31, v15
	v_min_num_f64_e32 v[36:37], v[38:39], v[36:37]
	v_div_scale_f64 v[38:39], null, v[40:41], v[40:41], v[36:37]
	v_div_scale_f64 v[48:49], vcc_lo, v[36:37], v[40:41], v[36:37]
	s_delay_alu instid0(VALU_DEP_2) | instskip(SKIP_1) | instid1(TRANS32_DEP_1)
	v_rcp_f64_e32 v[44:45], v[38:39]
	v_nop
	v_fma_f64 v[46:47], -v[38:39], v[44:45], 1.0
	s_delay_alu instid0(VALU_DEP_1) | instskip(NEXT) | instid1(VALU_DEP_1)
	v_fmac_f64_e32 v[44:45], v[44:45], v[46:47]
	v_fma_f64 v[46:47], -v[38:39], v[44:45], 1.0
	s_delay_alu instid0(VALU_DEP_1) | instskip(NEXT) | instid1(VALU_DEP_1)
	v_fmac_f64_e32 v[44:45], v[44:45], v[46:47]
	v_mul_f64_e32 v[46:47], v[48:49], v[44:45]
	s_delay_alu instid0(VALU_DEP_1) | instskip(NEXT) | instid1(VALU_DEP_1)
	v_fma_f64 v[38:39], -v[38:39], v[46:47], v[48:49]
	v_div_fmas_f64 v[38:39], v[38:39], v[44:45], v[46:47]
	v_cmp_gt_i32_e32 vcc_lo, 0, v15
	v_and_b32_e32 v15, 0x400921fb, v21
	v_and_b32_e32 v45, 0x54442d18, v21
	v_cndmask_b32_e32 v44, 0x54442d18, v68, vcc_lo
	v_cndmask_b32_e32 v14, 0x3fe921fb, v69, vcc_lo
	s_delay_alu instid0(VALU_DEP_1) | instskip(SKIP_1) | instid1(VALU_DEP_1)
	v_bfi_b32 v14, 0x7fffffff, v14, v17
	v_div_fixup_f64 v[36:37], v[38:39], v[40:41], v[36:37]
	v_mul_f64_e32 v[38:39], v[36:37], v[36:37]
	s_delay_alu instid0(VALU_DEP_1) | instskip(NEXT) | instid1(VALU_DEP_1)
	v_fmamk_f64 v[40:41], v[38:39], 0x3eeba404b5e68a13, v[26:27]
	v_fmaak_f64 v[40:41], v[38:39], v[40:41], 0x3f4b2bb069efb384
	s_delay_alu instid0(VALU_DEP_1) | instskip(NEXT) | instid1(VALU_DEP_1)
	v_fmaak_f64 v[40:41], v[38:39], v[40:41], 0xbf67952daf56de9b
	v_fmaak_f64 v[40:41], v[38:39], v[40:41], 0x3f7d6d43a595c56f
	s_delay_alu instid0(VALU_DEP_1) | instskip(NEXT) | instid1(VALU_DEP_1)
	v_fmaak_f64 v[40:41], v[38:39], v[40:41], 0xbf8c6ea4a57d9582
	;; [unrolled: 3-line block ×9, first 2 shown]
	v_mul_f64_e32 v[38:39], v[38:39], v[40:41]
	s_delay_alu instid0(VALU_DEP_1) | instskip(NEXT) | instid1(VALU_DEP_1)
	v_fmac_f64_e32 v[36:37], v[36:37], v[38:39]
	v_add_f64_e64 v[38:39], -v[36:37], s[38:39]
	s_delay_alu instid0(VALU_DEP_1) | instskip(SKIP_1) | instid1(VALU_DEP_1)
	v_dual_cndmask_b32 v39, v37, v39, s4 :: v_dual_cndmask_b32 v38, v36, v38, s4
	v_mul_f64_e32 v[36:37], 0.5, v[42:43]
	v_mul_f64_e32 v[36:37], v[42:43], v[36:37]
	s_delay_alu instid0(VALU_DEP_3) | instskip(NEXT) | instid1(VALU_DEP_1)
	v_add_f64_e64 v[40:41], -v[38:39], s[40:41]
	v_cndmask_b32_e32 v38, v38, v40, vcc_lo
	s_delay_alu instid0(VALU_DEP_1) | instskip(NEXT) | instid1(VALU_DEP_3)
	v_cndmask_b32_e64 v38, v38, v45, s5
	v_cndmask_b32_e32 v21, v39, v41, vcc_lo
	s_and_b32 vcc_lo, s8, s9
	s_delay_alu instid0(VALU_DEP_1) | instid1(SALU_CYCLE_1)
	v_dual_cndmask_b32 v38, v38, v44, vcc_lo :: v_dual_cndmask_b32 v15, v21, v15, s5
	s_delay_alu instid0(VALU_DEP_1)
	v_cndmask_b32_e32 v39, v15, v14, vcc_lo
.LBB179_176:                            ;   in Loop: Header=BB179_145 Depth=1
	s_or_b32 exec_lo, exec_lo, s6
.LBB179_177:                            ;   in Loop: Header=BB179_145 Depth=1
	s_delay_alu instid0(SALU_CYCLE_1)
	s_or_b32 exec_lo, exec_lo, s7
.LBB179_178:                            ;   in Loop: Header=BB179_145 Depth=1
	s_and_not1_saveexec_b32 s6, s33
	s_cbranch_execz .LBB179_180
; %bb.179:                              ;   in Loop: Header=BB179_145 Depth=1
	v_div_scale_f64 v[36:37], null, s[46:47], s[46:47], v[14:15]
	v_div_scale_f64 v[38:39], null, s[46:47], s[46:47], v[16:17]
	v_div_scale_f64 v[48:49], vcc_lo, v[14:15], s[46:47], v[14:15]
	s_delay_alu instid0(VALU_DEP_3) | instskip(NEXT) | instid1(VALU_DEP_2)
	v_rcp_f64_e32 v[40:41], v[36:37]
	v_rcp_f64_e32 v[42:43], v[38:39]
	s_delay_alu instid0(TRANS32_DEP_2) | instskip(NEXT) | instid1(TRANS32_DEP_1)
	v_fma_f64 v[44:45], -v[36:37], v[40:41], 1.0
	v_fma_f64 v[46:47], -v[38:39], v[42:43], 1.0
	s_delay_alu instid0(VALU_DEP_2) | instskip(NEXT) | instid1(VALU_DEP_2)
	v_fmac_f64_e32 v[40:41], v[40:41], v[44:45]
	v_fmac_f64_e32 v[42:43], v[42:43], v[46:47]
	s_delay_alu instid0(VALU_DEP_2) | instskip(NEXT) | instid1(VALU_DEP_2)
	v_fma_f64 v[44:45], -v[36:37], v[40:41], 1.0
	v_fma_f64 v[46:47], -v[38:39], v[42:43], 1.0
	s_delay_alu instid0(VALU_DEP_2) | instskip(SKIP_1) | instid1(VALU_DEP_3)
	v_fmac_f64_e32 v[40:41], v[40:41], v[44:45]
	v_div_scale_f64 v[44:45], s5, v[16:17], s[46:47], v[16:17]
	v_fmac_f64_e32 v[42:43], v[42:43], v[46:47]
	s_delay_alu instid0(VALU_DEP_3) | instskip(NEXT) | instid1(VALU_DEP_2)
	v_mul_f64_e32 v[46:47], v[48:49], v[40:41]
	v_mul_f64_e32 v[50:51], v[44:45], v[42:43]
	s_delay_alu instid0(VALU_DEP_2) | instskip(NEXT) | instid1(VALU_DEP_2)
	v_fma_f64 v[36:37], -v[36:37], v[46:47], v[48:49]
	v_fma_f64 v[38:39], -v[38:39], v[50:51], v[44:45]
	s_delay_alu instid0(VALU_DEP_2) | instskip(SKIP_1) | instid1(VALU_DEP_2)
	v_div_fmas_f64 v[36:37], v[36:37], v[40:41], v[46:47]
	s_mov_b32 vcc_lo, s5
	v_div_fmas_f64 v[38:39], v[38:39], v[42:43], v[50:51]
	s_delay_alu instid0(VALU_DEP_2) | instskip(NEXT) | instid1(VALU_DEP_2)
	v_div_fixup_f64 v[36:37], v[36:37], s[46:47], v[14:15]
	v_div_fixup_f64 v[38:39], v[38:39], s[46:47], v[16:17]
	s_delay_alu instid0(VALU_DEP_2) | instskip(NEXT) | instid1(VALU_DEP_2)
	v_cmp_class_f64_e64 s5, v[36:37], 0x204
	v_max_num_f64_e64 v[40:41], |v[36:37]|, |v[38:39]|
	v_cmp_class_f64_e64 s7, v[38:39], 0x204
	s_delay_alu instid0(VALU_DEP_2) | instskip(SKIP_2) | instid1(VALU_DEP_2)
	v_frexp_exp_i32_f64_e32 v21, v[40:41]
	s_or_b32 s5, s7, s5
	v_cmp_class_f64_e64 s7, v[14:15], 0x204
	v_sub_nc_u32_e32 v42, 0, v21
	s_delay_alu instid0(VALU_DEP_1) | instskip(SKIP_1) | instid1(VALU_DEP_2)
	v_ldexp_f64 v[40:41], |v[38:39]|, v42
	v_ldexp_f64 v[42:43], |v[36:37]|, v42
	v_mul_f64_e32 v[40:41], v[40:41], v[40:41]
	s_delay_alu instid0(VALU_DEP_1) | instskip(NEXT) | instid1(VALU_DEP_1)
	v_fmac_f64_e32 v[40:41], v[42:43], v[42:43]
	v_rsq_f64_e32 v[42:43], v[40:41]
	v_cmp_eq_f64_e32 vcc_lo, 0, v[40:41]
	s_delay_alu instid0(TRANS32_DEP_1) | instskip(SKIP_1) | instid1(VALU_DEP_1)
	v_mul_f64_e32 v[44:45], v[40:41], v[42:43]
	v_mul_f64_e32 v[42:43], 0.5, v[42:43]
	v_fma_f64 v[46:47], -v[42:43], v[44:45], 0.5
	s_delay_alu instid0(VALU_DEP_1) | instskip(SKIP_1) | instid1(VALU_DEP_2)
	v_fmac_f64_e32 v[44:45], v[44:45], v[46:47]
	v_fmac_f64_e32 v[42:43], v[42:43], v[46:47]
	v_fma_f64 v[46:47], -v[44:45], v[44:45], v[40:41]
	s_delay_alu instid0(VALU_DEP_1) | instskip(NEXT) | instid1(VALU_DEP_1)
	v_fmac_f64_e32 v[44:45], v[46:47], v[42:43]
	v_dual_cndmask_b32 v41, v45, v41 :: v_dual_cndmask_b32 v40, v44, v40
	v_cmp_o_f64_e32 vcc_lo, v[36:37], v[38:39]
	s_delay_alu instid0(VALU_DEP_2) | instskip(NEXT) | instid1(VALU_DEP_1)
	v_ldexp_f64 v[40:41], v[40:41], v21
	v_cndmask_b32_e32 v21, 0, v40, vcc_lo
	s_delay_alu instid0(VALU_DEP_2) | instskip(NEXT) | instid1(VALU_DEP_2)
	v_cndmask_b32_e32 v36, 0x7ff80000, v41, vcc_lo
	v_cndmask_b32_e64 v40, v21, 0, s5
	s_delay_alu instid0(VALU_DEP_2) | instskip(SKIP_1) | instid1(VALU_DEP_2)
	v_cndmask_b32_e64 v41, v36, 0x7ff00000, s5
	v_cmp_class_f64_e64 s5, v[16:17], 0x204
	v_frexp_mant_f64_e32 v[36:37], v[40:41]
	s_delay_alu instid0(VALU_DEP_1) | instskip(SKIP_1) | instid1(VALU_DEP_1)
	v_cmp_gt_f64_e32 vcc_lo, s[28:29], v[36:37]
	v_cndmask_b32_e64 v21, 0, 1, vcc_lo
	v_ldexp_f64 v[36:37], v[36:37], v21
	v_frexp_exp_i32_f64_e32 v21, v[40:41]
	s_delay_alu instid0(VALU_DEP_2) | instskip(SKIP_1) | instid1(VALU_DEP_3)
	v_add_f64_e32 v[38:39], 1.0, v[36:37]
	v_add_f64_e32 v[46:47], -1.0, v[36:37]
	v_subrev_co_ci_u32_e64 v21, null, 0, v21, vcc_lo
	s_delay_alu instid0(VALU_DEP_3) | instskip(SKIP_1) | instid1(VALU_DEP_1)
	v_rcp_f64_e32 v[42:43], v[38:39]
	v_add_f64_e32 v[48:49], -1.0, v[38:39]
	v_add_f64_e64 v[36:37], v[36:37], -v[48:49]
	s_delay_alu instid0(TRANS32_DEP_1) | instskip(NEXT) | instid1(VALU_DEP_1)
	v_fma_f64 v[44:45], -v[38:39], v[42:43], 1.0
	v_fmac_f64_e32 v[42:43], v[44:45], v[42:43]
	s_delay_alu instid0(VALU_DEP_1) | instskip(NEXT) | instid1(VALU_DEP_1)
	v_fma_f64 v[44:45], -v[38:39], v[42:43], 1.0
	v_fmac_f64_e32 v[42:43], v[44:45], v[42:43]
	s_delay_alu instid0(VALU_DEP_1) | instskip(NEXT) | instid1(VALU_DEP_1)
	v_mul_f64_e32 v[44:45], v[46:47], v[42:43]
	v_mul_f64_e32 v[50:51], v[38:39], v[44:45]
	s_delay_alu instid0(VALU_DEP_1) | instskip(NEXT) | instid1(VALU_DEP_1)
	v_fma_f64 v[38:39], v[44:45], v[38:39], -v[50:51]
	v_fmac_f64_e32 v[38:39], v[44:45], v[36:37]
	s_delay_alu instid0(VALU_DEP_1) | instskip(NEXT) | instid1(VALU_DEP_1)
	v_add_f64_e32 v[36:37], v[50:51], v[38:39]
	v_add_f64_e64 v[48:49], v[46:47], -v[36:37]
	v_add_f64_e64 v[50:51], v[36:37], -v[50:51]
	s_delay_alu instid0(VALU_DEP_2) | instskip(NEXT) | instid1(VALU_DEP_2)
	v_add_f64_e64 v[46:47], v[46:47], -v[48:49]
	v_add_f64_e64 v[38:39], v[50:51], -v[38:39]
	s_delay_alu instid0(VALU_DEP_2) | instskip(SKIP_1) | instid1(VALU_DEP_2)
	v_add_f64_e64 v[36:37], v[46:47], -v[36:37]
	v_max_num_f64_e64 v[46:47], |v[14:15]|, |v[14:15]|
	v_add_f64_e32 v[36:37], v[38:39], v[36:37]
	v_max_num_f64_e64 v[38:39], |v[16:17]|, |v[16:17]|
	s_delay_alu instid0(VALU_DEP_2) | instskip(NEXT) | instid1(VALU_DEP_1)
	v_add_f64_e32 v[36:37], v[48:49], v[36:37]
	v_mul_f64_e32 v[36:37], v[42:43], v[36:37]
	s_delay_alu instid0(VALU_DEP_3) | instskip(SKIP_1) | instid1(VALU_DEP_3)
	v_max_num_f64_e32 v[42:43], v[46:47], v[38:39]
	v_min_num_f64_e32 v[38:39], v[46:47], v[38:39]
	v_add_f64_e32 v[46:47], v[44:45], v[36:37]
	s_delay_alu instid0(VALU_DEP_2) | instskip(NEXT) | instid1(VALU_DEP_2)
	v_div_scale_f64 v[48:49], null, v[42:43], v[42:43], v[38:39]
	v_mul_f64_e32 v[50:51], v[46:47], v[46:47]
	v_add_f64_e64 v[44:45], v[46:47], -v[44:45]
	s_delay_alu instid0(VALU_DEP_3) | instskip(NEXT) | instid1(VALU_DEP_2)
	v_rcp_f64_e32 v[52:53], v[48:49]
	v_fmamk_f64 v[54:55], v[50:51], 0x3fc3ab76bf559e2b, v[24:25]
	v_mul_f64_e32 v[56:57], v[46:47], v[50:51]
	s_delay_alu instid0(VALU_DEP_3) | instskip(NEXT) | instid1(VALU_DEP_3)
	v_add_f64_e64 v[36:37], v[36:37], -v[44:45]
	v_fmaak_f64 v[54:55], v[50:51], v[54:55], 0x3fc7474dd7f4df2e
	s_delay_alu instid0(TRANS32_DEP_1) | instskip(NEXT) | instid1(VALU_DEP_2)
	v_fma_f64 v[58:59], -v[48:49], v[52:53], 1.0
	v_fmaak_f64 v[54:55], v[50:51], v[54:55], 0x3fcc71c016291751
	s_delay_alu instid0(VALU_DEP_1) | instskip(NEXT) | instid1(VALU_DEP_1)
	v_fmaak_f64 v[54:55], v[50:51], v[54:55], 0x3fd249249b27acf1
	v_fmaak_f64 v[54:55], v[50:51], v[54:55], 0x3fd99999998ef7b6
	v_ldexp_f64 v[36:37], v[36:37], 1
	s_delay_alu instid0(VALU_DEP_2) | instskip(SKIP_2) | instid1(VALU_DEP_3)
	v_fmaak_f64 v[50:51], v[50:51], v[54:55], 0x3fe5555555555780
	v_ldexp_f64 v[54:55], v[46:47], 1
	v_fmac_f64_e32 v[52:53], v[52:53], v[58:59]
	v_mul_f64_e32 v[50:51], v[56:57], v[50:51]
	v_cvt_f64_i32_e32 v[56:57], v21
	v_ashrrev_i32_e32 v21, 31, v15
	s_delay_alu instid0(VALU_DEP_4) | instskip(NEXT) | instid1(VALU_DEP_4)
	v_fma_f64 v[58:59], -v[48:49], v[52:53], 1.0
	v_add_f64_e32 v[46:47], v[54:55], v[50:51]
	s_delay_alu instid0(VALU_DEP_4) | instskip(NEXT) | instid1(VALU_DEP_3)
	v_mul_f64_e32 v[60:61], 0x3fe62e42fefa39ef, v[56:57]
	v_fmac_f64_e32 v[52:53], v[52:53], v[58:59]
	s_delay_alu instid0(VALU_DEP_3) | instskip(SKIP_1) | instid1(VALU_DEP_4)
	v_add_f64_e64 v[44:45], v[46:47], -v[54:55]
	v_div_scale_f64 v[54:55], vcc_lo, v[38:39], v[42:43], v[38:39]
	v_fma_f64 v[58:59], v[56:57], s[30:31], -v[60:61]
	s_delay_alu instid0(VALU_DEP_3) | instskip(NEXT) | instid1(VALU_DEP_3)
	v_add_f64_e64 v[44:45], v[50:51], -v[44:45]
	v_mul_f64_e32 v[50:51], v[54:55], v[52:53]
	s_delay_alu instid0(VALU_DEP_3) | instskip(NEXT) | instid1(VALU_DEP_3)
	v_fmac_f64_e32 v[58:59], 0x3c7abc9e3b39803f, v[56:57]
	v_add_f64_e32 v[36:37], v[36:37], v[44:45]
	s_delay_alu instid0(VALU_DEP_3) | instskip(NEXT) | instid1(VALU_DEP_3)
	v_fma_f64 v[44:45], -v[48:49], v[50:51], v[54:55]
	v_add_f64_e32 v[48:49], v[60:61], v[58:59]
	s_delay_alu instid0(VALU_DEP_3) | instskip(NEXT) | instid1(VALU_DEP_3)
	v_add_f64_e32 v[54:55], v[46:47], v[36:37]
	v_div_fmas_f64 v[44:45], v[44:45], v[52:53], v[50:51]
	v_cmp_class_f64_e64 vcc_lo, v[40:41], 0x204
	s_delay_alu instid0(VALU_DEP_4) | instskip(NEXT) | instid1(VALU_DEP_4)
	v_add_f64_e64 v[52:53], v[48:49], -v[60:61]
	v_add_f64_e32 v[50:51], v[48:49], v[54:55]
	s_delay_alu instid0(VALU_DEP_4) | instskip(SKIP_1) | instid1(VALU_DEP_4)
	v_div_fixup_f64 v[38:39], v[44:45], v[42:43], v[38:39]
	v_add_f64_e64 v[46:47], v[54:55], -v[46:47]
	v_add_f64_e64 v[52:53], v[58:59], -v[52:53]
	s_delay_alu instid0(VALU_DEP_4) | instskip(NEXT) | instid1(VALU_DEP_4)
	v_add_f64_e64 v[42:43], v[50:51], -v[48:49]
	v_mul_f64_e32 v[44:45], v[38:39], v[38:39]
	s_delay_alu instid0(VALU_DEP_4) | instskip(NEXT) | instid1(VALU_DEP_3)
	v_add_f64_e64 v[36:37], v[36:37], -v[46:47]
	v_add_f64_e64 v[56:57], v[50:51], -v[42:43]
	s_delay_alu instid0(VALU_DEP_3) | instskip(SKIP_1) | instid1(VALU_DEP_4)
	v_fmamk_f64 v[60:61], v[44:45], 0x3eeba404b5e68a13, v[26:27]
	v_add_f64_e64 v[42:43], v[54:55], -v[42:43]
	v_add_f64_e32 v[54:55], v[52:53], v[36:37]
	s_delay_alu instid0(VALU_DEP_3) | instskip(SKIP_1) | instid1(VALU_DEP_2)
	v_fmaak_f64 v[60:61], v[44:45], v[60:61], 0x3f4b2bb069efb384
	v_add_f64_e64 v[46:47], v[48:49], -v[56:57]
	v_fmaak_f64 v[48:49], v[44:45], v[60:61], 0xbf67952daf56de9b
	s_delay_alu instid0(VALU_DEP_1) | instskip(NEXT) | instid1(VALU_DEP_1)
	v_fmaak_f64 v[48:49], v[44:45], v[48:49], 0x3f7d6d43a595c56f
	v_fmaak_f64 v[48:49], v[44:45], v[48:49], 0xbf8c6ea4a57d9582
	s_delay_alu instid0(VALU_DEP_1) | instskip(SKIP_1) | instid1(VALU_DEP_2)
	v_fmaak_f64 v[48:49], v[44:45], v[48:49], 0x3f967e295f08b19f
	v_add_f64_e32 v[42:43], v[42:43], v[46:47]
	v_fmaak_f64 v[46:47], v[44:45], v[48:49], 0xbf9e9ae6fc27006a
	v_add_f64_e64 v[48:49], v[54:55], -v[52:53]
	s_delay_alu instid0(VALU_DEP_2) | instskip(NEXT) | instid1(VALU_DEP_1)
	v_fmaak_f64 v[46:47], v[44:45], v[46:47], 0x3fa2c15b5711927a
	v_fmaak_f64 v[46:47], v[44:45], v[46:47], 0xbfa59976e82d3ff0
	s_delay_alu instid0(VALU_DEP_1) | instskip(NEXT) | instid1(VALU_DEP_1)
	v_fmaak_f64 v[46:47], v[44:45], v[46:47], 0x3fa82d5d6ef28734
	v_fmaak_f64 v[46:47], v[44:45], v[46:47], 0xbfaae5ce6a214619
	v_add_f64_e32 v[42:43], v[54:55], v[42:43]
	v_add_f64_e64 v[54:55], v[54:55], -v[48:49]
	v_add_f64_e64 v[36:37], v[36:37], -v[48:49]
	s_delay_alu instid0(VALU_DEP_4) | instskip(NEXT) | instid1(VALU_DEP_1)
	v_fmaak_f64 v[46:47], v[44:45], v[46:47], 0x3fae1bb48427b883
	v_fmaak_f64 v[46:47], v[44:45], v[46:47], 0xbfb110e48b207f05
	s_delay_alu instid0(VALU_DEP_1) | instskip(NEXT) | instid1(VALU_DEP_1)
	v_fmaak_f64 v[46:47], v[44:45], v[46:47], 0x3fb3b13657b87036
	v_fmaak_f64 v[46:47], v[44:45], v[46:47], 0xbfb745d119378e4f
	s_delay_alu instid0(VALU_DEP_1) | instskip(SKIP_1) | instid1(VALU_DEP_2)
	v_fmaak_f64 v[46:47], v[44:45], v[46:47], 0x3fbc71c717e1913c
	v_add_f64_e32 v[56:57], v[50:51], v[42:43]
	v_fmaak_f64 v[46:47], v[44:45], v[46:47], 0xbfc2492492376b7d
	s_delay_alu instid0(VALU_DEP_1) | instskip(NEXT) | instid1(VALU_DEP_1)
	v_fmaak_f64 v[46:47], v[44:45], v[46:47], 0x3fc99999999952cc
	v_fmaak_f64 v[46:47], v[44:45], v[46:47], 0xbfd5555555555523
	s_delay_alu instid0(VALU_DEP_1) | instskip(SKIP_2) | instid1(VALU_DEP_3)
	v_mul_f64_e32 v[44:45], v[44:45], v[46:47]
	v_add_f64_e64 v[46:47], v[52:53], -v[54:55]
	v_add_f64_e64 v[48:49], v[56:57], -v[50:51]
	v_fmac_f64_e32 v[38:39], v[38:39], v[44:45]
	s_delay_alu instid0(VALU_DEP_3) | instskip(NEXT) | instid1(VALU_DEP_3)
	v_add_f64_e32 v[36:37], v[36:37], v[46:47]
	v_add_f64_e64 v[42:43], v[42:43], -v[48:49]
	s_delay_alu instid0(VALU_DEP_3) | instskip(NEXT) | instid1(VALU_DEP_1)
	v_add_f64_e64 v[44:45], -v[38:39], s[38:39]
	v_dual_add_f64 v[36:37], v[36:37], v[42:43] :: v_dual_cndmask_b32 v39, v39, v45, s4
	s_delay_alu instid0(VALU_DEP_2)
	v_cndmask_b32_e64 v38, v38, v44, s4
	v_cmp_gt_i32_e64 s4, 0, v15
	v_and_b32_e32 v45, 0x54442d18, v21
	v_and_b32_e32 v15, 0x400921fb, v21
	v_add_f64_e32 v[36:37], v[56:57], v[36:37]
	v_add_f64_e64 v[42:43], -v[38:39], s[40:41]
	v_cndmask_b32_e64 v44, 0x54442d18, v68, s4
	v_cndmask_b32_e64 v14, 0x3fe921fb, v69, s4
	s_delay_alu instid0(VALU_DEP_1) | instskip(SKIP_4) | instid1(VALU_DEP_4)
	v_bfi_b32 v14, 0x7fffffff, v14, v17
	v_dual_cndmask_b32 v37, v37, v41 :: v_dual_cndmask_b32 v36, v36, v40
	v_cmp_eq_f64_e32 vcc_lo, 0, v[16:17]
	v_dual_cndmask_b32 v38, v38, v42, s4 :: v_dual_cndmask_b32 v21, v39, v43, s4
	v_cmp_nge_f64_e64 s4, 0, v[40:41]
	v_add_f64_e32 v[36:37], 1.0, v[36:37]
	s_delay_alu instid0(VALU_DEP_3) | instskip(SKIP_1) | instid1(VALU_DEP_3)
	v_dual_cndmask_b32 v38, v38, v45 :: v_dual_cndmask_b32 v15, v21, v15
	v_cmp_ngt_f64_e32 vcc_lo, 0, v[40:41]
	v_cndmask_b32_e64 v36, 0, v36, s4
	v_cmp_neq_f64_e64 s4, 0, v[40:41]
	v_cndmask_b32_e32 v21, 0x7ff80000, v37, vcc_lo
	s_and_b32 vcc_lo, s5, s7
	v_dual_cndmask_b32 v39, v15, v14 :: v_dual_cndmask_b32 v38, v38, v44
	s_delay_alu instid0(VALU_DEP_2)
	v_cndmask_b32_e64 v37, 0xfff00000, v21, s4
.LBB179_180:                            ;   in Loop: Header=BB179_145 Depth=1
	s_or_b32 exec_lo, exec_lo, s6
.LBB179_181:                            ;   in Loop: Header=BB179_145 Depth=1
	s_and_not1_saveexec_b32 s4, s15
	s_cbranch_execz .LBB179_187
; %bb.182:                              ;   in Loop: Header=BB179_145 Depth=1
	v_cmp_ngt_f64_e64 s5, 0x20000000, |v[14:15]|
	v_cmp_ngt_f64_e64 s6, 0x20000000, |v[16:17]|
                                        ; implicit-def: $vgpr40_vgpr41
	s_or_b32 s5, s6, s5
	s_delay_alu instid0(SALU_CYCLE_1) | instskip(NEXT) | instid1(SALU_CYCLE_1)
	s_and_saveexec_b32 s6, s5
	s_xor_b32 s5, exec_lo, s6
	s_cbranch_execz .LBB179_184
; %bb.183:                              ;   in Loop: Header=BB179_145 Depth=1
	v_mul_f64_e32 v[40:41], v[14:15], v[14:15]
	s_delay_alu instid0(VALU_DEP_1)
	v_fmac_f64_e32 v[40:41], v[16:17], v[16:17]
.LBB179_184:                            ;   in Loop: Header=BB179_145 Depth=1
	s_and_not1_saveexec_b32 s5, s5
	s_cbranch_execz .LBB179_186
; %bb.185:                              ;   in Loop: Header=BB179_145 Depth=1
	v_mul_f64_e32 v[14:15], 4.0, v[14:15]
	v_mul_f64_e32 v[36:37], 4.0, v[16:17]
	s_delay_alu instid0(VALU_DEP_2) | instskip(NEXT) | instid1(VALU_DEP_1)
	v_mul_f64_e32 v[14:15], v[14:15], v[14:15]
	v_fmac_f64_e32 v[14:15], v[36:37], v[36:37]
	s_delay_alu instid0(VALU_DEP_1)
	v_ldexp_f64 v[40:41], v[14:15], -4
.LBB179_186:                            ;   in Loop: Header=BB179_145 Depth=1
	s_or_b32 exec_lo, exec_lo, s5
	s_delay_alu instid0(VALU_DEP_1) | instskip(NEXT) | instid1(VALU_DEP_1)
	v_frexp_mant_f64_e32 v[14:15], v[40:41]
	v_cmp_gt_f64_e32 vcc_lo, s[28:29], v[14:15]
	v_cndmask_b32_e64 v16, 0, 1, vcc_lo
	s_delay_alu instid0(VALU_DEP_1) | instskip(SKIP_1) | instid1(VALU_DEP_1)
	v_ldexp_f64 v[14:15], v[14:15], v16
	v_frexp_exp_i32_f64_e32 v16, v[40:41]
	v_subrev_co_ci_u32_e64 v16, null, 0, v16, vcc_lo
	v_cmp_class_f64_e64 vcc_lo, v[40:41], 0x204
	s_delay_alu instid0(VALU_DEP_4) | instskip(SKIP_1) | instid1(VALU_DEP_2)
	v_add_f64_e32 v[36:37], 1.0, v[14:15]
	v_add_f64_e32 v[44:45], -1.0, v[14:15]
	v_rcp_f64_e32 v[38:39], v[36:37]
	v_add_f64_e32 v[46:47], -1.0, v[36:37]
	s_delay_alu instid0(VALU_DEP_1) | instskip(NEXT) | instid1(TRANS32_DEP_1)
	v_add_f64_e64 v[14:15], v[14:15], -v[46:47]
	v_fma_f64 v[42:43], -v[36:37], v[38:39], 1.0
	s_delay_alu instid0(VALU_DEP_1) | instskip(NEXT) | instid1(VALU_DEP_1)
	v_fmac_f64_e32 v[38:39], v[42:43], v[38:39]
	v_fma_f64 v[42:43], -v[36:37], v[38:39], 1.0
	s_delay_alu instid0(VALU_DEP_1) | instskip(NEXT) | instid1(VALU_DEP_1)
	v_fmac_f64_e32 v[38:39], v[42:43], v[38:39]
	v_mul_f64_e32 v[42:43], v[44:45], v[38:39]
	s_delay_alu instid0(VALU_DEP_1) | instskip(NEXT) | instid1(VALU_DEP_1)
	v_mul_f64_e32 v[48:49], v[36:37], v[42:43]
	v_fma_f64 v[36:37], v[42:43], v[36:37], -v[48:49]
	s_delay_alu instid0(VALU_DEP_1) | instskip(NEXT) | instid1(VALU_DEP_1)
	v_fmac_f64_e32 v[36:37], v[42:43], v[14:15]
	v_add_f64_e32 v[14:15], v[48:49], v[36:37]
	s_delay_alu instid0(VALU_DEP_1) | instskip(SKIP_1) | instid1(VALU_DEP_2)
	v_add_f64_e64 v[46:47], v[44:45], -v[14:15]
	v_add_f64_e64 v[48:49], v[14:15], -v[48:49]
	;; [unrolled: 1-line block ×3, first 2 shown]
	s_delay_alu instid0(VALU_DEP_2) | instskip(NEXT) | instid1(VALU_DEP_2)
	v_add_f64_e64 v[36:37], v[48:49], -v[36:37]
	v_add_f64_e64 v[14:15], v[44:45], -v[14:15]
	s_delay_alu instid0(VALU_DEP_1) | instskip(NEXT) | instid1(VALU_DEP_1)
	v_add_f64_e32 v[14:15], v[36:37], v[14:15]
	v_add_f64_e32 v[14:15], v[46:47], v[14:15]
	s_delay_alu instid0(VALU_DEP_1) | instskip(NEXT) | instid1(VALU_DEP_1)
	v_mul_f64_e32 v[14:15], v[38:39], v[14:15]
	v_add_f64_e32 v[36:37], v[42:43], v[14:15]
	s_delay_alu instid0(VALU_DEP_1) | instskip(NEXT) | instid1(VALU_DEP_1)
	v_mul_f64_e32 v[38:39], v[36:37], v[36:37]
	v_fmamk_f64 v[44:45], v[38:39], 0x3fc3ab76bf559e2b, v[24:25]
	v_mul_f64_e32 v[46:47], v[36:37], v[38:39]
	s_delay_alu instid0(VALU_DEP_2) | instskip(NEXT) | instid1(VALU_DEP_1)
	v_fmaak_f64 v[44:45], v[38:39], v[44:45], 0x3fc7474dd7f4df2e
	v_fmaak_f64 v[44:45], v[38:39], v[44:45], 0x3fcc71c016291751
	s_delay_alu instid0(VALU_DEP_1) | instskip(NEXT) | instid1(VALU_DEP_1)
	v_fmaak_f64 v[44:45], v[38:39], v[44:45], 0x3fd249249b27acf1
	v_fmaak_f64 v[44:45], v[38:39], v[44:45], 0x3fd99999998ef7b6
	s_delay_alu instid0(VALU_DEP_1) | instskip(SKIP_2) | instid1(VALU_DEP_3)
	v_fmaak_f64 v[38:39], v[38:39], v[44:45], 0x3fe5555555555780
	v_ldexp_f64 v[44:45], v[36:37], 1
	v_add_f64_e64 v[36:37], v[36:37], -v[42:43]
	v_mul_f64_e32 v[38:39], v[46:47], v[38:39]
	v_cvt_f64_i32_e32 v[46:47], v16
	s_delay_alu instid0(VALU_DEP_3) | instskip(NEXT) | instid1(VALU_DEP_3)
	v_add_f64_e64 v[14:15], v[14:15], -v[36:37]
	v_add_f64_e32 v[42:43], v[44:45], v[38:39]
	s_delay_alu instid0(VALU_DEP_3) | instskip(NEXT) | instid1(VALU_DEP_3)
	v_mul_f64_e32 v[48:49], 0x3fe62e42fefa39ef, v[46:47]
	v_ldexp_f64 v[14:15], v[14:15], 1
	s_delay_alu instid0(VALU_DEP_3) | instskip(NEXT) | instid1(VALU_DEP_3)
	v_add_f64_e64 v[36:37], v[42:43], -v[44:45]
	v_fma_f64 v[44:45], v[46:47], s[30:31], -v[48:49]
	s_delay_alu instid0(VALU_DEP_2) | instskip(NEXT) | instid1(VALU_DEP_2)
	v_add_f64_e64 v[36:37], v[38:39], -v[36:37]
	v_fmac_f64_e32 v[44:45], 0x3c7abc9e3b39803f, v[46:47]
	s_delay_alu instid0(VALU_DEP_2) | instskip(NEXT) | instid1(VALU_DEP_2)
	v_add_f64_e32 v[14:15], v[14:15], v[36:37]
	v_add_f64_e32 v[36:37], v[48:49], v[44:45]
	s_delay_alu instid0(VALU_DEP_2) | instskip(NEXT) | instid1(VALU_DEP_2)
	v_add_f64_e32 v[38:39], v[42:43], v[14:15]
	v_add_f64_e64 v[48:49], v[36:37], -v[48:49]
	s_delay_alu instid0(VALU_DEP_2) | instskip(SKIP_1) | instid1(VALU_DEP_3)
	v_add_f64_e32 v[46:47], v[36:37], v[38:39]
	v_add_f64_e64 v[42:43], v[38:39], -v[42:43]
	v_add_f64_e64 v[44:45], v[44:45], -v[48:49]
	s_delay_alu instid0(VALU_DEP_3) | instskip(NEXT) | instid1(VALU_DEP_3)
	v_add_f64_e64 v[50:51], v[46:47], -v[36:37]
	v_add_f64_e64 v[14:15], v[14:15], -v[42:43]
	s_delay_alu instid0(VALU_DEP_2) | instskip(SKIP_1) | instid1(VALU_DEP_3)
	v_add_f64_e64 v[52:53], v[46:47], -v[50:51]
	v_add_f64_e64 v[38:39], v[38:39], -v[50:51]
	v_add_f64_e32 v[42:43], v[44:45], v[14:15]
	s_delay_alu instid0(VALU_DEP_3) | instskip(NEXT) | instid1(VALU_DEP_1)
	v_add_f64_e64 v[36:37], v[36:37], -v[52:53]
	v_add_f64_e32 v[36:37], v[38:39], v[36:37]
	s_delay_alu instid0(VALU_DEP_3) | instskip(NEXT) | instid1(VALU_DEP_2)
	v_add_f64_e64 v[38:39], v[42:43], -v[44:45]
	v_add_f64_e32 v[36:37], v[42:43], v[36:37]
	s_delay_alu instid0(VALU_DEP_2) | instskip(SKIP_1) | instid1(VALU_DEP_3)
	v_add_f64_e64 v[42:43], v[42:43], -v[38:39]
	v_add_f64_e64 v[14:15], v[14:15], -v[38:39]
	v_add_f64_e32 v[48:49], v[46:47], v[36:37]
	s_delay_alu instid0(VALU_DEP_3) | instskip(NEXT) | instid1(VALU_DEP_2)
	v_add_f64_e64 v[38:39], v[44:45], -v[42:43]
	v_add_f64_e64 v[42:43], v[48:49], -v[46:47]
	s_delay_alu instid0(VALU_DEP_2) | instskip(SKIP_1) | instid1(VALU_DEP_3)
	v_add_f64_e32 v[14:15], v[14:15], v[38:39]
	v_mov_b64_e32 v[38:39], 0x7ff8000000000000
	v_add_f64_e64 v[36:37], v[36:37], -v[42:43]
	s_delay_alu instid0(VALU_DEP_1) | instskip(NEXT) | instid1(VALU_DEP_1)
	v_add_f64_e32 v[14:15], v[14:15], v[36:37]
	v_add_f64_e32 v[14:15], v[48:49], v[14:15]
	s_delay_alu instid0(VALU_DEP_1) | instskip(SKIP_1) | instid1(VALU_DEP_2)
	v_dual_cndmask_b32 v14, v14, v40 :: v_dual_cndmask_b32 v15, v15, v41
	v_cmp_ngt_f64_e32 vcc_lo, 0, v[40:41]
	v_cndmask_b32_e32 v15, 0x7ff80000, v15, vcc_lo
	v_cmp_nge_f64_e32 vcc_lo, 0, v[40:41]
	s_delay_alu instid0(VALU_DEP_4) | instskip(SKIP_1) | instid1(VALU_DEP_4)
	v_cndmask_b32_e32 v36, 0, v14, vcc_lo
	v_cmp_neq_f64_e32 vcc_lo, 0, v[40:41]
	v_cndmask_b32_e32 v37, 0xfff00000, v15, vcc_lo
.LBB179_187:                            ;   in Loop: Header=BB179_145 Depth=1
	s_or_b32 exec_lo, exec_lo, s4
                                        ; implicit-def: $vgpr14_vgpr15
                                        ; implicit-def: $vgpr40_vgpr41
	s_delay_alu instid0(SALU_CYCLE_1)
	s_mov_b32 s4, exec_lo
	v_cmpx_o_f64_e32 v[10:11], v[12:13]
	s_xor_b32 s15, exec_lo, s4
	s_cbranch_execz .LBB179_215
; %bb.188:                              ;   in Loop: Header=BB179_145 Depth=1
	v_cmp_lt_f64_e64 s4, |v[10:11]|, |v[12:13]|
	v_and_b32_e32 v42, 0x7fffffff, v11
	v_and_b32_e32 v21, 0x7fffffff, v13
                                        ; implicit-def: $vgpr14_vgpr15
                                        ; implicit-def: $vgpr40_vgpr41
	s_mov_b32 s5, exec_lo
	s_delay_alu instid0(VALU_DEP_1) | instskip(SKIP_1) | instid1(VALU_DEP_1)
	v_dual_mov_b32 v16, v12 :: v_dual_cndmask_b32 v45, v21, v42, s4
	v_cndmask_b32_e64 v44, v12, v10, s4
	v_cmpx_nlt_f64_e32 s[22:23], v[44:45]
	s_xor_b32 s33, exec_lo, s5
	s_cbranch_execz .LBB179_212
; %bb.189:                              ;   in Loop: Header=BB179_145 Depth=1
	v_cndmask_b32_e64 v47, v42, v21, s4
	v_cndmask_b32_e64 v46, v10, v16, s4
                                        ; implicit-def: $vgpr14_vgpr15
                                        ; implicit-def: $vgpr40_vgpr41
	s_mov_b32 s5, exec_lo
	s_delay_alu instid0(VALU_DEP_1)
	v_cmpx_neq_f64_e32 1.0, v[46:47]
	s_xor_b32 s54, exec_lo, s5
	s_cbranch_execz .LBB179_205
; %bb.190:                              ;   in Loop: Header=BB179_145 Depth=1
	v_max_num_f64_e32 v[14:15], v[44:45], v[44:45]
	v_max_num_f64_e32 v[40:41], v[46:47], v[46:47]
	s_delay_alu instid0(VALU_DEP_1) | instskip(SKIP_1) | instid1(VALU_DEP_2)
	v_min_num_f64_e32 v[42:43], v[40:41], v[14:15]
	v_max_num_f64_e32 v[14:15], v[40:41], v[14:15]
                                        ; implicit-def: $vgpr40_vgpr41
	v_cmp_ngt_f64_e32 vcc_lo, s[24:25], v[42:43]
	s_delay_alu instid0(VALU_DEP_2) | instskip(SKIP_1) | instid1(SALU_CYCLE_1)
	v_cmp_nlt_f64_e64 s5, s[26:27], v[14:15]
                                        ; implicit-def: $vgpr14_vgpr15
	s_and_b32 s5, s5, vcc_lo
	s_and_saveexec_b32 s6, s5
	s_delay_alu instid0(SALU_CYCLE_1)
	s_xor_b32 s55, exec_lo, s6
	s_cbranch_execz .LBB179_202
; %bb.191:                              ;   in Loop: Header=BB179_145 Depth=1
                                        ; implicit-def: $vgpr14_vgpr15
                                        ; implicit-def: $vgpr40_vgpr41
	s_mov_b32 s5, exec_lo
	v_cmpx_le_f64_e32 1.0, v[46:47]
	s_xor_b32 s8, exec_lo, s5
	s_cbranch_execz .LBB179_193
; %bb.192:                              ;   in Loop: Header=BB179_145 Depth=1
	v_add_f64_e32 v[14:15], -1.0, v[46:47]
	v_add_f64_e32 v[40:41], 1.0, v[46:47]
	v_cmp_eq_f64_e64 s5, 0, v[12:13]
	v_cmp_class_f64_e64 s10, v[10:11], 0x204
	v_cmp_class_f64_e64 s9, v[12:13], 0x204
	s_delay_alu instid0(VALU_DEP_4) | instskip(NEXT) | instid1(VALU_DEP_1)
	v_mul_f64_e32 v[42:43], v[14:15], v[40:41]
	v_fmac_f64_e32 v[42:43], v[44:45], v[44:45]
	s_delay_alu instid0(VALU_DEP_1) | instskip(SKIP_2) | instid1(VALU_DEP_3)
	v_add_f64_e32 v[14:15], 1.0, v[42:43]
	v_cmp_nge_f64_e64 s6, -1.0, v[42:43]
	v_cmp_neq_f64_e64 s7, 0x7ff00000, v[42:43]
	v_frexp_mant_f64_e32 v[40:41], v[14:15]
	v_frexp_exp_i32_f64_e32 v16, v[14:15]
	v_add_f64_e32 v[44:45], -1.0, v[14:15]
	s_delay_alu instid0(VALU_DEP_3) | instskip(NEXT) | instid1(VALU_DEP_2)
	v_cmp_gt_f64_e32 vcc_lo, s[28:29], v[40:41]
	v_add_f64_e64 v[40:41], v[44:45], -v[14:15]
	v_add_f64_e64 v[44:45], v[42:43], -v[44:45]
	v_subrev_co_ci_u32_e64 v16, null, 0, v16, vcc_lo
	s_delay_alu instid0(VALU_DEP_3) | instskip(NEXT) | instid1(VALU_DEP_2)
	v_add_f64_e32 v[40:41], 1.0, v[40:41]
	v_sub_nc_u32_e32 v21, 0, v16
	s_delay_alu instid0(VALU_DEP_1) | instskip(NEXT) | instid1(VALU_DEP_3)
	v_ldexp_f64 v[14:15], v[14:15], v21
	v_add_f64_e32 v[40:41], v[44:45], v[40:41]
	s_delay_alu instid0(VALU_DEP_2) | instskip(SKIP_1) | instid1(VALU_DEP_3)
	v_add_f64_e32 v[46:47], 1.0, v[14:15]
	v_add_f64_e32 v[52:53], -1.0, v[14:15]
	v_ldexp_f64 v[40:41], v[40:41], v21
	s_delay_alu instid0(VALU_DEP_3) | instskip(NEXT) | instid1(VALU_DEP_3)
	v_add_f64_e32 v[44:45], -1.0, v[46:47]
	v_add_f64_e32 v[54:55], 1.0, v[52:53]
	s_delay_alu instid0(VALU_DEP_2) | instskip(NEXT) | instid1(VALU_DEP_2)
	v_add_f64_e64 v[44:45], v[14:15], -v[44:45]
	v_add_f64_e64 v[14:15], v[14:15], -v[54:55]
	s_delay_alu instid0(VALU_DEP_2) | instskip(NEXT) | instid1(VALU_DEP_2)
	v_add_f64_e32 v[44:45], v[40:41], v[44:45]
	v_add_f64_e32 v[14:15], v[40:41], v[14:15]
	s_delay_alu instid0(VALU_DEP_2) | instskip(NEXT) | instid1(VALU_DEP_2)
	v_add_f64_e32 v[48:49], v[46:47], v[44:45]
	v_add_f64_e32 v[54:55], v[52:53], v[14:15]
	s_delay_alu instid0(VALU_DEP_2) | instskip(SKIP_1) | instid1(VALU_DEP_2)
	v_rcp_f64_e32 v[50:51], v[48:49]
	v_add_f64_e64 v[46:47], v[48:49], -v[46:47]
	v_add_f64_e64 v[52:53], v[54:55], -v[52:53]
	s_delay_alu instid0(VALU_DEP_2) | instskip(NEXT) | instid1(VALU_DEP_2)
	v_add_f64_e64 v[44:45], v[44:45], -v[46:47]
	v_add_f64_e64 v[14:15], v[14:15], -v[52:53]
	s_delay_alu instid0(TRANS32_DEP_1) | instskip(NEXT) | instid1(VALU_DEP_1)
	v_fma_f64 v[56:57], -v[48:49], v[50:51], 1.0
	v_fmac_f64_e32 v[50:51], v[56:57], v[50:51]
	s_delay_alu instid0(VALU_DEP_1) | instskip(NEXT) | instid1(VALU_DEP_1)
	v_fma_f64 v[40:41], -v[48:49], v[50:51], 1.0
	v_fmac_f64_e32 v[50:51], v[40:41], v[50:51]
	s_delay_alu instid0(VALU_DEP_1) | instskip(NEXT) | instid1(VALU_DEP_1)
	v_mul_f64_e32 v[40:41], v[54:55], v[50:51]
	v_mul_f64_e32 v[56:57], v[48:49], v[40:41]
	s_delay_alu instid0(VALU_DEP_1) | instskip(NEXT) | instid1(VALU_DEP_1)
	v_fma_f64 v[46:47], v[40:41], v[48:49], -v[56:57]
	v_fmac_f64_e32 v[46:47], v[40:41], v[44:45]
	s_delay_alu instid0(VALU_DEP_1) | instskip(NEXT) | instid1(VALU_DEP_1)
	v_add_f64_e32 v[58:59], v[56:57], v[46:47]
	v_add_f64_e64 v[60:61], v[54:55], -v[58:59]
	v_add_f64_e64 v[52:53], v[58:59], -v[56:57]
	s_delay_alu instid0(VALU_DEP_2) | instskip(NEXT) | instid1(VALU_DEP_2)
	v_add_f64_e64 v[54:55], v[54:55], -v[60:61]
	v_add_f64_e64 v[46:47], v[52:53], -v[46:47]
	s_delay_alu instid0(VALU_DEP_2) | instskip(NEXT) | instid1(VALU_DEP_1)
	v_add_f64_e64 v[54:55], v[54:55], -v[58:59]
	v_add_f64_e32 v[14:15], v[14:15], v[54:55]
	s_delay_alu instid0(VALU_DEP_1) | instskip(NEXT) | instid1(VALU_DEP_1)
	v_add_f64_e32 v[14:15], v[46:47], v[14:15]
	v_add_f64_e32 v[46:47], v[60:61], v[14:15]
	s_delay_alu instid0(VALU_DEP_1) | instskip(SKIP_1) | instid1(VALU_DEP_2)
	v_mul_f64_e32 v[52:53], v[50:51], v[46:47]
	v_add_f64_e64 v[58:59], v[60:61], -v[46:47]
	v_mul_f64_e32 v[54:55], v[48:49], v[52:53]
	s_delay_alu instid0(VALU_DEP_2) | instskip(NEXT) | instid1(VALU_DEP_2)
	v_add_f64_e32 v[14:15], v[14:15], v[58:59]
	v_fma_f64 v[48:49], v[52:53], v[48:49], -v[54:55]
	s_delay_alu instid0(VALU_DEP_1) | instskip(NEXT) | instid1(VALU_DEP_1)
	v_fmac_f64_e32 v[48:49], v[52:53], v[44:45]
	v_add_f64_e32 v[44:45], v[54:55], v[48:49]
	s_delay_alu instid0(VALU_DEP_1) | instskip(SKIP_1) | instid1(VALU_DEP_2)
	v_add_f64_e64 v[56:57], v[46:47], -v[44:45]
	v_add_f64_e64 v[54:55], v[44:45], -v[54:55]
	;; [unrolled: 1-line block ×3, first 2 shown]
	s_delay_alu instid0(VALU_DEP_1) | instskip(NEXT) | instid1(VALU_DEP_3)
	v_add_f64_e64 v[44:45], v[46:47], -v[44:45]
	v_add_f64_e64 v[46:47], v[54:55], -v[48:49]
	v_max_num_f64_e64 v[48:49], |v[10:11]|, |v[10:11]|
	s_delay_alu instid0(VALU_DEP_3) | instskip(SKIP_1) | instid1(VALU_DEP_2)
	v_add_f64_e32 v[14:15], v[14:15], v[44:45]
	v_add_f64_e32 v[44:45], v[40:41], v[52:53]
	;; [unrolled: 1-line block ×3, first 2 shown]
	s_delay_alu instid0(VALU_DEP_2) | instskip(SKIP_1) | instid1(VALU_DEP_3)
	v_add_f64_e64 v[40:41], v[44:45], -v[40:41]
	v_max_num_f64_e64 v[46:47], |v[12:13]|, |v[12:13]|
	v_add_f64_e32 v[14:15], v[56:57], v[14:15]
	s_delay_alu instid0(VALU_DEP_3) | instskip(NEXT) | instid1(VALU_DEP_2)
	v_add_f64_e64 v[40:41], v[52:53], -v[40:41]
	v_mul_f64_e32 v[14:15], v[50:51], v[14:15]
	s_delay_alu instid0(VALU_DEP_1) | instskip(SKIP_2) | instid1(VALU_DEP_3)
	v_add_f64_e32 v[14:15], v[40:41], v[14:15]
	v_max_num_f64_e32 v[40:41], v[48:49], v[46:47]
	v_min_num_f64_e32 v[46:47], v[48:49], v[46:47]
	v_add_f64_e32 v[48:49], v[44:45], v[14:15]
	s_delay_alu instid0(VALU_DEP_2) | instskip(NEXT) | instid1(VALU_DEP_2)
	v_div_scale_f64 v[50:51], null, v[40:41], v[40:41], v[46:47]
	v_mul_f64_e32 v[52:53], v[48:49], v[48:49]
	v_add_f64_e64 v[44:45], v[48:49], -v[44:45]
	s_delay_alu instid0(VALU_DEP_3) | instskip(NEXT) | instid1(VALU_DEP_2)
	v_rcp_f64_e32 v[54:55], v[50:51]
	v_fmamk_f64 v[56:57], v[52:53], 0x3fc3ab76bf559e2b, v[24:25]
	v_mul_f64_e32 v[58:59], v[48:49], v[52:53]
	s_delay_alu instid0(VALU_DEP_3) | instskip(NEXT) | instid1(VALU_DEP_3)
	v_add_f64_e64 v[14:15], v[14:15], -v[44:45]
	v_fmaak_f64 v[56:57], v[52:53], v[56:57], 0x3fc7474dd7f4df2e
	s_delay_alu instid0(TRANS32_DEP_1) | instskip(NEXT) | instid1(VALU_DEP_2)
	v_fma_f64 v[60:61], -v[50:51], v[54:55], 1.0
	v_fmaak_f64 v[56:57], v[52:53], v[56:57], 0x3fcc71c016291751
	s_delay_alu instid0(VALU_DEP_1) | instskip(NEXT) | instid1(VALU_DEP_1)
	v_fmaak_f64 v[56:57], v[52:53], v[56:57], 0x3fd249249b27acf1
	v_fmaak_f64 v[56:57], v[52:53], v[56:57], 0x3fd99999998ef7b6
	v_ldexp_f64 v[14:15], v[14:15], 1
	s_delay_alu instid0(VALU_DEP_2) | instskip(SKIP_2) | instid1(VALU_DEP_3)
	v_fmaak_f64 v[52:53], v[52:53], v[56:57], 0x3fe5555555555780
	v_ldexp_f64 v[56:57], v[48:49], 1
	v_fmac_f64_e32 v[54:55], v[54:55], v[60:61]
	v_mul_f64_e32 v[52:53], v[58:59], v[52:53]
	v_cvt_f64_i32_e32 v[58:59], v16
	v_ashrrev_i32_e32 v16, 31, v11
	s_delay_alu instid0(VALU_DEP_4) | instskip(NEXT) | instid1(VALU_DEP_4)
	v_fma_f64 v[60:61], -v[50:51], v[54:55], 1.0
	v_add_f64_e32 v[48:49], v[56:57], v[52:53]
	s_delay_alu instid0(VALU_DEP_4) | instskip(NEXT) | instid1(VALU_DEP_3)
	v_mul_f64_e32 v[62:63], 0x3fe62e42fefa39ef, v[58:59]
	v_fmac_f64_e32 v[54:55], v[54:55], v[60:61]
	s_delay_alu instid0(VALU_DEP_3) | instskip(SKIP_1) | instid1(VALU_DEP_4)
	v_add_f64_e64 v[44:45], v[48:49], -v[56:57]
	v_div_scale_f64 v[56:57], vcc_lo, v[46:47], v[40:41], v[46:47]
	v_fma_f64 v[60:61], v[58:59], s[30:31], -v[62:63]
	s_delay_alu instid0(VALU_DEP_3) | instskip(NEXT) | instid1(VALU_DEP_3)
	v_add_f64_e64 v[44:45], v[52:53], -v[44:45]
	v_mul_f64_e32 v[52:53], v[56:57], v[54:55]
	s_delay_alu instid0(VALU_DEP_3) | instskip(NEXT) | instid1(VALU_DEP_3)
	v_fmac_f64_e32 v[60:61], 0x3c7abc9e3b39803f, v[58:59]
	v_add_f64_e32 v[14:15], v[14:15], v[44:45]
	s_delay_alu instid0(VALU_DEP_3) | instskip(NEXT) | instid1(VALU_DEP_3)
	v_fma_f64 v[44:45], -v[50:51], v[52:53], v[56:57]
	v_add_f64_e32 v[50:51], v[62:63], v[60:61]
	s_delay_alu instid0(VALU_DEP_3) | instskip(NEXT) | instid1(VALU_DEP_3)
	v_add_f64_e32 v[56:57], v[48:49], v[14:15]
	v_div_fmas_f64 v[44:45], v[44:45], v[54:55], v[52:53]
	v_cmp_gt_i32_e32 vcc_lo, 0, v11
	s_delay_alu instid0(VALU_DEP_4) | instskip(SKIP_3) | instid1(VALU_DEP_1)
	v_add_f64_e64 v[54:55], v[50:51], -v[62:63]
	v_and_b32_e32 v11, 0x400921fb, v16
	v_cndmask_b32_e32 v21, 0x54442d18, v68, vcc_lo
	v_cndmask_b32_e32 v10, 0x3fe921fb, v69, vcc_lo
	v_bfi_b32 v10, 0x7fffffff, v10, v13
	v_add_f64_e32 v[52:53], v[50:51], v[56:57]
	v_div_fixup_f64 v[40:41], v[44:45], v[40:41], v[46:47]
	v_add_f64_e64 v[48:49], v[56:57], -v[48:49]
	v_add_f64_e64 v[54:55], v[60:61], -v[54:55]
	s_delay_alu instid0(VALU_DEP_4) | instskip(NEXT) | instid1(VALU_DEP_4)
	v_add_f64_e64 v[44:45], v[52:53], -v[50:51]
	v_mul_f64_e32 v[46:47], v[40:41], v[40:41]
	s_delay_alu instid0(VALU_DEP_4) | instskip(NEXT) | instid1(VALU_DEP_3)
	v_add_f64_e64 v[14:15], v[14:15], -v[48:49]
	v_add_f64_e64 v[58:59], v[52:53], -v[44:45]
	s_delay_alu instid0(VALU_DEP_3) | instskip(SKIP_1) | instid1(VALU_DEP_4)
	v_fmamk_f64 v[62:63], v[46:47], 0x3eeba404b5e68a13, v[26:27]
	v_add_f64_e64 v[44:45], v[56:57], -v[44:45]
	v_add_f64_e32 v[56:57], v[54:55], v[14:15]
	s_delay_alu instid0(VALU_DEP_3) | instskip(SKIP_1) | instid1(VALU_DEP_2)
	v_fmaak_f64 v[62:63], v[46:47], v[62:63], 0x3f4b2bb069efb384
	v_add_f64_e64 v[48:49], v[50:51], -v[58:59]
	v_fmaak_f64 v[50:51], v[46:47], v[62:63], 0xbf67952daf56de9b
	s_delay_alu instid0(VALU_DEP_1) | instskip(NEXT) | instid1(VALU_DEP_1)
	v_fmaak_f64 v[50:51], v[46:47], v[50:51], 0x3f7d6d43a595c56f
	v_fmaak_f64 v[50:51], v[46:47], v[50:51], 0xbf8c6ea4a57d9582
	s_delay_alu instid0(VALU_DEP_1) | instskip(NEXT) | instid1(VALU_DEP_1)
	v_fmaak_f64 v[50:51], v[46:47], v[50:51], 0x3f967e295f08b19f
	v_fmaak_f64 v[50:51], v[46:47], v[50:51], 0xbf9e9ae6fc27006a
	v_add_f64_e32 v[44:45], v[44:45], v[48:49]
	s_delay_alu instid0(VALU_DEP_2) | instskip(SKIP_1) | instid1(VALU_DEP_2)
	v_fmaak_f64 v[48:49], v[46:47], v[50:51], 0x3fa2c15b5711927a
	v_add_f64_e64 v[50:51], v[56:57], -v[54:55]
	v_fmaak_f64 v[48:49], v[46:47], v[48:49], 0xbfa59976e82d3ff0
	s_delay_alu instid0(VALU_DEP_1) | instskip(NEXT) | instid1(VALU_DEP_1)
	v_fmaak_f64 v[48:49], v[46:47], v[48:49], 0x3fa82d5d6ef28734
	v_fmaak_f64 v[48:49], v[46:47], v[48:49], 0xbfaae5ce6a214619
	s_delay_alu instid0(VALU_DEP_1) | instskip(SKIP_3) | instid1(VALU_DEP_4)
	v_fmaak_f64 v[48:49], v[46:47], v[48:49], 0x3fae1bb48427b883
	v_add_f64_e32 v[44:45], v[56:57], v[44:45]
	v_add_f64_e64 v[56:57], v[56:57], -v[50:51]
	v_add_f64_e64 v[14:15], v[14:15], -v[50:51]
	v_fmaak_f64 v[48:49], v[46:47], v[48:49], 0xbfb110e48b207f05
	s_delay_alu instid0(VALU_DEP_1) | instskip(NEXT) | instid1(VALU_DEP_1)
	v_fmaak_f64 v[48:49], v[46:47], v[48:49], 0x3fb3b13657b87036
	v_fmaak_f64 v[48:49], v[46:47], v[48:49], 0xbfb745d119378e4f
	s_delay_alu instid0(VALU_DEP_1) | instskip(SKIP_1) | instid1(VALU_DEP_2)
	v_fmaak_f64 v[48:49], v[46:47], v[48:49], 0x3fbc71c717e1913c
	v_add_f64_e32 v[58:59], v[52:53], v[44:45]
	v_fmaak_f64 v[48:49], v[46:47], v[48:49], 0xbfc2492492376b7d
	s_delay_alu instid0(VALU_DEP_1) | instskip(NEXT) | instid1(VALU_DEP_1)
	v_fmaak_f64 v[48:49], v[46:47], v[48:49], 0x3fc99999999952cc
	v_fmaak_f64 v[48:49], v[46:47], v[48:49], 0xbfd5555555555523
	s_delay_alu instid0(VALU_DEP_1) | instskip(SKIP_2) | instid1(VALU_DEP_3)
	v_mul_f64_e32 v[46:47], v[46:47], v[48:49]
	v_add_f64_e64 v[48:49], v[54:55], -v[56:57]
	v_add_f64_e64 v[50:51], v[58:59], -v[52:53]
	v_fmac_f64_e32 v[40:41], v[40:41], v[46:47]
	s_delay_alu instid0(VALU_DEP_3) | instskip(NEXT) | instid1(VALU_DEP_3)
	v_add_f64_e32 v[14:15], v[14:15], v[48:49]
	v_add_f64_e64 v[44:45], v[44:45], -v[50:51]
	s_delay_alu instid0(VALU_DEP_3) | instskip(NEXT) | instid1(VALU_DEP_1)
	v_add_f64_e64 v[46:47], -v[40:41], s[38:39]
	v_dual_add_f64 v[14:15], v[14:15], v[44:45] :: v_dual_cndmask_b32 v41, v41, v47, s4
	s_delay_alu instid0(VALU_DEP_2) | instskip(SKIP_1) | instid1(VALU_DEP_2)
	v_cndmask_b32_e64 v40, v40, v46, s4
	v_and_b32_e32 v46, 0x54442d18, v16
	v_add_f64_e64 v[44:45], -v[40:41], s[40:41]
	s_delay_alu instid0(VALU_DEP_1) | instskip(NEXT) | instid1(VALU_DEP_2)
	v_dual_add_f64 v[14:15], v[58:59], v[14:15] :: v_dual_cndmask_b32 v40, v40, v44, vcc_lo
	v_cndmask_b32_e32 v16, v41, v45, vcc_lo
	v_cmp_ngt_f64_e32 vcc_lo, -1.0, v[42:43]
	s_delay_alu instid0(VALU_DEP_3) | instskip(NEXT) | instid1(VALU_DEP_4)
	v_mul_f64_e32 v[14:15], 0.5, v[14:15]
                                        ; implicit-def: $vgpr44_vgpr45
	v_cndmask_b32_e64 v40, v40, v46, s5
	s_delay_alu instid0(VALU_DEP_4)
	v_cndmask_b32_e64 v11, v16, v11, s5
	s_and_b32 s5, s6, s7
                                        ; implicit-def: $vgpr46_vgpr47
	s_delay_alu instid0(VALU_DEP_3) | instid1(SALU_CYCLE_1)
	v_cndmask_b32_e64 v14, 0, v14, s5
	v_cmp_neq_f64_e64 s5, -1.0, v[42:43]
	v_cndmask_b32_e64 v15, 0x7ff00000, v15, s7
	s_delay_alu instid0(VALU_DEP_1) | instskip(SKIP_2) | instid1(VALU_DEP_2)
	v_cndmask_b32_e32 v15, 0x7ff80000, v15, vcc_lo
	s_and_b32 vcc_lo, s9, s10
	v_dual_cndmask_b32 v41, v11, v10 :: v_dual_cndmask_b32 v40, v40, v21
	v_cndmask_b32_e64 v15, 0xfff00000, v15, s5
.LBB179_193:                            ;   in Loop: Header=BB179_145 Depth=1
	s_and_not1_saveexec_b32 s56, s8
	s_cbranch_execz .LBB179_201
; %bb.194:                              ;   in Loop: Header=BB179_145 Depth=1
	v_mul_f64_e32 v[42:43], v[44:45], v[44:45]
                                        ; implicit-def: $vgpr14_vgpr15
                                        ; implicit-def: $vgpr40_vgpr41
	s_mov_b32 s5, exec_lo
	s_delay_alu instid0(VALU_DEP_1) | instskip(NEXT) | instid1(VALU_DEP_1)
	v_fmac_f64_e32 v[42:43], v[46:47], v[46:47]
	v_cmpx_ge_f64_e32 s[42:43], v[42:43]
	s_xor_b32 s7, exec_lo, s5
	s_cbranch_execz .LBB179_196
; %bb.195:                              ;   in Loop: Header=BB179_145 Depth=1
	v_frexp_mant_f64_e32 v[14:15], v[42:43]
	v_cmp_eq_f64_e64 s5, 0, v[12:13]
	v_cmp_neq_f64_e64 s6, 0, v[42:43]
	v_cmp_class_f64_e64 s8, v[12:13], 0x204
	v_cmp_class_f64_e64 s9, v[10:11], 0x204
	v_cmp_gt_f64_e32 vcc_lo, s[28:29], v[14:15]
	v_cndmask_b32_e64 v16, 0, 1, vcc_lo
	s_delay_alu instid0(VALU_DEP_1) | instskip(SKIP_1) | instid1(VALU_DEP_2)
	v_ldexp_f64 v[14:15], v[14:15], v16
	v_frexp_exp_i32_f64_e32 v16, v[42:43]
	v_add_f64_e32 v[40:41], 1.0, v[14:15]
	v_add_f64_e32 v[48:49], -1.0, v[14:15]
	s_delay_alu instid0(VALU_DEP_3) | instskip(NEXT) | instid1(VALU_DEP_3)
	v_subrev_co_ci_u32_e64 v16, null, 0, v16, vcc_lo
	v_rcp_f64_e32 v[44:45], v[40:41]
	v_add_f64_e32 v[50:51], -1.0, v[40:41]
	s_delay_alu instid0(VALU_DEP_1) | instskip(NEXT) | instid1(TRANS32_DEP_1)
	v_add_f64_e64 v[14:15], v[14:15], -v[50:51]
	v_fma_f64 v[46:47], -v[40:41], v[44:45], 1.0
	s_delay_alu instid0(VALU_DEP_1) | instskip(NEXT) | instid1(VALU_DEP_1)
	v_fmac_f64_e32 v[44:45], v[46:47], v[44:45]
	v_fma_f64 v[46:47], -v[40:41], v[44:45], 1.0
	s_delay_alu instid0(VALU_DEP_1) | instskip(NEXT) | instid1(VALU_DEP_1)
	v_fmac_f64_e32 v[44:45], v[46:47], v[44:45]
	v_mul_f64_e32 v[46:47], v[48:49], v[44:45]
	s_delay_alu instid0(VALU_DEP_1) | instskip(NEXT) | instid1(VALU_DEP_1)
	v_mul_f64_e32 v[52:53], v[40:41], v[46:47]
	v_fma_f64 v[40:41], v[46:47], v[40:41], -v[52:53]
	s_delay_alu instid0(VALU_DEP_1) | instskip(NEXT) | instid1(VALU_DEP_1)
	v_fmac_f64_e32 v[40:41], v[46:47], v[14:15]
	v_add_f64_e32 v[14:15], v[52:53], v[40:41]
	s_delay_alu instid0(VALU_DEP_1) | instskip(SKIP_1) | instid1(VALU_DEP_2)
	v_add_f64_e64 v[50:51], v[48:49], -v[14:15]
	v_add_f64_e64 v[52:53], v[14:15], -v[52:53]
	;; [unrolled: 1-line block ×3, first 2 shown]
	s_delay_alu instid0(VALU_DEP_2) | instskip(NEXT) | instid1(VALU_DEP_2)
	v_add_f64_e64 v[40:41], v[52:53], -v[40:41]
	v_add_f64_e64 v[14:15], v[48:49], -v[14:15]
	v_max_num_f64_e64 v[48:49], |v[10:11]|, |v[10:11]|
	s_delay_alu instid0(VALU_DEP_2) | instskip(SKIP_1) | instid1(VALU_DEP_2)
	v_add_f64_e32 v[14:15], v[40:41], v[14:15]
	v_max_num_f64_e64 v[40:41], |v[12:13]|, |v[12:13]|
	v_add_f64_e32 v[14:15], v[50:51], v[14:15]
	s_delay_alu instid0(VALU_DEP_1) | instskip(NEXT) | instid1(VALU_DEP_3)
	v_mul_f64_e32 v[14:15], v[44:45], v[14:15]
	v_max_num_f64_e32 v[44:45], v[48:49], v[40:41]
	v_min_num_f64_e32 v[40:41], v[48:49], v[40:41]
	s_delay_alu instid0(VALU_DEP_3) | instskip(NEXT) | instid1(VALU_DEP_2)
	v_add_f64_e32 v[48:49], v[46:47], v[14:15]
	v_div_scale_f64 v[50:51], null, v[44:45], v[44:45], v[40:41]
	s_delay_alu instid0(VALU_DEP_2) | instskip(NEXT) | instid1(VALU_DEP_2)
	v_mul_f64_e32 v[52:53], v[48:49], v[48:49]
	v_rcp_f64_e32 v[54:55], v[50:51]
	s_delay_alu instid0(VALU_DEP_1) | instskip(SKIP_1) | instid1(VALU_DEP_2)
	v_fmamk_f64 v[56:57], v[52:53], 0x3fc3ab76bf559e2b, v[24:25]
	v_mul_f64_e32 v[58:59], v[48:49], v[52:53]
	v_fmaak_f64 v[56:57], v[52:53], v[56:57], 0x3fc7474dd7f4df2e
	s_delay_alu instid0(TRANS32_DEP_1) | instskip(NEXT) | instid1(VALU_DEP_2)
	v_fma_f64 v[60:61], -v[50:51], v[54:55], 1.0
	v_fmaak_f64 v[56:57], v[52:53], v[56:57], 0x3fcc71c016291751
	s_delay_alu instid0(VALU_DEP_1) | instskip(NEXT) | instid1(VALU_DEP_1)
	v_fmaak_f64 v[56:57], v[52:53], v[56:57], 0x3fd249249b27acf1
	v_fmaak_f64 v[56:57], v[52:53], v[56:57], 0x3fd99999998ef7b6
	s_delay_alu instid0(VALU_DEP_1) | instskip(SKIP_2) | instid1(VALU_DEP_3)
	v_fmaak_f64 v[52:53], v[52:53], v[56:57], 0x3fe5555555555780
	v_ldexp_f64 v[56:57], v[48:49], 1
	v_fmac_f64_e32 v[54:55], v[54:55], v[60:61]
	v_mul_f64_e32 v[52:53], v[58:59], v[52:53]
	v_cvt_f64_i32_e32 v[58:59], v16
	v_ashrrev_i32_e32 v16, 31, v11
	v_add_f64_e64 v[46:47], v[48:49], -v[46:47]
	v_fma_f64 v[60:61], -v[50:51], v[54:55], 1.0
	v_add_f64_e32 v[48:49], v[56:57], v[52:53]
	v_mul_f64_e32 v[62:63], 0x3fe62e42fefa39ef, v[58:59]
	s_delay_alu instid0(VALU_DEP_4) | instskip(NEXT) | instid1(VALU_DEP_4)
	v_add_f64_e64 v[14:15], v[14:15], -v[46:47]
	v_fmac_f64_e32 v[54:55], v[54:55], v[60:61]
	s_delay_alu instid0(VALU_DEP_4) | instskip(SKIP_3) | instid1(VALU_DEP_4)
	v_add_f64_e64 v[46:47], v[48:49], -v[56:57]
	v_div_scale_f64 v[56:57], vcc_lo, v[40:41], v[44:45], v[40:41]
	v_fma_f64 v[60:61], v[58:59], s[30:31], -v[62:63]
	v_ldexp_f64 v[14:15], v[14:15], 1
	v_add_f64_e64 v[46:47], v[52:53], -v[46:47]
	s_delay_alu instid0(VALU_DEP_4) | instskip(NEXT) | instid1(VALU_DEP_4)
	v_mul_f64_e32 v[52:53], v[56:57], v[54:55]
	v_fmac_f64_e32 v[60:61], 0x3c7abc9e3b39803f, v[58:59]
	s_delay_alu instid0(VALU_DEP_3) | instskip(NEXT) | instid1(VALU_DEP_3)
	v_add_f64_e32 v[14:15], v[14:15], v[46:47]
	v_fma_f64 v[46:47], -v[50:51], v[52:53], v[56:57]
	s_delay_alu instid0(VALU_DEP_3) | instskip(NEXT) | instid1(VALU_DEP_3)
	v_add_f64_e32 v[50:51], v[62:63], v[60:61]
	v_add_f64_e32 v[56:57], v[48:49], v[14:15]
	s_delay_alu instid0(VALU_DEP_3) | instskip(SKIP_1) | instid1(VALU_DEP_4)
	v_div_fmas_f64 v[46:47], v[46:47], v[54:55], v[52:53]
	v_cmp_gt_i32_e32 vcc_lo, 0, v11
	v_add_f64_e64 v[54:55], v[50:51], -v[62:63]
	v_cndmask_b32_e32 v21, 0x54442d18, v68, vcc_lo
	v_add_f64_e32 v[52:53], v[50:51], v[56:57]
	v_div_fixup_f64 v[40:41], v[46:47], v[44:45], v[40:41]
	v_add_f64_e64 v[48:49], v[56:57], -v[48:49]
	v_add_f64_e64 v[54:55], v[60:61], -v[54:55]
	s_delay_alu instid0(VALU_DEP_4) | instskip(NEXT) | instid1(VALU_DEP_4)
	v_add_f64_e64 v[44:45], v[52:53], -v[50:51]
	v_mul_f64_e32 v[46:47], v[40:41], v[40:41]
	s_delay_alu instid0(VALU_DEP_4) | instskip(NEXT) | instid1(VALU_DEP_3)
	v_add_f64_e64 v[14:15], v[14:15], -v[48:49]
	v_add_f64_e64 v[58:59], v[52:53], -v[44:45]
	s_delay_alu instid0(VALU_DEP_3) | instskip(SKIP_1) | instid1(VALU_DEP_4)
	v_fmamk_f64 v[62:63], v[46:47], 0x3eeba404b5e68a13, v[26:27]
	v_add_f64_e64 v[44:45], v[56:57], -v[44:45]
	v_add_f64_e32 v[56:57], v[54:55], v[14:15]
	s_delay_alu instid0(VALU_DEP_3) | instskip(NEXT) | instid1(VALU_DEP_1)
	v_fmaak_f64 v[62:63], v[46:47], v[62:63], 0x3f4b2bb069efb384
	v_fmaak_f64 v[62:63], v[46:47], v[62:63], 0xbf67952daf56de9b
	v_add_f64_e64 v[48:49], v[50:51], -v[58:59]
	s_delay_alu instid0(VALU_DEP_2) | instskip(NEXT) | instid1(VALU_DEP_1)
	v_fmaak_f64 v[50:51], v[46:47], v[62:63], 0x3f7d6d43a595c56f
	v_fmaak_f64 v[50:51], v[46:47], v[50:51], 0xbf8c6ea4a57d9582
	s_delay_alu instid0(VALU_DEP_1) | instskip(NEXT) | instid1(VALU_DEP_1)
	v_fmaak_f64 v[50:51], v[46:47], v[50:51], 0x3f967e295f08b19f
	v_fmaak_f64 v[50:51], v[46:47], v[50:51], 0xbf9e9ae6fc27006a
	s_delay_alu instid0(VALU_DEP_1) | instskip(SKIP_1) | instid1(VALU_DEP_2)
	v_fmaak_f64 v[50:51], v[46:47], v[50:51], 0x3fa2c15b5711927a
	v_add_f64_e32 v[44:45], v[44:45], v[48:49]
	v_fmaak_f64 v[48:49], v[46:47], v[50:51], 0xbfa59976e82d3ff0
	v_add_f64_e64 v[50:51], v[56:57], -v[54:55]
	s_delay_alu instid0(VALU_DEP_2) | instskip(NEXT) | instid1(VALU_DEP_1)
	v_fmaak_f64 v[48:49], v[46:47], v[48:49], 0x3fa82d5d6ef28734
	v_fmaak_f64 v[48:49], v[46:47], v[48:49], 0xbfaae5ce6a214619
	s_delay_alu instid0(VALU_DEP_1) | instskip(NEXT) | instid1(VALU_DEP_1)
	v_fmaak_f64 v[48:49], v[46:47], v[48:49], 0x3fae1bb48427b883
	v_fmaak_f64 v[48:49], v[46:47], v[48:49], 0xbfb110e48b207f05
	v_add_f64_e32 v[44:45], v[56:57], v[44:45]
	v_add_f64_e64 v[56:57], v[56:57], -v[50:51]
	v_add_f64_e64 v[14:15], v[14:15], -v[50:51]
	s_delay_alu instid0(VALU_DEP_4) | instskip(NEXT) | instid1(VALU_DEP_1)
	v_fmaak_f64 v[48:49], v[46:47], v[48:49], 0x3fb3b13657b87036
	v_fmaak_f64 v[48:49], v[46:47], v[48:49], 0xbfb745d119378e4f
	s_delay_alu instid0(VALU_DEP_1) | instskip(NEXT) | instid1(VALU_DEP_1)
	v_fmaak_f64 v[48:49], v[46:47], v[48:49], 0x3fbc71c717e1913c
	v_fmaak_f64 v[48:49], v[46:47], v[48:49], 0xbfc2492492376b7d
	v_add_f64_e32 v[58:59], v[52:53], v[44:45]
	s_delay_alu instid0(VALU_DEP_2) | instskip(NEXT) | instid1(VALU_DEP_1)
	v_fmaak_f64 v[48:49], v[46:47], v[48:49], 0x3fc99999999952cc
	v_fmaak_f64 v[48:49], v[46:47], v[48:49], 0xbfd5555555555523
	s_delay_alu instid0(VALU_DEP_1) | instskip(SKIP_2) | instid1(VALU_DEP_3)
	v_mul_f64_e32 v[46:47], v[46:47], v[48:49]
	v_add_f64_e64 v[48:49], v[54:55], -v[56:57]
	v_add_f64_e64 v[50:51], v[58:59], -v[52:53]
	v_fmac_f64_e32 v[40:41], v[40:41], v[46:47]
	s_delay_alu instid0(VALU_DEP_3) | instskip(NEXT) | instid1(VALU_DEP_3)
	v_add_f64_e32 v[14:15], v[14:15], v[48:49]
	v_add_f64_e64 v[44:45], v[44:45], -v[50:51]
	s_delay_alu instid0(VALU_DEP_3) | instskip(NEXT) | instid1(VALU_DEP_1)
	v_add_f64_e64 v[46:47], -v[40:41], s[38:39]
	v_dual_add_f64 v[14:15], v[14:15], v[44:45] :: v_dual_cndmask_b32 v41, v41, v47, s4
	s_delay_alu instid0(VALU_DEP_2) | instskip(SKIP_1) | instid1(VALU_DEP_2)
	v_cndmask_b32_e64 v40, v40, v46, s4
	v_and_b32_e32 v46, 0x54442d18, v16
	v_add_f64_e64 v[44:45], -v[40:41], s[40:41]
	s_delay_alu instid0(VALU_DEP_1) | instskip(NEXT) | instid1(VALU_DEP_1)
	v_dual_add_f64 v[14:15], v[58:59], v[14:15] :: v_dual_cndmask_b32 v40, v40, v44, vcc_lo
	v_cndmask_b32_e64 v40, v40, v46, s5
                                        ; implicit-def: $vgpr46_vgpr47
	s_delay_alu instid0(VALU_DEP_2) | instskip(SKIP_4) | instid1(VALU_DEP_3)
	v_mul_f64_e32 v[10:11], 0.5, v[14:15]
	v_cndmask_b32_e32 v14, 0x3fe921fb, v69, vcc_lo
	v_and_b32_e32 v15, 0x400921fb, v16
	v_cndmask_b32_e32 v16, v41, v45, vcc_lo
	s_and_b32 vcc_lo, s8, s9
                                        ; implicit-def: $vgpr44_vgpr45
	v_bfi_b32 v14, 0x7fffffff, v14, v13
	v_cndmask_b32_e32 v40, v40, v21, vcc_lo
	s_delay_alu instid0(VALU_DEP_3) | instskip(NEXT) | instid1(VALU_DEP_1)
	v_cndmask_b32_e64 v15, v16, v15, s5
	v_cndmask_b32_e32 v41, v15, v14, vcc_lo
	v_cndmask_b32_e64 v15, 0xfff00000, v11, s6
	v_cndmask_b32_e64 v14, 0, v10, s6
.LBB179_196:                            ;   in Loop: Header=BB179_145 Depth=1
	s_and_not1_saveexec_b32 s57, s7
	s_cbranch_execz .LBB179_200
; %bb.197:                              ;   in Loop: Header=BB179_145 Depth=1
	v_and_b32_e32 v21, 0x7ffffff8, v47
	v_and_b32_e32 v41, 0x7ffffff8, v45
	v_mov_b32_e32 v40, v20
	s_mov_b32 s58, 0
	s_delay_alu instid0(VALU_DEP_3) | instskip(SKIP_1) | instid1(VALU_DEP_3)
	v_dual_add_f64 v[14:15], v[46:47], -v[20:21] :: v_dual_mov_b32 v48, v20
	v_mov_b32_e32 v46, v20
	v_add_f64_e64 v[42:43], v[44:45], -v[40:41]
	v_add_f64_e32 v[58:59], v[40:41], v[40:41]
	s_delay_alu instid0(VALU_DEP_4) | instskip(NEXT) | instid1(VALU_DEP_3)
	v_dual_mul_f64 v[44:45], v[40:41], v[40:41] :: v_dual_bitop2_b32 v47, -8, v15 bitop3:0x40
	v_dual_add_f64 v[50:51], v[20:21], v[20:21] :: v_dual_bitop2_b32 v49, -8, v43 bitop3:0x40
	s_delay_alu instid0(VALU_DEP_2) | instskip(SKIP_1) | instid1(VALU_DEP_3)
	v_add_f64_e64 v[60:61], v[14:15], -v[46:47]
	v_add_f64_e32 v[64:65], v[46:47], v[46:47]
	v_add_f64_e64 v[62:63], v[42:43], -v[48:49]
	v_add_f64_e32 v[66:67], v[48:49], v[48:49]
	v_mul_f64_e32 v[14:15], v[20:21], v[20:21]
	v_mul_f64_e32 v[42:43], v[58:59], v[48:49]
	;; [unrolled: 1-line block ×11, first 2 shown]
.LBB179_198:                            ;   Parent Loop BB179_145 Depth=1
                                        ; =>  This Inner Loop Header: Depth=2
	v_cmp_nlt_f64_e32 vcc_lo, v[14:15], v[44:45]
	v_dual_cndmask_b32 v63, v15, v45 :: v_dual_cndmask_b32 v62, v14, v44
	v_dual_cndmask_b32 v15, v45, v15 :: v_dual_cndmask_b32 v14, v44, v14
	s_delay_alu instid0(VALU_DEP_2) | instskip(NEXT) | instid1(VALU_DEP_1)
	v_cmp_nlt_f64_e64 s5, v[62:63], v[56:57]
	v_dual_cndmask_b32 v65, v63, v57, s5 :: v_dual_cndmask_b32 v64, v62, v56, s5
	v_dual_cndmask_b32 v45, v57, v63, s5 :: v_dual_cndmask_b32 v44, v56, v62, s5
	s_and_b32 s5, vcc_lo, s5
	s_delay_alu instid0(VALU_DEP_2) | instskip(NEXT) | instid1(VALU_DEP_1)
	v_cmp_nlt_f64_e64 s6, v[64:65], v[42:43]
	v_dual_cndmask_b32 v67, v65, v43, s6 :: v_dual_cndmask_b32 v66, v64, v42, s6
	v_dual_cndmask_b32 v57, v43, v65, s6 :: v_dual_cndmask_b32 v56, v42, v64, s6
	s_delay_alu instid0(VALU_DEP_2) | instskip(NEXT) | instid1(VALU_DEP_1)
	v_cmp_nlt_f64_e64 s7, v[66:67], v[54:55]
	v_dual_cndmask_b32 v71, v67, v55, s7 :: v_dual_cndmask_b32 v70, v66, v54, s7
	v_dual_cndmask_b32 v43, v55, v67, s7 :: v_dual_cndmask_b32 v42, v54, v66, s7
	s_and_b32 s6, s6, s7
	s_delay_alu instid0(VALU_DEP_2) | instskip(NEXT) | instid1(VALU_DEP_1)
	v_cmp_nlt_f64_e64 s8, v[70:71], v[40:41]
	v_dual_cndmask_b32 v73, v71, v41, s8 :: v_dual_cndmask_b32 v72, v70, v40, s8
	v_dual_cndmask_b32 v55, v41, v71, s8 :: v_dual_cndmask_b32 v54, v40, v70, s8
	s_delay_alu instid0(VALU_DEP_2) | instskip(NEXT) | instid1(VALU_DEP_1)
	v_cmp_nlt_f64_e64 s9, v[72:73], v[52:53]
	v_dual_cndmask_b32 v75, v73, v53, s9 :: v_dual_cndmask_b32 v74, v72, v52, s9
	s_and_b32 s7, s8, s9
	v_dual_cndmask_b32 v41, v53, v73, s9 :: v_dual_cndmask_b32 v40, v52, v72, s9
	s_delay_alu instid0(VALU_DEP_2) | instskip(NEXT) | instid1(VALU_DEP_1)
	v_cmp_nlt_f64_e64 s10, v[74:75], v[50:51]
	v_dual_cndmask_b32 v77, v75, v51, s10 :: v_dual_cndmask_b32 v76, v74, v50, s10
	s_and_b32 s7, s7, s10
	;; [unrolled: 5-line block ×6, first 2 shown]
	v_dual_cndmask_b32 v59, v61, v83, s14 :: v_dual_cndmask_b32 v58, v60, v82, s14
	s_and_b32 s6, s7, s6
	s_delay_alu instid0(VALU_DEP_2) | instskip(SKIP_1) | instid1(SALU_CYCLE_1)
	v_mov_b64_e32 v[60:61], v[62:63]
	s_and_b32 s5, s6, s5
	s_and_b32 s5, exec_lo, s5
	s_delay_alu instid0(SALU_CYCLE_1) | instskip(NEXT) | instid1(SALU_CYCLE_1)
	s_or_b32 s58, s5, s58
	s_and_not1_b32 exec_lo, exec_lo, s58
	s_cbranch_execnz .LBB179_198
; %bb.199:                              ;   in Loop: Header=BB179_145 Depth=1
	s_or_b32 exec_lo, exec_lo, s58
	v_add_f64_e32 v[14:15], -1.0, v[14:15]
	v_cmp_eq_f64_e64 s5, 0, v[12:13]
	v_cmp_class_f64_e64 s9, v[10:11], 0x204
	v_cmp_class_f64_e64 s8, v[12:13], 0x204
	s_delay_alu instid0(VALU_DEP_4) | instskip(NEXT) | instid1(VALU_DEP_1)
	v_add_f64_e32 v[14:15], v[14:15], v[44:45]
	v_add_f64_e32 v[14:15], v[14:15], v[56:57]
	s_delay_alu instid0(VALU_DEP_1) | instskip(NEXT) | instid1(VALU_DEP_1)
	v_add_f64_e32 v[14:15], v[14:15], v[42:43]
	v_add_f64_e32 v[14:15], v[14:15], v[54:55]
	s_delay_alu instid0(VALU_DEP_1) | instskip(NEXT) | instid1(VALU_DEP_1)
	;; [unrolled: 3-line block ×5, first 2 shown]
	v_add_f64_e32 v[42:43], v[62:63], v[14:15]
	v_add_f64_e32 v[14:15], 1.0, v[42:43]
	v_cmp_nge_f64_e64 s6, -1.0, v[42:43]
	v_cmp_neq_f64_e64 s7, 0x7ff00000, v[42:43]
	s_delay_alu instid0(VALU_DEP_3) | instskip(SKIP_2) | instid1(VALU_DEP_3)
	v_frexp_mant_f64_e32 v[40:41], v[14:15]
	v_frexp_exp_i32_f64_e32 v16, v[14:15]
	v_add_f64_e32 v[44:45], -1.0, v[14:15]
	v_cmp_gt_f64_e32 vcc_lo, s[28:29], v[40:41]
	s_delay_alu instid0(VALU_DEP_2) | instskip(SKIP_2) | instid1(VALU_DEP_3)
	v_add_f64_e64 v[40:41], v[44:45], -v[14:15]
	v_add_f64_e64 v[44:45], v[42:43], -v[44:45]
	v_subrev_co_ci_u32_e64 v16, null, 0, v16, vcc_lo
	v_add_f64_e32 v[40:41], 1.0, v[40:41]
	s_delay_alu instid0(VALU_DEP_2) | instskip(NEXT) | instid1(VALU_DEP_1)
	v_sub_nc_u32_e32 v21, 0, v16
	v_ldexp_f64 v[14:15], v[14:15], v21
	s_delay_alu instid0(VALU_DEP_3) | instskip(NEXT) | instid1(VALU_DEP_2)
	v_add_f64_e32 v[40:41], v[44:45], v[40:41]
	v_add_f64_e32 v[46:47], 1.0, v[14:15]
	v_add_f64_e32 v[52:53], -1.0, v[14:15]
	s_delay_alu instid0(VALU_DEP_3) | instskip(NEXT) | instid1(VALU_DEP_3)
	v_ldexp_f64 v[40:41], v[40:41], v21
	v_add_f64_e32 v[44:45], -1.0, v[46:47]
	s_delay_alu instid0(VALU_DEP_3) | instskip(NEXT) | instid1(VALU_DEP_2)
	v_add_f64_e32 v[54:55], 1.0, v[52:53]
	v_add_f64_e64 v[44:45], v[14:15], -v[44:45]
	s_delay_alu instid0(VALU_DEP_2) | instskip(NEXT) | instid1(VALU_DEP_2)
	v_add_f64_e64 v[14:15], v[14:15], -v[54:55]
	v_add_f64_e32 v[44:45], v[40:41], v[44:45]
	s_delay_alu instid0(VALU_DEP_2) | instskip(NEXT) | instid1(VALU_DEP_2)
	v_add_f64_e32 v[14:15], v[40:41], v[14:15]
	v_add_f64_e32 v[48:49], v[46:47], v[44:45]
	s_delay_alu instid0(VALU_DEP_2) | instskip(NEXT) | instid1(VALU_DEP_2)
	v_add_f64_e32 v[54:55], v[52:53], v[14:15]
	v_rcp_f64_e32 v[50:51], v[48:49]
	v_add_f64_e64 v[46:47], v[48:49], -v[46:47]
	s_delay_alu instid0(VALU_DEP_2) | instskip(NEXT) | instid1(VALU_DEP_2)
	v_add_f64_e64 v[52:53], v[54:55], -v[52:53]
	v_add_f64_e64 v[44:45], v[44:45], -v[46:47]
	s_delay_alu instid0(VALU_DEP_2) | instskip(NEXT) | instid1(TRANS32_DEP_1)
	v_add_f64_e64 v[14:15], v[14:15], -v[52:53]
	v_fma_f64 v[56:57], -v[48:49], v[50:51], 1.0
	s_delay_alu instid0(VALU_DEP_1) | instskip(NEXT) | instid1(VALU_DEP_1)
	v_fmac_f64_e32 v[50:51], v[56:57], v[50:51]
	v_fma_f64 v[40:41], -v[48:49], v[50:51], 1.0
	s_delay_alu instid0(VALU_DEP_1) | instskip(NEXT) | instid1(VALU_DEP_1)
	v_fmac_f64_e32 v[50:51], v[40:41], v[50:51]
	v_mul_f64_e32 v[40:41], v[54:55], v[50:51]
	s_delay_alu instid0(VALU_DEP_1) | instskip(NEXT) | instid1(VALU_DEP_1)
	v_mul_f64_e32 v[56:57], v[48:49], v[40:41]
	v_fma_f64 v[46:47], v[40:41], v[48:49], -v[56:57]
	s_delay_alu instid0(VALU_DEP_1) | instskip(NEXT) | instid1(VALU_DEP_1)
	v_fmac_f64_e32 v[46:47], v[40:41], v[44:45]
	v_add_f64_e32 v[58:59], v[56:57], v[46:47]
	s_delay_alu instid0(VALU_DEP_1) | instskip(SKIP_1) | instid1(VALU_DEP_2)
	v_add_f64_e64 v[60:61], v[54:55], -v[58:59]
	v_add_f64_e64 v[52:53], v[58:59], -v[56:57]
	;; [unrolled: 1-line block ×3, first 2 shown]
	s_delay_alu instid0(VALU_DEP_2) | instskip(NEXT) | instid1(VALU_DEP_2)
	v_add_f64_e64 v[46:47], v[52:53], -v[46:47]
	v_add_f64_e64 v[54:55], v[54:55], -v[58:59]
	s_delay_alu instid0(VALU_DEP_1) | instskip(NEXT) | instid1(VALU_DEP_1)
	v_add_f64_e32 v[14:15], v[14:15], v[54:55]
	v_add_f64_e32 v[14:15], v[46:47], v[14:15]
	s_delay_alu instid0(VALU_DEP_1) | instskip(NEXT) | instid1(VALU_DEP_1)
	v_add_f64_e32 v[46:47], v[60:61], v[14:15]
	v_mul_f64_e32 v[52:53], v[50:51], v[46:47]
	v_add_f64_e64 v[58:59], v[60:61], -v[46:47]
	s_delay_alu instid0(VALU_DEP_2) | instskip(NEXT) | instid1(VALU_DEP_2)
	v_mul_f64_e32 v[54:55], v[48:49], v[52:53]
	v_add_f64_e32 v[14:15], v[14:15], v[58:59]
	s_delay_alu instid0(VALU_DEP_2) | instskip(NEXT) | instid1(VALU_DEP_1)
	v_fma_f64 v[48:49], v[52:53], v[48:49], -v[54:55]
	v_fmac_f64_e32 v[48:49], v[52:53], v[44:45]
	s_delay_alu instid0(VALU_DEP_1) | instskip(NEXT) | instid1(VALU_DEP_1)
	v_add_f64_e32 v[44:45], v[54:55], v[48:49]
	v_add_f64_e64 v[56:57], v[46:47], -v[44:45]
	v_add_f64_e64 v[54:55], v[44:45], -v[54:55]
	s_delay_alu instid0(VALU_DEP_2) | instskip(NEXT) | instid1(VALU_DEP_1)
	v_add_f64_e64 v[46:47], v[46:47], -v[56:57]
	v_add_f64_e64 v[44:45], v[46:47], -v[44:45]
	s_delay_alu instid0(VALU_DEP_3) | instskip(SKIP_1) | instid1(VALU_DEP_3)
	v_add_f64_e64 v[46:47], v[54:55], -v[48:49]
	v_max_num_f64_e64 v[48:49], |v[10:11]|, |v[10:11]|
	v_add_f64_e32 v[14:15], v[14:15], v[44:45]
	v_add_f64_e32 v[44:45], v[40:41], v[52:53]
	s_delay_alu instid0(VALU_DEP_2) | instskip(NEXT) | instid1(VALU_DEP_2)
	v_add_f64_e32 v[14:15], v[46:47], v[14:15]
	v_add_f64_e64 v[40:41], v[44:45], -v[40:41]
	v_max_num_f64_e64 v[46:47], |v[12:13]|, |v[12:13]|
	s_delay_alu instid0(VALU_DEP_3) | instskip(NEXT) | instid1(VALU_DEP_3)
	v_add_f64_e32 v[14:15], v[56:57], v[14:15]
	v_add_f64_e64 v[40:41], v[52:53], -v[40:41]
	s_delay_alu instid0(VALU_DEP_2) | instskip(NEXT) | instid1(VALU_DEP_1)
	v_mul_f64_e32 v[14:15], v[50:51], v[14:15]
	v_add_f64_e32 v[14:15], v[40:41], v[14:15]
	v_max_num_f64_e32 v[40:41], v[48:49], v[46:47]
	v_min_num_f64_e32 v[46:47], v[48:49], v[46:47]
	s_delay_alu instid0(VALU_DEP_3) | instskip(NEXT) | instid1(VALU_DEP_2)
	v_add_f64_e32 v[48:49], v[44:45], v[14:15]
	v_div_scale_f64 v[50:51], null, v[40:41], v[40:41], v[46:47]
	s_delay_alu instid0(VALU_DEP_2) | instskip(SKIP_1) | instid1(VALU_DEP_3)
	v_mul_f64_e32 v[52:53], v[48:49], v[48:49]
	v_add_f64_e64 v[44:45], v[48:49], -v[44:45]
	v_rcp_f64_e32 v[54:55], v[50:51]
	s_delay_alu instid0(VALU_DEP_2) | instskip(SKIP_1) | instid1(VALU_DEP_3)
	v_fmamk_f64 v[56:57], v[52:53], 0x3fc3ab76bf559e2b, v[24:25]
	v_mul_f64_e32 v[58:59], v[48:49], v[52:53]
	v_add_f64_e64 v[14:15], v[14:15], -v[44:45]
	s_delay_alu instid0(VALU_DEP_3) | instskip(NEXT) | instid1(TRANS32_DEP_1)
	v_fmaak_f64 v[56:57], v[52:53], v[56:57], 0x3fc7474dd7f4df2e
	v_fma_f64 v[60:61], -v[50:51], v[54:55], 1.0
	s_delay_alu instid0(VALU_DEP_2) | instskip(NEXT) | instid1(VALU_DEP_1)
	v_fmaak_f64 v[56:57], v[52:53], v[56:57], 0x3fcc71c016291751
	v_fmaak_f64 v[56:57], v[52:53], v[56:57], 0x3fd249249b27acf1
	s_delay_alu instid0(VALU_DEP_1) | instskip(SKIP_1) | instid1(VALU_DEP_2)
	v_fmaak_f64 v[56:57], v[52:53], v[56:57], 0x3fd99999998ef7b6
	v_ldexp_f64 v[14:15], v[14:15], 1
	v_fmaak_f64 v[52:53], v[52:53], v[56:57], 0x3fe5555555555780
	v_ldexp_f64 v[56:57], v[48:49], 1
	v_fmac_f64_e32 v[54:55], v[54:55], v[60:61]
	s_delay_alu instid0(VALU_DEP_3) | instskip(SKIP_2) | instid1(VALU_DEP_4)
	v_mul_f64_e32 v[52:53], v[58:59], v[52:53]
	v_cvt_f64_i32_e32 v[58:59], v16
	v_ashrrev_i32_e32 v16, 31, v11
	v_fma_f64 v[60:61], -v[50:51], v[54:55], 1.0
	s_delay_alu instid0(VALU_DEP_4) | instskip(NEXT) | instid1(VALU_DEP_4)
	v_add_f64_e32 v[48:49], v[56:57], v[52:53]
	v_mul_f64_e32 v[62:63], 0x3fe62e42fefa39ef, v[58:59]
	s_delay_alu instid0(VALU_DEP_3) | instskip(NEXT) | instid1(VALU_DEP_3)
	v_fmac_f64_e32 v[54:55], v[54:55], v[60:61]
	v_add_f64_e64 v[44:45], v[48:49], -v[56:57]
	v_div_scale_f64 v[56:57], vcc_lo, v[46:47], v[40:41], v[46:47]
	s_delay_alu instid0(VALU_DEP_4) | instskip(NEXT) | instid1(VALU_DEP_3)
	v_fma_f64 v[60:61], v[58:59], s[30:31], -v[62:63]
	v_add_f64_e64 v[44:45], v[52:53], -v[44:45]
	s_delay_alu instid0(VALU_DEP_3) | instskip(NEXT) | instid1(VALU_DEP_3)
	v_mul_f64_e32 v[52:53], v[56:57], v[54:55]
	v_fmac_f64_e32 v[60:61], 0x3c7abc9e3b39803f, v[58:59]
	s_delay_alu instid0(VALU_DEP_3) | instskip(NEXT) | instid1(VALU_DEP_3)
	v_add_f64_e32 v[14:15], v[14:15], v[44:45]
	v_fma_f64 v[44:45], -v[50:51], v[52:53], v[56:57]
	s_delay_alu instid0(VALU_DEP_3) | instskip(NEXT) | instid1(VALU_DEP_3)
	v_add_f64_e32 v[50:51], v[62:63], v[60:61]
	v_add_f64_e32 v[56:57], v[48:49], v[14:15]
	s_delay_alu instid0(VALU_DEP_3) | instskip(SKIP_1) | instid1(VALU_DEP_4)
	v_div_fmas_f64 v[44:45], v[44:45], v[54:55], v[52:53]
	v_cmp_gt_i32_e32 vcc_lo, 0, v11
	v_add_f64_e64 v[54:55], v[50:51], -v[62:63]
	v_and_b32_e32 v11, 0x400921fb, v16
	v_cndmask_b32_e32 v21, 0x54442d18, v68, vcc_lo
	v_cndmask_b32_e32 v10, 0x3fe921fb, v69, vcc_lo
	s_delay_alu instid0(VALU_DEP_1) | instskip(SKIP_4) | instid1(VALU_DEP_4)
	v_bfi_b32 v10, 0x7fffffff, v10, v13
	v_add_f64_e32 v[52:53], v[50:51], v[56:57]
	v_div_fixup_f64 v[40:41], v[44:45], v[40:41], v[46:47]
	v_add_f64_e64 v[48:49], v[56:57], -v[48:49]
	v_add_f64_e64 v[54:55], v[60:61], -v[54:55]
	;; [unrolled: 1-line block ×3, first 2 shown]
	s_delay_alu instid0(VALU_DEP_4) | instskip(NEXT) | instid1(VALU_DEP_4)
	v_mul_f64_e32 v[46:47], v[40:41], v[40:41]
	v_add_f64_e64 v[14:15], v[14:15], -v[48:49]
	s_delay_alu instid0(VALU_DEP_3) | instskip(NEXT) | instid1(VALU_DEP_3)
	v_add_f64_e64 v[58:59], v[52:53], -v[44:45]
	v_fmamk_f64 v[62:63], v[46:47], 0x3eeba404b5e68a13, v[26:27]
	v_add_f64_e64 v[44:45], v[56:57], -v[44:45]
	s_delay_alu instid0(VALU_DEP_4) | instskip(NEXT) | instid1(VALU_DEP_3)
	v_add_f64_e32 v[56:57], v[54:55], v[14:15]
	v_fmaak_f64 v[62:63], v[46:47], v[62:63], 0x3f4b2bb069efb384
	v_add_f64_e64 v[48:49], v[50:51], -v[58:59]
	s_delay_alu instid0(VALU_DEP_2) | instskip(NEXT) | instid1(VALU_DEP_1)
	v_fmaak_f64 v[50:51], v[46:47], v[62:63], 0xbf67952daf56de9b
	v_fmaak_f64 v[50:51], v[46:47], v[50:51], 0x3f7d6d43a595c56f
	s_delay_alu instid0(VALU_DEP_1) | instskip(NEXT) | instid1(VALU_DEP_1)
	v_fmaak_f64 v[50:51], v[46:47], v[50:51], 0xbf8c6ea4a57d9582
	v_fmaak_f64 v[50:51], v[46:47], v[50:51], 0x3f967e295f08b19f
	s_delay_alu instid0(VALU_DEP_1) | instskip(SKIP_1) | instid1(VALU_DEP_2)
	v_fmaak_f64 v[50:51], v[46:47], v[50:51], 0xbf9e9ae6fc27006a
	v_add_f64_e32 v[44:45], v[44:45], v[48:49]
	v_fmaak_f64 v[48:49], v[46:47], v[50:51], 0x3fa2c15b5711927a
	v_add_f64_e64 v[50:51], v[56:57], -v[54:55]
	s_delay_alu instid0(VALU_DEP_2) | instskip(NEXT) | instid1(VALU_DEP_1)
	v_fmaak_f64 v[48:49], v[46:47], v[48:49], 0xbfa59976e82d3ff0
	v_fmaak_f64 v[48:49], v[46:47], v[48:49], 0x3fa82d5d6ef28734
	s_delay_alu instid0(VALU_DEP_1) | instskip(NEXT) | instid1(VALU_DEP_1)
	v_fmaak_f64 v[48:49], v[46:47], v[48:49], 0xbfaae5ce6a214619
	v_fmaak_f64 v[48:49], v[46:47], v[48:49], 0x3fae1bb48427b883
	v_add_f64_e32 v[44:45], v[56:57], v[44:45]
	v_add_f64_e64 v[56:57], v[56:57], -v[50:51]
	v_add_f64_e64 v[14:15], v[14:15], -v[50:51]
	s_delay_alu instid0(VALU_DEP_4) | instskip(NEXT) | instid1(VALU_DEP_1)
	v_fmaak_f64 v[48:49], v[46:47], v[48:49], 0xbfb110e48b207f05
	v_fmaak_f64 v[48:49], v[46:47], v[48:49], 0x3fb3b13657b87036
	s_delay_alu instid0(VALU_DEP_1) | instskip(NEXT) | instid1(VALU_DEP_1)
	v_fmaak_f64 v[48:49], v[46:47], v[48:49], 0xbfb745d119378e4f
	v_fmaak_f64 v[48:49], v[46:47], v[48:49], 0x3fbc71c717e1913c
	v_add_f64_e32 v[58:59], v[52:53], v[44:45]
	s_delay_alu instid0(VALU_DEP_2) | instskip(NEXT) | instid1(VALU_DEP_1)
	v_fmaak_f64 v[48:49], v[46:47], v[48:49], 0xbfc2492492376b7d
	v_fmaak_f64 v[48:49], v[46:47], v[48:49], 0x3fc99999999952cc
	s_delay_alu instid0(VALU_DEP_1) | instskip(NEXT) | instid1(VALU_DEP_1)
	v_fmaak_f64 v[48:49], v[46:47], v[48:49], 0xbfd5555555555523
	v_mul_f64_e32 v[46:47], v[46:47], v[48:49]
	v_add_f64_e64 v[48:49], v[54:55], -v[56:57]
	v_add_f64_e64 v[50:51], v[58:59], -v[52:53]
	s_delay_alu instid0(VALU_DEP_3) | instskip(NEXT) | instid1(VALU_DEP_3)
	v_fmac_f64_e32 v[40:41], v[40:41], v[46:47]
	v_add_f64_e32 v[14:15], v[14:15], v[48:49]
	s_delay_alu instid0(VALU_DEP_3) | instskip(NEXT) | instid1(VALU_DEP_3)
	v_add_f64_e64 v[44:45], v[44:45], -v[50:51]
	v_add_f64_e64 v[46:47], -v[40:41], s[38:39]
	s_delay_alu instid0(VALU_DEP_1) | instskip(NEXT) | instid1(VALU_DEP_2)
	v_dual_add_f64 v[14:15], v[14:15], v[44:45] :: v_dual_cndmask_b32 v41, v41, v47, s4
	v_cndmask_b32_e64 v40, v40, v46, s4
	v_and_b32_e32 v46, 0x54442d18, v16
	s_delay_alu instid0(VALU_DEP_2) | instskip(NEXT) | instid1(VALU_DEP_1)
	v_add_f64_e64 v[44:45], -v[40:41], s[40:41]
	v_dual_add_f64 v[14:15], v[58:59], v[14:15] :: v_dual_cndmask_b32 v40, v40, v44, vcc_lo
	s_delay_alu instid0(VALU_DEP_2) | instskip(SKIP_1) | instid1(VALU_DEP_3)
	v_cndmask_b32_e32 v16, v41, v45, vcc_lo
	v_cmp_ngt_f64_e32 vcc_lo, -1.0, v[42:43]
	v_mul_f64_e32 v[14:15], 0.5, v[14:15]
	s_delay_alu instid0(VALU_DEP_4) | instskip(NEXT) | instid1(VALU_DEP_4)
	v_cndmask_b32_e64 v40, v40, v46, s5
	v_cndmask_b32_e64 v11, v16, v11, s5
	s_and_b32 s5, s6, s7
	s_delay_alu instid0(VALU_DEP_3) | instid1(SALU_CYCLE_1)
	v_cndmask_b32_e64 v14, 0, v14, s5
	v_cmp_neq_f64_e64 s5, -1.0, v[42:43]
	v_cndmask_b32_e64 v15, 0x7ff00000, v15, s7
	s_delay_alu instid0(VALU_DEP_1) | instskip(SKIP_2) | instid1(VALU_DEP_2)
	v_cndmask_b32_e32 v15, 0x7ff80000, v15, vcc_lo
	s_and_b32 vcc_lo, s8, s9
	v_dual_cndmask_b32 v41, v11, v10 :: v_dual_cndmask_b32 v40, v40, v21
	v_cndmask_b32_e64 v15, 0xfff00000, v15, s5
.LBB179_200:                            ;   in Loop: Header=BB179_145 Depth=1
	s_or_b32 exec_lo, exec_lo, s57
.LBB179_201:                            ;   in Loop: Header=BB179_145 Depth=1
	s_delay_alu instid0(SALU_CYCLE_1)
	s_or_b32 exec_lo, exec_lo, s56
.LBB179_202:                            ;   in Loop: Header=BB179_145 Depth=1
	s_and_not1_saveexec_b32 s7, s55
	s_cbranch_execz .LBB179_204
; %bb.203:                              ;   in Loop: Header=BB179_145 Depth=1
	v_max_num_f64_e64 v[14:15], |v[12:13]|, |v[12:13]|
	v_max_num_f64_e64 v[40:41], |v[10:11]|, |v[10:11]|
	v_cmp_class_f64_e64 s8, v[10:11], 0x204
	v_cmp_class_f64_e64 s9, v[12:13], 0x204
	v_cmp_eq_f64_e64 s6, 0, v[12:13]
	s_delay_alu instid0(VALU_DEP_4) | instskip(SKIP_2) | instid1(VALU_DEP_2)
	v_max_num_f64_e32 v[42:43], v[40:41], v[14:15]
	v_min_num_f64_e32 v[14:15], v[40:41], v[14:15]
	s_or_b32 s5, s9, s8
	v_frexp_exp_i32_f64_e32 v16, v[42:43]
	s_delay_alu instid0(VALU_DEP_1) | instskip(NEXT) | instid1(VALU_DEP_1)
	v_sub_nc_u32_e32 v21, 0, v16
	v_ldexp_f64 v[44:45], |v[12:13]|, v21
	v_ldexp_f64 v[46:47], |v[10:11]|, v21
	s_delay_alu instid0(VALU_DEP_2) | instskip(NEXT) | instid1(VALU_DEP_1)
	v_mul_f64_e32 v[44:45], v[44:45], v[44:45]
	v_fmac_f64_e32 v[44:45], v[46:47], v[46:47]
	s_delay_alu instid0(VALU_DEP_1) | instskip(SKIP_1) | instid1(TRANS32_DEP_1)
	v_rsq_f64_e32 v[46:47], v[44:45]
	v_cmp_eq_f64_e32 vcc_lo, 0, v[44:45]
	v_mul_f64_e32 v[48:49], v[44:45], v[46:47]
	v_mul_f64_e32 v[46:47], 0.5, v[46:47]
	s_delay_alu instid0(VALU_DEP_1) | instskip(NEXT) | instid1(VALU_DEP_1)
	v_fma_f64 v[50:51], -v[46:47], v[48:49], 0.5
	v_fmac_f64_e32 v[48:49], v[48:49], v[50:51]
	v_fmac_f64_e32 v[46:47], v[46:47], v[50:51]
	s_delay_alu instid0(VALU_DEP_2) | instskip(NEXT) | instid1(VALU_DEP_1)
	v_fma_f64 v[50:51], -v[48:49], v[48:49], v[44:45]
	v_fmac_f64_e32 v[48:49], v[50:51], v[46:47]
	s_delay_alu instid0(VALU_DEP_1) | instskip(NEXT) | instid1(VALU_DEP_1)
	v_dual_cndmask_b32 v45, v49, v45 :: v_dual_cndmask_b32 v44, v48, v44
	v_ldexp_f64 v[44:45], v[44:45], v16
	v_ashrrev_i32_e32 v16, 31, v11
	s_delay_alu instid0(VALU_DEP_2) | instskip(NEXT) | instid1(VALU_DEP_3)
	v_cndmask_b32_e64 v45, v45, 0x7ff00000, s5
	v_cndmask_b32_e64 v44, v44, 0, s5
	s_delay_alu instid0(VALU_DEP_1) | instskip(SKIP_1) | instid1(VALU_DEP_2)
	v_frexp_mant_f64_e32 v[46:47], v[44:45]
	v_cmp_class_f64_e64 s5, v[44:45], 0x204
	v_cmp_gt_f64_e32 vcc_lo, s[28:29], v[46:47]
	v_cndmask_b32_e64 v10, 0, 1, vcc_lo
	s_delay_alu instid0(VALU_DEP_1) | instskip(SKIP_1) | instid1(VALU_DEP_2)
	v_ldexp_f64 v[46:47], v[46:47], v10
	v_frexp_exp_i32_f64_e32 v10, v[44:45]
	v_add_f64_e32 v[48:49], 1.0, v[46:47]
	v_add_f64_e32 v[54:55], -1.0, v[46:47]
	s_delay_alu instid0(VALU_DEP_3) | instskip(SKIP_1) | instid1(VALU_DEP_4)
	v_subrev_co_ci_u32_e64 v10, null, 0, v10, vcc_lo
	v_div_scale_f64 v[62:63], vcc_lo, v[14:15], v[42:43], v[14:15]
	v_rcp_f64_e32 v[50:51], v[48:49]
	v_add_f64_e32 v[56:57], -1.0, v[48:49]
	s_delay_alu instid0(VALU_DEP_1) | instskip(NEXT) | instid1(TRANS32_DEP_1)
	v_add_f64_e64 v[46:47], v[46:47], -v[56:57]
	v_fma_f64 v[52:53], -v[48:49], v[50:51], 1.0
	s_delay_alu instid0(VALU_DEP_1) | instskip(NEXT) | instid1(VALU_DEP_1)
	v_fmac_f64_e32 v[50:51], v[52:53], v[50:51]
	v_fma_f64 v[52:53], -v[48:49], v[50:51], 1.0
	s_delay_alu instid0(VALU_DEP_1) | instskip(NEXT) | instid1(VALU_DEP_1)
	v_fmac_f64_e32 v[50:51], v[52:53], v[50:51]
	v_mul_f64_e32 v[52:53], v[54:55], v[50:51]
	s_delay_alu instid0(VALU_DEP_1) | instskip(NEXT) | instid1(VALU_DEP_1)
	v_mul_f64_e32 v[58:59], v[48:49], v[52:53]
	v_fma_f64 v[48:49], v[52:53], v[48:49], -v[58:59]
	s_delay_alu instid0(VALU_DEP_1) | instskip(NEXT) | instid1(VALU_DEP_1)
	v_fmac_f64_e32 v[48:49], v[52:53], v[46:47]
	v_add_f64_e32 v[46:47], v[58:59], v[48:49]
	s_delay_alu instid0(VALU_DEP_1) | instskip(SKIP_1) | instid1(VALU_DEP_2)
	v_add_f64_e64 v[56:57], v[54:55], -v[46:47]
	v_add_f64_e64 v[58:59], v[46:47], -v[58:59]
	;; [unrolled: 1-line block ×3, first 2 shown]
	s_delay_alu instid0(VALU_DEP_2) | instskip(NEXT) | instid1(VALU_DEP_2)
	v_add_f64_e64 v[48:49], v[58:59], -v[48:49]
	v_add_f64_e64 v[46:47], v[54:55], -v[46:47]
	s_delay_alu instid0(VALU_DEP_1) | instskip(NEXT) | instid1(VALU_DEP_1)
	v_add_f64_e32 v[46:47], v[48:49], v[46:47]
	v_add_f64_e32 v[46:47], v[56:57], v[46:47]
	s_delay_alu instid0(VALU_DEP_1) | instskip(SKIP_1) | instid1(VALU_DEP_2)
	v_mul_f64_e32 v[40:41], v[50:51], v[46:47]
	v_div_scale_f64 v[46:47], null, v[42:43], v[42:43], v[14:15]
	v_add_f64_e32 v[48:49], v[52:53], v[40:41]
	s_delay_alu instid0(VALU_DEP_2) | instskip(NEXT) | instid1(VALU_DEP_1)
	v_rcp_f64_e32 v[50:51], v[46:47]
	v_mul_f64_e32 v[54:55], v[48:49], v[48:49]
	s_delay_alu instid0(TRANS32_DEP_1) | instskip(NEXT) | instid1(VALU_DEP_2)
	v_fma_f64 v[58:59], -v[46:47], v[50:51], 1.0
	v_fmamk_f64 v[56:57], v[54:55], 0x3fc3ab76bf559e2b, v[24:25]
	v_mul_f64_e32 v[60:61], v[48:49], v[54:55]
	s_delay_alu instid0(VALU_DEP_3) | instskip(NEXT) | instid1(VALU_DEP_3)
	v_fmac_f64_e32 v[50:51], v[50:51], v[58:59]
	v_fmaak_f64 v[56:57], v[54:55], v[56:57], 0x3fc7474dd7f4df2e
	s_delay_alu instid0(VALU_DEP_1) | instskip(NEXT) | instid1(VALU_DEP_1)
	v_fmaak_f64 v[56:57], v[54:55], v[56:57], 0x3fcc71c016291751
	v_fmaak_f64 v[56:57], v[54:55], v[56:57], 0x3fd249249b27acf1
	s_delay_alu instid0(VALU_DEP_1) | instskip(NEXT) | instid1(VALU_DEP_1)
	v_fmaak_f64 v[56:57], v[54:55], v[56:57], 0x3fd99999998ef7b6
	v_fmaak_f64 v[54:55], v[54:55], v[56:57], 0x3fe5555555555780
	v_ldexp_f64 v[56:57], v[48:49], 1
	v_add_f64_e64 v[48:49], v[48:49], -v[52:53]
	v_fma_f64 v[58:59], -v[46:47], v[50:51], 1.0
	s_delay_alu instid0(VALU_DEP_4) | instskip(SKIP_1) | instid1(VALU_DEP_4)
	v_mul_f64_e32 v[54:55], v[60:61], v[54:55]
	v_cvt_f64_i32_e32 v[60:61], v10
	v_add_f64_e64 v[40:41], v[40:41], -v[48:49]
	s_delay_alu instid0(VALU_DEP_4) | instskip(NEXT) | instid1(VALU_DEP_4)
	v_fmac_f64_e32 v[50:51], v[50:51], v[58:59]
	v_add_f64_e32 v[52:53], v[56:57], v[54:55]
	s_delay_alu instid0(VALU_DEP_4) | instskip(NEXT) | instid1(VALU_DEP_4)
	v_mul_f64_e32 v[58:59], 0x3fe62e42fefa39ef, v[60:61]
	v_ldexp_f64 v[40:41], v[40:41], 1
	s_delay_alu instid0(VALU_DEP_3) | instskip(SKIP_1) | instid1(VALU_DEP_4)
	v_add_f64_e64 v[48:49], v[52:53], -v[56:57]
	v_mul_f64_e32 v[56:57], v[62:63], v[50:51]
	v_fma_f64 v[64:65], v[60:61], s[30:31], -v[58:59]
	s_delay_alu instid0(VALU_DEP_3) | instskip(NEXT) | instid1(VALU_DEP_3)
	v_add_f64_e64 v[48:49], v[54:55], -v[48:49]
	v_fma_f64 v[46:47], -v[46:47], v[56:57], v[62:63]
	s_delay_alu instid0(VALU_DEP_3) | instskip(NEXT) | instid1(VALU_DEP_3)
	v_fmac_f64_e32 v[64:65], 0x3c7abc9e3b39803f, v[60:61]
	v_add_f64_e32 v[40:41], v[40:41], v[48:49]
	s_delay_alu instid0(VALU_DEP_3) | instskip(NEXT) | instid1(VALU_DEP_3)
	v_div_fmas_f64 v[46:47], v[46:47], v[50:51], v[56:57]
	v_add_f64_e32 v[48:49], v[58:59], v[64:65]
	v_cmp_gt_i32_e32 vcc_lo, 0, v11
	v_cndmask_b32_e32 v21, 0x54442d18, v68, vcc_lo
	v_add_f64_e32 v[50:51], v[52:53], v[40:41]
	v_div_fixup_f64 v[14:15], v[46:47], v[42:43], v[14:15]
	v_add_f64_e64 v[58:59], v[48:49], -v[58:59]
	s_delay_alu instid0(VALU_DEP_3) | instskip(NEXT) | instid1(VALU_DEP_3)
	v_add_f64_e32 v[42:43], v[48:49], v[50:51]
	v_mul_f64_e32 v[46:47], v[14:15], v[14:15]
	v_add_f64_e64 v[52:53], v[50:51], -v[52:53]
	s_delay_alu instid0(VALU_DEP_4) | instskip(NEXT) | instid1(VALU_DEP_4)
	v_add_f64_e64 v[58:59], v[64:65], -v[58:59]
	v_add_f64_e64 v[54:55], v[42:43], -v[48:49]
	s_delay_alu instid0(VALU_DEP_4) | instskip(NEXT) | instid1(VALU_DEP_4)
	v_fmamk_f64 v[56:57], v[46:47], 0x3eeba404b5e68a13, v[26:27]
	v_add_f64_e64 v[40:41], v[40:41], -v[52:53]
	s_delay_alu instid0(VALU_DEP_2) | instskip(NEXT) | instid1(VALU_DEP_1)
	v_fmaak_f64 v[56:57], v[46:47], v[56:57], 0x3f4b2bb069efb384
	v_fmaak_f64 v[56:57], v[46:47], v[56:57], 0xbf67952daf56de9b
	s_delay_alu instid0(VALU_DEP_1) | instskip(NEXT) | instid1(VALU_DEP_1)
	v_fmaak_f64 v[56:57], v[46:47], v[56:57], 0x3f7d6d43a595c56f
	v_fmaak_f64 v[56:57], v[46:47], v[56:57], 0xbf8c6ea4a57d9582
	v_add_f64_e64 v[60:61], v[42:43], -v[54:55]
	v_add_f64_e64 v[50:51], v[50:51], -v[54:55]
	v_add_f64_e32 v[54:55], v[58:59], v[40:41]
	s_delay_alu instid0(VALU_DEP_4) | instskip(NEXT) | instid1(VALU_DEP_1)
	v_fmaak_f64 v[56:57], v[46:47], v[56:57], 0x3f967e295f08b19f
	v_fmaak_f64 v[52:53], v[46:47], v[56:57], 0xbf9e9ae6fc27006a
	s_delay_alu instid0(VALU_DEP_1) | instskip(NEXT) | instid1(VALU_DEP_1)
	v_fmaak_f64 v[52:53], v[46:47], v[52:53], 0x3fa2c15b5711927a
	v_fmaak_f64 v[52:53], v[46:47], v[52:53], 0xbfa59976e82d3ff0
	s_delay_alu instid0(VALU_DEP_1) | instskip(SKIP_1) | instid1(VALU_DEP_2)
	v_fmaak_f64 v[52:53], v[46:47], v[52:53], 0x3fa82d5d6ef28734
	v_add_f64_e64 v[48:49], v[48:49], -v[60:61]
	v_fmaak_f64 v[52:53], v[46:47], v[52:53], 0xbfaae5ce6a214619
	s_delay_alu instid0(VALU_DEP_2) | instskip(NEXT) | instid1(VALU_DEP_2)
	v_add_f64_e32 v[48:49], v[50:51], v[48:49]
	v_fmaak_f64 v[50:51], v[46:47], v[52:53], 0x3fae1bb48427b883
	v_add_f64_e64 v[52:53], v[54:55], -v[58:59]
	s_delay_alu instid0(VALU_DEP_2) | instskip(NEXT) | instid1(VALU_DEP_1)
	v_fmaak_f64 v[50:51], v[46:47], v[50:51], 0xbfb110e48b207f05
	v_fmaak_f64 v[50:51], v[46:47], v[50:51], 0x3fb3b13657b87036
	s_delay_alu instid0(VALU_DEP_1) | instskip(NEXT) | instid1(VALU_DEP_1)
	v_fmaak_f64 v[50:51], v[46:47], v[50:51], 0xbfb745d119378e4f
	v_fmaak_f64 v[50:51], v[46:47], v[50:51], 0x3fbc71c717e1913c
	v_add_f64_e32 v[48:49], v[54:55], v[48:49]
	v_add_f64_e64 v[40:41], v[40:41], -v[52:53]
	s_delay_alu instid0(VALU_DEP_3) | instskip(NEXT) | instid1(VALU_DEP_1)
	v_fmaak_f64 v[50:51], v[46:47], v[50:51], 0xbfc2492492376b7d
	v_fmaak_f64 v[50:51], v[46:47], v[50:51], 0x3fc99999999952cc
	s_delay_alu instid0(VALU_DEP_1) | instskip(NEXT) | instid1(VALU_DEP_1)
	v_fmaak_f64 v[50:51], v[46:47], v[50:51], 0xbfd5555555555523
	v_mul_f64_e32 v[46:47], v[46:47], v[50:51]
	v_add_f64_e64 v[50:51], v[54:55], -v[52:53]
	v_add_f64_e32 v[54:55], v[42:43], v[48:49]
	s_delay_alu instid0(VALU_DEP_3) | instskip(NEXT) | instid1(VALU_DEP_3)
	v_fmac_f64_e32 v[14:15], v[14:15], v[46:47]
	v_add_f64_e64 v[46:47], v[58:59], -v[50:51]
	s_delay_alu instid0(VALU_DEP_3) | instskip(NEXT) | instid1(VALU_DEP_3)
	v_add_f64_e64 v[42:43], v[54:55], -v[42:43]
	v_add_f64_e64 v[50:51], -v[14:15], s[38:39]
	s_delay_alu instid0(VALU_DEP_3) | instskip(SKIP_4) | instid1(VALU_DEP_2)
	v_add_f64_e32 v[40:41], v[40:41], v[46:47]
	v_and_b32_e32 v46, 0x54442d18, v16
	v_and_b32_e32 v16, 0x400921fb, v16
	v_add_f64_e64 v[42:43], v[48:49], -v[42:43]
	v_dual_cndmask_b32 v15, v15, v51, s4 :: v_dual_cndmask_b32 v14, v14, v50, s4
	v_add_f64_e32 v[40:41], v[40:41], v[42:43]
	s_delay_alu instid0(VALU_DEP_2) | instskip(NEXT) | instid1(VALU_DEP_2)
	v_add_f64_e64 v[42:43], -v[14:15], s[40:41]
	v_add_f64_e32 v[10:11], v[54:55], v[40:41]
	s_delay_alu instid0(VALU_DEP_2) | instskip(SKIP_1) | instid1(VALU_DEP_4)
	v_cndmask_b32_e32 v14, v14, v42, vcc_lo
	v_cndmask_b32_e32 v40, 0x3fe921fb, v69, vcc_lo
	;; [unrolled: 1-line block ×3, first 2 shown]
	v_cmp_ngt_f64_e32 vcc_lo, 0, v[44:45]
	s_delay_alu instid0(VALU_DEP_4) | instskip(NEXT) | instid1(VALU_DEP_4)
	v_cndmask_b32_e64 v42, v14, v46, s6
	v_bfi_b32 v40, 0x7fffffff, v40, v13
	s_delay_alu instid0(VALU_DEP_4) | instskip(SKIP_2) | instid1(VALU_DEP_2)
	v_cndmask_b32_e64 v14, v15, v16, s6
	v_dual_cndmask_b32 v10, v10, v44, s5 :: v_dual_cndmask_b32 v11, v11, v45, s5
	v_cmp_nge_f64_e64 s5, 0, v[44:45]
	v_cndmask_b32_e32 v11, 0x7ff80000, v11, vcc_lo
	s_and_b32 vcc_lo, s9, s8
	v_cndmask_b32_e32 v41, v14, v40, vcc_lo
	v_dual_cndmask_b32 v40, v42, v21, vcc_lo :: v_dual_cndmask_b32 v14, 0, v10, s5
	v_cmp_neq_f64_e64 s5, 0, v[44:45]
	s_delay_alu instid0(VALU_DEP_1)
	v_cndmask_b32_e64 v15, 0xfff00000, v11, s5
.LBB179_204:                            ;   in Loop: Header=BB179_145 Depth=1
	s_or_b32 exec_lo, exec_lo, s7
                                        ; implicit-def: $vgpr44_vgpr45
.LBB179_205:                            ;   in Loop: Header=BB179_145 Depth=1
	s_and_not1_saveexec_b32 s7, s54
	s_cbranch_execz .LBB179_211
; %bb.206:                              ;   in Loop: Header=BB179_145 Depth=1
                                        ; implicit-def: $vgpr14_vgpr15
                                        ; implicit-def: $vgpr40_vgpr41
	s_mov_b32 s5, exec_lo
	v_cmpx_ngt_f64_e32 s[44:45], v[44:45]
	s_xor_b32 s8, exec_lo, s5
	s_cbranch_execz .LBB179_208
; %bb.207:                              ;   in Loop: Header=BB179_145 Depth=1
	v_mul_f64_e32 v[14:15], v[44:45], v[44:45]
	v_cmp_eq_f64_e64 s5, 0, v[12:13]
	v_cmp_class_f64_e64 s9, v[12:13], 0x204
	v_cmp_class_f64_e64 s10, v[10:11], 0x204
	s_delay_alu instid0(VALU_DEP_4) | instskip(NEXT) | instid1(VALU_DEP_1)
	v_add_f64_e32 v[40:41], 1.0, v[14:15]
	v_frexp_mant_f64_e32 v[42:43], v[40:41]
	v_frexp_exp_i32_f64_e32 v16, v[40:41]
	s_delay_alu instid0(VALU_DEP_2) | instskip(NEXT) | instid1(VALU_DEP_2)
	v_cmp_gt_f64_e32 vcc_lo, s[28:29], v[42:43]
	v_subrev_co_ci_u32_e64 v16, null, 0, v16, vcc_lo
	s_delay_alu instid0(VALU_DEP_1) | instskip(SKIP_1) | instid1(VALU_DEP_1)
	v_sub_nc_u32_e32 v21, 0, v16
	v_add_f64_e32 v[44:45], -1.0, v[40:41]
	v_add_f64_e64 v[42:43], v[44:45], -v[40:41]
	s_delay_alu instid0(VALU_DEP_3) | instskip(SKIP_1) | instid1(VALU_DEP_3)
	v_ldexp_f64 v[40:41], v[40:41], v21
	v_add_f64_e64 v[44:45], v[14:15], -v[44:45]
	v_add_f64_e32 v[42:43], 1.0, v[42:43]
	s_delay_alu instid0(VALU_DEP_3) | instskip(SKIP_1) | instid1(VALU_DEP_3)
	v_add_f64_e32 v[46:47], 1.0, v[40:41]
	v_add_f64_e32 v[52:53], -1.0, v[40:41]
	v_add_f64_e32 v[42:43], v[44:45], v[42:43]
	s_delay_alu instid0(VALU_DEP_3) | instskip(NEXT) | instid1(VALU_DEP_3)
	v_add_f64_e32 v[44:45], -1.0, v[46:47]
	v_add_f64_e32 v[54:55], 1.0, v[52:53]
	s_delay_alu instid0(VALU_DEP_3) | instskip(NEXT) | instid1(VALU_DEP_3)
	v_ldexp_f64 v[42:43], v[42:43], v21
	v_add_f64_e64 v[44:45], v[40:41], -v[44:45]
	s_delay_alu instid0(VALU_DEP_3) | instskip(NEXT) | instid1(VALU_DEP_2)
	v_add_f64_e64 v[40:41], v[40:41], -v[54:55]
	v_add_f64_e32 v[44:45], v[42:43], v[44:45]
	s_delay_alu instid0(VALU_DEP_2) | instskip(NEXT) | instid1(VALU_DEP_2)
	v_add_f64_e32 v[40:41], v[42:43], v[40:41]
	v_add_f64_e32 v[48:49], v[46:47], v[44:45]
	s_delay_alu instid0(VALU_DEP_2) | instskip(NEXT) | instid1(VALU_DEP_2)
	v_add_f64_e32 v[54:55], v[52:53], v[40:41]
	v_rcp_f64_e32 v[50:51], v[48:49]
	v_add_f64_e64 v[46:47], v[46:47], -v[48:49]
	s_delay_alu instid0(VALU_DEP_2) | instskip(NEXT) | instid1(VALU_DEP_2)
	v_add_f64_e64 v[52:53], v[52:53], -v[54:55]
	v_add_f64_e32 v[44:45], v[44:45], v[46:47]
	s_delay_alu instid0(VALU_DEP_2) | instskip(NEXT) | instid1(TRANS32_DEP_1)
	v_add_f64_e32 v[40:41], v[40:41], v[52:53]
	v_fma_f64 v[56:57], -v[48:49], v[50:51], 1.0
	s_delay_alu instid0(VALU_DEP_1) | instskip(NEXT) | instid1(VALU_DEP_1)
	v_fmac_f64_e32 v[50:51], v[56:57], v[50:51]
	v_fma_f64 v[42:43], -v[48:49], v[50:51], 1.0
	s_delay_alu instid0(VALU_DEP_1) | instskip(NEXT) | instid1(VALU_DEP_1)
	v_fmac_f64_e32 v[50:51], v[42:43], v[50:51]
	v_mul_f64_e32 v[42:43], v[54:55], v[50:51]
	s_delay_alu instid0(VALU_DEP_1) | instskip(NEXT) | instid1(VALU_DEP_1)
	v_mul_f64_e32 v[56:57], v[48:49], v[42:43]
	v_fma_f64 v[46:47], v[42:43], v[48:49], -v[56:57]
	s_delay_alu instid0(VALU_DEP_1) | instskip(NEXT) | instid1(VALU_DEP_1)
	v_fmac_f64_e32 v[46:47], v[42:43], v[44:45]
	v_add_f64_e32 v[58:59], v[56:57], v[46:47]
	s_delay_alu instid0(VALU_DEP_1) | instskip(SKIP_1) | instid1(VALU_DEP_2)
	v_add_f64_e64 v[60:61], v[54:55], -v[58:59]
	v_add_f64_e64 v[52:53], v[58:59], -v[56:57]
	;; [unrolled: 1-line block ×3, first 2 shown]
	s_delay_alu instid0(VALU_DEP_2) | instskip(NEXT) | instid1(VALU_DEP_2)
	v_add_f64_e64 v[46:47], v[52:53], -v[46:47]
	v_add_f64_e64 v[54:55], v[54:55], -v[58:59]
	s_delay_alu instid0(VALU_DEP_1) | instskip(NEXT) | instid1(VALU_DEP_1)
	v_add_f64_e32 v[40:41], v[40:41], v[54:55]
	v_add_f64_e32 v[40:41], v[46:47], v[40:41]
	s_delay_alu instid0(VALU_DEP_1) | instskip(NEXT) | instid1(VALU_DEP_1)
	v_add_f64_e32 v[46:47], v[60:61], v[40:41]
	v_mul_f64_e32 v[52:53], v[50:51], v[46:47]
	v_add_f64_e64 v[58:59], v[60:61], -v[46:47]
	s_delay_alu instid0(VALU_DEP_2) | instskip(NEXT) | instid1(VALU_DEP_2)
	v_mul_f64_e32 v[54:55], v[48:49], v[52:53]
	v_add_f64_e32 v[40:41], v[40:41], v[58:59]
	s_delay_alu instid0(VALU_DEP_2) | instskip(NEXT) | instid1(VALU_DEP_1)
	v_fma_f64 v[48:49], v[52:53], v[48:49], -v[54:55]
	v_fmac_f64_e32 v[48:49], v[52:53], v[44:45]
	s_delay_alu instid0(VALU_DEP_1) | instskip(NEXT) | instid1(VALU_DEP_1)
	v_add_f64_e32 v[44:45], v[54:55], v[48:49]
	v_add_f64_e64 v[56:57], v[46:47], -v[44:45]
	v_add_f64_e64 v[54:55], v[44:45], -v[54:55]
	s_delay_alu instid0(VALU_DEP_2) | instskip(NEXT) | instid1(VALU_DEP_1)
	v_add_f64_e64 v[46:47], v[46:47], -v[56:57]
	v_add_f64_e64 v[44:45], v[46:47], -v[44:45]
	s_delay_alu instid0(VALU_DEP_3) | instskip(SKIP_1) | instid1(VALU_DEP_3)
	v_add_f64_e64 v[46:47], v[54:55], -v[48:49]
	v_max_num_f64_e64 v[48:49], |v[10:11]|, |v[10:11]|
	v_add_f64_e32 v[40:41], v[40:41], v[44:45]
	v_add_f64_e32 v[44:45], v[42:43], v[52:53]
	s_delay_alu instid0(VALU_DEP_2) | instskip(NEXT) | instid1(VALU_DEP_2)
	v_add_f64_e32 v[40:41], v[46:47], v[40:41]
	v_add_f64_e64 v[42:43], v[44:45], -v[42:43]
	v_max_num_f64_e64 v[46:47], |v[12:13]|, |v[12:13]|
	s_delay_alu instid0(VALU_DEP_3) | instskip(NEXT) | instid1(VALU_DEP_3)
	v_add_f64_e32 v[40:41], v[56:57], v[40:41]
	v_add_f64_e64 v[42:43], v[52:53], -v[42:43]
	s_delay_alu instid0(VALU_DEP_2) | instskip(NEXT) | instid1(VALU_DEP_1)
	v_mul_f64_e32 v[40:41], v[50:51], v[40:41]
	v_add_f64_e32 v[40:41], v[42:43], v[40:41]
	v_max_num_f64_e32 v[42:43], v[48:49], v[46:47]
	v_min_num_f64_e32 v[46:47], v[48:49], v[46:47]
	s_delay_alu instid0(VALU_DEP_3) | instskip(NEXT) | instid1(VALU_DEP_2)
	v_add_f64_e32 v[48:49], v[44:45], v[40:41]
	v_div_scale_f64 v[50:51], null, v[42:43], v[42:43], v[46:47]
	s_delay_alu instid0(VALU_DEP_2) | instskip(SKIP_1) | instid1(VALU_DEP_3)
	v_mul_f64_e32 v[52:53], v[48:49], v[48:49]
	v_add_f64_e64 v[44:45], v[48:49], -v[44:45]
	v_rcp_f64_e32 v[54:55], v[50:51]
	s_delay_alu instid0(VALU_DEP_2) | instskip(SKIP_1) | instid1(VALU_DEP_3)
	v_fmamk_f64 v[56:57], v[52:53], 0x3fc3ab76bf559e2b, v[24:25]
	v_mul_f64_e32 v[58:59], v[48:49], v[52:53]
	v_add_f64_e64 v[40:41], v[40:41], -v[44:45]
	s_delay_alu instid0(VALU_DEP_3) | instskip(NEXT) | instid1(TRANS32_DEP_1)
	v_fmaak_f64 v[56:57], v[52:53], v[56:57], 0x3fc7474dd7f4df2e
	v_fma_f64 v[60:61], -v[50:51], v[54:55], 1.0
	s_delay_alu instid0(VALU_DEP_2) | instskip(NEXT) | instid1(VALU_DEP_1)
	v_fmaak_f64 v[56:57], v[52:53], v[56:57], 0x3fcc71c016291751
	v_fmaak_f64 v[56:57], v[52:53], v[56:57], 0x3fd249249b27acf1
	s_delay_alu instid0(VALU_DEP_1) | instskip(SKIP_1) | instid1(VALU_DEP_2)
	v_fmaak_f64 v[56:57], v[52:53], v[56:57], 0x3fd99999998ef7b6
	v_ldexp_f64 v[40:41], v[40:41], 1
	v_fmaak_f64 v[52:53], v[52:53], v[56:57], 0x3fe5555555555780
	v_ldexp_f64 v[56:57], v[48:49], 1
	v_fmac_f64_e32 v[54:55], v[54:55], v[60:61]
	s_delay_alu instid0(VALU_DEP_3) | instskip(SKIP_2) | instid1(VALU_DEP_4)
	v_mul_f64_e32 v[52:53], v[58:59], v[52:53]
	v_cvt_f64_i32_e32 v[58:59], v16
	v_ashrrev_i32_e32 v16, 31, v11
	v_fma_f64 v[60:61], -v[50:51], v[54:55], 1.0
	s_delay_alu instid0(VALU_DEP_4) | instskip(NEXT) | instid1(VALU_DEP_4)
	v_add_f64_e32 v[48:49], v[56:57], v[52:53]
	v_mul_f64_e32 v[62:63], 0x3fe62e42fefa39ef, v[58:59]
	s_delay_alu instid0(VALU_DEP_3) | instskip(NEXT) | instid1(VALU_DEP_3)
	v_fmac_f64_e32 v[54:55], v[54:55], v[60:61]
	v_add_f64_e64 v[44:45], v[48:49], -v[56:57]
	v_div_scale_f64 v[56:57], vcc_lo, v[46:47], v[42:43], v[46:47]
	s_delay_alu instid0(VALU_DEP_4) | instskip(NEXT) | instid1(VALU_DEP_3)
	v_fma_f64 v[60:61], v[58:59], s[30:31], -v[62:63]
	v_add_f64_e64 v[44:45], v[52:53], -v[44:45]
	s_delay_alu instid0(VALU_DEP_3) | instskip(NEXT) | instid1(VALU_DEP_3)
	v_mul_f64_e32 v[52:53], v[56:57], v[54:55]
	v_fmac_f64_e32 v[60:61], 0x3c7abc9e3b39803f, v[58:59]
	s_delay_alu instid0(VALU_DEP_3) | instskip(NEXT) | instid1(VALU_DEP_3)
	v_add_f64_e32 v[40:41], v[40:41], v[44:45]
	v_fma_f64 v[44:45], -v[50:51], v[52:53], v[56:57]
	s_delay_alu instid0(VALU_DEP_3) | instskip(NEXT) | instid1(VALU_DEP_3)
	v_add_f64_e32 v[50:51], v[62:63], v[60:61]
	v_add_f64_e32 v[56:57], v[48:49], v[40:41]
	s_delay_alu instid0(VALU_DEP_3) | instskip(SKIP_1) | instid1(VALU_DEP_4)
	v_div_fmas_f64 v[44:45], v[44:45], v[54:55], v[52:53]
	v_cmp_gt_i32_e32 vcc_lo, 0, v11
	v_add_f64_e64 v[54:55], v[50:51], -v[62:63]
	v_cndmask_b32_e32 v21, 0x54442d18, v68, vcc_lo
	v_add_f64_e32 v[52:53], v[50:51], v[56:57]
	v_div_fixup_f64 v[42:43], v[44:45], v[42:43], v[46:47]
	v_add_f64_e64 v[48:49], v[56:57], -v[48:49]
	v_add_f64_e64 v[54:55], v[60:61], -v[54:55]
	s_delay_alu instid0(VALU_DEP_4) | instskip(NEXT) | instid1(VALU_DEP_4)
	v_add_f64_e64 v[44:45], v[52:53], -v[50:51]
	v_mul_f64_e32 v[46:47], v[42:43], v[42:43]
	s_delay_alu instid0(VALU_DEP_4) | instskip(NEXT) | instid1(VALU_DEP_3)
	v_add_f64_e64 v[40:41], v[40:41], -v[48:49]
	v_add_f64_e64 v[58:59], v[52:53], -v[44:45]
	s_delay_alu instid0(VALU_DEP_3) | instskip(SKIP_1) | instid1(VALU_DEP_4)
	v_fmamk_f64 v[62:63], v[46:47], 0x3eeba404b5e68a13, v[26:27]
	v_add_f64_e64 v[44:45], v[56:57], -v[44:45]
	v_add_f64_e32 v[56:57], v[54:55], v[40:41]
	s_delay_alu instid0(VALU_DEP_3) | instskip(NEXT) | instid1(VALU_DEP_1)
	v_fmaak_f64 v[62:63], v[46:47], v[62:63], 0x3f4b2bb069efb384
	v_fmaak_f64 v[62:63], v[46:47], v[62:63], 0xbf67952daf56de9b
	v_add_f64_e64 v[48:49], v[50:51], -v[58:59]
	s_delay_alu instid0(VALU_DEP_2) | instskip(NEXT) | instid1(VALU_DEP_1)
	v_fmaak_f64 v[50:51], v[46:47], v[62:63], 0x3f7d6d43a595c56f
	v_fmaak_f64 v[50:51], v[46:47], v[50:51], 0xbf8c6ea4a57d9582
	s_delay_alu instid0(VALU_DEP_1) | instskip(NEXT) | instid1(VALU_DEP_1)
	v_fmaak_f64 v[50:51], v[46:47], v[50:51], 0x3f967e295f08b19f
	v_fmaak_f64 v[50:51], v[46:47], v[50:51], 0xbf9e9ae6fc27006a
	s_delay_alu instid0(VALU_DEP_1) | instskip(SKIP_1) | instid1(VALU_DEP_2)
	v_fmaak_f64 v[50:51], v[46:47], v[50:51], 0x3fa2c15b5711927a
	v_add_f64_e32 v[44:45], v[44:45], v[48:49]
	v_fmaak_f64 v[48:49], v[46:47], v[50:51], 0xbfa59976e82d3ff0
	v_add_f64_e64 v[50:51], v[56:57], -v[54:55]
	s_delay_alu instid0(VALU_DEP_2) | instskip(NEXT) | instid1(VALU_DEP_1)
	v_fmaak_f64 v[48:49], v[46:47], v[48:49], 0x3fa82d5d6ef28734
	v_fmaak_f64 v[48:49], v[46:47], v[48:49], 0xbfaae5ce6a214619
	s_delay_alu instid0(VALU_DEP_1) | instskip(NEXT) | instid1(VALU_DEP_1)
	v_fmaak_f64 v[48:49], v[46:47], v[48:49], 0x3fae1bb48427b883
	v_fmaak_f64 v[48:49], v[46:47], v[48:49], 0xbfb110e48b207f05
	v_add_f64_e32 v[44:45], v[56:57], v[44:45]
	v_add_f64_e64 v[56:57], v[56:57], -v[50:51]
	v_add_f64_e64 v[40:41], v[40:41], -v[50:51]
	s_delay_alu instid0(VALU_DEP_4) | instskip(NEXT) | instid1(VALU_DEP_1)
	v_fmaak_f64 v[48:49], v[46:47], v[48:49], 0x3fb3b13657b87036
	v_fmaak_f64 v[48:49], v[46:47], v[48:49], 0xbfb745d119378e4f
	s_delay_alu instid0(VALU_DEP_1) | instskip(NEXT) | instid1(VALU_DEP_1)
	v_fmaak_f64 v[48:49], v[46:47], v[48:49], 0x3fbc71c717e1913c
	v_fmaak_f64 v[48:49], v[46:47], v[48:49], 0xbfc2492492376b7d
	v_add_f64_e32 v[58:59], v[52:53], v[44:45]
	s_delay_alu instid0(VALU_DEP_2) | instskip(NEXT) | instid1(VALU_DEP_1)
	v_fmaak_f64 v[48:49], v[46:47], v[48:49], 0x3fc99999999952cc
	v_fmaak_f64 v[48:49], v[46:47], v[48:49], 0xbfd5555555555523
	s_delay_alu instid0(VALU_DEP_1) | instskip(SKIP_2) | instid1(VALU_DEP_3)
	v_mul_f64_e32 v[46:47], v[46:47], v[48:49]
	v_add_f64_e64 v[48:49], v[54:55], -v[56:57]
	v_add_f64_e64 v[50:51], v[58:59], -v[52:53]
	v_fmac_f64_e32 v[42:43], v[42:43], v[46:47]
	s_delay_alu instid0(VALU_DEP_3) | instskip(NEXT) | instid1(VALU_DEP_3)
	v_add_f64_e32 v[40:41], v[40:41], v[48:49]
	v_add_f64_e64 v[44:45], v[44:45], -v[50:51]
	s_delay_alu instid0(VALU_DEP_3) | instskip(NEXT) | instid1(VALU_DEP_1)
	v_add_f64_e64 v[46:47], -v[42:43], s[38:39]
	v_dual_add_f64 v[40:41], v[40:41], v[44:45] :: v_dual_cndmask_b32 v43, v43, v47, s4
	s_delay_alu instid0(VALU_DEP_2)
	v_cndmask_b32_e64 v42, v42, v46, s4
	v_cmp_neq_f64_e64 s6, 0x7ff00000, v[14:15]
	v_and_b32_e32 v46, 0x54442d18, v16
	v_cndmask_b32_e32 v14, 0x3fe921fb, v69, vcc_lo
	v_and_b32_e32 v15, 0x400921fb, v16
	v_add_f64_e64 v[44:45], -v[42:43], s[40:41]
	s_delay_alu instid0(VALU_DEP_3) | instskip(SKIP_1) | instid1(VALU_DEP_3)
	v_bfi_b32 v14, 0x7fffffff, v14, v13
	v_add_f64_e32 v[40:41], v[58:59], v[40:41]
	v_dual_cndmask_b32 v42, v42, v44, vcc_lo :: v_dual_cndmask_b32 v16, v43, v45, vcc_lo
	s_and_b32 vcc_lo, s9, s10
                                        ; implicit-def: $vgpr44_vgpr45
	s_delay_alu instid0(VALU_DEP_1) | instskip(NEXT) | instid1(VALU_DEP_2)
	v_dual_mul_f64 v[10:11], 0.5, v[40:41] :: v_dual_cndmask_b32 v15, v16, v15, s5
	v_cndmask_b32_e64 v40, v42, v46, s5
	s_delay_alu instid0(VALU_DEP_1) | instskip(NEXT) | instid1(VALU_DEP_3)
	v_dual_cndmask_b32 v41, v15, v14 :: v_dual_cndmask_b32 v40, v40, v21
	v_cndmask_b32_e64 v15, 0x7ff00000, v11, s6
	s_delay_alu instid0(VALU_DEP_4)
	v_cndmask_b32_e64 v14, 0, v10, s6
.LBB179_208:                            ;   in Loop: Header=BB179_145 Depth=1
	s_and_not1_saveexec_b32 s6, s8
	s_cbranch_execz .LBB179_210
; %bb.209:                              ;   in Loop: Header=BB179_145 Depth=1
	v_max_num_f64_e64 v[14:15], |v[12:13]|, |v[12:13]|
	v_max_num_f64_e64 v[40:41], |v[10:11]|, |v[10:11]|
	v_cmp_eq_f64_e64 s5, 0, v[12:13]
	v_cmp_class_f64_e64 s8, v[12:13], 0x204
	v_cmp_class_f64_e64 s9, v[10:11], 0x204
	v_ashrrev_i32_e32 v16, 31, v11
	v_max_num_f64_e32 v[42:43], v[40:41], v[14:15]
	v_min_num_f64_e32 v[14:15], v[40:41], v[14:15]
	s_delay_alu instid0(VALU_DEP_1) | instskip(SKIP_1) | instid1(VALU_DEP_2)
	v_div_scale_f64 v[40:41], null, v[42:43], v[42:43], v[14:15]
	v_div_scale_f64 v[50:51], vcc_lo, v[14:15], v[42:43], v[14:15]
	v_rcp_f64_e32 v[46:47], v[40:41]
	v_nop
	s_delay_alu instid0(TRANS32_DEP_1) | instskip(NEXT) | instid1(VALU_DEP_1)
	v_fma_f64 v[48:49], -v[40:41], v[46:47], 1.0
	v_fmac_f64_e32 v[46:47], v[46:47], v[48:49]
	s_delay_alu instid0(VALU_DEP_1) | instskip(NEXT) | instid1(VALU_DEP_1)
	v_fma_f64 v[48:49], -v[40:41], v[46:47], 1.0
	v_fmac_f64_e32 v[46:47], v[46:47], v[48:49]
	s_delay_alu instid0(VALU_DEP_1) | instskip(NEXT) | instid1(VALU_DEP_1)
	v_mul_f64_e32 v[48:49], v[50:51], v[46:47]
	v_fma_f64 v[40:41], -v[40:41], v[48:49], v[50:51]
	s_delay_alu instid0(VALU_DEP_1)
	v_div_fmas_f64 v[40:41], v[40:41], v[46:47], v[48:49]
	v_cmp_gt_i32_e32 vcc_lo, 0, v11
	v_and_b32_e32 v46, 0x54442d18, v16
	v_and_b32_e32 v11, 0x400921fb, v16
	v_cndmask_b32_e32 v10, 0x3fe921fb, v69, vcc_lo
	v_cndmask_b32_e32 v21, 0x54442d18, v68, vcc_lo
	s_delay_alu instid0(VALU_DEP_2) | instskip(SKIP_1) | instid1(VALU_DEP_1)
	v_bfi_b32 v10, 0x7fffffff, v10, v13
	v_div_fixup_f64 v[14:15], v[40:41], v[42:43], v[14:15]
	v_mul_f64_e32 v[40:41], v[14:15], v[14:15]
	s_delay_alu instid0(VALU_DEP_1) | instskip(NEXT) | instid1(VALU_DEP_1)
	v_fmamk_f64 v[42:43], v[40:41], 0x3eeba404b5e68a13, v[26:27]
	v_fmaak_f64 v[42:43], v[40:41], v[42:43], 0x3f4b2bb069efb384
	s_delay_alu instid0(VALU_DEP_1) | instskip(NEXT) | instid1(VALU_DEP_1)
	v_fmaak_f64 v[42:43], v[40:41], v[42:43], 0xbf67952daf56de9b
	v_fmaak_f64 v[42:43], v[40:41], v[42:43], 0x3f7d6d43a595c56f
	s_delay_alu instid0(VALU_DEP_1) | instskip(NEXT) | instid1(VALU_DEP_1)
	v_fmaak_f64 v[42:43], v[40:41], v[42:43], 0xbf8c6ea4a57d9582
	;; [unrolled: 3-line block ×9, first 2 shown]
	v_mul_f64_e32 v[40:41], v[40:41], v[42:43]
	s_delay_alu instid0(VALU_DEP_1) | instskip(NEXT) | instid1(VALU_DEP_1)
	v_fmac_f64_e32 v[14:15], v[14:15], v[40:41]
	v_add_f64_e64 v[40:41], -v[14:15], s[38:39]
	s_delay_alu instid0(VALU_DEP_1) | instskip(SKIP_1) | instid1(VALU_DEP_1)
	v_dual_cndmask_b32 v41, v15, v41, s4 :: v_dual_cndmask_b32 v40, v14, v40, s4
	v_mul_f64_e32 v[14:15], 0.5, v[44:45]
	v_mul_f64_e32 v[14:15], v[44:45], v[14:15]
	s_delay_alu instid0(VALU_DEP_3) | instskip(NEXT) | instid1(VALU_DEP_1)
	v_add_f64_e64 v[42:43], -v[40:41], s[40:41]
	v_dual_cndmask_b32 v40, v40, v42, vcc_lo :: v_dual_cndmask_b32 v16, v41, v43, vcc_lo
	s_and_b32 vcc_lo, s8, s9
	s_delay_alu instid0(VALU_DEP_1) | instskip(NEXT) | instid1(VALU_DEP_2)
	v_cndmask_b32_e64 v40, v40, v46, s5
	v_cndmask_b32_e64 v11, v16, v11, s5
	s_delay_alu instid0(VALU_DEP_1)
	v_dual_cndmask_b32 v40, v40, v21 :: v_dual_cndmask_b32 v41, v11, v10
.LBB179_210:                            ;   in Loop: Header=BB179_145 Depth=1
	s_or_b32 exec_lo, exec_lo, s6
.LBB179_211:                            ;   in Loop: Header=BB179_145 Depth=1
	s_delay_alu instid0(SALU_CYCLE_1)
	s_or_b32 exec_lo, exec_lo, s7
.LBB179_212:                            ;   in Loop: Header=BB179_145 Depth=1
	s_and_not1_saveexec_b32 s6, s33
	s_cbranch_execz .LBB179_214
; %bb.213:                              ;   in Loop: Header=BB179_145 Depth=1
	v_div_scale_f64 v[14:15], null, s[46:47], s[46:47], v[10:11]
	v_div_scale_f64 v[40:41], null, s[46:47], s[46:47], v[12:13]
	v_div_scale_f64 v[50:51], vcc_lo, v[10:11], s[46:47], v[10:11]
	s_delay_alu instid0(VALU_DEP_3) | instskip(NEXT) | instid1(VALU_DEP_2)
	v_rcp_f64_e32 v[42:43], v[14:15]
	v_rcp_f64_e32 v[44:45], v[40:41]
	s_delay_alu instid0(TRANS32_DEP_2) | instskip(NEXT) | instid1(TRANS32_DEP_1)
	v_fma_f64 v[46:47], -v[14:15], v[42:43], 1.0
	v_fma_f64 v[48:49], -v[40:41], v[44:45], 1.0
	s_delay_alu instid0(VALU_DEP_2) | instskip(NEXT) | instid1(VALU_DEP_2)
	v_fmac_f64_e32 v[42:43], v[42:43], v[46:47]
	v_fmac_f64_e32 v[44:45], v[44:45], v[48:49]
	s_delay_alu instid0(VALU_DEP_2) | instskip(NEXT) | instid1(VALU_DEP_2)
	v_fma_f64 v[46:47], -v[14:15], v[42:43], 1.0
	v_fma_f64 v[48:49], -v[40:41], v[44:45], 1.0
	s_delay_alu instid0(VALU_DEP_2) | instskip(SKIP_1) | instid1(VALU_DEP_3)
	v_fmac_f64_e32 v[42:43], v[42:43], v[46:47]
	v_div_scale_f64 v[46:47], s5, v[12:13], s[46:47], v[12:13]
	v_fmac_f64_e32 v[44:45], v[44:45], v[48:49]
	s_delay_alu instid0(VALU_DEP_3) | instskip(NEXT) | instid1(VALU_DEP_2)
	v_mul_f64_e32 v[48:49], v[50:51], v[42:43]
	v_mul_f64_e32 v[52:53], v[46:47], v[44:45]
	s_delay_alu instid0(VALU_DEP_2) | instskip(NEXT) | instid1(VALU_DEP_2)
	v_fma_f64 v[14:15], -v[14:15], v[48:49], v[50:51]
	v_fma_f64 v[40:41], -v[40:41], v[52:53], v[46:47]
	s_delay_alu instid0(VALU_DEP_2) | instskip(SKIP_1) | instid1(VALU_DEP_2)
	v_div_fmas_f64 v[14:15], v[14:15], v[42:43], v[48:49]
	s_mov_b32 vcc_lo, s5
	v_div_fmas_f64 v[40:41], v[40:41], v[44:45], v[52:53]
	s_delay_alu instid0(VALU_DEP_2) | instskip(NEXT) | instid1(VALU_DEP_2)
	v_div_fixup_f64 v[14:15], v[14:15], s[46:47], v[10:11]
	v_div_fixup_f64 v[40:41], v[40:41], s[46:47], v[12:13]
	s_delay_alu instid0(VALU_DEP_2) | instskip(NEXT) | instid1(VALU_DEP_2)
	v_cmp_class_f64_e64 s5, v[14:15], 0x204
	v_max_num_f64_e64 v[42:43], |v[14:15]|, |v[40:41]|
	v_cmp_class_f64_e64 s7, v[40:41], 0x204
	s_delay_alu instid0(VALU_DEP_2) | instskip(SKIP_2) | instid1(VALU_DEP_2)
	v_frexp_exp_i32_f64_e32 v16, v[42:43]
	s_or_b32 s5, s7, s5
	v_cmp_class_f64_e64 s7, v[10:11], 0x204
	v_sub_nc_u32_e32 v21, 0, v16
	s_delay_alu instid0(VALU_DEP_1) | instskip(SKIP_1) | instid1(VALU_DEP_2)
	v_ldexp_f64 v[42:43], |v[40:41]|, v21
	v_ldexp_f64 v[44:45], |v[14:15]|, v21
	v_mul_f64_e32 v[42:43], v[42:43], v[42:43]
	s_delay_alu instid0(VALU_DEP_1) | instskip(NEXT) | instid1(VALU_DEP_1)
	v_fmac_f64_e32 v[42:43], v[44:45], v[44:45]
	v_rsq_f64_e32 v[44:45], v[42:43]
	v_cmp_eq_f64_e32 vcc_lo, 0, v[42:43]
	s_delay_alu instid0(TRANS32_DEP_1) | instskip(SKIP_1) | instid1(VALU_DEP_1)
	v_mul_f64_e32 v[46:47], v[42:43], v[44:45]
	v_mul_f64_e32 v[44:45], 0.5, v[44:45]
	v_fma_f64 v[48:49], -v[44:45], v[46:47], 0.5
	s_delay_alu instid0(VALU_DEP_1) | instskip(SKIP_1) | instid1(VALU_DEP_2)
	v_fmac_f64_e32 v[46:47], v[46:47], v[48:49]
	v_fmac_f64_e32 v[44:45], v[44:45], v[48:49]
	v_fma_f64 v[48:49], -v[46:47], v[46:47], v[42:43]
	s_delay_alu instid0(VALU_DEP_1) | instskip(NEXT) | instid1(VALU_DEP_1)
	v_fmac_f64_e32 v[46:47], v[48:49], v[44:45]
	v_dual_cndmask_b32 v43, v47, v43 :: v_dual_cndmask_b32 v42, v46, v42
	v_cmp_o_f64_e32 vcc_lo, v[14:15], v[40:41]
	s_delay_alu instid0(VALU_DEP_2) | instskip(NEXT) | instid1(VALU_DEP_1)
	v_ldexp_f64 v[42:43], v[42:43], v16
	v_cndmask_b32_e32 v14, 0, v42, vcc_lo
	s_delay_alu instid0(VALU_DEP_2) | instskip(NEXT) | instid1(VALU_DEP_2)
	v_cndmask_b32_e32 v15, 0x7ff80000, v43, vcc_lo
	v_cndmask_b32_e64 v42, v14, 0, s5
	s_delay_alu instid0(VALU_DEP_2) | instskip(SKIP_1) | instid1(VALU_DEP_2)
	v_cndmask_b32_e64 v43, v15, 0x7ff00000, s5
	v_cmp_class_f64_e64 s5, v[12:13], 0x204
	v_frexp_mant_f64_e32 v[14:15], v[42:43]
	s_delay_alu instid0(VALU_DEP_1) | instskip(SKIP_1) | instid1(VALU_DEP_1)
	v_cmp_gt_f64_e32 vcc_lo, s[28:29], v[14:15]
	v_cndmask_b32_e64 v16, 0, 1, vcc_lo
	v_ldexp_f64 v[14:15], v[14:15], v16
	v_frexp_exp_i32_f64_e32 v16, v[42:43]
	s_delay_alu instid0(VALU_DEP_2) | instskip(SKIP_1) | instid1(VALU_DEP_3)
	v_add_f64_e32 v[40:41], 1.0, v[14:15]
	v_add_f64_e32 v[48:49], -1.0, v[14:15]
	v_subrev_co_ci_u32_e64 v16, null, 0, v16, vcc_lo
	s_delay_alu instid0(VALU_DEP_3) | instskip(SKIP_1) | instid1(VALU_DEP_1)
	v_rcp_f64_e32 v[44:45], v[40:41]
	v_add_f64_e32 v[50:51], -1.0, v[40:41]
	v_add_f64_e64 v[14:15], v[14:15], -v[50:51]
	s_delay_alu instid0(TRANS32_DEP_1) | instskip(NEXT) | instid1(VALU_DEP_1)
	v_fma_f64 v[46:47], -v[40:41], v[44:45], 1.0
	v_fmac_f64_e32 v[44:45], v[46:47], v[44:45]
	s_delay_alu instid0(VALU_DEP_1) | instskip(NEXT) | instid1(VALU_DEP_1)
	v_fma_f64 v[46:47], -v[40:41], v[44:45], 1.0
	v_fmac_f64_e32 v[44:45], v[46:47], v[44:45]
	s_delay_alu instid0(VALU_DEP_1) | instskip(NEXT) | instid1(VALU_DEP_1)
	v_mul_f64_e32 v[46:47], v[48:49], v[44:45]
	v_mul_f64_e32 v[52:53], v[40:41], v[46:47]
	s_delay_alu instid0(VALU_DEP_1) | instskip(NEXT) | instid1(VALU_DEP_1)
	v_fma_f64 v[40:41], v[46:47], v[40:41], -v[52:53]
	v_fmac_f64_e32 v[40:41], v[46:47], v[14:15]
	s_delay_alu instid0(VALU_DEP_1) | instskip(NEXT) | instid1(VALU_DEP_1)
	v_add_f64_e32 v[14:15], v[52:53], v[40:41]
	v_add_f64_e64 v[50:51], v[48:49], -v[14:15]
	v_add_f64_e64 v[52:53], v[14:15], -v[52:53]
	s_delay_alu instid0(VALU_DEP_2) | instskip(NEXT) | instid1(VALU_DEP_2)
	v_add_f64_e64 v[48:49], v[48:49], -v[50:51]
	v_add_f64_e64 v[40:41], v[52:53], -v[40:41]
	s_delay_alu instid0(VALU_DEP_2) | instskip(SKIP_1) | instid1(VALU_DEP_2)
	v_add_f64_e64 v[14:15], v[48:49], -v[14:15]
	v_max_num_f64_e64 v[48:49], |v[10:11]|, |v[10:11]|
	v_add_f64_e32 v[14:15], v[40:41], v[14:15]
	v_max_num_f64_e64 v[40:41], |v[12:13]|, |v[12:13]|
	s_delay_alu instid0(VALU_DEP_2) | instskip(NEXT) | instid1(VALU_DEP_1)
	v_add_f64_e32 v[14:15], v[50:51], v[14:15]
	v_mul_f64_e32 v[14:15], v[44:45], v[14:15]
	s_delay_alu instid0(VALU_DEP_3) | instskip(SKIP_1) | instid1(VALU_DEP_3)
	v_max_num_f64_e32 v[44:45], v[48:49], v[40:41]
	v_min_num_f64_e32 v[40:41], v[48:49], v[40:41]
	v_add_f64_e32 v[48:49], v[46:47], v[14:15]
	s_delay_alu instid0(VALU_DEP_2) | instskip(NEXT) | instid1(VALU_DEP_2)
	v_div_scale_f64 v[50:51], null, v[44:45], v[44:45], v[40:41]
	v_mul_f64_e32 v[52:53], v[48:49], v[48:49]
	v_add_f64_e64 v[46:47], v[48:49], -v[46:47]
	s_delay_alu instid0(VALU_DEP_3) | instskip(NEXT) | instid1(VALU_DEP_2)
	v_rcp_f64_e32 v[54:55], v[50:51]
	v_fmamk_f64 v[56:57], v[52:53], 0x3fc3ab76bf559e2b, v[24:25]
	v_mul_f64_e32 v[58:59], v[48:49], v[52:53]
	s_delay_alu instid0(VALU_DEP_3) | instskip(NEXT) | instid1(VALU_DEP_3)
	v_add_f64_e64 v[14:15], v[14:15], -v[46:47]
	v_fmaak_f64 v[56:57], v[52:53], v[56:57], 0x3fc7474dd7f4df2e
	s_delay_alu instid0(TRANS32_DEP_1) | instskip(NEXT) | instid1(VALU_DEP_2)
	v_fma_f64 v[60:61], -v[50:51], v[54:55], 1.0
	v_fmaak_f64 v[56:57], v[52:53], v[56:57], 0x3fcc71c016291751
	s_delay_alu instid0(VALU_DEP_1) | instskip(NEXT) | instid1(VALU_DEP_1)
	v_fmaak_f64 v[56:57], v[52:53], v[56:57], 0x3fd249249b27acf1
	v_fmaak_f64 v[56:57], v[52:53], v[56:57], 0x3fd99999998ef7b6
	v_ldexp_f64 v[14:15], v[14:15], 1
	s_delay_alu instid0(VALU_DEP_2) | instskip(SKIP_2) | instid1(VALU_DEP_3)
	v_fmaak_f64 v[52:53], v[52:53], v[56:57], 0x3fe5555555555780
	v_ldexp_f64 v[56:57], v[48:49], 1
	v_fmac_f64_e32 v[54:55], v[54:55], v[60:61]
	v_mul_f64_e32 v[52:53], v[58:59], v[52:53]
	v_cvt_f64_i32_e32 v[58:59], v16
	v_ashrrev_i32_e32 v16, 31, v11
	s_delay_alu instid0(VALU_DEP_4) | instskip(NEXT) | instid1(VALU_DEP_4)
	v_fma_f64 v[60:61], -v[50:51], v[54:55], 1.0
	v_add_f64_e32 v[48:49], v[56:57], v[52:53]
	s_delay_alu instid0(VALU_DEP_4) | instskip(NEXT) | instid1(VALU_DEP_3)
	v_mul_f64_e32 v[62:63], 0x3fe62e42fefa39ef, v[58:59]
	v_fmac_f64_e32 v[54:55], v[54:55], v[60:61]
	s_delay_alu instid0(VALU_DEP_3) | instskip(SKIP_1) | instid1(VALU_DEP_4)
	v_add_f64_e64 v[46:47], v[48:49], -v[56:57]
	v_div_scale_f64 v[56:57], vcc_lo, v[40:41], v[44:45], v[40:41]
	v_fma_f64 v[60:61], v[58:59], s[30:31], -v[62:63]
	s_delay_alu instid0(VALU_DEP_3) | instskip(NEXT) | instid1(VALU_DEP_3)
	v_add_f64_e64 v[46:47], v[52:53], -v[46:47]
	v_mul_f64_e32 v[52:53], v[56:57], v[54:55]
	s_delay_alu instid0(VALU_DEP_3) | instskip(NEXT) | instid1(VALU_DEP_3)
	v_fmac_f64_e32 v[60:61], 0x3c7abc9e3b39803f, v[58:59]
	v_add_f64_e32 v[14:15], v[14:15], v[46:47]
	s_delay_alu instid0(VALU_DEP_3) | instskip(NEXT) | instid1(VALU_DEP_3)
	v_fma_f64 v[46:47], -v[50:51], v[52:53], v[56:57]
	v_add_f64_e32 v[50:51], v[62:63], v[60:61]
	s_delay_alu instid0(VALU_DEP_3) | instskip(NEXT) | instid1(VALU_DEP_3)
	v_add_f64_e32 v[56:57], v[48:49], v[14:15]
	v_div_fmas_f64 v[46:47], v[46:47], v[54:55], v[52:53]
	v_cmp_class_f64_e64 vcc_lo, v[42:43], 0x204
	s_delay_alu instid0(VALU_DEP_4) | instskip(NEXT) | instid1(VALU_DEP_4)
	v_add_f64_e64 v[54:55], v[50:51], -v[62:63]
	v_add_f64_e32 v[52:53], v[50:51], v[56:57]
	s_delay_alu instid0(VALU_DEP_4) | instskip(SKIP_1) | instid1(VALU_DEP_4)
	v_div_fixup_f64 v[40:41], v[46:47], v[44:45], v[40:41]
	v_add_f64_e64 v[48:49], v[56:57], -v[48:49]
	v_add_f64_e64 v[54:55], v[60:61], -v[54:55]
	s_delay_alu instid0(VALU_DEP_4) | instskip(NEXT) | instid1(VALU_DEP_4)
	v_add_f64_e64 v[44:45], v[52:53], -v[50:51]
	v_mul_f64_e32 v[46:47], v[40:41], v[40:41]
	s_delay_alu instid0(VALU_DEP_4) | instskip(NEXT) | instid1(VALU_DEP_3)
	v_add_f64_e64 v[14:15], v[14:15], -v[48:49]
	v_add_f64_e64 v[58:59], v[52:53], -v[44:45]
	s_delay_alu instid0(VALU_DEP_3) | instskip(SKIP_1) | instid1(VALU_DEP_4)
	v_fmamk_f64 v[62:63], v[46:47], 0x3eeba404b5e68a13, v[26:27]
	v_add_f64_e64 v[44:45], v[56:57], -v[44:45]
	v_add_f64_e32 v[56:57], v[54:55], v[14:15]
	s_delay_alu instid0(VALU_DEP_3) | instskip(SKIP_1) | instid1(VALU_DEP_2)
	v_fmaak_f64 v[62:63], v[46:47], v[62:63], 0x3f4b2bb069efb384
	v_add_f64_e64 v[48:49], v[50:51], -v[58:59]
	v_fmaak_f64 v[50:51], v[46:47], v[62:63], 0xbf67952daf56de9b
	s_delay_alu instid0(VALU_DEP_1) | instskip(NEXT) | instid1(VALU_DEP_1)
	v_fmaak_f64 v[50:51], v[46:47], v[50:51], 0x3f7d6d43a595c56f
	v_fmaak_f64 v[50:51], v[46:47], v[50:51], 0xbf8c6ea4a57d9582
	s_delay_alu instid0(VALU_DEP_1) | instskip(SKIP_1) | instid1(VALU_DEP_2)
	v_fmaak_f64 v[50:51], v[46:47], v[50:51], 0x3f967e295f08b19f
	v_add_f64_e32 v[44:45], v[44:45], v[48:49]
	v_fmaak_f64 v[48:49], v[46:47], v[50:51], 0xbf9e9ae6fc27006a
	v_add_f64_e64 v[50:51], v[56:57], -v[54:55]
	s_delay_alu instid0(VALU_DEP_2) | instskip(NEXT) | instid1(VALU_DEP_1)
	v_fmaak_f64 v[48:49], v[46:47], v[48:49], 0x3fa2c15b5711927a
	v_fmaak_f64 v[48:49], v[46:47], v[48:49], 0xbfa59976e82d3ff0
	s_delay_alu instid0(VALU_DEP_1) | instskip(NEXT) | instid1(VALU_DEP_1)
	v_fmaak_f64 v[48:49], v[46:47], v[48:49], 0x3fa82d5d6ef28734
	v_fmaak_f64 v[48:49], v[46:47], v[48:49], 0xbfaae5ce6a214619
	v_add_f64_e32 v[44:45], v[56:57], v[44:45]
	v_add_f64_e64 v[56:57], v[56:57], -v[50:51]
	v_add_f64_e64 v[14:15], v[14:15], -v[50:51]
	s_delay_alu instid0(VALU_DEP_4) | instskip(NEXT) | instid1(VALU_DEP_1)
	v_fmaak_f64 v[48:49], v[46:47], v[48:49], 0x3fae1bb48427b883
	v_fmaak_f64 v[48:49], v[46:47], v[48:49], 0xbfb110e48b207f05
	s_delay_alu instid0(VALU_DEP_1) | instskip(NEXT) | instid1(VALU_DEP_1)
	v_fmaak_f64 v[48:49], v[46:47], v[48:49], 0x3fb3b13657b87036
	v_fmaak_f64 v[48:49], v[46:47], v[48:49], 0xbfb745d119378e4f
	s_delay_alu instid0(VALU_DEP_1) | instskip(SKIP_1) | instid1(VALU_DEP_2)
	v_fmaak_f64 v[48:49], v[46:47], v[48:49], 0x3fbc71c717e1913c
	v_add_f64_e32 v[58:59], v[52:53], v[44:45]
	v_fmaak_f64 v[48:49], v[46:47], v[48:49], 0xbfc2492492376b7d
	s_delay_alu instid0(VALU_DEP_1) | instskip(NEXT) | instid1(VALU_DEP_1)
	v_fmaak_f64 v[48:49], v[46:47], v[48:49], 0x3fc99999999952cc
	v_fmaak_f64 v[48:49], v[46:47], v[48:49], 0xbfd5555555555523
	s_delay_alu instid0(VALU_DEP_1) | instskip(SKIP_2) | instid1(VALU_DEP_3)
	v_mul_f64_e32 v[46:47], v[46:47], v[48:49]
	v_add_f64_e64 v[48:49], v[54:55], -v[56:57]
	v_add_f64_e64 v[50:51], v[58:59], -v[52:53]
	v_fmac_f64_e32 v[40:41], v[40:41], v[46:47]
	s_delay_alu instid0(VALU_DEP_3) | instskip(NEXT) | instid1(VALU_DEP_3)
	v_add_f64_e32 v[14:15], v[14:15], v[48:49]
	v_add_f64_e64 v[44:45], v[44:45], -v[50:51]
	s_delay_alu instid0(VALU_DEP_3) | instskip(NEXT) | instid1(VALU_DEP_1)
	v_add_f64_e64 v[46:47], -v[40:41], s[38:39]
	v_dual_add_f64 v[14:15], v[14:15], v[44:45] :: v_dual_cndmask_b32 v41, v41, v47, s4
	s_delay_alu instid0(VALU_DEP_2)
	v_cndmask_b32_e64 v40, v40, v46, s4
	v_cmp_gt_i32_e64 s4, 0, v11
	v_and_b32_e32 v46, 0x54442d18, v16
	v_and_b32_e32 v11, 0x400921fb, v16
	v_add_f64_e32 v[14:15], v[58:59], v[14:15]
	v_add_f64_e64 v[44:45], -v[40:41], s[40:41]
	v_cndmask_b32_e64 v21, 0x54442d18, v68, s4
	v_cndmask_b32_e64 v10, 0x3fe921fb, v69, s4
	s_delay_alu instid0(VALU_DEP_1) | instskip(SKIP_4) | instid1(VALU_DEP_4)
	v_bfi_b32 v10, 0x7fffffff, v10, v13
	v_dual_cndmask_b32 v15, v15, v43 :: v_dual_cndmask_b32 v14, v14, v42
	v_cmp_eq_f64_e32 vcc_lo, 0, v[12:13]
	v_dual_cndmask_b32 v40, v40, v44, s4 :: v_dual_cndmask_b32 v16, v41, v45, s4
	v_cmp_nge_f64_e64 s4, 0, v[42:43]
	v_add_f64_e32 v[14:15], 1.0, v[14:15]
	s_delay_alu instid0(VALU_DEP_3) | instskip(NEXT) | instid1(VALU_DEP_4)
	v_cndmask_b32_e32 v40, v40, v46, vcc_lo
	v_cndmask_b32_e32 v11, v16, v11, vcc_lo
	v_cmp_ngt_f64_e32 vcc_lo, 0, v[42:43]
	s_delay_alu instid0(VALU_DEP_4) | instskip(SKIP_4) | instid1(VALU_DEP_2)
	v_cndmask_b32_e64 v14, 0, v14, s4
	v_cmp_neq_f64_e64 s4, 0, v[42:43]
	v_cndmask_b32_e32 v15, 0x7ff80000, v15, vcc_lo
	s_and_b32 vcc_lo, s5, s7
	v_dual_cndmask_b32 v41, v11, v10 :: v_dual_cndmask_b32 v40, v40, v21
	v_cndmask_b32_e64 v15, 0xfff00000, v15, s4
.LBB179_214:                            ;   in Loop: Header=BB179_145 Depth=1
	s_or_b32 exec_lo, exec_lo, s6
.LBB179_215:                            ;   in Loop: Header=BB179_145 Depth=1
	s_and_not1_saveexec_b32 s4, s15
	s_cbranch_execz .LBB179_221
; %bb.216:                              ;   in Loop: Header=BB179_145 Depth=1
	v_cmp_ngt_f64_e64 s5, 0x20000000, |v[10:11]|
	v_cmp_ngt_f64_e64 s6, 0x20000000, |v[12:13]|
                                        ; implicit-def: $vgpr42_vgpr43
	s_or_b32 s5, s6, s5
	s_delay_alu instid0(SALU_CYCLE_1) | instskip(NEXT) | instid1(SALU_CYCLE_1)
	s_and_saveexec_b32 s6, s5
	s_xor_b32 s5, exec_lo, s6
	s_cbranch_execz .LBB179_218
; %bb.217:                              ;   in Loop: Header=BB179_145 Depth=1
	v_mul_f64_e32 v[42:43], v[10:11], v[10:11]
	s_delay_alu instid0(VALU_DEP_1)
	v_fmac_f64_e32 v[42:43], v[12:13], v[12:13]
.LBB179_218:                            ;   in Loop: Header=BB179_145 Depth=1
	s_and_not1_saveexec_b32 s5, s5
	s_cbranch_execz .LBB179_220
; %bb.219:                              ;   in Loop: Header=BB179_145 Depth=1
	v_mul_f64_e32 v[10:11], 4.0, v[10:11]
	v_mul_f64_e32 v[14:15], 4.0, v[12:13]
	s_delay_alu instid0(VALU_DEP_2) | instskip(NEXT) | instid1(VALU_DEP_1)
	v_mul_f64_e32 v[10:11], v[10:11], v[10:11]
	v_fmac_f64_e32 v[10:11], v[14:15], v[14:15]
	s_delay_alu instid0(VALU_DEP_1)
	v_ldexp_f64 v[42:43], v[10:11], -4
.LBB179_220:                            ;   in Loop: Header=BB179_145 Depth=1
	s_or_b32 exec_lo, exec_lo, s5
	s_delay_alu instid0(VALU_DEP_1) | instskip(NEXT) | instid1(VALU_DEP_1)
	v_frexp_mant_f64_e32 v[10:11], v[42:43]
	v_cmp_gt_f64_e32 vcc_lo, s[28:29], v[10:11]
	v_cndmask_b32_e64 v12, 0, 1, vcc_lo
	s_delay_alu instid0(VALU_DEP_1) | instskip(SKIP_1) | instid1(VALU_DEP_2)
	v_ldexp_f64 v[10:11], v[10:11], v12
	v_frexp_exp_i32_f64_e32 v12, v[42:43]
	v_add_f64_e32 v[14:15], 1.0, v[10:11]
	v_add_f64_e32 v[46:47], -1.0, v[10:11]
	s_delay_alu instid0(VALU_DEP_3) | instskip(SKIP_1) | instid1(VALU_DEP_4)
	v_subrev_co_ci_u32_e64 v12, null, 0, v12, vcc_lo
	v_cmp_class_f64_e64 vcc_lo, v[42:43], 0x204
	v_rcp_f64_e32 v[40:41], v[14:15]
	v_add_f64_e32 v[48:49], -1.0, v[14:15]
	s_delay_alu instid0(VALU_DEP_1) | instskip(NEXT) | instid1(TRANS32_DEP_1)
	v_add_f64_e64 v[10:11], v[10:11], -v[48:49]
	v_fma_f64 v[44:45], -v[14:15], v[40:41], 1.0
	s_delay_alu instid0(VALU_DEP_1) | instskip(NEXT) | instid1(VALU_DEP_1)
	v_fmac_f64_e32 v[40:41], v[44:45], v[40:41]
	v_fma_f64 v[44:45], -v[14:15], v[40:41], 1.0
	s_delay_alu instid0(VALU_DEP_1) | instskip(NEXT) | instid1(VALU_DEP_1)
	v_fmac_f64_e32 v[40:41], v[44:45], v[40:41]
	v_mul_f64_e32 v[44:45], v[46:47], v[40:41]
	s_delay_alu instid0(VALU_DEP_1) | instskip(NEXT) | instid1(VALU_DEP_1)
	v_mul_f64_e32 v[50:51], v[14:15], v[44:45]
	v_fma_f64 v[14:15], v[44:45], v[14:15], -v[50:51]
	s_delay_alu instid0(VALU_DEP_1) | instskip(NEXT) | instid1(VALU_DEP_1)
	v_fmac_f64_e32 v[14:15], v[44:45], v[10:11]
	v_add_f64_e32 v[10:11], v[50:51], v[14:15]
	s_delay_alu instid0(VALU_DEP_1) | instskip(SKIP_1) | instid1(VALU_DEP_2)
	v_add_f64_e64 v[48:49], v[46:47], -v[10:11]
	v_add_f64_e64 v[50:51], v[10:11], -v[50:51]
	;; [unrolled: 1-line block ×3, first 2 shown]
	s_delay_alu instid0(VALU_DEP_2) | instskip(NEXT) | instid1(VALU_DEP_2)
	v_add_f64_e64 v[14:15], v[50:51], -v[14:15]
	v_add_f64_e64 v[10:11], v[46:47], -v[10:11]
	s_delay_alu instid0(VALU_DEP_1) | instskip(NEXT) | instid1(VALU_DEP_1)
	v_add_f64_e32 v[10:11], v[14:15], v[10:11]
	v_add_f64_e32 v[10:11], v[48:49], v[10:11]
	s_delay_alu instid0(VALU_DEP_1) | instskip(NEXT) | instid1(VALU_DEP_1)
	v_mul_f64_e32 v[10:11], v[40:41], v[10:11]
	v_add_f64_e32 v[14:15], v[44:45], v[10:11]
	s_delay_alu instid0(VALU_DEP_1) | instskip(NEXT) | instid1(VALU_DEP_1)
	v_mul_f64_e32 v[40:41], v[14:15], v[14:15]
	v_fmamk_f64 v[46:47], v[40:41], 0x3fc3ab76bf559e2b, v[24:25]
	v_mul_f64_e32 v[48:49], v[14:15], v[40:41]
	s_delay_alu instid0(VALU_DEP_2) | instskip(NEXT) | instid1(VALU_DEP_1)
	v_fmaak_f64 v[46:47], v[40:41], v[46:47], 0x3fc7474dd7f4df2e
	v_fmaak_f64 v[46:47], v[40:41], v[46:47], 0x3fcc71c016291751
	s_delay_alu instid0(VALU_DEP_1) | instskip(NEXT) | instid1(VALU_DEP_1)
	v_fmaak_f64 v[46:47], v[40:41], v[46:47], 0x3fd249249b27acf1
	v_fmaak_f64 v[46:47], v[40:41], v[46:47], 0x3fd99999998ef7b6
	s_delay_alu instid0(VALU_DEP_1) | instskip(SKIP_2) | instid1(VALU_DEP_3)
	v_fmaak_f64 v[40:41], v[40:41], v[46:47], 0x3fe5555555555780
	v_ldexp_f64 v[46:47], v[14:15], 1
	v_add_f64_e64 v[14:15], v[14:15], -v[44:45]
	v_mul_f64_e32 v[40:41], v[48:49], v[40:41]
	v_cvt_f64_i32_e32 v[48:49], v12
	s_delay_alu instid0(VALU_DEP_3) | instskip(NEXT) | instid1(VALU_DEP_3)
	v_add_f64_e64 v[10:11], v[10:11], -v[14:15]
	v_add_f64_e32 v[44:45], v[46:47], v[40:41]
	s_delay_alu instid0(VALU_DEP_3) | instskip(NEXT) | instid1(VALU_DEP_3)
	v_mul_f64_e32 v[50:51], 0x3fe62e42fefa39ef, v[48:49]
	v_ldexp_f64 v[10:11], v[10:11], 1
	s_delay_alu instid0(VALU_DEP_3) | instskip(NEXT) | instid1(VALU_DEP_3)
	v_add_f64_e64 v[14:15], v[44:45], -v[46:47]
	v_fma_f64 v[46:47], v[48:49], s[30:31], -v[50:51]
	s_delay_alu instid0(VALU_DEP_2) | instskip(NEXT) | instid1(VALU_DEP_2)
	v_add_f64_e64 v[14:15], v[40:41], -v[14:15]
	v_fmac_f64_e32 v[46:47], 0x3c7abc9e3b39803f, v[48:49]
	s_delay_alu instid0(VALU_DEP_2) | instskip(NEXT) | instid1(VALU_DEP_2)
	v_add_f64_e32 v[10:11], v[10:11], v[14:15]
	v_add_f64_e32 v[14:15], v[50:51], v[46:47]
	s_delay_alu instid0(VALU_DEP_2) | instskip(NEXT) | instid1(VALU_DEP_2)
	v_add_f64_e32 v[40:41], v[44:45], v[10:11]
	v_add_f64_e64 v[50:51], v[14:15], -v[50:51]
	s_delay_alu instid0(VALU_DEP_2) | instskip(SKIP_1) | instid1(VALU_DEP_3)
	v_add_f64_e32 v[48:49], v[14:15], v[40:41]
	v_add_f64_e64 v[44:45], v[40:41], -v[44:45]
	v_add_f64_e64 v[46:47], v[46:47], -v[50:51]
	s_delay_alu instid0(VALU_DEP_3) | instskip(NEXT) | instid1(VALU_DEP_3)
	v_add_f64_e64 v[52:53], v[48:49], -v[14:15]
	v_add_f64_e64 v[10:11], v[10:11], -v[44:45]
	s_delay_alu instid0(VALU_DEP_2) | instskip(SKIP_1) | instid1(VALU_DEP_3)
	v_add_f64_e64 v[54:55], v[48:49], -v[52:53]
	v_add_f64_e64 v[40:41], v[40:41], -v[52:53]
	v_add_f64_e32 v[44:45], v[46:47], v[10:11]
	s_delay_alu instid0(VALU_DEP_3) | instskip(NEXT) | instid1(VALU_DEP_1)
	v_add_f64_e64 v[14:15], v[14:15], -v[54:55]
	v_add_f64_e32 v[14:15], v[40:41], v[14:15]
	s_delay_alu instid0(VALU_DEP_3) | instskip(NEXT) | instid1(VALU_DEP_2)
	v_add_f64_e64 v[40:41], v[44:45], -v[46:47]
	v_add_f64_e32 v[14:15], v[44:45], v[14:15]
	s_delay_alu instid0(VALU_DEP_2) | instskip(SKIP_1) | instid1(VALU_DEP_3)
	v_add_f64_e64 v[44:45], v[44:45], -v[40:41]
	v_add_f64_e64 v[10:11], v[10:11], -v[40:41]
	v_add_f64_e32 v[50:51], v[48:49], v[14:15]
	s_delay_alu instid0(VALU_DEP_3) | instskip(NEXT) | instid1(VALU_DEP_2)
	v_add_f64_e64 v[40:41], v[46:47], -v[44:45]
	v_add_f64_e64 v[44:45], v[50:51], -v[48:49]
	s_delay_alu instid0(VALU_DEP_2) | instskip(SKIP_1) | instid1(VALU_DEP_3)
	v_add_f64_e32 v[10:11], v[10:11], v[40:41]
	v_mov_b64_e32 v[40:41], 0x7ff8000000000000
	v_add_f64_e64 v[14:15], v[14:15], -v[44:45]
	s_delay_alu instid0(VALU_DEP_1) | instskip(NEXT) | instid1(VALU_DEP_1)
	v_add_f64_e32 v[10:11], v[10:11], v[14:15]
	v_add_f64_e32 v[10:11], v[50:51], v[10:11]
	s_delay_alu instid0(VALU_DEP_1) | instskip(SKIP_1) | instid1(VALU_DEP_2)
	v_dual_cndmask_b32 v10, v10, v42 :: v_dual_cndmask_b32 v11, v11, v43
	v_cmp_ngt_f64_e32 vcc_lo, 0, v[42:43]
	v_cndmask_b32_e32 v11, 0x7ff80000, v11, vcc_lo
	v_cmp_nge_f64_e32 vcc_lo, 0, v[42:43]
	s_delay_alu instid0(VALU_DEP_4) | instskip(SKIP_1) | instid1(VALU_DEP_4)
	v_cndmask_b32_e32 v14, 0, v10, vcc_lo
	v_cmp_neq_f64_e32 vcc_lo, 0, v[42:43]
	v_cndmask_b32_e32 v15, 0xfff00000, v11, vcc_lo
.LBB179_221:                            ;   in Loop: Header=BB179_145 Depth=1
	s_or_b32 exec_lo, exec_lo, s4
                                        ; implicit-def: $vgpr10_vgpr11
                                        ; implicit-def: $vgpr42_vgpr43
	s_delay_alu instid0(SALU_CYCLE_1)
	s_mov_b32 s4, exec_lo
	v_cmpx_o_f64_e32 v[6:7], v[8:9]
	s_xor_b32 s15, exec_lo, s4
	s_cbranch_execz .LBB179_249
; %bb.222:                              ;   in Loop: Header=BB179_145 Depth=1
	v_cmp_lt_f64_e64 s4, |v[6:7]|, |v[8:9]|
	v_and_b32_e32 v16, 0x7fffffff, v7
	v_and_b32_e32 v21, 0x7fffffff, v9
	v_mov_b32_e32 v12, v8
                                        ; implicit-def: $vgpr10_vgpr11
                                        ; implicit-def: $vgpr42_vgpr43
	s_mov_b32 s5, exec_lo
	s_delay_alu instid0(VALU_DEP_2) | instskip(NEXT) | instid1(VALU_DEP_1)
	v_dual_cndmask_b32 v47, v21, v16, s4 :: v_dual_cndmask_b32 v46, v8, v6, s4
	v_cmpx_nlt_f64_e32 s[22:23], v[46:47]
	s_xor_b32 s33, exec_lo, s5
	s_cbranch_execz .LBB179_246
; %bb.223:                              ;   in Loop: Header=BB179_145 Depth=1
	v_dual_cndmask_b32 v49, v16, v21, s4 :: v_dual_cndmask_b32 v48, v6, v12, s4
                                        ; implicit-def: $vgpr10_vgpr11
                                        ; implicit-def: $vgpr42_vgpr43
	s_mov_b32 s5, exec_lo
	s_delay_alu instid0(VALU_DEP_1)
	v_cmpx_neq_f64_e32 1.0, v[48:49]
	s_xor_b32 s54, exec_lo, s5
	s_cbranch_execz .LBB179_239
; %bb.224:                              ;   in Loop: Header=BB179_145 Depth=1
	v_max_num_f64_e32 v[10:11], v[46:47], v[46:47]
	v_max_num_f64_e32 v[42:43], v[48:49], v[48:49]
	s_delay_alu instid0(VALU_DEP_1) | instskip(SKIP_1) | instid1(VALU_DEP_2)
	v_min_num_f64_e32 v[44:45], v[42:43], v[10:11]
	v_max_num_f64_e32 v[10:11], v[42:43], v[10:11]
                                        ; implicit-def: $vgpr42_vgpr43
	v_cmp_ngt_f64_e32 vcc_lo, s[24:25], v[44:45]
	s_delay_alu instid0(VALU_DEP_2) | instskip(SKIP_1) | instid1(SALU_CYCLE_1)
	v_cmp_nlt_f64_e64 s5, s[26:27], v[10:11]
                                        ; implicit-def: $vgpr10_vgpr11
	s_and_b32 s5, s5, vcc_lo
	s_and_saveexec_b32 s6, s5
	s_delay_alu instid0(SALU_CYCLE_1)
	s_xor_b32 s55, exec_lo, s6
	s_cbranch_execz .LBB179_236
; %bb.225:                              ;   in Loop: Header=BB179_145 Depth=1
                                        ; implicit-def: $vgpr10_vgpr11
                                        ; implicit-def: $vgpr42_vgpr43
	s_mov_b32 s5, exec_lo
	v_cmpx_le_f64_e32 1.0, v[48:49]
	s_xor_b32 s8, exec_lo, s5
	s_cbranch_execz .LBB179_227
; %bb.226:                              ;   in Loop: Header=BB179_145 Depth=1
	v_add_f64_e32 v[10:11], -1.0, v[48:49]
	v_cmp_eq_f64_e64 s5, 0, v[8:9]
	v_add_f64_e32 v[42:43], 1.0, v[48:49]
	v_cmp_class_f64_e64 s10, v[6:7], 0x204
	v_cmp_class_f64_e64 s9, v[8:9], 0x204
	s_delay_alu instid0(VALU_DEP_3) | instskip(NEXT) | instid1(VALU_DEP_1)
	v_mul_f64_e32 v[44:45], v[10:11], v[42:43]
	v_fmac_f64_e32 v[44:45], v[46:47], v[46:47]
	s_delay_alu instid0(VALU_DEP_1) | instskip(SKIP_2) | instid1(VALU_DEP_3)
	v_add_f64_e32 v[10:11], 1.0, v[44:45]
	v_cmp_nge_f64_e64 s6, -1.0, v[44:45]
	v_cmp_neq_f64_e64 s7, 0x7ff00000, v[44:45]
	v_frexp_mant_f64_e32 v[42:43], v[10:11]
	v_frexp_exp_i32_f64_e32 v12, v[10:11]
	v_add_f64_e32 v[46:47], -1.0, v[10:11]
	s_delay_alu instid0(VALU_DEP_3) | instskip(NEXT) | instid1(VALU_DEP_2)
	v_cmp_gt_f64_e32 vcc_lo, s[28:29], v[42:43]
	v_add_f64_e64 v[42:43], v[46:47], -v[10:11]
	v_add_f64_e64 v[46:47], v[44:45], -v[46:47]
	v_subrev_co_ci_u32_e64 v12, null, 0, v12, vcc_lo
	s_delay_alu instid0(VALU_DEP_1) | instskip(NEXT) | instid1(VALU_DEP_1)
	v_dual_add_f64 v[42:43], 1.0, v[42:43] :: v_dual_sub_nc_u32 v16, 0, v12
	v_ldexp_f64 v[10:11], v[10:11], v16
	s_delay_alu instid0(VALU_DEP_2) | instskip(NEXT) | instid1(VALU_DEP_2)
	v_add_f64_e32 v[42:43], v[46:47], v[42:43]
	v_add_f64_e32 v[48:49], 1.0, v[10:11]
	v_add_f64_e32 v[54:55], -1.0, v[10:11]
	s_delay_alu instid0(VALU_DEP_3) | instskip(NEXT) | instid1(VALU_DEP_3)
	v_ldexp_f64 v[42:43], v[42:43], v16
	v_add_f64_e32 v[46:47], -1.0, v[48:49]
	s_delay_alu instid0(VALU_DEP_3) | instskip(NEXT) | instid1(VALU_DEP_2)
	v_add_f64_e32 v[56:57], 1.0, v[54:55]
	v_add_f64_e64 v[46:47], v[10:11], -v[46:47]
	s_delay_alu instid0(VALU_DEP_2) | instskip(NEXT) | instid1(VALU_DEP_2)
	v_add_f64_e64 v[10:11], v[10:11], -v[56:57]
	v_add_f64_e32 v[46:47], v[42:43], v[46:47]
	s_delay_alu instid0(VALU_DEP_2) | instskip(NEXT) | instid1(VALU_DEP_2)
	v_add_f64_e32 v[10:11], v[42:43], v[10:11]
	v_add_f64_e32 v[50:51], v[48:49], v[46:47]
	s_delay_alu instid0(VALU_DEP_2) | instskip(NEXT) | instid1(VALU_DEP_2)
	v_add_f64_e32 v[56:57], v[54:55], v[10:11]
	v_rcp_f64_e32 v[52:53], v[50:51]
	v_add_f64_e64 v[48:49], v[50:51], -v[48:49]
	s_delay_alu instid0(VALU_DEP_2) | instskip(NEXT) | instid1(VALU_DEP_2)
	v_add_f64_e64 v[54:55], v[56:57], -v[54:55]
	v_add_f64_e64 v[46:47], v[46:47], -v[48:49]
	s_delay_alu instid0(VALU_DEP_2) | instskip(NEXT) | instid1(TRANS32_DEP_1)
	v_add_f64_e64 v[10:11], v[10:11], -v[54:55]
	v_fma_f64 v[58:59], -v[50:51], v[52:53], 1.0
	s_delay_alu instid0(VALU_DEP_1) | instskip(NEXT) | instid1(VALU_DEP_1)
	v_fmac_f64_e32 v[52:53], v[58:59], v[52:53]
	v_fma_f64 v[42:43], -v[50:51], v[52:53], 1.0
	s_delay_alu instid0(VALU_DEP_1) | instskip(NEXT) | instid1(VALU_DEP_1)
	v_fmac_f64_e32 v[52:53], v[42:43], v[52:53]
	v_mul_f64_e32 v[42:43], v[56:57], v[52:53]
	s_delay_alu instid0(VALU_DEP_1) | instskip(NEXT) | instid1(VALU_DEP_1)
	v_mul_f64_e32 v[58:59], v[50:51], v[42:43]
	v_fma_f64 v[48:49], v[42:43], v[50:51], -v[58:59]
	s_delay_alu instid0(VALU_DEP_1) | instskip(NEXT) | instid1(VALU_DEP_1)
	v_fmac_f64_e32 v[48:49], v[42:43], v[46:47]
	v_add_f64_e32 v[60:61], v[58:59], v[48:49]
	s_delay_alu instid0(VALU_DEP_1) | instskip(SKIP_1) | instid1(VALU_DEP_2)
	v_add_f64_e64 v[62:63], v[56:57], -v[60:61]
	v_add_f64_e64 v[54:55], v[60:61], -v[58:59]
	;; [unrolled: 1-line block ×3, first 2 shown]
	s_delay_alu instid0(VALU_DEP_2) | instskip(NEXT) | instid1(VALU_DEP_2)
	v_add_f64_e64 v[48:49], v[54:55], -v[48:49]
	v_add_f64_e64 v[56:57], v[56:57], -v[60:61]
	s_delay_alu instid0(VALU_DEP_1) | instskip(NEXT) | instid1(VALU_DEP_1)
	v_add_f64_e32 v[10:11], v[10:11], v[56:57]
	v_add_f64_e32 v[10:11], v[48:49], v[10:11]
	s_delay_alu instid0(VALU_DEP_1) | instskip(NEXT) | instid1(VALU_DEP_1)
	v_add_f64_e32 v[48:49], v[62:63], v[10:11]
	v_mul_f64_e32 v[54:55], v[52:53], v[48:49]
	v_add_f64_e64 v[60:61], v[62:63], -v[48:49]
	s_delay_alu instid0(VALU_DEP_2) | instskip(NEXT) | instid1(VALU_DEP_2)
	v_mul_f64_e32 v[56:57], v[50:51], v[54:55]
	v_add_f64_e32 v[10:11], v[10:11], v[60:61]
	s_delay_alu instid0(VALU_DEP_2) | instskip(NEXT) | instid1(VALU_DEP_1)
	v_fma_f64 v[50:51], v[54:55], v[50:51], -v[56:57]
	v_fmac_f64_e32 v[50:51], v[54:55], v[46:47]
	s_delay_alu instid0(VALU_DEP_1) | instskip(NEXT) | instid1(VALU_DEP_1)
	v_add_f64_e32 v[46:47], v[56:57], v[50:51]
	v_add_f64_e64 v[58:59], v[48:49], -v[46:47]
	v_add_f64_e64 v[56:57], v[46:47], -v[56:57]
	s_delay_alu instid0(VALU_DEP_2) | instskip(NEXT) | instid1(VALU_DEP_1)
	v_add_f64_e64 v[48:49], v[48:49], -v[58:59]
	v_add_f64_e64 v[46:47], v[48:49], -v[46:47]
	s_delay_alu instid0(VALU_DEP_3) | instskip(SKIP_1) | instid1(VALU_DEP_3)
	v_add_f64_e64 v[48:49], v[56:57], -v[50:51]
	v_max_num_f64_e64 v[50:51], |v[6:7]|, |v[6:7]|
	v_add_f64_e32 v[10:11], v[10:11], v[46:47]
	v_add_f64_e32 v[46:47], v[42:43], v[54:55]
	s_delay_alu instid0(VALU_DEP_2) | instskip(NEXT) | instid1(VALU_DEP_2)
	v_add_f64_e32 v[10:11], v[48:49], v[10:11]
	v_add_f64_e64 v[42:43], v[46:47], -v[42:43]
	v_max_num_f64_e64 v[48:49], |v[8:9]|, |v[8:9]|
	s_delay_alu instid0(VALU_DEP_3) | instskip(NEXT) | instid1(VALU_DEP_3)
	v_add_f64_e32 v[10:11], v[58:59], v[10:11]
	v_add_f64_e64 v[42:43], v[54:55], -v[42:43]
	s_delay_alu instid0(VALU_DEP_2) | instskip(NEXT) | instid1(VALU_DEP_1)
	v_mul_f64_e32 v[10:11], v[52:53], v[10:11]
	v_add_f64_e32 v[10:11], v[42:43], v[10:11]
	v_max_num_f64_e32 v[42:43], v[50:51], v[48:49]
	v_min_num_f64_e32 v[48:49], v[50:51], v[48:49]
	s_delay_alu instid0(VALU_DEP_3) | instskip(NEXT) | instid1(VALU_DEP_2)
	v_add_f64_e32 v[50:51], v[46:47], v[10:11]
	v_div_scale_f64 v[52:53], null, v[42:43], v[42:43], v[48:49]
	s_delay_alu instid0(VALU_DEP_2) | instskip(SKIP_1) | instid1(VALU_DEP_3)
	v_mul_f64_e32 v[54:55], v[50:51], v[50:51]
	v_add_f64_e64 v[46:47], v[50:51], -v[46:47]
	v_rcp_f64_e32 v[56:57], v[52:53]
	s_delay_alu instid0(VALU_DEP_2) | instskip(SKIP_1) | instid1(VALU_DEP_3)
	v_fmamk_f64 v[58:59], v[54:55], 0x3fc3ab76bf559e2b, v[24:25]
	v_mul_f64_e32 v[60:61], v[50:51], v[54:55]
	v_add_f64_e64 v[10:11], v[10:11], -v[46:47]
	s_delay_alu instid0(VALU_DEP_3) | instskip(NEXT) | instid1(TRANS32_DEP_1)
	v_fmaak_f64 v[58:59], v[54:55], v[58:59], 0x3fc7474dd7f4df2e
	v_fma_f64 v[62:63], -v[52:53], v[56:57], 1.0
	s_delay_alu instid0(VALU_DEP_2) | instskip(NEXT) | instid1(VALU_DEP_1)
	v_fmaak_f64 v[58:59], v[54:55], v[58:59], 0x3fcc71c016291751
	v_fmaak_f64 v[58:59], v[54:55], v[58:59], 0x3fd249249b27acf1
	s_delay_alu instid0(VALU_DEP_1) | instskip(SKIP_1) | instid1(VALU_DEP_2)
	v_fmaak_f64 v[58:59], v[54:55], v[58:59], 0x3fd99999998ef7b6
	v_ldexp_f64 v[10:11], v[10:11], 1
	v_fmaak_f64 v[54:55], v[54:55], v[58:59], 0x3fe5555555555780
	v_ldexp_f64 v[58:59], v[50:51], 1
	v_fmac_f64_e32 v[56:57], v[56:57], v[62:63]
	s_delay_alu instid0(VALU_DEP_3) | instskip(SKIP_2) | instid1(VALU_DEP_1)
	v_mul_f64_e32 v[54:55], v[60:61], v[54:55]
	v_cvt_f64_i32_e32 v[60:61], v12
	v_ashrrev_i32_e32 v12, 31, v7
	v_and_b32_e32 v21, 0x54442d18, v12
	v_fma_f64 v[62:63], -v[52:53], v[56:57], 1.0
	v_add_f64_e32 v[50:51], v[58:59], v[54:55]
	v_mul_f64_e32 v[64:65], 0x3fe62e42fefa39ef, v[60:61]
	s_delay_alu instid0(VALU_DEP_3) | instskip(NEXT) | instid1(VALU_DEP_3)
	v_fmac_f64_e32 v[56:57], v[56:57], v[62:63]
	v_add_f64_e64 v[46:47], v[50:51], -v[58:59]
	v_div_scale_f64 v[58:59], vcc_lo, v[48:49], v[42:43], v[48:49]
	s_delay_alu instid0(VALU_DEP_4) | instskip(NEXT) | instid1(VALU_DEP_3)
	v_fma_f64 v[62:63], v[60:61], s[30:31], -v[64:65]
	v_add_f64_e64 v[46:47], v[54:55], -v[46:47]
	s_delay_alu instid0(VALU_DEP_3) | instskip(NEXT) | instid1(VALU_DEP_3)
	v_mul_f64_e32 v[54:55], v[58:59], v[56:57]
	v_fmac_f64_e32 v[62:63], 0x3c7abc9e3b39803f, v[60:61]
	s_delay_alu instid0(VALU_DEP_3) | instskip(NEXT) | instid1(VALU_DEP_3)
	v_add_f64_e32 v[10:11], v[10:11], v[46:47]
	v_fma_f64 v[46:47], -v[52:53], v[54:55], v[58:59]
	s_delay_alu instid0(VALU_DEP_3) | instskip(NEXT) | instid1(VALU_DEP_3)
	v_add_f64_e32 v[52:53], v[64:65], v[62:63]
	v_add_f64_e32 v[58:59], v[50:51], v[10:11]
	s_delay_alu instid0(VALU_DEP_3) | instskip(SKIP_1) | instid1(VALU_DEP_4)
	v_div_fmas_f64 v[46:47], v[46:47], v[56:57], v[54:55]
	v_cmp_gt_i32_e32 vcc_lo, 0, v7
	v_add_f64_e64 v[56:57], v[52:53], -v[64:65]
	v_and_b32_e32 v7, 0x400921fb, v12
	v_cndmask_b32_e32 v16, 0x54442d18, v68, vcc_lo
	v_cndmask_b32_e32 v6, 0x3fe921fb, v69, vcc_lo
	s_delay_alu instid0(VALU_DEP_1) | instskip(SKIP_4) | instid1(VALU_DEP_4)
	v_bfi_b32 v6, 0x7fffffff, v6, v9
	v_add_f64_e32 v[54:55], v[52:53], v[58:59]
	v_div_fixup_f64 v[42:43], v[46:47], v[42:43], v[48:49]
	v_add_f64_e64 v[50:51], v[58:59], -v[50:51]
	v_add_f64_e64 v[56:57], v[62:63], -v[56:57]
	;; [unrolled: 1-line block ×3, first 2 shown]
	s_delay_alu instid0(VALU_DEP_4) | instskip(NEXT) | instid1(VALU_DEP_4)
	v_mul_f64_e32 v[48:49], v[42:43], v[42:43]
	v_add_f64_e64 v[10:11], v[10:11], -v[50:51]
	s_delay_alu instid0(VALU_DEP_3) | instskip(NEXT) | instid1(VALU_DEP_3)
	v_add_f64_e64 v[60:61], v[54:55], -v[46:47]
	v_fmamk_f64 v[64:65], v[48:49], 0x3eeba404b5e68a13, v[26:27]
	v_add_f64_e64 v[46:47], v[58:59], -v[46:47]
	s_delay_alu instid0(VALU_DEP_4) | instskip(NEXT) | instid1(VALU_DEP_3)
	v_add_f64_e32 v[58:59], v[56:57], v[10:11]
	v_fmaak_f64 v[64:65], v[48:49], v[64:65], 0x3f4b2bb069efb384
	v_add_f64_e64 v[50:51], v[52:53], -v[60:61]
	s_delay_alu instid0(VALU_DEP_2) | instskip(NEXT) | instid1(VALU_DEP_1)
	v_fmaak_f64 v[52:53], v[48:49], v[64:65], 0xbf67952daf56de9b
	v_fmaak_f64 v[52:53], v[48:49], v[52:53], 0x3f7d6d43a595c56f
	s_delay_alu instid0(VALU_DEP_1) | instskip(NEXT) | instid1(VALU_DEP_1)
	v_fmaak_f64 v[52:53], v[48:49], v[52:53], 0xbf8c6ea4a57d9582
	v_fmaak_f64 v[52:53], v[48:49], v[52:53], 0x3f967e295f08b19f
	s_delay_alu instid0(VALU_DEP_1) | instskip(SKIP_1) | instid1(VALU_DEP_2)
	v_fmaak_f64 v[52:53], v[48:49], v[52:53], 0xbf9e9ae6fc27006a
	v_add_f64_e32 v[46:47], v[46:47], v[50:51]
	v_fmaak_f64 v[50:51], v[48:49], v[52:53], 0x3fa2c15b5711927a
	v_add_f64_e64 v[52:53], v[58:59], -v[56:57]
	s_delay_alu instid0(VALU_DEP_2) | instskip(NEXT) | instid1(VALU_DEP_1)
	v_fmaak_f64 v[50:51], v[48:49], v[50:51], 0xbfa59976e82d3ff0
	v_fmaak_f64 v[50:51], v[48:49], v[50:51], 0x3fa82d5d6ef28734
	s_delay_alu instid0(VALU_DEP_1) | instskip(NEXT) | instid1(VALU_DEP_1)
	v_fmaak_f64 v[50:51], v[48:49], v[50:51], 0xbfaae5ce6a214619
	v_fmaak_f64 v[50:51], v[48:49], v[50:51], 0x3fae1bb48427b883
	v_add_f64_e32 v[46:47], v[58:59], v[46:47]
	v_add_f64_e64 v[58:59], v[58:59], -v[52:53]
	v_add_f64_e64 v[10:11], v[10:11], -v[52:53]
	s_delay_alu instid0(VALU_DEP_4) | instskip(NEXT) | instid1(VALU_DEP_1)
	v_fmaak_f64 v[50:51], v[48:49], v[50:51], 0xbfb110e48b207f05
	v_fmaak_f64 v[50:51], v[48:49], v[50:51], 0x3fb3b13657b87036
	s_delay_alu instid0(VALU_DEP_1) | instskip(NEXT) | instid1(VALU_DEP_1)
	v_fmaak_f64 v[50:51], v[48:49], v[50:51], 0xbfb745d119378e4f
	v_fmaak_f64 v[50:51], v[48:49], v[50:51], 0x3fbc71c717e1913c
	v_add_f64_e32 v[60:61], v[54:55], v[46:47]
	s_delay_alu instid0(VALU_DEP_2) | instskip(NEXT) | instid1(VALU_DEP_1)
	v_fmaak_f64 v[50:51], v[48:49], v[50:51], 0xbfc2492492376b7d
	v_fmaak_f64 v[50:51], v[48:49], v[50:51], 0x3fc99999999952cc
	s_delay_alu instid0(VALU_DEP_1) | instskip(NEXT) | instid1(VALU_DEP_1)
	v_fmaak_f64 v[50:51], v[48:49], v[50:51], 0xbfd5555555555523
	v_mul_f64_e32 v[48:49], v[48:49], v[50:51]
	v_add_f64_e64 v[50:51], v[56:57], -v[58:59]
	v_add_f64_e64 v[52:53], v[60:61], -v[54:55]
	s_delay_alu instid0(VALU_DEP_3) | instskip(NEXT) | instid1(VALU_DEP_3)
	v_fmac_f64_e32 v[42:43], v[42:43], v[48:49]
	v_add_f64_e32 v[10:11], v[10:11], v[50:51]
	s_delay_alu instid0(VALU_DEP_3) | instskip(NEXT) | instid1(VALU_DEP_3)
	v_add_f64_e64 v[46:47], v[46:47], -v[52:53]
	v_add_f64_e64 v[48:49], -v[42:43], s[38:39]
	s_delay_alu instid0(VALU_DEP_2) | instskip(NEXT) | instid1(VALU_DEP_2)
	v_add_f64_e32 v[10:11], v[10:11], v[46:47]
	v_dual_cndmask_b32 v43, v43, v49, s4 :: v_dual_cndmask_b32 v42, v42, v48, s4
                                        ; implicit-def: $vgpr48_vgpr49
	s_delay_alu instid0(VALU_DEP_1) | instskip(NEXT) | instid1(VALU_DEP_3)
	v_add_f64_e64 v[46:47], -v[42:43], s[40:41]
	v_add_f64_e32 v[10:11], v[60:61], v[10:11]
	s_delay_alu instid0(VALU_DEP_2) | instskip(SKIP_1) | instid1(VALU_DEP_3)
	v_dual_cndmask_b32 v42, v42, v46, vcc_lo :: v_dual_cndmask_b32 v12, v43, v47, vcc_lo
	v_cmp_ngt_f64_e32 vcc_lo, -1.0, v[44:45]
	v_mul_f64_e32 v[10:11], 0.5, v[10:11]
                                        ; implicit-def: $vgpr46_vgpr47
	s_delay_alu instid0(VALU_DEP_3)
	v_dual_cndmask_b32 v21, v42, v21, s5 :: v_dual_cndmask_b32 v7, v12, v7, s5
	s_and_b32 s5, s6, s7
	s_delay_alu instid0(VALU_DEP_2) | instid1(SALU_CYCLE_1)
	v_cndmask_b32_e64 v10, 0, v10, s5
	v_cmp_neq_f64_e64 s5, -1.0, v[44:45]
	s_delay_alu instid0(VALU_DEP_4) | instskip(NEXT) | instid1(VALU_DEP_1)
	v_cndmask_b32_e64 v11, 0x7ff00000, v11, s7
	v_cndmask_b32_e32 v11, 0x7ff80000, v11, vcc_lo
	s_and_b32 vcc_lo, s9, s10
	v_dual_cndmask_b32 v43, v7, v6 :: v_dual_cndmask_b32 v42, v21, v16
	s_delay_alu instid0(VALU_DEP_2)
	v_cndmask_b32_e64 v11, 0xfff00000, v11, s5
.LBB179_227:                            ;   in Loop: Header=BB179_145 Depth=1
	s_and_not1_saveexec_b32 s56, s8
	s_cbranch_execz .LBB179_235
; %bb.228:                              ;   in Loop: Header=BB179_145 Depth=1
	v_mul_f64_e32 v[44:45], v[46:47], v[46:47]
                                        ; implicit-def: $vgpr10_vgpr11
                                        ; implicit-def: $vgpr42_vgpr43
	s_mov_b32 s5, exec_lo
	s_delay_alu instid0(VALU_DEP_1) | instskip(NEXT) | instid1(VALU_DEP_1)
	v_fmac_f64_e32 v[44:45], v[48:49], v[48:49]
	v_cmpx_ge_f64_e32 s[42:43], v[44:45]
	s_xor_b32 s7, exec_lo, s5
	s_cbranch_execz .LBB179_230
; %bb.229:                              ;   in Loop: Header=BB179_145 Depth=1
	v_frexp_mant_f64_e32 v[10:11], v[44:45]
	v_cmp_eq_f64_e64 s5, 0, v[8:9]
	v_cmp_neq_f64_e64 s6, 0, v[44:45]
	v_cmp_class_f64_e64 s8, v[8:9], 0x204
	v_cmp_class_f64_e64 s9, v[6:7], 0x204
	v_cmp_gt_f64_e32 vcc_lo, s[28:29], v[10:11]
	v_cndmask_b32_e64 v12, 0, 1, vcc_lo
	s_delay_alu instid0(VALU_DEP_1) | instskip(SKIP_1) | instid1(VALU_DEP_2)
	v_ldexp_f64 v[10:11], v[10:11], v12
	v_frexp_exp_i32_f64_e32 v12, v[44:45]
	v_add_f64_e32 v[42:43], 1.0, v[10:11]
	v_add_f64_e32 v[50:51], -1.0, v[10:11]
	s_delay_alu instid0(VALU_DEP_3) | instskip(NEXT) | instid1(VALU_DEP_3)
	v_subrev_co_ci_u32_e64 v12, null, 0, v12, vcc_lo
	v_rcp_f64_e32 v[46:47], v[42:43]
	v_add_f64_e32 v[52:53], -1.0, v[42:43]
	s_delay_alu instid0(VALU_DEP_1) | instskip(NEXT) | instid1(TRANS32_DEP_1)
	v_add_f64_e64 v[10:11], v[10:11], -v[52:53]
	v_fma_f64 v[48:49], -v[42:43], v[46:47], 1.0
	s_delay_alu instid0(VALU_DEP_1) | instskip(NEXT) | instid1(VALU_DEP_1)
	v_fmac_f64_e32 v[46:47], v[48:49], v[46:47]
	v_fma_f64 v[48:49], -v[42:43], v[46:47], 1.0
	s_delay_alu instid0(VALU_DEP_1) | instskip(NEXT) | instid1(VALU_DEP_1)
	v_fmac_f64_e32 v[46:47], v[48:49], v[46:47]
	v_mul_f64_e32 v[48:49], v[50:51], v[46:47]
	s_delay_alu instid0(VALU_DEP_1) | instskip(NEXT) | instid1(VALU_DEP_1)
	v_mul_f64_e32 v[54:55], v[42:43], v[48:49]
	v_fma_f64 v[42:43], v[48:49], v[42:43], -v[54:55]
	s_delay_alu instid0(VALU_DEP_1) | instskip(NEXT) | instid1(VALU_DEP_1)
	v_fmac_f64_e32 v[42:43], v[48:49], v[10:11]
	v_add_f64_e32 v[10:11], v[54:55], v[42:43]
	s_delay_alu instid0(VALU_DEP_1) | instskip(SKIP_1) | instid1(VALU_DEP_2)
	v_add_f64_e64 v[52:53], v[50:51], -v[10:11]
	v_add_f64_e64 v[54:55], v[10:11], -v[54:55]
	;; [unrolled: 1-line block ×3, first 2 shown]
	s_delay_alu instid0(VALU_DEP_2) | instskip(NEXT) | instid1(VALU_DEP_2)
	v_add_f64_e64 v[42:43], v[54:55], -v[42:43]
	v_add_f64_e64 v[10:11], v[50:51], -v[10:11]
	v_max_num_f64_e64 v[50:51], |v[6:7]|, |v[6:7]|
	s_delay_alu instid0(VALU_DEP_2) | instskip(SKIP_1) | instid1(VALU_DEP_2)
	v_add_f64_e32 v[10:11], v[42:43], v[10:11]
	v_max_num_f64_e64 v[42:43], |v[8:9]|, |v[8:9]|
	v_add_f64_e32 v[10:11], v[52:53], v[10:11]
	s_delay_alu instid0(VALU_DEP_1) | instskip(NEXT) | instid1(VALU_DEP_3)
	v_mul_f64_e32 v[10:11], v[46:47], v[10:11]
	v_max_num_f64_e32 v[46:47], v[50:51], v[42:43]
	v_min_num_f64_e32 v[42:43], v[50:51], v[42:43]
	s_delay_alu instid0(VALU_DEP_3) | instskip(NEXT) | instid1(VALU_DEP_2)
	v_add_f64_e32 v[50:51], v[48:49], v[10:11]
	v_div_scale_f64 v[52:53], null, v[46:47], v[46:47], v[42:43]
	s_delay_alu instid0(VALU_DEP_2) | instskip(SKIP_1) | instid1(VALU_DEP_3)
	v_mul_f64_e32 v[54:55], v[50:51], v[50:51]
	v_add_f64_e64 v[48:49], v[50:51], -v[48:49]
	v_rcp_f64_e32 v[56:57], v[52:53]
	s_delay_alu instid0(VALU_DEP_2) | instskip(SKIP_1) | instid1(VALU_DEP_3)
	v_fmamk_f64 v[58:59], v[54:55], 0x3fc3ab76bf559e2b, v[24:25]
	v_mul_f64_e32 v[60:61], v[50:51], v[54:55]
	v_add_f64_e64 v[10:11], v[10:11], -v[48:49]
	s_delay_alu instid0(VALU_DEP_3) | instskip(NEXT) | instid1(TRANS32_DEP_1)
	v_fmaak_f64 v[58:59], v[54:55], v[58:59], 0x3fc7474dd7f4df2e
	v_fma_f64 v[62:63], -v[52:53], v[56:57], 1.0
	s_delay_alu instid0(VALU_DEP_2) | instskip(NEXT) | instid1(VALU_DEP_1)
	v_fmaak_f64 v[58:59], v[54:55], v[58:59], 0x3fcc71c016291751
	v_fmaak_f64 v[58:59], v[54:55], v[58:59], 0x3fd249249b27acf1
	s_delay_alu instid0(VALU_DEP_1) | instskip(SKIP_1) | instid1(VALU_DEP_2)
	v_fmaak_f64 v[58:59], v[54:55], v[58:59], 0x3fd99999998ef7b6
	v_ldexp_f64 v[10:11], v[10:11], 1
	v_fmaak_f64 v[54:55], v[54:55], v[58:59], 0x3fe5555555555780
	v_ldexp_f64 v[58:59], v[50:51], 1
	v_fmac_f64_e32 v[56:57], v[56:57], v[62:63]
	s_delay_alu instid0(VALU_DEP_3) | instskip(SKIP_2) | instid1(VALU_DEP_1)
	v_mul_f64_e32 v[54:55], v[60:61], v[54:55]
	v_cvt_f64_i32_e32 v[60:61], v12
	v_ashrrev_i32_e32 v12, 31, v7
	v_and_b32_e32 v21, 0x54442d18, v12
	v_fma_f64 v[62:63], -v[52:53], v[56:57], 1.0
	v_add_f64_e32 v[50:51], v[58:59], v[54:55]
	v_mul_f64_e32 v[64:65], 0x3fe62e42fefa39ef, v[60:61]
	s_delay_alu instid0(VALU_DEP_3) | instskip(NEXT) | instid1(VALU_DEP_3)
	v_fmac_f64_e32 v[56:57], v[56:57], v[62:63]
	v_add_f64_e64 v[48:49], v[50:51], -v[58:59]
	v_div_scale_f64 v[58:59], vcc_lo, v[42:43], v[46:47], v[42:43]
	s_delay_alu instid0(VALU_DEP_4) | instskip(NEXT) | instid1(VALU_DEP_3)
	v_fma_f64 v[62:63], v[60:61], s[30:31], -v[64:65]
	v_add_f64_e64 v[48:49], v[54:55], -v[48:49]
	s_delay_alu instid0(VALU_DEP_3) | instskip(NEXT) | instid1(VALU_DEP_3)
	v_mul_f64_e32 v[54:55], v[58:59], v[56:57]
	v_fmac_f64_e32 v[62:63], 0x3c7abc9e3b39803f, v[60:61]
	s_delay_alu instid0(VALU_DEP_3) | instskip(NEXT) | instid1(VALU_DEP_3)
	v_add_f64_e32 v[10:11], v[10:11], v[48:49]
	v_fma_f64 v[48:49], -v[52:53], v[54:55], v[58:59]
	s_delay_alu instid0(VALU_DEP_3) | instskip(NEXT) | instid1(VALU_DEP_3)
	v_add_f64_e32 v[52:53], v[64:65], v[62:63]
	v_add_f64_e32 v[58:59], v[50:51], v[10:11]
	s_delay_alu instid0(VALU_DEP_3) | instskip(SKIP_1) | instid1(VALU_DEP_4)
	v_div_fmas_f64 v[48:49], v[48:49], v[56:57], v[54:55]
	v_cmp_gt_i32_e32 vcc_lo, 0, v7
	v_add_f64_e64 v[56:57], v[52:53], -v[64:65]
	v_cndmask_b32_e32 v16, 0x54442d18, v68, vcc_lo
	v_add_f64_e32 v[54:55], v[52:53], v[58:59]
	v_div_fixup_f64 v[42:43], v[48:49], v[46:47], v[42:43]
	v_add_f64_e64 v[50:51], v[58:59], -v[50:51]
	v_add_f64_e64 v[56:57], v[62:63], -v[56:57]
	s_delay_alu instid0(VALU_DEP_4) | instskip(NEXT) | instid1(VALU_DEP_4)
	v_add_f64_e64 v[46:47], v[54:55], -v[52:53]
	v_mul_f64_e32 v[48:49], v[42:43], v[42:43]
	s_delay_alu instid0(VALU_DEP_4) | instskip(NEXT) | instid1(VALU_DEP_3)
	v_add_f64_e64 v[10:11], v[10:11], -v[50:51]
	v_add_f64_e64 v[60:61], v[54:55], -v[46:47]
	s_delay_alu instid0(VALU_DEP_3) | instskip(SKIP_1) | instid1(VALU_DEP_4)
	v_fmamk_f64 v[64:65], v[48:49], 0x3eeba404b5e68a13, v[26:27]
	v_add_f64_e64 v[46:47], v[58:59], -v[46:47]
	v_add_f64_e32 v[58:59], v[56:57], v[10:11]
	s_delay_alu instid0(VALU_DEP_3) | instskip(NEXT) | instid1(VALU_DEP_1)
	v_fmaak_f64 v[64:65], v[48:49], v[64:65], 0x3f4b2bb069efb384
	v_fmaak_f64 v[64:65], v[48:49], v[64:65], 0xbf67952daf56de9b
	v_add_f64_e64 v[50:51], v[52:53], -v[60:61]
	s_delay_alu instid0(VALU_DEP_2) | instskip(NEXT) | instid1(VALU_DEP_1)
	v_fmaak_f64 v[52:53], v[48:49], v[64:65], 0x3f7d6d43a595c56f
	v_fmaak_f64 v[52:53], v[48:49], v[52:53], 0xbf8c6ea4a57d9582
	s_delay_alu instid0(VALU_DEP_1) | instskip(NEXT) | instid1(VALU_DEP_1)
	v_fmaak_f64 v[52:53], v[48:49], v[52:53], 0x3f967e295f08b19f
	v_fmaak_f64 v[52:53], v[48:49], v[52:53], 0xbf9e9ae6fc27006a
	s_delay_alu instid0(VALU_DEP_1) | instskip(SKIP_1) | instid1(VALU_DEP_2)
	v_fmaak_f64 v[52:53], v[48:49], v[52:53], 0x3fa2c15b5711927a
	v_add_f64_e32 v[46:47], v[46:47], v[50:51]
	v_fmaak_f64 v[50:51], v[48:49], v[52:53], 0xbfa59976e82d3ff0
	v_add_f64_e64 v[52:53], v[58:59], -v[56:57]
	s_delay_alu instid0(VALU_DEP_2) | instskip(NEXT) | instid1(VALU_DEP_1)
	v_fmaak_f64 v[50:51], v[48:49], v[50:51], 0x3fa82d5d6ef28734
	v_fmaak_f64 v[50:51], v[48:49], v[50:51], 0xbfaae5ce6a214619
	s_delay_alu instid0(VALU_DEP_1) | instskip(NEXT) | instid1(VALU_DEP_1)
	v_fmaak_f64 v[50:51], v[48:49], v[50:51], 0x3fae1bb48427b883
	v_fmaak_f64 v[50:51], v[48:49], v[50:51], 0xbfb110e48b207f05
	v_add_f64_e32 v[46:47], v[58:59], v[46:47]
	v_add_f64_e64 v[58:59], v[58:59], -v[52:53]
	v_add_f64_e64 v[10:11], v[10:11], -v[52:53]
	s_delay_alu instid0(VALU_DEP_4) | instskip(NEXT) | instid1(VALU_DEP_1)
	v_fmaak_f64 v[50:51], v[48:49], v[50:51], 0x3fb3b13657b87036
	v_fmaak_f64 v[50:51], v[48:49], v[50:51], 0xbfb745d119378e4f
	s_delay_alu instid0(VALU_DEP_1) | instskip(NEXT) | instid1(VALU_DEP_1)
	v_fmaak_f64 v[50:51], v[48:49], v[50:51], 0x3fbc71c717e1913c
	v_fmaak_f64 v[50:51], v[48:49], v[50:51], 0xbfc2492492376b7d
	v_add_f64_e32 v[60:61], v[54:55], v[46:47]
	s_delay_alu instid0(VALU_DEP_2) | instskip(NEXT) | instid1(VALU_DEP_1)
	v_fmaak_f64 v[50:51], v[48:49], v[50:51], 0x3fc99999999952cc
	v_fmaak_f64 v[50:51], v[48:49], v[50:51], 0xbfd5555555555523
	s_delay_alu instid0(VALU_DEP_1) | instskip(SKIP_2) | instid1(VALU_DEP_3)
	v_mul_f64_e32 v[48:49], v[48:49], v[50:51]
	v_add_f64_e64 v[50:51], v[56:57], -v[58:59]
	v_add_f64_e64 v[52:53], v[60:61], -v[54:55]
	v_fmac_f64_e32 v[42:43], v[42:43], v[48:49]
	s_delay_alu instid0(VALU_DEP_3) | instskip(NEXT) | instid1(VALU_DEP_3)
	v_add_f64_e32 v[10:11], v[10:11], v[50:51]
	v_add_f64_e64 v[46:47], v[46:47], -v[52:53]
	s_delay_alu instid0(VALU_DEP_3) | instskip(NEXT) | instid1(VALU_DEP_2)
	v_add_f64_e64 v[48:49], -v[42:43], s[38:39]
	v_add_f64_e32 v[10:11], v[10:11], v[46:47]
	s_delay_alu instid0(VALU_DEP_2) | instskip(NEXT) | instid1(VALU_DEP_1)
	v_dual_cndmask_b32 v43, v43, v49, s4 :: v_dual_cndmask_b32 v42, v42, v48, s4
                                        ; implicit-def: $vgpr48_vgpr49
	v_add_f64_e64 v[46:47], -v[42:43], s[40:41]
	s_delay_alu instid0(VALU_DEP_3) | instskip(NEXT) | instid1(VALU_DEP_2)
	v_add_f64_e32 v[10:11], v[60:61], v[10:11]
	v_cndmask_b32_e32 v42, v42, v46, vcc_lo
	s_delay_alu instid0(VALU_DEP_1) | instskip(SKIP_4) | instid1(VALU_DEP_3)
	v_dual_mul_f64 v[6:7], 0.5, v[10:11] :: v_dual_cndmask_b32 v21, v42, v21, s5
	v_cndmask_b32_e32 v10, 0x3fe921fb, v69, vcc_lo
	v_and_b32_e32 v11, 0x400921fb, v12
	v_cndmask_b32_e32 v12, v43, v47, vcc_lo
	s_and_b32 vcc_lo, s8, s9
                                        ; implicit-def: $vgpr46_vgpr47
	v_bfi_b32 v10, 0x7fffffff, v10, v9
	s_delay_alu instid0(VALU_DEP_2) | instskip(NEXT) | instid1(VALU_DEP_1)
	v_dual_cndmask_b32 v42, v21, v16, vcc_lo :: v_dual_cndmask_b32 v11, v12, v11, s5
	v_cndmask_b32_e32 v43, v11, v10, vcc_lo
	v_cndmask_b32_e64 v11, 0xfff00000, v7, s6
	v_cndmask_b32_e64 v10, 0, v6, s6
.LBB179_230:                            ;   in Loop: Header=BB179_145 Depth=1
	s_and_not1_saveexec_b32 s57, s7
	s_cbranch_execz .LBB179_234
; %bb.231:                              ;   in Loop: Header=BB179_145 Depth=1
	v_and_b32_e32 v21, 0x7ffffff8, v49
	v_and_b32_e32 v43, 0x7ffffff8, v47
	v_mov_b32_e32 v42, v20
	s_mov_b32 s58, 0
	v_mov_b32_e32 v50, v20
	v_add_f64_e64 v[10:11], v[48:49], -v[20:21]
	s_delay_alu instid0(VALU_DEP_3)
	v_dual_add_f64 v[44:45], v[46:47], -v[42:43] :: v_dual_mov_b32 v48, v20
	v_add_f64_e32 v[52:53], v[20:21], v[20:21]
	v_mul_f64_e32 v[46:47], v[42:43], v[42:43]
	v_add_f64_e32 v[60:61], v[42:43], v[42:43]
	v_and_b32_e32 v49, -8, v11
	v_and_b32_e32 v51, -8, v45
	s_delay_alu instid0(VALU_DEP_2) | instskip(SKIP_1) | instid1(VALU_DEP_3)
	v_add_f64_e64 v[62:63], v[10:11], -v[48:49]
	v_add_f64_e32 v[66:67], v[48:49], v[48:49]
	v_add_f64_e64 v[64:65], v[44:45], -v[50:51]
	v_add_f64_e32 v[70:71], v[50:51], v[50:51]
	v_mul_f64_e32 v[10:11], v[20:21], v[20:21]
	v_mul_f64_e32 v[58:59], v[52:53], v[48:49]
	;; [unrolled: 1-line block ×11, first 2 shown]
.LBB179_232:                            ;   Parent Loop BB179_145 Depth=1
                                        ; =>  This Inner Loop Header: Depth=2
	v_cmp_nlt_f64_e32 vcc_lo, v[10:11], v[46:47]
	v_dual_cndmask_b32 v65, v11, v47 :: v_dual_cndmask_b32 v64, v10, v46
	v_dual_cndmask_b32 v11, v47, v11 :: v_dual_cndmask_b32 v10, v46, v10
	s_delay_alu instid0(VALU_DEP_2) | instskip(NEXT) | instid1(VALU_DEP_1)
	v_cmp_nlt_f64_e64 s5, v[64:65], v[58:59]
	v_dual_cndmask_b32 v67, v65, v59, s5 :: v_dual_cndmask_b32 v66, v64, v58, s5
	v_dual_cndmask_b32 v47, v59, v65, s5 :: v_dual_cndmask_b32 v46, v58, v64, s5
	s_and_b32 s5, vcc_lo, s5
	s_delay_alu instid0(VALU_DEP_2) | instskip(NEXT) | instid1(VALU_DEP_1)
	v_cmp_nlt_f64_e64 s6, v[66:67], v[44:45]
	v_dual_cndmask_b32 v71, v67, v45, s6 :: v_dual_cndmask_b32 v70, v66, v44, s6
	v_dual_cndmask_b32 v59, v45, v67, s6 :: v_dual_cndmask_b32 v58, v44, v66, s6
	s_delay_alu instid0(VALU_DEP_2) | instskip(NEXT) | instid1(VALU_DEP_1)
	v_cmp_nlt_f64_e64 s7, v[70:71], v[56:57]
	v_dual_cndmask_b32 v73, v71, v57, s7 :: v_dual_cndmask_b32 v72, v70, v56, s7
	v_dual_cndmask_b32 v45, v57, v71, s7 :: v_dual_cndmask_b32 v44, v56, v70, s7
	s_and_b32 s6, s6, s7
	s_delay_alu instid0(VALU_DEP_2) | instskip(NEXT) | instid1(VALU_DEP_1)
	v_cmp_nlt_f64_e64 s8, v[72:73], v[42:43]
	v_dual_cndmask_b32 v75, v73, v43, s8 :: v_dual_cndmask_b32 v74, v72, v42, s8
	v_dual_cndmask_b32 v57, v43, v73, s8 :: v_dual_cndmask_b32 v56, v42, v72, s8
	s_delay_alu instid0(VALU_DEP_2) | instskip(NEXT) | instid1(VALU_DEP_1)
	v_cmp_nlt_f64_e64 s9, v[74:75], v[54:55]
	v_dual_cndmask_b32 v77, v75, v55, s9 :: v_dual_cndmask_b32 v76, v74, v54, s9
	s_and_b32 s7, s8, s9
	v_dual_cndmask_b32 v43, v55, v75, s9 :: v_dual_cndmask_b32 v42, v54, v74, s9
	s_delay_alu instid0(VALU_DEP_2) | instskip(NEXT) | instid1(VALU_DEP_1)
	v_cmp_nlt_f64_e64 s10, v[76:77], v[52:53]
	v_dual_cndmask_b32 v79, v77, v53, s10 :: v_dual_cndmask_b32 v78, v76, v52, s10
	s_and_b32 s7, s7, s10
	;; [unrolled: 5-line block ×6, first 2 shown]
	v_dual_cndmask_b32 v61, v63, v85, s14 :: v_dual_cndmask_b32 v60, v62, v84, s14
	s_and_b32 s6, s7, s6
	s_delay_alu instid0(VALU_DEP_2) | instskip(SKIP_1) | instid1(SALU_CYCLE_1)
	v_mov_b64_e32 v[62:63], v[64:65]
	s_and_b32 s5, s6, s5
	s_and_b32 s5, exec_lo, s5
	s_delay_alu instid0(SALU_CYCLE_1) | instskip(NEXT) | instid1(SALU_CYCLE_1)
	s_or_b32 s58, s5, s58
	s_and_not1_b32 exec_lo, exec_lo, s58
	s_cbranch_execnz .LBB179_232
; %bb.233:                              ;   in Loop: Header=BB179_145 Depth=1
	s_or_b32 exec_lo, exec_lo, s58
	v_add_f64_e32 v[10:11], -1.0, v[10:11]
	v_cmp_eq_f64_e64 s5, 0, v[8:9]
	v_cmp_class_f64_e64 s9, v[6:7], 0x204
	v_cmp_class_f64_e64 s8, v[8:9], 0x204
	s_delay_alu instid0(VALU_DEP_4) | instskip(NEXT) | instid1(VALU_DEP_1)
	v_add_f64_e32 v[10:11], v[10:11], v[46:47]
	v_add_f64_e32 v[10:11], v[10:11], v[58:59]
	s_delay_alu instid0(VALU_DEP_1) | instskip(NEXT) | instid1(VALU_DEP_1)
	v_add_f64_e32 v[10:11], v[10:11], v[44:45]
	v_add_f64_e32 v[10:11], v[10:11], v[56:57]
	s_delay_alu instid0(VALU_DEP_1) | instskip(NEXT) | instid1(VALU_DEP_1)
	;; [unrolled: 3-line block ×5, first 2 shown]
	v_add_f64_e32 v[44:45], v[64:65], v[10:11]
	v_add_f64_e32 v[10:11], 1.0, v[44:45]
	s_delay_alu instid0(VALU_DEP_1) | instskip(SKIP_2) | instid1(VALU_DEP_3)
	v_frexp_mant_f64_e32 v[42:43], v[10:11]
	v_frexp_exp_i32_f64_e32 v12, v[10:11]
	v_add_f64_e32 v[46:47], -1.0, v[10:11]
	v_cmp_gt_f64_e32 vcc_lo, s[28:29], v[42:43]
	s_delay_alu instid0(VALU_DEP_2) | instskip(SKIP_2) | instid1(VALU_DEP_1)
	v_add_f64_e64 v[42:43], v[46:47], -v[10:11]
	v_add_f64_e64 v[46:47], v[44:45], -v[46:47]
	v_subrev_co_ci_u32_e64 v12, null, 0, v12, vcc_lo
	v_dual_add_f64 v[42:43], 1.0, v[42:43] :: v_dual_sub_nc_u32 v16, 0, v12
	s_delay_alu instid0(VALU_DEP_1) | instskip(NEXT) | instid1(VALU_DEP_2)
	v_ldexp_f64 v[10:11], v[10:11], v16
	v_add_f64_e32 v[42:43], v[46:47], v[42:43]
	s_delay_alu instid0(VALU_DEP_2) | instskip(SKIP_1) | instid1(VALU_DEP_3)
	v_add_f64_e32 v[48:49], 1.0, v[10:11]
	v_add_f64_e32 v[54:55], -1.0, v[10:11]
	v_ldexp_f64 v[42:43], v[42:43], v16
	s_delay_alu instid0(VALU_DEP_3) | instskip(NEXT) | instid1(VALU_DEP_3)
	v_add_f64_e32 v[46:47], -1.0, v[48:49]
	v_add_f64_e32 v[56:57], 1.0, v[54:55]
	s_delay_alu instid0(VALU_DEP_2) | instskip(NEXT) | instid1(VALU_DEP_2)
	v_add_f64_e64 v[46:47], v[10:11], -v[46:47]
	v_add_f64_e64 v[10:11], v[10:11], -v[56:57]
	s_delay_alu instid0(VALU_DEP_2) | instskip(NEXT) | instid1(VALU_DEP_2)
	v_add_f64_e32 v[46:47], v[42:43], v[46:47]
	v_add_f64_e32 v[10:11], v[42:43], v[10:11]
	s_delay_alu instid0(VALU_DEP_2) | instskip(NEXT) | instid1(VALU_DEP_2)
	v_add_f64_e32 v[50:51], v[48:49], v[46:47]
	v_add_f64_e32 v[56:57], v[54:55], v[10:11]
	s_delay_alu instid0(VALU_DEP_2) | instskip(SKIP_1) | instid1(VALU_DEP_2)
	v_rcp_f64_e32 v[52:53], v[50:51]
	v_add_f64_e64 v[48:49], v[50:51], -v[48:49]
	v_add_f64_e64 v[54:55], v[56:57], -v[54:55]
	s_delay_alu instid0(VALU_DEP_2) | instskip(NEXT) | instid1(VALU_DEP_2)
	v_add_f64_e64 v[46:47], v[46:47], -v[48:49]
	v_add_f64_e64 v[10:11], v[10:11], -v[54:55]
	s_delay_alu instid0(TRANS32_DEP_1) | instskip(NEXT) | instid1(VALU_DEP_1)
	v_fma_f64 v[58:59], -v[50:51], v[52:53], 1.0
	v_fmac_f64_e32 v[52:53], v[58:59], v[52:53]
	s_delay_alu instid0(VALU_DEP_1) | instskip(NEXT) | instid1(VALU_DEP_1)
	v_fma_f64 v[42:43], -v[50:51], v[52:53], 1.0
	v_fmac_f64_e32 v[52:53], v[42:43], v[52:53]
	s_delay_alu instid0(VALU_DEP_1) | instskip(NEXT) | instid1(VALU_DEP_1)
	v_mul_f64_e32 v[42:43], v[56:57], v[52:53]
	v_mul_f64_e32 v[58:59], v[50:51], v[42:43]
	s_delay_alu instid0(VALU_DEP_1) | instskip(NEXT) | instid1(VALU_DEP_1)
	v_fma_f64 v[48:49], v[42:43], v[50:51], -v[58:59]
	v_fmac_f64_e32 v[48:49], v[42:43], v[46:47]
	s_delay_alu instid0(VALU_DEP_1) | instskip(NEXT) | instid1(VALU_DEP_1)
	v_add_f64_e32 v[60:61], v[58:59], v[48:49]
	v_add_f64_e64 v[62:63], v[56:57], -v[60:61]
	v_add_f64_e64 v[54:55], v[60:61], -v[58:59]
	s_delay_alu instid0(VALU_DEP_2) | instskip(NEXT) | instid1(VALU_DEP_2)
	v_add_f64_e64 v[56:57], v[56:57], -v[62:63]
	v_add_f64_e64 v[48:49], v[54:55], -v[48:49]
	s_delay_alu instid0(VALU_DEP_2) | instskip(NEXT) | instid1(VALU_DEP_1)
	v_add_f64_e64 v[56:57], v[56:57], -v[60:61]
	v_add_f64_e32 v[10:11], v[10:11], v[56:57]
	s_delay_alu instid0(VALU_DEP_1) | instskip(NEXT) | instid1(VALU_DEP_1)
	v_add_f64_e32 v[10:11], v[48:49], v[10:11]
	v_add_f64_e32 v[48:49], v[62:63], v[10:11]
	s_delay_alu instid0(VALU_DEP_1) | instskip(SKIP_1) | instid1(VALU_DEP_2)
	v_mul_f64_e32 v[54:55], v[52:53], v[48:49]
	v_add_f64_e64 v[60:61], v[62:63], -v[48:49]
	v_mul_f64_e32 v[56:57], v[50:51], v[54:55]
	s_delay_alu instid0(VALU_DEP_2) | instskip(NEXT) | instid1(VALU_DEP_2)
	v_add_f64_e32 v[10:11], v[10:11], v[60:61]
	v_fma_f64 v[50:51], v[54:55], v[50:51], -v[56:57]
	s_delay_alu instid0(VALU_DEP_1) | instskip(NEXT) | instid1(VALU_DEP_1)
	v_fmac_f64_e32 v[50:51], v[54:55], v[46:47]
	v_add_f64_e32 v[46:47], v[56:57], v[50:51]
	s_delay_alu instid0(VALU_DEP_1) | instskip(SKIP_1) | instid1(VALU_DEP_2)
	v_add_f64_e64 v[58:59], v[48:49], -v[46:47]
	v_add_f64_e64 v[56:57], v[46:47], -v[56:57]
	;; [unrolled: 1-line block ×3, first 2 shown]
	s_delay_alu instid0(VALU_DEP_1) | instskip(NEXT) | instid1(VALU_DEP_3)
	v_add_f64_e64 v[46:47], v[48:49], -v[46:47]
	v_add_f64_e64 v[48:49], v[56:57], -v[50:51]
	v_max_num_f64_e64 v[50:51], |v[6:7]|, |v[6:7]|
	s_delay_alu instid0(VALU_DEP_3) | instskip(SKIP_1) | instid1(VALU_DEP_2)
	v_add_f64_e32 v[10:11], v[10:11], v[46:47]
	v_add_f64_e32 v[46:47], v[42:43], v[54:55]
	;; [unrolled: 1-line block ×3, first 2 shown]
	s_delay_alu instid0(VALU_DEP_2) | instskip(SKIP_1) | instid1(VALU_DEP_3)
	v_add_f64_e64 v[42:43], v[46:47], -v[42:43]
	v_max_num_f64_e64 v[48:49], |v[8:9]|, |v[8:9]|
	v_add_f64_e32 v[10:11], v[58:59], v[10:11]
	s_delay_alu instid0(VALU_DEP_3) | instskip(NEXT) | instid1(VALU_DEP_2)
	v_add_f64_e64 v[42:43], v[54:55], -v[42:43]
	v_mul_f64_e32 v[10:11], v[52:53], v[10:11]
	s_delay_alu instid0(VALU_DEP_1) | instskip(SKIP_2) | instid1(VALU_DEP_3)
	v_add_f64_e32 v[10:11], v[42:43], v[10:11]
	v_max_num_f64_e32 v[42:43], v[50:51], v[48:49]
	v_min_num_f64_e32 v[48:49], v[50:51], v[48:49]
	v_add_f64_e32 v[50:51], v[46:47], v[10:11]
	s_delay_alu instid0(VALU_DEP_2) | instskip(NEXT) | instid1(VALU_DEP_2)
	v_div_scale_f64 v[52:53], null, v[42:43], v[42:43], v[48:49]
	v_mul_f64_e32 v[54:55], v[50:51], v[50:51]
	v_add_f64_e64 v[46:47], v[50:51], -v[46:47]
	s_delay_alu instid0(VALU_DEP_3) | instskip(NEXT) | instid1(VALU_DEP_2)
	v_rcp_f64_e32 v[56:57], v[52:53]
	v_fmamk_f64 v[58:59], v[54:55], 0x3fc3ab76bf559e2b, v[24:25]
	v_mul_f64_e32 v[60:61], v[50:51], v[54:55]
	s_delay_alu instid0(VALU_DEP_3) | instskip(NEXT) | instid1(VALU_DEP_3)
	v_add_f64_e64 v[10:11], v[10:11], -v[46:47]
	v_fmaak_f64 v[58:59], v[54:55], v[58:59], 0x3fc7474dd7f4df2e
	s_delay_alu instid0(TRANS32_DEP_1) | instskip(NEXT) | instid1(VALU_DEP_2)
	v_fma_f64 v[62:63], -v[52:53], v[56:57], 1.0
	v_fmaak_f64 v[58:59], v[54:55], v[58:59], 0x3fcc71c016291751
	s_delay_alu instid0(VALU_DEP_1) | instskip(NEXT) | instid1(VALU_DEP_1)
	v_fmaak_f64 v[58:59], v[54:55], v[58:59], 0x3fd249249b27acf1
	v_fmaak_f64 v[58:59], v[54:55], v[58:59], 0x3fd99999998ef7b6
	v_ldexp_f64 v[10:11], v[10:11], 1
	s_delay_alu instid0(VALU_DEP_2) | instskip(SKIP_2) | instid1(VALU_DEP_3)
	v_fmaak_f64 v[54:55], v[54:55], v[58:59], 0x3fe5555555555780
	v_ldexp_f64 v[58:59], v[50:51], 1
	v_fmac_f64_e32 v[56:57], v[56:57], v[62:63]
	v_mul_f64_e32 v[54:55], v[60:61], v[54:55]
	v_cvt_f64_i32_e32 v[60:61], v12
	v_ashrrev_i32_e32 v12, 31, v7
	s_delay_alu instid0(VALU_DEP_1) | instskip(SKIP_3) | instid1(VALU_DEP_3)
	v_and_b32_e32 v21, 0x54442d18, v12
	v_fma_f64 v[62:63], -v[52:53], v[56:57], 1.0
	v_add_f64_e32 v[50:51], v[58:59], v[54:55]
	v_mul_f64_e32 v[64:65], 0x3fe62e42fefa39ef, v[60:61]
	v_fmac_f64_e32 v[56:57], v[56:57], v[62:63]
	s_delay_alu instid0(VALU_DEP_3) | instskip(SKIP_1) | instid1(VALU_DEP_4)
	v_add_f64_e64 v[46:47], v[50:51], -v[58:59]
	v_div_scale_f64 v[58:59], vcc_lo, v[48:49], v[42:43], v[48:49]
	v_fma_f64 v[62:63], v[60:61], s[30:31], -v[64:65]
	s_delay_alu instid0(VALU_DEP_3) | instskip(NEXT) | instid1(VALU_DEP_3)
	v_add_f64_e64 v[46:47], v[54:55], -v[46:47]
	v_mul_f64_e32 v[54:55], v[58:59], v[56:57]
	s_delay_alu instid0(VALU_DEP_3) | instskip(NEXT) | instid1(VALU_DEP_3)
	v_fmac_f64_e32 v[62:63], 0x3c7abc9e3b39803f, v[60:61]
	v_add_f64_e32 v[10:11], v[10:11], v[46:47]
	s_delay_alu instid0(VALU_DEP_3) | instskip(NEXT) | instid1(VALU_DEP_3)
	v_fma_f64 v[46:47], -v[52:53], v[54:55], v[58:59]
	v_add_f64_e32 v[52:53], v[64:65], v[62:63]
	s_delay_alu instid0(VALU_DEP_3) | instskip(NEXT) | instid1(VALU_DEP_3)
	v_add_f64_e32 v[58:59], v[50:51], v[10:11]
	v_div_fmas_f64 v[46:47], v[46:47], v[56:57], v[54:55]
	v_cmp_gt_i32_e32 vcc_lo, 0, v7
	s_delay_alu instid0(VALU_DEP_4) | instskip(SKIP_3) | instid1(VALU_DEP_1)
	v_add_f64_e64 v[56:57], v[52:53], -v[64:65]
	v_and_b32_e32 v7, 0x400921fb, v12
	v_cndmask_b32_e32 v16, 0x54442d18, v68, vcc_lo
	v_cndmask_b32_e32 v6, 0x3fe921fb, v69, vcc_lo
	v_bfi_b32 v6, 0x7fffffff, v6, v9
	v_add_f64_e32 v[54:55], v[52:53], v[58:59]
	v_div_fixup_f64 v[42:43], v[46:47], v[42:43], v[48:49]
	v_add_f64_e64 v[50:51], v[58:59], -v[50:51]
	v_add_f64_e64 v[56:57], v[62:63], -v[56:57]
	s_delay_alu instid0(VALU_DEP_4) | instskip(NEXT) | instid1(VALU_DEP_4)
	v_add_f64_e64 v[46:47], v[54:55], -v[52:53]
	v_mul_f64_e32 v[48:49], v[42:43], v[42:43]
	s_delay_alu instid0(VALU_DEP_4) | instskip(NEXT) | instid1(VALU_DEP_3)
	v_add_f64_e64 v[10:11], v[10:11], -v[50:51]
	v_add_f64_e64 v[60:61], v[54:55], -v[46:47]
	s_delay_alu instid0(VALU_DEP_3) | instskip(SKIP_1) | instid1(VALU_DEP_4)
	v_fmamk_f64 v[64:65], v[48:49], 0x3eeba404b5e68a13, v[26:27]
	v_add_f64_e64 v[46:47], v[58:59], -v[46:47]
	v_add_f64_e32 v[58:59], v[56:57], v[10:11]
	s_delay_alu instid0(VALU_DEP_3) | instskip(SKIP_1) | instid1(VALU_DEP_2)
	v_fmaak_f64 v[64:65], v[48:49], v[64:65], 0x3f4b2bb069efb384
	v_add_f64_e64 v[50:51], v[52:53], -v[60:61]
	v_fmaak_f64 v[52:53], v[48:49], v[64:65], 0xbf67952daf56de9b
	s_delay_alu instid0(VALU_DEP_1) | instskip(NEXT) | instid1(VALU_DEP_1)
	v_fmaak_f64 v[52:53], v[48:49], v[52:53], 0x3f7d6d43a595c56f
	v_fmaak_f64 v[52:53], v[48:49], v[52:53], 0xbf8c6ea4a57d9582
	s_delay_alu instid0(VALU_DEP_1) | instskip(NEXT) | instid1(VALU_DEP_1)
	v_fmaak_f64 v[52:53], v[48:49], v[52:53], 0x3f967e295f08b19f
	v_fmaak_f64 v[52:53], v[48:49], v[52:53], 0xbf9e9ae6fc27006a
	v_add_f64_e32 v[46:47], v[46:47], v[50:51]
	s_delay_alu instid0(VALU_DEP_2) | instskip(SKIP_1) | instid1(VALU_DEP_2)
	v_fmaak_f64 v[50:51], v[48:49], v[52:53], 0x3fa2c15b5711927a
	v_add_f64_e64 v[52:53], v[58:59], -v[56:57]
	v_fmaak_f64 v[50:51], v[48:49], v[50:51], 0xbfa59976e82d3ff0
	s_delay_alu instid0(VALU_DEP_1) | instskip(NEXT) | instid1(VALU_DEP_1)
	v_fmaak_f64 v[50:51], v[48:49], v[50:51], 0x3fa82d5d6ef28734
	v_fmaak_f64 v[50:51], v[48:49], v[50:51], 0xbfaae5ce6a214619
	s_delay_alu instid0(VALU_DEP_1) | instskip(SKIP_3) | instid1(VALU_DEP_4)
	v_fmaak_f64 v[50:51], v[48:49], v[50:51], 0x3fae1bb48427b883
	v_add_f64_e32 v[46:47], v[58:59], v[46:47]
	v_add_f64_e64 v[58:59], v[58:59], -v[52:53]
	v_add_f64_e64 v[10:11], v[10:11], -v[52:53]
	v_fmaak_f64 v[50:51], v[48:49], v[50:51], 0xbfb110e48b207f05
	s_delay_alu instid0(VALU_DEP_1) | instskip(NEXT) | instid1(VALU_DEP_1)
	v_fmaak_f64 v[50:51], v[48:49], v[50:51], 0x3fb3b13657b87036
	v_fmaak_f64 v[50:51], v[48:49], v[50:51], 0xbfb745d119378e4f
	s_delay_alu instid0(VALU_DEP_1) | instskip(SKIP_1) | instid1(VALU_DEP_2)
	v_fmaak_f64 v[50:51], v[48:49], v[50:51], 0x3fbc71c717e1913c
	v_add_f64_e32 v[60:61], v[54:55], v[46:47]
	v_fmaak_f64 v[50:51], v[48:49], v[50:51], 0xbfc2492492376b7d
	s_delay_alu instid0(VALU_DEP_1) | instskip(NEXT) | instid1(VALU_DEP_1)
	v_fmaak_f64 v[50:51], v[48:49], v[50:51], 0x3fc99999999952cc
	v_fmaak_f64 v[50:51], v[48:49], v[50:51], 0xbfd5555555555523
	s_delay_alu instid0(VALU_DEP_1) | instskip(SKIP_2) | instid1(VALU_DEP_3)
	v_mul_f64_e32 v[48:49], v[48:49], v[50:51]
	v_add_f64_e64 v[50:51], v[56:57], -v[58:59]
	v_add_f64_e64 v[52:53], v[60:61], -v[54:55]
	v_fmac_f64_e32 v[42:43], v[42:43], v[48:49]
	s_delay_alu instid0(VALU_DEP_3) | instskip(NEXT) | instid1(VALU_DEP_3)
	v_add_f64_e32 v[10:11], v[10:11], v[50:51]
	v_add_f64_e64 v[46:47], v[46:47], -v[52:53]
	s_delay_alu instid0(VALU_DEP_3) | instskip(NEXT) | instid1(VALU_DEP_2)
	v_add_f64_e64 v[48:49], -v[42:43], s[38:39]
	v_add_f64_e32 v[10:11], v[10:11], v[46:47]
	s_delay_alu instid0(VALU_DEP_2) | instskip(SKIP_2) | instid1(VALU_DEP_3)
	v_dual_cndmask_b32 v43, v43, v49, s4 :: v_dual_cndmask_b32 v42, v42, v48, s4
	v_cmp_nge_f64_e64 s6, -1.0, v[44:45]
	v_cmp_neq_f64_e64 s7, 0x7ff00000, v[44:45]
	v_add_f64_e64 v[46:47], -v[42:43], s[40:41]
	v_add_f64_e32 v[10:11], v[60:61], v[10:11]
	s_delay_alu instid0(VALU_DEP_2) | instskip(SKIP_1) | instid1(VALU_DEP_2)
	v_dual_cndmask_b32 v42, v42, v46, vcc_lo :: v_dual_cndmask_b32 v12, v43, v47, vcc_lo
	v_cmp_ngt_f64_e32 vcc_lo, -1.0, v[44:45]
	v_dual_mul_f64 v[10:11], 0.5, v[10:11] :: v_dual_cndmask_b32 v21, v42, v21, s5
	s_delay_alu instid0(VALU_DEP_3)
	v_cndmask_b32_e64 v7, v12, v7, s5
	s_and_b32 s5, s6, s7
	s_delay_alu instid0(VALU_DEP_2) | instid1(SALU_CYCLE_1)
	v_cndmask_b32_e64 v10, 0, v10, s5
	v_cmp_neq_f64_e64 s5, -1.0, v[44:45]
	s_delay_alu instid0(VALU_DEP_4) | instskip(NEXT) | instid1(VALU_DEP_1)
	v_cndmask_b32_e64 v11, 0x7ff00000, v11, s7
	v_cndmask_b32_e32 v11, 0x7ff80000, v11, vcc_lo
	s_and_b32 vcc_lo, s8, s9
	v_dual_cndmask_b32 v43, v7, v6 :: v_dual_cndmask_b32 v42, v21, v16
	s_delay_alu instid0(VALU_DEP_2)
	v_cndmask_b32_e64 v11, 0xfff00000, v11, s5
.LBB179_234:                            ;   in Loop: Header=BB179_145 Depth=1
	s_or_b32 exec_lo, exec_lo, s57
.LBB179_235:                            ;   in Loop: Header=BB179_145 Depth=1
	s_delay_alu instid0(SALU_CYCLE_1)
	s_or_b32 exec_lo, exec_lo, s56
.LBB179_236:                            ;   in Loop: Header=BB179_145 Depth=1
	s_and_not1_saveexec_b32 s7, s55
	s_cbranch_execz .LBB179_238
; %bb.237:                              ;   in Loop: Header=BB179_145 Depth=1
	v_max_num_f64_e64 v[10:11], |v[8:9]|, |v[8:9]|
	v_max_num_f64_e64 v[42:43], |v[6:7]|, |v[6:7]|
	v_cmp_class_f64_e64 s8, v[6:7], 0x204
	v_cmp_class_f64_e64 s9, v[8:9], 0x204
	v_cmp_eq_f64_e64 s6, 0, v[8:9]
	s_delay_alu instid0(VALU_DEP_4) | instskip(SKIP_2) | instid1(VALU_DEP_2)
	v_max_num_f64_e32 v[44:45], v[42:43], v[10:11]
	v_min_num_f64_e32 v[10:11], v[42:43], v[10:11]
	s_or_b32 s5, s9, s8
	v_frexp_exp_i32_f64_e32 v12, v[44:45]
	s_delay_alu instid0(VALU_DEP_1) | instskip(NEXT) | instid1(VALU_DEP_1)
	v_sub_nc_u32_e32 v16, 0, v12
	v_ldexp_f64 v[46:47], |v[8:9]|, v16
	v_ldexp_f64 v[48:49], |v[6:7]|, v16
	s_delay_alu instid0(VALU_DEP_2) | instskip(NEXT) | instid1(VALU_DEP_1)
	v_mul_f64_e32 v[46:47], v[46:47], v[46:47]
	v_fmac_f64_e32 v[46:47], v[48:49], v[48:49]
	s_delay_alu instid0(VALU_DEP_1) | instskip(SKIP_1) | instid1(TRANS32_DEP_1)
	v_rsq_f64_e32 v[48:49], v[46:47]
	v_cmp_eq_f64_e32 vcc_lo, 0, v[46:47]
	v_mul_f64_e32 v[50:51], v[46:47], v[48:49]
	v_mul_f64_e32 v[48:49], 0.5, v[48:49]
	s_delay_alu instid0(VALU_DEP_1) | instskip(NEXT) | instid1(VALU_DEP_1)
	v_fma_f64 v[52:53], -v[48:49], v[50:51], 0.5
	v_fmac_f64_e32 v[50:51], v[50:51], v[52:53]
	v_fmac_f64_e32 v[48:49], v[48:49], v[52:53]
	s_delay_alu instid0(VALU_DEP_2) | instskip(NEXT) | instid1(VALU_DEP_1)
	v_fma_f64 v[52:53], -v[50:51], v[50:51], v[46:47]
	v_fmac_f64_e32 v[50:51], v[52:53], v[48:49]
	s_delay_alu instid0(VALU_DEP_1) | instskip(NEXT) | instid1(VALU_DEP_1)
	v_dual_cndmask_b32 v47, v51, v47 :: v_dual_cndmask_b32 v46, v50, v46
	v_ldexp_f64 v[46:47], v[46:47], v12
	v_ashrrev_i32_e32 v12, 31, v7
	s_delay_alu instid0(VALU_DEP_1) | instskip(SKIP_1) | instid1(VALU_DEP_4)
	v_and_b32_e32 v21, 0x54442d18, v12
	v_and_b32_e32 v12, 0x400921fb, v12
	v_cndmask_b32_e64 v47, v47, 0x7ff00000, s5
	v_cndmask_b32_e64 v46, v46, 0, s5
	s_delay_alu instid0(VALU_DEP_1) | instskip(SKIP_1) | instid1(VALU_DEP_2)
	v_frexp_mant_f64_e32 v[48:49], v[46:47]
	v_cmp_class_f64_e64 s5, v[46:47], 0x204
	v_cmp_gt_f64_e32 vcc_lo, s[28:29], v[48:49]
	v_cndmask_b32_e64 v6, 0, 1, vcc_lo
	s_delay_alu instid0(VALU_DEP_1) | instskip(SKIP_1) | instid1(VALU_DEP_2)
	v_ldexp_f64 v[48:49], v[48:49], v6
	v_frexp_exp_i32_f64_e32 v6, v[46:47]
	v_add_f64_e32 v[50:51], 1.0, v[48:49]
	v_add_f64_e32 v[56:57], -1.0, v[48:49]
	s_delay_alu instid0(VALU_DEP_3) | instskip(SKIP_1) | instid1(VALU_DEP_4)
	v_subrev_co_ci_u32_e64 v6, null, 0, v6, vcc_lo
	v_div_scale_f64 v[64:65], vcc_lo, v[10:11], v[44:45], v[10:11]
	v_rcp_f64_e32 v[52:53], v[50:51]
	v_add_f64_e32 v[58:59], -1.0, v[50:51]
	s_delay_alu instid0(VALU_DEP_1) | instskip(NEXT) | instid1(TRANS32_DEP_1)
	v_add_f64_e64 v[48:49], v[48:49], -v[58:59]
	v_fma_f64 v[54:55], -v[50:51], v[52:53], 1.0
	s_delay_alu instid0(VALU_DEP_1) | instskip(NEXT) | instid1(VALU_DEP_1)
	v_fmac_f64_e32 v[52:53], v[54:55], v[52:53]
	v_fma_f64 v[54:55], -v[50:51], v[52:53], 1.0
	s_delay_alu instid0(VALU_DEP_1) | instskip(NEXT) | instid1(VALU_DEP_1)
	v_fmac_f64_e32 v[52:53], v[54:55], v[52:53]
	v_mul_f64_e32 v[54:55], v[56:57], v[52:53]
	s_delay_alu instid0(VALU_DEP_1) | instskip(NEXT) | instid1(VALU_DEP_1)
	v_mul_f64_e32 v[60:61], v[50:51], v[54:55]
	v_fma_f64 v[50:51], v[54:55], v[50:51], -v[60:61]
	s_delay_alu instid0(VALU_DEP_1) | instskip(NEXT) | instid1(VALU_DEP_1)
	v_fmac_f64_e32 v[50:51], v[54:55], v[48:49]
	v_add_f64_e32 v[48:49], v[60:61], v[50:51]
	s_delay_alu instid0(VALU_DEP_1) | instskip(SKIP_1) | instid1(VALU_DEP_2)
	v_add_f64_e64 v[58:59], v[56:57], -v[48:49]
	v_add_f64_e64 v[60:61], v[48:49], -v[60:61]
	;; [unrolled: 1-line block ×3, first 2 shown]
	s_delay_alu instid0(VALU_DEP_2) | instskip(NEXT) | instid1(VALU_DEP_2)
	v_add_f64_e64 v[50:51], v[60:61], -v[50:51]
	v_add_f64_e64 v[48:49], v[56:57], -v[48:49]
	s_delay_alu instid0(VALU_DEP_1) | instskip(NEXT) | instid1(VALU_DEP_1)
	v_add_f64_e32 v[48:49], v[50:51], v[48:49]
	v_add_f64_e32 v[48:49], v[58:59], v[48:49]
	s_delay_alu instid0(VALU_DEP_1) | instskip(SKIP_1) | instid1(VALU_DEP_2)
	v_mul_f64_e32 v[42:43], v[52:53], v[48:49]
	v_div_scale_f64 v[48:49], null, v[44:45], v[44:45], v[10:11]
	v_add_f64_e32 v[50:51], v[54:55], v[42:43]
	s_delay_alu instid0(VALU_DEP_2) | instskip(NEXT) | instid1(VALU_DEP_1)
	v_rcp_f64_e32 v[52:53], v[48:49]
	v_mul_f64_e32 v[56:57], v[50:51], v[50:51]
	s_delay_alu instid0(TRANS32_DEP_1) | instskip(NEXT) | instid1(VALU_DEP_2)
	v_fma_f64 v[60:61], -v[48:49], v[52:53], 1.0
	v_fmamk_f64 v[58:59], v[56:57], 0x3fc3ab76bf559e2b, v[24:25]
	v_mul_f64_e32 v[62:63], v[50:51], v[56:57]
	s_delay_alu instid0(VALU_DEP_3) | instskip(NEXT) | instid1(VALU_DEP_3)
	v_fmac_f64_e32 v[52:53], v[52:53], v[60:61]
	v_fmaak_f64 v[58:59], v[56:57], v[58:59], 0x3fc7474dd7f4df2e
	s_delay_alu instid0(VALU_DEP_1) | instskip(NEXT) | instid1(VALU_DEP_1)
	v_fmaak_f64 v[58:59], v[56:57], v[58:59], 0x3fcc71c016291751
	v_fmaak_f64 v[58:59], v[56:57], v[58:59], 0x3fd249249b27acf1
	s_delay_alu instid0(VALU_DEP_1) | instskip(NEXT) | instid1(VALU_DEP_1)
	v_fmaak_f64 v[58:59], v[56:57], v[58:59], 0x3fd99999998ef7b6
	v_fmaak_f64 v[56:57], v[56:57], v[58:59], 0x3fe5555555555780
	v_ldexp_f64 v[58:59], v[50:51], 1
	v_add_f64_e64 v[50:51], v[50:51], -v[54:55]
	v_fma_f64 v[60:61], -v[48:49], v[52:53], 1.0
	s_delay_alu instid0(VALU_DEP_4) | instskip(SKIP_1) | instid1(VALU_DEP_4)
	v_mul_f64_e32 v[56:57], v[62:63], v[56:57]
	v_cvt_f64_i32_e32 v[62:63], v6
	v_add_f64_e64 v[42:43], v[42:43], -v[50:51]
	s_delay_alu instid0(VALU_DEP_4) | instskip(NEXT) | instid1(VALU_DEP_4)
	v_fmac_f64_e32 v[52:53], v[52:53], v[60:61]
	v_add_f64_e32 v[54:55], v[58:59], v[56:57]
	s_delay_alu instid0(VALU_DEP_4) | instskip(NEXT) | instid1(VALU_DEP_4)
	v_mul_f64_e32 v[60:61], 0x3fe62e42fefa39ef, v[62:63]
	v_ldexp_f64 v[42:43], v[42:43], 1
	s_delay_alu instid0(VALU_DEP_3) | instskip(SKIP_1) | instid1(VALU_DEP_4)
	v_add_f64_e64 v[50:51], v[54:55], -v[58:59]
	v_mul_f64_e32 v[58:59], v[64:65], v[52:53]
	v_fma_f64 v[66:67], v[62:63], s[30:31], -v[60:61]
	s_delay_alu instid0(VALU_DEP_3) | instskip(NEXT) | instid1(VALU_DEP_3)
	v_add_f64_e64 v[50:51], v[56:57], -v[50:51]
	v_fma_f64 v[48:49], -v[48:49], v[58:59], v[64:65]
	s_delay_alu instid0(VALU_DEP_3) | instskip(NEXT) | instid1(VALU_DEP_3)
	v_fmac_f64_e32 v[66:67], 0x3c7abc9e3b39803f, v[62:63]
	v_add_f64_e32 v[42:43], v[42:43], v[50:51]
	s_delay_alu instid0(VALU_DEP_3) | instskip(NEXT) | instid1(VALU_DEP_3)
	v_div_fmas_f64 v[48:49], v[48:49], v[52:53], v[58:59]
	v_add_f64_e32 v[50:51], v[60:61], v[66:67]
	v_cmp_gt_i32_e32 vcc_lo, 0, v7
	v_cndmask_b32_e32 v16, 0x54442d18, v68, vcc_lo
	v_add_f64_e32 v[52:53], v[54:55], v[42:43]
	v_div_fixup_f64 v[10:11], v[48:49], v[44:45], v[10:11]
	v_add_f64_e64 v[60:61], v[50:51], -v[60:61]
	s_delay_alu instid0(VALU_DEP_3) | instskip(NEXT) | instid1(VALU_DEP_3)
	v_add_f64_e32 v[44:45], v[50:51], v[52:53]
	v_mul_f64_e32 v[48:49], v[10:11], v[10:11]
	v_add_f64_e64 v[54:55], v[52:53], -v[54:55]
	s_delay_alu instid0(VALU_DEP_4) | instskip(NEXT) | instid1(VALU_DEP_4)
	v_add_f64_e64 v[60:61], v[66:67], -v[60:61]
	v_add_f64_e64 v[56:57], v[44:45], -v[50:51]
	s_delay_alu instid0(VALU_DEP_4) | instskip(NEXT) | instid1(VALU_DEP_4)
	v_fmamk_f64 v[58:59], v[48:49], 0x3eeba404b5e68a13, v[26:27]
	v_add_f64_e64 v[42:43], v[42:43], -v[54:55]
	s_delay_alu instid0(VALU_DEP_2) | instskip(NEXT) | instid1(VALU_DEP_1)
	v_fmaak_f64 v[58:59], v[48:49], v[58:59], 0x3f4b2bb069efb384
	v_fmaak_f64 v[58:59], v[48:49], v[58:59], 0xbf67952daf56de9b
	s_delay_alu instid0(VALU_DEP_1) | instskip(NEXT) | instid1(VALU_DEP_1)
	v_fmaak_f64 v[58:59], v[48:49], v[58:59], 0x3f7d6d43a595c56f
	v_fmaak_f64 v[58:59], v[48:49], v[58:59], 0xbf8c6ea4a57d9582
	v_add_f64_e64 v[62:63], v[44:45], -v[56:57]
	v_add_f64_e64 v[52:53], v[52:53], -v[56:57]
	v_add_f64_e32 v[56:57], v[60:61], v[42:43]
	s_delay_alu instid0(VALU_DEP_4) | instskip(NEXT) | instid1(VALU_DEP_1)
	v_fmaak_f64 v[58:59], v[48:49], v[58:59], 0x3f967e295f08b19f
	v_fmaak_f64 v[54:55], v[48:49], v[58:59], 0xbf9e9ae6fc27006a
	s_delay_alu instid0(VALU_DEP_1) | instskip(NEXT) | instid1(VALU_DEP_1)
	v_fmaak_f64 v[54:55], v[48:49], v[54:55], 0x3fa2c15b5711927a
	v_fmaak_f64 v[54:55], v[48:49], v[54:55], 0xbfa59976e82d3ff0
	s_delay_alu instid0(VALU_DEP_1) | instskip(SKIP_1) | instid1(VALU_DEP_2)
	v_fmaak_f64 v[54:55], v[48:49], v[54:55], 0x3fa82d5d6ef28734
	v_add_f64_e64 v[50:51], v[50:51], -v[62:63]
	v_fmaak_f64 v[54:55], v[48:49], v[54:55], 0xbfaae5ce6a214619
	s_delay_alu instid0(VALU_DEP_2) | instskip(NEXT) | instid1(VALU_DEP_2)
	v_add_f64_e32 v[50:51], v[52:53], v[50:51]
	v_fmaak_f64 v[52:53], v[48:49], v[54:55], 0x3fae1bb48427b883
	v_add_f64_e64 v[54:55], v[56:57], -v[60:61]
	s_delay_alu instid0(VALU_DEP_2) | instskip(NEXT) | instid1(VALU_DEP_1)
	v_fmaak_f64 v[52:53], v[48:49], v[52:53], 0xbfb110e48b207f05
	v_fmaak_f64 v[52:53], v[48:49], v[52:53], 0x3fb3b13657b87036
	s_delay_alu instid0(VALU_DEP_1) | instskip(NEXT) | instid1(VALU_DEP_1)
	v_fmaak_f64 v[52:53], v[48:49], v[52:53], 0xbfb745d119378e4f
	v_fmaak_f64 v[52:53], v[48:49], v[52:53], 0x3fbc71c717e1913c
	v_add_f64_e32 v[50:51], v[56:57], v[50:51]
	v_add_f64_e64 v[42:43], v[42:43], -v[54:55]
	s_delay_alu instid0(VALU_DEP_3) | instskip(NEXT) | instid1(VALU_DEP_1)
	v_fmaak_f64 v[52:53], v[48:49], v[52:53], 0xbfc2492492376b7d
	v_fmaak_f64 v[52:53], v[48:49], v[52:53], 0x3fc99999999952cc
	s_delay_alu instid0(VALU_DEP_1) | instskip(NEXT) | instid1(VALU_DEP_1)
	v_fmaak_f64 v[52:53], v[48:49], v[52:53], 0xbfd5555555555523
	v_mul_f64_e32 v[48:49], v[48:49], v[52:53]
	v_add_f64_e64 v[52:53], v[56:57], -v[54:55]
	v_add_f64_e32 v[56:57], v[44:45], v[50:51]
	s_delay_alu instid0(VALU_DEP_3) | instskip(NEXT) | instid1(VALU_DEP_3)
	v_fmac_f64_e32 v[10:11], v[10:11], v[48:49]
	v_add_f64_e64 v[48:49], v[60:61], -v[52:53]
	s_delay_alu instid0(VALU_DEP_3) | instskip(NEXT) | instid1(VALU_DEP_3)
	v_add_f64_e64 v[44:45], v[56:57], -v[44:45]
	v_add_f64_e64 v[52:53], -v[10:11], s[38:39]
	s_delay_alu instid0(VALU_DEP_3) | instskip(NEXT) | instid1(VALU_DEP_3)
	v_add_f64_e32 v[42:43], v[42:43], v[48:49]
	v_add_f64_e64 v[44:45], v[50:51], -v[44:45]
	s_delay_alu instid0(VALU_DEP_3) | instskip(NEXT) | instid1(VALU_DEP_2)
	v_dual_cndmask_b32 v11, v11, v53, s4 :: v_dual_cndmask_b32 v10, v10, v52, s4
	v_add_f64_e32 v[42:43], v[42:43], v[44:45]
	s_delay_alu instid0(VALU_DEP_2) | instskip(NEXT) | instid1(VALU_DEP_1)
	v_add_f64_e64 v[44:45], -v[10:11], s[40:41]
	v_dual_add_f64 v[6:7], v[56:57], v[42:43] :: v_dual_cndmask_b32 v10, v10, v44, vcc_lo
	v_cndmask_b32_e32 v42, 0x3fe921fb, v69, vcc_lo
	s_delay_alu instid0(VALU_DEP_3) | instskip(SKIP_1) | instid1(VALU_DEP_4)
	v_cndmask_b32_e32 v11, v11, v45, vcc_lo
	v_cmp_ngt_f64_e32 vcc_lo, 0, v[46:47]
	v_cndmask_b32_e64 v21, v10, v21, s6
	s_delay_alu instid0(VALU_DEP_4) | instskip(NEXT) | instid1(VALU_DEP_4)
	v_bfi_b32 v42, 0x7fffffff, v42, v9
	v_dual_cndmask_b32 v10, v11, v12, s6 :: v_dual_cndmask_b32 v6, v6, v46, s5
	v_cndmask_b32_e64 v7, v7, v47, s5
	v_cmp_nge_f64_e64 s5, 0, v[46:47]
	s_delay_alu instid0(VALU_DEP_2) | instskip(SKIP_4) | instid1(VALU_DEP_1)
	v_cndmask_b32_e32 v7, 0x7ff80000, v7, vcc_lo
	s_and_b32 vcc_lo, s9, s8
	v_dual_cndmask_b32 v43, v10, v42 :: v_dual_cndmask_b32 v42, v21, v16
	v_cndmask_b32_e64 v10, 0, v6, s5
	v_cmp_neq_f64_e64 s5, 0, v[46:47]
	v_cndmask_b32_e64 v11, 0xfff00000, v7, s5
.LBB179_238:                            ;   in Loop: Header=BB179_145 Depth=1
	s_or_b32 exec_lo, exec_lo, s7
                                        ; implicit-def: $vgpr46_vgpr47
.LBB179_239:                            ;   in Loop: Header=BB179_145 Depth=1
	s_and_not1_saveexec_b32 s7, s54
	s_cbranch_execz .LBB179_245
; %bb.240:                              ;   in Loop: Header=BB179_145 Depth=1
                                        ; implicit-def: $vgpr10_vgpr11
                                        ; implicit-def: $vgpr42_vgpr43
	s_mov_b32 s5, exec_lo
	v_cmpx_ngt_f64_e32 s[44:45], v[46:47]
	s_xor_b32 s8, exec_lo, s5
	s_cbranch_execz .LBB179_242
; %bb.241:                              ;   in Loop: Header=BB179_145 Depth=1
	v_mul_f64_e32 v[10:11], v[46:47], v[46:47]
	v_cmp_eq_f64_e64 s5, 0, v[8:9]
	v_cmp_class_f64_e64 s9, v[8:9], 0x204
	v_cmp_class_f64_e64 s10, v[6:7], 0x204
	s_delay_alu instid0(VALU_DEP_4) | instskip(NEXT) | instid1(VALU_DEP_1)
	v_add_f64_e32 v[42:43], 1.0, v[10:11]
	v_frexp_mant_f64_e32 v[44:45], v[42:43]
	v_frexp_exp_i32_f64_e32 v12, v[42:43]
	v_add_f64_e32 v[46:47], -1.0, v[42:43]
	s_delay_alu instid0(VALU_DEP_3) | instskip(NEXT) | instid1(VALU_DEP_2)
	v_cmp_gt_f64_e32 vcc_lo, s[28:29], v[44:45]
	v_add_f64_e64 v[44:45], v[46:47], -v[42:43]
	s_delay_alu instid0(VALU_DEP_4) | instskip(NEXT) | instid1(VALU_DEP_2)
	v_subrev_co_ci_u32_e64 v12, null, 0, v12, vcc_lo
	v_add_f64_e32 v[44:45], 1.0, v[44:45]
	s_delay_alu instid0(VALU_DEP_2) | instskip(SKIP_1) | instid1(VALU_DEP_2)
	v_dual_add_f64 v[46:47], v[10:11], -v[46:47] :: v_dual_sub_nc_u32 v16, 0, v12
	v_cmp_neq_f64_e64 s6, 0x7ff00000, v[10:11]
	v_ldexp_f64 v[42:43], v[42:43], v16
	s_delay_alu instid0(VALU_DEP_3) | instskip(NEXT) | instid1(VALU_DEP_2)
	v_add_f64_e32 v[44:45], v[46:47], v[44:45]
	v_add_f64_e32 v[48:49], 1.0, v[42:43]
	v_add_f64_e32 v[54:55], -1.0, v[42:43]
	s_delay_alu instid0(VALU_DEP_3) | instskip(NEXT) | instid1(VALU_DEP_3)
	v_ldexp_f64 v[44:45], v[44:45], v16
	v_add_f64_e32 v[46:47], -1.0, v[48:49]
	s_delay_alu instid0(VALU_DEP_3) | instskip(NEXT) | instid1(VALU_DEP_2)
	v_add_f64_e32 v[56:57], 1.0, v[54:55]
	v_add_f64_e64 v[46:47], v[42:43], -v[46:47]
	s_delay_alu instid0(VALU_DEP_2) | instskip(NEXT) | instid1(VALU_DEP_2)
	v_add_f64_e64 v[42:43], v[42:43], -v[56:57]
	v_add_f64_e32 v[46:47], v[44:45], v[46:47]
	s_delay_alu instid0(VALU_DEP_2) | instskip(NEXT) | instid1(VALU_DEP_2)
	v_add_f64_e32 v[42:43], v[44:45], v[42:43]
	v_add_f64_e32 v[50:51], v[48:49], v[46:47]
	s_delay_alu instid0(VALU_DEP_2) | instskip(NEXT) | instid1(VALU_DEP_2)
	v_add_f64_e32 v[56:57], v[54:55], v[42:43]
	v_rcp_f64_e32 v[52:53], v[50:51]
	v_add_f64_e64 v[48:49], v[48:49], -v[50:51]
	s_delay_alu instid0(VALU_DEP_2) | instskip(NEXT) | instid1(VALU_DEP_2)
	v_add_f64_e64 v[54:55], v[54:55], -v[56:57]
	v_add_f64_e32 v[46:47], v[46:47], v[48:49]
	s_delay_alu instid0(VALU_DEP_2) | instskip(NEXT) | instid1(TRANS32_DEP_1)
	v_add_f64_e32 v[42:43], v[42:43], v[54:55]
	v_fma_f64 v[58:59], -v[50:51], v[52:53], 1.0
	s_delay_alu instid0(VALU_DEP_1) | instskip(NEXT) | instid1(VALU_DEP_1)
	v_fmac_f64_e32 v[52:53], v[58:59], v[52:53]
	v_fma_f64 v[44:45], -v[50:51], v[52:53], 1.0
	s_delay_alu instid0(VALU_DEP_1) | instskip(NEXT) | instid1(VALU_DEP_1)
	v_fmac_f64_e32 v[52:53], v[44:45], v[52:53]
	v_mul_f64_e32 v[44:45], v[56:57], v[52:53]
	s_delay_alu instid0(VALU_DEP_1) | instskip(NEXT) | instid1(VALU_DEP_1)
	v_mul_f64_e32 v[58:59], v[50:51], v[44:45]
	v_fma_f64 v[48:49], v[44:45], v[50:51], -v[58:59]
	s_delay_alu instid0(VALU_DEP_1) | instskip(NEXT) | instid1(VALU_DEP_1)
	v_fmac_f64_e32 v[48:49], v[44:45], v[46:47]
	v_add_f64_e32 v[60:61], v[58:59], v[48:49]
	s_delay_alu instid0(VALU_DEP_1) | instskip(SKIP_1) | instid1(VALU_DEP_2)
	v_add_f64_e64 v[62:63], v[56:57], -v[60:61]
	v_add_f64_e64 v[54:55], v[60:61], -v[58:59]
	;; [unrolled: 1-line block ×3, first 2 shown]
	s_delay_alu instid0(VALU_DEP_2) | instskip(NEXT) | instid1(VALU_DEP_2)
	v_add_f64_e64 v[48:49], v[54:55], -v[48:49]
	v_add_f64_e64 v[56:57], v[56:57], -v[60:61]
	s_delay_alu instid0(VALU_DEP_1) | instskip(NEXT) | instid1(VALU_DEP_1)
	v_add_f64_e32 v[42:43], v[42:43], v[56:57]
	v_add_f64_e32 v[42:43], v[48:49], v[42:43]
	s_delay_alu instid0(VALU_DEP_1) | instskip(NEXT) | instid1(VALU_DEP_1)
	v_add_f64_e32 v[48:49], v[62:63], v[42:43]
	v_mul_f64_e32 v[54:55], v[52:53], v[48:49]
	v_add_f64_e64 v[60:61], v[62:63], -v[48:49]
	s_delay_alu instid0(VALU_DEP_2) | instskip(NEXT) | instid1(VALU_DEP_2)
	v_mul_f64_e32 v[56:57], v[50:51], v[54:55]
	v_add_f64_e32 v[42:43], v[42:43], v[60:61]
	s_delay_alu instid0(VALU_DEP_2) | instskip(NEXT) | instid1(VALU_DEP_1)
	v_fma_f64 v[50:51], v[54:55], v[50:51], -v[56:57]
	v_fmac_f64_e32 v[50:51], v[54:55], v[46:47]
	s_delay_alu instid0(VALU_DEP_1) | instskip(NEXT) | instid1(VALU_DEP_1)
	v_add_f64_e32 v[46:47], v[56:57], v[50:51]
	v_add_f64_e64 v[58:59], v[48:49], -v[46:47]
	v_add_f64_e64 v[56:57], v[46:47], -v[56:57]
	s_delay_alu instid0(VALU_DEP_2) | instskip(NEXT) | instid1(VALU_DEP_1)
	v_add_f64_e64 v[48:49], v[48:49], -v[58:59]
	v_add_f64_e64 v[46:47], v[48:49], -v[46:47]
	s_delay_alu instid0(VALU_DEP_3) | instskip(SKIP_1) | instid1(VALU_DEP_3)
	v_add_f64_e64 v[48:49], v[56:57], -v[50:51]
	v_max_num_f64_e64 v[50:51], |v[6:7]|, |v[6:7]|
	v_add_f64_e32 v[42:43], v[42:43], v[46:47]
	v_add_f64_e32 v[46:47], v[44:45], v[54:55]
	s_delay_alu instid0(VALU_DEP_2) | instskip(NEXT) | instid1(VALU_DEP_2)
	v_add_f64_e32 v[42:43], v[48:49], v[42:43]
	v_add_f64_e64 v[44:45], v[46:47], -v[44:45]
	v_max_num_f64_e64 v[48:49], |v[8:9]|, |v[8:9]|
	s_delay_alu instid0(VALU_DEP_3) | instskip(NEXT) | instid1(VALU_DEP_3)
	v_add_f64_e32 v[42:43], v[58:59], v[42:43]
	v_add_f64_e64 v[44:45], v[54:55], -v[44:45]
	s_delay_alu instid0(VALU_DEP_2) | instskip(NEXT) | instid1(VALU_DEP_1)
	v_mul_f64_e32 v[42:43], v[52:53], v[42:43]
	v_add_f64_e32 v[42:43], v[44:45], v[42:43]
	v_max_num_f64_e32 v[44:45], v[50:51], v[48:49]
	v_min_num_f64_e32 v[48:49], v[50:51], v[48:49]
	s_delay_alu instid0(VALU_DEP_3) | instskip(NEXT) | instid1(VALU_DEP_2)
	v_add_f64_e32 v[50:51], v[46:47], v[42:43]
	v_div_scale_f64 v[52:53], null, v[44:45], v[44:45], v[48:49]
	s_delay_alu instid0(VALU_DEP_2) | instskip(SKIP_1) | instid1(VALU_DEP_3)
	v_mul_f64_e32 v[54:55], v[50:51], v[50:51]
	v_add_f64_e64 v[46:47], v[50:51], -v[46:47]
	v_rcp_f64_e32 v[56:57], v[52:53]
	s_delay_alu instid0(VALU_DEP_2) | instskip(SKIP_1) | instid1(VALU_DEP_3)
	v_fmamk_f64 v[58:59], v[54:55], 0x3fc3ab76bf559e2b, v[24:25]
	v_mul_f64_e32 v[60:61], v[50:51], v[54:55]
	v_add_f64_e64 v[42:43], v[42:43], -v[46:47]
	s_delay_alu instid0(VALU_DEP_3) | instskip(NEXT) | instid1(TRANS32_DEP_1)
	v_fmaak_f64 v[58:59], v[54:55], v[58:59], 0x3fc7474dd7f4df2e
	v_fma_f64 v[62:63], -v[52:53], v[56:57], 1.0
	s_delay_alu instid0(VALU_DEP_2) | instskip(NEXT) | instid1(VALU_DEP_1)
	v_fmaak_f64 v[58:59], v[54:55], v[58:59], 0x3fcc71c016291751
	v_fmaak_f64 v[58:59], v[54:55], v[58:59], 0x3fd249249b27acf1
	s_delay_alu instid0(VALU_DEP_1) | instskip(SKIP_1) | instid1(VALU_DEP_2)
	v_fmaak_f64 v[58:59], v[54:55], v[58:59], 0x3fd99999998ef7b6
	v_ldexp_f64 v[42:43], v[42:43], 1
	v_fmaak_f64 v[54:55], v[54:55], v[58:59], 0x3fe5555555555780
	v_ldexp_f64 v[58:59], v[50:51], 1
	v_fmac_f64_e32 v[56:57], v[56:57], v[62:63]
	s_delay_alu instid0(VALU_DEP_3) | instskip(SKIP_2) | instid1(VALU_DEP_1)
	v_mul_f64_e32 v[54:55], v[60:61], v[54:55]
	v_cvt_f64_i32_e32 v[60:61], v12
	v_ashrrev_i32_e32 v12, 31, v7
	v_and_b32_e32 v21, 0x54442d18, v12
	v_and_b32_e32 v11, 0x400921fb, v12
	v_fma_f64 v[62:63], -v[52:53], v[56:57], 1.0
	v_add_f64_e32 v[50:51], v[58:59], v[54:55]
	v_mul_f64_e32 v[64:65], 0x3fe62e42fefa39ef, v[60:61]
	s_delay_alu instid0(VALU_DEP_3) | instskip(NEXT) | instid1(VALU_DEP_3)
	v_fmac_f64_e32 v[56:57], v[56:57], v[62:63]
	v_add_f64_e64 v[46:47], v[50:51], -v[58:59]
	v_div_scale_f64 v[58:59], vcc_lo, v[48:49], v[44:45], v[48:49]
	s_delay_alu instid0(VALU_DEP_4) | instskip(NEXT) | instid1(VALU_DEP_3)
	v_fma_f64 v[62:63], v[60:61], s[30:31], -v[64:65]
	v_add_f64_e64 v[46:47], v[54:55], -v[46:47]
	s_delay_alu instid0(VALU_DEP_3) | instskip(NEXT) | instid1(VALU_DEP_3)
	v_mul_f64_e32 v[54:55], v[58:59], v[56:57]
	v_fmac_f64_e32 v[62:63], 0x3c7abc9e3b39803f, v[60:61]
	s_delay_alu instid0(VALU_DEP_3) | instskip(NEXT) | instid1(VALU_DEP_3)
	v_add_f64_e32 v[42:43], v[42:43], v[46:47]
	v_fma_f64 v[46:47], -v[52:53], v[54:55], v[58:59]
	s_delay_alu instid0(VALU_DEP_3) | instskip(NEXT) | instid1(VALU_DEP_3)
	v_add_f64_e32 v[52:53], v[64:65], v[62:63]
	v_add_f64_e32 v[58:59], v[50:51], v[42:43]
	s_delay_alu instid0(VALU_DEP_3) | instskip(SKIP_1) | instid1(VALU_DEP_4)
	v_div_fmas_f64 v[46:47], v[46:47], v[56:57], v[54:55]
	v_cmp_gt_i32_e32 vcc_lo, 0, v7
	v_add_f64_e64 v[56:57], v[52:53], -v[64:65]
	v_cndmask_b32_e32 v10, 0x3fe921fb, v69, vcc_lo
	v_cndmask_b32_e32 v16, 0x54442d18, v68, vcc_lo
	s_delay_alu instid0(VALU_DEP_2) | instskip(SKIP_4) | instid1(VALU_DEP_4)
	v_bfi_b32 v10, 0x7fffffff, v10, v9
	v_add_f64_e32 v[54:55], v[52:53], v[58:59]
	v_div_fixup_f64 v[44:45], v[46:47], v[44:45], v[48:49]
	v_add_f64_e64 v[50:51], v[58:59], -v[50:51]
	v_add_f64_e64 v[56:57], v[62:63], -v[56:57]
	v_add_f64_e64 v[46:47], v[54:55], -v[52:53]
	s_delay_alu instid0(VALU_DEP_4) | instskip(NEXT) | instid1(VALU_DEP_4)
	v_mul_f64_e32 v[48:49], v[44:45], v[44:45]
	v_add_f64_e64 v[42:43], v[42:43], -v[50:51]
	s_delay_alu instid0(VALU_DEP_3) | instskip(NEXT) | instid1(VALU_DEP_3)
	v_add_f64_e64 v[60:61], v[54:55], -v[46:47]
	v_fmamk_f64 v[64:65], v[48:49], 0x3eeba404b5e68a13, v[26:27]
	v_add_f64_e64 v[46:47], v[58:59], -v[46:47]
	s_delay_alu instid0(VALU_DEP_4) | instskip(NEXT) | instid1(VALU_DEP_3)
	v_add_f64_e32 v[58:59], v[56:57], v[42:43]
	v_fmaak_f64 v[64:65], v[48:49], v[64:65], 0x3f4b2bb069efb384
	s_delay_alu instid0(VALU_DEP_1) | instskip(SKIP_1) | instid1(VALU_DEP_2)
	v_fmaak_f64 v[64:65], v[48:49], v[64:65], 0xbf67952daf56de9b
	v_add_f64_e64 v[50:51], v[52:53], -v[60:61]
	v_fmaak_f64 v[52:53], v[48:49], v[64:65], 0x3f7d6d43a595c56f
	s_delay_alu instid0(VALU_DEP_1) | instskip(NEXT) | instid1(VALU_DEP_1)
	v_fmaak_f64 v[52:53], v[48:49], v[52:53], 0xbf8c6ea4a57d9582
	v_fmaak_f64 v[52:53], v[48:49], v[52:53], 0x3f967e295f08b19f
	s_delay_alu instid0(VALU_DEP_1) | instskip(NEXT) | instid1(VALU_DEP_1)
	v_fmaak_f64 v[52:53], v[48:49], v[52:53], 0xbf9e9ae6fc27006a
	v_fmaak_f64 v[52:53], v[48:49], v[52:53], 0x3fa2c15b5711927a
	v_add_f64_e32 v[46:47], v[46:47], v[50:51]
	s_delay_alu instid0(VALU_DEP_2) | instskip(SKIP_1) | instid1(VALU_DEP_2)
	v_fmaak_f64 v[50:51], v[48:49], v[52:53], 0xbfa59976e82d3ff0
	v_add_f64_e64 v[52:53], v[58:59], -v[56:57]
	v_fmaak_f64 v[50:51], v[48:49], v[50:51], 0x3fa82d5d6ef28734
	s_delay_alu instid0(VALU_DEP_1) | instskip(NEXT) | instid1(VALU_DEP_1)
	v_fmaak_f64 v[50:51], v[48:49], v[50:51], 0xbfaae5ce6a214619
	v_fmaak_f64 v[50:51], v[48:49], v[50:51], 0x3fae1bb48427b883
	s_delay_alu instid0(VALU_DEP_1) | instskip(SKIP_3) | instid1(VALU_DEP_4)
	v_fmaak_f64 v[50:51], v[48:49], v[50:51], 0xbfb110e48b207f05
	v_add_f64_e32 v[46:47], v[58:59], v[46:47]
	v_add_f64_e64 v[58:59], v[58:59], -v[52:53]
	v_add_f64_e64 v[42:43], v[42:43], -v[52:53]
	v_fmaak_f64 v[50:51], v[48:49], v[50:51], 0x3fb3b13657b87036
	s_delay_alu instid0(VALU_DEP_1) | instskip(NEXT) | instid1(VALU_DEP_1)
	v_fmaak_f64 v[50:51], v[48:49], v[50:51], 0xbfb745d119378e4f
	v_fmaak_f64 v[50:51], v[48:49], v[50:51], 0x3fbc71c717e1913c
	s_delay_alu instid0(VALU_DEP_1) | instskip(SKIP_1) | instid1(VALU_DEP_2)
	v_fmaak_f64 v[50:51], v[48:49], v[50:51], 0xbfc2492492376b7d
	v_add_f64_e32 v[60:61], v[54:55], v[46:47]
	v_fmaak_f64 v[50:51], v[48:49], v[50:51], 0x3fc99999999952cc
	s_delay_alu instid0(VALU_DEP_1) | instskip(NEXT) | instid1(VALU_DEP_1)
	v_fmaak_f64 v[50:51], v[48:49], v[50:51], 0xbfd5555555555523
	v_mul_f64_e32 v[48:49], v[48:49], v[50:51]
	v_add_f64_e64 v[50:51], v[56:57], -v[58:59]
	v_add_f64_e64 v[52:53], v[60:61], -v[54:55]
	s_delay_alu instid0(VALU_DEP_3) | instskip(NEXT) | instid1(VALU_DEP_3)
	v_fmac_f64_e32 v[44:45], v[44:45], v[48:49]
	v_add_f64_e32 v[42:43], v[42:43], v[50:51]
	s_delay_alu instid0(VALU_DEP_3) | instskip(NEXT) | instid1(VALU_DEP_3)
	v_add_f64_e64 v[46:47], v[46:47], -v[52:53]
	v_add_f64_e64 v[48:49], -v[44:45], s[38:39]
	s_delay_alu instid0(VALU_DEP_1) | instskip(NEXT) | instid1(VALU_DEP_2)
	v_dual_add_f64 v[42:43], v[42:43], v[46:47] :: v_dual_cndmask_b32 v45, v45, v49, s4
	v_cndmask_b32_e64 v44, v44, v48, s4
	s_delay_alu instid0(VALU_DEP_1) | instskip(NEXT) | instid1(VALU_DEP_3)
	v_add_f64_e64 v[46:47], -v[44:45], s[40:41]
	v_add_f64_e32 v[42:43], v[60:61], v[42:43]
	s_delay_alu instid0(VALU_DEP_2) | instskip(SKIP_1) | instid1(VALU_DEP_1)
	v_dual_cndmask_b32 v44, v44, v46, vcc_lo :: v_dual_cndmask_b32 v12, v45, v47, vcc_lo
	s_and_b32 vcc_lo, s9, s10
                                        ; implicit-def: $vgpr46_vgpr47
	v_cndmask_b32_e64 v21, v44, v21, s5
	s_delay_alu instid0(VALU_DEP_2) | instskip(NEXT) | instid1(VALU_DEP_4)
	v_cndmask_b32_e64 v11, v12, v11, s5
	v_mul_f64_e32 v[6:7], 0.5, v[42:43]
	s_delay_alu instid0(VALU_DEP_2) | instskip(NEXT) | instid1(VALU_DEP_2)
	v_dual_cndmask_b32 v43, v11, v10 :: v_dual_cndmask_b32 v42, v21, v16
	v_cndmask_b32_e64 v11, 0x7ff00000, v7, s6
	s_delay_alu instid0(VALU_DEP_3)
	v_cndmask_b32_e64 v10, 0, v6, s6
.LBB179_242:                            ;   in Loop: Header=BB179_145 Depth=1
	s_and_not1_saveexec_b32 s6, s8
	s_cbranch_execz .LBB179_244
; %bb.243:                              ;   in Loop: Header=BB179_145 Depth=1
	v_max_num_f64_e64 v[10:11], |v[8:9]|, |v[8:9]|
	v_max_num_f64_e64 v[42:43], |v[6:7]|, |v[6:7]|
	v_cmp_class_f64_e64 s9, v[6:7], 0x204
	v_cmp_eq_f64_e64 s5, 0, v[8:9]
	v_cmp_class_f64_e64 s8, v[8:9], 0x204
	v_ashrrev_i32_e32 v12, 31, v7
	s_delay_alu instid0(VALU_DEP_1) | instskip(SKIP_2) | instid1(VALU_DEP_1)
	v_and_b32_e32 v21, 0x54442d18, v12
	v_max_num_f64_e32 v[44:45], v[42:43], v[10:11]
	v_min_num_f64_e32 v[10:11], v[42:43], v[10:11]
	v_div_scale_f64 v[42:43], null, v[44:45], v[44:45], v[10:11]
	v_div_scale_f64 v[52:53], vcc_lo, v[10:11], v[44:45], v[10:11]
	s_delay_alu instid0(VALU_DEP_2) | instskip(SKIP_1) | instid1(TRANS32_DEP_1)
	v_rcp_f64_e32 v[48:49], v[42:43]
	v_nop
	v_fma_f64 v[50:51], -v[42:43], v[48:49], 1.0
	s_delay_alu instid0(VALU_DEP_1) | instskip(NEXT) | instid1(VALU_DEP_1)
	v_fmac_f64_e32 v[48:49], v[48:49], v[50:51]
	v_fma_f64 v[50:51], -v[42:43], v[48:49], 1.0
	s_delay_alu instid0(VALU_DEP_1) | instskip(NEXT) | instid1(VALU_DEP_1)
	v_fmac_f64_e32 v[48:49], v[48:49], v[50:51]
	v_mul_f64_e32 v[50:51], v[52:53], v[48:49]
	s_delay_alu instid0(VALU_DEP_1) | instskip(NEXT) | instid1(VALU_DEP_1)
	v_fma_f64 v[42:43], -v[42:43], v[50:51], v[52:53]
	v_div_fmas_f64 v[42:43], v[42:43], v[48:49], v[50:51]
	v_cmp_gt_i32_e32 vcc_lo, 0, v7
	v_and_b32_e32 v7, 0x400921fb, v12
	v_cndmask_b32_e32 v6, 0x3fe921fb, v69, vcc_lo
	v_cndmask_b32_e32 v16, 0x54442d18, v68, vcc_lo
	s_delay_alu instid0(VALU_DEP_2) | instskip(SKIP_1) | instid1(VALU_DEP_1)
	v_bfi_b32 v6, 0x7fffffff, v6, v9
	v_div_fixup_f64 v[10:11], v[42:43], v[44:45], v[10:11]
	v_mul_f64_e32 v[42:43], v[10:11], v[10:11]
	s_delay_alu instid0(VALU_DEP_1) | instskip(NEXT) | instid1(VALU_DEP_1)
	v_fmamk_f64 v[44:45], v[42:43], 0x3eeba404b5e68a13, v[26:27]
	v_fmaak_f64 v[44:45], v[42:43], v[44:45], 0x3f4b2bb069efb384
	s_delay_alu instid0(VALU_DEP_1) | instskip(NEXT) | instid1(VALU_DEP_1)
	v_fmaak_f64 v[44:45], v[42:43], v[44:45], 0xbf67952daf56de9b
	v_fmaak_f64 v[44:45], v[42:43], v[44:45], 0x3f7d6d43a595c56f
	s_delay_alu instid0(VALU_DEP_1) | instskip(NEXT) | instid1(VALU_DEP_1)
	v_fmaak_f64 v[44:45], v[42:43], v[44:45], 0xbf8c6ea4a57d9582
	;; [unrolled: 3-line block ×9, first 2 shown]
	v_mul_f64_e32 v[42:43], v[42:43], v[44:45]
	s_delay_alu instid0(VALU_DEP_1) | instskip(NEXT) | instid1(VALU_DEP_1)
	v_fmac_f64_e32 v[10:11], v[10:11], v[42:43]
	v_add_f64_e64 v[42:43], -v[10:11], s[38:39]
	s_delay_alu instid0(VALU_DEP_1) | instskip(NEXT) | instid1(VALU_DEP_1)
	v_dual_cndmask_b32 v43, v11, v43, s4 :: v_dual_cndmask_b32 v42, v10, v42, s4
	v_add_f64_e64 v[44:45], -v[42:43], s[40:41]
	s_delay_alu instid0(VALU_DEP_1) | instskip(NEXT) | instid1(VALU_DEP_2)
	v_dual_mul_f64 v[10:11], 0.5, v[46:47] :: v_dual_cndmask_b32 v12, v43, v45, vcc_lo
	v_cndmask_b32_e32 v42, v42, v44, vcc_lo
	s_and_b32 vcc_lo, s8, s9
	s_delay_alu instid0(VALU_DEP_1) | instskip(NEXT) | instid1(VALU_DEP_1)
	v_dual_cndmask_b32 v7, v12, v7, s5 :: v_dual_cndmask_b32 v21, v42, v21, s5
	v_dual_cndmask_b32 v43, v7, v6 :: v_dual_cndmask_b32 v42, v21, v16
	s_delay_alu instid0(VALU_DEP_4)
	v_mul_f64_e32 v[10:11], v[46:47], v[10:11]
.LBB179_244:                            ;   in Loop: Header=BB179_145 Depth=1
	s_or_b32 exec_lo, exec_lo, s6
.LBB179_245:                            ;   in Loop: Header=BB179_145 Depth=1
	s_delay_alu instid0(SALU_CYCLE_1)
	s_or_b32 exec_lo, exec_lo, s7
.LBB179_246:                            ;   in Loop: Header=BB179_145 Depth=1
	s_and_not1_saveexec_b32 s6, s33
	s_cbranch_execz .LBB179_248
; %bb.247:                              ;   in Loop: Header=BB179_145 Depth=1
	v_div_scale_f64 v[10:11], null, s[46:47], s[46:47], v[6:7]
	v_div_scale_f64 v[42:43], null, s[46:47], s[46:47], v[8:9]
	v_div_scale_f64 v[52:53], vcc_lo, v[6:7], s[46:47], v[6:7]
	s_delay_alu instid0(VALU_DEP_3) | instskip(NEXT) | instid1(VALU_DEP_2)
	v_rcp_f64_e32 v[44:45], v[10:11]
	v_rcp_f64_e32 v[46:47], v[42:43]
	s_delay_alu instid0(TRANS32_DEP_2) | instskip(NEXT) | instid1(TRANS32_DEP_1)
	v_fma_f64 v[48:49], -v[10:11], v[44:45], 1.0
	v_fma_f64 v[50:51], -v[42:43], v[46:47], 1.0
	s_delay_alu instid0(VALU_DEP_2) | instskip(NEXT) | instid1(VALU_DEP_2)
	v_fmac_f64_e32 v[44:45], v[44:45], v[48:49]
	v_fmac_f64_e32 v[46:47], v[46:47], v[50:51]
	s_delay_alu instid0(VALU_DEP_2) | instskip(NEXT) | instid1(VALU_DEP_2)
	v_fma_f64 v[48:49], -v[10:11], v[44:45], 1.0
	v_fma_f64 v[50:51], -v[42:43], v[46:47], 1.0
	s_delay_alu instid0(VALU_DEP_2) | instskip(SKIP_1) | instid1(VALU_DEP_3)
	v_fmac_f64_e32 v[44:45], v[44:45], v[48:49]
	v_div_scale_f64 v[48:49], s5, v[8:9], s[46:47], v[8:9]
	v_fmac_f64_e32 v[46:47], v[46:47], v[50:51]
	s_delay_alu instid0(VALU_DEP_3) | instskip(NEXT) | instid1(VALU_DEP_2)
	v_mul_f64_e32 v[50:51], v[52:53], v[44:45]
	v_mul_f64_e32 v[54:55], v[48:49], v[46:47]
	s_delay_alu instid0(VALU_DEP_2) | instskip(NEXT) | instid1(VALU_DEP_2)
	v_fma_f64 v[10:11], -v[10:11], v[50:51], v[52:53]
	v_fma_f64 v[42:43], -v[42:43], v[54:55], v[48:49]
	s_delay_alu instid0(VALU_DEP_2) | instskip(SKIP_1) | instid1(VALU_DEP_2)
	v_div_fmas_f64 v[10:11], v[10:11], v[44:45], v[50:51]
	s_mov_b32 vcc_lo, s5
	v_div_fmas_f64 v[42:43], v[42:43], v[46:47], v[54:55]
	s_delay_alu instid0(VALU_DEP_2) | instskip(NEXT) | instid1(VALU_DEP_2)
	v_div_fixup_f64 v[10:11], v[10:11], s[46:47], v[6:7]
	v_div_fixup_f64 v[42:43], v[42:43], s[46:47], v[8:9]
	s_delay_alu instid0(VALU_DEP_2) | instskip(NEXT) | instid1(VALU_DEP_2)
	v_cmp_class_f64_e64 s5, v[10:11], 0x204
	v_max_num_f64_e64 v[44:45], |v[10:11]|, |v[42:43]|
	v_cmp_class_f64_e64 s7, v[42:43], 0x204
	s_delay_alu instid0(VALU_DEP_2) | instskip(SKIP_2) | instid1(VALU_DEP_2)
	v_frexp_exp_i32_f64_e32 v12, v[44:45]
	s_or_b32 s5, s7, s5
	v_cmp_class_f64_e64 s7, v[6:7], 0x204
	v_sub_nc_u32_e32 v16, 0, v12
	s_delay_alu instid0(VALU_DEP_1) | instskip(SKIP_1) | instid1(VALU_DEP_2)
	v_ldexp_f64 v[44:45], |v[42:43]|, v16
	v_ldexp_f64 v[46:47], |v[10:11]|, v16
	v_mul_f64_e32 v[44:45], v[44:45], v[44:45]
	s_delay_alu instid0(VALU_DEP_1) | instskip(NEXT) | instid1(VALU_DEP_1)
	v_fmac_f64_e32 v[44:45], v[46:47], v[46:47]
	v_rsq_f64_e32 v[46:47], v[44:45]
	v_cmp_eq_f64_e32 vcc_lo, 0, v[44:45]
	s_delay_alu instid0(TRANS32_DEP_1) | instskip(SKIP_1) | instid1(VALU_DEP_1)
	v_mul_f64_e32 v[48:49], v[44:45], v[46:47]
	v_mul_f64_e32 v[46:47], 0.5, v[46:47]
	v_fma_f64 v[50:51], -v[46:47], v[48:49], 0.5
	s_delay_alu instid0(VALU_DEP_1) | instskip(SKIP_1) | instid1(VALU_DEP_2)
	v_fmac_f64_e32 v[48:49], v[48:49], v[50:51]
	v_fmac_f64_e32 v[46:47], v[46:47], v[50:51]
	v_fma_f64 v[50:51], -v[48:49], v[48:49], v[44:45]
	s_delay_alu instid0(VALU_DEP_1) | instskip(NEXT) | instid1(VALU_DEP_1)
	v_fmac_f64_e32 v[48:49], v[50:51], v[46:47]
	v_dual_cndmask_b32 v45, v49, v45 :: v_dual_cndmask_b32 v44, v48, v44
	v_cmp_o_f64_e32 vcc_lo, v[10:11], v[42:43]
	s_delay_alu instid0(VALU_DEP_2) | instskip(NEXT) | instid1(VALU_DEP_1)
	v_ldexp_f64 v[44:45], v[44:45], v12
	v_cndmask_b32_e32 v10, 0, v44, vcc_lo
	s_delay_alu instid0(VALU_DEP_2) | instskip(NEXT) | instid1(VALU_DEP_2)
	v_cndmask_b32_e32 v11, 0x7ff80000, v45, vcc_lo
	v_cndmask_b32_e64 v44, v10, 0, s5
	s_delay_alu instid0(VALU_DEP_2) | instskip(SKIP_1) | instid1(VALU_DEP_2)
	v_cndmask_b32_e64 v45, v11, 0x7ff00000, s5
	v_cmp_class_f64_e64 s5, v[8:9], 0x204
	v_frexp_mant_f64_e32 v[10:11], v[44:45]
	s_delay_alu instid0(VALU_DEP_1) | instskip(SKIP_1) | instid1(VALU_DEP_1)
	v_cmp_gt_f64_e32 vcc_lo, s[28:29], v[10:11]
	v_cndmask_b32_e64 v12, 0, 1, vcc_lo
	v_ldexp_f64 v[10:11], v[10:11], v12
	v_frexp_exp_i32_f64_e32 v12, v[44:45]
	s_delay_alu instid0(VALU_DEP_2) | instskip(SKIP_1) | instid1(VALU_DEP_3)
	v_add_f64_e32 v[42:43], 1.0, v[10:11]
	v_add_f64_e32 v[50:51], -1.0, v[10:11]
	v_subrev_co_ci_u32_e64 v12, null, 0, v12, vcc_lo
	s_delay_alu instid0(VALU_DEP_3) | instskip(SKIP_1) | instid1(VALU_DEP_1)
	v_rcp_f64_e32 v[46:47], v[42:43]
	v_add_f64_e32 v[52:53], -1.0, v[42:43]
	v_add_f64_e64 v[10:11], v[10:11], -v[52:53]
	s_delay_alu instid0(TRANS32_DEP_1) | instskip(NEXT) | instid1(VALU_DEP_1)
	v_fma_f64 v[48:49], -v[42:43], v[46:47], 1.0
	v_fmac_f64_e32 v[46:47], v[48:49], v[46:47]
	s_delay_alu instid0(VALU_DEP_1) | instskip(NEXT) | instid1(VALU_DEP_1)
	v_fma_f64 v[48:49], -v[42:43], v[46:47], 1.0
	v_fmac_f64_e32 v[46:47], v[48:49], v[46:47]
	s_delay_alu instid0(VALU_DEP_1) | instskip(NEXT) | instid1(VALU_DEP_1)
	v_mul_f64_e32 v[48:49], v[50:51], v[46:47]
	v_mul_f64_e32 v[54:55], v[42:43], v[48:49]
	s_delay_alu instid0(VALU_DEP_1) | instskip(NEXT) | instid1(VALU_DEP_1)
	v_fma_f64 v[42:43], v[48:49], v[42:43], -v[54:55]
	v_fmac_f64_e32 v[42:43], v[48:49], v[10:11]
	s_delay_alu instid0(VALU_DEP_1) | instskip(NEXT) | instid1(VALU_DEP_1)
	v_add_f64_e32 v[10:11], v[54:55], v[42:43]
	v_add_f64_e64 v[52:53], v[50:51], -v[10:11]
	v_add_f64_e64 v[54:55], v[10:11], -v[54:55]
	s_delay_alu instid0(VALU_DEP_2) | instskip(NEXT) | instid1(VALU_DEP_2)
	v_add_f64_e64 v[50:51], v[50:51], -v[52:53]
	v_add_f64_e64 v[42:43], v[54:55], -v[42:43]
	s_delay_alu instid0(VALU_DEP_2) | instskip(SKIP_1) | instid1(VALU_DEP_2)
	v_add_f64_e64 v[10:11], v[50:51], -v[10:11]
	v_max_num_f64_e64 v[50:51], |v[6:7]|, |v[6:7]|
	v_add_f64_e32 v[10:11], v[42:43], v[10:11]
	v_max_num_f64_e64 v[42:43], |v[8:9]|, |v[8:9]|
	s_delay_alu instid0(VALU_DEP_2) | instskip(NEXT) | instid1(VALU_DEP_1)
	v_add_f64_e32 v[10:11], v[52:53], v[10:11]
	v_mul_f64_e32 v[10:11], v[46:47], v[10:11]
	s_delay_alu instid0(VALU_DEP_3) | instskip(SKIP_1) | instid1(VALU_DEP_3)
	v_max_num_f64_e32 v[46:47], v[50:51], v[42:43]
	v_min_num_f64_e32 v[42:43], v[50:51], v[42:43]
	v_add_f64_e32 v[50:51], v[48:49], v[10:11]
	s_delay_alu instid0(VALU_DEP_2) | instskip(NEXT) | instid1(VALU_DEP_2)
	v_div_scale_f64 v[52:53], null, v[46:47], v[46:47], v[42:43]
	v_mul_f64_e32 v[54:55], v[50:51], v[50:51]
	v_add_f64_e64 v[48:49], v[50:51], -v[48:49]
	s_delay_alu instid0(VALU_DEP_3) | instskip(NEXT) | instid1(VALU_DEP_2)
	v_rcp_f64_e32 v[56:57], v[52:53]
	v_fmamk_f64 v[58:59], v[54:55], 0x3fc3ab76bf559e2b, v[24:25]
	v_mul_f64_e32 v[60:61], v[50:51], v[54:55]
	s_delay_alu instid0(VALU_DEP_3) | instskip(NEXT) | instid1(VALU_DEP_3)
	v_add_f64_e64 v[10:11], v[10:11], -v[48:49]
	v_fmaak_f64 v[58:59], v[54:55], v[58:59], 0x3fc7474dd7f4df2e
	s_delay_alu instid0(TRANS32_DEP_1) | instskip(NEXT) | instid1(VALU_DEP_2)
	v_fma_f64 v[62:63], -v[52:53], v[56:57], 1.0
	v_fmaak_f64 v[58:59], v[54:55], v[58:59], 0x3fcc71c016291751
	s_delay_alu instid0(VALU_DEP_1) | instskip(NEXT) | instid1(VALU_DEP_1)
	v_fmaak_f64 v[58:59], v[54:55], v[58:59], 0x3fd249249b27acf1
	v_fmaak_f64 v[58:59], v[54:55], v[58:59], 0x3fd99999998ef7b6
	v_ldexp_f64 v[10:11], v[10:11], 1
	s_delay_alu instid0(VALU_DEP_2) | instskip(SKIP_2) | instid1(VALU_DEP_3)
	v_fmaak_f64 v[54:55], v[54:55], v[58:59], 0x3fe5555555555780
	v_ldexp_f64 v[58:59], v[50:51], 1
	v_fmac_f64_e32 v[56:57], v[56:57], v[62:63]
	v_mul_f64_e32 v[54:55], v[60:61], v[54:55]
	v_cvt_f64_i32_e32 v[60:61], v12
	v_ashrrev_i32_e32 v12, 31, v7
	s_delay_alu instid0(VALU_DEP_1) | instskip(SKIP_3) | instid1(VALU_DEP_3)
	v_and_b32_e32 v21, 0x54442d18, v12
	v_fma_f64 v[62:63], -v[52:53], v[56:57], 1.0
	v_add_f64_e32 v[50:51], v[58:59], v[54:55]
	v_mul_f64_e32 v[64:65], 0x3fe62e42fefa39ef, v[60:61]
	v_fmac_f64_e32 v[56:57], v[56:57], v[62:63]
	s_delay_alu instid0(VALU_DEP_3) | instskip(SKIP_1) | instid1(VALU_DEP_4)
	v_add_f64_e64 v[48:49], v[50:51], -v[58:59]
	v_div_scale_f64 v[58:59], vcc_lo, v[42:43], v[46:47], v[42:43]
	v_fma_f64 v[62:63], v[60:61], s[30:31], -v[64:65]
	s_delay_alu instid0(VALU_DEP_3) | instskip(NEXT) | instid1(VALU_DEP_3)
	v_add_f64_e64 v[48:49], v[54:55], -v[48:49]
	v_mul_f64_e32 v[54:55], v[58:59], v[56:57]
	s_delay_alu instid0(VALU_DEP_3) | instskip(NEXT) | instid1(VALU_DEP_3)
	v_fmac_f64_e32 v[62:63], 0x3c7abc9e3b39803f, v[60:61]
	v_add_f64_e32 v[10:11], v[10:11], v[48:49]
	s_delay_alu instid0(VALU_DEP_3) | instskip(NEXT) | instid1(VALU_DEP_3)
	v_fma_f64 v[48:49], -v[52:53], v[54:55], v[58:59]
	v_add_f64_e32 v[52:53], v[64:65], v[62:63]
	s_delay_alu instid0(VALU_DEP_3) | instskip(NEXT) | instid1(VALU_DEP_3)
	v_add_f64_e32 v[58:59], v[50:51], v[10:11]
	v_div_fmas_f64 v[48:49], v[48:49], v[56:57], v[54:55]
	v_cmp_class_f64_e64 vcc_lo, v[44:45], 0x204
	s_delay_alu instid0(VALU_DEP_4) | instskip(NEXT) | instid1(VALU_DEP_4)
	v_add_f64_e64 v[56:57], v[52:53], -v[64:65]
	v_add_f64_e32 v[54:55], v[52:53], v[58:59]
	s_delay_alu instid0(VALU_DEP_4) | instskip(SKIP_1) | instid1(VALU_DEP_4)
	v_div_fixup_f64 v[42:43], v[48:49], v[46:47], v[42:43]
	v_add_f64_e64 v[50:51], v[58:59], -v[50:51]
	v_add_f64_e64 v[56:57], v[62:63], -v[56:57]
	s_delay_alu instid0(VALU_DEP_4) | instskip(NEXT) | instid1(VALU_DEP_4)
	v_add_f64_e64 v[46:47], v[54:55], -v[52:53]
	v_mul_f64_e32 v[48:49], v[42:43], v[42:43]
	s_delay_alu instid0(VALU_DEP_4) | instskip(NEXT) | instid1(VALU_DEP_3)
	v_add_f64_e64 v[10:11], v[10:11], -v[50:51]
	v_add_f64_e64 v[60:61], v[54:55], -v[46:47]
	s_delay_alu instid0(VALU_DEP_3) | instskip(SKIP_1) | instid1(VALU_DEP_4)
	v_fmamk_f64 v[64:65], v[48:49], 0x3eeba404b5e68a13, v[26:27]
	v_add_f64_e64 v[46:47], v[58:59], -v[46:47]
	v_add_f64_e32 v[58:59], v[56:57], v[10:11]
	s_delay_alu instid0(VALU_DEP_3) | instskip(SKIP_1) | instid1(VALU_DEP_2)
	v_fmaak_f64 v[64:65], v[48:49], v[64:65], 0x3f4b2bb069efb384
	v_add_f64_e64 v[50:51], v[52:53], -v[60:61]
	v_fmaak_f64 v[52:53], v[48:49], v[64:65], 0xbf67952daf56de9b
	s_delay_alu instid0(VALU_DEP_1) | instskip(NEXT) | instid1(VALU_DEP_1)
	v_fmaak_f64 v[52:53], v[48:49], v[52:53], 0x3f7d6d43a595c56f
	v_fmaak_f64 v[52:53], v[48:49], v[52:53], 0xbf8c6ea4a57d9582
	s_delay_alu instid0(VALU_DEP_1) | instskip(SKIP_1) | instid1(VALU_DEP_2)
	v_fmaak_f64 v[52:53], v[48:49], v[52:53], 0x3f967e295f08b19f
	v_add_f64_e32 v[46:47], v[46:47], v[50:51]
	v_fmaak_f64 v[50:51], v[48:49], v[52:53], 0xbf9e9ae6fc27006a
	v_add_f64_e64 v[52:53], v[58:59], -v[56:57]
	s_delay_alu instid0(VALU_DEP_2) | instskip(NEXT) | instid1(VALU_DEP_1)
	v_fmaak_f64 v[50:51], v[48:49], v[50:51], 0x3fa2c15b5711927a
	v_fmaak_f64 v[50:51], v[48:49], v[50:51], 0xbfa59976e82d3ff0
	s_delay_alu instid0(VALU_DEP_1) | instskip(NEXT) | instid1(VALU_DEP_1)
	v_fmaak_f64 v[50:51], v[48:49], v[50:51], 0x3fa82d5d6ef28734
	v_fmaak_f64 v[50:51], v[48:49], v[50:51], 0xbfaae5ce6a214619
	v_add_f64_e32 v[46:47], v[58:59], v[46:47]
	v_add_f64_e64 v[58:59], v[58:59], -v[52:53]
	v_add_f64_e64 v[10:11], v[10:11], -v[52:53]
	s_delay_alu instid0(VALU_DEP_4) | instskip(NEXT) | instid1(VALU_DEP_1)
	v_fmaak_f64 v[50:51], v[48:49], v[50:51], 0x3fae1bb48427b883
	v_fmaak_f64 v[50:51], v[48:49], v[50:51], 0xbfb110e48b207f05
	s_delay_alu instid0(VALU_DEP_1) | instskip(NEXT) | instid1(VALU_DEP_1)
	v_fmaak_f64 v[50:51], v[48:49], v[50:51], 0x3fb3b13657b87036
	v_fmaak_f64 v[50:51], v[48:49], v[50:51], 0xbfb745d119378e4f
	s_delay_alu instid0(VALU_DEP_1) | instskip(SKIP_1) | instid1(VALU_DEP_2)
	v_fmaak_f64 v[50:51], v[48:49], v[50:51], 0x3fbc71c717e1913c
	v_add_f64_e32 v[60:61], v[54:55], v[46:47]
	v_fmaak_f64 v[50:51], v[48:49], v[50:51], 0xbfc2492492376b7d
	s_delay_alu instid0(VALU_DEP_1) | instskip(NEXT) | instid1(VALU_DEP_1)
	v_fmaak_f64 v[50:51], v[48:49], v[50:51], 0x3fc99999999952cc
	v_fmaak_f64 v[50:51], v[48:49], v[50:51], 0xbfd5555555555523
	s_delay_alu instid0(VALU_DEP_1) | instskip(SKIP_2) | instid1(VALU_DEP_3)
	v_mul_f64_e32 v[48:49], v[48:49], v[50:51]
	v_add_f64_e64 v[50:51], v[56:57], -v[58:59]
	v_add_f64_e64 v[52:53], v[60:61], -v[54:55]
	v_fmac_f64_e32 v[42:43], v[42:43], v[48:49]
	s_delay_alu instid0(VALU_DEP_3) | instskip(NEXT) | instid1(VALU_DEP_3)
	v_add_f64_e32 v[10:11], v[10:11], v[50:51]
	v_add_f64_e64 v[46:47], v[46:47], -v[52:53]
	s_delay_alu instid0(VALU_DEP_3) | instskip(NEXT) | instid1(VALU_DEP_2)
	v_add_f64_e64 v[48:49], -v[42:43], s[38:39]
	v_add_f64_e32 v[10:11], v[10:11], v[46:47]
	s_delay_alu instid0(VALU_DEP_2) | instskip(SKIP_2) | instid1(VALU_DEP_4)
	v_dual_cndmask_b32 v43, v43, v49, s4 :: v_dual_cndmask_b32 v42, v42, v48, s4
	v_cmp_gt_i32_e64 s4, 0, v7
	v_and_b32_e32 v7, 0x400921fb, v12
	v_add_f64_e32 v[10:11], v[60:61], v[10:11]
	s_delay_alu instid0(VALU_DEP_4) | instskip(NEXT) | instid1(VALU_DEP_4)
	v_add_f64_e64 v[46:47], -v[42:43], s[40:41]
	v_cndmask_b32_e64 v16, 0x54442d18, v68, s4
	v_cndmask_b32_e64 v6, 0x3fe921fb, v69, s4
	s_delay_alu instid0(VALU_DEP_1) | instskip(SKIP_4) | instid1(VALU_DEP_2)
	v_bfi_b32 v6, 0x7fffffff, v6, v9
	v_dual_cndmask_b32 v11, v11, v45 :: v_dual_cndmask_b32 v10, v10, v44
	v_cmp_eq_f64_e32 vcc_lo, 0, v[8:9]
	v_dual_cndmask_b32 v42, v42, v46, s4 :: v_dual_cndmask_b32 v12, v43, v47, s4
	v_cmp_nge_f64_e64 s4, 0, v[44:45]
	v_dual_add_f64 v[10:11], 1.0, v[10:11] :: v_dual_cndmask_b32 v21, v42, v21, vcc_lo
	s_delay_alu instid0(VALU_DEP_3) | instskip(SKIP_1) | instid1(VALU_DEP_3)
	v_cndmask_b32_e32 v7, v12, v7, vcc_lo
	v_cmp_ngt_f64_e32 vcc_lo, 0, v[44:45]
	v_cndmask_b32_e64 v10, 0, v10, s4
	v_cmp_neq_f64_e64 s4, 0, v[44:45]
	v_cndmask_b32_e32 v11, 0x7ff80000, v11, vcc_lo
	s_and_b32 vcc_lo, s5, s7
	v_dual_cndmask_b32 v43, v7, v6 :: v_dual_cndmask_b32 v42, v21, v16
	s_delay_alu instid0(VALU_DEP_2)
	v_cndmask_b32_e64 v11, 0xfff00000, v11, s4
.LBB179_248:                            ;   in Loop: Header=BB179_145 Depth=1
	s_or_b32 exec_lo, exec_lo, s6
.LBB179_249:                            ;   in Loop: Header=BB179_145 Depth=1
	s_and_not1_saveexec_b32 s4, s15
	s_cbranch_execz .LBB179_255
; %bb.250:                              ;   in Loop: Header=BB179_145 Depth=1
	v_cmp_ngt_f64_e64 s5, 0x20000000, |v[6:7]|
	v_cmp_ngt_f64_e64 s6, 0x20000000, |v[8:9]|
                                        ; implicit-def: $vgpr44_vgpr45
	s_or_b32 s5, s6, s5
	s_delay_alu instid0(SALU_CYCLE_1) | instskip(NEXT) | instid1(SALU_CYCLE_1)
	s_and_saveexec_b32 s6, s5
	s_xor_b32 s5, exec_lo, s6
	s_cbranch_execz .LBB179_252
; %bb.251:                              ;   in Loop: Header=BB179_145 Depth=1
	v_mul_f64_e32 v[44:45], v[6:7], v[6:7]
	s_delay_alu instid0(VALU_DEP_1)
	v_fmac_f64_e32 v[44:45], v[8:9], v[8:9]
.LBB179_252:                            ;   in Loop: Header=BB179_145 Depth=1
	s_and_not1_saveexec_b32 s5, s5
	s_cbranch_execz .LBB179_254
; %bb.253:                              ;   in Loop: Header=BB179_145 Depth=1
	v_mul_f64_e32 v[6:7], 4.0, v[6:7]
	v_mul_f64_e32 v[10:11], 4.0, v[8:9]
	s_delay_alu instid0(VALU_DEP_2) | instskip(NEXT) | instid1(VALU_DEP_1)
	v_mul_f64_e32 v[6:7], v[6:7], v[6:7]
	v_fmac_f64_e32 v[6:7], v[10:11], v[10:11]
	s_delay_alu instid0(VALU_DEP_1)
	v_ldexp_f64 v[44:45], v[6:7], -4
.LBB179_254:                            ;   in Loop: Header=BB179_145 Depth=1
	s_or_b32 exec_lo, exec_lo, s5
	s_delay_alu instid0(VALU_DEP_1) | instskip(NEXT) | instid1(VALU_DEP_1)
	v_frexp_mant_f64_e32 v[6:7], v[44:45]
	v_cmp_gt_f64_e32 vcc_lo, s[28:29], v[6:7]
	v_cndmask_b32_e64 v8, 0, 1, vcc_lo
	s_delay_alu instid0(VALU_DEP_1) | instskip(SKIP_1) | instid1(VALU_DEP_1)
	v_ldexp_f64 v[6:7], v[6:7], v8
	v_frexp_exp_i32_f64_e32 v8, v[44:45]
	v_subrev_co_ci_u32_e64 v8, null, 0, v8, vcc_lo
	v_cmp_class_f64_e64 vcc_lo, v[44:45], 0x204
	s_delay_alu instid0(VALU_DEP_4) | instskip(SKIP_1) | instid1(VALU_DEP_2)
	v_add_f64_e32 v[10:11], 1.0, v[6:7]
	v_add_f64_e32 v[48:49], -1.0, v[6:7]
	v_rcp_f64_e32 v[42:43], v[10:11]
	v_add_f64_e32 v[50:51], -1.0, v[10:11]
	s_delay_alu instid0(VALU_DEP_1) | instskip(NEXT) | instid1(TRANS32_DEP_1)
	v_add_f64_e64 v[6:7], v[6:7], -v[50:51]
	v_fma_f64 v[46:47], -v[10:11], v[42:43], 1.0
	s_delay_alu instid0(VALU_DEP_1) | instskip(NEXT) | instid1(VALU_DEP_1)
	v_fmac_f64_e32 v[42:43], v[46:47], v[42:43]
	v_fma_f64 v[46:47], -v[10:11], v[42:43], 1.0
	s_delay_alu instid0(VALU_DEP_1) | instskip(NEXT) | instid1(VALU_DEP_1)
	v_fmac_f64_e32 v[42:43], v[46:47], v[42:43]
	v_mul_f64_e32 v[46:47], v[48:49], v[42:43]
	s_delay_alu instid0(VALU_DEP_1) | instskip(NEXT) | instid1(VALU_DEP_1)
	v_mul_f64_e32 v[52:53], v[10:11], v[46:47]
	v_fma_f64 v[10:11], v[46:47], v[10:11], -v[52:53]
	s_delay_alu instid0(VALU_DEP_1) | instskip(NEXT) | instid1(VALU_DEP_1)
	v_fmac_f64_e32 v[10:11], v[46:47], v[6:7]
	v_add_f64_e32 v[6:7], v[52:53], v[10:11]
	s_delay_alu instid0(VALU_DEP_1) | instskip(SKIP_1) | instid1(VALU_DEP_2)
	v_add_f64_e64 v[50:51], v[48:49], -v[6:7]
	v_add_f64_e64 v[52:53], v[6:7], -v[52:53]
	;; [unrolled: 1-line block ×3, first 2 shown]
	s_delay_alu instid0(VALU_DEP_2) | instskip(NEXT) | instid1(VALU_DEP_2)
	v_add_f64_e64 v[10:11], v[52:53], -v[10:11]
	v_add_f64_e64 v[6:7], v[48:49], -v[6:7]
	s_delay_alu instid0(VALU_DEP_1) | instskip(NEXT) | instid1(VALU_DEP_1)
	v_add_f64_e32 v[6:7], v[10:11], v[6:7]
	v_add_f64_e32 v[6:7], v[50:51], v[6:7]
	s_delay_alu instid0(VALU_DEP_1) | instskip(NEXT) | instid1(VALU_DEP_1)
	v_mul_f64_e32 v[6:7], v[42:43], v[6:7]
	v_add_f64_e32 v[10:11], v[46:47], v[6:7]
	s_delay_alu instid0(VALU_DEP_1) | instskip(NEXT) | instid1(VALU_DEP_1)
	v_mul_f64_e32 v[42:43], v[10:11], v[10:11]
	v_fmamk_f64 v[48:49], v[42:43], 0x3fc3ab76bf559e2b, v[24:25]
	v_mul_f64_e32 v[50:51], v[10:11], v[42:43]
	s_delay_alu instid0(VALU_DEP_2) | instskip(NEXT) | instid1(VALU_DEP_1)
	v_fmaak_f64 v[48:49], v[42:43], v[48:49], 0x3fc7474dd7f4df2e
	v_fmaak_f64 v[48:49], v[42:43], v[48:49], 0x3fcc71c016291751
	s_delay_alu instid0(VALU_DEP_1) | instskip(NEXT) | instid1(VALU_DEP_1)
	v_fmaak_f64 v[48:49], v[42:43], v[48:49], 0x3fd249249b27acf1
	v_fmaak_f64 v[48:49], v[42:43], v[48:49], 0x3fd99999998ef7b6
	s_delay_alu instid0(VALU_DEP_1) | instskip(SKIP_2) | instid1(VALU_DEP_3)
	v_fmaak_f64 v[42:43], v[42:43], v[48:49], 0x3fe5555555555780
	v_ldexp_f64 v[48:49], v[10:11], 1
	v_add_f64_e64 v[10:11], v[10:11], -v[46:47]
	v_mul_f64_e32 v[42:43], v[50:51], v[42:43]
	v_cvt_f64_i32_e32 v[50:51], v8
	s_delay_alu instid0(VALU_DEP_3) | instskip(NEXT) | instid1(VALU_DEP_3)
	v_add_f64_e64 v[6:7], v[6:7], -v[10:11]
	v_add_f64_e32 v[46:47], v[48:49], v[42:43]
	s_delay_alu instid0(VALU_DEP_3) | instskip(NEXT) | instid1(VALU_DEP_3)
	v_mul_f64_e32 v[52:53], 0x3fe62e42fefa39ef, v[50:51]
	v_ldexp_f64 v[6:7], v[6:7], 1
	s_delay_alu instid0(VALU_DEP_3) | instskip(NEXT) | instid1(VALU_DEP_3)
	v_add_f64_e64 v[10:11], v[46:47], -v[48:49]
	v_fma_f64 v[48:49], v[50:51], s[30:31], -v[52:53]
	s_delay_alu instid0(VALU_DEP_2) | instskip(NEXT) | instid1(VALU_DEP_2)
	v_add_f64_e64 v[10:11], v[42:43], -v[10:11]
	v_fmac_f64_e32 v[48:49], 0x3c7abc9e3b39803f, v[50:51]
	s_delay_alu instid0(VALU_DEP_2) | instskip(NEXT) | instid1(VALU_DEP_2)
	v_add_f64_e32 v[6:7], v[6:7], v[10:11]
	v_add_f64_e32 v[10:11], v[52:53], v[48:49]
	s_delay_alu instid0(VALU_DEP_2) | instskip(NEXT) | instid1(VALU_DEP_2)
	v_add_f64_e32 v[42:43], v[46:47], v[6:7]
	v_add_f64_e64 v[52:53], v[10:11], -v[52:53]
	s_delay_alu instid0(VALU_DEP_2) | instskip(SKIP_1) | instid1(VALU_DEP_3)
	v_add_f64_e32 v[50:51], v[10:11], v[42:43]
	v_add_f64_e64 v[46:47], v[42:43], -v[46:47]
	v_add_f64_e64 v[48:49], v[48:49], -v[52:53]
	s_delay_alu instid0(VALU_DEP_3) | instskip(NEXT) | instid1(VALU_DEP_3)
	v_add_f64_e64 v[54:55], v[50:51], -v[10:11]
	v_add_f64_e64 v[6:7], v[6:7], -v[46:47]
	s_delay_alu instid0(VALU_DEP_2) | instskip(SKIP_1) | instid1(VALU_DEP_3)
	v_add_f64_e64 v[56:57], v[50:51], -v[54:55]
	v_add_f64_e64 v[42:43], v[42:43], -v[54:55]
	v_add_f64_e32 v[46:47], v[48:49], v[6:7]
	s_delay_alu instid0(VALU_DEP_3) | instskip(NEXT) | instid1(VALU_DEP_1)
	v_add_f64_e64 v[10:11], v[10:11], -v[56:57]
	v_add_f64_e32 v[10:11], v[42:43], v[10:11]
	s_delay_alu instid0(VALU_DEP_3) | instskip(NEXT) | instid1(VALU_DEP_2)
	v_add_f64_e64 v[42:43], v[46:47], -v[48:49]
	v_add_f64_e32 v[10:11], v[46:47], v[10:11]
	s_delay_alu instid0(VALU_DEP_2) | instskip(SKIP_1) | instid1(VALU_DEP_3)
	v_add_f64_e64 v[46:47], v[46:47], -v[42:43]
	v_add_f64_e64 v[6:7], v[6:7], -v[42:43]
	v_add_f64_e32 v[52:53], v[50:51], v[10:11]
	s_delay_alu instid0(VALU_DEP_3) | instskip(NEXT) | instid1(VALU_DEP_2)
	v_add_f64_e64 v[42:43], v[48:49], -v[46:47]
	v_add_f64_e64 v[46:47], v[52:53], -v[50:51]
	s_delay_alu instid0(VALU_DEP_2) | instskip(SKIP_1) | instid1(VALU_DEP_3)
	v_add_f64_e32 v[6:7], v[6:7], v[42:43]
	v_mov_b64_e32 v[42:43], 0x7ff8000000000000
	v_add_f64_e64 v[10:11], v[10:11], -v[46:47]
	s_delay_alu instid0(VALU_DEP_1) | instskip(NEXT) | instid1(VALU_DEP_1)
	v_add_f64_e32 v[6:7], v[6:7], v[10:11]
	v_add_f64_e32 v[6:7], v[52:53], v[6:7]
	s_delay_alu instid0(VALU_DEP_1) | instskip(SKIP_1) | instid1(VALU_DEP_2)
	v_dual_cndmask_b32 v6, v6, v44 :: v_dual_cndmask_b32 v7, v7, v45
	v_cmp_ngt_f64_e32 vcc_lo, 0, v[44:45]
	v_cndmask_b32_e32 v7, 0x7ff80000, v7, vcc_lo
	v_cmp_nge_f64_e32 vcc_lo, 0, v[44:45]
	s_delay_alu instid0(VALU_DEP_4) | instskip(SKIP_1) | instid1(VALU_DEP_4)
	v_cndmask_b32_e32 v10, 0, v6, vcc_lo
	v_cmp_neq_f64_e32 vcc_lo, 0, v[44:45]
	v_cndmask_b32_e32 v11, 0xfff00000, v7, vcc_lo
.LBB179_255:                            ;   in Loop: Header=BB179_145 Depth=1
	s_or_b32 exec_lo, exec_lo, s4
                                        ; implicit-def: $vgpr6_vgpr7
                                        ; implicit-def: $vgpr44_vgpr45
	s_delay_alu instid0(SALU_CYCLE_1)
	s_mov_b32 s4, exec_lo
	v_cmpx_o_f64_e32 v[2:3], v[4:5]
	s_xor_b32 s15, exec_lo, s4
	s_cbranch_execnz .LBB179_261
; %bb.256:                              ;   in Loop: Header=BB179_145 Depth=1
	s_and_not1_saveexec_b32 s4, s15
	s_cbranch_execnz .LBB179_288
.LBB179_257:                            ;   in Loop: Header=BB179_145 Depth=1
	s_or_b32 exec_lo, exec_lo, s4
	s_and_saveexec_b32 s4, s3
	s_delay_alu instid0(SALU_CYCLE_1)
	s_xor_b32 s4, exec_lo, s4
	s_cbranch_execnz .LBB179_293
.LBB179_258:                            ;   in Loop: Header=BB179_145 Depth=1
	s_or_b32 exec_lo, exec_lo, s4
	s_and_saveexec_b32 s3, s2
	s_cbranch_execnz .LBB179_294
.LBB179_259:                            ;   in Loop: Header=BB179_145 Depth=1
	s_or_b32 exec_lo, exec_lo, s3
	s_and_saveexec_b32 s2, s1
	s_cbranch_execnz .LBB179_295
.LBB179_260:                            ;   in Loop: Header=BB179_145 Depth=1
	s_or_b32 exec_lo, exec_lo, s2
	s_and_saveexec_b32 s1, s0
	s_cbranch_execz .LBB179_144
	s_branch .LBB179_296
.LBB179_261:                            ;   in Loop: Header=BB179_145 Depth=1
	v_cmp_lt_f64_e64 s4, |v[2:3]|, |v[4:5]|
	v_and_b32_e32 v12, 0x7fffffff, v3
	v_and_b32_e32 v21, 0x7fffffff, v5
	v_mov_b32_e32 v8, v4
                                        ; implicit-def: $vgpr6_vgpr7
                                        ; implicit-def: $vgpr44_vgpr45
	s_mov_b32 s5, exec_lo
	s_delay_alu instid0(VALU_DEP_2) | instskip(NEXT) | instid1(VALU_DEP_1)
	v_dual_cndmask_b32 v49, v21, v12, s4 :: v_dual_cndmask_b32 v48, v4, v2, s4
	v_cmpx_nlt_f64_e32 s[22:23], v[48:49]
	s_xor_b32 s33, exec_lo, s5
	s_cbranch_execz .LBB179_285
; %bb.262:                              ;   in Loop: Header=BB179_145 Depth=1
	v_dual_cndmask_b32 v51, v12, v21, s4 :: v_dual_cndmask_b32 v50, v2, v8, s4
                                        ; implicit-def: $vgpr6_vgpr7
                                        ; implicit-def: $vgpr44_vgpr45
	s_mov_b32 s5, exec_lo
	s_delay_alu instid0(VALU_DEP_1)
	v_cmpx_neq_f64_e32 1.0, v[50:51]
	s_xor_b32 s54, exec_lo, s5
	s_cbranch_execz .LBB179_278
; %bb.263:                              ;   in Loop: Header=BB179_145 Depth=1
	v_max_num_f64_e32 v[6:7], v[48:49], v[48:49]
	v_max_num_f64_e32 v[44:45], v[50:51], v[50:51]
	s_delay_alu instid0(VALU_DEP_1) | instskip(SKIP_1) | instid1(VALU_DEP_2)
	v_min_num_f64_e32 v[46:47], v[44:45], v[6:7]
	v_max_num_f64_e32 v[6:7], v[44:45], v[6:7]
                                        ; implicit-def: $vgpr44_vgpr45
	v_cmp_ngt_f64_e32 vcc_lo, s[24:25], v[46:47]
	s_delay_alu instid0(VALU_DEP_2) | instskip(SKIP_1) | instid1(SALU_CYCLE_1)
	v_cmp_nlt_f64_e64 s5, s[26:27], v[6:7]
                                        ; implicit-def: $vgpr6_vgpr7
	s_and_b32 s5, s5, vcc_lo
	s_and_saveexec_b32 s6, s5
	s_delay_alu instid0(SALU_CYCLE_1)
	s_xor_b32 s55, exec_lo, s6
	s_cbranch_execz .LBB179_275
; %bb.264:                              ;   in Loop: Header=BB179_145 Depth=1
                                        ; implicit-def: $vgpr6_vgpr7
                                        ; implicit-def: $vgpr44_vgpr45
	s_mov_b32 s5, exec_lo
	v_cmpx_le_f64_e32 1.0, v[50:51]
	s_xor_b32 s8, exec_lo, s5
	s_cbranch_execz .LBB179_266
; %bb.265:                              ;   in Loop: Header=BB179_145 Depth=1
	v_add_f64_e32 v[6:7], -1.0, v[50:51]
	v_cmp_eq_f64_e64 s5, 0, v[4:5]
	v_add_f64_e32 v[44:45], 1.0, v[50:51]
	v_cmp_class_f64_e64 s10, v[2:3], 0x204
	v_cmp_class_f64_e64 s9, v[4:5], 0x204
	s_delay_alu instid0(VALU_DEP_3) | instskip(NEXT) | instid1(VALU_DEP_1)
	v_mul_f64_e32 v[46:47], v[6:7], v[44:45]
	v_fmac_f64_e32 v[46:47], v[48:49], v[48:49]
	s_delay_alu instid0(VALU_DEP_1) | instskip(SKIP_2) | instid1(VALU_DEP_3)
	v_add_f64_e32 v[6:7], 1.0, v[46:47]
	v_cmp_nge_f64_e64 s6, -1.0, v[46:47]
	v_cmp_neq_f64_e64 s7, 0x7ff00000, v[46:47]
	v_frexp_mant_f64_e32 v[44:45], v[6:7]
	v_frexp_exp_i32_f64_e32 v8, v[6:7]
	v_add_f64_e32 v[48:49], -1.0, v[6:7]
	s_delay_alu instid0(VALU_DEP_3) | instskip(NEXT) | instid1(VALU_DEP_2)
	v_cmp_gt_f64_e32 vcc_lo, s[28:29], v[44:45]
	v_add_f64_e64 v[44:45], v[48:49], -v[6:7]
	v_add_f64_e64 v[48:49], v[46:47], -v[48:49]
	v_subrev_co_ci_u32_e64 v8, null, 0, v8, vcc_lo
	s_delay_alu instid0(VALU_DEP_3) | instskip(NEXT) | instid1(VALU_DEP_2)
	v_add_f64_e32 v[44:45], 1.0, v[44:45]
	v_sub_nc_u32_e32 v12, 0, v8
	s_delay_alu instid0(VALU_DEP_1) | instskip(NEXT) | instid1(VALU_DEP_3)
	v_ldexp_f64 v[6:7], v[6:7], v12
	v_add_f64_e32 v[44:45], v[48:49], v[44:45]
	s_delay_alu instid0(VALU_DEP_2) | instskip(SKIP_1) | instid1(VALU_DEP_3)
	v_add_f64_e32 v[50:51], 1.0, v[6:7]
	v_add_f64_e32 v[56:57], -1.0, v[6:7]
	v_ldexp_f64 v[44:45], v[44:45], v12
	s_delay_alu instid0(VALU_DEP_3) | instskip(NEXT) | instid1(VALU_DEP_3)
	v_add_f64_e32 v[48:49], -1.0, v[50:51]
	v_add_f64_e32 v[58:59], 1.0, v[56:57]
	s_delay_alu instid0(VALU_DEP_2) | instskip(NEXT) | instid1(VALU_DEP_2)
	v_add_f64_e64 v[48:49], v[6:7], -v[48:49]
	v_add_f64_e64 v[6:7], v[6:7], -v[58:59]
	s_delay_alu instid0(VALU_DEP_2) | instskip(NEXT) | instid1(VALU_DEP_2)
	v_add_f64_e32 v[48:49], v[44:45], v[48:49]
	v_add_f64_e32 v[6:7], v[44:45], v[6:7]
	s_delay_alu instid0(VALU_DEP_2) | instskip(NEXT) | instid1(VALU_DEP_2)
	v_add_f64_e32 v[52:53], v[50:51], v[48:49]
	v_add_f64_e32 v[58:59], v[56:57], v[6:7]
	s_delay_alu instid0(VALU_DEP_2) | instskip(SKIP_1) | instid1(VALU_DEP_2)
	v_rcp_f64_e32 v[54:55], v[52:53]
	v_add_f64_e64 v[50:51], v[52:53], -v[50:51]
	v_add_f64_e64 v[56:57], v[58:59], -v[56:57]
	s_delay_alu instid0(VALU_DEP_2) | instskip(NEXT) | instid1(VALU_DEP_2)
	v_add_f64_e64 v[48:49], v[48:49], -v[50:51]
	v_add_f64_e64 v[6:7], v[6:7], -v[56:57]
	s_delay_alu instid0(TRANS32_DEP_1) | instskip(NEXT) | instid1(VALU_DEP_1)
	v_fma_f64 v[60:61], -v[52:53], v[54:55], 1.0
	v_fmac_f64_e32 v[54:55], v[60:61], v[54:55]
	s_delay_alu instid0(VALU_DEP_1) | instskip(NEXT) | instid1(VALU_DEP_1)
	v_fma_f64 v[44:45], -v[52:53], v[54:55], 1.0
	v_fmac_f64_e32 v[54:55], v[44:45], v[54:55]
	s_delay_alu instid0(VALU_DEP_1) | instskip(NEXT) | instid1(VALU_DEP_1)
	v_mul_f64_e32 v[44:45], v[58:59], v[54:55]
	v_mul_f64_e32 v[60:61], v[52:53], v[44:45]
	s_delay_alu instid0(VALU_DEP_1) | instskip(NEXT) | instid1(VALU_DEP_1)
	v_fma_f64 v[50:51], v[44:45], v[52:53], -v[60:61]
	v_fmac_f64_e32 v[50:51], v[44:45], v[48:49]
	s_delay_alu instid0(VALU_DEP_1) | instskip(NEXT) | instid1(VALU_DEP_1)
	v_add_f64_e32 v[62:63], v[60:61], v[50:51]
	v_add_f64_e64 v[64:65], v[58:59], -v[62:63]
	v_add_f64_e64 v[56:57], v[62:63], -v[60:61]
	s_delay_alu instid0(VALU_DEP_2) | instskip(NEXT) | instid1(VALU_DEP_2)
	v_add_f64_e64 v[58:59], v[58:59], -v[64:65]
	v_add_f64_e64 v[50:51], v[56:57], -v[50:51]
	s_delay_alu instid0(VALU_DEP_2) | instskip(NEXT) | instid1(VALU_DEP_1)
	v_add_f64_e64 v[58:59], v[58:59], -v[62:63]
	v_add_f64_e32 v[6:7], v[6:7], v[58:59]
	s_delay_alu instid0(VALU_DEP_1) | instskip(NEXT) | instid1(VALU_DEP_1)
	v_add_f64_e32 v[6:7], v[50:51], v[6:7]
	v_add_f64_e32 v[50:51], v[64:65], v[6:7]
	s_delay_alu instid0(VALU_DEP_1) | instskip(SKIP_1) | instid1(VALU_DEP_2)
	v_mul_f64_e32 v[56:57], v[54:55], v[50:51]
	v_add_f64_e64 v[62:63], v[64:65], -v[50:51]
	v_mul_f64_e32 v[58:59], v[52:53], v[56:57]
	s_delay_alu instid0(VALU_DEP_2) | instskip(NEXT) | instid1(VALU_DEP_2)
	v_add_f64_e32 v[6:7], v[6:7], v[62:63]
	v_fma_f64 v[52:53], v[56:57], v[52:53], -v[58:59]
	s_delay_alu instid0(VALU_DEP_1) | instskip(NEXT) | instid1(VALU_DEP_1)
	v_fmac_f64_e32 v[52:53], v[56:57], v[48:49]
	v_add_f64_e32 v[48:49], v[58:59], v[52:53]
	s_delay_alu instid0(VALU_DEP_1) | instskip(SKIP_1) | instid1(VALU_DEP_2)
	v_add_f64_e64 v[60:61], v[50:51], -v[48:49]
	v_add_f64_e64 v[58:59], v[48:49], -v[58:59]
	;; [unrolled: 1-line block ×3, first 2 shown]
	s_delay_alu instid0(VALU_DEP_1) | instskip(NEXT) | instid1(VALU_DEP_3)
	v_add_f64_e64 v[48:49], v[50:51], -v[48:49]
	v_add_f64_e64 v[50:51], v[58:59], -v[52:53]
	v_max_num_f64_e64 v[52:53], |v[2:3]|, |v[2:3]|
	s_delay_alu instid0(VALU_DEP_3) | instskip(SKIP_1) | instid1(VALU_DEP_2)
	v_add_f64_e32 v[6:7], v[6:7], v[48:49]
	v_add_f64_e32 v[48:49], v[44:45], v[56:57]
	;; [unrolled: 1-line block ×3, first 2 shown]
	s_delay_alu instid0(VALU_DEP_2) | instskip(SKIP_1) | instid1(VALU_DEP_3)
	v_add_f64_e64 v[44:45], v[48:49], -v[44:45]
	v_max_num_f64_e64 v[50:51], |v[4:5]|, |v[4:5]|
	v_add_f64_e32 v[6:7], v[60:61], v[6:7]
	s_delay_alu instid0(VALU_DEP_3) | instskip(NEXT) | instid1(VALU_DEP_2)
	v_add_f64_e64 v[44:45], v[56:57], -v[44:45]
	v_mul_f64_e32 v[6:7], v[54:55], v[6:7]
	s_delay_alu instid0(VALU_DEP_1) | instskip(SKIP_2) | instid1(VALU_DEP_3)
	v_add_f64_e32 v[6:7], v[44:45], v[6:7]
	v_max_num_f64_e32 v[44:45], v[52:53], v[50:51]
	v_min_num_f64_e32 v[50:51], v[52:53], v[50:51]
	v_add_f64_e32 v[52:53], v[48:49], v[6:7]
	s_delay_alu instid0(VALU_DEP_2) | instskip(NEXT) | instid1(VALU_DEP_2)
	v_div_scale_f64 v[54:55], null, v[44:45], v[44:45], v[50:51]
	v_mul_f64_e32 v[56:57], v[52:53], v[52:53]
	v_add_f64_e64 v[48:49], v[52:53], -v[48:49]
	s_delay_alu instid0(VALU_DEP_3) | instskip(NEXT) | instid1(VALU_DEP_2)
	v_rcp_f64_e32 v[58:59], v[54:55]
	v_fmamk_f64 v[60:61], v[56:57], 0x3fc3ab76bf559e2b, v[24:25]
	v_mul_f64_e32 v[62:63], v[52:53], v[56:57]
	s_delay_alu instid0(VALU_DEP_3) | instskip(NEXT) | instid1(VALU_DEP_3)
	v_add_f64_e64 v[6:7], v[6:7], -v[48:49]
	v_fmaak_f64 v[60:61], v[56:57], v[60:61], 0x3fc7474dd7f4df2e
	s_delay_alu instid0(TRANS32_DEP_1) | instskip(NEXT) | instid1(VALU_DEP_2)
	v_fma_f64 v[64:65], -v[54:55], v[58:59], 1.0
	v_fmaak_f64 v[60:61], v[56:57], v[60:61], 0x3fcc71c016291751
	s_delay_alu instid0(VALU_DEP_1) | instskip(NEXT) | instid1(VALU_DEP_1)
	v_fmaak_f64 v[60:61], v[56:57], v[60:61], 0x3fd249249b27acf1
	v_fmaak_f64 v[60:61], v[56:57], v[60:61], 0x3fd99999998ef7b6
	v_ldexp_f64 v[6:7], v[6:7], 1
	s_delay_alu instid0(VALU_DEP_2) | instskip(SKIP_2) | instid1(VALU_DEP_3)
	v_fmaak_f64 v[56:57], v[56:57], v[60:61], 0x3fe5555555555780
	v_ldexp_f64 v[60:61], v[52:53], 1
	v_fmac_f64_e32 v[58:59], v[58:59], v[64:65]
	v_mul_f64_e32 v[56:57], v[62:63], v[56:57]
	v_cvt_f64_i32_e32 v[62:63], v8
	v_ashrrev_i32_e32 v8, 31, v3
	s_delay_alu instid0(VALU_DEP_1) | instskip(SKIP_3) | instid1(VALU_DEP_3)
	v_and_b32_e32 v16, 0x54442d18, v8
	v_fma_f64 v[64:65], -v[54:55], v[58:59], 1.0
	v_add_f64_e32 v[52:53], v[60:61], v[56:57]
	v_mul_f64_e32 v[66:67], 0x3fe62e42fefa39ef, v[62:63]
	v_fmac_f64_e32 v[58:59], v[58:59], v[64:65]
	s_delay_alu instid0(VALU_DEP_3) | instskip(SKIP_1) | instid1(VALU_DEP_4)
	v_add_f64_e64 v[48:49], v[52:53], -v[60:61]
	v_div_scale_f64 v[60:61], vcc_lo, v[50:51], v[44:45], v[50:51]
	v_fma_f64 v[64:65], v[62:63], s[30:31], -v[66:67]
	s_delay_alu instid0(VALU_DEP_3) | instskip(NEXT) | instid1(VALU_DEP_3)
	v_add_f64_e64 v[48:49], v[56:57], -v[48:49]
	v_mul_f64_e32 v[56:57], v[60:61], v[58:59]
	s_delay_alu instid0(VALU_DEP_3) | instskip(NEXT) | instid1(VALU_DEP_3)
	v_fmac_f64_e32 v[64:65], 0x3c7abc9e3b39803f, v[62:63]
	v_add_f64_e32 v[6:7], v[6:7], v[48:49]
	s_delay_alu instid0(VALU_DEP_3) | instskip(NEXT) | instid1(VALU_DEP_3)
	v_fma_f64 v[48:49], -v[54:55], v[56:57], v[60:61]
	v_add_f64_e32 v[54:55], v[66:67], v[64:65]
	s_delay_alu instid0(VALU_DEP_3) | instskip(NEXT) | instid1(VALU_DEP_3)
	v_add_f64_e32 v[60:61], v[52:53], v[6:7]
	v_div_fmas_f64 v[48:49], v[48:49], v[58:59], v[56:57]
	v_cmp_gt_i32_e32 vcc_lo, 0, v3
	s_delay_alu instid0(VALU_DEP_4) | instskip(SKIP_3) | instid1(VALU_DEP_1)
	v_add_f64_e64 v[58:59], v[54:55], -v[66:67]
	v_and_b32_e32 v3, 0x400921fb, v8
	v_cndmask_b32_e32 v12, 0x54442d18, v68, vcc_lo
	v_cndmask_b32_e32 v2, 0x3fe921fb, v69, vcc_lo
	v_bfi_b32 v2, 0x7fffffff, v2, v5
	v_add_f64_e32 v[56:57], v[54:55], v[60:61]
	v_div_fixup_f64 v[44:45], v[48:49], v[44:45], v[50:51]
	v_add_f64_e64 v[52:53], v[60:61], -v[52:53]
	v_add_f64_e64 v[58:59], v[64:65], -v[58:59]
	s_delay_alu instid0(VALU_DEP_4) | instskip(NEXT) | instid1(VALU_DEP_4)
	v_add_f64_e64 v[48:49], v[56:57], -v[54:55]
	v_mul_f64_e32 v[50:51], v[44:45], v[44:45]
	s_delay_alu instid0(VALU_DEP_4) | instskip(NEXT) | instid1(VALU_DEP_3)
	v_add_f64_e64 v[6:7], v[6:7], -v[52:53]
	v_add_f64_e64 v[62:63], v[56:57], -v[48:49]
	s_delay_alu instid0(VALU_DEP_3) | instskip(SKIP_1) | instid1(VALU_DEP_4)
	v_fmamk_f64 v[66:67], v[50:51], 0x3eeba404b5e68a13, v[26:27]
	v_add_f64_e64 v[48:49], v[60:61], -v[48:49]
	v_add_f64_e32 v[60:61], v[58:59], v[6:7]
	s_delay_alu instid0(VALU_DEP_3) | instskip(SKIP_1) | instid1(VALU_DEP_2)
	v_fmaak_f64 v[66:67], v[50:51], v[66:67], 0x3f4b2bb069efb384
	v_add_f64_e64 v[52:53], v[54:55], -v[62:63]
	v_fmaak_f64 v[54:55], v[50:51], v[66:67], 0xbf67952daf56de9b
	s_delay_alu instid0(VALU_DEP_1) | instskip(NEXT) | instid1(VALU_DEP_1)
	v_fmaak_f64 v[54:55], v[50:51], v[54:55], 0x3f7d6d43a595c56f
	v_fmaak_f64 v[54:55], v[50:51], v[54:55], 0xbf8c6ea4a57d9582
	s_delay_alu instid0(VALU_DEP_1) | instskip(NEXT) | instid1(VALU_DEP_1)
	v_fmaak_f64 v[54:55], v[50:51], v[54:55], 0x3f967e295f08b19f
	v_fmaak_f64 v[54:55], v[50:51], v[54:55], 0xbf9e9ae6fc27006a
	v_add_f64_e32 v[48:49], v[48:49], v[52:53]
	s_delay_alu instid0(VALU_DEP_2) | instskip(SKIP_1) | instid1(VALU_DEP_2)
	v_fmaak_f64 v[52:53], v[50:51], v[54:55], 0x3fa2c15b5711927a
	v_add_f64_e64 v[54:55], v[60:61], -v[58:59]
	v_fmaak_f64 v[52:53], v[50:51], v[52:53], 0xbfa59976e82d3ff0
	s_delay_alu instid0(VALU_DEP_1) | instskip(NEXT) | instid1(VALU_DEP_1)
	v_fmaak_f64 v[52:53], v[50:51], v[52:53], 0x3fa82d5d6ef28734
	v_fmaak_f64 v[52:53], v[50:51], v[52:53], 0xbfaae5ce6a214619
	s_delay_alu instid0(VALU_DEP_1) | instskip(SKIP_3) | instid1(VALU_DEP_4)
	v_fmaak_f64 v[52:53], v[50:51], v[52:53], 0x3fae1bb48427b883
	v_add_f64_e32 v[48:49], v[60:61], v[48:49]
	v_add_f64_e64 v[60:61], v[60:61], -v[54:55]
	v_add_f64_e64 v[6:7], v[6:7], -v[54:55]
	v_fmaak_f64 v[52:53], v[50:51], v[52:53], 0xbfb110e48b207f05
	s_delay_alu instid0(VALU_DEP_1) | instskip(NEXT) | instid1(VALU_DEP_1)
	v_fmaak_f64 v[52:53], v[50:51], v[52:53], 0x3fb3b13657b87036
	v_fmaak_f64 v[52:53], v[50:51], v[52:53], 0xbfb745d119378e4f
	s_delay_alu instid0(VALU_DEP_1) | instskip(SKIP_1) | instid1(VALU_DEP_2)
	v_fmaak_f64 v[52:53], v[50:51], v[52:53], 0x3fbc71c717e1913c
	v_add_f64_e32 v[62:63], v[56:57], v[48:49]
	v_fmaak_f64 v[52:53], v[50:51], v[52:53], 0xbfc2492492376b7d
	s_delay_alu instid0(VALU_DEP_1) | instskip(NEXT) | instid1(VALU_DEP_1)
	v_fmaak_f64 v[52:53], v[50:51], v[52:53], 0x3fc99999999952cc
	v_fmaak_f64 v[52:53], v[50:51], v[52:53], 0xbfd5555555555523
	s_delay_alu instid0(VALU_DEP_1) | instskip(SKIP_2) | instid1(VALU_DEP_3)
	v_mul_f64_e32 v[50:51], v[50:51], v[52:53]
	v_add_f64_e64 v[52:53], v[58:59], -v[60:61]
	v_add_f64_e64 v[54:55], v[62:63], -v[56:57]
	v_fmac_f64_e32 v[44:45], v[44:45], v[50:51]
	s_delay_alu instid0(VALU_DEP_3) | instskip(NEXT) | instid1(VALU_DEP_3)
	v_add_f64_e32 v[6:7], v[6:7], v[52:53]
	v_add_f64_e64 v[48:49], v[48:49], -v[54:55]
	s_delay_alu instid0(VALU_DEP_3) | instskip(NEXT) | instid1(VALU_DEP_1)
	v_add_f64_e64 v[50:51], -v[44:45], s[38:39]
	v_dual_add_f64 v[6:7], v[6:7], v[48:49] :: v_dual_cndmask_b32 v45, v45, v51, s4
	s_delay_alu instid0(VALU_DEP_2) | instskip(NEXT) | instid1(VALU_DEP_1)
	v_cndmask_b32_e64 v44, v44, v50, s4
                                        ; implicit-def: $vgpr50_vgpr51
	v_add_f64_e64 v[48:49], -v[44:45], s[40:41]
	s_delay_alu instid0(VALU_DEP_1) | instskip(NEXT) | instid1(VALU_DEP_2)
	v_dual_add_f64 v[6:7], v[62:63], v[6:7] :: v_dual_cndmask_b32 v21, v44, v48, vcc_lo
	v_cndmask_b32_e32 v8, v45, v49, vcc_lo
	v_cmp_ngt_f64_e32 vcc_lo, -1.0, v[46:47]
	s_delay_alu instid0(VALU_DEP_3) | instskip(NEXT) | instid1(VALU_DEP_3)
	v_mul_f64_e32 v[6:7], 0.5, v[6:7]
                                        ; implicit-def: $vgpr48_vgpr49
	v_dual_cndmask_b32 v16, v21, v16, s5 :: v_dual_cndmask_b32 v3, v8, v3, s5
	s_and_b32 s5, s6, s7
	s_delay_alu instid0(VALU_DEP_2) | instid1(SALU_CYCLE_1)
	v_cndmask_b32_e64 v6, 0, v6, s5
	v_cmp_neq_f64_e64 s5, -1.0, v[46:47]
	s_delay_alu instid0(VALU_DEP_4) | instskip(NEXT) | instid1(VALU_DEP_1)
	v_cndmask_b32_e64 v7, 0x7ff00000, v7, s7
	v_cndmask_b32_e32 v7, 0x7ff80000, v7, vcc_lo
	s_and_b32 vcc_lo, s9, s10
	v_dual_cndmask_b32 v45, v3, v2 :: v_dual_cndmask_b32 v44, v16, v12
	s_delay_alu instid0(VALU_DEP_2)
	v_cndmask_b32_e64 v7, 0xfff00000, v7, s5
.LBB179_266:                            ;   in Loop: Header=BB179_145 Depth=1
	s_and_not1_saveexec_b32 s56, s8
	s_cbranch_execz .LBB179_274
; %bb.267:                              ;   in Loop: Header=BB179_145 Depth=1
	v_mul_f64_e32 v[46:47], v[48:49], v[48:49]
                                        ; implicit-def: $vgpr6_vgpr7
                                        ; implicit-def: $vgpr44_vgpr45
	s_mov_b32 s5, exec_lo
	s_delay_alu instid0(VALU_DEP_1) | instskip(NEXT) | instid1(VALU_DEP_1)
	v_fmac_f64_e32 v[46:47], v[50:51], v[50:51]
	v_cmpx_ge_f64_e32 s[42:43], v[46:47]
	s_xor_b32 s7, exec_lo, s5
	s_cbranch_execz .LBB179_269
; %bb.268:                              ;   in Loop: Header=BB179_145 Depth=1
	v_frexp_mant_f64_e32 v[6:7], v[46:47]
	v_cmp_eq_f64_e64 s5, 0, v[4:5]
	v_cmp_neq_f64_e64 s6, 0, v[46:47]
	v_cmp_class_f64_e64 s8, v[4:5], 0x204
	v_cmp_class_f64_e64 s9, v[2:3], 0x204
	v_cmp_gt_f64_e32 vcc_lo, s[28:29], v[6:7]
	v_cndmask_b32_e64 v8, 0, 1, vcc_lo
	s_delay_alu instid0(VALU_DEP_1) | instskip(SKIP_1) | instid1(VALU_DEP_2)
	v_ldexp_f64 v[6:7], v[6:7], v8
	v_frexp_exp_i32_f64_e32 v8, v[46:47]
	v_add_f64_e32 v[44:45], 1.0, v[6:7]
	v_add_f64_e32 v[52:53], -1.0, v[6:7]
	s_delay_alu instid0(VALU_DEP_3) | instskip(NEXT) | instid1(VALU_DEP_3)
	v_subrev_co_ci_u32_e64 v8, null, 0, v8, vcc_lo
	v_rcp_f64_e32 v[48:49], v[44:45]
	v_add_f64_e32 v[54:55], -1.0, v[44:45]
	s_delay_alu instid0(VALU_DEP_1) | instskip(NEXT) | instid1(TRANS32_DEP_1)
	v_add_f64_e64 v[6:7], v[6:7], -v[54:55]
	v_fma_f64 v[50:51], -v[44:45], v[48:49], 1.0
	s_delay_alu instid0(VALU_DEP_1) | instskip(NEXT) | instid1(VALU_DEP_1)
	v_fmac_f64_e32 v[48:49], v[50:51], v[48:49]
	v_fma_f64 v[50:51], -v[44:45], v[48:49], 1.0
	s_delay_alu instid0(VALU_DEP_1) | instskip(NEXT) | instid1(VALU_DEP_1)
	v_fmac_f64_e32 v[48:49], v[50:51], v[48:49]
	v_mul_f64_e32 v[50:51], v[52:53], v[48:49]
	s_delay_alu instid0(VALU_DEP_1) | instskip(NEXT) | instid1(VALU_DEP_1)
	v_mul_f64_e32 v[56:57], v[44:45], v[50:51]
	v_fma_f64 v[44:45], v[50:51], v[44:45], -v[56:57]
	s_delay_alu instid0(VALU_DEP_1) | instskip(NEXT) | instid1(VALU_DEP_1)
	v_fmac_f64_e32 v[44:45], v[50:51], v[6:7]
	v_add_f64_e32 v[6:7], v[56:57], v[44:45]
	s_delay_alu instid0(VALU_DEP_1) | instskip(SKIP_1) | instid1(VALU_DEP_2)
	v_add_f64_e64 v[54:55], v[52:53], -v[6:7]
	v_add_f64_e64 v[56:57], v[6:7], -v[56:57]
	;; [unrolled: 1-line block ×3, first 2 shown]
	s_delay_alu instid0(VALU_DEP_2) | instskip(NEXT) | instid1(VALU_DEP_2)
	v_add_f64_e64 v[44:45], v[56:57], -v[44:45]
	v_add_f64_e64 v[6:7], v[52:53], -v[6:7]
	v_max_num_f64_e64 v[52:53], |v[2:3]|, |v[2:3]|
	s_delay_alu instid0(VALU_DEP_2) | instskip(SKIP_1) | instid1(VALU_DEP_2)
	v_add_f64_e32 v[6:7], v[44:45], v[6:7]
	v_max_num_f64_e64 v[44:45], |v[4:5]|, |v[4:5]|
	v_add_f64_e32 v[6:7], v[54:55], v[6:7]
	s_delay_alu instid0(VALU_DEP_1) | instskip(NEXT) | instid1(VALU_DEP_3)
	v_mul_f64_e32 v[6:7], v[48:49], v[6:7]
	v_max_num_f64_e32 v[48:49], v[52:53], v[44:45]
	v_min_num_f64_e32 v[44:45], v[52:53], v[44:45]
	s_delay_alu instid0(VALU_DEP_3) | instskip(NEXT) | instid1(VALU_DEP_2)
	v_add_f64_e32 v[52:53], v[50:51], v[6:7]
	v_div_scale_f64 v[54:55], null, v[48:49], v[48:49], v[44:45]
	s_delay_alu instid0(VALU_DEP_2) | instskip(NEXT) | instid1(VALU_DEP_2)
	v_mul_f64_e32 v[56:57], v[52:53], v[52:53]
	v_rcp_f64_e32 v[58:59], v[54:55]
	s_delay_alu instid0(VALU_DEP_1) | instskip(SKIP_1) | instid1(VALU_DEP_2)
	v_fmamk_f64 v[60:61], v[56:57], 0x3fc3ab76bf559e2b, v[24:25]
	v_mul_f64_e32 v[62:63], v[52:53], v[56:57]
	v_fmaak_f64 v[60:61], v[56:57], v[60:61], 0x3fc7474dd7f4df2e
	s_delay_alu instid0(TRANS32_DEP_1) | instskip(NEXT) | instid1(VALU_DEP_2)
	v_fma_f64 v[64:65], -v[54:55], v[58:59], 1.0
	v_fmaak_f64 v[60:61], v[56:57], v[60:61], 0x3fcc71c016291751
	s_delay_alu instid0(VALU_DEP_1) | instskip(NEXT) | instid1(VALU_DEP_1)
	v_fmaak_f64 v[60:61], v[56:57], v[60:61], 0x3fd249249b27acf1
	v_fmaak_f64 v[60:61], v[56:57], v[60:61], 0x3fd99999998ef7b6
	s_delay_alu instid0(VALU_DEP_1) | instskip(SKIP_2) | instid1(VALU_DEP_3)
	v_fmaak_f64 v[56:57], v[56:57], v[60:61], 0x3fe5555555555780
	v_ldexp_f64 v[60:61], v[52:53], 1
	v_fmac_f64_e32 v[58:59], v[58:59], v[64:65]
	v_mul_f64_e32 v[56:57], v[62:63], v[56:57]
	v_cvt_f64_i32_e32 v[62:63], v8
	v_ashrrev_i32_e32 v8, 31, v3
	v_add_f64_e64 v[50:51], v[52:53], -v[50:51]
	s_delay_alu instid0(VALU_DEP_2) | instskip(SKIP_4) | instid1(VALU_DEP_4)
	v_and_b32_e32 v16, 0x54442d18, v8
	v_fma_f64 v[64:65], -v[54:55], v[58:59], 1.0
	v_add_f64_e32 v[52:53], v[60:61], v[56:57]
	v_mul_f64_e32 v[66:67], 0x3fe62e42fefa39ef, v[62:63]
	v_add_f64_e64 v[6:7], v[6:7], -v[50:51]
	v_fmac_f64_e32 v[58:59], v[58:59], v[64:65]
	s_delay_alu instid0(VALU_DEP_4) | instskip(SKIP_3) | instid1(VALU_DEP_4)
	v_add_f64_e64 v[50:51], v[52:53], -v[60:61]
	v_div_scale_f64 v[60:61], vcc_lo, v[44:45], v[48:49], v[44:45]
	v_fma_f64 v[64:65], v[62:63], s[30:31], -v[66:67]
	v_ldexp_f64 v[6:7], v[6:7], 1
	v_add_f64_e64 v[50:51], v[56:57], -v[50:51]
	s_delay_alu instid0(VALU_DEP_4) | instskip(NEXT) | instid1(VALU_DEP_4)
	v_mul_f64_e32 v[56:57], v[60:61], v[58:59]
	v_fmac_f64_e32 v[64:65], 0x3c7abc9e3b39803f, v[62:63]
	s_delay_alu instid0(VALU_DEP_3) | instskip(NEXT) | instid1(VALU_DEP_3)
	v_add_f64_e32 v[6:7], v[6:7], v[50:51]
	v_fma_f64 v[50:51], -v[54:55], v[56:57], v[60:61]
	s_delay_alu instid0(VALU_DEP_3) | instskip(NEXT) | instid1(VALU_DEP_3)
	v_add_f64_e32 v[54:55], v[66:67], v[64:65]
	v_add_f64_e32 v[60:61], v[52:53], v[6:7]
	s_delay_alu instid0(VALU_DEP_3) | instskip(SKIP_1) | instid1(VALU_DEP_4)
	v_div_fmas_f64 v[50:51], v[50:51], v[58:59], v[56:57]
	v_cmp_gt_i32_e32 vcc_lo, 0, v3
	v_add_f64_e64 v[58:59], v[54:55], -v[66:67]
	v_cndmask_b32_e32 v12, 0x54442d18, v68, vcc_lo
	v_add_f64_e32 v[56:57], v[54:55], v[60:61]
	v_div_fixup_f64 v[44:45], v[50:51], v[48:49], v[44:45]
	v_add_f64_e64 v[52:53], v[60:61], -v[52:53]
	v_add_f64_e64 v[58:59], v[64:65], -v[58:59]
	s_delay_alu instid0(VALU_DEP_4) | instskip(NEXT) | instid1(VALU_DEP_4)
	v_add_f64_e64 v[48:49], v[56:57], -v[54:55]
	v_mul_f64_e32 v[50:51], v[44:45], v[44:45]
	s_delay_alu instid0(VALU_DEP_4) | instskip(NEXT) | instid1(VALU_DEP_3)
	v_add_f64_e64 v[6:7], v[6:7], -v[52:53]
	v_add_f64_e64 v[62:63], v[56:57], -v[48:49]
	s_delay_alu instid0(VALU_DEP_3) | instskip(SKIP_1) | instid1(VALU_DEP_4)
	v_fmamk_f64 v[66:67], v[50:51], 0x3eeba404b5e68a13, v[26:27]
	v_add_f64_e64 v[48:49], v[60:61], -v[48:49]
	v_add_f64_e32 v[60:61], v[58:59], v[6:7]
	s_delay_alu instid0(VALU_DEP_3) | instskip(NEXT) | instid1(VALU_DEP_1)
	v_fmaak_f64 v[66:67], v[50:51], v[66:67], 0x3f4b2bb069efb384
	v_fmaak_f64 v[66:67], v[50:51], v[66:67], 0xbf67952daf56de9b
	v_add_f64_e64 v[52:53], v[54:55], -v[62:63]
	s_delay_alu instid0(VALU_DEP_2) | instskip(NEXT) | instid1(VALU_DEP_1)
	v_fmaak_f64 v[54:55], v[50:51], v[66:67], 0x3f7d6d43a595c56f
	v_fmaak_f64 v[54:55], v[50:51], v[54:55], 0xbf8c6ea4a57d9582
	s_delay_alu instid0(VALU_DEP_1) | instskip(NEXT) | instid1(VALU_DEP_1)
	v_fmaak_f64 v[54:55], v[50:51], v[54:55], 0x3f967e295f08b19f
	v_fmaak_f64 v[54:55], v[50:51], v[54:55], 0xbf9e9ae6fc27006a
	s_delay_alu instid0(VALU_DEP_1) | instskip(SKIP_1) | instid1(VALU_DEP_2)
	v_fmaak_f64 v[54:55], v[50:51], v[54:55], 0x3fa2c15b5711927a
	v_add_f64_e32 v[48:49], v[48:49], v[52:53]
	v_fmaak_f64 v[52:53], v[50:51], v[54:55], 0xbfa59976e82d3ff0
	v_add_f64_e64 v[54:55], v[60:61], -v[58:59]
	s_delay_alu instid0(VALU_DEP_2) | instskip(NEXT) | instid1(VALU_DEP_1)
	v_fmaak_f64 v[52:53], v[50:51], v[52:53], 0x3fa82d5d6ef28734
	v_fmaak_f64 v[52:53], v[50:51], v[52:53], 0xbfaae5ce6a214619
	s_delay_alu instid0(VALU_DEP_1) | instskip(NEXT) | instid1(VALU_DEP_1)
	v_fmaak_f64 v[52:53], v[50:51], v[52:53], 0x3fae1bb48427b883
	v_fmaak_f64 v[52:53], v[50:51], v[52:53], 0xbfb110e48b207f05
	v_add_f64_e32 v[48:49], v[60:61], v[48:49]
	v_add_f64_e64 v[60:61], v[60:61], -v[54:55]
	v_add_f64_e64 v[6:7], v[6:7], -v[54:55]
	s_delay_alu instid0(VALU_DEP_4) | instskip(NEXT) | instid1(VALU_DEP_1)
	v_fmaak_f64 v[52:53], v[50:51], v[52:53], 0x3fb3b13657b87036
	v_fmaak_f64 v[52:53], v[50:51], v[52:53], 0xbfb745d119378e4f
	s_delay_alu instid0(VALU_DEP_1) | instskip(NEXT) | instid1(VALU_DEP_1)
	v_fmaak_f64 v[52:53], v[50:51], v[52:53], 0x3fbc71c717e1913c
	v_fmaak_f64 v[52:53], v[50:51], v[52:53], 0xbfc2492492376b7d
	v_add_f64_e32 v[62:63], v[56:57], v[48:49]
	s_delay_alu instid0(VALU_DEP_2) | instskip(NEXT) | instid1(VALU_DEP_1)
	v_fmaak_f64 v[52:53], v[50:51], v[52:53], 0x3fc99999999952cc
	v_fmaak_f64 v[52:53], v[50:51], v[52:53], 0xbfd5555555555523
	s_delay_alu instid0(VALU_DEP_1) | instskip(SKIP_2) | instid1(VALU_DEP_3)
	v_mul_f64_e32 v[50:51], v[50:51], v[52:53]
	v_add_f64_e64 v[52:53], v[58:59], -v[60:61]
	v_add_f64_e64 v[54:55], v[62:63], -v[56:57]
	v_fmac_f64_e32 v[44:45], v[44:45], v[50:51]
	s_delay_alu instid0(VALU_DEP_3) | instskip(NEXT) | instid1(VALU_DEP_3)
	v_add_f64_e32 v[6:7], v[6:7], v[52:53]
	v_add_f64_e64 v[48:49], v[48:49], -v[54:55]
	s_delay_alu instid0(VALU_DEP_3) | instskip(NEXT) | instid1(VALU_DEP_1)
	v_add_f64_e64 v[50:51], -v[44:45], s[38:39]
	v_dual_add_f64 v[6:7], v[6:7], v[48:49] :: v_dual_cndmask_b32 v45, v45, v51, s4
	s_delay_alu instid0(VALU_DEP_2) | instskip(NEXT) | instid1(VALU_DEP_1)
	v_cndmask_b32_e64 v44, v44, v50, s4
                                        ; implicit-def: $vgpr50_vgpr51
	v_add_f64_e64 v[48:49], -v[44:45], s[40:41]
	s_delay_alu instid0(VALU_DEP_1) | instskip(NEXT) | instid1(VALU_DEP_1)
	v_dual_add_f64 v[6:7], v[62:63], v[6:7] :: v_dual_cndmask_b32 v21, v44, v48, vcc_lo
	v_dual_mul_f64 v[2:3], 0.5, v[6:7] :: v_dual_cndmask_b32 v16, v21, v16, s5
	v_cndmask_b32_e32 v6, 0x3fe921fb, v69, vcc_lo
	v_and_b32_e32 v7, 0x400921fb, v8
	v_cndmask_b32_e32 v8, v45, v49, vcc_lo
	s_and_b32 vcc_lo, s8, s9
                                        ; implicit-def: $vgpr48_vgpr49
	s_delay_alu instid0(VALU_DEP_3) | instskip(SKIP_1) | instid1(VALU_DEP_3)
	v_bfi_b32 v6, 0x7fffffff, v6, v5
	v_cndmask_b32_e32 v44, v16, v12, vcc_lo
	v_cndmask_b32_e64 v7, v8, v7, s5
	s_delay_alu instid0(VALU_DEP_1)
	v_cndmask_b32_e32 v45, v7, v6, vcc_lo
	v_cndmask_b32_e64 v7, 0xfff00000, v3, s6
	v_cndmask_b32_e64 v6, 0, v2, s6
.LBB179_269:                            ;   in Loop: Header=BB179_145 Depth=1
	s_and_not1_saveexec_b32 s57, s7
	s_cbranch_execz .LBB179_273
; %bb.270:                              ;   in Loop: Header=BB179_145 Depth=1
	v_and_b32_e32 v21, 0x7ffffff8, v51
	v_and_b32_e32 v45, 0x7ffffff8, v49
	v_mov_b32_e32 v44, v20
	s_mov_b32 s58, 0
	s_delay_alu instid0(VALU_DEP_3) | instskip(SKIP_1) | instid1(VALU_DEP_3)
	v_dual_add_f64 v[6:7], v[50:51], -v[20:21] :: v_dual_mov_b32 v52, v20
	v_mov_b32_e32 v50, v20
	v_add_f64_e64 v[46:47], v[48:49], -v[44:45]
	v_add_f64_e32 v[62:63], v[44:45], v[44:45]
	s_delay_alu instid0(VALU_DEP_4) | instskip(NEXT) | instid1(VALU_DEP_3)
	v_dual_mul_f64 v[48:49], v[44:45], v[44:45] :: v_dual_bitop2_b32 v51, -8, v7 bitop3:0x40
	v_dual_add_f64 v[54:55], v[20:21], v[20:21] :: v_dual_bitop2_b32 v53, -8, v47 bitop3:0x40
	s_delay_alu instid0(VALU_DEP_2) | instskip(SKIP_1) | instid1(VALU_DEP_3)
	v_add_f64_e64 v[64:65], v[6:7], -v[50:51]
	v_add_f64_e32 v[70:71], v[50:51], v[50:51]
	v_add_f64_e64 v[66:67], v[46:47], -v[52:53]
	v_add_f64_e32 v[72:73], v[52:53], v[52:53]
	v_mul_f64_e32 v[6:7], v[20:21], v[20:21]
	v_mul_f64_e32 v[46:47], v[62:63], v[52:53]
	;; [unrolled: 1-line block ×11, first 2 shown]
.LBB179_271:                            ;   Parent Loop BB179_145 Depth=1
                                        ; =>  This Inner Loop Header: Depth=2
	v_cmp_nlt_f64_e32 vcc_lo, v[6:7], v[48:49]
	v_dual_cndmask_b32 v67, v7, v49 :: v_dual_cndmask_b32 v66, v6, v48
	v_dual_cndmask_b32 v7, v49, v7 :: v_dual_cndmask_b32 v6, v48, v6
	s_delay_alu instid0(VALU_DEP_2) | instskip(NEXT) | instid1(VALU_DEP_1)
	v_cmp_nlt_f64_e64 s5, v[66:67], v[60:61]
	v_dual_cndmask_b32 v71, v67, v61, s5 :: v_dual_cndmask_b32 v70, v66, v60, s5
	v_dual_cndmask_b32 v49, v61, v67, s5 :: v_dual_cndmask_b32 v48, v60, v66, s5
	s_and_b32 s5, vcc_lo, s5
	s_delay_alu instid0(VALU_DEP_2) | instskip(NEXT) | instid1(VALU_DEP_1)
	v_cmp_nlt_f64_e64 s6, v[70:71], v[46:47]
	v_dual_cndmask_b32 v73, v71, v47, s6 :: v_dual_cndmask_b32 v72, v70, v46, s6
	v_dual_cndmask_b32 v61, v47, v71, s6 :: v_dual_cndmask_b32 v60, v46, v70, s6
	s_delay_alu instid0(VALU_DEP_2) | instskip(NEXT) | instid1(VALU_DEP_1)
	v_cmp_nlt_f64_e64 s7, v[72:73], v[58:59]
	v_dual_cndmask_b32 v75, v73, v59, s7 :: v_dual_cndmask_b32 v74, v72, v58, s7
	v_dual_cndmask_b32 v47, v59, v73, s7 :: v_dual_cndmask_b32 v46, v58, v72, s7
	s_and_b32 s6, s6, s7
	s_delay_alu instid0(VALU_DEP_2) | instskip(NEXT) | instid1(VALU_DEP_1)
	v_cmp_nlt_f64_e64 s8, v[74:75], v[44:45]
	v_dual_cndmask_b32 v77, v75, v45, s8 :: v_dual_cndmask_b32 v76, v74, v44, s8
	v_dual_cndmask_b32 v59, v45, v75, s8 :: v_dual_cndmask_b32 v58, v44, v74, s8
	s_delay_alu instid0(VALU_DEP_2) | instskip(NEXT) | instid1(VALU_DEP_1)
	v_cmp_nlt_f64_e64 s9, v[76:77], v[56:57]
	v_dual_cndmask_b32 v79, v77, v57, s9 :: v_dual_cndmask_b32 v78, v76, v56, s9
	s_and_b32 s7, s8, s9
	v_dual_cndmask_b32 v45, v57, v77, s9 :: v_dual_cndmask_b32 v44, v56, v76, s9
	s_delay_alu instid0(VALU_DEP_2) | instskip(NEXT) | instid1(VALU_DEP_1)
	v_cmp_nlt_f64_e64 s10, v[78:79], v[54:55]
	v_dual_cndmask_b32 v81, v79, v55, s10 :: v_dual_cndmask_b32 v80, v78, v54, s10
	s_and_b32 s7, s7, s10
	v_dual_cndmask_b32 v57, v55, v79, s10 :: v_dual_cndmask_b32 v56, v54, v78, s10
	s_delay_alu instid0(VALU_DEP_2) | instskip(NEXT) | instid1(VALU_DEP_1)
	v_cmp_nlt_f64_e64 s11, v[80:81], v[52:53]
	v_dual_cndmask_b32 v83, v81, v53, s11 :: v_dual_cndmask_b32 v82, v80, v52, s11
	s_and_b32 s7, s7, s11
	v_dual_cndmask_b32 v55, v53, v81, s11 :: v_dual_cndmask_b32 v54, v52, v80, s11
	s_delay_alu instid0(VALU_DEP_2) | instskip(NEXT) | instid1(VALU_DEP_1)
	v_cmp_nlt_f64_e64 s12, v[82:83], v[50:51]
	v_dual_cndmask_b32 v85, v83, v51, s12 :: v_dual_cndmask_b32 v84, v82, v50, s12
	s_and_b32 s7, s7, s12
	v_dual_cndmask_b32 v53, v51, v83, s12 :: v_dual_cndmask_b32 v52, v50, v82, s12
	s_delay_alu instid0(VALU_DEP_2) | instskip(NEXT) | instid1(VALU_DEP_1)
	v_cmp_nlt_f64_e64 s13, v[84:85], v[62:63]
	v_dual_cndmask_b32 v87, v85, v63, s13 :: v_dual_cndmask_b32 v86, v84, v62, s13
	s_and_b32 s7, s7, s13
	v_dual_cndmask_b32 v51, v63, v85, s13 :: v_dual_cndmask_b32 v50, v62, v84, s13
	s_delay_alu instid0(VALU_DEP_2) | instskip(NEXT) | instid1(VALU_DEP_1)
	v_cmp_nlt_f64_e64 s14, v[86:87], v[64:65]
	v_dual_cndmask_b32 v67, v87, v65, s14 :: v_dual_cndmask_b32 v66, v86, v64, s14
	s_and_b32 s7, s7, s14
	v_dual_cndmask_b32 v63, v65, v87, s14 :: v_dual_cndmask_b32 v62, v64, v86, s14
	s_and_b32 s6, s7, s6
	s_delay_alu instid0(VALU_DEP_2) | instskip(SKIP_1) | instid1(SALU_CYCLE_1)
	v_mov_b64_e32 v[64:65], v[66:67]
	s_and_b32 s5, s6, s5
	s_and_b32 s5, exec_lo, s5
	s_delay_alu instid0(SALU_CYCLE_1) | instskip(NEXT) | instid1(SALU_CYCLE_1)
	s_or_b32 s58, s5, s58
	s_and_not1_b32 exec_lo, exec_lo, s58
	s_cbranch_execnz .LBB179_271
; %bb.272:                              ;   in Loop: Header=BB179_145 Depth=1
	s_or_b32 exec_lo, exec_lo, s58
	v_add_f64_e32 v[6:7], -1.0, v[6:7]
	v_cmp_eq_f64_e64 s5, 0, v[4:5]
	v_cmp_class_f64_e64 s9, v[2:3], 0x204
	v_cmp_class_f64_e64 s8, v[4:5], 0x204
	s_delay_alu instid0(VALU_DEP_4) | instskip(NEXT) | instid1(VALU_DEP_1)
	v_add_f64_e32 v[6:7], v[6:7], v[48:49]
	v_add_f64_e32 v[6:7], v[6:7], v[60:61]
	s_delay_alu instid0(VALU_DEP_1) | instskip(NEXT) | instid1(VALU_DEP_1)
	v_add_f64_e32 v[6:7], v[6:7], v[46:47]
	v_add_f64_e32 v[6:7], v[6:7], v[58:59]
	s_delay_alu instid0(VALU_DEP_1) | instskip(NEXT) | instid1(VALU_DEP_1)
	;; [unrolled: 3-line block ×5, first 2 shown]
	v_add_f64_e32 v[46:47], v[66:67], v[6:7]
	v_add_f64_e32 v[6:7], 1.0, v[46:47]
	v_cmp_nge_f64_e64 s6, -1.0, v[46:47]
	v_cmp_neq_f64_e64 s7, 0x7ff00000, v[46:47]
	s_delay_alu instid0(VALU_DEP_3) | instskip(SKIP_2) | instid1(VALU_DEP_3)
	v_frexp_mant_f64_e32 v[44:45], v[6:7]
	v_frexp_exp_i32_f64_e32 v8, v[6:7]
	v_add_f64_e32 v[48:49], -1.0, v[6:7]
	v_cmp_gt_f64_e32 vcc_lo, s[28:29], v[44:45]
	s_delay_alu instid0(VALU_DEP_2) | instskip(SKIP_2) | instid1(VALU_DEP_3)
	v_add_f64_e64 v[44:45], v[48:49], -v[6:7]
	v_add_f64_e64 v[48:49], v[46:47], -v[48:49]
	v_subrev_co_ci_u32_e64 v8, null, 0, v8, vcc_lo
	v_add_f64_e32 v[44:45], 1.0, v[44:45]
	s_delay_alu instid0(VALU_DEP_2) | instskip(NEXT) | instid1(VALU_DEP_1)
	v_sub_nc_u32_e32 v12, 0, v8
	v_ldexp_f64 v[6:7], v[6:7], v12
	s_delay_alu instid0(VALU_DEP_3) | instskip(NEXT) | instid1(VALU_DEP_2)
	v_add_f64_e32 v[44:45], v[48:49], v[44:45]
	v_add_f64_e32 v[50:51], 1.0, v[6:7]
	v_add_f64_e32 v[56:57], -1.0, v[6:7]
	s_delay_alu instid0(VALU_DEP_3) | instskip(NEXT) | instid1(VALU_DEP_3)
	v_ldexp_f64 v[44:45], v[44:45], v12
	v_add_f64_e32 v[48:49], -1.0, v[50:51]
	s_delay_alu instid0(VALU_DEP_3) | instskip(NEXT) | instid1(VALU_DEP_2)
	v_add_f64_e32 v[58:59], 1.0, v[56:57]
	v_add_f64_e64 v[48:49], v[6:7], -v[48:49]
	s_delay_alu instid0(VALU_DEP_2) | instskip(NEXT) | instid1(VALU_DEP_2)
	v_add_f64_e64 v[6:7], v[6:7], -v[58:59]
	v_add_f64_e32 v[48:49], v[44:45], v[48:49]
	s_delay_alu instid0(VALU_DEP_2) | instskip(NEXT) | instid1(VALU_DEP_2)
	v_add_f64_e32 v[6:7], v[44:45], v[6:7]
	v_add_f64_e32 v[52:53], v[50:51], v[48:49]
	s_delay_alu instid0(VALU_DEP_2) | instskip(NEXT) | instid1(VALU_DEP_2)
	v_add_f64_e32 v[58:59], v[56:57], v[6:7]
	v_rcp_f64_e32 v[54:55], v[52:53]
	v_add_f64_e64 v[50:51], v[52:53], -v[50:51]
	s_delay_alu instid0(VALU_DEP_2) | instskip(NEXT) | instid1(VALU_DEP_2)
	v_add_f64_e64 v[56:57], v[58:59], -v[56:57]
	v_add_f64_e64 v[48:49], v[48:49], -v[50:51]
	s_delay_alu instid0(VALU_DEP_2) | instskip(NEXT) | instid1(TRANS32_DEP_1)
	v_add_f64_e64 v[6:7], v[6:7], -v[56:57]
	v_fma_f64 v[60:61], -v[52:53], v[54:55], 1.0
	s_delay_alu instid0(VALU_DEP_1) | instskip(NEXT) | instid1(VALU_DEP_1)
	v_fmac_f64_e32 v[54:55], v[60:61], v[54:55]
	v_fma_f64 v[44:45], -v[52:53], v[54:55], 1.0
	s_delay_alu instid0(VALU_DEP_1) | instskip(NEXT) | instid1(VALU_DEP_1)
	v_fmac_f64_e32 v[54:55], v[44:45], v[54:55]
	v_mul_f64_e32 v[44:45], v[58:59], v[54:55]
	s_delay_alu instid0(VALU_DEP_1) | instskip(NEXT) | instid1(VALU_DEP_1)
	v_mul_f64_e32 v[60:61], v[52:53], v[44:45]
	v_fma_f64 v[50:51], v[44:45], v[52:53], -v[60:61]
	s_delay_alu instid0(VALU_DEP_1) | instskip(NEXT) | instid1(VALU_DEP_1)
	v_fmac_f64_e32 v[50:51], v[44:45], v[48:49]
	v_add_f64_e32 v[62:63], v[60:61], v[50:51]
	s_delay_alu instid0(VALU_DEP_1) | instskip(SKIP_1) | instid1(VALU_DEP_2)
	v_add_f64_e64 v[64:65], v[58:59], -v[62:63]
	v_add_f64_e64 v[56:57], v[62:63], -v[60:61]
	;; [unrolled: 1-line block ×3, first 2 shown]
	s_delay_alu instid0(VALU_DEP_2) | instskip(NEXT) | instid1(VALU_DEP_2)
	v_add_f64_e64 v[50:51], v[56:57], -v[50:51]
	v_add_f64_e64 v[58:59], v[58:59], -v[62:63]
	s_delay_alu instid0(VALU_DEP_1) | instskip(NEXT) | instid1(VALU_DEP_1)
	v_add_f64_e32 v[6:7], v[6:7], v[58:59]
	v_add_f64_e32 v[6:7], v[50:51], v[6:7]
	s_delay_alu instid0(VALU_DEP_1) | instskip(NEXT) | instid1(VALU_DEP_1)
	v_add_f64_e32 v[50:51], v[64:65], v[6:7]
	v_mul_f64_e32 v[56:57], v[54:55], v[50:51]
	v_add_f64_e64 v[62:63], v[64:65], -v[50:51]
	s_delay_alu instid0(VALU_DEP_2) | instskip(NEXT) | instid1(VALU_DEP_2)
	v_mul_f64_e32 v[58:59], v[52:53], v[56:57]
	v_add_f64_e32 v[6:7], v[6:7], v[62:63]
	s_delay_alu instid0(VALU_DEP_2) | instskip(NEXT) | instid1(VALU_DEP_1)
	v_fma_f64 v[52:53], v[56:57], v[52:53], -v[58:59]
	v_fmac_f64_e32 v[52:53], v[56:57], v[48:49]
	s_delay_alu instid0(VALU_DEP_1) | instskip(NEXT) | instid1(VALU_DEP_1)
	v_add_f64_e32 v[48:49], v[58:59], v[52:53]
	v_add_f64_e64 v[60:61], v[50:51], -v[48:49]
	v_add_f64_e64 v[58:59], v[48:49], -v[58:59]
	s_delay_alu instid0(VALU_DEP_2) | instskip(NEXT) | instid1(VALU_DEP_1)
	v_add_f64_e64 v[50:51], v[50:51], -v[60:61]
	v_add_f64_e64 v[48:49], v[50:51], -v[48:49]
	s_delay_alu instid0(VALU_DEP_3) | instskip(SKIP_1) | instid1(VALU_DEP_3)
	v_add_f64_e64 v[50:51], v[58:59], -v[52:53]
	v_max_num_f64_e64 v[52:53], |v[2:3]|, |v[2:3]|
	v_add_f64_e32 v[6:7], v[6:7], v[48:49]
	v_add_f64_e32 v[48:49], v[44:45], v[56:57]
	s_delay_alu instid0(VALU_DEP_2) | instskip(NEXT) | instid1(VALU_DEP_2)
	v_add_f64_e32 v[6:7], v[50:51], v[6:7]
	v_add_f64_e64 v[44:45], v[48:49], -v[44:45]
	v_max_num_f64_e64 v[50:51], |v[4:5]|, |v[4:5]|
	s_delay_alu instid0(VALU_DEP_3) | instskip(NEXT) | instid1(VALU_DEP_3)
	v_add_f64_e32 v[6:7], v[60:61], v[6:7]
	v_add_f64_e64 v[44:45], v[56:57], -v[44:45]
	s_delay_alu instid0(VALU_DEP_2) | instskip(NEXT) | instid1(VALU_DEP_1)
	v_mul_f64_e32 v[6:7], v[54:55], v[6:7]
	v_add_f64_e32 v[6:7], v[44:45], v[6:7]
	v_max_num_f64_e32 v[44:45], v[52:53], v[50:51]
	v_min_num_f64_e32 v[50:51], v[52:53], v[50:51]
	s_delay_alu instid0(VALU_DEP_3) | instskip(NEXT) | instid1(VALU_DEP_2)
	v_add_f64_e32 v[52:53], v[48:49], v[6:7]
	v_div_scale_f64 v[54:55], null, v[44:45], v[44:45], v[50:51]
	s_delay_alu instid0(VALU_DEP_2) | instskip(SKIP_1) | instid1(VALU_DEP_3)
	v_mul_f64_e32 v[56:57], v[52:53], v[52:53]
	v_add_f64_e64 v[48:49], v[52:53], -v[48:49]
	v_rcp_f64_e32 v[58:59], v[54:55]
	s_delay_alu instid0(VALU_DEP_2) | instskip(SKIP_1) | instid1(VALU_DEP_3)
	v_fmamk_f64 v[60:61], v[56:57], 0x3fc3ab76bf559e2b, v[24:25]
	v_mul_f64_e32 v[62:63], v[52:53], v[56:57]
	v_add_f64_e64 v[6:7], v[6:7], -v[48:49]
	s_delay_alu instid0(VALU_DEP_3) | instskip(NEXT) | instid1(TRANS32_DEP_1)
	v_fmaak_f64 v[60:61], v[56:57], v[60:61], 0x3fc7474dd7f4df2e
	v_fma_f64 v[64:65], -v[54:55], v[58:59], 1.0
	s_delay_alu instid0(VALU_DEP_2) | instskip(NEXT) | instid1(VALU_DEP_1)
	v_fmaak_f64 v[60:61], v[56:57], v[60:61], 0x3fcc71c016291751
	v_fmaak_f64 v[60:61], v[56:57], v[60:61], 0x3fd249249b27acf1
	s_delay_alu instid0(VALU_DEP_1) | instskip(SKIP_1) | instid1(VALU_DEP_2)
	v_fmaak_f64 v[60:61], v[56:57], v[60:61], 0x3fd99999998ef7b6
	v_ldexp_f64 v[6:7], v[6:7], 1
	v_fmaak_f64 v[56:57], v[56:57], v[60:61], 0x3fe5555555555780
	v_ldexp_f64 v[60:61], v[52:53], 1
	v_fmac_f64_e32 v[58:59], v[58:59], v[64:65]
	s_delay_alu instid0(VALU_DEP_3) | instskip(SKIP_2) | instid1(VALU_DEP_1)
	v_mul_f64_e32 v[56:57], v[62:63], v[56:57]
	v_cvt_f64_i32_e32 v[62:63], v8
	v_ashrrev_i32_e32 v8, 31, v3
	v_and_b32_e32 v16, 0x54442d18, v8
	v_fma_f64 v[64:65], -v[54:55], v[58:59], 1.0
	v_add_f64_e32 v[52:53], v[60:61], v[56:57]
	v_mul_f64_e32 v[66:67], 0x3fe62e42fefa39ef, v[62:63]
	s_delay_alu instid0(VALU_DEP_3) | instskip(NEXT) | instid1(VALU_DEP_3)
	v_fmac_f64_e32 v[58:59], v[58:59], v[64:65]
	v_add_f64_e64 v[48:49], v[52:53], -v[60:61]
	v_div_scale_f64 v[60:61], vcc_lo, v[50:51], v[44:45], v[50:51]
	s_delay_alu instid0(VALU_DEP_4) | instskip(NEXT) | instid1(VALU_DEP_3)
	v_fma_f64 v[64:65], v[62:63], s[30:31], -v[66:67]
	v_add_f64_e64 v[48:49], v[56:57], -v[48:49]
	s_delay_alu instid0(VALU_DEP_3) | instskip(NEXT) | instid1(VALU_DEP_3)
	v_mul_f64_e32 v[56:57], v[60:61], v[58:59]
	v_fmac_f64_e32 v[64:65], 0x3c7abc9e3b39803f, v[62:63]
	s_delay_alu instid0(VALU_DEP_3) | instskip(NEXT) | instid1(VALU_DEP_3)
	v_add_f64_e32 v[6:7], v[6:7], v[48:49]
	v_fma_f64 v[48:49], -v[54:55], v[56:57], v[60:61]
	s_delay_alu instid0(VALU_DEP_3) | instskip(NEXT) | instid1(VALU_DEP_3)
	v_add_f64_e32 v[54:55], v[66:67], v[64:65]
	v_add_f64_e32 v[60:61], v[52:53], v[6:7]
	s_delay_alu instid0(VALU_DEP_3) | instskip(SKIP_1) | instid1(VALU_DEP_4)
	v_div_fmas_f64 v[48:49], v[48:49], v[58:59], v[56:57]
	v_cmp_gt_i32_e32 vcc_lo, 0, v3
	v_add_f64_e64 v[58:59], v[54:55], -v[66:67]
	v_and_b32_e32 v3, 0x400921fb, v8
	v_cndmask_b32_e32 v12, 0x54442d18, v68, vcc_lo
	v_cndmask_b32_e32 v2, 0x3fe921fb, v69, vcc_lo
	s_delay_alu instid0(VALU_DEP_1) | instskip(SKIP_4) | instid1(VALU_DEP_4)
	v_bfi_b32 v2, 0x7fffffff, v2, v5
	v_add_f64_e32 v[56:57], v[54:55], v[60:61]
	v_div_fixup_f64 v[44:45], v[48:49], v[44:45], v[50:51]
	v_add_f64_e64 v[52:53], v[60:61], -v[52:53]
	v_add_f64_e64 v[58:59], v[64:65], -v[58:59]
	;; [unrolled: 1-line block ×3, first 2 shown]
	s_delay_alu instid0(VALU_DEP_4) | instskip(NEXT) | instid1(VALU_DEP_4)
	v_mul_f64_e32 v[50:51], v[44:45], v[44:45]
	v_add_f64_e64 v[6:7], v[6:7], -v[52:53]
	s_delay_alu instid0(VALU_DEP_3) | instskip(NEXT) | instid1(VALU_DEP_3)
	v_add_f64_e64 v[62:63], v[56:57], -v[48:49]
	v_fmamk_f64 v[66:67], v[50:51], 0x3eeba404b5e68a13, v[26:27]
	v_add_f64_e64 v[48:49], v[60:61], -v[48:49]
	s_delay_alu instid0(VALU_DEP_4) | instskip(NEXT) | instid1(VALU_DEP_3)
	v_add_f64_e32 v[60:61], v[58:59], v[6:7]
	v_fmaak_f64 v[66:67], v[50:51], v[66:67], 0x3f4b2bb069efb384
	v_add_f64_e64 v[52:53], v[54:55], -v[62:63]
	s_delay_alu instid0(VALU_DEP_2) | instskip(NEXT) | instid1(VALU_DEP_1)
	v_fmaak_f64 v[54:55], v[50:51], v[66:67], 0xbf67952daf56de9b
	v_fmaak_f64 v[54:55], v[50:51], v[54:55], 0x3f7d6d43a595c56f
	s_delay_alu instid0(VALU_DEP_1) | instskip(NEXT) | instid1(VALU_DEP_1)
	v_fmaak_f64 v[54:55], v[50:51], v[54:55], 0xbf8c6ea4a57d9582
	v_fmaak_f64 v[54:55], v[50:51], v[54:55], 0x3f967e295f08b19f
	s_delay_alu instid0(VALU_DEP_1) | instskip(SKIP_1) | instid1(VALU_DEP_2)
	v_fmaak_f64 v[54:55], v[50:51], v[54:55], 0xbf9e9ae6fc27006a
	v_add_f64_e32 v[48:49], v[48:49], v[52:53]
	v_fmaak_f64 v[52:53], v[50:51], v[54:55], 0x3fa2c15b5711927a
	v_add_f64_e64 v[54:55], v[60:61], -v[58:59]
	s_delay_alu instid0(VALU_DEP_2) | instskip(NEXT) | instid1(VALU_DEP_1)
	v_fmaak_f64 v[52:53], v[50:51], v[52:53], 0xbfa59976e82d3ff0
	v_fmaak_f64 v[52:53], v[50:51], v[52:53], 0x3fa82d5d6ef28734
	s_delay_alu instid0(VALU_DEP_1) | instskip(NEXT) | instid1(VALU_DEP_1)
	v_fmaak_f64 v[52:53], v[50:51], v[52:53], 0xbfaae5ce6a214619
	v_fmaak_f64 v[52:53], v[50:51], v[52:53], 0x3fae1bb48427b883
	v_add_f64_e32 v[48:49], v[60:61], v[48:49]
	v_add_f64_e64 v[60:61], v[60:61], -v[54:55]
	v_add_f64_e64 v[6:7], v[6:7], -v[54:55]
	s_delay_alu instid0(VALU_DEP_4) | instskip(NEXT) | instid1(VALU_DEP_1)
	v_fmaak_f64 v[52:53], v[50:51], v[52:53], 0xbfb110e48b207f05
	v_fmaak_f64 v[52:53], v[50:51], v[52:53], 0x3fb3b13657b87036
	s_delay_alu instid0(VALU_DEP_1) | instskip(NEXT) | instid1(VALU_DEP_1)
	v_fmaak_f64 v[52:53], v[50:51], v[52:53], 0xbfb745d119378e4f
	v_fmaak_f64 v[52:53], v[50:51], v[52:53], 0x3fbc71c717e1913c
	v_add_f64_e32 v[62:63], v[56:57], v[48:49]
	s_delay_alu instid0(VALU_DEP_2) | instskip(NEXT) | instid1(VALU_DEP_1)
	v_fmaak_f64 v[52:53], v[50:51], v[52:53], 0xbfc2492492376b7d
	v_fmaak_f64 v[52:53], v[50:51], v[52:53], 0x3fc99999999952cc
	s_delay_alu instid0(VALU_DEP_1) | instskip(NEXT) | instid1(VALU_DEP_1)
	v_fmaak_f64 v[52:53], v[50:51], v[52:53], 0xbfd5555555555523
	v_mul_f64_e32 v[50:51], v[50:51], v[52:53]
	v_add_f64_e64 v[52:53], v[58:59], -v[60:61]
	v_add_f64_e64 v[54:55], v[62:63], -v[56:57]
	s_delay_alu instid0(VALU_DEP_3) | instskip(NEXT) | instid1(VALU_DEP_3)
	v_fmac_f64_e32 v[44:45], v[44:45], v[50:51]
	v_add_f64_e32 v[6:7], v[6:7], v[52:53]
	s_delay_alu instid0(VALU_DEP_3) | instskip(NEXT) | instid1(VALU_DEP_3)
	v_add_f64_e64 v[48:49], v[48:49], -v[54:55]
	v_add_f64_e64 v[50:51], -v[44:45], s[38:39]
	s_delay_alu instid0(VALU_DEP_1) | instskip(NEXT) | instid1(VALU_DEP_2)
	v_dual_add_f64 v[6:7], v[6:7], v[48:49] :: v_dual_cndmask_b32 v45, v45, v51, s4
	v_cndmask_b32_e64 v44, v44, v50, s4
	s_delay_alu instid0(VALU_DEP_1) | instskip(NEXT) | instid1(VALU_DEP_1)
	v_add_f64_e64 v[48:49], -v[44:45], s[40:41]
	v_dual_add_f64 v[6:7], v[62:63], v[6:7] :: v_dual_cndmask_b32 v21, v44, v48, vcc_lo
	s_delay_alu instid0(VALU_DEP_2) | instskip(SKIP_1) | instid1(VALU_DEP_3)
	v_cndmask_b32_e32 v8, v45, v49, vcc_lo
	v_cmp_ngt_f64_e32 vcc_lo, -1.0, v[46:47]
	v_dual_mul_f64 v[6:7], 0.5, v[6:7] :: v_dual_cndmask_b32 v16, v21, v16, s5
	s_delay_alu instid0(VALU_DEP_3)
	v_cndmask_b32_e64 v3, v8, v3, s5
	s_and_b32 s5, s6, s7
	s_delay_alu instid0(VALU_DEP_2) | instid1(SALU_CYCLE_1)
	v_cndmask_b32_e64 v6, 0, v6, s5
	v_cmp_neq_f64_e64 s5, -1.0, v[46:47]
	s_delay_alu instid0(VALU_DEP_4) | instskip(NEXT) | instid1(VALU_DEP_1)
	v_cndmask_b32_e64 v7, 0x7ff00000, v7, s7
	v_cndmask_b32_e32 v7, 0x7ff80000, v7, vcc_lo
	s_and_b32 vcc_lo, s8, s9
	v_dual_cndmask_b32 v45, v3, v2 :: v_dual_cndmask_b32 v44, v16, v12
	s_delay_alu instid0(VALU_DEP_2)
	v_cndmask_b32_e64 v7, 0xfff00000, v7, s5
.LBB179_273:                            ;   in Loop: Header=BB179_145 Depth=1
	s_or_b32 exec_lo, exec_lo, s57
.LBB179_274:                            ;   in Loop: Header=BB179_145 Depth=1
	s_delay_alu instid0(SALU_CYCLE_1)
	s_or_b32 exec_lo, exec_lo, s56
.LBB179_275:                            ;   in Loop: Header=BB179_145 Depth=1
	s_and_not1_saveexec_b32 s7, s55
	s_cbranch_execz .LBB179_277
; %bb.276:                              ;   in Loop: Header=BB179_145 Depth=1
	v_max_num_f64_e64 v[6:7], |v[4:5]|, |v[4:5]|
	v_max_num_f64_e64 v[44:45], |v[2:3]|, |v[2:3]|
	v_cmp_class_f64_e64 s8, v[2:3], 0x204
	v_cmp_class_f64_e64 s9, v[4:5], 0x204
	v_cmp_eq_f64_e64 s6, 0, v[4:5]
	s_delay_alu instid0(VALU_DEP_4) | instskip(SKIP_2) | instid1(VALU_DEP_2)
	v_max_num_f64_e32 v[46:47], v[44:45], v[6:7]
	v_min_num_f64_e32 v[6:7], v[44:45], v[6:7]
	s_or_b32 s5, s9, s8
	v_frexp_exp_i32_f64_e32 v8, v[46:47]
	s_delay_alu instid0(VALU_DEP_1) | instskip(NEXT) | instid1(VALU_DEP_1)
	v_sub_nc_u32_e32 v12, 0, v8
	v_ldexp_f64 v[48:49], |v[4:5]|, v12
	v_ldexp_f64 v[50:51], |v[2:3]|, v12
	s_delay_alu instid0(VALU_DEP_2) | instskip(NEXT) | instid1(VALU_DEP_1)
	v_mul_f64_e32 v[48:49], v[48:49], v[48:49]
	v_fmac_f64_e32 v[48:49], v[50:51], v[50:51]
	s_delay_alu instid0(VALU_DEP_1) | instskip(SKIP_1) | instid1(TRANS32_DEP_1)
	v_rsq_f64_e32 v[50:51], v[48:49]
	v_cmp_eq_f64_e32 vcc_lo, 0, v[48:49]
	v_mul_f64_e32 v[52:53], v[48:49], v[50:51]
	v_mul_f64_e32 v[50:51], 0.5, v[50:51]
	s_delay_alu instid0(VALU_DEP_1) | instskip(NEXT) | instid1(VALU_DEP_1)
	v_fma_f64 v[54:55], -v[50:51], v[52:53], 0.5
	v_fmac_f64_e32 v[52:53], v[52:53], v[54:55]
	v_fmac_f64_e32 v[50:51], v[50:51], v[54:55]
	s_delay_alu instid0(VALU_DEP_2) | instskip(NEXT) | instid1(VALU_DEP_1)
	v_fma_f64 v[54:55], -v[52:53], v[52:53], v[48:49]
	v_fmac_f64_e32 v[52:53], v[54:55], v[50:51]
	s_delay_alu instid0(VALU_DEP_1) | instskip(NEXT) | instid1(VALU_DEP_1)
	v_dual_cndmask_b32 v49, v53, v49 :: v_dual_cndmask_b32 v48, v52, v48
	v_ldexp_f64 v[48:49], v[48:49], v8
	v_ashrrev_i32_e32 v8, 31, v3
	s_delay_alu instid0(VALU_DEP_1) | instskip(SKIP_1) | instid1(VALU_DEP_4)
	v_and_b32_e32 v16, 0x54442d18, v8
	v_and_b32_e32 v8, 0x400921fb, v8
	v_cndmask_b32_e64 v49, v49, 0x7ff00000, s5
	v_cndmask_b32_e64 v48, v48, 0, s5
	s_delay_alu instid0(VALU_DEP_1) | instskip(SKIP_1) | instid1(VALU_DEP_2)
	v_frexp_mant_f64_e32 v[50:51], v[48:49]
	v_cmp_class_f64_e64 s5, v[48:49], 0x204
	v_cmp_gt_f64_e32 vcc_lo, s[28:29], v[50:51]
	v_cndmask_b32_e64 v2, 0, 1, vcc_lo
	s_delay_alu instid0(VALU_DEP_1) | instskip(SKIP_1) | instid1(VALU_DEP_2)
	v_ldexp_f64 v[50:51], v[50:51], v2
	v_frexp_exp_i32_f64_e32 v2, v[48:49]
	v_add_f64_e32 v[52:53], 1.0, v[50:51]
	v_add_f64_e32 v[58:59], -1.0, v[50:51]
	s_delay_alu instid0(VALU_DEP_3) | instskip(SKIP_1) | instid1(VALU_DEP_4)
	v_subrev_co_ci_u32_e64 v2, null, 0, v2, vcc_lo
	v_div_scale_f64 v[66:67], vcc_lo, v[6:7], v[46:47], v[6:7]
	v_rcp_f64_e32 v[54:55], v[52:53]
	v_add_f64_e32 v[60:61], -1.0, v[52:53]
	s_delay_alu instid0(VALU_DEP_1) | instskip(NEXT) | instid1(TRANS32_DEP_1)
	v_add_f64_e64 v[50:51], v[50:51], -v[60:61]
	v_fma_f64 v[56:57], -v[52:53], v[54:55], 1.0
	s_delay_alu instid0(VALU_DEP_1) | instskip(NEXT) | instid1(VALU_DEP_1)
	v_fmac_f64_e32 v[54:55], v[56:57], v[54:55]
	v_fma_f64 v[56:57], -v[52:53], v[54:55], 1.0
	s_delay_alu instid0(VALU_DEP_1) | instskip(NEXT) | instid1(VALU_DEP_1)
	v_fmac_f64_e32 v[54:55], v[56:57], v[54:55]
	v_mul_f64_e32 v[56:57], v[58:59], v[54:55]
	s_delay_alu instid0(VALU_DEP_1) | instskip(NEXT) | instid1(VALU_DEP_1)
	v_mul_f64_e32 v[62:63], v[52:53], v[56:57]
	v_fma_f64 v[52:53], v[56:57], v[52:53], -v[62:63]
	s_delay_alu instid0(VALU_DEP_1) | instskip(NEXT) | instid1(VALU_DEP_1)
	v_fmac_f64_e32 v[52:53], v[56:57], v[50:51]
	v_add_f64_e32 v[50:51], v[62:63], v[52:53]
	s_delay_alu instid0(VALU_DEP_1) | instskip(SKIP_1) | instid1(VALU_DEP_2)
	v_add_f64_e64 v[60:61], v[58:59], -v[50:51]
	v_add_f64_e64 v[62:63], v[50:51], -v[62:63]
	;; [unrolled: 1-line block ×3, first 2 shown]
	s_delay_alu instid0(VALU_DEP_2) | instskip(NEXT) | instid1(VALU_DEP_2)
	v_add_f64_e64 v[52:53], v[62:63], -v[52:53]
	v_add_f64_e64 v[50:51], v[58:59], -v[50:51]
	s_delay_alu instid0(VALU_DEP_1) | instskip(NEXT) | instid1(VALU_DEP_1)
	v_add_f64_e32 v[50:51], v[52:53], v[50:51]
	v_add_f64_e32 v[50:51], v[60:61], v[50:51]
	s_delay_alu instid0(VALU_DEP_1) | instskip(SKIP_1) | instid1(VALU_DEP_2)
	v_mul_f64_e32 v[44:45], v[54:55], v[50:51]
	v_div_scale_f64 v[50:51], null, v[46:47], v[46:47], v[6:7]
	v_add_f64_e32 v[52:53], v[56:57], v[44:45]
	s_delay_alu instid0(VALU_DEP_2) | instskip(NEXT) | instid1(VALU_DEP_1)
	v_rcp_f64_e32 v[54:55], v[50:51]
	v_mul_f64_e32 v[58:59], v[52:53], v[52:53]
	s_delay_alu instid0(TRANS32_DEP_1) | instskip(NEXT) | instid1(VALU_DEP_2)
	v_fma_f64 v[62:63], -v[50:51], v[54:55], 1.0
	v_fmamk_f64 v[60:61], v[58:59], 0x3fc3ab76bf559e2b, v[24:25]
	v_mul_f64_e32 v[64:65], v[52:53], v[58:59]
	s_delay_alu instid0(VALU_DEP_3) | instskip(NEXT) | instid1(VALU_DEP_3)
	v_fmac_f64_e32 v[54:55], v[54:55], v[62:63]
	v_fmaak_f64 v[60:61], v[58:59], v[60:61], 0x3fc7474dd7f4df2e
	s_delay_alu instid0(VALU_DEP_1) | instskip(NEXT) | instid1(VALU_DEP_1)
	v_fmaak_f64 v[60:61], v[58:59], v[60:61], 0x3fcc71c016291751
	v_fmaak_f64 v[60:61], v[58:59], v[60:61], 0x3fd249249b27acf1
	s_delay_alu instid0(VALU_DEP_1) | instskip(NEXT) | instid1(VALU_DEP_1)
	v_fmaak_f64 v[60:61], v[58:59], v[60:61], 0x3fd99999998ef7b6
	v_fmaak_f64 v[58:59], v[58:59], v[60:61], 0x3fe5555555555780
	v_ldexp_f64 v[60:61], v[52:53], 1
	v_add_f64_e64 v[52:53], v[52:53], -v[56:57]
	v_fma_f64 v[62:63], -v[50:51], v[54:55], 1.0
	s_delay_alu instid0(VALU_DEP_4) | instskip(SKIP_1) | instid1(VALU_DEP_4)
	v_mul_f64_e32 v[58:59], v[64:65], v[58:59]
	v_cvt_f64_i32_e32 v[64:65], v2
	v_add_f64_e64 v[44:45], v[44:45], -v[52:53]
	s_delay_alu instid0(VALU_DEP_4) | instskip(NEXT) | instid1(VALU_DEP_4)
	v_fmac_f64_e32 v[54:55], v[54:55], v[62:63]
	v_add_f64_e32 v[56:57], v[60:61], v[58:59]
	s_delay_alu instid0(VALU_DEP_4) | instskip(NEXT) | instid1(VALU_DEP_4)
	v_mul_f64_e32 v[62:63], 0x3fe62e42fefa39ef, v[64:65]
	v_ldexp_f64 v[44:45], v[44:45], 1
	s_delay_alu instid0(VALU_DEP_3) | instskip(SKIP_1) | instid1(VALU_DEP_4)
	v_add_f64_e64 v[52:53], v[56:57], -v[60:61]
	v_mul_f64_e32 v[60:61], v[66:67], v[54:55]
	v_fma_f64 v[70:71], v[64:65], s[30:31], -v[62:63]
	s_delay_alu instid0(VALU_DEP_3) | instskip(NEXT) | instid1(VALU_DEP_3)
	v_add_f64_e64 v[52:53], v[58:59], -v[52:53]
	v_fma_f64 v[50:51], -v[50:51], v[60:61], v[66:67]
	s_delay_alu instid0(VALU_DEP_3) | instskip(NEXT) | instid1(VALU_DEP_3)
	v_fmac_f64_e32 v[70:71], 0x3c7abc9e3b39803f, v[64:65]
	v_add_f64_e32 v[44:45], v[44:45], v[52:53]
	s_delay_alu instid0(VALU_DEP_3) | instskip(NEXT) | instid1(VALU_DEP_3)
	v_div_fmas_f64 v[50:51], v[50:51], v[54:55], v[60:61]
	v_add_f64_e32 v[52:53], v[62:63], v[70:71]
	v_cmp_gt_i32_e32 vcc_lo, 0, v3
	v_cndmask_b32_e32 v12, 0x54442d18, v68, vcc_lo
	v_cndmask_b32_e32 v21, 0x3fe921fb, v69, vcc_lo
	s_delay_alu instid0(VALU_DEP_1) | instskip(SKIP_3) | instid1(VALU_DEP_3)
	v_bfi_b32 v21, 0x7fffffff, v21, v5
	v_add_f64_e32 v[54:55], v[56:57], v[44:45]
	v_div_fixup_f64 v[6:7], v[50:51], v[46:47], v[6:7]
	v_add_f64_e64 v[62:63], v[52:53], -v[62:63]
	v_add_f64_e32 v[46:47], v[52:53], v[54:55]
	s_delay_alu instid0(VALU_DEP_3) | instskip(SKIP_1) | instid1(VALU_DEP_4)
	v_mul_f64_e32 v[50:51], v[6:7], v[6:7]
	v_add_f64_e64 v[56:57], v[54:55], -v[56:57]
	v_add_f64_e64 v[62:63], v[70:71], -v[62:63]
	s_delay_alu instid0(VALU_DEP_4) | instskip(NEXT) | instid1(VALU_DEP_4)
	v_add_f64_e64 v[58:59], v[46:47], -v[52:53]
	v_fmamk_f64 v[60:61], v[50:51], 0x3eeba404b5e68a13, v[26:27]
	s_delay_alu instid0(VALU_DEP_4) | instskip(NEXT) | instid1(VALU_DEP_2)
	v_add_f64_e64 v[44:45], v[44:45], -v[56:57]
	v_fmaak_f64 v[60:61], v[50:51], v[60:61], 0x3f4b2bb069efb384
	s_delay_alu instid0(VALU_DEP_1) | instskip(NEXT) | instid1(VALU_DEP_1)
	v_fmaak_f64 v[60:61], v[50:51], v[60:61], 0xbf67952daf56de9b
	v_fmaak_f64 v[60:61], v[50:51], v[60:61], 0x3f7d6d43a595c56f
	s_delay_alu instid0(VALU_DEP_1) | instskip(SKIP_3) | instid1(VALU_DEP_4)
	v_fmaak_f64 v[60:61], v[50:51], v[60:61], 0xbf8c6ea4a57d9582
	v_add_f64_e64 v[64:65], v[46:47], -v[58:59]
	v_add_f64_e64 v[54:55], v[54:55], -v[58:59]
	v_add_f64_e32 v[58:59], v[62:63], v[44:45]
	v_fmaak_f64 v[60:61], v[50:51], v[60:61], 0x3f967e295f08b19f
	s_delay_alu instid0(VALU_DEP_1) | instskip(NEXT) | instid1(VALU_DEP_1)
	v_fmaak_f64 v[56:57], v[50:51], v[60:61], 0xbf9e9ae6fc27006a
	v_fmaak_f64 v[56:57], v[50:51], v[56:57], 0x3fa2c15b5711927a
	s_delay_alu instid0(VALU_DEP_1) | instskip(NEXT) | instid1(VALU_DEP_1)
	v_fmaak_f64 v[56:57], v[50:51], v[56:57], 0xbfa59976e82d3ff0
	v_fmaak_f64 v[56:57], v[50:51], v[56:57], 0x3fa82d5d6ef28734
	v_add_f64_e64 v[52:53], v[52:53], -v[64:65]
	s_delay_alu instid0(VALU_DEP_2) | instskip(NEXT) | instid1(VALU_DEP_2)
	v_fmaak_f64 v[56:57], v[50:51], v[56:57], 0xbfaae5ce6a214619
	v_add_f64_e32 v[52:53], v[54:55], v[52:53]
	s_delay_alu instid0(VALU_DEP_2) | instskip(SKIP_1) | instid1(VALU_DEP_2)
	v_fmaak_f64 v[54:55], v[50:51], v[56:57], 0x3fae1bb48427b883
	v_add_f64_e64 v[56:57], v[58:59], -v[62:63]
	v_fmaak_f64 v[54:55], v[50:51], v[54:55], 0xbfb110e48b207f05
	s_delay_alu instid0(VALU_DEP_1) | instskip(NEXT) | instid1(VALU_DEP_1)
	v_fmaak_f64 v[54:55], v[50:51], v[54:55], 0x3fb3b13657b87036
	v_fmaak_f64 v[54:55], v[50:51], v[54:55], 0xbfb745d119378e4f
	s_delay_alu instid0(VALU_DEP_1) | instskip(SKIP_2) | instid1(VALU_DEP_3)
	v_fmaak_f64 v[54:55], v[50:51], v[54:55], 0x3fbc71c717e1913c
	v_add_f64_e32 v[52:53], v[58:59], v[52:53]
	v_add_f64_e64 v[44:45], v[44:45], -v[56:57]
	v_fmaak_f64 v[54:55], v[50:51], v[54:55], 0xbfc2492492376b7d
	s_delay_alu instid0(VALU_DEP_1) | instskip(NEXT) | instid1(VALU_DEP_1)
	v_fmaak_f64 v[54:55], v[50:51], v[54:55], 0x3fc99999999952cc
	v_fmaak_f64 v[54:55], v[50:51], v[54:55], 0xbfd5555555555523
	s_delay_alu instid0(VALU_DEP_1) | instskip(SKIP_2) | instid1(VALU_DEP_3)
	v_mul_f64_e32 v[50:51], v[50:51], v[54:55]
	v_add_f64_e64 v[54:55], v[58:59], -v[56:57]
	v_add_f64_e32 v[58:59], v[46:47], v[52:53]
	v_fmac_f64_e32 v[6:7], v[6:7], v[50:51]
	s_delay_alu instid0(VALU_DEP_3) | instskip(NEXT) | instid1(VALU_DEP_3)
	v_add_f64_e64 v[50:51], v[62:63], -v[54:55]
	v_add_f64_e64 v[46:47], v[58:59], -v[46:47]
	s_delay_alu instid0(VALU_DEP_3) | instskip(NEXT) | instid1(VALU_DEP_3)
	v_add_f64_e64 v[54:55], -v[6:7], s[38:39]
	v_add_f64_e32 v[44:45], v[44:45], v[50:51]
	s_delay_alu instid0(VALU_DEP_3) | instskip(NEXT) | instid1(VALU_DEP_3)
	v_add_f64_e64 v[46:47], v[52:53], -v[46:47]
	v_dual_cndmask_b32 v7, v7, v55, s4 :: v_dual_cndmask_b32 v6, v6, v54, s4
	s_delay_alu instid0(VALU_DEP_2) | instskip(NEXT) | instid1(VALU_DEP_2)
	v_add_f64_e32 v[44:45], v[44:45], v[46:47]
	v_add_f64_e64 v[46:47], -v[6:7], s[40:41]
	s_delay_alu instid0(VALU_DEP_2) | instskip(NEXT) | instid1(VALU_DEP_2)
	v_add_f64_e32 v[2:3], v[58:59], v[44:45]
	v_dual_cndmask_b32 v6, v6, v46 :: v_dual_cndmask_b32 v7, v7, v47
	v_cmp_ngt_f64_e32 vcc_lo, 0, v[48:49]
	s_delay_alu instid0(VALU_DEP_2) | instskip(NEXT) | instid1(VALU_DEP_3)
	v_cndmask_b32_e64 v16, v6, v16, s6
	v_cndmask_b32_e64 v6, v7, v8, s6
	v_dual_cndmask_b32 v2, v2, v48, s5 :: v_dual_cndmask_b32 v3, v3, v49, s5
	v_cmp_nge_f64_e64 s5, 0, v[48:49]
	s_delay_alu instid0(VALU_DEP_2) | instskip(SKIP_4) | instid1(VALU_DEP_1)
	v_cndmask_b32_e32 v3, 0x7ff80000, v3, vcc_lo
	s_and_b32 vcc_lo, s9, s8
	v_dual_cndmask_b32 v45, v6, v21 :: v_dual_cndmask_b32 v44, v16, v12
	v_cndmask_b32_e64 v6, 0, v2, s5
	v_cmp_neq_f64_e64 s5, 0, v[48:49]
	v_cndmask_b32_e64 v7, 0xfff00000, v3, s5
.LBB179_277:                            ;   in Loop: Header=BB179_145 Depth=1
	s_or_b32 exec_lo, exec_lo, s7
                                        ; implicit-def: $vgpr48_vgpr49
.LBB179_278:                            ;   in Loop: Header=BB179_145 Depth=1
	s_and_not1_saveexec_b32 s7, s54
	s_cbranch_execz .LBB179_284
; %bb.279:                              ;   in Loop: Header=BB179_145 Depth=1
                                        ; implicit-def: $vgpr6_vgpr7
                                        ; implicit-def: $vgpr44_vgpr45
	s_mov_b32 s5, exec_lo
	v_cmpx_ngt_f64_e32 s[44:45], v[48:49]
	s_xor_b32 s8, exec_lo, s5
	s_cbranch_execz .LBB179_281
; %bb.280:                              ;   in Loop: Header=BB179_145 Depth=1
	v_mul_f64_e32 v[6:7], v[48:49], v[48:49]
	v_cmp_eq_f64_e64 s5, 0, v[4:5]
	v_cmp_class_f64_e64 s9, v[4:5], 0x204
	v_cmp_class_f64_e64 s10, v[2:3], 0x204
	s_delay_alu instid0(VALU_DEP_4) | instskip(NEXT) | instid1(VALU_DEP_1)
	v_add_f64_e32 v[44:45], 1.0, v[6:7]
	v_frexp_mant_f64_e32 v[46:47], v[44:45]
	v_frexp_exp_i32_f64_e32 v8, v[44:45]
	s_delay_alu instid0(VALU_DEP_2) | instskip(NEXT) | instid1(VALU_DEP_2)
	v_cmp_gt_f64_e32 vcc_lo, s[28:29], v[46:47]
	v_subrev_co_ci_u32_e64 v8, null, 0, v8, vcc_lo
	s_delay_alu instid0(VALU_DEP_1) | instskip(SKIP_1) | instid1(VALU_DEP_1)
	v_sub_nc_u32_e32 v12, 0, v8
	v_add_f64_e32 v[48:49], -1.0, v[44:45]
	v_add_f64_e64 v[46:47], v[48:49], -v[44:45]
	s_delay_alu instid0(VALU_DEP_3) | instskip(SKIP_1) | instid1(VALU_DEP_3)
	v_ldexp_f64 v[44:45], v[44:45], v12
	v_add_f64_e64 v[48:49], v[6:7], -v[48:49]
	v_add_f64_e32 v[46:47], 1.0, v[46:47]
	s_delay_alu instid0(VALU_DEP_3) | instskip(SKIP_1) | instid1(VALU_DEP_3)
	v_add_f64_e32 v[50:51], 1.0, v[44:45]
	v_add_f64_e32 v[56:57], -1.0, v[44:45]
	v_add_f64_e32 v[46:47], v[48:49], v[46:47]
	s_delay_alu instid0(VALU_DEP_3) | instskip(NEXT) | instid1(VALU_DEP_3)
	v_add_f64_e32 v[48:49], -1.0, v[50:51]
	v_add_f64_e32 v[58:59], 1.0, v[56:57]
	s_delay_alu instid0(VALU_DEP_3) | instskip(NEXT) | instid1(VALU_DEP_3)
	v_ldexp_f64 v[46:47], v[46:47], v12
	v_add_f64_e64 v[48:49], v[44:45], -v[48:49]
	s_delay_alu instid0(VALU_DEP_3) | instskip(NEXT) | instid1(VALU_DEP_2)
	v_add_f64_e64 v[44:45], v[44:45], -v[58:59]
	v_add_f64_e32 v[48:49], v[46:47], v[48:49]
	s_delay_alu instid0(VALU_DEP_2) | instskip(NEXT) | instid1(VALU_DEP_2)
	v_add_f64_e32 v[44:45], v[46:47], v[44:45]
	v_add_f64_e32 v[52:53], v[50:51], v[48:49]
	s_delay_alu instid0(VALU_DEP_2) | instskip(NEXT) | instid1(VALU_DEP_2)
	v_add_f64_e32 v[58:59], v[56:57], v[44:45]
	v_rcp_f64_e32 v[54:55], v[52:53]
	v_add_f64_e64 v[50:51], v[50:51], -v[52:53]
	s_delay_alu instid0(VALU_DEP_2) | instskip(NEXT) | instid1(VALU_DEP_2)
	v_add_f64_e64 v[56:57], v[56:57], -v[58:59]
	v_add_f64_e32 v[48:49], v[48:49], v[50:51]
	s_delay_alu instid0(VALU_DEP_2) | instskip(NEXT) | instid1(TRANS32_DEP_1)
	v_add_f64_e32 v[44:45], v[44:45], v[56:57]
	v_fma_f64 v[60:61], -v[52:53], v[54:55], 1.0
	s_delay_alu instid0(VALU_DEP_1) | instskip(NEXT) | instid1(VALU_DEP_1)
	v_fmac_f64_e32 v[54:55], v[60:61], v[54:55]
	v_fma_f64 v[46:47], -v[52:53], v[54:55], 1.0
	s_delay_alu instid0(VALU_DEP_1) | instskip(NEXT) | instid1(VALU_DEP_1)
	v_fmac_f64_e32 v[54:55], v[46:47], v[54:55]
	v_mul_f64_e32 v[46:47], v[58:59], v[54:55]
	s_delay_alu instid0(VALU_DEP_1) | instskip(NEXT) | instid1(VALU_DEP_1)
	v_mul_f64_e32 v[60:61], v[52:53], v[46:47]
	v_fma_f64 v[50:51], v[46:47], v[52:53], -v[60:61]
	s_delay_alu instid0(VALU_DEP_1) | instskip(NEXT) | instid1(VALU_DEP_1)
	v_fmac_f64_e32 v[50:51], v[46:47], v[48:49]
	v_add_f64_e32 v[62:63], v[60:61], v[50:51]
	s_delay_alu instid0(VALU_DEP_1) | instskip(SKIP_1) | instid1(VALU_DEP_2)
	v_add_f64_e64 v[64:65], v[58:59], -v[62:63]
	v_add_f64_e64 v[56:57], v[62:63], -v[60:61]
	;; [unrolled: 1-line block ×3, first 2 shown]
	s_delay_alu instid0(VALU_DEP_2) | instskip(NEXT) | instid1(VALU_DEP_2)
	v_add_f64_e64 v[50:51], v[56:57], -v[50:51]
	v_add_f64_e64 v[58:59], v[58:59], -v[62:63]
	s_delay_alu instid0(VALU_DEP_1) | instskip(NEXT) | instid1(VALU_DEP_1)
	v_add_f64_e32 v[44:45], v[44:45], v[58:59]
	v_add_f64_e32 v[44:45], v[50:51], v[44:45]
	s_delay_alu instid0(VALU_DEP_1) | instskip(NEXT) | instid1(VALU_DEP_1)
	v_add_f64_e32 v[50:51], v[64:65], v[44:45]
	v_mul_f64_e32 v[56:57], v[54:55], v[50:51]
	v_add_f64_e64 v[62:63], v[64:65], -v[50:51]
	s_delay_alu instid0(VALU_DEP_2) | instskip(NEXT) | instid1(VALU_DEP_2)
	v_mul_f64_e32 v[58:59], v[52:53], v[56:57]
	v_add_f64_e32 v[44:45], v[44:45], v[62:63]
	s_delay_alu instid0(VALU_DEP_2) | instskip(NEXT) | instid1(VALU_DEP_1)
	v_fma_f64 v[52:53], v[56:57], v[52:53], -v[58:59]
	v_fmac_f64_e32 v[52:53], v[56:57], v[48:49]
	s_delay_alu instid0(VALU_DEP_1) | instskip(NEXT) | instid1(VALU_DEP_1)
	v_add_f64_e32 v[48:49], v[58:59], v[52:53]
	v_add_f64_e64 v[60:61], v[50:51], -v[48:49]
	v_add_f64_e64 v[58:59], v[48:49], -v[58:59]
	s_delay_alu instid0(VALU_DEP_2) | instskip(NEXT) | instid1(VALU_DEP_1)
	v_add_f64_e64 v[50:51], v[50:51], -v[60:61]
	v_add_f64_e64 v[48:49], v[50:51], -v[48:49]
	s_delay_alu instid0(VALU_DEP_3) | instskip(SKIP_1) | instid1(VALU_DEP_3)
	v_add_f64_e64 v[50:51], v[58:59], -v[52:53]
	v_max_num_f64_e64 v[52:53], |v[2:3]|, |v[2:3]|
	v_add_f64_e32 v[44:45], v[44:45], v[48:49]
	v_add_f64_e32 v[48:49], v[46:47], v[56:57]
	s_delay_alu instid0(VALU_DEP_2) | instskip(NEXT) | instid1(VALU_DEP_2)
	v_add_f64_e32 v[44:45], v[50:51], v[44:45]
	v_add_f64_e64 v[46:47], v[48:49], -v[46:47]
	v_max_num_f64_e64 v[50:51], |v[4:5]|, |v[4:5]|
	s_delay_alu instid0(VALU_DEP_3) | instskip(NEXT) | instid1(VALU_DEP_3)
	v_add_f64_e32 v[44:45], v[60:61], v[44:45]
	v_add_f64_e64 v[46:47], v[56:57], -v[46:47]
	s_delay_alu instid0(VALU_DEP_2) | instskip(NEXT) | instid1(VALU_DEP_1)
	v_mul_f64_e32 v[44:45], v[54:55], v[44:45]
	v_add_f64_e32 v[44:45], v[46:47], v[44:45]
	v_max_num_f64_e32 v[46:47], v[52:53], v[50:51]
	v_min_num_f64_e32 v[50:51], v[52:53], v[50:51]
	s_delay_alu instid0(VALU_DEP_3) | instskip(NEXT) | instid1(VALU_DEP_2)
	v_add_f64_e32 v[52:53], v[48:49], v[44:45]
	v_div_scale_f64 v[54:55], null, v[46:47], v[46:47], v[50:51]
	s_delay_alu instid0(VALU_DEP_2) | instskip(SKIP_1) | instid1(VALU_DEP_3)
	v_mul_f64_e32 v[56:57], v[52:53], v[52:53]
	v_add_f64_e64 v[48:49], v[52:53], -v[48:49]
	v_rcp_f64_e32 v[58:59], v[54:55]
	s_delay_alu instid0(VALU_DEP_2) | instskip(SKIP_1) | instid1(VALU_DEP_3)
	v_fmamk_f64 v[60:61], v[56:57], 0x3fc3ab76bf559e2b, v[24:25]
	v_mul_f64_e32 v[62:63], v[52:53], v[56:57]
	v_add_f64_e64 v[44:45], v[44:45], -v[48:49]
	s_delay_alu instid0(VALU_DEP_3) | instskip(NEXT) | instid1(TRANS32_DEP_1)
	v_fmaak_f64 v[60:61], v[56:57], v[60:61], 0x3fc7474dd7f4df2e
	v_fma_f64 v[64:65], -v[54:55], v[58:59], 1.0
	s_delay_alu instid0(VALU_DEP_2) | instskip(NEXT) | instid1(VALU_DEP_1)
	v_fmaak_f64 v[60:61], v[56:57], v[60:61], 0x3fcc71c016291751
	v_fmaak_f64 v[60:61], v[56:57], v[60:61], 0x3fd249249b27acf1
	s_delay_alu instid0(VALU_DEP_1) | instskip(SKIP_1) | instid1(VALU_DEP_2)
	v_fmaak_f64 v[60:61], v[56:57], v[60:61], 0x3fd99999998ef7b6
	v_ldexp_f64 v[44:45], v[44:45], 1
	v_fmaak_f64 v[56:57], v[56:57], v[60:61], 0x3fe5555555555780
	v_ldexp_f64 v[60:61], v[52:53], 1
	v_fmac_f64_e32 v[58:59], v[58:59], v[64:65]
	s_delay_alu instid0(VALU_DEP_3) | instskip(SKIP_2) | instid1(VALU_DEP_1)
	v_mul_f64_e32 v[56:57], v[62:63], v[56:57]
	v_cvt_f64_i32_e32 v[62:63], v8
	v_ashrrev_i32_e32 v8, 31, v3
	v_and_b32_e32 v16, 0x54442d18, v8
	v_fma_f64 v[64:65], -v[54:55], v[58:59], 1.0
	v_add_f64_e32 v[52:53], v[60:61], v[56:57]
	v_mul_f64_e32 v[66:67], 0x3fe62e42fefa39ef, v[62:63]
	s_delay_alu instid0(VALU_DEP_3) | instskip(NEXT) | instid1(VALU_DEP_3)
	v_fmac_f64_e32 v[58:59], v[58:59], v[64:65]
	v_add_f64_e64 v[48:49], v[52:53], -v[60:61]
	v_div_scale_f64 v[60:61], vcc_lo, v[50:51], v[46:47], v[50:51]
	s_delay_alu instid0(VALU_DEP_4) | instskip(NEXT) | instid1(VALU_DEP_3)
	v_fma_f64 v[64:65], v[62:63], s[30:31], -v[66:67]
	v_add_f64_e64 v[48:49], v[56:57], -v[48:49]
	s_delay_alu instid0(VALU_DEP_3) | instskip(NEXT) | instid1(VALU_DEP_3)
	v_mul_f64_e32 v[56:57], v[60:61], v[58:59]
	v_fmac_f64_e32 v[64:65], 0x3c7abc9e3b39803f, v[62:63]
	s_delay_alu instid0(VALU_DEP_3) | instskip(NEXT) | instid1(VALU_DEP_3)
	v_add_f64_e32 v[44:45], v[44:45], v[48:49]
	v_fma_f64 v[48:49], -v[54:55], v[56:57], v[60:61]
	s_delay_alu instid0(VALU_DEP_3) | instskip(NEXT) | instid1(VALU_DEP_3)
	v_add_f64_e32 v[54:55], v[66:67], v[64:65]
	v_add_f64_e32 v[60:61], v[52:53], v[44:45]
	s_delay_alu instid0(VALU_DEP_3) | instskip(SKIP_1) | instid1(VALU_DEP_4)
	v_div_fmas_f64 v[48:49], v[48:49], v[58:59], v[56:57]
	v_cmp_gt_i32_e32 vcc_lo, 0, v3
	v_add_f64_e64 v[58:59], v[54:55], -v[66:67]
	v_cndmask_b32_e32 v12, 0x54442d18, v68, vcc_lo
	v_add_f64_e32 v[56:57], v[54:55], v[60:61]
	v_div_fixup_f64 v[46:47], v[48:49], v[46:47], v[50:51]
	v_add_f64_e64 v[52:53], v[60:61], -v[52:53]
	v_add_f64_e64 v[58:59], v[64:65], -v[58:59]
	s_delay_alu instid0(VALU_DEP_4) | instskip(NEXT) | instid1(VALU_DEP_4)
	v_add_f64_e64 v[48:49], v[56:57], -v[54:55]
	v_mul_f64_e32 v[50:51], v[46:47], v[46:47]
	s_delay_alu instid0(VALU_DEP_4) | instskip(NEXT) | instid1(VALU_DEP_3)
	v_add_f64_e64 v[44:45], v[44:45], -v[52:53]
	v_add_f64_e64 v[62:63], v[56:57], -v[48:49]
	s_delay_alu instid0(VALU_DEP_3) | instskip(SKIP_1) | instid1(VALU_DEP_4)
	v_fmamk_f64 v[66:67], v[50:51], 0x3eeba404b5e68a13, v[26:27]
	v_add_f64_e64 v[48:49], v[60:61], -v[48:49]
	v_add_f64_e32 v[60:61], v[58:59], v[44:45]
	s_delay_alu instid0(VALU_DEP_3) | instskip(NEXT) | instid1(VALU_DEP_1)
	v_fmaak_f64 v[66:67], v[50:51], v[66:67], 0x3f4b2bb069efb384
	v_fmaak_f64 v[66:67], v[50:51], v[66:67], 0xbf67952daf56de9b
	v_add_f64_e64 v[52:53], v[54:55], -v[62:63]
	s_delay_alu instid0(VALU_DEP_2) | instskip(NEXT) | instid1(VALU_DEP_1)
	v_fmaak_f64 v[54:55], v[50:51], v[66:67], 0x3f7d6d43a595c56f
	v_fmaak_f64 v[54:55], v[50:51], v[54:55], 0xbf8c6ea4a57d9582
	s_delay_alu instid0(VALU_DEP_1) | instskip(NEXT) | instid1(VALU_DEP_1)
	v_fmaak_f64 v[54:55], v[50:51], v[54:55], 0x3f967e295f08b19f
	v_fmaak_f64 v[54:55], v[50:51], v[54:55], 0xbf9e9ae6fc27006a
	s_delay_alu instid0(VALU_DEP_1) | instskip(SKIP_1) | instid1(VALU_DEP_2)
	v_fmaak_f64 v[54:55], v[50:51], v[54:55], 0x3fa2c15b5711927a
	v_add_f64_e32 v[48:49], v[48:49], v[52:53]
	v_fmaak_f64 v[52:53], v[50:51], v[54:55], 0xbfa59976e82d3ff0
	v_add_f64_e64 v[54:55], v[60:61], -v[58:59]
	s_delay_alu instid0(VALU_DEP_2) | instskip(NEXT) | instid1(VALU_DEP_1)
	v_fmaak_f64 v[52:53], v[50:51], v[52:53], 0x3fa82d5d6ef28734
	v_fmaak_f64 v[52:53], v[50:51], v[52:53], 0xbfaae5ce6a214619
	s_delay_alu instid0(VALU_DEP_1) | instskip(NEXT) | instid1(VALU_DEP_1)
	v_fmaak_f64 v[52:53], v[50:51], v[52:53], 0x3fae1bb48427b883
	v_fmaak_f64 v[52:53], v[50:51], v[52:53], 0xbfb110e48b207f05
	v_add_f64_e32 v[48:49], v[60:61], v[48:49]
	v_add_f64_e64 v[60:61], v[60:61], -v[54:55]
	v_add_f64_e64 v[44:45], v[44:45], -v[54:55]
	s_delay_alu instid0(VALU_DEP_4) | instskip(NEXT) | instid1(VALU_DEP_1)
	v_fmaak_f64 v[52:53], v[50:51], v[52:53], 0x3fb3b13657b87036
	v_fmaak_f64 v[52:53], v[50:51], v[52:53], 0xbfb745d119378e4f
	s_delay_alu instid0(VALU_DEP_1) | instskip(NEXT) | instid1(VALU_DEP_1)
	v_fmaak_f64 v[52:53], v[50:51], v[52:53], 0x3fbc71c717e1913c
	v_fmaak_f64 v[52:53], v[50:51], v[52:53], 0xbfc2492492376b7d
	v_add_f64_e32 v[62:63], v[56:57], v[48:49]
	s_delay_alu instid0(VALU_DEP_2) | instskip(NEXT) | instid1(VALU_DEP_1)
	v_fmaak_f64 v[52:53], v[50:51], v[52:53], 0x3fc99999999952cc
	v_fmaak_f64 v[52:53], v[50:51], v[52:53], 0xbfd5555555555523
	s_delay_alu instid0(VALU_DEP_1) | instskip(SKIP_2) | instid1(VALU_DEP_3)
	v_mul_f64_e32 v[50:51], v[50:51], v[52:53]
	v_add_f64_e64 v[52:53], v[58:59], -v[60:61]
	v_add_f64_e64 v[54:55], v[62:63], -v[56:57]
	v_fmac_f64_e32 v[46:47], v[46:47], v[50:51]
	s_delay_alu instid0(VALU_DEP_3) | instskip(NEXT) | instid1(VALU_DEP_3)
	v_add_f64_e32 v[44:45], v[44:45], v[52:53]
	v_add_f64_e64 v[48:49], v[48:49], -v[54:55]
	s_delay_alu instid0(VALU_DEP_3) | instskip(NEXT) | instid1(VALU_DEP_1)
	v_add_f64_e64 v[50:51], -v[46:47], s[38:39]
	v_dual_add_f64 v[44:45], v[44:45], v[48:49] :: v_dual_cndmask_b32 v47, v47, v51, s4
	s_delay_alu instid0(VALU_DEP_2) | instskip(SKIP_3) | instid1(VALU_DEP_4)
	v_cndmask_b32_e64 v46, v46, v50, s4
	v_cmp_neq_f64_e64 s6, 0x7ff00000, v[6:7]
	v_cndmask_b32_e32 v6, 0x3fe921fb, v69, vcc_lo
	v_and_b32_e32 v7, 0x400921fb, v8
	v_add_f64_e64 v[48:49], -v[46:47], s[40:41]
	s_delay_alu instid0(VALU_DEP_3) | instskip(SKIP_1) | instid1(VALU_DEP_3)
	v_bfi_b32 v6, 0x7fffffff, v6, v5
	v_add_f64_e32 v[44:45], v[62:63], v[44:45]
	v_dual_cndmask_b32 v21, v46, v48 :: v_dual_cndmask_b32 v8, v47, v49
	s_and_b32 vcc_lo, s9, s10
                                        ; implicit-def: $vgpr48_vgpr49
	s_delay_alu instid0(VALU_DEP_1) | instskip(NEXT) | instid1(VALU_DEP_1)
	v_dual_cndmask_b32 v16, v21, v16, s5 :: v_dual_cndmask_b32 v7, v8, v7, s5
	v_dual_mul_f64 v[2:3], 0.5, v[44:45] :: v_dual_cndmask_b32 v45, v7, v6, vcc_lo
	s_delay_alu instid0(VALU_DEP_2) | instskip(NEXT) | instid1(VALU_DEP_2)
	v_cndmask_b32_e32 v44, v16, v12, vcc_lo
	v_cndmask_b32_e64 v7, 0x7ff00000, v3, s6
	s_delay_alu instid0(VALU_DEP_3)
	v_cndmask_b32_e64 v6, 0, v2, s6
.LBB179_281:                            ;   in Loop: Header=BB179_145 Depth=1
	s_and_not1_saveexec_b32 s6, s8
	s_cbranch_execz .LBB179_283
; %bb.282:                              ;   in Loop: Header=BB179_145 Depth=1
	v_max_num_f64_e64 v[6:7], |v[4:5]|, |v[4:5]|
	v_max_num_f64_e64 v[44:45], |v[2:3]|, |v[2:3]|
	v_ashrrev_i32_e32 v8, 31, v3
	v_cmp_eq_f64_e64 s5, 0, v[4:5]
	v_cmp_class_f64_e64 s8, v[4:5], 0x204
	v_cmp_class_f64_e64 s9, v[2:3], 0x204
	s_delay_alu instid0(VALU_DEP_4) | instskip(SKIP_2) | instid1(VALU_DEP_1)
	v_and_b32_e32 v16, 0x54442d18, v8
	v_max_num_f64_e32 v[46:47], v[44:45], v[6:7]
	v_min_num_f64_e32 v[6:7], v[44:45], v[6:7]
	v_div_scale_f64 v[44:45], null, v[46:47], v[46:47], v[6:7]
	v_div_scale_f64 v[54:55], vcc_lo, v[6:7], v[46:47], v[6:7]
	s_delay_alu instid0(VALU_DEP_2) | instskip(SKIP_1) | instid1(TRANS32_DEP_1)
	v_rcp_f64_e32 v[50:51], v[44:45]
	v_nop
	v_fma_f64 v[52:53], -v[44:45], v[50:51], 1.0
	s_delay_alu instid0(VALU_DEP_1) | instskip(NEXT) | instid1(VALU_DEP_1)
	v_fmac_f64_e32 v[50:51], v[50:51], v[52:53]
	v_fma_f64 v[52:53], -v[44:45], v[50:51], 1.0
	s_delay_alu instid0(VALU_DEP_1) | instskip(NEXT) | instid1(VALU_DEP_1)
	v_fmac_f64_e32 v[50:51], v[50:51], v[52:53]
	v_mul_f64_e32 v[52:53], v[54:55], v[50:51]
	s_delay_alu instid0(VALU_DEP_1) | instskip(NEXT) | instid1(VALU_DEP_1)
	v_fma_f64 v[44:45], -v[44:45], v[52:53], v[54:55]
	v_div_fmas_f64 v[44:45], v[44:45], v[50:51], v[52:53]
	v_cmp_gt_i32_e32 vcc_lo, 0, v3
	v_and_b32_e32 v3, 0x400921fb, v8
	v_cndmask_b32_e32 v12, 0x54442d18, v68, vcc_lo
	v_cndmask_b32_e32 v2, 0x3fe921fb, v69, vcc_lo
	s_delay_alu instid0(VALU_DEP_1) | instskip(SKIP_1) | instid1(VALU_DEP_1)
	v_bfi_b32 v2, 0x7fffffff, v2, v5
	v_div_fixup_f64 v[6:7], v[44:45], v[46:47], v[6:7]
	v_mul_f64_e32 v[44:45], v[6:7], v[6:7]
	s_delay_alu instid0(VALU_DEP_1) | instskip(NEXT) | instid1(VALU_DEP_1)
	v_fmamk_f64 v[46:47], v[44:45], 0x3eeba404b5e68a13, v[26:27]
	v_fmaak_f64 v[46:47], v[44:45], v[46:47], 0x3f4b2bb069efb384
	s_delay_alu instid0(VALU_DEP_1) | instskip(NEXT) | instid1(VALU_DEP_1)
	v_fmaak_f64 v[46:47], v[44:45], v[46:47], 0xbf67952daf56de9b
	v_fmaak_f64 v[46:47], v[44:45], v[46:47], 0x3f7d6d43a595c56f
	s_delay_alu instid0(VALU_DEP_1) | instskip(NEXT) | instid1(VALU_DEP_1)
	v_fmaak_f64 v[46:47], v[44:45], v[46:47], 0xbf8c6ea4a57d9582
	;; [unrolled: 3-line block ×9, first 2 shown]
	v_mul_f64_e32 v[44:45], v[44:45], v[46:47]
	s_delay_alu instid0(VALU_DEP_1) | instskip(NEXT) | instid1(VALU_DEP_1)
	v_fmac_f64_e32 v[6:7], v[6:7], v[44:45]
	v_add_f64_e64 v[44:45], -v[6:7], s[38:39]
	s_delay_alu instid0(VALU_DEP_1) | instskip(SKIP_1) | instid1(VALU_DEP_1)
	v_dual_cndmask_b32 v45, v7, v45, s4 :: v_dual_cndmask_b32 v44, v6, v44, s4
	v_mul_f64_e32 v[6:7], 0.5, v[48:49]
	v_mul_f64_e32 v[6:7], v[48:49], v[6:7]
	s_delay_alu instid0(VALU_DEP_3) | instskip(NEXT) | instid1(VALU_DEP_1)
	v_add_f64_e64 v[46:47], -v[44:45], s[40:41]
	v_cndmask_b32_e32 v21, v44, v46, vcc_lo
	s_delay_alu instid0(VALU_DEP_1) | instskip(NEXT) | instid1(VALU_DEP_3)
	v_cndmask_b32_e64 v16, v21, v16, s5
	v_cndmask_b32_e32 v8, v45, v47, vcc_lo
	s_and_b32 vcc_lo, s8, s9
	s_delay_alu instid0(VALU_DEP_2) | instskip(NEXT) | instid1(VALU_DEP_2)
	v_cndmask_b32_e32 v44, v16, v12, vcc_lo
	v_cndmask_b32_e64 v3, v8, v3, s5
	s_delay_alu instid0(VALU_DEP_1)
	v_cndmask_b32_e32 v45, v3, v2, vcc_lo
.LBB179_283:                            ;   in Loop: Header=BB179_145 Depth=1
	s_or_b32 exec_lo, exec_lo, s6
.LBB179_284:                            ;   in Loop: Header=BB179_145 Depth=1
	s_delay_alu instid0(SALU_CYCLE_1)
	s_or_b32 exec_lo, exec_lo, s7
.LBB179_285:                            ;   in Loop: Header=BB179_145 Depth=1
	s_and_not1_saveexec_b32 s6, s33
	s_cbranch_execz .LBB179_287
; %bb.286:                              ;   in Loop: Header=BB179_145 Depth=1
	v_div_scale_f64 v[6:7], null, s[46:47], s[46:47], v[2:3]
	v_div_scale_f64 v[44:45], null, s[46:47], s[46:47], v[4:5]
	v_div_scale_f64 v[54:55], vcc_lo, v[2:3], s[46:47], v[2:3]
	s_delay_alu instid0(VALU_DEP_3) | instskip(NEXT) | instid1(VALU_DEP_2)
	v_rcp_f64_e32 v[46:47], v[6:7]
	v_rcp_f64_e32 v[48:49], v[44:45]
	s_delay_alu instid0(TRANS32_DEP_2) | instskip(NEXT) | instid1(TRANS32_DEP_1)
	v_fma_f64 v[50:51], -v[6:7], v[46:47], 1.0
	v_fma_f64 v[52:53], -v[44:45], v[48:49], 1.0
	s_delay_alu instid0(VALU_DEP_2) | instskip(NEXT) | instid1(VALU_DEP_2)
	v_fmac_f64_e32 v[46:47], v[46:47], v[50:51]
	v_fmac_f64_e32 v[48:49], v[48:49], v[52:53]
	s_delay_alu instid0(VALU_DEP_2) | instskip(NEXT) | instid1(VALU_DEP_2)
	v_fma_f64 v[50:51], -v[6:7], v[46:47], 1.0
	v_fma_f64 v[52:53], -v[44:45], v[48:49], 1.0
	s_delay_alu instid0(VALU_DEP_2) | instskip(SKIP_1) | instid1(VALU_DEP_3)
	v_fmac_f64_e32 v[46:47], v[46:47], v[50:51]
	v_div_scale_f64 v[50:51], s5, v[4:5], s[46:47], v[4:5]
	v_fmac_f64_e32 v[48:49], v[48:49], v[52:53]
	s_delay_alu instid0(VALU_DEP_3) | instskip(NEXT) | instid1(VALU_DEP_2)
	v_mul_f64_e32 v[52:53], v[54:55], v[46:47]
	v_mul_f64_e32 v[56:57], v[50:51], v[48:49]
	s_delay_alu instid0(VALU_DEP_2) | instskip(NEXT) | instid1(VALU_DEP_2)
	v_fma_f64 v[6:7], -v[6:7], v[52:53], v[54:55]
	v_fma_f64 v[44:45], -v[44:45], v[56:57], v[50:51]
	s_delay_alu instid0(VALU_DEP_2) | instskip(SKIP_1) | instid1(VALU_DEP_2)
	v_div_fmas_f64 v[6:7], v[6:7], v[46:47], v[52:53]
	s_mov_b32 vcc_lo, s5
	v_div_fmas_f64 v[44:45], v[44:45], v[48:49], v[56:57]
	s_delay_alu instid0(VALU_DEP_2) | instskip(NEXT) | instid1(VALU_DEP_2)
	v_div_fixup_f64 v[6:7], v[6:7], s[46:47], v[2:3]
	v_div_fixup_f64 v[44:45], v[44:45], s[46:47], v[4:5]
	s_delay_alu instid0(VALU_DEP_2) | instskip(NEXT) | instid1(VALU_DEP_2)
	v_cmp_class_f64_e64 s5, v[6:7], 0x204
	v_max_num_f64_e64 v[46:47], |v[6:7]|, |v[44:45]|
	v_cmp_class_f64_e64 s7, v[44:45], 0x204
	s_delay_alu instid0(VALU_DEP_2) | instskip(SKIP_2) | instid1(VALU_DEP_2)
	v_frexp_exp_i32_f64_e32 v8, v[46:47]
	s_or_b32 s5, s7, s5
	v_cmp_class_f64_e64 s7, v[2:3], 0x204
	v_sub_nc_u32_e32 v12, 0, v8
	s_delay_alu instid0(VALU_DEP_1) | instskip(SKIP_1) | instid1(VALU_DEP_2)
	v_ldexp_f64 v[46:47], |v[44:45]|, v12
	v_ldexp_f64 v[48:49], |v[6:7]|, v12
	v_mul_f64_e32 v[46:47], v[46:47], v[46:47]
	s_delay_alu instid0(VALU_DEP_1) | instskip(NEXT) | instid1(VALU_DEP_1)
	v_fmac_f64_e32 v[46:47], v[48:49], v[48:49]
	v_rsq_f64_e32 v[48:49], v[46:47]
	v_cmp_eq_f64_e32 vcc_lo, 0, v[46:47]
	s_delay_alu instid0(TRANS32_DEP_1) | instskip(SKIP_1) | instid1(VALU_DEP_1)
	v_mul_f64_e32 v[50:51], v[46:47], v[48:49]
	v_mul_f64_e32 v[48:49], 0.5, v[48:49]
	v_fma_f64 v[52:53], -v[48:49], v[50:51], 0.5
	s_delay_alu instid0(VALU_DEP_1) | instskip(SKIP_1) | instid1(VALU_DEP_2)
	v_fmac_f64_e32 v[50:51], v[50:51], v[52:53]
	v_fmac_f64_e32 v[48:49], v[48:49], v[52:53]
	v_fma_f64 v[52:53], -v[50:51], v[50:51], v[46:47]
	s_delay_alu instid0(VALU_DEP_1) | instskip(NEXT) | instid1(VALU_DEP_1)
	v_fmac_f64_e32 v[50:51], v[52:53], v[48:49]
	v_dual_cndmask_b32 v47, v51, v47 :: v_dual_cndmask_b32 v46, v50, v46
	v_cmp_o_f64_e32 vcc_lo, v[6:7], v[44:45]
	s_delay_alu instid0(VALU_DEP_2) | instskip(NEXT) | instid1(VALU_DEP_1)
	v_ldexp_f64 v[46:47], v[46:47], v8
	v_cndmask_b32_e32 v6, 0, v46, vcc_lo
	s_delay_alu instid0(VALU_DEP_2) | instskip(NEXT) | instid1(VALU_DEP_2)
	v_cndmask_b32_e32 v7, 0x7ff80000, v47, vcc_lo
	v_cndmask_b32_e64 v46, v6, 0, s5
	s_delay_alu instid0(VALU_DEP_2) | instskip(SKIP_1) | instid1(VALU_DEP_2)
	v_cndmask_b32_e64 v47, v7, 0x7ff00000, s5
	v_cmp_class_f64_e64 s5, v[4:5], 0x204
	v_frexp_mant_f64_e32 v[6:7], v[46:47]
	s_delay_alu instid0(VALU_DEP_1) | instskip(SKIP_1) | instid1(VALU_DEP_1)
	v_cmp_gt_f64_e32 vcc_lo, s[28:29], v[6:7]
	v_cndmask_b32_e64 v8, 0, 1, vcc_lo
	v_ldexp_f64 v[6:7], v[6:7], v8
	v_frexp_exp_i32_f64_e32 v8, v[46:47]
	s_delay_alu instid0(VALU_DEP_2) | instskip(SKIP_1) | instid1(VALU_DEP_3)
	v_add_f64_e32 v[44:45], 1.0, v[6:7]
	v_add_f64_e32 v[52:53], -1.0, v[6:7]
	v_subrev_co_ci_u32_e64 v8, null, 0, v8, vcc_lo
	s_delay_alu instid0(VALU_DEP_3) | instskip(SKIP_1) | instid1(VALU_DEP_1)
	v_rcp_f64_e32 v[48:49], v[44:45]
	v_add_f64_e32 v[54:55], -1.0, v[44:45]
	v_add_f64_e64 v[6:7], v[6:7], -v[54:55]
	s_delay_alu instid0(TRANS32_DEP_1) | instskip(NEXT) | instid1(VALU_DEP_1)
	v_fma_f64 v[50:51], -v[44:45], v[48:49], 1.0
	v_fmac_f64_e32 v[48:49], v[50:51], v[48:49]
	s_delay_alu instid0(VALU_DEP_1) | instskip(NEXT) | instid1(VALU_DEP_1)
	v_fma_f64 v[50:51], -v[44:45], v[48:49], 1.0
	v_fmac_f64_e32 v[48:49], v[50:51], v[48:49]
	s_delay_alu instid0(VALU_DEP_1) | instskip(NEXT) | instid1(VALU_DEP_1)
	v_mul_f64_e32 v[50:51], v[52:53], v[48:49]
	v_mul_f64_e32 v[56:57], v[44:45], v[50:51]
	s_delay_alu instid0(VALU_DEP_1) | instskip(NEXT) | instid1(VALU_DEP_1)
	v_fma_f64 v[44:45], v[50:51], v[44:45], -v[56:57]
	v_fmac_f64_e32 v[44:45], v[50:51], v[6:7]
	s_delay_alu instid0(VALU_DEP_1) | instskip(NEXT) | instid1(VALU_DEP_1)
	v_add_f64_e32 v[6:7], v[56:57], v[44:45]
	v_add_f64_e64 v[54:55], v[52:53], -v[6:7]
	v_add_f64_e64 v[56:57], v[6:7], -v[56:57]
	s_delay_alu instid0(VALU_DEP_2) | instskip(NEXT) | instid1(VALU_DEP_2)
	v_add_f64_e64 v[52:53], v[52:53], -v[54:55]
	v_add_f64_e64 v[44:45], v[56:57], -v[44:45]
	s_delay_alu instid0(VALU_DEP_2) | instskip(SKIP_1) | instid1(VALU_DEP_2)
	v_add_f64_e64 v[6:7], v[52:53], -v[6:7]
	v_max_num_f64_e64 v[52:53], |v[2:3]|, |v[2:3]|
	v_add_f64_e32 v[6:7], v[44:45], v[6:7]
	v_max_num_f64_e64 v[44:45], |v[4:5]|, |v[4:5]|
	s_delay_alu instid0(VALU_DEP_2) | instskip(NEXT) | instid1(VALU_DEP_1)
	v_add_f64_e32 v[6:7], v[54:55], v[6:7]
	v_mul_f64_e32 v[6:7], v[48:49], v[6:7]
	s_delay_alu instid0(VALU_DEP_3) | instskip(SKIP_1) | instid1(VALU_DEP_3)
	v_max_num_f64_e32 v[48:49], v[52:53], v[44:45]
	v_min_num_f64_e32 v[44:45], v[52:53], v[44:45]
	v_add_f64_e32 v[52:53], v[50:51], v[6:7]
	s_delay_alu instid0(VALU_DEP_2) | instskip(NEXT) | instid1(VALU_DEP_2)
	v_div_scale_f64 v[54:55], null, v[48:49], v[48:49], v[44:45]
	v_mul_f64_e32 v[56:57], v[52:53], v[52:53]
	v_add_f64_e64 v[50:51], v[52:53], -v[50:51]
	s_delay_alu instid0(VALU_DEP_3) | instskip(NEXT) | instid1(VALU_DEP_2)
	v_rcp_f64_e32 v[58:59], v[54:55]
	v_fmamk_f64 v[60:61], v[56:57], 0x3fc3ab76bf559e2b, v[24:25]
	v_mul_f64_e32 v[62:63], v[52:53], v[56:57]
	s_delay_alu instid0(VALU_DEP_3) | instskip(NEXT) | instid1(VALU_DEP_3)
	v_add_f64_e64 v[6:7], v[6:7], -v[50:51]
	v_fmaak_f64 v[60:61], v[56:57], v[60:61], 0x3fc7474dd7f4df2e
	s_delay_alu instid0(TRANS32_DEP_1) | instskip(NEXT) | instid1(VALU_DEP_2)
	v_fma_f64 v[64:65], -v[54:55], v[58:59], 1.0
	v_fmaak_f64 v[60:61], v[56:57], v[60:61], 0x3fcc71c016291751
	s_delay_alu instid0(VALU_DEP_1) | instskip(NEXT) | instid1(VALU_DEP_1)
	v_fmaak_f64 v[60:61], v[56:57], v[60:61], 0x3fd249249b27acf1
	v_fmaak_f64 v[60:61], v[56:57], v[60:61], 0x3fd99999998ef7b6
	v_ldexp_f64 v[6:7], v[6:7], 1
	s_delay_alu instid0(VALU_DEP_2) | instskip(SKIP_2) | instid1(VALU_DEP_3)
	v_fmaak_f64 v[56:57], v[56:57], v[60:61], 0x3fe5555555555780
	v_ldexp_f64 v[60:61], v[52:53], 1
	v_fmac_f64_e32 v[58:59], v[58:59], v[64:65]
	v_mul_f64_e32 v[56:57], v[62:63], v[56:57]
	v_cvt_f64_i32_e32 v[62:63], v8
	v_ashrrev_i32_e32 v8, 31, v3
	s_delay_alu instid0(VALU_DEP_1) | instskip(SKIP_3) | instid1(VALU_DEP_3)
	v_and_b32_e32 v16, 0x54442d18, v8
	v_fma_f64 v[64:65], -v[54:55], v[58:59], 1.0
	v_add_f64_e32 v[52:53], v[60:61], v[56:57]
	v_mul_f64_e32 v[66:67], 0x3fe62e42fefa39ef, v[62:63]
	v_fmac_f64_e32 v[58:59], v[58:59], v[64:65]
	s_delay_alu instid0(VALU_DEP_3) | instskip(SKIP_1) | instid1(VALU_DEP_4)
	v_add_f64_e64 v[50:51], v[52:53], -v[60:61]
	v_div_scale_f64 v[60:61], vcc_lo, v[44:45], v[48:49], v[44:45]
	v_fma_f64 v[64:65], v[62:63], s[30:31], -v[66:67]
	s_delay_alu instid0(VALU_DEP_3) | instskip(NEXT) | instid1(VALU_DEP_3)
	v_add_f64_e64 v[50:51], v[56:57], -v[50:51]
	v_mul_f64_e32 v[56:57], v[60:61], v[58:59]
	s_delay_alu instid0(VALU_DEP_3) | instskip(NEXT) | instid1(VALU_DEP_3)
	v_fmac_f64_e32 v[64:65], 0x3c7abc9e3b39803f, v[62:63]
	v_add_f64_e32 v[6:7], v[6:7], v[50:51]
	s_delay_alu instid0(VALU_DEP_3) | instskip(NEXT) | instid1(VALU_DEP_3)
	v_fma_f64 v[50:51], -v[54:55], v[56:57], v[60:61]
	v_add_f64_e32 v[54:55], v[66:67], v[64:65]
	s_delay_alu instid0(VALU_DEP_3) | instskip(NEXT) | instid1(VALU_DEP_3)
	v_add_f64_e32 v[60:61], v[52:53], v[6:7]
	v_div_fmas_f64 v[50:51], v[50:51], v[58:59], v[56:57]
	v_cmp_class_f64_e64 vcc_lo, v[46:47], 0x204
	s_delay_alu instid0(VALU_DEP_4) | instskip(NEXT) | instid1(VALU_DEP_4)
	v_add_f64_e64 v[58:59], v[54:55], -v[66:67]
	v_add_f64_e32 v[56:57], v[54:55], v[60:61]
	s_delay_alu instid0(VALU_DEP_4) | instskip(SKIP_1) | instid1(VALU_DEP_4)
	v_div_fixup_f64 v[44:45], v[50:51], v[48:49], v[44:45]
	v_add_f64_e64 v[52:53], v[60:61], -v[52:53]
	v_add_f64_e64 v[58:59], v[64:65], -v[58:59]
	s_delay_alu instid0(VALU_DEP_4) | instskip(NEXT) | instid1(VALU_DEP_4)
	v_add_f64_e64 v[48:49], v[56:57], -v[54:55]
	v_mul_f64_e32 v[50:51], v[44:45], v[44:45]
	s_delay_alu instid0(VALU_DEP_4) | instskip(NEXT) | instid1(VALU_DEP_3)
	v_add_f64_e64 v[6:7], v[6:7], -v[52:53]
	v_add_f64_e64 v[62:63], v[56:57], -v[48:49]
	s_delay_alu instid0(VALU_DEP_3) | instskip(SKIP_1) | instid1(VALU_DEP_4)
	v_fmamk_f64 v[66:67], v[50:51], 0x3eeba404b5e68a13, v[26:27]
	v_add_f64_e64 v[48:49], v[60:61], -v[48:49]
	v_add_f64_e32 v[60:61], v[58:59], v[6:7]
	s_delay_alu instid0(VALU_DEP_3) | instskip(SKIP_1) | instid1(VALU_DEP_2)
	v_fmaak_f64 v[66:67], v[50:51], v[66:67], 0x3f4b2bb069efb384
	v_add_f64_e64 v[52:53], v[54:55], -v[62:63]
	v_fmaak_f64 v[54:55], v[50:51], v[66:67], 0xbf67952daf56de9b
	s_delay_alu instid0(VALU_DEP_1) | instskip(NEXT) | instid1(VALU_DEP_1)
	v_fmaak_f64 v[54:55], v[50:51], v[54:55], 0x3f7d6d43a595c56f
	v_fmaak_f64 v[54:55], v[50:51], v[54:55], 0xbf8c6ea4a57d9582
	s_delay_alu instid0(VALU_DEP_1) | instskip(SKIP_1) | instid1(VALU_DEP_2)
	v_fmaak_f64 v[54:55], v[50:51], v[54:55], 0x3f967e295f08b19f
	v_add_f64_e32 v[48:49], v[48:49], v[52:53]
	v_fmaak_f64 v[52:53], v[50:51], v[54:55], 0xbf9e9ae6fc27006a
	v_add_f64_e64 v[54:55], v[60:61], -v[58:59]
	s_delay_alu instid0(VALU_DEP_2) | instskip(NEXT) | instid1(VALU_DEP_1)
	v_fmaak_f64 v[52:53], v[50:51], v[52:53], 0x3fa2c15b5711927a
	v_fmaak_f64 v[52:53], v[50:51], v[52:53], 0xbfa59976e82d3ff0
	s_delay_alu instid0(VALU_DEP_1) | instskip(NEXT) | instid1(VALU_DEP_1)
	v_fmaak_f64 v[52:53], v[50:51], v[52:53], 0x3fa82d5d6ef28734
	v_fmaak_f64 v[52:53], v[50:51], v[52:53], 0xbfaae5ce6a214619
	v_add_f64_e32 v[48:49], v[60:61], v[48:49]
	v_add_f64_e64 v[60:61], v[60:61], -v[54:55]
	v_add_f64_e64 v[6:7], v[6:7], -v[54:55]
	s_delay_alu instid0(VALU_DEP_4) | instskip(NEXT) | instid1(VALU_DEP_1)
	v_fmaak_f64 v[52:53], v[50:51], v[52:53], 0x3fae1bb48427b883
	v_fmaak_f64 v[52:53], v[50:51], v[52:53], 0xbfb110e48b207f05
	s_delay_alu instid0(VALU_DEP_1) | instskip(NEXT) | instid1(VALU_DEP_1)
	v_fmaak_f64 v[52:53], v[50:51], v[52:53], 0x3fb3b13657b87036
	v_fmaak_f64 v[52:53], v[50:51], v[52:53], 0xbfb745d119378e4f
	s_delay_alu instid0(VALU_DEP_1) | instskip(SKIP_1) | instid1(VALU_DEP_2)
	v_fmaak_f64 v[52:53], v[50:51], v[52:53], 0x3fbc71c717e1913c
	v_add_f64_e32 v[62:63], v[56:57], v[48:49]
	v_fmaak_f64 v[52:53], v[50:51], v[52:53], 0xbfc2492492376b7d
	s_delay_alu instid0(VALU_DEP_1) | instskip(NEXT) | instid1(VALU_DEP_1)
	v_fmaak_f64 v[52:53], v[50:51], v[52:53], 0x3fc99999999952cc
	v_fmaak_f64 v[52:53], v[50:51], v[52:53], 0xbfd5555555555523
	s_delay_alu instid0(VALU_DEP_1) | instskip(SKIP_2) | instid1(VALU_DEP_3)
	v_mul_f64_e32 v[50:51], v[50:51], v[52:53]
	v_add_f64_e64 v[52:53], v[58:59], -v[60:61]
	v_add_f64_e64 v[54:55], v[62:63], -v[56:57]
	v_fmac_f64_e32 v[44:45], v[44:45], v[50:51]
	s_delay_alu instid0(VALU_DEP_3) | instskip(NEXT) | instid1(VALU_DEP_3)
	v_add_f64_e32 v[6:7], v[6:7], v[52:53]
	v_add_f64_e64 v[48:49], v[48:49], -v[54:55]
	s_delay_alu instid0(VALU_DEP_3) | instskip(NEXT) | instid1(VALU_DEP_1)
	v_add_f64_e64 v[50:51], -v[44:45], s[38:39]
	v_dual_add_f64 v[6:7], v[6:7], v[48:49] :: v_dual_cndmask_b32 v45, v45, v51, s4
	s_delay_alu instid0(VALU_DEP_2) | instskip(SKIP_2) | instid1(VALU_DEP_4)
	v_cndmask_b32_e64 v44, v44, v50, s4
	v_cmp_gt_i32_e64 s4, 0, v3
	v_and_b32_e32 v3, 0x400921fb, v8
	v_add_f64_e32 v[6:7], v[62:63], v[6:7]
	s_delay_alu instid0(VALU_DEP_4) | instskip(NEXT) | instid1(VALU_DEP_4)
	v_add_f64_e64 v[48:49], -v[44:45], s[40:41]
	v_cndmask_b32_e64 v12, 0x54442d18, v68, s4
	v_cndmask_b32_e64 v2, 0x3fe921fb, v69, s4
	s_delay_alu instid0(VALU_DEP_1) | instskip(SKIP_4) | instid1(VALU_DEP_2)
	v_bfi_b32 v2, 0x7fffffff, v2, v5
	v_dual_cndmask_b32 v7, v7, v47 :: v_dual_cndmask_b32 v6, v6, v46
	v_cmp_eq_f64_e32 vcc_lo, 0, v[4:5]
	v_dual_cndmask_b32 v21, v44, v48, s4 :: v_dual_cndmask_b32 v8, v45, v49, s4
	v_cmp_nge_f64_e64 s4, 0, v[46:47]
	v_dual_add_f64 v[6:7], 1.0, v[6:7] :: v_dual_cndmask_b32 v16, v21, v16, vcc_lo
	s_delay_alu instid0(VALU_DEP_3) | instskip(SKIP_1) | instid1(VALU_DEP_3)
	v_cndmask_b32_e32 v3, v8, v3, vcc_lo
	v_cmp_ngt_f64_e32 vcc_lo, 0, v[46:47]
	v_cndmask_b32_e64 v6, 0, v6, s4
	v_cmp_neq_f64_e64 s4, 0, v[46:47]
	v_cndmask_b32_e32 v7, 0x7ff80000, v7, vcc_lo
	s_and_b32 vcc_lo, s5, s7
	v_dual_cndmask_b32 v45, v3, v2 :: v_dual_cndmask_b32 v44, v16, v12
	s_delay_alu instid0(VALU_DEP_2)
	v_cndmask_b32_e64 v7, 0xfff00000, v7, s4
.LBB179_287:                            ;   in Loop: Header=BB179_145 Depth=1
	s_or_b32 exec_lo, exec_lo, s6
	s_and_not1_saveexec_b32 s4, s15
	s_cbranch_execz .LBB179_257
.LBB179_288:                            ;   in Loop: Header=BB179_145 Depth=1
	v_cmp_ngt_f64_e64 s5, 0x20000000, |v[2:3]|
	v_cmp_ngt_f64_e64 s6, 0x20000000, |v[4:5]|
                                        ; implicit-def: $vgpr46_vgpr47
	s_or_b32 s5, s6, s5
	s_delay_alu instid0(SALU_CYCLE_1) | instskip(NEXT) | instid1(SALU_CYCLE_1)
	s_and_saveexec_b32 s6, s5
	s_xor_b32 s5, exec_lo, s6
	s_cbranch_execz .LBB179_290
; %bb.289:                              ;   in Loop: Header=BB179_145 Depth=1
	v_mul_f64_e32 v[46:47], v[2:3], v[2:3]
	s_delay_alu instid0(VALU_DEP_1)
	v_fmac_f64_e32 v[46:47], v[4:5], v[4:5]
.LBB179_290:                            ;   in Loop: Header=BB179_145 Depth=1
	s_and_not1_saveexec_b32 s5, s5
	s_cbranch_execz .LBB179_292
; %bb.291:                              ;   in Loop: Header=BB179_145 Depth=1
	v_mul_f64_e32 v[2:3], 4.0, v[2:3]
	v_mul_f64_e32 v[6:7], 4.0, v[4:5]
	s_delay_alu instid0(VALU_DEP_2) | instskip(NEXT) | instid1(VALU_DEP_1)
	v_mul_f64_e32 v[2:3], v[2:3], v[2:3]
	v_fmac_f64_e32 v[2:3], v[6:7], v[6:7]
	s_delay_alu instid0(VALU_DEP_1)
	v_ldexp_f64 v[46:47], v[2:3], -4
.LBB179_292:                            ;   in Loop: Header=BB179_145 Depth=1
	s_or_b32 exec_lo, exec_lo, s5
	s_delay_alu instid0(VALU_DEP_1) | instskip(NEXT) | instid1(VALU_DEP_1)
	v_frexp_mant_f64_e32 v[2:3], v[46:47]
	v_cmp_gt_f64_e32 vcc_lo, s[28:29], v[2:3]
	v_cndmask_b32_e64 v4, 0, 1, vcc_lo
	s_delay_alu instid0(VALU_DEP_1) | instskip(SKIP_1) | instid1(VALU_DEP_2)
	v_ldexp_f64 v[2:3], v[2:3], v4
	v_frexp_exp_i32_f64_e32 v4, v[46:47]
	v_add_f64_e32 v[6:7], 1.0, v[2:3]
	v_add_f64_e32 v[50:51], -1.0, v[2:3]
	s_delay_alu instid0(VALU_DEP_3) | instskip(SKIP_1) | instid1(VALU_DEP_4)
	v_subrev_co_ci_u32_e64 v4, null, 0, v4, vcc_lo
	v_cmp_class_f64_e64 vcc_lo, v[46:47], 0x204
	v_rcp_f64_e32 v[44:45], v[6:7]
	v_add_f64_e32 v[52:53], -1.0, v[6:7]
	s_delay_alu instid0(VALU_DEP_1) | instskip(NEXT) | instid1(TRANS32_DEP_1)
	v_add_f64_e64 v[2:3], v[2:3], -v[52:53]
	v_fma_f64 v[48:49], -v[6:7], v[44:45], 1.0
	s_delay_alu instid0(VALU_DEP_1) | instskip(NEXT) | instid1(VALU_DEP_1)
	v_fmac_f64_e32 v[44:45], v[48:49], v[44:45]
	v_fma_f64 v[48:49], -v[6:7], v[44:45], 1.0
	s_delay_alu instid0(VALU_DEP_1) | instskip(NEXT) | instid1(VALU_DEP_1)
	v_fmac_f64_e32 v[44:45], v[48:49], v[44:45]
	v_mul_f64_e32 v[48:49], v[50:51], v[44:45]
	s_delay_alu instid0(VALU_DEP_1) | instskip(NEXT) | instid1(VALU_DEP_1)
	v_mul_f64_e32 v[54:55], v[6:7], v[48:49]
	v_fma_f64 v[6:7], v[48:49], v[6:7], -v[54:55]
	s_delay_alu instid0(VALU_DEP_1) | instskip(NEXT) | instid1(VALU_DEP_1)
	v_fmac_f64_e32 v[6:7], v[48:49], v[2:3]
	v_add_f64_e32 v[2:3], v[54:55], v[6:7]
	s_delay_alu instid0(VALU_DEP_1) | instskip(SKIP_1) | instid1(VALU_DEP_2)
	v_add_f64_e64 v[52:53], v[50:51], -v[2:3]
	v_add_f64_e64 v[54:55], v[2:3], -v[54:55]
	;; [unrolled: 1-line block ×3, first 2 shown]
	s_delay_alu instid0(VALU_DEP_2) | instskip(NEXT) | instid1(VALU_DEP_2)
	v_add_f64_e64 v[6:7], v[54:55], -v[6:7]
	v_add_f64_e64 v[2:3], v[50:51], -v[2:3]
	s_delay_alu instid0(VALU_DEP_1) | instskip(NEXT) | instid1(VALU_DEP_1)
	v_add_f64_e32 v[2:3], v[6:7], v[2:3]
	v_add_f64_e32 v[2:3], v[52:53], v[2:3]
	s_delay_alu instid0(VALU_DEP_1) | instskip(NEXT) | instid1(VALU_DEP_1)
	v_mul_f64_e32 v[2:3], v[44:45], v[2:3]
	v_add_f64_e32 v[6:7], v[48:49], v[2:3]
	s_delay_alu instid0(VALU_DEP_1) | instskip(NEXT) | instid1(VALU_DEP_1)
	v_mul_f64_e32 v[44:45], v[6:7], v[6:7]
	v_fmamk_f64 v[50:51], v[44:45], 0x3fc3ab76bf559e2b, v[24:25]
	v_mul_f64_e32 v[52:53], v[6:7], v[44:45]
	s_delay_alu instid0(VALU_DEP_2) | instskip(NEXT) | instid1(VALU_DEP_1)
	v_fmaak_f64 v[50:51], v[44:45], v[50:51], 0x3fc7474dd7f4df2e
	v_fmaak_f64 v[50:51], v[44:45], v[50:51], 0x3fcc71c016291751
	s_delay_alu instid0(VALU_DEP_1) | instskip(NEXT) | instid1(VALU_DEP_1)
	v_fmaak_f64 v[50:51], v[44:45], v[50:51], 0x3fd249249b27acf1
	v_fmaak_f64 v[50:51], v[44:45], v[50:51], 0x3fd99999998ef7b6
	s_delay_alu instid0(VALU_DEP_1) | instskip(SKIP_2) | instid1(VALU_DEP_3)
	v_fmaak_f64 v[44:45], v[44:45], v[50:51], 0x3fe5555555555780
	v_ldexp_f64 v[50:51], v[6:7], 1
	v_add_f64_e64 v[6:7], v[6:7], -v[48:49]
	v_mul_f64_e32 v[44:45], v[52:53], v[44:45]
	v_cvt_f64_i32_e32 v[52:53], v4
	s_delay_alu instid0(VALU_DEP_3) | instskip(NEXT) | instid1(VALU_DEP_3)
	v_add_f64_e64 v[2:3], v[2:3], -v[6:7]
	v_add_f64_e32 v[48:49], v[50:51], v[44:45]
	s_delay_alu instid0(VALU_DEP_3) | instskip(NEXT) | instid1(VALU_DEP_3)
	v_mul_f64_e32 v[54:55], 0x3fe62e42fefa39ef, v[52:53]
	v_ldexp_f64 v[2:3], v[2:3], 1
	s_delay_alu instid0(VALU_DEP_3) | instskip(NEXT) | instid1(VALU_DEP_3)
	v_add_f64_e64 v[6:7], v[48:49], -v[50:51]
	v_fma_f64 v[50:51], v[52:53], s[30:31], -v[54:55]
	s_delay_alu instid0(VALU_DEP_2) | instskip(NEXT) | instid1(VALU_DEP_2)
	v_add_f64_e64 v[6:7], v[44:45], -v[6:7]
	v_fmac_f64_e32 v[50:51], 0x3c7abc9e3b39803f, v[52:53]
	s_delay_alu instid0(VALU_DEP_2) | instskip(NEXT) | instid1(VALU_DEP_2)
	v_add_f64_e32 v[2:3], v[2:3], v[6:7]
	v_add_f64_e32 v[6:7], v[54:55], v[50:51]
	s_delay_alu instid0(VALU_DEP_2) | instskip(NEXT) | instid1(VALU_DEP_2)
	v_add_f64_e32 v[44:45], v[48:49], v[2:3]
	v_add_f64_e64 v[54:55], v[6:7], -v[54:55]
	s_delay_alu instid0(VALU_DEP_2) | instskip(SKIP_1) | instid1(VALU_DEP_3)
	v_add_f64_e32 v[52:53], v[6:7], v[44:45]
	v_add_f64_e64 v[48:49], v[44:45], -v[48:49]
	v_add_f64_e64 v[50:51], v[50:51], -v[54:55]
	s_delay_alu instid0(VALU_DEP_3) | instskip(NEXT) | instid1(VALU_DEP_3)
	v_add_f64_e64 v[56:57], v[52:53], -v[6:7]
	v_add_f64_e64 v[2:3], v[2:3], -v[48:49]
	s_delay_alu instid0(VALU_DEP_2) | instskip(SKIP_1) | instid1(VALU_DEP_3)
	v_add_f64_e64 v[58:59], v[52:53], -v[56:57]
	v_add_f64_e64 v[44:45], v[44:45], -v[56:57]
	v_add_f64_e32 v[48:49], v[50:51], v[2:3]
	s_delay_alu instid0(VALU_DEP_3) | instskip(NEXT) | instid1(VALU_DEP_1)
	v_add_f64_e64 v[6:7], v[6:7], -v[58:59]
	v_add_f64_e32 v[6:7], v[44:45], v[6:7]
	s_delay_alu instid0(VALU_DEP_3) | instskip(NEXT) | instid1(VALU_DEP_2)
	v_add_f64_e64 v[44:45], v[48:49], -v[50:51]
	v_add_f64_e32 v[6:7], v[48:49], v[6:7]
	s_delay_alu instid0(VALU_DEP_2) | instskip(SKIP_1) | instid1(VALU_DEP_3)
	v_add_f64_e64 v[48:49], v[48:49], -v[44:45]
	v_add_f64_e64 v[2:3], v[2:3], -v[44:45]
	v_add_f64_e32 v[54:55], v[52:53], v[6:7]
	s_delay_alu instid0(VALU_DEP_3) | instskip(NEXT) | instid1(VALU_DEP_2)
	v_add_f64_e64 v[44:45], v[50:51], -v[48:49]
	v_add_f64_e64 v[48:49], v[54:55], -v[52:53]
	s_delay_alu instid0(VALU_DEP_2) | instskip(SKIP_1) | instid1(VALU_DEP_3)
	v_add_f64_e32 v[2:3], v[2:3], v[44:45]
	v_mov_b64_e32 v[44:45], 0x7ff8000000000000
	v_add_f64_e64 v[6:7], v[6:7], -v[48:49]
	s_delay_alu instid0(VALU_DEP_1) | instskip(NEXT) | instid1(VALU_DEP_1)
	v_add_f64_e32 v[2:3], v[2:3], v[6:7]
	v_add_f64_e32 v[2:3], v[54:55], v[2:3]
	s_delay_alu instid0(VALU_DEP_1) | instskip(SKIP_1) | instid1(VALU_DEP_2)
	v_dual_cndmask_b32 v2, v2, v46 :: v_dual_cndmask_b32 v3, v3, v47
	v_cmp_ngt_f64_e32 vcc_lo, 0, v[46:47]
	v_cndmask_b32_e32 v3, 0x7ff80000, v3, vcc_lo
	v_cmp_nge_f64_e32 vcc_lo, 0, v[46:47]
	s_delay_alu instid0(VALU_DEP_4) | instskip(SKIP_1) | instid1(VALU_DEP_4)
	v_cndmask_b32_e32 v6, 0, v2, vcc_lo
	v_cmp_neq_f64_e32 vcc_lo, 0, v[46:47]
	v_cndmask_b32_e32 v7, 0xfff00000, v3, vcc_lo
	s_or_b32 exec_lo, exec_lo, s4
	s_and_saveexec_b32 s4, s3
	s_delay_alu instid0(SALU_CYCLE_1)
	s_xor_b32 s4, exec_lo, s4
	s_cbranch_execz .LBB179_258
.LBB179_293:                            ;   in Loop: Header=BB179_145 Depth=1
	v_bfi_b32 v39, 0x7fffffff, v39, v17
	v_div_scale_f64 v[2:3], null, s[48:49], s[48:49], v[36:37]
	v_div_scale_f64 v[54:55], vcc_lo, v[36:37], s[48:49], v[36:37]
	s_delay_alu instid0(VALU_DEP_3) | instskip(NEXT) | instid1(VALU_DEP_3)
	v_div_scale_f64 v[16:17], null, s[48:49], s[48:49], v[38:39]
	v_rcp_f64_e32 v[46:47], v[2:3]
	s_delay_alu instid0(VALU_DEP_1) | instskip(NEXT) | instid1(TRANS32_DEP_2)
	v_rcp_f64_e32 v[48:49], v[16:17]
	v_fma_f64 v[50:51], -v[2:3], v[46:47], 1.0
	s_delay_alu instid0(TRANS32_DEP_1) | instskip(NEXT) | instid1(VALU_DEP_2)
	v_fma_f64 v[52:53], -v[16:17], v[48:49], 1.0
	v_fmac_f64_e32 v[46:47], v[46:47], v[50:51]
	s_delay_alu instid0(VALU_DEP_2) | instskip(NEXT) | instid1(VALU_DEP_2)
	v_fmac_f64_e32 v[48:49], v[48:49], v[52:53]
	v_fma_f64 v[50:51], -v[2:3], v[46:47], 1.0
	s_delay_alu instid0(VALU_DEP_2) | instskip(NEXT) | instid1(VALU_DEP_2)
	v_fma_f64 v[52:53], -v[16:17], v[48:49], 1.0
	v_fmac_f64_e32 v[46:47], v[46:47], v[50:51]
	v_div_scale_f64 v[50:51], s3, v[38:39], s[48:49], v[38:39]
	s_delay_alu instid0(VALU_DEP_3) | instskip(NEXT) | instid1(VALU_DEP_3)
	v_fmac_f64_e32 v[48:49], v[48:49], v[52:53]
	v_mul_f64_e32 v[52:53], v[54:55], v[46:47]
	s_delay_alu instid0(VALU_DEP_2) | instskip(NEXT) | instid1(VALU_DEP_2)
	v_mul_f64_e32 v[56:57], v[50:51], v[48:49]
	v_fma_f64 v[2:3], -v[2:3], v[52:53], v[54:55]
	s_delay_alu instid0(VALU_DEP_2) | instskip(NEXT) | instid1(VALU_DEP_2)
	v_fma_f64 v[16:17], -v[16:17], v[56:57], v[50:51]
	v_div_fmas_f64 v[2:3], v[2:3], v[46:47], v[52:53]
	s_mov_b32 vcc_lo, s3
	s_delay_alu instid0(VALU_DEP_2) | instskip(NEXT) | instid1(VALU_DEP_2)
	v_div_fmas_f64 v[16:17], v[16:17], v[48:49], v[56:57]
	v_div_fixup_f64 v[36:37], v[2:3], s[48:49], v[36:37]
	v_lshl_add_u64 v[2:3], v[34:35], 4, s[18:19]
	s_delay_alu instid0(VALU_DEP_3)
	v_div_fixup_f64 v[38:39], v[16:17], s[48:49], v[38:39]
	global_store_b128 v[2:3], v[36:39], off
	s_wait_xcnt 0x0
	s_or_b32 exec_lo, exec_lo, s4
	s_and_saveexec_b32 s3, s2
	s_cbranch_execz .LBB179_259
.LBB179_294:                            ;   in Loop: Header=BB179_145 Depth=1
	v_bfi_b32 v41, 0x7fffffff, v41, v13
	v_div_scale_f64 v[2:3], null, s[48:49], s[48:49], v[14:15]
	v_div_scale_f64 v[46:47], vcc_lo, v[14:15], s[48:49], v[14:15]
	s_delay_alu instid0(VALU_DEP_3) | instskip(NEXT) | instid1(VALU_DEP_3)
	v_div_scale_f64 v[12:13], null, s[48:49], s[48:49], v[40:41]
	v_rcp_f64_e32 v[16:17], v[2:3]
	s_delay_alu instid0(VALU_DEP_1) | instskip(NEXT) | instid1(TRANS32_DEP_2)
	v_rcp_f64_e32 v[34:35], v[12:13]
	v_fma_f64 v[36:37], -v[2:3], v[16:17], 1.0
	s_delay_alu instid0(TRANS32_DEP_1) | instskip(NEXT) | instid1(VALU_DEP_2)
	v_fma_f64 v[38:39], -v[12:13], v[34:35], 1.0
	v_fmac_f64_e32 v[16:17], v[16:17], v[36:37]
	s_delay_alu instid0(VALU_DEP_2) | instskip(NEXT) | instid1(VALU_DEP_2)
	v_fmac_f64_e32 v[34:35], v[34:35], v[38:39]
	v_fma_f64 v[36:37], -v[2:3], v[16:17], 1.0
	s_delay_alu instid0(VALU_DEP_2) | instskip(NEXT) | instid1(VALU_DEP_2)
	v_fma_f64 v[38:39], -v[12:13], v[34:35], 1.0
	v_fmac_f64_e32 v[16:17], v[16:17], v[36:37]
	v_div_scale_f64 v[36:37], s2, v[40:41], s[48:49], v[40:41]
	s_delay_alu instid0(VALU_DEP_3) | instskip(NEXT) | instid1(VALU_DEP_3)
	v_fmac_f64_e32 v[34:35], v[34:35], v[38:39]
	v_mul_f64_e32 v[38:39], v[46:47], v[16:17]
	s_delay_alu instid0(VALU_DEP_2) | instskip(NEXT) | instid1(VALU_DEP_2)
	v_mul_f64_e32 v[48:49], v[36:37], v[34:35]
	v_fma_f64 v[2:3], -v[2:3], v[38:39], v[46:47]
	s_delay_alu instid0(VALU_DEP_2) | instskip(NEXT) | instid1(VALU_DEP_2)
	v_fma_f64 v[12:13], -v[12:13], v[48:49], v[36:37]
	v_div_fmas_f64 v[2:3], v[2:3], v[16:17], v[38:39]
	s_mov_b32 vcc_lo, s2
	s_delay_alu instid0(VALU_DEP_2) | instskip(NEXT) | instid1(VALU_DEP_2)
	v_div_fmas_f64 v[16:17], v[12:13], v[34:35], v[48:49]
	v_div_fixup_f64 v[12:13], v[2:3], s[48:49], v[14:15]
	v_lshl_add_u64 v[2:3], v[32:33], 4, s[18:19]
	s_delay_alu instid0(VALU_DEP_3)
	v_div_fixup_f64 v[14:15], v[16:17], s[48:49], v[40:41]
	global_store_b128 v[2:3], v[12:15], off
	s_wait_xcnt 0x0
	s_or_b32 exec_lo, exec_lo, s3
	s_and_saveexec_b32 s2, s1
	s_cbranch_execz .LBB179_260
.LBB179_295:                            ;   in Loop: Header=BB179_145 Depth=1
	v_bfi_b32 v43, 0x7fffffff, v43, v9
	s_delay_alu instid0(VALU_DEP_3) | instskip(SKIP_1) | instid1(VALU_DEP_3)
	v_div_scale_f64 v[2:3], null, s[48:49], s[48:49], v[10:11]
	v_div_scale_f64 v[34:35], vcc_lo, v[10:11], s[48:49], v[10:11]
	v_div_scale_f64 v[8:9], null, s[48:49], s[48:49], v[42:43]
	s_delay_alu instid0(VALU_DEP_3) | instskip(NEXT) | instid1(VALU_DEP_1)
	v_rcp_f64_e32 v[12:13], v[2:3]
	v_rcp_f64_e32 v[14:15], v[8:9]
	s_delay_alu instid0(TRANS32_DEP_2) | instskip(NEXT) | instid1(TRANS32_DEP_1)
	v_fma_f64 v[16:17], -v[2:3], v[12:13], 1.0
	v_fma_f64 v[32:33], -v[8:9], v[14:15], 1.0
	s_delay_alu instid0(VALU_DEP_2) | instskip(NEXT) | instid1(VALU_DEP_2)
	v_fmac_f64_e32 v[12:13], v[12:13], v[16:17]
	v_fmac_f64_e32 v[14:15], v[14:15], v[32:33]
	s_delay_alu instid0(VALU_DEP_2) | instskip(NEXT) | instid1(VALU_DEP_2)
	v_fma_f64 v[16:17], -v[2:3], v[12:13], 1.0
	v_fma_f64 v[32:33], -v[8:9], v[14:15], 1.0
	s_delay_alu instid0(VALU_DEP_2) | instskip(SKIP_1) | instid1(VALU_DEP_3)
	v_fmac_f64_e32 v[12:13], v[12:13], v[16:17]
	v_div_scale_f64 v[16:17], s1, v[42:43], s[48:49], v[42:43]
	v_fmac_f64_e32 v[14:15], v[14:15], v[32:33]
	s_delay_alu instid0(VALU_DEP_3) | instskip(NEXT) | instid1(VALU_DEP_2)
	v_mul_f64_e32 v[32:33], v[34:35], v[12:13]
	v_mul_f64_e32 v[36:37], v[16:17], v[14:15]
	s_delay_alu instid0(VALU_DEP_2) | instskip(NEXT) | instid1(VALU_DEP_2)
	v_fma_f64 v[2:3], -v[2:3], v[32:33], v[34:35]
	v_fma_f64 v[8:9], -v[8:9], v[36:37], v[16:17]
	s_delay_alu instid0(VALU_DEP_2) | instskip(SKIP_1) | instid1(VALU_DEP_2)
	v_div_fmas_f64 v[2:3], v[2:3], v[12:13], v[32:33]
	s_mov_b32 vcc_lo, s1
	v_div_fmas_f64 v[12:13], v[8:9], v[14:15], v[36:37]
	s_delay_alu instid0(VALU_DEP_2) | instskip(SKIP_1) | instid1(VALU_DEP_3)
	v_div_fixup_f64 v[8:9], v[2:3], s[48:49], v[10:11]
	v_lshl_add_u64 v[2:3], v[30:31], 4, s[18:19]
	v_div_fixup_f64 v[10:11], v[12:13], s[48:49], v[42:43]
	global_store_b128 v[2:3], v[8:11], off
	s_wait_xcnt 0x0
	s_or_b32 exec_lo, exec_lo, s2
	s_and_saveexec_b32 s1, s0
	s_cbranch_execz .LBB179_144
.LBB179_296:                            ;   in Loop: Header=BB179_145 Depth=1
	v_bfi_b32 v45, 0x7fffffff, v45, v5
	v_div_scale_f64 v[2:3], null, s[48:49], s[48:49], v[6:7]
	v_div_scale_f64 v[16:17], vcc_lo, v[6:7], s[48:49], v[6:7]
	s_delay_alu instid0(VALU_DEP_3) | instskip(NEXT) | instid1(VALU_DEP_3)
	v_div_scale_f64 v[4:5], null, s[48:49], s[48:49], v[44:45]
	v_rcp_f64_e32 v[8:9], v[2:3]
	s_delay_alu instid0(VALU_DEP_1) | instskip(NEXT) | instid1(TRANS32_DEP_2)
	v_rcp_f64_e32 v[10:11], v[4:5]
	v_fma_f64 v[12:13], -v[2:3], v[8:9], 1.0
	s_delay_alu instid0(TRANS32_DEP_1) | instskip(NEXT) | instid1(VALU_DEP_2)
	v_fma_f64 v[14:15], -v[4:5], v[10:11], 1.0
	v_fmac_f64_e32 v[8:9], v[8:9], v[12:13]
	s_delay_alu instid0(VALU_DEP_2) | instskip(NEXT) | instid1(VALU_DEP_2)
	v_fmac_f64_e32 v[10:11], v[10:11], v[14:15]
	v_fma_f64 v[12:13], -v[2:3], v[8:9], 1.0
	s_delay_alu instid0(VALU_DEP_2) | instskip(NEXT) | instid1(VALU_DEP_2)
	v_fma_f64 v[14:15], -v[4:5], v[10:11], 1.0
	v_fmac_f64_e32 v[8:9], v[8:9], v[12:13]
	v_div_scale_f64 v[12:13], s0, v[44:45], s[48:49], v[44:45]
	s_delay_alu instid0(VALU_DEP_3) | instskip(NEXT) | instid1(VALU_DEP_3)
	v_fmac_f64_e32 v[10:11], v[10:11], v[14:15]
	v_mul_f64_e32 v[14:15], v[16:17], v[8:9]
	s_delay_alu instid0(VALU_DEP_2) | instskip(NEXT) | instid1(VALU_DEP_2)
	v_mul_f64_e32 v[30:31], v[12:13], v[10:11]
	v_fma_f64 v[2:3], -v[2:3], v[14:15], v[16:17]
	s_delay_alu instid0(VALU_DEP_2) | instskip(NEXT) | instid1(VALU_DEP_2)
	v_fma_f64 v[4:5], -v[4:5], v[30:31], v[12:13]
	v_div_fmas_f64 v[2:3], v[2:3], v[8:9], v[14:15]
	s_mov_b32 vcc_lo, s0
	s_delay_alu instid0(VALU_DEP_2) | instskip(NEXT) | instid1(VALU_DEP_2)
	v_div_fmas_f64 v[4:5], v[4:5], v[10:11], v[30:31]
	v_div_fixup_f64 v[2:3], v[2:3], s[48:49], v[6:7]
	v_lshl_add_u64 v[6:7], v[28:29], 4, s[18:19]
	s_delay_alu instid0(VALU_DEP_3)
	v_div_fixup_f64 v[4:5], v[4:5], s[48:49], v[44:45]
	global_store_b128 v[6:7], v[2:5], off
	s_branch .LBB179_144
.LBB179_297:
	s_sendmsg sendmsg(MSG_DEALLOC_VGPRS)
	s_endpgm
	.section	.rodata,"a",@progbits
	.p2align	6, 0x0
	.amdhsa_kernel _ZN2at6native12_GLOBAL__N_125multi_tensor_apply_kernelINS1_18TensorListMetadataILi2EEENS1_14UnaryOpFunctorIN3c107complexIdEELi2ELi1ELi1EEEJNS0_5Log10IS8_EEEEEvT_T0_DpT1_
		.amdhsa_group_segment_fixed_size 0
		.amdhsa_private_segment_fixed_size 0
		.amdhsa_kernarg_size 3408
		.amdhsa_user_sgpr_count 2
		.amdhsa_user_sgpr_dispatch_ptr 0
		.amdhsa_user_sgpr_queue_ptr 0
		.amdhsa_user_sgpr_kernarg_segment_ptr 1
		.amdhsa_user_sgpr_dispatch_id 0
		.amdhsa_user_sgpr_kernarg_preload_length 0
		.amdhsa_user_sgpr_kernarg_preload_offset 0
		.amdhsa_user_sgpr_private_segment_size 0
		.amdhsa_wavefront_size32 1
		.amdhsa_uses_dynamic_stack 0
		.amdhsa_enable_private_segment 0
		.amdhsa_system_sgpr_workgroup_id_x 1
		.amdhsa_system_sgpr_workgroup_id_y 0
		.amdhsa_system_sgpr_workgroup_id_z 0
		.amdhsa_system_sgpr_workgroup_info 0
		.amdhsa_system_vgpr_workitem_id 0
		.amdhsa_next_free_vgpr 96
		.amdhsa_next_free_sgpr 59
		.amdhsa_named_barrier_count 0
		.amdhsa_reserve_vcc 1
		.amdhsa_float_round_mode_32 0
		.amdhsa_float_round_mode_16_64 0
		.amdhsa_float_denorm_mode_32 3
		.amdhsa_float_denorm_mode_16_64 3
		.amdhsa_fp16_overflow 0
		.amdhsa_memory_ordered 1
		.amdhsa_forward_progress 1
		.amdhsa_inst_pref_size 255
		.amdhsa_round_robin_scheduling 0
		.amdhsa_exception_fp_ieee_invalid_op 0
		.amdhsa_exception_fp_denorm_src 0
		.amdhsa_exception_fp_ieee_div_zero 0
		.amdhsa_exception_fp_ieee_overflow 0
		.amdhsa_exception_fp_ieee_underflow 0
		.amdhsa_exception_fp_ieee_inexact 0
		.amdhsa_exception_int_div_zero 0
	.end_amdhsa_kernel
	.section	.text._ZN2at6native12_GLOBAL__N_125multi_tensor_apply_kernelINS1_18TensorListMetadataILi2EEENS1_14UnaryOpFunctorIN3c107complexIdEELi2ELi1ELi1EEEJNS0_5Log10IS8_EEEEEvT_T0_DpT1_,"axG",@progbits,_ZN2at6native12_GLOBAL__N_125multi_tensor_apply_kernelINS1_18TensorListMetadataILi2EEENS1_14UnaryOpFunctorIN3c107complexIdEELi2ELi1ELi1EEEJNS0_5Log10IS8_EEEEEvT_T0_DpT1_,comdat
.Lfunc_end179:
	.size	_ZN2at6native12_GLOBAL__N_125multi_tensor_apply_kernelINS1_18TensorListMetadataILi2EEENS1_14UnaryOpFunctorIN3c107complexIdEELi2ELi1ELi1EEEJNS0_5Log10IS8_EEEEEvT_T0_DpT1_, .Lfunc_end179-_ZN2at6native12_GLOBAL__N_125multi_tensor_apply_kernelINS1_18TensorListMetadataILi2EEENS1_14UnaryOpFunctorIN3c107complexIdEELi2ELi1ELi1EEEJNS0_5Log10IS8_EEEEEvT_T0_DpT1_
                                        ; -- End function
	.set _ZN2at6native12_GLOBAL__N_125multi_tensor_apply_kernelINS1_18TensorListMetadataILi2EEENS1_14UnaryOpFunctorIN3c107complexIdEELi2ELi1ELi1EEEJNS0_5Log10IS8_EEEEEvT_T0_DpT1_.num_vgpr, 96
	.set _ZN2at6native12_GLOBAL__N_125multi_tensor_apply_kernelINS1_18TensorListMetadataILi2EEENS1_14UnaryOpFunctorIN3c107complexIdEELi2ELi1ELi1EEEJNS0_5Log10IS8_EEEEEvT_T0_DpT1_.num_agpr, 0
	.set _ZN2at6native12_GLOBAL__N_125multi_tensor_apply_kernelINS1_18TensorListMetadataILi2EEENS1_14UnaryOpFunctorIN3c107complexIdEELi2ELi1ELi1EEEJNS0_5Log10IS8_EEEEEvT_T0_DpT1_.numbered_sgpr, 59
	.set _ZN2at6native12_GLOBAL__N_125multi_tensor_apply_kernelINS1_18TensorListMetadataILi2EEENS1_14UnaryOpFunctorIN3c107complexIdEELi2ELi1ELi1EEEJNS0_5Log10IS8_EEEEEvT_T0_DpT1_.num_named_barrier, 0
	.set _ZN2at6native12_GLOBAL__N_125multi_tensor_apply_kernelINS1_18TensorListMetadataILi2EEENS1_14UnaryOpFunctorIN3c107complexIdEELi2ELi1ELi1EEEJNS0_5Log10IS8_EEEEEvT_T0_DpT1_.private_seg_size, 0
	.set _ZN2at6native12_GLOBAL__N_125multi_tensor_apply_kernelINS1_18TensorListMetadataILi2EEENS1_14UnaryOpFunctorIN3c107complexIdEELi2ELi1ELi1EEEJNS0_5Log10IS8_EEEEEvT_T0_DpT1_.uses_vcc, 1
	.set _ZN2at6native12_GLOBAL__N_125multi_tensor_apply_kernelINS1_18TensorListMetadataILi2EEENS1_14UnaryOpFunctorIN3c107complexIdEELi2ELi1ELi1EEEJNS0_5Log10IS8_EEEEEvT_T0_DpT1_.uses_flat_scratch, 0
	.set _ZN2at6native12_GLOBAL__N_125multi_tensor_apply_kernelINS1_18TensorListMetadataILi2EEENS1_14UnaryOpFunctorIN3c107complexIdEELi2ELi1ELi1EEEJNS0_5Log10IS8_EEEEEvT_T0_DpT1_.has_dyn_sized_stack, 0
	.set _ZN2at6native12_GLOBAL__N_125multi_tensor_apply_kernelINS1_18TensorListMetadataILi2EEENS1_14UnaryOpFunctorIN3c107complexIdEELi2ELi1ELi1EEEJNS0_5Log10IS8_EEEEEvT_T0_DpT1_.has_recursion, 0
	.set _ZN2at6native12_GLOBAL__N_125multi_tensor_apply_kernelINS1_18TensorListMetadataILi2EEENS1_14UnaryOpFunctorIN3c107complexIdEELi2ELi1ELi1EEEJNS0_5Log10IS8_EEEEEvT_T0_DpT1_.has_indirect_call, 0
	.section	.AMDGPU.csdata,"",@progbits
; Kernel info:
; codeLenInByte = 91628
; TotalNumSgprs: 61
; NumVgprs: 96
; ScratchSize: 0
; MemoryBound: 1
; FloatMode: 240
; IeeeMode: 1
; LDSByteSize: 0 bytes/workgroup (compile time only)
; SGPRBlocks: 0
; VGPRBlocks: 5
; NumSGPRsForWavesPerEU: 61
; NumVGPRsForWavesPerEU: 96
; NamedBarCnt: 0
; Occupancy: 10
; WaveLimiterHint : 0
; COMPUTE_PGM_RSRC2:SCRATCH_EN: 0
; COMPUTE_PGM_RSRC2:USER_SGPR: 2
; COMPUTE_PGM_RSRC2:TRAP_HANDLER: 0
; COMPUTE_PGM_RSRC2:TGID_X_EN: 1
; COMPUTE_PGM_RSRC2:TGID_Y_EN: 0
; COMPUTE_PGM_RSRC2:TGID_Z_EN: 0
; COMPUTE_PGM_RSRC2:TIDIG_COMP_CNT: 0
	.section	.text._ZN2at6native12_GLOBAL__N_125multi_tensor_apply_kernelINS1_18TensorListMetadataILi2EEENS1_14UnaryOpFunctorIN3c107complexIfEELi2ELi1ELi1EEEJNS0_5Log10IS8_EEEEEvT_T0_DpT1_,"axG",@progbits,_ZN2at6native12_GLOBAL__N_125multi_tensor_apply_kernelINS1_18TensorListMetadataILi2EEENS1_14UnaryOpFunctorIN3c107complexIfEELi2ELi1ELi1EEEJNS0_5Log10IS8_EEEEEvT_T0_DpT1_,comdat
	.globl	_ZN2at6native12_GLOBAL__N_125multi_tensor_apply_kernelINS1_18TensorListMetadataILi2EEENS1_14UnaryOpFunctorIN3c107complexIfEELi2ELi1ELi1EEEJNS0_5Log10IS8_EEEEEvT_T0_DpT1_ ; -- Begin function _ZN2at6native12_GLOBAL__N_125multi_tensor_apply_kernelINS1_18TensorListMetadataILi2EEENS1_14UnaryOpFunctorIN3c107complexIfEELi2ELi1ELi1EEEJNS0_5Log10IS8_EEEEEvT_T0_DpT1_
	.p2align	8
	.type	_ZN2at6native12_GLOBAL__N_125multi_tensor_apply_kernelINS1_18TensorListMetadataILi2EEENS1_14UnaryOpFunctorIN3c107complexIfEELi2ELi1ELi1EEEJNS0_5Log10IS8_EEEEEvT_T0_DpT1_,@function
_ZN2at6native12_GLOBAL__N_125multi_tensor_apply_kernelINS1_18TensorListMetadataILi2EEENS1_14UnaryOpFunctorIN3c107complexIfEELi2ELi1ELi1EEEJNS0_5Log10IS8_EEEEEvT_T0_DpT1_: ; @_ZN2at6native12_GLOBAL__N_125multi_tensor_apply_kernelINS1_18TensorListMetadataILi2EEENS1_14UnaryOpFunctorIN3c107complexIfEELi2ELi1ELi1EEEJNS0_5Log10IS8_EEEEEvT_T0_DpT1_
; %bb.0:
	s_bfe_u32 s2, ttmp6, 0x4000c
	s_and_b32 s3, ttmp6, 15
	s_add_co_i32 s2, s2, 1
	s_getreg_b32 s4, hwreg(HW_REG_IB_STS2, 6, 4)
	s_mul_i32 s2, ttmp9, s2
	s_delay_alu instid0(SALU_CYCLE_1)
	s_add_co_i32 s3, s3, s2
	s_cmp_eq_u32 s4, 0
	s_cselect_b32 s2, ttmp9, s3
	s_mov_b32 s3, 0
	s_load_u8 s12, s[0:1], s2 offset:0x600
	s_add_nc_u64 s[4:5], s[0:1], s[2:3]
	s_mul_u64 s[6:7], s[2:3], 3
	s_delay_alu instid0(SALU_CYCLE_1)
	s_add_nc_u64 s[4:5], s[4:5], s[6:7]
	s_load_b32 s6, s[4:5], 0x740
	s_wait_kmcnt 0x0
	s_clause 0x2
	s_load_b64 s[8:9], s[0:1], s12 offset:0x0 scale_offset
	s_load_b64 s[10:11], s[0:1], s12 offset:0x200 scale_offset
	;; [unrolled: 1-line block ×3, first 2 shown]
	s_ashr_i32 s7, s6, 31
	s_delay_alu instid0(SALU_CYCLE_1)
	s_lshl_b64 s[4:5], s[6:7], 19
	s_lshl_b64 s[6:7], s[6:7], 16
	s_wait_kmcnt 0x0
	s_add_nc_u64 s[14:15], s[10:11], s[4:5]
	s_add_nc_u64 s[12:13], s[8:9], s[4:5]
	s_and_b32 s4, s16, 3
	s_and_b64 s[8:9], s[14:15], 31
	s_mov_b32 s5, s3
	s_and_b32 s2, s12, 31
	s_or_b64 s[4:5], s[8:9], s[4:5]
	s_sub_nc_u64 s[10:11], s[16:17], s[6:7]
	s_or_b64 s[2:3], s[4:5], s[2:3]
	s_delay_alu instid0(SALU_CYCLE_1)
	s_cmp_eq_u64 s[2:3], 0
	s_mov_b32 s2, -1
	s_cbranch_scc0 .LBB180_141
; %bb.1:
	v_min_i64 v[10:11], 0x10000, s[10:11]
	v_dual_mov_b32 v3, 0 :: v_dual_lshlrev_b32 v2, 2, v0
	s_mov_b32 s18, exec_lo
	s_delay_alu instid0(VALU_DEP_1)
	v_cmpx_lt_i64_e64 v[2:3], v[10:11]
	s_cbranch_execz .LBB180_140
; %bb.2:
	s_load_b32 s2, s[0:1], 0xc5c
	v_dual_mov_b32 v1, v3 :: v_dual_mov_b32 v14, 0x3f317218
	v_mov_b64_e32 v[12:13], 0x3f800000bf800000
	v_mov_b32_e32 v26, 0x4016cbe4
	s_mov_b32 s17, 0
	s_delay_alu instid0(VALU_DEP_3)
	v_mov_b64_e32 v[16:17], v[0:1]
	s_mov_b32 s19, 0x3e9b6dac
	s_mov_b32 s20, 0x3b2d2a58
	;; [unrolled: 1-line block ×3, first 2 shown]
	s_wait_kmcnt 0x0
	s_and_b32 s16, s2, 0xffff
	s_branch .LBB180_5
.LBB180_3:                              ;   in Loop: Header=BB180_5 Depth=1
	s_or_b32 exec_lo, exec_lo, s3
	s_delay_alu instid0(VALU_DEP_1) | instskip(SKIP_2) | instid1(VALU_DEP_2)
	v_cmp_gt_f32_e32 vcc_lo, 0x800000, v2
	v_cndmask_b32_e64 v4, 0, 32, vcc_lo
	v_cndmask_b32_e64 v15, 0, 0x41b17218, vcc_lo
	v_ldexp_f32 v2, v2, v4
	s_delay_alu instid0(VALU_DEP_1) | instskip(SKIP_1) | instid1(TRANS32_DEP_1)
	v_log_f32_e32 v2, v2
	v_nop
	v_mul_f32_e32 v4, 0x3f317217, v2
	v_cmp_gt_f32_e64 vcc_lo, 0x7f800000, |v2|
	s_delay_alu instid0(VALU_DEP_2) | instskip(NEXT) | instid1(VALU_DEP_1)
	v_fma_f32 v4, 0x3f317217, v2, -v4
	v_fmac_f32_e32 v4, 0x3377d1cf, v2
	s_delay_alu instid0(VALU_DEP_1) | instskip(NEXT) | instid1(VALU_DEP_1)
	v_fmac_f32_e32 v4, 0x3f317217, v2
	v_cndmask_b32_e32 v2, v2, v4, vcc_lo
	s_delay_alu instid0(VALU_DEP_1)
	v_dual_sub_f32 v2, v2, v15 :: v_dual_mov_b32 v15, 0x7fc00000
.LBB180_4:                              ;   in Loop: Header=BB180_5 Depth=1
	s_or_b32 exec_lo, exec_lo, s2
	v_bfi_b32 v3, 0x7fffffff, v29, v3
	v_bfi_b32 v9, 0x7fffffff, v28, v9
	v_div_scale_f32 v4, null, 0x40135d8e, 0x40135d8e, v8
	v_div_scale_f32 v24, s2, v8, 0x40135d8e, v8
	s_delay_alu instid0(VALU_DEP_4) | instskip(NEXT) | instid1(VALU_DEP_4)
	v_div_scale_f32 v20, null, 0x40135d8e, 0x40135d8e, v3
	v_div_scale_f32 v21, null, 0x40135d8e, 0x40135d8e, v9
	s_delay_alu instid0(VALU_DEP_4) | instskip(NEXT) | instid1(VALU_DEP_2)
	v_rcp_f32_e32 v22, v4
	v_rcp_f32_e32 v23, v20
	v_div_scale_f32 v31, vcc_lo, v3, 0x40135d8e, v3
	s_delay_alu instid0(VALU_DEP_2) | instskip(SKIP_1) | instid1(TRANS32_DEP_3)
	v_rcp_f32_e32 v25, v21
	v_div_scale_f32 v28, null, 0x40135d8e, 0x40135d8e, v6
	v_fma_f32 v29, -v4, v22, 1.0
	s_delay_alu instid0(TRANS32_DEP_2) | instskip(SKIP_2) | instid1(TRANS32_DEP_1)
	v_fma_f32 v30, -v20, v23, 1.0
	v_bfi_b32 v27, 0x7fffffff, v27, v7
	v_bfi_b32 v15, 0x7fffffff, v15, v5
	v_fma_f32 v32, -v21, v25, 1.0
	s_delay_alu instid0(VALU_DEP_4) | instskip(SKIP_1) | instid1(VALU_DEP_3)
	v_dual_fmac_f32 v22, v29, v22 :: v_dual_fmac_f32 v23, v30, v23
	v_div_scale_f32 v29, s3, v9, 0x40135d8e, v9
	v_fmac_f32_e32 v25, v32, v25
	v_rcp_f32_e32 v30, v28
	s_delay_alu instid0(VALU_DEP_3) | instskip(SKIP_1) | instid1(VALU_DEP_2)
	v_dual_mul_f32 v33, v31, v23 :: v_dual_mul_f32 v32, v24, v22
	v_add_nc_u64_e32 v[16:17], s[16:17], v[16:17]
	v_dual_mul_f32 v34, v29, v25 :: v_dual_fma_f32 v35, -v4, v32, v24
	s_delay_alu instid0(TRANS32_DEP_1) | instskip(NEXT) | instid1(VALU_DEP_2)
	v_fma_f32 v7, -v28, v30, 1.0
	v_dual_fma_f32 v37, -v21, v34, v29 :: v_dual_fma_f32 v36, -v20, v33, v31
	s_delay_alu instid0(VALU_DEP_3) | instskip(SKIP_1) | instid1(VALU_DEP_3)
	v_fmac_f32_e32 v32, v35, v22
	v_div_scale_f32 v35, null, 0x40135d8e, 0x40135d8e, v27
	v_dual_fmac_f32 v33, v36, v23 :: v_dual_fmac_f32 v34, v37, v25
	s_delay_alu instid0(VALU_DEP_3) | instskip(SKIP_1) | instid1(VALU_DEP_3)
	v_dual_fmac_f32 v30, v7, v30 :: v_dual_fma_f32 v4, -v4, v32, v24
	v_div_scale_f32 v24, s4, v6, 0x40135d8e, v6
	v_dual_fma_f32 v7, -v20, v33, v31 :: v_dual_fma_f32 v20, -v21, v34, v29
	v_rcp_f32_e32 v29, v35
	v_div_scale_f32 v36, s6, v2, 0x40135d8e, v2
	s_delay_alu instid0(VALU_DEP_2) | instskip(SKIP_2) | instid1(TRANS32_DEP_1)
	v_div_fmas_f32 v7, v7, v23, v33
	s_mov_b32 vcc_lo, s2
	v_div_fmas_f32 v4, v4, v22, v32
	v_fma_f32 v23, -v35, v29, 1.0
	s_mov_b32 vcc_lo, s3
	v_div_fixup_f32 v21, v7, 0x40135d8e, v3
	v_div_fmas_f32 v22, v20, v25, v34
	v_div_scale_f32 v3, null, 0x40135d8e, 0x40135d8e, v1
	v_dual_mul_f32 v25, v24, v30 :: v_dual_fmac_f32 v29, v23, v29
	v_div_fixup_f32 v20, v4, 0x40135d8e, v8
	v_div_scale_f32 v4, s2, v27, 0x40135d8e, v27
	v_div_fixup_f32 v7, v22, 0x40135d8e, v9
	v_rcp_f32_e32 v8, v3
	v_div_scale_f32 v9, null, 0x40135d8e, 0x40135d8e, v15
	v_div_scale_f32 v23, null, 0x40135d8e, 0x40135d8e, v2
	v_fma_f32 v5, -v28, v25, v24
	v_mul_f32_e32 v22, v4, v29
	s_delay_alu instid0(VALU_DEP_4) | instskip(NEXT) | instid1(VALU_DEP_3)
	v_rcp_f32_e32 v32, v9
	v_rcp_f32_e32 v33, v23
	v_fma_f32 v31, -v3, v8, 1.0
	v_fmac_f32_e32 v25, v5, v30
	v_fma_f32 v5, -v35, v22, v4
	s_mov_b32 vcc_lo, s4
	s_delay_alu instid0(VALU_DEP_3) | instskip(SKIP_4) | instid1(VALU_DEP_4)
	v_fmac_f32_e32 v8, v31, v8
	v_div_scale_f32 v31, s3, v1, 0x40135d8e, v1
	v_fma_f32 v34, -v9, v32, 1.0
	v_fmac_f32_e32 v22, v5, v29
	v_fma_f32 v5, -v23, v33, 1.0
	v_dual_fma_f32 v24, -v28, v25, v24 :: v_dual_mul_f32 v28, v31, v8
	s_delay_alu instid0(VALU_DEP_2) | instskip(SKIP_2) | instid1(VALU_DEP_4)
	v_dual_fma_f32 v4, -v35, v22, v4 :: v_dual_fmac_f32 v33, v5, v33
	v_fmac_f32_e32 v32, v34, v32
	v_div_scale_f32 v34, s5, v15, 0x40135d8e, v15
	v_div_fmas_f32 v5, v24, v30, v25
	s_delay_alu instid0(VALU_DEP_4) | instskip(SKIP_1) | instid1(VALU_DEP_3)
	v_mul_f32_e32 v30, v36, v33
	s_mov_b32 vcc_lo, s2
	v_mul_f32_e32 v25, v34, v32
	v_fma_f32 v24, -v3, v28, v31
	v_div_fmas_f32 v4, v4, v29, v22
	s_mov_b32 vcc_lo, s3
	v_div_fixup_f32 v6, v5, 0x40135d8e, v6
	s_delay_alu instid0(VALU_DEP_3) | instskip(SKIP_2) | instid1(VALU_DEP_2)
	v_dual_fma_f32 v22, -v9, v25, v34 :: v_dual_fmac_f32 v28, v24, v8
	v_fma_f32 v24, -v23, v30, v36
	v_div_fixup_f32 v5, v4, 0x40135d8e, v27
	v_dual_fmac_f32 v30, v24, v33 :: v_dual_fmac_f32 v25, v22, v32
	s_delay_alu instid0(VALU_DEP_1) | instskip(NEXT) | instid1(VALU_DEP_2)
	v_fma_f32 v22, -v23, v30, v36
	v_dual_fma_f32 v3, -v3, v28, v31 :: v_dual_fma_f32 v4, -v9, v25, v34
	s_delay_alu instid0(VALU_DEP_1) | instskip(SKIP_2) | instid1(VALU_DEP_3)
	v_div_fmas_f32 v3, v3, v8, v28
	v_lshlrev_b64_e32 v[8:9], 2, v[16:17]
	s_mov_b32 vcc_lo, s5
	v_div_fmas_f32 v23, v4, v32, v25
	s_mov_b32 vcc_lo, s6
	v_div_fixup_f32 v4, v3, 0x40135d8e, v1
	v_div_fmas_f32 v22, v22, v33, v30
	s_delay_alu instid0(VALU_DEP_4) | instskip(SKIP_2) | instid1(VALU_DEP_4)
	v_cmp_ge_i64_e32 vcc_lo, v[8:9], v[10:11]
	v_add_nc_u64_e32 v[8:9], s[14:15], v[18:19]
	v_div_fixup_f32 v23, v23, 0x40135d8e, v15
	v_div_fixup_f32 v22, v22, 0x40135d8e, v2
	s_clause 0x1
	global_store_b128 v[8:9], v[4:7], off
	global_store_b128 v[8:9], v[20:23], off offset:16
	s_or_b32 s21, vcc_lo, s21
	s_wait_xcnt 0x0
	s_and_not1_b32 exec_lo, exec_lo, s21
	s_cbranch_execz .LBB180_140
.LBB180_5:                              ; =>This Loop Header: Depth=1
                                        ;     Child Loop BB180_16 Depth 2
                                        ;     Child Loop BB180_50 Depth 2
	;; [unrolled: 1-line block ×4, first 2 shown]
	v_lshlrev_b64_e32 v[18:19], 5, v[16:17]
                                        ; implicit-def: $vgpr1
                                        ; implicit-def: $vgpr27
	s_mov_b32 s2, exec_lo
	s_delay_alu instid0(VALU_DEP_1)
	v_add_nc_u64_e32 v[20:21], s[12:13], v[18:19]
	s_clause 0x1
	global_load_b128 v[6:9], v[20:21], off
	global_load_b128 v[2:5], v[20:21], off offset:16
	s_wait_loadcnt 0x1
	s_wait_xcnt 0x0
	v_cmpx_o_f32_e32 v7, v6
	s_xor_b32 s22, exec_lo, s2
	s_cbranch_execz .LBB180_33
; %bb.6:                                ;   in Loop: Header=BB180_5 Depth=1
	v_cmp_lt_f32_e64 s2, |v6|, |v7|
                                        ; implicit-def: $vgpr1
                                        ; implicit-def: $vgpr27
	s_mov_b32 s4, exec_lo
	v_cndmask_b32_e64 v15, v7, v6, s2
	s_delay_alu instid0(VALU_DEP_1)
	v_cmpx_nlt_f32_e64 0x77f684df, |v15|
	s_xor_b32 s23, exec_lo, s4
	s_cbranch_execz .LBB180_30
; %bb.7:                                ;   in Loop: Header=BB180_5 Depth=1
	v_cndmask_b32_e64 v1, v6, v7, s2
	v_and_b32_e32 v20, 0x7fffffff, v15
                                        ; implicit-def: $vgpr27
	s_mov_b32 s3, exec_lo
	s_delay_alu instid0(VALU_DEP_2) | instskip(NEXT) | instid1(VALU_DEP_1)
	v_and_b32_e32 v21, 0x7fffffff, v1
                                        ; implicit-def: $vgpr1
	v_cmpx_neq_f32_e32 1.0, v21
	s_xor_b32 s24, exec_lo, s3
	s_cbranch_execz .LBB180_23
; %bb.8:                                ;   in Loop: Header=BB180_5 Depth=1
	v_dual_max_num_f32 v1, v20, v20 :: v_dual_max_num_f32 v15, v21, v21
                                        ; implicit-def: $vgpr27
	s_delay_alu instid0(VALU_DEP_1) | instskip(NEXT) | instid1(VALU_DEP_1)
	v_dual_min_num_f32 v22, v15, v1 :: v_dual_max_num_f32 v1, v15, v1
	v_cmp_ngt_f32_e32 vcc_lo, 0x358637bd, v22
	s_delay_alu instid0(VALU_DEP_2) | instskip(SKIP_1) | instid1(SALU_CYCLE_1)
	v_cmp_nlt_f32_e64 s3, 0x49742400, v1
                                        ; implicit-def: $vgpr1
	s_and_b32 s3, s3, vcc_lo
	s_and_saveexec_b32 s4, s3
	s_delay_alu instid0(SALU_CYCLE_1)
	s_xor_b32 s25, exec_lo, s4
	s_cbranch_execz .LBB180_20
; %bb.9:                                ;   in Loop: Header=BB180_5 Depth=1
                                        ; implicit-def: $vgpr1
                                        ; implicit-def: $vgpr27
	s_mov_b32 s3, exec_lo
	v_cmpx_le_f32_e32 1.0, v21
	s_xor_b32 s4, exec_lo, s3
	s_cbranch_execz .LBB180_11
; %bb.10:                               ;   in Loop: Header=BB180_5 Depth=1
	v_pk_add_f32 v[22:23], v[20:21], v[12:13] op_sel:[1,0]
	v_mov_b32_e32 v24, v20
	v_cmp_class_f32_e64 s5, v6, 0x204
	s_delay_alu instid0(VALU_DEP_3) | instskip(SKIP_1) | instid1(VALU_DEP_1)
	v_dual_mov_b32 v21, v22 :: v_dual_mov_b32 v25, v23
	v_mul_f32_e32 v22, v22, v23
	v_pk_fma_f32 v[20:21], v[20:21], v[24:25], v[22:23] op_sel_hi:[1,1,0]
	s_delay_alu instid0(VALU_DEP_1) | instskip(SKIP_1) | instid1(VALU_DEP_2)
	v_add_f32_e32 v23, 1.0, v20
	v_cmp_neq_f32_e64 s3, -1.0, v20
	v_add_f32_e32 v21, -1.0, v23
	s_delay_alu instid0(VALU_DEP_1) | instskip(SKIP_2) | instid1(VALU_DEP_1)
	v_mov_b32_e32 v22, v21
	v_cvt_f64_f32_e32 v[24:25], v23
	v_frexp_mant_f32_e32 v15, v23
	v_cmp_gt_f32_e32 vcc_lo, 0x3f2aaaab, v15
	s_delay_alu instid0(VALU_DEP_3) | instskip(NEXT) | instid1(VALU_DEP_1)
	v_frexp_exp_i32_f64_e32 v1, v[24:25]
	v_subrev_co_ci_u32_e64 v1, null, 0, v1, vcc_lo
	v_cmp_neq_f32_e32 vcc_lo, 0x7f800000, v20
	s_delay_alu instid0(VALU_DEP_2) | instskip(SKIP_1) | instid1(VALU_DEP_2)
	v_sub_nc_u32_e32 v15, 0, v1
	v_pk_add_f32 v[24:25], v[20:21], v[22:23] neg_lo:[0,1] neg_hi:[0,1]
	v_ldexp_f32 v21, v23, v15
	s_delay_alu instid0(VALU_DEP_2) | instskip(NEXT) | instid1(VALU_DEP_2)
	v_add_f32_e32 v22, 1.0, v25
	v_add_f32_e32 v25, 1.0, v21
	s_delay_alu instid0(VALU_DEP_1) | instskip(SKIP_1) | instid1(VALU_DEP_2)
	v_dual_add_f32 v23, -1.0, v25 :: v_dual_add_f32 v22, v24, v22
	v_add_f32_e32 v27, -1.0, v21
	v_ldexp_f32 v15, v22, v15
	s_delay_alu instid0(VALU_DEP_3) | instskip(NEXT) | instid1(VALU_DEP_1)
	v_sub_f32_e32 v22, v21, v23
	v_dual_add_f32 v23, 1.0, v27 :: v_dual_add_f32 v22, v15, v22
	s_delay_alu instid0(VALU_DEP_1) | instskip(NEXT) | instid1(VALU_DEP_1)
	v_add_f32_e32 v30, v25, v22
	v_dual_sub_f32 v21, v21, v23 :: v_dual_sub_f32 v25, v30, v25
	s_delay_alu instid0(VALU_DEP_1) | instskip(SKIP_1) | instid1(VALU_DEP_1)
	v_add_f32_e32 v15, v15, v21
	v_rcp_f32_e32 v21, v30
	v_dual_sub_f32 v32, v22, v25 :: v_dual_add_f32 v23, v27, v15
	s_delay_alu instid0(TRANS32_DEP_1) | instid1(VALU_DEP_1)
	v_dual_mul_f32 v31, v23, v21 :: v_dual_sub_f32 v27, v23, v27
	s_delay_alu instid0(VALU_DEP_1) | instskip(NEXT) | instid1(VALU_DEP_2)
	v_mul_f32_e32 v24, v30, v31
	v_sub_f32_e32 v15, v15, v27
	s_delay_alu instid0(VALU_DEP_2) | instskip(NEXT) | instid1(VALU_DEP_1)
	v_fma_f32 v28, v31, v30, -v24
	v_fmac_f32_e32 v28, v31, v32
	s_delay_alu instid0(VALU_DEP_1) | instskip(NEXT) | instid1(VALU_DEP_1)
	v_add_f32_e32 v22, v24, v28
	v_dual_sub_f32 v25, v23, v22 :: v_dual_mov_b32 v29, v22
	s_delay_alu instid0(VALU_DEP_1) | instskip(NEXT) | instid1(VALU_DEP_1)
	v_pk_add_f32 v[22:23], v[22:23], v[24:25] neg_lo:[0,1] neg_hi:[0,1]
	v_pk_add_f32 v[22:23], v[22:23], v[28:29] neg_lo:[0,1] neg_hi:[0,1]
	s_delay_alu instid0(VALU_DEP_1) | instskip(NEXT) | instid1(VALU_DEP_1)
	v_add_f32_e32 v15, v15, v23
	v_add_f32_e32 v15, v22, v15
	s_delay_alu instid0(VALU_DEP_1) | instskip(NEXT) | instid1(VALU_DEP_1)
	v_add_f32_e32 v23, v25, v15
	v_mul_f32_e32 v27, v21, v23
	s_delay_alu instid0(VALU_DEP_1) | instskip(NEXT) | instid1(VALU_DEP_1)
	v_mul_f32_e32 v28, v30, v27
	v_fma_f32 v24, v27, v30, -v28
	s_delay_alu instid0(VALU_DEP_1) | instskip(NEXT) | instid1(VALU_DEP_1)
	v_dual_fmac_f32 v24, v27, v32 :: v_dual_sub_f32 v30, v25, v23
	v_dual_add_f32 v22, v28, v24 :: v_dual_add_f32 v15, v15, v30
	v_add_f32_e32 v30, v31, v27
	s_delay_alu instid0(VALU_DEP_2) | instskip(NEXT) | instid1(VALU_DEP_1)
	v_dual_sub_f32 v29, v23, v22 :: v_dual_mov_b32 v25, v22
	v_pk_add_f32 v[22:23], v[22:23], v[28:29] neg_lo:[0,1] neg_hi:[0,1]
	s_delay_alu instid0(VALU_DEP_1) | instskip(NEXT) | instid1(VALU_DEP_1)
	v_pk_add_f32 v[22:23], v[22:23], v[24:25] neg_lo:[0,1] neg_hi:[0,1]
	v_add_f32_e32 v15, v15, v23
	s_delay_alu instid0(VALU_DEP_1) | instskip(SKIP_1) | instid1(VALU_DEP_1)
	v_add_f32_e32 v15, v22, v15
	v_sub_f32_e32 v22, v30, v31
	v_dual_sub_f32 v22, v27, v22 :: v_dual_add_f32 v15, v29, v15
	s_delay_alu instid0(VALU_DEP_1) | instskip(NEXT) | instid1(VALU_DEP_1)
	v_mul_f32_e32 v15, v21, v15
	v_add_f32_e32 v21, v22, v15
	v_cvt_f32_i32_e32 v22, v1
	s_delay_alu instid0(VALU_DEP_2) | instskip(NEXT) | instid1(VALU_DEP_1)
	v_add_f32_e32 v27, v30, v21
	v_mul_f32_e32 v15, v27, v27
	v_ldexp_f32 v29, v27, 1
	s_delay_alu instid0(VALU_DEP_2) | instskip(NEXT) | instid1(VALU_DEP_1)
	v_dual_sub_f32 v1, v27, v30 :: v_dual_fmaak_f32 v24, s19, v15, 0x3ecc95a3
	v_dual_mul_f32 v23, v27, v15 :: v_dual_sub_f32 v1, v21, v1
	s_delay_alu instid0(VALU_DEP_2) | instskip(NEXT) | instid1(VALU_DEP_2)
	v_fmaak_f32 v15, v15, v24, 0x3f2aaada
	v_ldexp_f32 v1, v1, 1
	s_delay_alu instid0(VALU_DEP_2) | instskip(NEXT) | instid1(VALU_DEP_1)
	v_pk_mul_f32 v[24:25], v[22:23], v[14:15]
	v_fma_f32 v28, 0x3f317218, v22, -v24
	v_mov_b32_e32 v30, v24
	s_delay_alu instid0(VALU_DEP_2) | instskip(NEXT) | instid1(VALU_DEP_1)
	v_fmac_f32_e32 v28, 0xb102e308, v22
	v_pk_add_f32 v[22:23], v[24:25], v[28:29]
	s_delay_alu instid0(VALU_DEP_1) | instskip(NEXT) | instid1(VALU_DEP_1)
	v_dual_sub_f32 v15, v23, v29 :: v_dual_mov_b32 v29, v22
	v_dual_mov_b32 v38, v23 :: v_dual_sub_f32 v15, v25, v15
	v_pk_add_f32 v[24:25], v[22:23], v[24:25] neg_lo:[0,1] neg_hi:[0,1]
	s_delay_alu instid0(VALU_DEP_2) | instskip(SKIP_2) | instid1(VALU_DEP_1)
	v_add_f32_e32 v31, v1, v15
	v_max_num_f32_e64 v1, |v7|, |v7|
	v_max_num_f32_e64 v15, |v6|, |v6|
	v_max_num_f32_e32 v21, v15, v1
	s_delay_alu instid0(VALU_DEP_4) | instskip(SKIP_1) | instid1(VALU_DEP_3)
	v_pk_add_f32 v[32:33], v[22:23], v[30:31]
	v_min_num_f32_e32 v1, v15, v1
	v_frexp_exp_i32_f32_e32 v15, v21
	s_delay_alu instid0(VALU_DEP_3) | instskip(NEXT) | instid1(VALU_DEP_3)
	v_mov_b32_e32 v25, v33
	v_frexp_exp_i32_f32_e32 v27, v1
	v_frexp_mant_f32_e32 v40, v1
	v_frexp_mant_f32_e32 v21, v21
	s_delay_alu instid0(VALU_DEP_4) | instskip(SKIP_2) | instid1(VALU_DEP_4)
	v_pk_add_f32 v[34:35], v[28:29], v[24:25]
	v_mov_b32_e32 v34, v33
	v_pk_add_f32 v[24:25], v[28:29], v[24:25] neg_lo:[0,1] neg_hi:[0,1]
	v_rcp_f32_e32 v21, v21
	s_delay_alu instid0(VALU_DEP_3) | instskip(NEXT) | instid1(VALU_DEP_1)
	v_dual_mov_b32 v30, v35 :: v_dual_mov_b32 v25, v35
	v_pk_add_f32 v[36:37], v[30:31], v[22:23] neg_lo:[0,1] neg_hi:[0,1]
	v_dual_sub_nc_u32 v15, v27, v15 :: v_dual_mov_b32 v23, v22
	s_delay_alu instid0(VALU_DEP_2) | instskip(SKIP_1) | instid1(VALU_DEP_2)
	v_dual_mov_b32 v22, v31 :: v_dual_mov_b32 v39, v36
	v_mov_b32_e32 v1, v36
	v_pk_add_f32 v[28:29], v[34:35], v[38:39] neg_lo:[0,1] neg_hi:[0,1]
	s_delay_alu instid0(VALU_DEP_2) | instskip(SKIP_1) | instid1(VALU_DEP_3)
	v_pk_add_f32 v[32:33], v[32:33], v[0:1] neg_lo:[0,1] neg_hi:[0,1]
	v_mov_b32_e32 v32, v24
	v_pk_add_f32 v[22:23], v[22:23], v[28:29] neg_lo:[0,1] neg_hi:[0,1]
	s_delay_alu instid0(VALU_DEP_1) | instskip(NEXT) | instid1(VALU_DEP_1)
	v_pk_add_f32 v[28:29], v[32:33], v[22:23]
	v_dual_mul_f32 v21, v40, v21 :: v_dual_mov_b32 v32, v29
	s_delay_alu instid0(VALU_DEP_1) | instskip(NEXT) | instid1(VALU_DEP_2)
	v_ldexp_f32 v1, v21, v15
	v_pk_add_f32 v[32:33], v[28:29], v[32:33]
	s_delay_alu instid0(VALU_DEP_2) | instskip(NEXT) | instid1(VALU_DEP_2)
	v_mul_f32_e32 v15, v1, v1
	v_pk_add_f32 v[30:31], v[30:31], v[32:33]
	s_delay_alu instid0(VALU_DEP_1) | instskip(NEXT) | instid1(VALU_DEP_1)
	v_dual_mov_b32 v23, v32 :: v_dual_mov_b32 v29, v30
	v_pk_add_f32 v[34:35], v[28:29], v[24:25] neg_lo:[0,1] neg_hi:[0,1]
	s_delay_alu instid0(VALU_DEP_1) | instskip(SKIP_1) | instid1(VALU_DEP_3)
	v_sub_f32_e32 v25, v28, v34
	v_fmaak_f32 v21, s20, v15, 0xbc7a590c
	v_pk_add_f32 v[22:23], v[22:23], v[34:35] neg_lo:[0,1] neg_hi:[0,1]
	s_delay_alu instid0(VALU_DEP_3) | instskip(NEXT) | instid1(VALU_DEP_1)
	v_sub_f32_e32 v24, v24, v25
	v_dual_fmaak_f32 v21, v15, v21, 0x3d29fb3f :: v_dual_add_f32 v22, v22, v24
	s_delay_alu instid0(VALU_DEP_1) | instskip(NEXT) | instid1(VALU_DEP_1)
	v_fmaak_f32 v21, v15, v21, 0xbd97d4d7
	v_fmaak_f32 v21, v15, v21, 0x3dd931b2
	s_delay_alu instid0(VALU_DEP_1) | instskip(NEXT) | instid1(VALU_DEP_1)
	v_fmaak_f32 v21, v15, v21, 0xbe1160e6
	v_fmaak_f32 v21, v15, v21, 0x3e4cb8bf
	s_delay_alu instid0(VALU_DEP_1) | instskip(NEXT) | instid1(VALU_DEP_1)
	v_fmaak_f32 v21, v15, v21, 0xbeaaaa62
	v_dual_mul_f32 v15, v15, v21 :: v_dual_add_f32 v21, v22, v23
	s_delay_alu instid0(VALU_DEP_1) | instskip(NEXT) | instid1(VALU_DEP_1)
	v_dual_fmac_f32 v1, v1, v15 :: v_dual_add_f32 v15, v30, v21
	v_sub_f32_e32 v21, 0x3fc90fdb, v1
	s_delay_alu instid0(VALU_DEP_2) | instskip(SKIP_1) | instid1(VALU_DEP_3)
	v_cndmask_b32_e32 v15, 0x7f800000, v15, vcc_lo
	v_cmp_gt_i32_e32 vcc_lo, 0, v6
	v_cndmask_b32_e64 v1, v1, v21, s2
	v_cndmask_b32_e64 v21, 0, 0x40490fdb, vcc_lo
	v_cmp_ngt_f32_e32 vcc_lo, -1.0, v20
	s_delay_alu instid0(VALU_DEP_3) | instskip(SKIP_2) | instid1(VALU_DEP_2)
	v_sub_f32_e32 v22, 0x40490fdb, v1
	v_cndmask_b32_e32 v15, 0x7fc00000, v15, vcc_lo
	v_cmp_gt_f32_e32 vcc_lo, 0, v6
	v_cndmask_b32_e64 v15, 0xff800000, v15, s3
	s_delay_alu instid0(VALU_DEP_4)
	v_cndmask_b32_e32 v1, v1, v22, vcc_lo
	v_cndmask_b32_e32 v22, 0x3f490fdb, v26, vcc_lo
	v_cmp_gt_f32_e64 vcc_lo, 0x33800000, |v20|
	v_cmp_class_f32_e64 s3, v7, 0x204
	v_cndmask_b32_e32 v15, v15, v20, vcc_lo
	v_cmp_eq_f32_e32 vcc_lo, 0, v7
	v_cndmask_b32_e32 v20, v1, v21, vcc_lo
	s_and_b32 vcc_lo, s5, s3
	s_delay_alu instid0(VALU_DEP_1) | instid1(SALU_CYCLE_1)
	v_dual_mul_f32 v1, 0.5, v15 :: v_dual_cndmask_b32 v27, v20, v22, vcc_lo
                                        ; implicit-def: $vgpr20_vgpr21
.LBB180_11:                             ;   in Loop: Header=BB180_5 Depth=1
	s_and_not1_saveexec_b32 s26, s4
	s_cbranch_execz .LBB180_19
; %bb.12:                               ;   in Loop: Header=BB180_5 Depth=1
	v_pk_mul_f32 v[22:23], v[20:21], v[20:21]
                                        ; implicit-def: $vgpr1
                                        ; implicit-def: $vgpr27
	s_mov_b32 s3, exec_lo
	s_delay_alu instid0(VALU_DEP_1) | instskip(NEXT) | instid1(VALU_DEP_1)
	v_add_f32_e32 v15, v23, v22
	v_cmpx_ge_f32_e32 0x3f333333, v15
	s_xor_b32 s4, exec_lo, s3
	s_cbranch_execz .LBB180_14
; %bb.13:                               ;   in Loop: Header=BB180_5 Depth=1
	v_max_num_f32_e64 v1, |v7|, |v7|
	v_max_num_f32_e64 v20, |v6|, |v6|
	v_cmp_gt_f32_e32 vcc_lo, 0x800000, v15
	v_cmp_gt_i32_e64 s3, 0, v6
	v_cmp_class_f32_e64 s5, v6, 0x204
	v_cmp_class_f32_e64 s6, v7, 0x204
	v_dual_max_num_f32 v21, v20, v1 :: v_dual_min_num_f32 v1, v20, v1
	v_cndmask_b32_e64 v23, 0, 0x41b17218, vcc_lo
	s_delay_alu instid0(VALU_DEP_2) | instskip(SKIP_1) | instid1(VALU_DEP_2)
	v_frexp_mant_f32_e32 v22, v21
	v_frexp_exp_i32_f32_e32 v20, v21
	v_rcp_f32_e32 v21, v22
	v_nop
	v_frexp_exp_i32_f32_e32 v22, v1
	v_frexp_mant_f32_e32 v1, v1
	s_delay_alu instid0(TRANS32_DEP_1) | instid1(VALU_DEP_1)
	v_dual_mul_f32 v1, v1, v21 :: v_dual_sub_nc_u32 v20, v22, v20
	v_cndmask_b32_e64 v22, 0, 32, vcc_lo
	s_delay_alu instid0(VALU_DEP_2) | instskip(NEXT) | instid1(VALU_DEP_2)
	v_ldexp_f32 v1, v1, v20
	v_ldexp_f32 v15, v15, v22
	s_delay_alu instid0(VALU_DEP_1) | instskip(NEXT) | instid1(VALU_DEP_2)
	v_log_f32_e32 v15, v15
	v_mul_f32_e32 v20, v1, v1
	s_delay_alu instid0(VALU_DEP_1) | instskip(NEXT) | instid1(TRANS32_DEP_1)
	v_fmaak_f32 v21, s20, v20, 0xbc7a590c
	v_cmp_gt_f32_e64 vcc_lo, 0x7f800000, |v15|
	s_delay_alu instid0(VALU_DEP_2) | instskip(NEXT) | instid1(VALU_DEP_1)
	v_fmaak_f32 v21, v20, v21, 0x3d29fb3f
	v_fmaak_f32 v21, v20, v21, 0xbd97d4d7
	s_delay_alu instid0(VALU_DEP_1) | instskip(NEXT) | instid1(VALU_DEP_1)
	v_fmaak_f32 v21, v20, v21, 0x3dd931b2
	v_fmaak_f32 v21, v20, v21, 0xbe1160e6
	s_delay_alu instid0(VALU_DEP_1) | instskip(NEXT) | instid1(VALU_DEP_1)
	;; [unrolled: 3-line block ×3, first 2 shown]
	v_dual_mul_f32 v20, v20, v21 :: v_dual_mul_f32 v21, 0x3f317217, v15
	v_fmac_f32_e32 v1, v1, v20
	s_delay_alu instid0(VALU_DEP_2) | instskip(NEXT) | instid1(VALU_DEP_1)
	v_fma_f32 v20, 0x3f317217, v15, -v21
	v_fmac_f32_e32 v20, 0x3377d1cf, v15
	s_delay_alu instid0(VALU_DEP_3) | instskip(NEXT) | instid1(VALU_DEP_1)
	v_sub_f32_e32 v21, 0x3fc90fdb, v1
	v_cndmask_b32_e64 v1, v1, v21, s2
	v_cndmask_b32_e64 v21, 0, 0x40490fdb, s3
	v_cmp_eq_f32_e64 s3, 0, v7
	s_delay_alu instid0(VALU_DEP_3) | instskip(SKIP_1) | instid1(VALU_DEP_1)
	v_sub_f32_e32 v22, 0x40490fdb, v1
	v_fmac_f32_e32 v20, 0x3f317217, v15
	v_cndmask_b32_e32 v15, v15, v20, vcc_lo
	v_cmp_gt_f32_e32 vcc_lo, 0, v6
	s_delay_alu instid0(VALU_DEP_2) | instskip(NEXT) | instid1(VALU_DEP_1)
	v_dual_cndmask_b32 v1, v1, v22, vcc_lo :: v_dual_sub_f32 v15, v15, v23
	v_cndmask_b32_e64 v20, v1, v21, s3
	v_cndmask_b32_e32 v21, 0x3f490fdb, v26, vcc_lo
	s_and_b32 vcc_lo, s5, s6
	s_delay_alu instid0(VALU_DEP_1) | instid1(SALU_CYCLE_1)
	v_dual_mul_f32 v1, 0.5, v15 :: v_dual_cndmask_b32 v27, v20, v21, vcc_lo
                                        ; implicit-def: $vgpr20
.LBB180_14:                             ;   in Loop: Header=BB180_5 Depth=1
	s_and_not1_saveexec_b32 s27, s4
	s_cbranch_execz .LBB180_18
; %bb.15:                               ;   in Loop: Header=BB180_5 Depth=1
	v_and_b32_e32 v23, 0x7fff0000, v20
	v_and_b32_e32 v22, 0x7fff0000, v21
	s_mov_b32 s28, 0
	s_delay_alu instid0(VALU_DEP_1) | instskip(SKIP_2) | instid1(VALU_DEP_2)
	v_dual_add_f32 v29, v23, v23 :: v_dual_add_f32 v15, v22, v22
	v_pk_add_f32 v[24:25], v[20:21], v[22:23] op_sel:[1,0] op_sel_hi:[0,1] neg_lo:[0,1] neg_hi:[0,1]
	v_pk_mul_f32 v[20:21], v[22:23], v[22:23]
	v_and_b32_e32 v31, 0xffff0000, v25
	s_delay_alu instid0(VALU_DEP_3) | instskip(NEXT) | instid1(VALU_DEP_1)
	v_and_b32_e32 v30, 0xffff0000, v24
	v_dual_add_f32 v33, v31, v31 :: v_dual_add_f32 v32, v30, v30
	v_pk_add_f32 v[22:23], v[24:25], v[30:31] neg_lo:[0,1] neg_hi:[0,1]
	v_dual_mul_f32 v1, v15, v30 :: v_dual_mul_f32 v28, v29, v31
	v_pk_mul_f32 v[24:25], v[30:31], v[30:31]
	s_delay_alu instid0(VALU_DEP_3)
	v_dual_mul_f32 v27, v15, v22 :: v_dual_mul_f32 v30, v29, v23
	v_dual_mul_f32 v15, v32, v22 :: v_dual_mul_f32 v29, v33, v23
	v_pk_mul_f32 v[22:23], v[22:23], v[22:23]
.LBB180_16:                             ;   Parent Loop BB180_5 Depth=1
                                        ; =>  This Inner Loop Header: Depth=2
	v_cmp_nlt_f32_e32 vcc_lo, v20, v21
	v_dual_cndmask_b32 v31, v20, v21 :: v_dual_cndmask_b32 v20, v21, v20
	s_delay_alu instid0(VALU_DEP_1) | instskip(NEXT) | instid1(VALU_DEP_1)
	v_cmp_nlt_f32_e64 s3, v31, v1
	v_dual_cndmask_b32 v32, v31, v1, s3 :: v_dual_cndmask_b32 v21, v1, v31, s3
	s_and_b32 s3, vcc_lo, s3
	s_delay_alu instid0(VALU_DEP_1) | instskip(NEXT) | instid1(VALU_DEP_1)
	v_cmp_nlt_f32_e64 s4, v32, v28
	v_cndmask_b32_e64 v33, v32, v28, s4
	v_cndmask_b32_e64 v1, v28, v32, s4
	s_delay_alu instid0(VALU_DEP_2) | instskip(NEXT) | instid1(VALU_DEP_1)
	v_cmp_nlt_f32_e64 s5, v33, v24
	v_cndmask_b32_e64 v31, v33, v24, s5
	s_and_b32 s29, s4, s5
	s_delay_alu instid0(VALU_DEP_1) | instskip(NEXT) | instid1(VALU_DEP_1)
	v_cmp_nlt_f32_e64 s6, v31, v25
	v_cndmask_b32_e64 v32, v31, v25, s6
	s_delay_alu instid0(VALU_DEP_1) | instskip(NEXT) | instid1(VALU_DEP_1)
	v_cmp_nlt_f32_e64 s7, v32, v27
	v_cndmask_b32_e64 v34, v32, v27, s7
	;; [unrolled: 3-line block ×3, first 2 shown]
	s_delay_alu instid0(VALU_DEP_1)
	v_cmp_nlt_f32_e64 s9, v35, v15
	v_dual_cndmask_b32 v28, v24, v33, s5 :: v_dual_cndmask_b32 v24, v25, v31, s6
	v_cndmask_b32_e64 v25, v27, v32, s7
	s_and_b32 s6, s6, s7
	v_cndmask_b32_e64 v33, v35, v15, s9
	s_and_b32 s6, s6, s8
	;; [unrolled: 2-line block ×3, first 2 shown]
	v_cndmask_b32_e64 v30, v15, v35, s9
	v_cmp_nlt_f32_e64 s4, v33, v29
	s_delay_alu instid0(VALU_DEP_1) | instskip(SKIP_2) | instid1(VALU_DEP_2)
	v_cndmask_b32_e64 v31, v33, v29, s4
	v_cndmask_b32_e64 v15, v29, v33, s4
	s_and_b32 s4, s7, s4
	v_cmp_nlt_f32_e64 s5, v31, v22
	s_delay_alu instid0(VALU_DEP_1) | instskip(SKIP_1) | instid1(VALU_DEP_1)
	v_cndmask_b32_e64 v32, v31, v22, s5
	s_and_b32 s4, s4, s5
	v_cmp_nlt_f32_e64 s6, v32, v23
	s_delay_alu instid0(VALU_DEP_1) | instskip(SKIP_3) | instid1(SALU_CYCLE_1)
	v_dual_cndmask_b32 v29, v22, v31, s5 :: v_dual_cndmask_b32 v22, v23, v32, s6
	s_and_b32 s4, s4, s6
	v_cndmask_b32_e64 v23, v32, v23, s6
	s_and_b32 s4, s4, s29
	s_and_b32 s3, s4, s3
	s_delay_alu instid0(SALU_CYCLE_1) | instskip(NEXT) | instid1(SALU_CYCLE_1)
	s_and_b32 s3, exec_lo, s3
	s_or_b32 s28, s3, s28
	s_delay_alu instid0(SALU_CYCLE_1)
	s_and_not1_b32 exec_lo, exec_lo, s28
	s_cbranch_execnz .LBB180_16
; %bb.17:                               ;   in Loop: Header=BB180_5 Depth=1
	s_or_b32 exec_lo, exec_lo, s28
	v_add_f32_e32 v20, -1.0, v20
	v_cmp_class_f32_e64 s4, v6, 0x204
	s_delay_alu instid0(VALU_DEP_2) | instskip(NEXT) | instid1(VALU_DEP_1)
	v_add_f32_e32 v20, v20, v21
	v_add_f32_e32 v1, v20, v1
	s_delay_alu instid0(VALU_DEP_1) | instskip(NEXT) | instid1(VALU_DEP_1)
	v_add_f32_e32 v1, v1, v28
	v_add_f32_e32 v1, v1, v24
	s_delay_alu instid0(VALU_DEP_1) | instskip(NEXT) | instid1(VALU_DEP_1)
	;; [unrolled: 3-line block ×5, first 2 shown]
	v_add_f32_e32 v20, v23, v1
	v_add_f32_e32 v23, 1.0, v20
	s_delay_alu instid0(VALU_DEP_1) | instskip(SKIP_2) | instid1(VALU_DEP_2)
	v_cvt_f64_f32_e32 v[24:25], v23
	v_frexp_mant_f32_e32 v15, v23
	v_add_f32_e32 v21, -1.0, v23
	v_cmp_gt_f32_e32 vcc_lo, 0x3f2aaaab, v15
	s_delay_alu instid0(VALU_DEP_2) | instskip(SKIP_2) | instid1(VALU_DEP_3)
	v_mov_b32_e32 v22, v21
	v_cmp_neq_f32_e64 s3, -1.0, v20
	v_frexp_exp_i32_f64_e32 v1, v[24:25]
	v_pk_add_f32 v[24:25], v[20:21], v[22:23] neg_lo:[0,1] neg_hi:[0,1]
	s_delay_alu instid0(VALU_DEP_1) | instskip(NEXT) | instid1(VALU_DEP_1)
	v_add_f32_e32 v22, 1.0, v25
	v_add_f32_e32 v22, v24, v22
	s_delay_alu instid0(VALU_DEP_4) | instskip(SKIP_1) | instid1(VALU_DEP_2)
	v_subrev_co_ci_u32_e64 v1, null, 0, v1, vcc_lo
	v_cmp_neq_f32_e32 vcc_lo, 0x7f800000, v20
	v_sub_nc_u32_e32 v15, 0, v1
	s_delay_alu instid0(VALU_DEP_1) | instskip(SKIP_1) | instid1(VALU_DEP_2)
	v_ldexp_f32 v21, v23, v15
	v_ldexp_f32 v15, v22, v15
	v_add_f32_e32 v25, 1.0, v21
	s_delay_alu instid0(VALU_DEP_1) | instskip(NEXT) | instid1(VALU_DEP_1)
	v_add_f32_e32 v23, -1.0, v25
	v_dual_sub_f32 v22, v21, v23 :: v_dual_add_f32 v27, -1.0, v21
	s_delay_alu instid0(VALU_DEP_1) | instskip(NEXT) | instid1(VALU_DEP_1)
	v_dual_add_f32 v22, v15, v22 :: v_dual_add_f32 v23, 1.0, v27
	v_add_f32_e32 v30, v25, v22
	s_delay_alu instid0(VALU_DEP_1) | instskip(NEXT) | instid1(VALU_DEP_1)
	v_dual_sub_f32 v21, v21, v23 :: v_dual_sub_f32 v25, v30, v25
	v_add_f32_e32 v15, v15, v21
	v_rcp_f32_e32 v21, v30
	s_delay_alu instid0(VALU_DEP_1)
	v_dual_sub_f32 v32, v22, v25 :: v_dual_add_f32 v23, v27, v15
	s_delay_alu instid0(TRANS32_DEP_1) | instid1(VALU_DEP_1)
	v_dual_mul_f32 v31, v23, v21 :: v_dual_sub_f32 v27, v23, v27
	s_delay_alu instid0(VALU_DEP_1) | instskip(NEXT) | instid1(VALU_DEP_2)
	v_mul_f32_e32 v24, v30, v31
	v_sub_f32_e32 v15, v15, v27
	s_delay_alu instid0(VALU_DEP_2) | instskip(NEXT) | instid1(VALU_DEP_1)
	v_fma_f32 v28, v31, v30, -v24
	v_fmac_f32_e32 v28, v31, v32
	s_delay_alu instid0(VALU_DEP_1) | instskip(NEXT) | instid1(VALU_DEP_1)
	v_add_f32_e32 v22, v24, v28
	v_dual_sub_f32 v25, v23, v22 :: v_dual_mov_b32 v29, v22
	s_delay_alu instid0(VALU_DEP_1) | instskip(NEXT) | instid1(VALU_DEP_1)
	v_pk_add_f32 v[22:23], v[22:23], v[24:25] neg_lo:[0,1] neg_hi:[0,1]
	v_pk_add_f32 v[22:23], v[22:23], v[28:29] neg_lo:[0,1] neg_hi:[0,1]
	s_delay_alu instid0(VALU_DEP_1) | instskip(NEXT) | instid1(VALU_DEP_1)
	v_add_f32_e32 v15, v15, v23
	v_add_f32_e32 v15, v22, v15
	s_delay_alu instid0(VALU_DEP_1) | instskip(NEXT) | instid1(VALU_DEP_1)
	v_add_f32_e32 v23, v25, v15
	v_mul_f32_e32 v27, v21, v23
	s_delay_alu instid0(VALU_DEP_1) | instskip(NEXT) | instid1(VALU_DEP_1)
	v_mul_f32_e32 v28, v30, v27
	v_fma_f32 v24, v27, v30, -v28
	s_delay_alu instid0(VALU_DEP_1) | instskip(NEXT) | instid1(VALU_DEP_1)
	v_dual_fmac_f32 v24, v27, v32 :: v_dual_sub_f32 v30, v25, v23
	v_dual_add_f32 v22, v28, v24 :: v_dual_add_f32 v15, v15, v30
	v_add_f32_e32 v30, v31, v27
	s_delay_alu instid0(VALU_DEP_2) | instskip(NEXT) | instid1(VALU_DEP_1)
	v_dual_sub_f32 v29, v23, v22 :: v_dual_mov_b32 v25, v22
	v_pk_add_f32 v[22:23], v[22:23], v[28:29] neg_lo:[0,1] neg_hi:[0,1]
	s_delay_alu instid0(VALU_DEP_1) | instskip(NEXT) | instid1(VALU_DEP_1)
	v_pk_add_f32 v[22:23], v[22:23], v[24:25] neg_lo:[0,1] neg_hi:[0,1]
	v_add_f32_e32 v15, v15, v23
	s_delay_alu instid0(VALU_DEP_1) | instskip(SKIP_1) | instid1(VALU_DEP_1)
	v_add_f32_e32 v15, v22, v15
	v_sub_f32_e32 v22, v30, v31
	v_dual_sub_f32 v22, v27, v22 :: v_dual_add_f32 v15, v29, v15
	s_delay_alu instid0(VALU_DEP_1) | instskip(NEXT) | instid1(VALU_DEP_1)
	v_mul_f32_e32 v15, v21, v15
	v_add_f32_e32 v21, v22, v15
	v_cvt_f32_i32_e32 v22, v1
	s_delay_alu instid0(VALU_DEP_2) | instskip(NEXT) | instid1(VALU_DEP_1)
	v_add_f32_e32 v27, v30, v21
	v_mul_f32_e32 v15, v27, v27
	v_ldexp_f32 v29, v27, 1
	s_delay_alu instid0(VALU_DEP_2) | instskip(NEXT) | instid1(VALU_DEP_1)
	v_dual_sub_f32 v1, v27, v30 :: v_dual_fmaak_f32 v24, s19, v15, 0x3ecc95a3
	v_dual_mul_f32 v23, v27, v15 :: v_dual_sub_f32 v1, v21, v1
	s_delay_alu instid0(VALU_DEP_2) | instskip(NEXT) | instid1(VALU_DEP_2)
	v_fmaak_f32 v15, v15, v24, 0x3f2aaada
	v_ldexp_f32 v1, v1, 1
	s_delay_alu instid0(VALU_DEP_2) | instskip(NEXT) | instid1(VALU_DEP_1)
	v_pk_mul_f32 v[24:25], v[22:23], v[14:15]
	v_fma_f32 v28, 0x3f317218, v22, -v24
	v_mov_b32_e32 v30, v24
	s_delay_alu instid0(VALU_DEP_2) | instskip(NEXT) | instid1(VALU_DEP_1)
	v_fmac_f32_e32 v28, 0xb102e308, v22
	v_pk_add_f32 v[22:23], v[24:25], v[28:29]
	s_delay_alu instid0(VALU_DEP_1) | instskip(NEXT) | instid1(VALU_DEP_1)
	v_dual_sub_f32 v15, v23, v29 :: v_dual_mov_b32 v29, v22
	v_dual_mov_b32 v38, v23 :: v_dual_sub_f32 v15, v25, v15
	v_pk_add_f32 v[24:25], v[22:23], v[24:25] neg_lo:[0,1] neg_hi:[0,1]
	s_delay_alu instid0(VALU_DEP_2) | instskip(SKIP_2) | instid1(VALU_DEP_1)
	v_add_f32_e32 v31, v1, v15
	v_max_num_f32_e64 v1, |v7|, |v7|
	v_max_num_f32_e64 v15, |v6|, |v6|
	v_max_num_f32_e32 v21, v15, v1
	s_delay_alu instid0(VALU_DEP_4) | instskip(SKIP_1) | instid1(VALU_DEP_3)
	v_pk_add_f32 v[32:33], v[22:23], v[30:31]
	v_min_num_f32_e32 v1, v15, v1
	v_frexp_exp_i32_f32_e32 v15, v21
	s_delay_alu instid0(VALU_DEP_3) | instskip(NEXT) | instid1(VALU_DEP_3)
	v_mov_b32_e32 v25, v33
	v_frexp_exp_i32_f32_e32 v27, v1
	v_frexp_mant_f32_e32 v40, v1
	v_frexp_mant_f32_e32 v21, v21
	s_delay_alu instid0(VALU_DEP_4) | instskip(SKIP_2) | instid1(VALU_DEP_4)
	v_pk_add_f32 v[34:35], v[28:29], v[24:25]
	v_mov_b32_e32 v34, v33
	v_pk_add_f32 v[24:25], v[28:29], v[24:25] neg_lo:[0,1] neg_hi:[0,1]
	v_rcp_f32_e32 v21, v21
	s_delay_alu instid0(VALU_DEP_3) | instskip(NEXT) | instid1(VALU_DEP_1)
	v_dual_mov_b32 v30, v35 :: v_dual_mov_b32 v25, v35
	v_pk_add_f32 v[36:37], v[30:31], v[22:23] neg_lo:[0,1] neg_hi:[0,1]
	v_dual_sub_nc_u32 v15, v27, v15 :: v_dual_mov_b32 v23, v22
	s_delay_alu instid0(VALU_DEP_2) | instskip(SKIP_1) | instid1(VALU_DEP_2)
	v_dual_mov_b32 v22, v31 :: v_dual_mov_b32 v39, v36
	v_mov_b32_e32 v1, v36
	v_pk_add_f32 v[28:29], v[34:35], v[38:39] neg_lo:[0,1] neg_hi:[0,1]
	s_delay_alu instid0(VALU_DEP_2) | instskip(SKIP_1) | instid1(VALU_DEP_3)
	v_pk_add_f32 v[32:33], v[32:33], v[0:1] neg_lo:[0,1] neg_hi:[0,1]
	v_mov_b32_e32 v32, v24
	v_pk_add_f32 v[22:23], v[22:23], v[28:29] neg_lo:[0,1] neg_hi:[0,1]
	s_delay_alu instid0(VALU_DEP_1) | instskip(NEXT) | instid1(VALU_DEP_1)
	v_pk_add_f32 v[28:29], v[32:33], v[22:23]
	v_dual_mul_f32 v21, v40, v21 :: v_dual_mov_b32 v32, v29
	s_delay_alu instid0(VALU_DEP_1) | instskip(NEXT) | instid1(VALU_DEP_2)
	v_ldexp_f32 v1, v21, v15
	v_pk_add_f32 v[32:33], v[28:29], v[32:33]
	s_delay_alu instid0(VALU_DEP_2) | instskip(NEXT) | instid1(VALU_DEP_2)
	v_mul_f32_e32 v15, v1, v1
	v_pk_add_f32 v[30:31], v[30:31], v[32:33]
	s_delay_alu instid0(VALU_DEP_1) | instskip(NEXT) | instid1(VALU_DEP_1)
	v_dual_mov_b32 v23, v32 :: v_dual_mov_b32 v29, v30
	v_pk_add_f32 v[34:35], v[28:29], v[24:25] neg_lo:[0,1] neg_hi:[0,1]
	s_delay_alu instid0(VALU_DEP_1) | instskip(SKIP_1) | instid1(VALU_DEP_3)
	v_sub_f32_e32 v25, v28, v34
	v_fmaak_f32 v21, s20, v15, 0xbc7a590c
	v_pk_add_f32 v[22:23], v[22:23], v[34:35] neg_lo:[0,1] neg_hi:[0,1]
	s_delay_alu instid0(VALU_DEP_3) | instskip(NEXT) | instid1(VALU_DEP_1)
	v_sub_f32_e32 v24, v24, v25
	v_dual_fmaak_f32 v21, v15, v21, 0x3d29fb3f :: v_dual_add_f32 v22, v22, v24
	s_delay_alu instid0(VALU_DEP_1) | instskip(NEXT) | instid1(VALU_DEP_1)
	v_fmaak_f32 v21, v15, v21, 0xbd97d4d7
	v_fmaak_f32 v21, v15, v21, 0x3dd931b2
	s_delay_alu instid0(VALU_DEP_1) | instskip(NEXT) | instid1(VALU_DEP_1)
	v_fmaak_f32 v21, v15, v21, 0xbe1160e6
	v_fmaak_f32 v21, v15, v21, 0x3e4cb8bf
	s_delay_alu instid0(VALU_DEP_1) | instskip(NEXT) | instid1(VALU_DEP_1)
	v_fmaak_f32 v21, v15, v21, 0xbeaaaa62
	v_dual_mul_f32 v15, v15, v21 :: v_dual_add_f32 v21, v22, v23
	s_delay_alu instid0(VALU_DEP_1) | instskip(NEXT) | instid1(VALU_DEP_1)
	v_dual_fmac_f32 v1, v1, v15 :: v_dual_add_f32 v15, v30, v21
	v_sub_f32_e32 v21, 0x3fc90fdb, v1
	s_delay_alu instid0(VALU_DEP_2) | instskip(SKIP_1) | instid1(VALU_DEP_3)
	v_cndmask_b32_e32 v15, 0x7f800000, v15, vcc_lo
	v_cmp_gt_i32_e32 vcc_lo, 0, v6
	v_cndmask_b32_e64 v1, v1, v21, s2
	v_cndmask_b32_e64 v21, 0, 0x40490fdb, vcc_lo
	v_cmp_ngt_f32_e32 vcc_lo, -1.0, v20
	s_delay_alu instid0(VALU_DEP_3) | instskip(SKIP_2) | instid1(VALU_DEP_2)
	v_sub_f32_e32 v22, 0x40490fdb, v1
	v_cndmask_b32_e32 v15, 0x7fc00000, v15, vcc_lo
	v_cmp_gt_f32_e32 vcc_lo, 0, v6
	v_cndmask_b32_e64 v15, 0xff800000, v15, s3
	s_delay_alu instid0(VALU_DEP_4)
	v_cndmask_b32_e32 v1, v1, v22, vcc_lo
	v_cndmask_b32_e32 v22, 0x3f490fdb, v26, vcc_lo
	v_cmp_gt_f32_e64 vcc_lo, 0x33800000, |v20|
	v_cmp_class_f32_e64 s3, v7, 0x204
	v_cndmask_b32_e32 v15, v15, v20, vcc_lo
	v_cmp_eq_f32_e32 vcc_lo, 0, v7
	v_cndmask_b32_e32 v20, v1, v21, vcc_lo
	s_and_b32 vcc_lo, s4, s3
	s_delay_alu instid0(VALU_DEP_1) | instid1(SALU_CYCLE_1)
	v_dual_mul_f32 v1, 0.5, v15 :: v_dual_cndmask_b32 v27, v20, v22, vcc_lo
.LBB180_18:                             ;   in Loop: Header=BB180_5 Depth=1
	s_or_b32 exec_lo, exec_lo, s27
.LBB180_19:                             ;   in Loop: Header=BB180_5 Depth=1
	s_delay_alu instid0(SALU_CYCLE_1)
	s_or_b32 exec_lo, exec_lo, s26
.LBB180_20:                             ;   in Loop: Header=BB180_5 Depth=1
	s_and_not1_saveexec_b32 s4, s25
	s_cbranch_execz .LBB180_22
; %bb.21:                               ;   in Loop: Header=BB180_5 Depth=1
	v_max_num_f32_e64 v1, |v7|, |v7|
	v_max_num_f32_e64 v15, |v6|, |v6|
	v_cmp_gt_i32_e64 s3, 0, v6
	v_cmp_class_f32_e64 s5, v6, 0x204
	v_cmp_class_f32_e64 s6, v7, 0x204
	s_delay_alu instid0(VALU_DEP_4) | instskip(NEXT) | instid1(VALU_DEP_1)
	v_dual_max_num_f32 v22, v15, v1 :: v_dual_min_num_f32 v1, v15, v1
	v_cvt_f64_f32_e32 v[20:21], v22
	v_frexp_exp_i32_f32_e32 v15, v22
	s_delay_alu instid0(VALU_DEP_3) | instskip(SKIP_4) | instid1(VALU_DEP_1)
	v_frexp_exp_i32_f32_e32 v23, v1
	v_frexp_mant_f32_e32 v1, v1
	v_cmp_neq_f32_e32 vcc_lo, 0x7f800000, v22
	v_frexp_exp_i32_f64_e32 v20, v[20:21]
	v_frexp_mant_f32_e32 v21, v22
	v_rcp_f32_e32 v21, v21
	v_nop
	s_delay_alu instid0(TRANS32_DEP_1) | instskip(NEXT) | instid1(VALU_DEP_1)
	v_dual_sub_nc_u32 v15, v23, v15 :: v_dual_mul_f32 v1, v1, v21
	v_ldexp_f32 v1, v1, v15
	s_delay_alu instid0(VALU_DEP_1) | instskip(NEXT) | instid1(VALU_DEP_1)
	v_dual_mul_f32 v21, v1, v1 :: v_dual_sub_nc_u32 v15, 0, v20
	v_ldexp_f32 v23, |v7|, v15
	s_delay_alu instid0(VALU_DEP_2) | instskip(SKIP_1) | instid1(VALU_DEP_2)
	v_fmaak_f32 v24, s20, v21, 0xbc7a590c
	v_ldexp_f32 v15, |v6|, v15
	v_dual_mul_f32 v23, v23, v23 :: v_dual_fmaak_f32 v24, v21, v24, 0x3d29fb3f
	s_delay_alu instid0(VALU_DEP_1) | instskip(NEXT) | instid1(VALU_DEP_2)
	v_fmac_f32_e32 v23, v15, v15
	v_fmaak_f32 v15, v21, v24, 0xbd97d4d7
	s_delay_alu instid0(VALU_DEP_2) | instskip(NEXT) | instid1(VALU_DEP_1)
	v_sqrt_f32_e32 v23, v23
	v_fmaak_f32 v15, v21, v15, 0x3dd931b2
	s_delay_alu instid0(VALU_DEP_1) | instskip(NEXT) | instid1(TRANS32_DEP_1)
	v_fmaak_f32 v15, v21, v15, 0xbe1160e6
	v_ldexp_f32 v20, v23, v20
	s_delay_alu instid0(VALU_DEP_2) | instskip(NEXT) | instid1(VALU_DEP_1)
	v_fmaak_f32 v15, v21, v15, 0x3e4cb8bf
	v_fmaak_f32 v15, v21, v15, 0xbeaaaa62
	s_delay_alu instid0(VALU_DEP_1) | instskip(NEXT) | instid1(VALU_DEP_1)
	v_dual_cndmask_b32 v20, 0x7f800000, v20 :: v_dual_mul_f32 v15, v21, v15
	v_cmp_gt_f32_e32 vcc_lo, 0x800000, v20
	v_cndmask_b32_e64 v22, 0, 32, vcc_lo
	v_cndmask_b32_e64 v23, 0, 0x41b17218, vcc_lo
	s_delay_alu instid0(VALU_DEP_2) | instskip(NEXT) | instid1(VALU_DEP_1)
	v_ldexp_f32 v20, v20, v22
	v_log_f32_e32 v20, v20
	v_nop
	s_delay_alu instid0(TRANS32_DEP_1) | instskip(SKIP_2) | instid1(VALU_DEP_1)
	v_cmp_gt_f32_e64 vcc_lo, 0x7f800000, |v20|
	v_fmac_f32_e32 v1, v1, v15
	v_mul_f32_e32 v15, 0x3f317217, v20
	v_fma_f32 v15, 0x3f317217, v20, -v15
	s_delay_alu instid0(VALU_DEP_1) | instskip(NEXT) | instid1(VALU_DEP_1)
	v_fmac_f32_e32 v15, 0x3377d1cf, v20
	v_fmac_f32_e32 v15, 0x3f317217, v20
	s_delay_alu instid0(VALU_DEP_1) | instskip(SKIP_2) | instid1(VALU_DEP_2)
	v_cndmask_b32_e32 v15, v20, v15, vcc_lo
	v_sub_f32_e32 v21, 0x3fc90fdb, v1
	v_cmp_eq_f32_e32 vcc_lo, 0, v7
	v_cndmask_b32_e64 v1, v1, v21, s2
	v_cndmask_b32_e64 v21, 0, 0x40490fdb, s3
	v_cmp_gt_f32_e64 s3, 0, v6
	s_delay_alu instid0(VALU_DEP_3) | instskip(NEXT) | instid1(VALU_DEP_1)
	v_sub_f32_e32 v22, 0x40490fdb, v1
	v_cndmask_b32_e64 v1, v1, v22, s3
	v_cndmask_b32_e64 v22, 0x3f490fdb, v26, s3
	s_delay_alu instid0(VALU_DEP_2)
	v_cndmask_b32_e32 v20, v1, v21, vcc_lo
	s_and_b32 vcc_lo, s5, s6
	s_delay_alu instid0(VALU_DEP_1) | instid1(SALU_CYCLE_1)
	v_dual_sub_f32 v1, v15, v23 :: v_dual_cndmask_b32 v27, v20, v22, vcc_lo
.LBB180_22:                             ;   in Loop: Header=BB180_5 Depth=1
	s_or_b32 exec_lo, exec_lo, s4
                                        ; implicit-def: $vgpr20
.LBB180_23:                             ;   in Loop: Header=BB180_5 Depth=1
	s_and_not1_saveexec_b32 s4, s24
	s_cbranch_execz .LBB180_29
; %bb.24:                               ;   in Loop: Header=BB180_5 Depth=1
                                        ; implicit-def: $vgpr1
                                        ; implicit-def: $vgpr27
	s_mov_b32 s3, exec_lo
	v_cmpx_ngt_f32_e32 0x1fec1e4a, v20
	s_xor_b32 s5, exec_lo, s3
	s_cbranch_execz .LBB180_26
; %bb.25:                               ;   in Loop: Header=BB180_5 Depth=1
	v_pk_mul_f32 v[20:21], v[20:21], v[20:21]
	v_cmp_class_f32_e64 s6, v6, 0x204
	s_delay_alu instid0(VALU_DEP_2) | instskip(SKIP_1) | instid1(VALU_DEP_2)
	v_add_f32_e32 v23, 1.0, v20
	v_cmp_neq_f32_e64 s3, 0x7f800000, v20
	v_add_f32_e32 v21, -1.0, v23
	s_delay_alu instid0(VALU_DEP_1) | instskip(SKIP_2) | instid1(VALU_DEP_1)
	v_mov_b32_e32 v22, v21
	v_cvt_f64_f32_e32 v[24:25], v23
	v_frexp_mant_f32_e32 v15, v23
	v_cmp_gt_f32_e32 vcc_lo, 0x3f2aaaab, v15
	s_delay_alu instid0(VALU_DEP_3) | instskip(NEXT) | instid1(VALU_DEP_1)
	v_frexp_exp_i32_f64_e32 v1, v[24:25]
	v_subrev_co_ci_u32_e64 v1, null, 0, v1, vcc_lo
	v_cmp_gt_i32_e32 vcc_lo, 0, v6
	s_delay_alu instid0(VALU_DEP_2) | instskip(SKIP_1) | instid1(VALU_DEP_2)
	v_sub_nc_u32_e32 v15, 0, v1
	v_pk_add_f32 v[24:25], v[20:21], v[22:23] neg_lo:[0,1] neg_hi:[0,1]
	v_ldexp_f32 v21, v23, v15
	s_delay_alu instid0(VALU_DEP_2) | instskip(NEXT) | instid1(VALU_DEP_2)
	v_add_f32_e32 v22, 1.0, v25
	v_add_f32_e32 v25, 1.0, v21
	s_delay_alu instid0(VALU_DEP_1) | instskip(SKIP_1) | instid1(VALU_DEP_2)
	v_dual_add_f32 v23, -1.0, v25 :: v_dual_add_f32 v22, v24, v22
	v_add_f32_e32 v27, -1.0, v21
	v_ldexp_f32 v15, v22, v15
	s_delay_alu instid0(VALU_DEP_3) | instskip(NEXT) | instid1(VALU_DEP_1)
	v_sub_f32_e32 v22, v21, v23
	v_dual_add_f32 v23, 1.0, v27 :: v_dual_add_f32 v22, v15, v22
	s_delay_alu instid0(VALU_DEP_1) | instskip(NEXT) | instid1(VALU_DEP_1)
	v_add_f32_e32 v30, v25, v22
	v_sub_f32_e32 v25, v25, v30
	s_delay_alu instid0(VALU_DEP_1) | instskip(NEXT) | instid1(VALU_DEP_1)
	v_dual_sub_f32 v21, v21, v23 :: v_dual_add_f32 v32, v22, v25
	v_add_f32_e32 v15, v15, v21
	v_rcp_f32_e32 v21, v30
	s_delay_alu instid0(VALU_DEP_1)
	v_add_f32_e32 v23, v27, v15
	s_delay_alu instid0(TRANS32_DEP_1) | instid1(VALU_DEP_1)
	v_mul_f32_e32 v31, v23, v21
	s_delay_alu instid0(VALU_DEP_1) | instskip(NEXT) | instid1(VALU_DEP_1)
	v_mul_f32_e32 v24, v30, v31
	v_fma_f32 v28, v31, v30, -v24
	s_delay_alu instid0(VALU_DEP_1) | instskip(NEXT) | instid1(VALU_DEP_1)
	v_fmac_f32_e32 v28, v31, v32
	v_dual_add_f32 v22, v24, v28 :: v_dual_sub_f32 v27, v27, v23
	s_delay_alu instid0(VALU_DEP_1) | instskip(NEXT) | instid1(VALU_DEP_2)
	v_dual_sub_f32 v25, v23, v22 :: v_dual_mov_b32 v29, v22
	v_add_f32_e32 v15, v15, v27
	s_delay_alu instid0(VALU_DEP_2) | instskip(NEXT) | instid1(VALU_DEP_1)
	v_pk_add_f32 v[22:23], v[22:23], v[24:25] neg_lo:[0,1] neg_hi:[0,1]
	v_pk_add_f32 v[22:23], v[22:23], v[28:29] neg_lo:[0,1] neg_hi:[0,1]
	s_delay_alu instid0(VALU_DEP_1) | instskip(NEXT) | instid1(VALU_DEP_1)
	v_add_f32_e32 v15, v15, v23
	v_add_f32_e32 v15, v22, v15
	s_delay_alu instid0(VALU_DEP_1) | instskip(NEXT) | instid1(VALU_DEP_1)
	v_add_f32_e32 v23, v25, v15
	v_mul_f32_e32 v27, v21, v23
	s_delay_alu instid0(VALU_DEP_1) | instskip(NEXT) | instid1(VALU_DEP_1)
	v_mul_f32_e32 v28, v30, v27
	v_dual_fma_f32 v24, v27, v30, -v28 :: v_dual_sub_f32 v30, v25, v23
	s_delay_alu instid0(VALU_DEP_1) | instskip(NEXT) | instid1(VALU_DEP_2)
	v_fmac_f32_e32 v24, v27, v32
	v_add_f32_e32 v15, v15, v30
	s_delay_alu instid0(VALU_DEP_2) | instskip(NEXT) | instid1(VALU_DEP_1)
	v_dual_add_f32 v30, v31, v27 :: v_dual_add_f32 v22, v28, v24
	v_dual_sub_f32 v29, v23, v22 :: v_dual_mov_b32 v25, v22
	s_delay_alu instid0(VALU_DEP_1) | instskip(NEXT) | instid1(VALU_DEP_1)
	v_pk_add_f32 v[22:23], v[22:23], v[28:29] neg_lo:[0,1] neg_hi:[0,1]
	v_pk_add_f32 v[22:23], v[22:23], v[24:25] neg_lo:[0,1] neg_hi:[0,1]
	s_delay_alu instid0(VALU_DEP_1) | instskip(NEXT) | instid1(VALU_DEP_1)
	v_add_f32_e32 v15, v15, v23
	v_add_f32_e32 v15, v22, v15
	v_sub_f32_e32 v22, v30, v31
	s_delay_alu instid0(VALU_DEP_1) | instskip(NEXT) | instid1(VALU_DEP_1)
	v_dual_sub_f32 v22, v27, v22 :: v_dual_add_f32 v15, v29, v15
	v_mul_f32_e32 v15, v21, v15
	s_delay_alu instid0(VALU_DEP_1) | instskip(SKIP_1) | instid1(VALU_DEP_2)
	v_add_f32_e32 v21, v22, v15
	v_cvt_f32_i32_e32 v22, v1
	v_add_f32_e32 v27, v30, v21
	s_delay_alu instid0(VALU_DEP_1) | instskip(SKIP_1) | instid1(VALU_DEP_2)
	v_mul_f32_e32 v15, v27, v27
	v_ldexp_f32 v29, v27, 1
	v_dual_sub_f32 v1, v27, v30 :: v_dual_fmaak_f32 v24, s19, v15, 0x3ecc95a3
	s_delay_alu instid0(VALU_DEP_1) | instskip(SKIP_2) | instid1(VALU_DEP_4)
	v_dual_mul_f32 v23, v27, v15 :: v_dual_sub_f32 v1, v21, v1
	v_max_num_f32_e64 v21, |v7|, |v7|
	v_max_num_f32_e64 v27, |v6|, |v6|
	v_fmaak_f32 v15, v15, v24, 0x3f2aaada
	s_delay_alu instid0(VALU_DEP_4) | instskip(NEXT) | instid1(VALU_DEP_2)
	v_ldexp_f32 v1, v1, 1
	v_pk_mul_f32 v[24:25], v[22:23], v[14:15]
	s_delay_alu instid0(VALU_DEP_1) | instskip(SKIP_1) | instid1(VALU_DEP_2)
	v_fma_f32 v28, 0x3f317218, v22, -v24
	v_mov_b32_e32 v30, v24
	v_fmac_f32_e32 v28, 0xb102e308, v22
	s_delay_alu instid0(VALU_DEP_1) | instskip(NEXT) | instid1(VALU_DEP_1)
	v_pk_add_f32 v[22:23], v[24:25], v[28:29]
	v_dual_sub_f32 v15, v23, v29 :: v_dual_mov_b32 v29, v22
	s_delay_alu instid0(VALU_DEP_1) | instskip(SKIP_1) | instid1(VALU_DEP_2)
	v_dual_mov_b32 v38, v23 :: v_dual_sub_f32 v15, v25, v15
	v_pk_add_f32 v[24:25], v[22:23], v[24:25] neg_lo:[0,1] neg_hi:[0,1]
	v_dual_add_f32 v31, v1, v15 :: v_dual_max_num_f32 v1, v27, v21
	v_min_num_f32_e32 v21, v27, v21
	s_delay_alu instid0(VALU_DEP_2) | instskip(NEXT) | instid1(VALU_DEP_3)
	v_pk_add_f32 v[32:33], v[22:23], v[30:31]
	v_frexp_mant_f32_e32 v15, v1
	v_frexp_exp_i32_f32_e32 v1, v1
	s_delay_alu instid0(VALU_DEP_4) | instskip(SKIP_3) | instid1(VALU_DEP_1)
	v_frexp_exp_i32_f32_e32 v27, v21
	v_frexp_mant_f32_e32 v21, v21
	v_mov_b32_e32 v25, v33
	v_rcp_f32_e32 v15, v15
	v_pk_add_f32 v[34:35], v[28:29], v[24:25]
	v_mov_b32_e32 v34, v33
	v_pk_add_f32 v[24:25], v[28:29], v[24:25] neg_lo:[0,1] neg_hi:[0,1]
	s_delay_alu instid0(TRANS32_DEP_1) | instid1(VALU_DEP_3)
	v_dual_mul_f32 v15, v21, v15 :: v_dual_mov_b32 v30, v35
	s_delay_alu instid0(VALU_DEP_1) | instskip(SKIP_1) | instid1(VALU_DEP_2)
	v_pk_add_f32 v[36:37], v[30:31], v[22:23] neg_lo:[0,1] neg_hi:[0,1]
	v_dual_sub_nc_u32 v1, v27, v1 :: v_dual_mov_b32 v23, v22
	v_dual_mov_b32 v22, v31 :: v_dual_mov_b32 v39, v36
	s_delay_alu instid0(VALU_DEP_2) | instskip(SKIP_1) | instid1(VALU_DEP_3)
	v_ldexp_f32 v15, v15, v1
	v_mov_b32_e32 v1, v36
	v_pk_add_f32 v[28:29], v[34:35], v[38:39] neg_lo:[0,1] neg_hi:[0,1]
	s_delay_alu instid0(VALU_DEP_3) | instskip(NEXT) | instid1(VALU_DEP_3)
	v_mul_f32_e32 v21, v15, v15
	v_pk_add_f32 v[32:33], v[32:33], v[0:1] neg_lo:[0,1] neg_hi:[0,1]
	v_mov_b32_e32 v32, v24
	s_delay_alu instid0(VALU_DEP_4) | instskip(NEXT) | instid1(VALU_DEP_1)
	v_pk_add_f32 v[22:23], v[22:23], v[28:29] neg_lo:[0,1] neg_hi:[0,1]
	v_pk_add_f32 v[28:29], v[32:33], v[22:23]
	s_delay_alu instid0(VALU_DEP_1) | instskip(NEXT) | instid1(VALU_DEP_1)
	v_dual_fmaak_f32 v1, s20, v21, 0xbc7a590c :: v_dual_mov_b32 v32, v29
	v_fmaak_f32 v1, v21, v1, 0x3d29fb3f
	s_delay_alu instid0(VALU_DEP_2) | instskip(NEXT) | instid1(VALU_DEP_2)
	v_pk_add_f32 v[32:33], v[28:29], v[32:33]
	v_fmaak_f32 v1, v21, v1, 0xbd97d4d7
	s_delay_alu instid0(VALU_DEP_2) | instskip(NEXT) | instid1(VALU_DEP_2)
	v_pk_add_f32 v[30:31], v[30:31], v[32:33]
	v_fmaak_f32 v1, v21, v1, 0x3dd931b2
	s_delay_alu instid0(VALU_DEP_2) | instskip(NEXT) | instid1(VALU_DEP_2)
	v_dual_mov_b32 v25, v35 :: v_dual_mov_b32 v29, v30
	v_fmaak_f32 v1, v21, v1, 0xbe1160e6
	s_delay_alu instid0(VALU_DEP_2) | instskip(NEXT) | instid1(VALU_DEP_2)
	v_pk_add_f32 v[34:35], v[28:29], v[24:25] neg_lo:[0,1] neg_hi:[0,1]
	v_fmaak_f32 v1, v21, v1, 0x3e4cb8bf
	s_delay_alu instid0(VALU_DEP_1) | instskip(NEXT) | instid1(VALU_DEP_1)
	v_fmaak_f32 v1, v21, v1, 0xbeaaaa62
	v_dual_mov_b32 v23, v32 :: v_dual_mul_f32 v1, v21, v1
	s_delay_alu instid0(VALU_DEP_4) | instskip(NEXT) | instid1(VALU_DEP_2)
	v_sub_f32_e32 v25, v28, v34
	v_pk_add_f32 v[22:23], v[22:23], v[34:35] neg_lo:[0,1] neg_hi:[0,1]
	s_delay_alu instid0(VALU_DEP_3) | instskip(NEXT) | instid1(VALU_DEP_3)
	v_fmac_f32_e32 v15, v15, v1
	v_sub_f32_e32 v21, v24, v25
	s_delay_alu instid0(VALU_DEP_1) | instskip(NEXT) | instid1(VALU_DEP_3)
	v_add_f32_e32 v1, v22, v21
	v_sub_f32_e32 v21, 0x3fc90fdb, v15
	s_delay_alu instid0(VALU_DEP_1) | instskip(SKIP_2) | instid1(VALU_DEP_3)
	v_dual_cndmask_b32 v15, v15, v21, s2 :: v_dual_add_f32 v1, v1, v23
	v_cndmask_b32_e64 v21, 0, 0x40490fdb, vcc_lo
	v_cmp_gt_f32_e32 vcc_lo, 0, v6
	v_dual_sub_f32 v22, 0x40490fdb, v15 :: v_dual_add_f32 v1, v30, v1
	s_delay_alu instid0(VALU_DEP_1) | instskip(NEXT) | instid1(VALU_DEP_2)
	v_cndmask_b32_e64 v1, 0x7f800000, v1, s3
	v_cndmask_b32_e32 v15, v15, v22, vcc_lo
	v_cndmask_b32_e32 v22, 0x3f490fdb, v26, vcc_lo
	v_cmp_gt_f32_e64 vcc_lo, 0x33800000, |v20|
	v_cmp_class_f32_e64 s3, v7, 0x204
	v_cndmask_b32_e32 v1, v1, v20, vcc_lo
	v_cmp_eq_f32_e32 vcc_lo, 0, v7
                                        ; implicit-def: $vgpr20
	s_delay_alu instid0(VALU_DEP_2) | instskip(SKIP_2) | instid1(VALU_DEP_1)
	v_mul_f32_e32 v1, 0.5, v1
	v_cndmask_b32_e32 v15, v15, v21, vcc_lo
	s_and_b32 vcc_lo, s6, s3
	v_cndmask_b32_e32 v27, v15, v22, vcc_lo
.LBB180_26:                             ;   in Loop: Header=BB180_5 Depth=1
	s_and_not1_saveexec_b32 s5, s5
	s_cbranch_execz .LBB180_28
; %bb.27:                               ;   in Loop: Header=BB180_5 Depth=1
	v_max_num_f32_e64 v1, |v7|, |v7|
	v_max_num_f32_e64 v15, |v6|, |v6|
	v_cmp_eq_f32_e64 s3, 0, v7
	v_cmp_gt_i32_e32 vcc_lo, 0, v6
	v_cmp_class_f32_e64 s6, v6, 0x204
	v_cmp_class_f32_e64 s7, v7, 0x204
	v_dual_max_num_f32 v21, v15, v1 :: v_dual_min_num_f32 v1, v15, v1
	s_delay_alu instid0(VALU_DEP_1) | instskip(SKIP_1) | instid1(VALU_DEP_2)
	v_frexp_mant_f32_e32 v22, v21
	v_frexp_exp_i32_f32_e32 v15, v21
	v_rcp_f32_e32 v21, v22
	v_nop
	v_frexp_exp_i32_f32_e32 v22, v1
	v_frexp_mant_f32_e32 v1, v1
	s_delay_alu instid0(TRANS32_DEP_1) | instid1(VALU_DEP_1)
	v_dual_sub_nc_u32 v15, v22, v15 :: v_dual_mul_f32 v1, v1, v21
	s_delay_alu instid0(VALU_DEP_1) | instskip(NEXT) | instid1(VALU_DEP_1)
	v_ldexp_f32 v1, v1, v15
	v_mul_f32_e32 v15, v1, v1
	s_delay_alu instid0(VALU_DEP_1) | instskip(NEXT) | instid1(VALU_DEP_1)
	v_fmaak_f32 v21, s20, v15, 0xbc7a590c
	v_fmaak_f32 v21, v15, v21, 0x3d29fb3f
	s_delay_alu instid0(VALU_DEP_1) | instskip(NEXT) | instid1(VALU_DEP_1)
	v_fmaak_f32 v21, v15, v21, 0xbd97d4d7
	v_fmaak_f32 v21, v15, v21, 0x3dd931b2
	;; [unrolled: 3-line block ×3, first 2 shown]
	s_delay_alu instid0(VALU_DEP_1) | instskip(NEXT) | instid1(VALU_DEP_1)
	v_fmaak_f32 v21, v15, v21, 0xbeaaaa62
	v_mul_f32_e32 v15, v15, v21
	v_cndmask_b32_e64 v21, 0, 0x40490fdb, vcc_lo
	v_cmp_gt_f32_e32 vcc_lo, 0, v6
	s_delay_alu instid0(VALU_DEP_3) | instskip(NEXT) | instid1(VALU_DEP_1)
	v_dual_fmac_f32 v1, v1, v15 :: v_dual_cndmask_b32 v22, 0x3f490fdb, v26
	v_sub_f32_e32 v15, 0x3fc90fdb, v1
	s_delay_alu instid0(VALU_DEP_1) | instskip(NEXT) | instid1(VALU_DEP_1)
	v_cndmask_b32_e64 v1, v1, v15, s2
	v_sub_f32_e32 v15, 0x40490fdb, v1
	s_delay_alu instid0(VALU_DEP_1) | instskip(SKIP_1) | instid1(VALU_DEP_1)
	v_dual_cndmask_b32 v1, v1, v15, vcc_lo :: v_dual_mul_f32 v15, 0.5, v20
	s_and_b32 vcc_lo, s6, s7
	v_dual_cndmask_b32 v21, v1, v21, s3 :: v_dual_mul_f32 v1, v20, v15
	s_delay_alu instid0(VALU_DEP_1)
	v_cndmask_b32_e32 v27, v21, v22, vcc_lo
.LBB180_28:                             ;   in Loop: Header=BB180_5 Depth=1
	s_or_b32 exec_lo, exec_lo, s5
.LBB180_29:                             ;   in Loop: Header=BB180_5 Depth=1
	s_delay_alu instid0(SALU_CYCLE_1)
	s_or_b32 exec_lo, exec_lo, s4
.LBB180_30:                             ;   in Loop: Header=BB180_5 Depth=1
	s_and_not1_saveexec_b32 s4, s23
	s_cbranch_execz .LBB180_32
; %bb.31:                               ;   in Loop: Header=BB180_5 Depth=1
	v_div_scale_f32 v1, null, 0x402df854, 0x402df854, v6
	v_div_scale_f32 v15, null, 0x402df854, 0x402df854, v7
	v_div_scale_f32 v24, vcc_lo, v6, 0x402df854, v6
	s_delay_alu instid0(VALU_DEP_3) | instskip(NEXT) | instid1(VALU_DEP_2)
	v_rcp_f32_e32 v20, v1
	v_rcp_f32_e32 v21, v15
	v_cmp_class_f32_e64 s5, v7, 0x204
	s_delay_alu instid0(TRANS32_DEP_2) | instskip(NEXT) | instid1(TRANS32_DEP_1)
	v_fma_f32 v22, -v1, v20, 1.0
	v_fma_f32 v23, -v15, v21, 1.0
	s_delay_alu instid0(VALU_DEP_1) | instskip(SKIP_1) | instid1(VALU_DEP_1)
	v_dual_fmac_f32 v20, v22, v20 :: v_dual_fmac_f32 v21, v23, v21
	v_div_scale_f32 v22, s3, v7, 0x402df854, v7
	v_dual_mul_f32 v23, v24, v20 :: v_dual_mul_f32 v25, v22, v21
	s_delay_alu instid0(VALU_DEP_1) | instskip(NEXT) | instid1(VALU_DEP_1)
	v_dual_fma_f32 v27, -v1, v23, v24 :: v_dual_fma_f32 v28, -v15, v25, v22
	v_dual_fmac_f32 v23, v27, v20 :: v_dual_fmac_f32 v25, v28, v21
	s_delay_alu instid0(VALU_DEP_1) | instskip(NEXT) | instid1(VALU_DEP_1)
	v_dual_fma_f32 v1, -v1, v23, v24 :: v_dual_fma_f32 v15, -v15, v25, v22
	v_div_fmas_f32 v1, v1, v20, v23
	s_mov_b32 vcc_lo, s3
	v_max_num_f32_e64 v23, |v6|, |v6|
	s_delay_alu instid0(VALU_DEP_3) | instskip(SKIP_2) | instid1(VALU_DEP_3)
	v_div_fmas_f32 v15, v15, v21, v25
	v_cmp_class_f32_e64 s3, v6, 0x204
	v_div_fixup_f32 v1, v1, 0x402df854, v6
	v_div_fixup_f32 v15, v15, 0x402df854, v7
	s_delay_alu instid0(VALU_DEP_1) | instskip(NEXT) | instid1(VALU_DEP_1)
	v_max_num_f32_e64 v22, |v1|, |v15|
	v_cvt_f64_f32_e32 v[20:21], v22
	v_cmp_neq_f32_e32 vcc_lo, 0x7f800000, v22
	s_delay_alu instid0(VALU_DEP_2) | instskip(SKIP_1) | instid1(VALU_DEP_1)
	v_frexp_exp_i32_f64_e32 v20, v[20:21]
	v_max_num_f32_e64 v21, |v7|, |v7|
	v_dual_max_num_f32 v24, v23, v21 :: v_dual_min_num_f32 v21, v23, v21
	s_delay_alu instid0(VALU_DEP_1) | instskip(SKIP_1) | instid1(VALU_DEP_2)
	v_frexp_mant_f32_e32 v25, v24
	v_frexp_exp_i32_f32_e32 v23, v24
	v_rcp_f32_e32 v24, v25
	v_nop
	v_frexp_exp_i32_f32_e32 v25, v21
	v_frexp_mant_f32_e32 v21, v21
	s_delay_alu instid0(VALU_DEP_2)
	v_sub_nc_u32_e32 v23, v25, v23
	s_delay_alu instid0(TRANS32_DEP_1) | instid1(VALU_DEP_2)
	v_mul_f32_e32 v21, v21, v24
	v_sub_nc_u32_e32 v24, 0, v20
	s_delay_alu instid0(VALU_DEP_1) | instskip(SKIP_1) | instid1(VALU_DEP_2)
	v_ldexp_f32 v15, |v15|, v24
	v_ldexp_f32 v1, |v1|, v24
	v_mul_f32_e32 v15, v15, v15
	v_ldexp_f32 v21, v21, v23
	s_delay_alu instid0(VALU_DEP_2) | instskip(NEXT) | instid1(VALU_DEP_1)
	v_fmac_f32_e32 v15, v1, v1
	v_sqrt_f32_e32 v15, v15
	v_nop
	s_delay_alu instid0(TRANS32_DEP_1) | instskip(NEXT) | instid1(VALU_DEP_1)
	v_ldexp_f32 v15, v15, v20
	v_cndmask_b32_e32 v15, 0x7f800000, v15, vcc_lo
	s_delay_alu instid0(VALU_DEP_1) | instskip(SKIP_1) | instid1(VALU_DEP_1)
	v_cmp_gt_f32_e32 vcc_lo, 0x800000, v15
	v_cndmask_b32_e64 v20, 0, 32, vcc_lo
	v_ldexp_f32 v15, v15, v20
	s_delay_alu instid0(VALU_DEP_1) | instskip(SKIP_1) | instid1(TRANS32_DEP_1)
	v_log_f32_e32 v15, v15
	v_nop
	v_dual_mul_f32 v23, v21, v21 :: v_dual_mul_f32 v20, 0x3f317217, v15
	s_delay_alu instid0(VALU_DEP_1) | instskip(NEXT) | instid1(VALU_DEP_1)
	v_fmaak_f32 v24, s20, v23, 0xbc7a590c
	v_fmaak_f32 v1, v23, v24, 0x3d29fb3f
	s_delay_alu instid0(VALU_DEP_1) | instskip(NEXT) | instid1(VALU_DEP_1)
	v_fmaak_f32 v1, v23, v1, 0xbd97d4d7
	v_fmaak_f32 v1, v23, v1, 0x3dd931b2
	;; [unrolled: 3-line block ×3, first 2 shown]
	s_delay_alu instid0(VALU_DEP_1) | instskip(NEXT) | instid1(VALU_DEP_1)
	v_fmaak_f32 v1, v23, v1, 0xbeaaaa62
	v_mul_f32_e32 v1, v23, v1
	v_cndmask_b32_e64 v23, 0, 0x41b17218, vcc_lo
	v_cmp_gt_f32_e64 vcc_lo, 0x7f800000, |v15|
	s_delay_alu instid0(VALU_DEP_3) | instskip(SKIP_1) | instid1(VALU_DEP_1)
	v_fmac_f32_e32 v21, v21, v1
	v_fma_f32 v1, 0x3f317217, v15, -v20
	v_fmac_f32_e32 v1, 0x3377d1cf, v15
	s_delay_alu instid0(VALU_DEP_1) | instskip(NEXT) | instid1(VALU_DEP_1)
	v_fmac_f32_e32 v1, 0x3f317217, v15
	v_cndmask_b32_e32 v1, v15, v1, vcc_lo
	v_sub_f32_e32 v20, 0x3fc90fdb, v21
	v_cmp_eq_f32_e32 vcc_lo, 0, v7
	s_delay_alu instid0(VALU_DEP_3) | instskip(NEXT) | instid1(VALU_DEP_3)
	v_sub_f32_e32 v1, v1, v23
	v_cndmask_b32_e64 v20, v21, v20, s2
	v_cmp_gt_i32_e64 s2, 0, v6
	s_delay_alu instid0(VALU_DEP_2) | instskip(NEXT) | instid1(VALU_DEP_2)
	v_dual_add_f32 v1, 1.0, v1 :: v_dual_sub_f32 v22, 0x40490fdb, v20
	v_cndmask_b32_e64 v21, 0, 0x40490fdb, s2
	v_cmp_gt_f32_e64 s2, 0, v6
	s_delay_alu instid0(VALU_DEP_1) | instskip(SKIP_1) | instid1(VALU_DEP_2)
	v_cndmask_b32_e64 v15, v20, v22, s2
	v_cndmask_b32_e64 v20, 0x3f490fdb, v26, s2
	v_cndmask_b32_e32 v15, v15, v21, vcc_lo
	s_and_b32 vcc_lo, s3, s5
	s_delay_alu instid0(VALU_DEP_1)
	v_cndmask_b32_e32 v27, v15, v20, vcc_lo
.LBB180_32:                             ;   in Loop: Header=BB180_5 Depth=1
	s_or_b32 exec_lo, exec_lo, s4
.LBB180_33:                             ;   in Loop: Header=BB180_5 Depth=1
	s_and_not1_saveexec_b32 s2, s22
	s_cbranch_execz .LBB180_39
; %bb.34:                               ;   in Loop: Header=BB180_5 Depth=1
	v_cmp_ngt_f32_e64 s3, 0x20000000, |v6|
	v_cmp_ngt_f32_e64 s4, 0x20000000, |v7|
                                        ; implicit-def: $vgpr1
	s_or_b32 s3, s3, s4
	s_delay_alu instid0(SALU_CYCLE_1) | instskip(NEXT) | instid1(SALU_CYCLE_1)
	s_and_saveexec_b32 s4, s3
	s_xor_b32 s3, exec_lo, s4
; %bb.35:                               ;   in Loop: Header=BB180_5 Depth=1
	v_pk_mul_f32 v[20:21], v[6:7], v[6:7]
	s_delay_alu instid0(VALU_DEP_1)
	v_add_f32_e32 v1, v20, v21
; %bb.36:                               ;   in Loop: Header=BB180_5 Depth=1
	s_and_not1_saveexec_b32 s3, s3
; %bb.37:                               ;   in Loop: Header=BB180_5 Depth=1
	v_pk_mul_f32 v[20:21], v[6:7], 4.0 op_sel_hi:[1,0]
	s_delay_alu instid0(VALU_DEP_1) | instskip(NEXT) | instid1(VALU_DEP_1)
	v_pk_mul_f32 v[20:21], v[20:21], v[20:21]
	v_add_f32_e32 v1, v20, v21
	s_delay_alu instid0(VALU_DEP_1)
	v_mul_f32_e32 v1, 0x3d800000, v1
; %bb.38:                               ;   in Loop: Header=BB180_5 Depth=1
	s_or_b32 exec_lo, exec_lo, s3
	s_delay_alu instid0(VALU_DEP_1) | instskip(SKIP_3) | instid1(VALU_DEP_2)
	v_cmp_gt_f32_e32 vcc_lo, 0x800000, v1
	v_mov_b32_e32 v27, 0x7fc00000
	v_cndmask_b32_e64 v6, 0, 32, vcc_lo
	v_cndmask_b32_e64 v15, 0, 0x41b17218, vcc_lo
	v_ldexp_f32 v1, v1, v6
	s_delay_alu instid0(VALU_DEP_1) | instskip(SKIP_1) | instid1(TRANS32_DEP_1)
	v_log_f32_e32 v1, v1
	v_nop
	v_mul_f32_e32 v6, 0x3f317217, v1
	v_cmp_gt_f32_e64 vcc_lo, 0x7f800000, |v1|
	s_delay_alu instid0(VALU_DEP_2) | instskip(NEXT) | instid1(VALU_DEP_1)
	v_fma_f32 v6, 0x3f317217, v1, -v6
	v_fmac_f32_e32 v6, 0x3377d1cf, v1
	s_delay_alu instid0(VALU_DEP_1) | instskip(NEXT) | instid1(VALU_DEP_1)
	v_fmac_f32_e32 v6, 0x3f317217, v1
	v_cndmask_b32_e32 v1, v1, v6, vcc_lo
	s_delay_alu instid0(VALU_DEP_1)
	v_sub_f32_e32 v1, v1, v15
.LBB180_39:                             ;   in Loop: Header=BB180_5 Depth=1
	s_or_b32 exec_lo, exec_lo, s2
                                        ; implicit-def: $vgpr6
                                        ; implicit-def: $vgpr28
	s_delay_alu instid0(SALU_CYCLE_1)
	s_mov_b32 s2, exec_lo
	v_cmpx_o_f32_e32 v9, v8
	s_xor_b32 s22, exec_lo, s2
	s_cbranch_execz .LBB180_67
; %bb.40:                               ;   in Loop: Header=BB180_5 Depth=1
	v_cmp_lt_f32_e64 s2, |v8|, |v9|
                                        ; implicit-def: $vgpr6
                                        ; implicit-def: $vgpr28
	s_mov_b32 s4, exec_lo
	v_cndmask_b32_e64 v15, v9, v8, s2
	s_delay_alu instid0(VALU_DEP_1)
	v_cmpx_nlt_f32_e64 0x77f684df, |v15|
	s_xor_b32 s23, exec_lo, s4
	s_cbranch_execz .LBB180_64
; %bb.41:                               ;   in Loop: Header=BB180_5 Depth=1
	v_cndmask_b32_e64 v6, v8, v9, s2
	v_and_b32_e32 v20, 0x7fffffff, v15
                                        ; implicit-def: $vgpr28
	s_mov_b32 s3, exec_lo
	s_delay_alu instid0(VALU_DEP_2) | instskip(NEXT) | instid1(VALU_DEP_1)
	v_and_b32_e32 v21, 0x7fffffff, v6
                                        ; implicit-def: $vgpr6
	v_cmpx_neq_f32_e32 1.0, v21
	s_xor_b32 s24, exec_lo, s3
	s_cbranch_execz .LBB180_57
; %bb.42:                               ;   in Loop: Header=BB180_5 Depth=1
	v_dual_max_num_f32 v6, v20, v20 :: v_dual_max_num_f32 v15, v21, v21
                                        ; implicit-def: $vgpr28
	s_delay_alu instid0(VALU_DEP_1) | instskip(NEXT) | instid1(VALU_DEP_1)
	v_dual_min_num_f32 v22, v15, v6 :: v_dual_max_num_f32 v6, v15, v6
	v_cmp_ngt_f32_e32 vcc_lo, 0x358637bd, v22
	s_delay_alu instid0(VALU_DEP_2) | instskip(SKIP_1) | instid1(SALU_CYCLE_1)
	v_cmp_nlt_f32_e64 s3, 0x49742400, v6
                                        ; implicit-def: $vgpr6
	s_and_b32 s3, s3, vcc_lo
	s_and_saveexec_b32 s4, s3
	s_delay_alu instid0(SALU_CYCLE_1)
	s_xor_b32 s25, exec_lo, s4
	s_cbranch_execz .LBB180_54
; %bb.43:                               ;   in Loop: Header=BB180_5 Depth=1
                                        ; implicit-def: $vgpr6
                                        ; implicit-def: $vgpr28
	s_mov_b32 s3, exec_lo
	v_cmpx_le_f32_e32 1.0, v21
	s_xor_b32 s4, exec_lo, s3
	s_cbranch_execz .LBB180_45
; %bb.44:                               ;   in Loop: Header=BB180_5 Depth=1
	v_pk_add_f32 v[22:23], v[20:21], v[12:13] op_sel:[1,0]
	v_mov_b32_e32 v24, v20
	v_cmp_class_f32_e64 s5, v8, 0x204
	s_delay_alu instid0(VALU_DEP_3) | instskip(SKIP_1) | instid1(VALU_DEP_1)
	v_dual_mov_b32 v21, v22 :: v_dual_mov_b32 v25, v23
	v_mul_f32_e32 v6, v22, v23
	v_pk_fma_f32 v[20:21], v[20:21], v[24:25], v[6:7] op_sel_hi:[1,1,0]
	s_delay_alu instid0(VALU_DEP_1) | instskip(SKIP_1) | instid1(VALU_DEP_2)
	v_add_f32_e32 v23, 1.0, v20
	v_cmp_neq_f32_e64 s3, -1.0, v20
	v_add_f32_e32 v21, -1.0, v23
	s_delay_alu instid0(VALU_DEP_1) | instskip(SKIP_2) | instid1(VALU_DEP_1)
	v_mov_b32_e32 v22, v21
	v_cvt_f64_f32_e32 v[24:25], v23
	v_frexp_mant_f32_e32 v15, v23
	v_cmp_gt_f32_e32 vcc_lo, 0x3f2aaaab, v15
	s_delay_alu instid0(VALU_DEP_3) | instskip(NEXT) | instid1(VALU_DEP_1)
	v_frexp_exp_i32_f64_e32 v6, v[24:25]
	v_subrev_co_ci_u32_e64 v6, null, 0, v6, vcc_lo
	v_cmp_neq_f32_e32 vcc_lo, 0x7f800000, v20
	s_delay_alu instid0(VALU_DEP_2) | instskip(SKIP_1) | instid1(VALU_DEP_2)
	v_sub_nc_u32_e32 v15, 0, v6
	v_pk_add_f32 v[24:25], v[20:21], v[22:23] neg_lo:[0,1] neg_hi:[0,1]
	v_ldexp_f32 v21, v23, v15
	s_delay_alu instid0(VALU_DEP_2) | instskip(NEXT) | instid1(VALU_DEP_2)
	v_add_f32_e32 v22, 1.0, v25
	v_add_f32_e32 v25, 1.0, v21
	s_delay_alu instid0(VALU_DEP_1) | instskip(SKIP_1) | instid1(VALU_DEP_2)
	v_dual_add_f32 v23, -1.0, v25 :: v_dual_add_f32 v22, v24, v22
	v_add_f32_e32 v29, -1.0, v21
	v_ldexp_f32 v15, v22, v15
	s_delay_alu instid0(VALU_DEP_2) | instskip(NEXT) | instid1(VALU_DEP_1)
	v_dual_sub_f32 v22, v21, v23 :: v_dual_add_f32 v23, 1.0, v29
	v_add_f32_e32 v22, v15, v22
	s_delay_alu instid0(VALU_DEP_1) | instskip(NEXT) | instid1(VALU_DEP_1)
	v_add_f32_e32 v30, v25, v22
	v_dual_sub_f32 v21, v21, v23 :: v_dual_sub_f32 v25, v30, v25
	s_delay_alu instid0(VALU_DEP_1) | instskip(SKIP_1) | instid1(VALU_DEP_1)
	v_add_f32_e32 v15, v15, v21
	v_rcp_f32_e32 v21, v30
	v_dual_sub_f32 v32, v22, v25 :: v_dual_add_f32 v23, v29, v15
	s_delay_alu instid0(TRANS32_DEP_1) | instid1(VALU_DEP_1)
	v_mul_f32_e32 v31, v23, v21
	s_delay_alu instid0(VALU_DEP_1) | instskip(NEXT) | instid1(VALU_DEP_1)
	v_dual_sub_f32 v33, v23, v29 :: v_dual_mul_f32 v24, v30, v31
	v_sub_f32_e32 v15, v15, v33
	s_delay_alu instid0(VALU_DEP_2) | instskip(NEXT) | instid1(VALU_DEP_1)
	v_fma_f32 v28, v31, v30, -v24
	v_fmac_f32_e32 v28, v31, v32
	s_delay_alu instid0(VALU_DEP_1) | instskip(NEXT) | instid1(VALU_DEP_1)
	v_add_f32_e32 v22, v24, v28
	v_dual_sub_f32 v25, v23, v22 :: v_dual_mov_b32 v29, v22
	s_delay_alu instid0(VALU_DEP_1) | instskip(NEXT) | instid1(VALU_DEP_1)
	v_pk_add_f32 v[22:23], v[22:23], v[24:25] neg_lo:[0,1] neg_hi:[0,1]
	v_pk_add_f32 v[22:23], v[22:23], v[28:29] neg_lo:[0,1] neg_hi:[0,1]
	s_delay_alu instid0(VALU_DEP_1) | instskip(NEXT) | instid1(VALU_DEP_1)
	v_add_f32_e32 v15, v15, v23
	v_add_f32_e32 v15, v22, v15
	s_delay_alu instid0(VALU_DEP_1) | instskip(NEXT) | instid1(VALU_DEP_1)
	v_add_f32_e32 v23, v25, v15
	v_mul_f32_e32 v33, v21, v23
	s_delay_alu instid0(VALU_DEP_1) | instskip(NEXT) | instid1(VALU_DEP_1)
	v_mul_f32_e32 v28, v30, v33
	v_fma_f32 v24, v33, v30, -v28
	s_delay_alu instid0(VALU_DEP_1) | instskip(NEXT) | instid1(VALU_DEP_1)
	v_fmac_f32_e32 v24, v33, v32
	v_dual_add_f32 v22, v28, v24 :: v_dual_sub_f32 v30, v25, v23
	s_delay_alu instid0(VALU_DEP_1) | instskip(NEXT) | instid1(VALU_DEP_2)
	v_dual_mov_b32 v25, v22 :: v_dual_sub_f32 v29, v23, v22
	v_add_f32_e32 v15, v15, v30
	s_delay_alu instid0(VALU_DEP_2) | instskip(NEXT) | instid1(VALU_DEP_1)
	v_pk_add_f32 v[22:23], v[22:23], v[28:29] neg_lo:[0,1] neg_hi:[0,1]
	v_pk_add_f32 v[22:23], v[22:23], v[24:25] neg_lo:[0,1] neg_hi:[0,1]
	s_delay_alu instid0(VALU_DEP_1) | instskip(NEXT) | instid1(VALU_DEP_1)
	v_add_f32_e32 v15, v15, v23
	v_dual_add_f32 v30, v31, v33 :: v_dual_add_f32 v15, v22, v15
	s_delay_alu instid0(VALU_DEP_1) | instskip(NEXT) | instid1(VALU_DEP_2)
	v_sub_f32_e32 v22, v30, v31
	v_add_f32_e32 v15, v29, v15
	s_delay_alu instid0(VALU_DEP_2) | instskip(NEXT) | instid1(VALU_DEP_2)
	v_sub_f32_e32 v22, v33, v22
	v_mul_f32_e32 v15, v21, v15
	s_delay_alu instid0(VALU_DEP_1) | instskip(SKIP_1) | instid1(VALU_DEP_2)
	v_add_f32_e32 v21, v22, v15
	v_cvt_f32_i32_e32 v22, v6
	v_add_f32_e32 v31, v30, v21
	s_delay_alu instid0(VALU_DEP_1) | instskip(SKIP_1) | instid1(VALU_DEP_2)
	v_dual_mul_f32 v15, v31, v31 :: v_dual_sub_f32 v6, v31, v30
	v_ldexp_f32 v29, v31, 1
	v_dual_fmaak_f32 v24, s19, v15, 0x3ecc95a3 :: v_dual_mul_f32 v23, v31, v15
	s_delay_alu instid0(VALU_DEP_1) | instskip(NEXT) | instid1(VALU_DEP_1)
	v_dual_sub_f32 v6, v21, v6 :: v_dual_fmaak_f32 v15, v15, v24, 0x3f2aaada
	v_ldexp_f32 v6, v6, 1
	s_delay_alu instid0(VALU_DEP_2) | instskip(NEXT) | instid1(VALU_DEP_1)
	v_pk_mul_f32 v[24:25], v[22:23], v[14:15]
	v_fma_f32 v28, 0x3f317218, v22, -v24
	v_mov_b32_e32 v30, v24
	s_delay_alu instid0(VALU_DEP_2) | instskip(NEXT) | instid1(VALU_DEP_1)
	v_fmac_f32_e32 v28, 0xb102e308, v22
	v_pk_add_f32 v[22:23], v[24:25], v[28:29]
	s_delay_alu instid0(VALU_DEP_1) | instskip(NEXT) | instid1(VALU_DEP_1)
	v_dual_sub_f32 v15, v23, v29 :: v_dual_mov_b32 v29, v22
	v_dual_mov_b32 v38, v23 :: v_dual_sub_f32 v15, v25, v15
	v_pk_add_f32 v[24:25], v[22:23], v[24:25] neg_lo:[0,1] neg_hi:[0,1]
	s_delay_alu instid0(VALU_DEP_2) | instskip(SKIP_2) | instid1(VALU_DEP_3)
	v_add_f32_e32 v31, v6, v15
	v_max_num_f32_e64 v6, |v9|, |v9|
	v_max_num_f32_e64 v15, |v8|, |v8|
	v_pk_add_f32 v[32:33], v[22:23], v[30:31]
	s_delay_alu instid0(VALU_DEP_2) | instskip(NEXT) | instid1(VALU_DEP_2)
	v_dual_max_num_f32 v21, v15, v6 :: v_dual_min_num_f32 v15, v15, v6
	v_mov_b32_e32 v25, v33
	s_delay_alu instid0(VALU_DEP_2) | instskip(NEXT) | instid1(VALU_DEP_3)
	v_frexp_exp_i32_f32_e32 v30, v21
	v_frexp_mant_f32_e32 v40, v15
	v_frexp_mant_f32_e32 v21, v21
	s_delay_alu instid0(VALU_DEP_4) | instskip(SKIP_2) | instid1(VALU_DEP_4)
	v_pk_add_f32 v[34:35], v[28:29], v[24:25]
	v_frexp_exp_i32_f32_e32 v34, v15
	v_pk_add_f32 v[24:25], v[28:29], v[24:25] neg_lo:[0,1] neg_hi:[0,1]
	v_rcp_f32_e32 v21, v21
	s_delay_alu instid0(VALU_DEP_3) | instskip(NEXT) | instid1(VALU_DEP_1)
	v_mov_b32_e32 v6, v35
	v_pk_add_f32 v[36:37], v[6:7], v[22:23] neg_lo:[0,1] neg_hi:[0,1]
	v_dual_mov_b32 v34, v33 :: v_dual_sub_nc_u32 v37, v34, v30
	v_dual_mov_b32 v23, v22 :: v_dual_mov_b32 v22, v31
	s_delay_alu instid0(VALU_DEP_3) | instskip(NEXT) | instid1(VALU_DEP_1)
	v_dual_mov_b32 v39, v36 :: v_dual_mov_b32 v15, v36
	v_pk_add_f32 v[28:29], v[34:35], v[38:39] neg_lo:[0,1] neg_hi:[0,1]
	s_delay_alu instid0(VALU_DEP_2) | instskip(SKIP_1) | instid1(VALU_DEP_3)
	v_pk_add_f32 v[30:31], v[32:33], v[14:15] neg_lo:[0,1] neg_hi:[0,1]
	v_mov_b32_e32 v30, v24
	v_pk_add_f32 v[22:23], v[22:23], v[28:29] neg_lo:[0,1] neg_hi:[0,1]
	s_delay_alu instid0(VALU_DEP_1) | instskip(NEXT) | instid1(VALU_DEP_1)
	v_pk_add_f32 v[28:29], v[30:31], v[22:23]
	v_dual_mul_f32 v21, v40, v21 :: v_dual_mov_b32 v30, v29
	s_delay_alu instid0(VALU_DEP_1) | instskip(NEXT) | instid1(VALU_DEP_2)
	v_ldexp_f32 v15, v21, v37
	v_pk_add_f32 v[30:31], v[28:29], v[30:31]
	s_delay_alu instid0(VALU_DEP_1) | instskip(NEXT) | instid1(VALU_DEP_1)
	v_pk_add_f32 v[32:33], v[6:7], v[30:31]
	v_dual_mul_f32 v21, v15, v15 :: v_dual_mov_b32 v29, v32
	v_mov_b32_e32 v25, v35
	s_delay_alu instid0(VALU_DEP_1) | instskip(NEXT) | instid1(VALU_DEP_1)
	v_pk_add_f32 v[34:35], v[28:29], v[24:25] neg_lo:[0,1] neg_hi:[0,1]
	v_sub_f32_e32 v25, v28, v34
	s_delay_alu instid0(VALU_DEP_1) | instskip(SKIP_1) | instid1(VALU_DEP_1)
	v_sub_f32_e32 v24, v24, v25
	v_fmaak_f32 v23, s20, v21, 0xbc7a590c
	v_fmaak_f32 v23, v21, v23, 0x3d29fb3f
	s_delay_alu instid0(VALU_DEP_1) | instskip(NEXT) | instid1(VALU_DEP_1)
	v_dual_fmaak_f32 v6, v21, v23, 0xbd97d4d7 :: v_dual_mov_b32 v23, v30
	v_fmaak_f32 v6, v21, v6, 0x3dd931b2
	s_delay_alu instid0(VALU_DEP_2) | instskip(NEXT) | instid1(VALU_DEP_1)
	v_pk_add_f32 v[22:23], v[22:23], v[34:35] neg_lo:[0,1] neg_hi:[0,1]
	v_add_f32_e32 v22, v22, v24
	s_delay_alu instid0(VALU_DEP_3) | instskip(NEXT) | instid1(VALU_DEP_1)
	v_fmaak_f32 v6, v21, v6, 0xbe1160e6
	v_fmaak_f32 v6, v21, v6, 0x3e4cb8bf
	s_delay_alu instid0(VALU_DEP_1) | instskip(NEXT) | instid1(VALU_DEP_1)
	v_fmaak_f32 v6, v21, v6, 0xbeaaaa62
	v_dual_mul_f32 v6, v21, v6 :: v_dual_add_f32 v21, v22, v23
	s_delay_alu instid0(VALU_DEP_1) | instskip(NEXT) | instid1(VALU_DEP_1)
	v_dual_fmac_f32 v15, v15, v6 :: v_dual_add_f32 v6, v32, v21
	v_sub_f32_e32 v21, 0x3fc90fdb, v15
	s_delay_alu instid0(VALU_DEP_2) | instskip(SKIP_1) | instid1(VALU_DEP_3)
	v_cndmask_b32_e32 v6, 0x7f800000, v6, vcc_lo
	v_cmp_gt_i32_e32 vcc_lo, 0, v8
	v_cndmask_b32_e64 v15, v15, v21, s2
	v_cndmask_b32_e64 v21, 0, 0x40490fdb, vcc_lo
	v_cmp_ngt_f32_e32 vcc_lo, -1.0, v20
	s_delay_alu instid0(VALU_DEP_3) | instskip(SKIP_2) | instid1(VALU_DEP_2)
	v_sub_f32_e32 v22, 0x40490fdb, v15
	v_cndmask_b32_e32 v6, 0x7fc00000, v6, vcc_lo
	v_cmp_gt_f32_e32 vcc_lo, 0, v8
	v_cndmask_b32_e64 v6, 0xff800000, v6, s3
	s_delay_alu instid0(VALU_DEP_4)
	v_cndmask_b32_e32 v15, v15, v22, vcc_lo
	v_cndmask_b32_e32 v22, 0x3f490fdb, v26, vcc_lo
	v_cmp_gt_f32_e64 vcc_lo, 0x33800000, |v20|
	v_cmp_class_f32_e64 s3, v9, 0x204
	v_cndmask_b32_e32 v6, v6, v20, vcc_lo
	v_cmp_eq_f32_e32 vcc_lo, 0, v9
	s_delay_alu instid0(VALU_DEP_2) | instskip(SKIP_1) | instid1(VALU_DEP_1)
	v_dual_mul_f32 v6, 0.5, v6 :: v_dual_cndmask_b32 v15, v15, v21
	s_and_b32 vcc_lo, s5, s3
                                        ; implicit-def: $vgpr20_vgpr21
	v_cndmask_b32_e32 v28, v15, v22, vcc_lo
.LBB180_45:                             ;   in Loop: Header=BB180_5 Depth=1
	s_and_not1_saveexec_b32 s26, s4
	s_cbranch_execz .LBB180_53
; %bb.46:                               ;   in Loop: Header=BB180_5 Depth=1
	v_pk_mul_f32 v[22:23], v[20:21], v[20:21]
                                        ; implicit-def: $vgpr6
                                        ; implicit-def: $vgpr28
	s_mov_b32 s3, exec_lo
	s_delay_alu instid0(VALU_DEP_1) | instskip(NEXT) | instid1(VALU_DEP_1)
	v_add_f32_e32 v15, v23, v22
	v_cmpx_ge_f32_e32 0x3f333333, v15
	s_xor_b32 s4, exec_lo, s3
	s_cbranch_execz .LBB180_48
; %bb.47:                               ;   in Loop: Header=BB180_5 Depth=1
	v_max_num_f32_e64 v6, |v9|, |v9|
	v_max_num_f32_e64 v20, |v8|, |v8|
	v_cmp_gt_f32_e32 vcc_lo, 0x800000, v15
	v_cmp_gt_i32_e64 s3, 0, v8
	v_cmp_class_f32_e64 s5, v8, 0x204
	v_cmp_class_f32_e64 s6, v9, 0x204
	v_dual_max_num_f32 v21, v20, v6 :: v_dual_min_num_f32 v6, v20, v6
	v_cndmask_b32_e64 v23, 0, 0x41b17218, vcc_lo
	s_delay_alu instid0(VALU_DEP_2) | instskip(SKIP_1) | instid1(VALU_DEP_2)
	v_frexp_mant_f32_e32 v22, v21
	v_frexp_exp_i32_f32_e32 v20, v21
	v_rcp_f32_e32 v21, v22
	v_nop
	v_frexp_exp_i32_f32_e32 v22, v6
	v_frexp_mant_f32_e32 v6, v6
	s_delay_alu instid0(VALU_DEP_2)
	v_sub_nc_u32_e32 v20, v22, v20
	s_delay_alu instid0(TRANS32_DEP_1) | instid1(VALU_DEP_2)
	v_mul_f32_e32 v6, v6, v21
	v_cndmask_b32_e64 v22, 0, 32, vcc_lo
	s_delay_alu instid0(VALU_DEP_2) | instskip(NEXT) | instid1(VALU_DEP_2)
	v_ldexp_f32 v6, v6, v20
	v_ldexp_f32 v15, v15, v22
	s_delay_alu instid0(VALU_DEP_2) | instskip(NEXT) | instid1(VALU_DEP_2)
	v_mul_f32_e32 v20, v6, v6
	v_log_f32_e32 v15, v15
	s_delay_alu instid0(VALU_DEP_1) | instskip(NEXT) | instid1(TRANS32_DEP_1)
	v_fmaak_f32 v21, s20, v20, 0xbc7a590c
	v_cmp_gt_f32_e64 vcc_lo, 0x7f800000, |v15|
	s_delay_alu instid0(VALU_DEP_2) | instskip(NEXT) | instid1(VALU_DEP_1)
	v_fmaak_f32 v21, v20, v21, 0x3d29fb3f
	v_fmaak_f32 v21, v20, v21, 0xbd97d4d7
	s_delay_alu instid0(VALU_DEP_1) | instskip(NEXT) | instid1(VALU_DEP_1)
	v_fmaak_f32 v21, v20, v21, 0x3dd931b2
	v_fmaak_f32 v21, v20, v21, 0xbe1160e6
	s_delay_alu instid0(VALU_DEP_1) | instskip(NEXT) | instid1(VALU_DEP_1)
	;; [unrolled: 3-line block ×3, first 2 shown]
	v_dual_mul_f32 v20, v20, v21 :: v_dual_mul_f32 v21, 0x3f317217, v15
	v_fmac_f32_e32 v6, v6, v20
	s_delay_alu instid0(VALU_DEP_2) | instskip(NEXT) | instid1(VALU_DEP_2)
	v_fma_f32 v20, 0x3f317217, v15, -v21
	v_sub_f32_e32 v21, 0x3fc90fdb, v6
	s_delay_alu instid0(VALU_DEP_2) | instskip(NEXT) | instid1(VALU_DEP_2)
	v_fmac_f32_e32 v20, 0x3377d1cf, v15
	v_cndmask_b32_e64 v6, v6, v21, s2
	s_delay_alu instid0(VALU_DEP_2) | instskip(SKIP_2) | instid1(VALU_DEP_3)
	v_fmac_f32_e32 v20, 0x3f317217, v15
	v_cndmask_b32_e64 v21, 0, 0x40490fdb, s3
	v_cmp_eq_f32_e64 s3, 0, v9
	v_dual_sub_f32 v22, 0x40490fdb, v6 :: v_dual_cndmask_b32 v15, v15, v20
	v_cmp_gt_f32_e32 vcc_lo, 0, v8
	s_delay_alu instid0(VALU_DEP_2) | instskip(NEXT) | instid1(VALU_DEP_1)
	v_dual_cndmask_b32 v6, v6, v22 :: v_dual_sub_f32 v15, v15, v23
	v_cndmask_b32_e64 v20, v6, v21, s3
	v_cndmask_b32_e32 v21, 0x3f490fdb, v26, vcc_lo
	s_and_b32 vcc_lo, s5, s6
	s_delay_alu instid0(VALU_DEP_1) | instid1(SALU_CYCLE_1)
	v_dual_mul_f32 v6, 0.5, v15 :: v_dual_cndmask_b32 v28, v20, v21, vcc_lo
                                        ; implicit-def: $vgpr20
.LBB180_48:                             ;   in Loop: Header=BB180_5 Depth=1
	s_and_not1_saveexec_b32 s27, s4
	s_cbranch_execz .LBB180_52
; %bb.49:                               ;   in Loop: Header=BB180_5 Depth=1
	v_and_b32_e32 v23, 0x7fff0000, v20
	v_and_b32_e32 v22, 0x7fff0000, v21
	s_mov_b32 s28, 0
	s_delay_alu instid0(VALU_DEP_1) | instskip(SKIP_2) | instid1(VALU_DEP_2)
	v_dual_add_f32 v32, v23, v23 :: v_dual_add_f32 v15, v22, v22
	v_pk_add_f32 v[24:25], v[20:21], v[22:23] op_sel:[1,0] op_sel_hi:[0,1] neg_lo:[0,1] neg_hi:[0,1]
	v_pk_mul_f32 v[20:21], v[22:23], v[22:23]
	v_and_b32_e32 v31, 0xffff0000, v25
	s_delay_alu instid0(VALU_DEP_3) | instskip(NEXT) | instid1(VALU_DEP_1)
	v_and_b32_e32 v30, 0xffff0000, v24
	v_dual_add_f32 v34, v31, v31 :: v_dual_add_f32 v33, v30, v30
	v_pk_add_f32 v[22:23], v[24:25], v[30:31] neg_lo:[0,1] neg_hi:[0,1]
	v_dual_mul_f32 v6, v15, v30 :: v_dual_mul_f32 v29, v32, v31
	v_pk_mul_f32 v[24:25], v[30:31], v[30:31]
	s_delay_alu instid0(VALU_DEP_3)
	v_dual_mul_f32 v28, v15, v22 :: v_dual_mul_f32 v31, v32, v23
	v_dual_mul_f32 v15, v33, v22 :: v_dual_mul_f32 v30, v34, v23
	v_pk_mul_f32 v[22:23], v[22:23], v[22:23]
.LBB180_50:                             ;   Parent Loop BB180_5 Depth=1
                                        ; =>  This Inner Loop Header: Depth=2
	v_cmp_nlt_f32_e32 vcc_lo, v20, v21
	v_dual_cndmask_b32 v32, v20, v21, vcc_lo :: v_dual_cndmask_b32 v20, v21, v20, vcc_lo
	s_delay_alu instid0(VALU_DEP_1) | instskip(NEXT) | instid1(VALU_DEP_1)
	v_cmp_nlt_f32_e64 s3, v32, v6
	v_dual_cndmask_b32 v33, v32, v6, s3 :: v_dual_cndmask_b32 v21, v6, v32, s3
	s_and_b32 s3, vcc_lo, s3
	s_delay_alu instid0(VALU_DEP_1) | instskip(NEXT) | instid1(VALU_DEP_1)
	v_cmp_nlt_f32_e64 s4, v33, v29
	v_cndmask_b32_e64 v34, v33, v29, s4
	v_cndmask_b32_e64 v6, v29, v33, s4
	s_delay_alu instid0(VALU_DEP_2) | instskip(NEXT) | instid1(VALU_DEP_1)
	v_cmp_nlt_f32_e64 s5, v34, v24
	v_cndmask_b32_e64 v32, v34, v24, s5
	s_and_b32 s29, s4, s5
	s_delay_alu instid0(VALU_DEP_1) | instskip(NEXT) | instid1(VALU_DEP_1)
	v_cmp_nlt_f32_e64 s6, v32, v25
	v_cndmask_b32_e64 v33, v32, v25, s6
	s_delay_alu instid0(VALU_DEP_1) | instskip(NEXT) | instid1(VALU_DEP_1)
	v_cmp_nlt_f32_e64 s7, v33, v28
	v_dual_cndmask_b32 v35, v33, v28, s7 :: v_dual_cndmask_b32 v29, v24, v34, s5
	v_cndmask_b32_e64 v24, v25, v32, s6
	s_and_b32 s6, s6, s7
	s_delay_alu instid0(VALU_DEP_2) | instskip(NEXT) | instid1(VALU_DEP_1)
	v_cmp_nlt_f32_e64 s8, v35, v31
	v_dual_cndmask_b32 v36, v35, v31, s8 :: v_dual_cndmask_b32 v25, v28, v33, s7
	v_cndmask_b32_e64 v28, v31, v35, s8
	s_and_b32 s6, s6, s8
	s_delay_alu instid0(VALU_DEP_2) | instskip(NEXT) | instid1(VALU_DEP_1)
	v_cmp_nlt_f32_e64 s9, v36, v15
	v_dual_cndmask_b32 v34, v36, v15, s9 :: v_dual_cndmask_b32 v31, v15, v36, s9
	s_and_b32 s7, s6, s9
	s_delay_alu instid0(VALU_DEP_1) | instskip(NEXT) | instid1(VALU_DEP_1)
	v_cmp_nlt_f32_e64 s4, v34, v30
	v_cndmask_b32_e64 v32, v34, v30, s4
	s_delay_alu instid0(VALU_DEP_1) | instskip(NEXT) | instid1(VALU_DEP_1)
	v_cmp_nlt_f32_e64 s5, v32, v22
	v_cndmask_b32_e64 v33, v32, v22, s5
	v_cndmask_b32_e64 v15, v30, v34, s4
	;; [unrolled: 1-line block ×3, first 2 shown]
	s_and_b32 s4, s7, s4
	s_delay_alu instid0(SALU_CYCLE_1)
	s_and_b32 s4, s4, s5
	v_cmp_nlt_f32_e64 s6, v33, v23
	s_and_b32 s4, s4, s6
	v_cndmask_b32_e64 v22, v23, v33, s6
	s_and_b32 s4, s4, s29
	v_cndmask_b32_e64 v23, v33, v23, s6
	s_and_b32 s3, s4, s3
	s_delay_alu instid0(SALU_CYCLE_1) | instskip(NEXT) | instid1(SALU_CYCLE_1)
	s_and_b32 s3, exec_lo, s3
	s_or_b32 s28, s3, s28
	s_delay_alu instid0(SALU_CYCLE_1)
	s_and_not1_b32 exec_lo, exec_lo, s28
	s_cbranch_execnz .LBB180_50
; %bb.51:                               ;   in Loop: Header=BB180_5 Depth=1
	s_or_b32 exec_lo, exec_lo, s28
	v_add_f32_e32 v20, -1.0, v20
	v_cmp_class_f32_e64 s4, v8, 0x204
	s_delay_alu instid0(VALU_DEP_2) | instskip(NEXT) | instid1(VALU_DEP_1)
	v_add_f32_e32 v20, v20, v21
	v_add_f32_e32 v6, v20, v6
	s_delay_alu instid0(VALU_DEP_1) | instskip(NEXT) | instid1(VALU_DEP_1)
	v_add_f32_e32 v6, v6, v29
	v_add_f32_e32 v6, v6, v24
	s_delay_alu instid0(VALU_DEP_1) | instskip(NEXT) | instid1(VALU_DEP_1)
	;; [unrolled: 3-line block ×5, first 2 shown]
	v_add_f32_e32 v20, v23, v6
	v_add_f32_e32 v23, 1.0, v20
	s_delay_alu instid0(VALU_DEP_1) | instskip(SKIP_2) | instid1(VALU_DEP_2)
	v_cvt_f64_f32_e32 v[24:25], v23
	v_frexp_mant_f32_e32 v15, v23
	v_add_f32_e32 v21, -1.0, v23
	v_cmp_gt_f32_e32 vcc_lo, 0x3f2aaaab, v15
	s_delay_alu instid0(VALU_DEP_2) | instskip(SKIP_1) | instid1(VALU_DEP_1)
	v_mov_b32_e32 v22, v21
	v_frexp_exp_i32_f64_e32 v6, v[24:25]
	v_subrev_co_ci_u32_e64 v6, null, 0, v6, vcc_lo
	s_delay_alu instid0(VALU_DEP_1) | instskip(NEXT) | instid1(VALU_DEP_4)
	v_sub_nc_u32_e32 v15, 0, v6
	v_pk_add_f32 v[24:25], v[20:21], v[22:23] neg_lo:[0,1] neg_hi:[0,1]
	v_cmp_neq_f32_e32 vcc_lo, 0x7f800000, v20
	v_cmp_neq_f32_e64 s3, -1.0, v20
	s_delay_alu instid0(VALU_DEP_4) | instskip(NEXT) | instid1(VALU_DEP_4)
	v_ldexp_f32 v21, v23, v15
	v_add_f32_e32 v22, 1.0, v25
	s_delay_alu instid0(VALU_DEP_1) | instskip(NEXT) | instid1(VALU_DEP_1)
	v_dual_add_f32 v25, 1.0, v21 :: v_dual_add_f32 v22, v24, v22
	v_add_f32_e32 v23, -1.0, v25
	v_add_f32_e32 v29, -1.0, v21
	s_delay_alu instid0(VALU_DEP_3) | instskip(NEXT) | instid1(VALU_DEP_2)
	v_ldexp_f32 v15, v22, v15
	v_dual_sub_f32 v22, v21, v23 :: v_dual_add_f32 v23, 1.0, v29
	s_delay_alu instid0(VALU_DEP_1) | instskip(NEXT) | instid1(VALU_DEP_1)
	v_add_f32_e32 v22, v15, v22
	v_add_f32_e32 v30, v25, v22
	s_delay_alu instid0(VALU_DEP_1) | instskip(NEXT) | instid1(VALU_DEP_1)
	v_dual_sub_f32 v21, v21, v23 :: v_dual_sub_f32 v25, v30, v25
	v_add_f32_e32 v15, v15, v21
	v_rcp_f32_e32 v21, v30
	s_delay_alu instid0(VALU_DEP_1)
	v_dual_sub_f32 v32, v22, v25 :: v_dual_add_f32 v23, v29, v15
	s_delay_alu instid0(TRANS32_DEP_1) | instid1(VALU_DEP_1)
	v_mul_f32_e32 v31, v23, v21
	s_delay_alu instid0(VALU_DEP_1) | instskip(NEXT) | instid1(VALU_DEP_1)
	v_dual_sub_f32 v33, v23, v29 :: v_dual_mul_f32 v24, v30, v31
	v_sub_f32_e32 v15, v15, v33
	s_delay_alu instid0(VALU_DEP_2) | instskip(NEXT) | instid1(VALU_DEP_1)
	v_fma_f32 v28, v31, v30, -v24
	v_fmac_f32_e32 v28, v31, v32
	s_delay_alu instid0(VALU_DEP_1) | instskip(NEXT) | instid1(VALU_DEP_1)
	v_add_f32_e32 v22, v24, v28
	v_dual_sub_f32 v25, v23, v22 :: v_dual_mov_b32 v29, v22
	s_delay_alu instid0(VALU_DEP_1) | instskip(NEXT) | instid1(VALU_DEP_1)
	v_pk_add_f32 v[22:23], v[22:23], v[24:25] neg_lo:[0,1] neg_hi:[0,1]
	v_pk_add_f32 v[22:23], v[22:23], v[28:29] neg_lo:[0,1] neg_hi:[0,1]
	s_delay_alu instid0(VALU_DEP_1) | instskip(NEXT) | instid1(VALU_DEP_1)
	v_add_f32_e32 v15, v15, v23
	v_add_f32_e32 v15, v22, v15
	s_delay_alu instid0(VALU_DEP_1) | instskip(NEXT) | instid1(VALU_DEP_1)
	v_add_f32_e32 v23, v25, v15
	v_mul_f32_e32 v33, v21, v23
	s_delay_alu instid0(VALU_DEP_1) | instskip(NEXT) | instid1(VALU_DEP_1)
	v_mul_f32_e32 v28, v30, v33
	v_fma_f32 v24, v33, v30, -v28
	s_delay_alu instid0(VALU_DEP_1) | instskip(NEXT) | instid1(VALU_DEP_1)
	v_fmac_f32_e32 v24, v33, v32
	v_dual_add_f32 v22, v28, v24 :: v_dual_sub_f32 v30, v25, v23
	s_delay_alu instid0(VALU_DEP_1) | instskip(NEXT) | instid1(VALU_DEP_2)
	v_dual_mov_b32 v25, v22 :: v_dual_sub_f32 v29, v23, v22
	v_add_f32_e32 v15, v15, v30
	s_delay_alu instid0(VALU_DEP_2) | instskip(NEXT) | instid1(VALU_DEP_1)
	v_pk_add_f32 v[22:23], v[22:23], v[28:29] neg_lo:[0,1] neg_hi:[0,1]
	v_pk_add_f32 v[22:23], v[22:23], v[24:25] neg_lo:[0,1] neg_hi:[0,1]
	s_delay_alu instid0(VALU_DEP_1) | instskip(NEXT) | instid1(VALU_DEP_1)
	v_add_f32_e32 v15, v15, v23
	v_dual_add_f32 v30, v31, v33 :: v_dual_add_f32 v15, v22, v15
	s_delay_alu instid0(VALU_DEP_1) | instskip(NEXT) | instid1(VALU_DEP_2)
	v_sub_f32_e32 v22, v30, v31
	v_add_f32_e32 v15, v29, v15
	s_delay_alu instid0(VALU_DEP_2) | instskip(NEXT) | instid1(VALU_DEP_2)
	v_sub_f32_e32 v22, v33, v22
	v_mul_f32_e32 v15, v21, v15
	s_delay_alu instid0(VALU_DEP_1) | instskip(SKIP_1) | instid1(VALU_DEP_2)
	v_add_f32_e32 v21, v22, v15
	v_cvt_f32_i32_e32 v22, v6
	v_add_f32_e32 v31, v30, v21
	s_delay_alu instid0(VALU_DEP_1) | instskip(SKIP_1) | instid1(VALU_DEP_2)
	v_dual_mul_f32 v15, v31, v31 :: v_dual_sub_f32 v6, v31, v30
	v_ldexp_f32 v29, v31, 1
	v_dual_fmaak_f32 v24, s19, v15, 0x3ecc95a3 :: v_dual_mul_f32 v23, v31, v15
	s_delay_alu instid0(VALU_DEP_1) | instskip(NEXT) | instid1(VALU_DEP_1)
	v_dual_sub_f32 v6, v21, v6 :: v_dual_fmaak_f32 v15, v15, v24, 0x3f2aaada
	v_ldexp_f32 v6, v6, 1
	s_delay_alu instid0(VALU_DEP_2) | instskip(NEXT) | instid1(VALU_DEP_1)
	v_pk_mul_f32 v[24:25], v[22:23], v[14:15]
	v_fma_f32 v28, 0x3f317218, v22, -v24
	v_mov_b32_e32 v30, v24
	s_delay_alu instid0(VALU_DEP_2) | instskip(NEXT) | instid1(VALU_DEP_1)
	v_fmac_f32_e32 v28, 0xb102e308, v22
	v_pk_add_f32 v[22:23], v[24:25], v[28:29]
	s_delay_alu instid0(VALU_DEP_1) | instskip(NEXT) | instid1(VALU_DEP_1)
	v_dual_sub_f32 v15, v23, v29 :: v_dual_mov_b32 v29, v22
	v_dual_mov_b32 v38, v23 :: v_dual_sub_f32 v15, v25, v15
	v_pk_add_f32 v[24:25], v[22:23], v[24:25] neg_lo:[0,1] neg_hi:[0,1]
	s_delay_alu instid0(VALU_DEP_2) | instskip(SKIP_2) | instid1(VALU_DEP_3)
	v_add_f32_e32 v31, v6, v15
	v_max_num_f32_e64 v6, |v9|, |v9|
	v_max_num_f32_e64 v15, |v8|, |v8|
	v_pk_add_f32 v[32:33], v[22:23], v[30:31]
	s_delay_alu instid0(VALU_DEP_2) | instskip(NEXT) | instid1(VALU_DEP_2)
	v_dual_max_num_f32 v21, v15, v6 :: v_dual_min_num_f32 v15, v15, v6
	v_mov_b32_e32 v25, v33
	s_delay_alu instid0(VALU_DEP_2) | instskip(NEXT) | instid1(VALU_DEP_3)
	v_frexp_exp_i32_f32_e32 v30, v21
	v_frexp_mant_f32_e32 v40, v15
	v_frexp_mant_f32_e32 v21, v21
	s_delay_alu instid0(VALU_DEP_4) | instskip(SKIP_2) | instid1(VALU_DEP_4)
	v_pk_add_f32 v[34:35], v[28:29], v[24:25]
	v_frexp_exp_i32_f32_e32 v34, v15
	v_pk_add_f32 v[24:25], v[28:29], v[24:25] neg_lo:[0,1] neg_hi:[0,1]
	v_rcp_f32_e32 v21, v21
	s_delay_alu instid0(VALU_DEP_3) | instskip(NEXT) | instid1(VALU_DEP_1)
	v_mov_b32_e32 v6, v35
	v_pk_add_f32 v[36:37], v[6:7], v[22:23] neg_lo:[0,1] neg_hi:[0,1]
	v_dual_mov_b32 v34, v33 :: v_dual_sub_nc_u32 v37, v34, v30
	v_dual_mov_b32 v23, v22 :: v_dual_mov_b32 v22, v31
	s_delay_alu instid0(VALU_DEP_3) | instskip(NEXT) | instid1(VALU_DEP_1)
	v_dual_mov_b32 v39, v36 :: v_dual_mov_b32 v15, v36
	v_pk_add_f32 v[28:29], v[34:35], v[38:39] neg_lo:[0,1] neg_hi:[0,1]
	s_delay_alu instid0(VALU_DEP_2) | instskip(SKIP_1) | instid1(VALU_DEP_3)
	v_pk_add_f32 v[30:31], v[32:33], v[14:15] neg_lo:[0,1] neg_hi:[0,1]
	v_mov_b32_e32 v30, v24
	v_pk_add_f32 v[22:23], v[22:23], v[28:29] neg_lo:[0,1] neg_hi:[0,1]
	s_delay_alu instid0(VALU_DEP_1) | instskip(NEXT) | instid1(VALU_DEP_1)
	v_pk_add_f32 v[28:29], v[30:31], v[22:23]
	v_dual_mul_f32 v21, v40, v21 :: v_dual_mov_b32 v30, v29
	s_delay_alu instid0(VALU_DEP_1) | instskip(NEXT) | instid1(VALU_DEP_2)
	v_ldexp_f32 v15, v21, v37
	v_pk_add_f32 v[30:31], v[28:29], v[30:31]
	s_delay_alu instid0(VALU_DEP_1) | instskip(NEXT) | instid1(VALU_DEP_1)
	v_pk_add_f32 v[32:33], v[6:7], v[30:31]
	v_dual_mul_f32 v21, v15, v15 :: v_dual_mov_b32 v29, v32
	v_mov_b32_e32 v25, v35
	s_delay_alu instid0(VALU_DEP_1) | instskip(NEXT) | instid1(VALU_DEP_1)
	v_pk_add_f32 v[34:35], v[28:29], v[24:25] neg_lo:[0,1] neg_hi:[0,1]
	v_sub_f32_e32 v25, v28, v34
	s_delay_alu instid0(VALU_DEP_1) | instskip(SKIP_1) | instid1(VALU_DEP_1)
	v_sub_f32_e32 v24, v24, v25
	v_fmaak_f32 v23, s20, v21, 0xbc7a590c
	v_fmaak_f32 v23, v21, v23, 0x3d29fb3f
	s_delay_alu instid0(VALU_DEP_1) | instskip(NEXT) | instid1(VALU_DEP_1)
	v_dual_fmaak_f32 v6, v21, v23, 0xbd97d4d7 :: v_dual_mov_b32 v23, v30
	v_fmaak_f32 v6, v21, v6, 0x3dd931b2
	s_delay_alu instid0(VALU_DEP_2) | instskip(NEXT) | instid1(VALU_DEP_1)
	v_pk_add_f32 v[22:23], v[22:23], v[34:35] neg_lo:[0,1] neg_hi:[0,1]
	v_add_f32_e32 v22, v22, v24
	s_delay_alu instid0(VALU_DEP_3) | instskip(NEXT) | instid1(VALU_DEP_1)
	v_fmaak_f32 v6, v21, v6, 0xbe1160e6
	v_fmaak_f32 v6, v21, v6, 0x3e4cb8bf
	s_delay_alu instid0(VALU_DEP_1) | instskip(NEXT) | instid1(VALU_DEP_1)
	v_fmaak_f32 v6, v21, v6, 0xbeaaaa62
	v_dual_mul_f32 v6, v21, v6 :: v_dual_add_f32 v21, v22, v23
	s_delay_alu instid0(VALU_DEP_1) | instskip(NEXT) | instid1(VALU_DEP_1)
	v_dual_fmac_f32 v15, v15, v6 :: v_dual_add_f32 v6, v32, v21
	v_sub_f32_e32 v21, 0x3fc90fdb, v15
	s_delay_alu instid0(VALU_DEP_2) | instskip(SKIP_1) | instid1(VALU_DEP_3)
	v_cndmask_b32_e32 v6, 0x7f800000, v6, vcc_lo
	v_cmp_gt_i32_e32 vcc_lo, 0, v8
	v_cndmask_b32_e64 v15, v15, v21, s2
	v_cndmask_b32_e64 v21, 0, 0x40490fdb, vcc_lo
	v_cmp_ngt_f32_e32 vcc_lo, -1.0, v20
	s_delay_alu instid0(VALU_DEP_3) | instskip(SKIP_2) | instid1(VALU_DEP_2)
	v_sub_f32_e32 v22, 0x40490fdb, v15
	v_cndmask_b32_e32 v6, 0x7fc00000, v6, vcc_lo
	v_cmp_gt_f32_e32 vcc_lo, 0, v8
	v_cndmask_b32_e64 v6, 0xff800000, v6, s3
	s_delay_alu instid0(VALU_DEP_4)
	v_cndmask_b32_e32 v15, v15, v22, vcc_lo
	v_cndmask_b32_e32 v22, 0x3f490fdb, v26, vcc_lo
	v_cmp_gt_f32_e64 vcc_lo, 0x33800000, |v20|
	v_cmp_class_f32_e64 s3, v9, 0x204
	v_cndmask_b32_e32 v6, v6, v20, vcc_lo
	v_cmp_eq_f32_e32 vcc_lo, 0, v9
	s_delay_alu instid0(VALU_DEP_2) | instskip(SKIP_1) | instid1(VALU_DEP_1)
	v_dual_mul_f32 v6, 0.5, v6 :: v_dual_cndmask_b32 v15, v15, v21
	s_and_b32 vcc_lo, s4, s3
	v_cndmask_b32_e32 v28, v15, v22, vcc_lo
.LBB180_52:                             ;   in Loop: Header=BB180_5 Depth=1
	s_or_b32 exec_lo, exec_lo, s27
.LBB180_53:                             ;   in Loop: Header=BB180_5 Depth=1
	s_delay_alu instid0(SALU_CYCLE_1)
	s_or_b32 exec_lo, exec_lo, s26
.LBB180_54:                             ;   in Loop: Header=BB180_5 Depth=1
	s_and_not1_saveexec_b32 s4, s25
	s_cbranch_execz .LBB180_56
; %bb.55:                               ;   in Loop: Header=BB180_5 Depth=1
	v_max_num_f32_e64 v6, |v9|, |v9|
	v_max_num_f32_e64 v15, |v8|, |v8|
	v_cmp_gt_i32_e64 s3, 0, v8
	v_cmp_class_f32_e64 s5, v8, 0x204
	v_cmp_class_f32_e64 s6, v9, 0x204
	s_delay_alu instid0(VALU_DEP_4) | instskip(NEXT) | instid1(VALU_DEP_1)
	v_dual_max_num_f32 v22, v15, v6 :: v_dual_min_num_f32 v6, v15, v6
	v_cvt_f64_f32_e32 v[20:21], v22
	v_frexp_exp_i32_f32_e32 v15, v22
	s_delay_alu instid0(VALU_DEP_3) | instskip(SKIP_4) | instid1(VALU_DEP_1)
	v_frexp_exp_i32_f32_e32 v23, v6
	v_frexp_mant_f32_e32 v6, v6
	v_cmp_neq_f32_e32 vcc_lo, 0x7f800000, v22
	v_frexp_exp_i32_f64_e32 v20, v[20:21]
	v_frexp_mant_f32_e32 v21, v22
	v_rcp_f32_e32 v21, v21
	v_nop
	s_delay_alu instid0(TRANS32_DEP_1) | instskip(NEXT) | instid1(VALU_DEP_1)
	v_dual_mul_f32 v6, v6, v21 :: v_dual_sub_nc_u32 v15, v23, v15
	v_ldexp_f32 v6, v6, v15
	s_delay_alu instid0(VALU_DEP_1) | instskip(NEXT) | instid1(VALU_DEP_1)
	v_dual_mul_f32 v21, v6, v6 :: v_dual_sub_nc_u32 v15, 0, v20
	v_ldexp_f32 v23, |v9|, v15
	s_delay_alu instid0(VALU_DEP_2) | instskip(SKIP_1) | instid1(VALU_DEP_2)
	v_fmaak_f32 v24, s20, v21, 0xbc7a590c
	v_ldexp_f32 v15, |v8|, v15
	v_dual_mul_f32 v23, v23, v23 :: v_dual_fmaak_f32 v24, v21, v24, 0x3d29fb3f
	s_delay_alu instid0(VALU_DEP_1) | instskip(NEXT) | instid1(VALU_DEP_2)
	v_fmac_f32_e32 v23, v15, v15
	v_fmaak_f32 v15, v21, v24, 0xbd97d4d7
	s_delay_alu instid0(VALU_DEP_2) | instskip(NEXT) | instid1(VALU_DEP_1)
	v_sqrt_f32_e32 v23, v23
	v_fmaak_f32 v15, v21, v15, 0x3dd931b2
	s_delay_alu instid0(VALU_DEP_1) | instskip(NEXT) | instid1(TRANS32_DEP_1)
	v_fmaak_f32 v15, v21, v15, 0xbe1160e6
	v_ldexp_f32 v20, v23, v20
	s_delay_alu instid0(VALU_DEP_2) | instskip(NEXT) | instid1(VALU_DEP_1)
	v_fmaak_f32 v15, v21, v15, 0x3e4cb8bf
	v_fmaak_f32 v15, v21, v15, 0xbeaaaa62
	s_delay_alu instid0(VALU_DEP_1) | instskip(NEXT) | instid1(VALU_DEP_1)
	v_dual_cndmask_b32 v20, 0x7f800000, v20 :: v_dual_mul_f32 v15, v21, v15
	v_cmp_gt_f32_e32 vcc_lo, 0x800000, v20
	v_cndmask_b32_e64 v22, 0, 32, vcc_lo
	v_cndmask_b32_e64 v23, 0, 0x41b17218, vcc_lo
	s_delay_alu instid0(VALU_DEP_2) | instskip(NEXT) | instid1(VALU_DEP_1)
	v_ldexp_f32 v20, v20, v22
	v_log_f32_e32 v20, v20
	v_nop
	s_delay_alu instid0(TRANS32_DEP_1) | instskip(SKIP_1) | instid1(VALU_DEP_2)
	v_dual_fmac_f32 v6, v6, v15 :: v_dual_mul_f32 v15, 0x3f317217, v20
	v_cmp_gt_f32_e64 vcc_lo, 0x7f800000, |v20|
	v_fma_f32 v15, 0x3f317217, v20, -v15
	s_delay_alu instid0(VALU_DEP_1) | instskip(NEXT) | instid1(VALU_DEP_1)
	v_fmac_f32_e32 v15, 0x3377d1cf, v20
	v_fmac_f32_e32 v15, 0x3f317217, v20
	s_delay_alu instid0(VALU_DEP_1) | instskip(SKIP_2) | instid1(VALU_DEP_2)
	v_cndmask_b32_e32 v15, v20, v15, vcc_lo
	v_sub_f32_e32 v21, 0x3fc90fdb, v6
	v_cmp_eq_f32_e32 vcc_lo, 0, v9
	v_cndmask_b32_e64 v6, v6, v21, s2
	v_cndmask_b32_e64 v21, 0, 0x40490fdb, s3
	v_cmp_gt_f32_e64 s3, 0, v8
	s_delay_alu instid0(VALU_DEP_3) | instskip(NEXT) | instid1(VALU_DEP_1)
	v_sub_f32_e32 v22, 0x40490fdb, v6
	v_cndmask_b32_e64 v6, v6, v22, s3
	v_cndmask_b32_e64 v22, 0x3f490fdb, v26, s3
	s_delay_alu instid0(VALU_DEP_2)
	v_cndmask_b32_e32 v20, v6, v21, vcc_lo
	s_and_b32 vcc_lo, s5, s6
	s_delay_alu instid0(VALU_DEP_1) | instid1(SALU_CYCLE_1)
	v_dual_sub_f32 v6, v15, v23 :: v_dual_cndmask_b32 v28, v20, v22, vcc_lo
.LBB180_56:                             ;   in Loop: Header=BB180_5 Depth=1
	s_or_b32 exec_lo, exec_lo, s4
                                        ; implicit-def: $vgpr20
.LBB180_57:                             ;   in Loop: Header=BB180_5 Depth=1
	s_and_not1_saveexec_b32 s4, s24
	s_cbranch_execz .LBB180_63
; %bb.58:                               ;   in Loop: Header=BB180_5 Depth=1
                                        ; implicit-def: $vgpr6
                                        ; implicit-def: $vgpr28
	s_mov_b32 s3, exec_lo
	v_cmpx_ngt_f32_e32 0x1fec1e4a, v20
	s_xor_b32 s5, exec_lo, s3
	s_cbranch_execz .LBB180_60
; %bb.59:                               ;   in Loop: Header=BB180_5 Depth=1
	v_pk_mul_f32 v[20:21], v[20:21], v[20:21]
	v_max_num_f32_e64 v34, |v8|, |v8|
	v_cmp_class_f32_e64 s6, v8, 0x204
	s_delay_alu instid0(VALU_DEP_3) | instskip(SKIP_1) | instid1(VALU_DEP_2)
	v_add_f32_e32 v23, 1.0, v20
	v_cmp_neq_f32_e64 s3, 0x7f800000, v20
	v_add_f32_e32 v21, -1.0, v23
	s_delay_alu instid0(VALU_DEP_1) | instskip(SKIP_2) | instid1(VALU_DEP_1)
	v_mov_b32_e32 v22, v21
	v_cvt_f64_f32_e32 v[24:25], v23
	v_frexp_mant_f32_e32 v15, v23
	v_cmp_gt_f32_e32 vcc_lo, 0x3f2aaaab, v15
	s_delay_alu instid0(VALU_DEP_3) | instskip(NEXT) | instid1(VALU_DEP_1)
	v_frexp_exp_i32_f64_e32 v6, v[24:25]
	v_subrev_co_ci_u32_e64 v6, null, 0, v6, vcc_lo
	v_cmp_gt_i32_e32 vcc_lo, 0, v8
	s_delay_alu instid0(VALU_DEP_2) | instskip(SKIP_1) | instid1(VALU_DEP_2)
	v_sub_nc_u32_e32 v15, 0, v6
	v_pk_add_f32 v[24:25], v[20:21], v[22:23] neg_lo:[0,1] neg_hi:[0,1]
	v_ldexp_f32 v21, v23, v15
	s_delay_alu instid0(VALU_DEP_2) | instskip(NEXT) | instid1(VALU_DEP_2)
	v_add_f32_e32 v22, 1.0, v25
	v_add_f32_e32 v25, 1.0, v21
	s_delay_alu instid0(VALU_DEP_1) | instskip(SKIP_1) | instid1(VALU_DEP_2)
	v_dual_add_f32 v23, -1.0, v25 :: v_dual_add_f32 v22, v24, v22
	v_add_f32_e32 v29, -1.0, v21
	v_ldexp_f32 v15, v22, v15
	s_delay_alu instid0(VALU_DEP_2) | instskip(NEXT) | instid1(VALU_DEP_1)
	v_dual_sub_f32 v22, v21, v23 :: v_dual_add_f32 v23, 1.0, v29
	v_add_f32_e32 v22, v15, v22
	s_delay_alu instid0(VALU_DEP_1) | instskip(NEXT) | instid1(VALU_DEP_1)
	v_add_f32_e32 v30, v25, v22
	v_sub_f32_e32 v25, v25, v30
	s_delay_alu instid0(VALU_DEP_1) | instskip(NEXT) | instid1(VALU_DEP_1)
	v_dual_sub_f32 v21, v21, v23 :: v_dual_add_f32 v32, v22, v25
	v_add_f32_e32 v15, v15, v21
	v_rcp_f32_e32 v21, v30
	s_delay_alu instid0(VALU_DEP_1)
	v_add_f32_e32 v23, v29, v15
	s_delay_alu instid0(TRANS32_DEP_1) | instid1(VALU_DEP_1)
	v_mul_f32_e32 v31, v23, v21
	s_delay_alu instid0(VALU_DEP_1) | instskip(NEXT) | instid1(VALU_DEP_1)
	v_mul_f32_e32 v24, v30, v31
	v_dual_fma_f32 v28, v31, v30, -v24 :: v_dual_sub_f32 v33, v29, v23
	s_delay_alu instid0(VALU_DEP_1) | instskip(NEXT) | instid1(VALU_DEP_1)
	v_fmac_f32_e32 v28, v31, v32
	v_dual_add_f32 v15, v15, v33 :: v_dual_add_f32 v22, v24, v28
	s_delay_alu instid0(VALU_DEP_1) | instskip(NEXT) | instid1(VALU_DEP_1)
	v_dual_sub_f32 v25, v23, v22 :: v_dual_mov_b32 v29, v22
	v_pk_add_f32 v[22:23], v[22:23], v[24:25] neg_lo:[0,1] neg_hi:[0,1]
	s_delay_alu instid0(VALU_DEP_1) | instskip(NEXT) | instid1(VALU_DEP_1)
	v_pk_add_f32 v[22:23], v[22:23], v[28:29] neg_lo:[0,1] neg_hi:[0,1]
	v_add_f32_e32 v15, v15, v23
	s_delay_alu instid0(VALU_DEP_1) | instskip(NEXT) | instid1(VALU_DEP_1)
	v_add_f32_e32 v15, v22, v15
	v_add_f32_e32 v23, v25, v15
	s_delay_alu instid0(VALU_DEP_1) | instskip(NEXT) | instid1(VALU_DEP_1)
	v_mul_f32_e32 v33, v21, v23
	v_mul_f32_e32 v28, v30, v33
	s_delay_alu instid0(VALU_DEP_1) | instskip(NEXT) | instid1(VALU_DEP_1)
	v_fma_f32 v24, v33, v30, -v28
	v_fmac_f32_e32 v24, v33, v32
	s_delay_alu instid0(VALU_DEP_1) | instskip(NEXT) | instid1(VALU_DEP_1)
	v_dual_add_f32 v22, v28, v24 :: v_dual_sub_f32 v30, v25, v23
	v_dual_mov_b32 v25, v22 :: v_dual_sub_f32 v29, v23, v22
	s_delay_alu instid0(VALU_DEP_2) | instskip(NEXT) | instid1(VALU_DEP_2)
	v_add_f32_e32 v15, v15, v30
	v_pk_add_f32 v[22:23], v[22:23], v[28:29] neg_lo:[0,1] neg_hi:[0,1]
	s_delay_alu instid0(VALU_DEP_1) | instskip(NEXT) | instid1(VALU_DEP_1)
	v_pk_add_f32 v[22:23], v[22:23], v[24:25] neg_lo:[0,1] neg_hi:[0,1]
	v_add_f32_e32 v15, v15, v23
	s_delay_alu instid0(VALU_DEP_1) | instskip(NEXT) | instid1(VALU_DEP_1)
	v_dual_add_f32 v30, v31, v33 :: v_dual_add_f32 v15, v22, v15
	v_sub_f32_e32 v22, v30, v31
	s_delay_alu instid0(VALU_DEP_2) | instskip(NEXT) | instid1(VALU_DEP_2)
	v_add_f32_e32 v15, v29, v15
	v_sub_f32_e32 v22, v33, v22
	s_delay_alu instid0(VALU_DEP_2) | instskip(NEXT) | instid1(VALU_DEP_1)
	v_mul_f32_e32 v15, v21, v15
	v_add_f32_e32 v21, v22, v15
	v_cvt_f32_i32_e32 v22, v6
	s_delay_alu instid0(VALU_DEP_2) | instskip(NEXT) | instid1(VALU_DEP_1)
	v_add_f32_e32 v31, v30, v21
	v_dual_mul_f32 v15, v31, v31 :: v_dual_sub_f32 v6, v31, v30
	v_ldexp_f32 v29, v31, 1
	s_delay_alu instid0(VALU_DEP_2) | instskip(NEXT) | instid1(VALU_DEP_3)
	v_dual_fmaak_f32 v24, s19, v15, 0x3ecc95a3 :: v_dual_mul_f32 v23, v31, v15
	v_sub_f32_e32 v6, v21, v6
	v_max_num_f32_e64 v21, |v9|, |v9|
	s_delay_alu instid0(VALU_DEP_3) | instskip(NEXT) | instid1(VALU_DEP_3)
	v_fmaak_f32 v15, v15, v24, 0x3f2aaada
	v_ldexp_f32 v6, v6, 1
	s_delay_alu instid0(VALU_DEP_2) | instskip(NEXT) | instid1(VALU_DEP_1)
	v_pk_mul_f32 v[24:25], v[22:23], v[14:15]
	v_fma_f32 v28, 0x3f317218, v22, -v24
	v_mov_b32_e32 v30, v24
	s_delay_alu instid0(VALU_DEP_2) | instskip(NEXT) | instid1(VALU_DEP_1)
	v_fmac_f32_e32 v28, 0xb102e308, v22
	v_pk_add_f32 v[22:23], v[24:25], v[28:29]
	s_delay_alu instid0(VALU_DEP_1) | instskip(NEXT) | instid1(VALU_DEP_1)
	v_dual_sub_f32 v15, v23, v29 :: v_dual_mov_b32 v29, v22
	v_sub_f32_e32 v15, v25, v15
	v_pk_add_f32 v[24:25], v[22:23], v[24:25] neg_lo:[0,1] neg_hi:[0,1]
	s_delay_alu instid0(VALU_DEP_2) | instskip(SKIP_1) | instid1(VALU_DEP_2)
	v_add_f32_e32 v31, v6, v15
	v_dual_max_num_f32 v6, v34, v21 :: v_dual_min_num_f32 v21, v34, v21
	v_pk_add_f32 v[32:33], v[22:23], v[30:31]
	s_delay_alu instid0(VALU_DEP_2) | instskip(SKIP_1) | instid1(VALU_DEP_3)
	v_frexp_mant_f32_e32 v15, v6
	v_frexp_exp_i32_f32_e32 v30, v6
	v_dual_mov_b32 v38, v23 :: v_dual_mov_b32 v25, v33
	s_delay_alu instid0(VALU_DEP_3) | instskip(NEXT) | instid1(VALU_DEP_1)
	v_rcp_f32_e32 v15, v15
	v_pk_add_f32 v[34:35], v[28:29], v[24:25]
	v_pk_add_f32 v[24:25], v[28:29], v[24:25] neg_lo:[0,1] neg_hi:[0,1]
	s_delay_alu instid0(VALU_DEP_2) | instskip(SKIP_3) | instid1(VALU_DEP_4)
	v_mov_b32_e32 v6, v35
	v_frexp_exp_i32_f32_e32 v34, v21
	v_frexp_mant_f32_e32 v21, v21
	v_mov_b32_e32 v25, v35
	v_pk_add_f32 v[36:37], v[6:7], v[22:23] neg_lo:[0,1] neg_hi:[0,1]
	s_delay_alu instid0(VALU_DEP_3) | instskip(SKIP_1) | instid1(VALU_DEP_3)
	v_dual_mul_f32 v15, v21, v15 :: v_dual_sub_nc_u32 v30, v34, v30
	v_dual_mov_b32 v34, v33 :: v_dual_mov_b32 v23, v22
	v_dual_mov_b32 v39, v36 :: v_dual_mov_b32 v22, v31
	s_delay_alu instid0(VALU_DEP_3) | instskip(SKIP_1) | instid1(VALU_DEP_3)
	v_ldexp_f32 v21, v15, v30
	v_mov_b32_e32 v15, v36
	v_pk_add_f32 v[28:29], v[34:35], v[38:39] neg_lo:[0,1] neg_hi:[0,1]
	s_delay_alu instid0(VALU_DEP_3) | instskip(NEXT) | instid1(VALU_DEP_3)
	v_mul_f32_e32 v36, v21, v21
	v_pk_add_f32 v[30:31], v[32:33], v[14:15] neg_lo:[0,1] neg_hi:[0,1]
	v_mov_b32_e32 v30, v24
	s_delay_alu instid0(VALU_DEP_4) | instskip(NEXT) | instid1(VALU_DEP_1)
	v_pk_add_f32 v[22:23], v[22:23], v[28:29] neg_lo:[0,1] neg_hi:[0,1]
	v_pk_add_f32 v[28:29], v[30:31], v[22:23]
	s_delay_alu instid0(VALU_DEP_1) | instskip(NEXT) | instid1(VALU_DEP_1)
	v_dual_fmaak_f32 v15, s20, v36, 0xbc7a590c :: v_dual_mov_b32 v30, v29
	v_fmaak_f32 v15, v36, v15, 0x3d29fb3f
	s_delay_alu instid0(VALU_DEP_2) | instskip(NEXT) | instid1(VALU_DEP_2)
	v_pk_add_f32 v[30:31], v[28:29], v[30:31]
	v_fmaak_f32 v15, v36, v15, 0xbd97d4d7
	s_delay_alu instid0(VALU_DEP_2) | instskip(NEXT) | instid1(VALU_DEP_2)
	v_pk_add_f32 v[32:33], v[6:7], v[30:31]
	v_fmaak_f32 v15, v36, v15, 0x3dd931b2
	s_delay_alu instid0(VALU_DEP_2) | instskip(NEXT) | instid1(VALU_DEP_2)
	v_dual_mov_b32 v23, v30 :: v_dual_mov_b32 v29, v32
	v_fmaak_f32 v6, v36, v15, 0xbe1160e6
	s_delay_alu instid0(VALU_DEP_2) | instskip(NEXT) | instid1(VALU_DEP_2)
	v_pk_add_f32 v[34:35], v[28:29], v[24:25] neg_lo:[0,1] neg_hi:[0,1]
	v_fmaak_f32 v6, v36, v6, 0x3e4cb8bf
	s_delay_alu instid0(VALU_DEP_2) | instskip(NEXT) | instid1(VALU_DEP_2)
	v_pk_add_f32 v[22:23], v[22:23], v[34:35] neg_lo:[0,1] neg_hi:[0,1]
	v_fmaak_f32 v6, v36, v6, 0xbeaaaa62
	v_sub_f32_e32 v15, v28, v34
	s_delay_alu instid0(VALU_DEP_2) | instskip(NEXT) | instid1(VALU_DEP_1)
	v_mul_f32_e32 v6, v36, v6
	v_dual_sub_f32 v15, v24, v15 :: v_dual_fmac_f32 v21, v21, v6
	s_delay_alu instid0(VALU_DEP_1) | instskip(NEXT) | instid1(VALU_DEP_1)
	v_dual_add_f32 v6, v22, v15 :: v_dual_sub_f32 v15, 0x3fc90fdb, v21
	v_add_f32_e32 v6, v6, v23
	s_delay_alu instid0(VALU_DEP_1) | instskip(SKIP_2) | instid1(VALU_DEP_3)
	v_dual_cndmask_b32 v15, v21, v15, s2 :: v_dual_add_f32 v6, v32, v6
	v_cndmask_b32_e64 v21, 0, 0x40490fdb, vcc_lo
	v_cmp_gt_f32_e32 vcc_lo, 0, v8
	v_sub_f32_e32 v22, 0x40490fdb, v15
	s_delay_alu instid0(VALU_DEP_4) | instskip(SKIP_1) | instid1(VALU_DEP_3)
	v_cndmask_b32_e64 v6, 0x7f800000, v6, s3
	v_cmp_class_f32_e64 s3, v9, 0x204
	v_cndmask_b32_e32 v15, v15, v22, vcc_lo
	v_cndmask_b32_e32 v22, 0x3f490fdb, v26, vcc_lo
	v_cmp_gt_f32_e64 vcc_lo, 0x33800000, |v20|
	v_cndmask_b32_e32 v6, v6, v20, vcc_lo
	v_cmp_eq_f32_e32 vcc_lo, 0, v9
                                        ; implicit-def: $vgpr20
	s_delay_alu instid0(VALU_DEP_2) | instskip(SKIP_1) | instid1(VALU_DEP_1)
	v_dual_mul_f32 v6, 0.5, v6 :: v_dual_cndmask_b32 v15, v15, v21
	s_and_b32 vcc_lo, s6, s3
	v_cndmask_b32_e32 v28, v15, v22, vcc_lo
.LBB180_60:                             ;   in Loop: Header=BB180_5 Depth=1
	s_and_not1_saveexec_b32 s5, s5
	s_cbranch_execz .LBB180_62
; %bb.61:                               ;   in Loop: Header=BB180_5 Depth=1
	v_max_num_f32_e64 v6, |v9|, |v9|
	v_max_num_f32_e64 v15, |v8|, |v8|
	v_cmp_eq_f32_e64 s3, 0, v9
	v_cmp_gt_i32_e32 vcc_lo, 0, v8
	v_cmp_class_f32_e64 s6, v8, 0x204
	v_cmp_class_f32_e64 s7, v9, 0x204
	v_dual_max_num_f32 v21, v15, v6 :: v_dual_min_num_f32 v6, v15, v6
	s_delay_alu instid0(VALU_DEP_1) | instskip(SKIP_1) | instid1(VALU_DEP_2)
	v_frexp_mant_f32_e32 v22, v21
	v_frexp_exp_i32_f32_e32 v15, v21
	v_rcp_f32_e32 v21, v22
	v_nop
	v_frexp_exp_i32_f32_e32 v22, v6
	v_frexp_mant_f32_e32 v6, v6
	s_delay_alu instid0(VALU_DEP_2)
	v_sub_nc_u32_e32 v15, v22, v15
	s_delay_alu instid0(TRANS32_DEP_1) | instid1(VALU_DEP_2)
	v_mul_f32_e32 v6, v6, v21
	s_delay_alu instid0(VALU_DEP_1) | instskip(NEXT) | instid1(VALU_DEP_1)
	v_ldexp_f32 v6, v6, v15
	v_mul_f32_e32 v15, v6, v6
	s_delay_alu instid0(VALU_DEP_1) | instskip(NEXT) | instid1(VALU_DEP_1)
	v_fmaak_f32 v21, s20, v15, 0xbc7a590c
	v_fmaak_f32 v21, v15, v21, 0x3d29fb3f
	s_delay_alu instid0(VALU_DEP_1) | instskip(NEXT) | instid1(VALU_DEP_1)
	v_fmaak_f32 v21, v15, v21, 0xbd97d4d7
	v_fmaak_f32 v21, v15, v21, 0x3dd931b2
	;; [unrolled: 3-line block ×3, first 2 shown]
	s_delay_alu instid0(VALU_DEP_1) | instskip(NEXT) | instid1(VALU_DEP_1)
	v_fmaak_f32 v21, v15, v21, 0xbeaaaa62
	v_mul_f32_e32 v15, v15, v21
	v_cndmask_b32_e64 v21, 0, 0x40490fdb, vcc_lo
	v_cmp_gt_f32_e32 vcc_lo, 0, v8
	s_delay_alu instid0(VALU_DEP_3) | instskip(SKIP_1) | instid1(VALU_DEP_2)
	v_fmac_f32_e32 v6, v6, v15
	v_cndmask_b32_e32 v22, 0x3f490fdb, v26, vcc_lo
	v_sub_f32_e32 v15, 0x3fc90fdb, v6
	s_delay_alu instid0(VALU_DEP_1) | instskip(NEXT) | instid1(VALU_DEP_1)
	v_cndmask_b32_e64 v6, v6, v15, s2
	v_sub_f32_e32 v15, 0x40490fdb, v6
	s_delay_alu instid0(VALU_DEP_1) | instskip(SKIP_1) | instid1(VALU_DEP_1)
	v_dual_cndmask_b32 v6, v6, v15 :: v_dual_mul_f32 v15, 0.5, v20
	s_and_b32 vcc_lo, s6, s7
	v_dual_cndmask_b32 v21, v6, v21, s3 :: v_dual_mul_f32 v6, v20, v15
	s_delay_alu instid0(VALU_DEP_1)
	v_cndmask_b32_e32 v28, v21, v22, vcc_lo
.LBB180_62:                             ;   in Loop: Header=BB180_5 Depth=1
	s_or_b32 exec_lo, exec_lo, s5
.LBB180_63:                             ;   in Loop: Header=BB180_5 Depth=1
	s_delay_alu instid0(SALU_CYCLE_1)
	s_or_b32 exec_lo, exec_lo, s4
.LBB180_64:                             ;   in Loop: Header=BB180_5 Depth=1
	s_and_not1_saveexec_b32 s4, s23
	s_cbranch_execz .LBB180_66
; %bb.65:                               ;   in Loop: Header=BB180_5 Depth=1
	v_div_scale_f32 v6, null, 0x402df854, 0x402df854, v8
	v_div_scale_f32 v15, null, 0x402df854, 0x402df854, v9
	v_div_scale_f32 v24, vcc_lo, v8, 0x402df854, v8
	s_delay_alu instid0(VALU_DEP_3) | instskip(NEXT) | instid1(VALU_DEP_2)
	v_rcp_f32_e32 v20, v6
	v_rcp_f32_e32 v21, v15
	v_cmp_class_f32_e64 s5, v9, 0x204
	s_delay_alu instid0(TRANS32_DEP_2) | instskip(NEXT) | instid1(TRANS32_DEP_1)
	v_fma_f32 v22, -v6, v20, 1.0
	v_fma_f32 v23, -v15, v21, 1.0
	s_delay_alu instid0(VALU_DEP_1) | instskip(SKIP_1) | instid1(VALU_DEP_1)
	v_dual_fmac_f32 v20, v22, v20 :: v_dual_fmac_f32 v21, v23, v21
	v_div_scale_f32 v22, s3, v9, 0x402df854, v9
	v_dual_mul_f32 v23, v24, v20 :: v_dual_mul_f32 v25, v22, v21
	s_delay_alu instid0(VALU_DEP_1) | instskip(NEXT) | instid1(VALU_DEP_1)
	v_dual_fma_f32 v28, -v6, v23, v24 :: v_dual_fma_f32 v29, -v15, v25, v22
	v_dual_fmac_f32 v23, v28, v20 :: v_dual_fmac_f32 v25, v29, v21
	s_delay_alu instid0(VALU_DEP_1) | instskip(NEXT) | instid1(VALU_DEP_1)
	v_dual_fma_f32 v6, -v6, v23, v24 :: v_dual_fma_f32 v15, -v15, v25, v22
	v_div_fmas_f32 v6, v6, v20, v23
	s_mov_b32 vcc_lo, s3
	v_max_num_f32_e64 v23, |v8|, |v8|
	s_delay_alu instid0(VALU_DEP_3) | instskip(SKIP_2) | instid1(VALU_DEP_3)
	v_div_fmas_f32 v15, v15, v21, v25
	v_cmp_class_f32_e64 s3, v8, 0x204
	v_div_fixup_f32 v6, v6, 0x402df854, v8
	v_div_fixup_f32 v15, v15, 0x402df854, v9
	s_delay_alu instid0(VALU_DEP_1) | instskip(NEXT) | instid1(VALU_DEP_1)
	v_max_num_f32_e64 v22, |v6|, |v15|
	v_cvt_f64_f32_e32 v[20:21], v22
	v_cmp_neq_f32_e32 vcc_lo, 0x7f800000, v22
	s_delay_alu instid0(VALU_DEP_2) | instskip(SKIP_1) | instid1(VALU_DEP_1)
	v_frexp_exp_i32_f64_e32 v20, v[20:21]
	v_max_num_f32_e64 v21, |v9|, |v9|
	v_dual_max_num_f32 v24, v23, v21 :: v_dual_min_num_f32 v21, v23, v21
	s_delay_alu instid0(VALU_DEP_1) | instskip(SKIP_1) | instid1(VALU_DEP_2)
	v_frexp_mant_f32_e32 v25, v24
	v_frexp_exp_i32_f32_e32 v23, v24
	v_rcp_f32_e32 v24, v25
	v_nop
	v_frexp_exp_i32_f32_e32 v25, v21
	v_frexp_mant_f32_e32 v21, v21
	s_delay_alu instid0(VALU_DEP_2)
	v_sub_nc_u32_e32 v23, v25, v23
	s_delay_alu instid0(TRANS32_DEP_1) | instid1(VALU_DEP_2)
	v_mul_f32_e32 v21, v21, v24
	v_sub_nc_u32_e32 v24, 0, v20
	s_delay_alu instid0(VALU_DEP_1) | instskip(SKIP_1) | instid1(VALU_DEP_2)
	v_ldexp_f32 v15, |v15|, v24
	v_ldexp_f32 v6, |v6|, v24
	v_mul_f32_e32 v15, v15, v15
	v_ldexp_f32 v21, v21, v23
	s_delay_alu instid0(VALU_DEP_1) | instskip(NEXT) | instid1(VALU_DEP_1)
	v_dual_fmac_f32 v15, v6, v6 :: v_dual_mul_f32 v23, v21, v21
	v_sqrt_f32_e32 v15, v15
	s_delay_alu instid0(VALU_DEP_1) | instskip(NEXT) | instid1(VALU_DEP_1)
	v_fmaak_f32 v24, s20, v23, 0xbc7a590c
	v_fmaak_f32 v6, v23, v24, 0x3d29fb3f
	s_delay_alu instid0(TRANS32_DEP_1) | instskip(NEXT) | instid1(VALU_DEP_2)
	v_ldexp_f32 v15, v15, v20
	v_fmaak_f32 v6, v23, v6, 0xbd97d4d7
	s_delay_alu instid0(VALU_DEP_1) | instskip(NEXT) | instid1(VALU_DEP_1)
	v_fmaak_f32 v6, v23, v6, 0x3dd931b2
	v_fmaak_f32 v6, v23, v6, 0xbe1160e6
	s_delay_alu instid0(VALU_DEP_1) | instskip(NEXT) | instid1(VALU_DEP_1)
	v_fmaak_f32 v6, v23, v6, 0x3e4cb8bf
	v_fmaak_f32 v6, v23, v6, 0xbeaaaa62
	s_delay_alu instid0(VALU_DEP_1) | instskip(NEXT) | instid1(VALU_DEP_1)
	v_dual_cndmask_b32 v15, 0x7f800000, v15 :: v_dual_mul_f32 v6, v23, v6
	v_cmp_gt_f32_e32 vcc_lo, 0x800000, v15
	s_delay_alu instid0(VALU_DEP_2) | instskip(SKIP_2) | instid1(VALU_DEP_2)
	v_fmac_f32_e32 v21, v21, v6
	v_cndmask_b32_e64 v20, 0, 32, vcc_lo
	v_cndmask_b32_e64 v23, 0, 0x41b17218, vcc_lo
	v_ldexp_f32 v15, v15, v20
	s_delay_alu instid0(VALU_DEP_1) | instskip(SKIP_1) | instid1(TRANS32_DEP_1)
	v_log_f32_e32 v15, v15
	v_nop
	v_mul_f32_e32 v20, 0x3f317217, v15
	v_cmp_gt_f32_e64 vcc_lo, 0x7f800000, |v15|
	s_delay_alu instid0(VALU_DEP_2) | instskip(SKIP_1) | instid1(VALU_DEP_2)
	v_fma_f32 v6, 0x3f317217, v15, -v20
	v_sub_f32_e32 v20, 0x3fc90fdb, v21
	v_fmac_f32_e32 v6, 0x3377d1cf, v15
	s_delay_alu instid0(VALU_DEP_1) | instskip(NEXT) | instid1(VALU_DEP_3)
	v_fmac_f32_e32 v6, 0x3f317217, v15
	v_cndmask_b32_e64 v20, v21, v20, s2
	v_cmp_gt_i32_e64 s2, 0, v8
	s_delay_alu instid0(VALU_DEP_3) | instskip(NEXT) | instid1(VALU_DEP_3)
	v_cndmask_b32_e32 v6, v15, v6, vcc_lo
	v_sub_f32_e32 v22, 0x40490fdb, v20
	s_delay_alu instid0(VALU_DEP_3) | instskip(SKIP_2) | instid1(VALU_DEP_2)
	v_cndmask_b32_e64 v21, 0, 0x40490fdb, s2
	v_cmp_gt_f32_e64 s2, 0, v8
	v_cmp_eq_f32_e32 vcc_lo, 0, v9
	v_dual_sub_f32 v6, v6, v23 :: v_dual_cndmask_b32 v15, v20, v22, s2
	v_cndmask_b32_e64 v20, 0x3f490fdb, v26, s2
	s_delay_alu instid0(VALU_DEP_2)
	v_cndmask_b32_e32 v15, v15, v21, vcc_lo
	s_and_b32 vcc_lo, s3, s5
	s_delay_alu instid0(VALU_DEP_1) | instid1(SALU_CYCLE_1)
	v_dual_add_f32 v6, 1.0, v6 :: v_dual_cndmask_b32 v28, v15, v20, vcc_lo
.LBB180_66:                             ;   in Loop: Header=BB180_5 Depth=1
	s_or_b32 exec_lo, exec_lo, s4
.LBB180_67:                             ;   in Loop: Header=BB180_5 Depth=1
	s_and_not1_saveexec_b32 s2, s22
	s_cbranch_execz .LBB180_73
; %bb.68:                               ;   in Loop: Header=BB180_5 Depth=1
	v_cmp_ngt_f32_e64 s3, 0x20000000, |v8|
	v_cmp_ngt_f32_e64 s4, 0x20000000, |v9|
                                        ; implicit-def: $vgpr6
	s_or_b32 s3, s3, s4
	s_delay_alu instid0(SALU_CYCLE_1) | instskip(NEXT) | instid1(SALU_CYCLE_1)
	s_and_saveexec_b32 s4, s3
	s_xor_b32 s3, exec_lo, s4
; %bb.69:                               ;   in Loop: Header=BB180_5 Depth=1
	v_pk_mul_f32 v[20:21], v[8:9], v[8:9]
	s_delay_alu instid0(VALU_DEP_1)
	v_add_f32_e32 v6, v20, v21
; %bb.70:                               ;   in Loop: Header=BB180_5 Depth=1
	s_and_not1_saveexec_b32 s3, s3
; %bb.71:                               ;   in Loop: Header=BB180_5 Depth=1
	v_pk_mul_f32 v[20:21], v[8:9], 4.0 op_sel_hi:[1,0]
	s_delay_alu instid0(VALU_DEP_1) | instskip(NEXT) | instid1(VALU_DEP_1)
	v_pk_mul_f32 v[20:21], v[20:21], v[20:21]
	v_add_f32_e32 v6, v20, v21
	s_delay_alu instid0(VALU_DEP_1)
	v_mul_f32_e32 v6, 0x3d800000, v6
; %bb.72:                               ;   in Loop: Header=BB180_5 Depth=1
	s_or_b32 exec_lo, exec_lo, s3
	s_delay_alu instid0(VALU_DEP_1) | instskip(SKIP_3) | instid1(VALU_DEP_2)
	v_cmp_gt_f32_e32 vcc_lo, 0x800000, v6
	v_mov_b32_e32 v28, 0x7fc00000
	v_cndmask_b32_e64 v8, 0, 32, vcc_lo
	v_cndmask_b32_e64 v15, 0, 0x41b17218, vcc_lo
	v_ldexp_f32 v6, v6, v8
	s_delay_alu instid0(VALU_DEP_1) | instskip(SKIP_1) | instid1(TRANS32_DEP_1)
	v_log_f32_e32 v6, v6
	v_nop
	v_mul_f32_e32 v8, 0x3f317217, v6
	v_cmp_gt_f32_e64 vcc_lo, 0x7f800000, |v6|
	s_delay_alu instid0(VALU_DEP_2) | instskip(NEXT) | instid1(VALU_DEP_1)
	v_fma_f32 v8, 0x3f317217, v6, -v8
	v_fmac_f32_e32 v8, 0x3377d1cf, v6
	s_delay_alu instid0(VALU_DEP_1) | instskip(NEXT) | instid1(VALU_DEP_1)
	v_fmac_f32_e32 v8, 0x3f317217, v6
	v_cndmask_b32_e32 v6, v6, v8, vcc_lo
	s_delay_alu instid0(VALU_DEP_1)
	v_sub_f32_e32 v6, v6, v15
.LBB180_73:                             ;   in Loop: Header=BB180_5 Depth=1
	s_or_b32 exec_lo, exec_lo, s2
                                        ; implicit-def: $vgpr8
                                        ; implicit-def: $vgpr29
	s_delay_alu instid0(SALU_CYCLE_1)
	s_mov_b32 s2, exec_lo
	s_wait_loadcnt 0x0
	v_cmpx_o_f32_e32 v3, v2
	s_xor_b32 s22, exec_lo, s2
	s_cbranch_execz .LBB180_101
; %bb.74:                               ;   in Loop: Header=BB180_5 Depth=1
	v_cmp_lt_f32_e64 s2, |v2|, |v3|
                                        ; implicit-def: $vgpr8
                                        ; implicit-def: $vgpr29
	s_mov_b32 s4, exec_lo
	v_cndmask_b32_e64 v15, v3, v2, s2
	s_delay_alu instid0(VALU_DEP_1)
	v_cmpx_nlt_f32_e64 0x77f684df, |v15|
	s_xor_b32 s23, exec_lo, s4
	s_cbranch_execz .LBB180_98
; %bb.75:                               ;   in Loop: Header=BB180_5 Depth=1
	v_cndmask_b32_e64 v8, v2, v3, s2
	v_and_b32_e32 v20, 0x7fffffff, v15
                                        ; implicit-def: $vgpr29
	s_mov_b32 s3, exec_lo
	s_delay_alu instid0(VALU_DEP_2) | instskip(NEXT) | instid1(VALU_DEP_1)
	v_and_b32_e32 v21, 0x7fffffff, v8
                                        ; implicit-def: $vgpr8
	v_cmpx_neq_f32_e32 1.0, v21
	s_xor_b32 s24, exec_lo, s3
	s_cbranch_execz .LBB180_91
; %bb.76:                               ;   in Loop: Header=BB180_5 Depth=1
	v_dual_max_num_f32 v8, v20, v20 :: v_dual_max_num_f32 v15, v21, v21
                                        ; implicit-def: $vgpr29
	s_delay_alu instid0(VALU_DEP_1) | instskip(NEXT) | instid1(VALU_DEP_1)
	v_dual_min_num_f32 v22, v15, v8 :: v_dual_max_num_f32 v8, v15, v8
	v_cmp_ngt_f32_e32 vcc_lo, 0x358637bd, v22
	s_delay_alu instid0(VALU_DEP_2) | instskip(SKIP_1) | instid1(SALU_CYCLE_1)
	v_cmp_nlt_f32_e64 s3, 0x49742400, v8
                                        ; implicit-def: $vgpr8
	s_and_b32 s3, s3, vcc_lo
	s_and_saveexec_b32 s4, s3
	s_delay_alu instid0(SALU_CYCLE_1)
	s_xor_b32 s25, exec_lo, s4
	s_cbranch_execz .LBB180_88
; %bb.77:                               ;   in Loop: Header=BB180_5 Depth=1
                                        ; implicit-def: $vgpr8
                                        ; implicit-def: $vgpr29
	s_mov_b32 s3, exec_lo
	v_cmpx_le_f32_e32 1.0, v21
	s_xor_b32 s4, exec_lo, s3
	s_cbranch_execz .LBB180_79
; %bb.78:                               ;   in Loop: Header=BB180_5 Depth=1
	v_pk_add_f32 v[22:23], v[20:21], v[12:13] op_sel:[1,0]
	v_mov_b32_e32 v24, v20
	v_cmp_class_f32_e64 s5, v2, 0x204
	s_delay_alu instid0(VALU_DEP_3) | instskip(SKIP_1) | instid1(VALU_DEP_1)
	v_dual_mov_b32 v21, v22 :: v_dual_mov_b32 v25, v23
	v_mul_f32_e32 v8, v22, v23
	v_pk_fma_f32 v[20:21], v[20:21], v[24:25], v[8:9] op_sel_hi:[1,1,0]
	s_delay_alu instid0(VALU_DEP_1) | instskip(SKIP_1) | instid1(VALU_DEP_2)
	v_add_f32_e32 v23, 1.0, v20
	v_cmp_neq_f32_e64 s3, -1.0, v20
	v_add_f32_e32 v21, -1.0, v23
	s_delay_alu instid0(VALU_DEP_1) | instskip(SKIP_2) | instid1(VALU_DEP_1)
	v_mov_b32_e32 v22, v21
	v_cvt_f64_f32_e32 v[24:25], v23
	v_frexp_mant_f32_e32 v15, v23
	v_cmp_gt_f32_e32 vcc_lo, 0x3f2aaaab, v15
	s_delay_alu instid0(VALU_DEP_3) | instskip(NEXT) | instid1(VALU_DEP_1)
	v_frexp_exp_i32_f64_e32 v8, v[24:25]
	v_subrev_co_ci_u32_e64 v8, null, 0, v8, vcc_lo
	v_cmp_neq_f32_e32 vcc_lo, 0x7f800000, v20
	s_delay_alu instid0(VALU_DEP_2) | instskip(SKIP_1) | instid1(VALU_DEP_2)
	v_sub_nc_u32_e32 v15, 0, v8
	v_pk_add_f32 v[24:25], v[20:21], v[22:23] neg_lo:[0,1] neg_hi:[0,1]
	v_ldexp_f32 v21, v23, v15
	s_delay_alu instid0(VALU_DEP_2) | instskip(NEXT) | instid1(VALU_DEP_2)
	v_add_f32_e32 v22, 1.0, v25
	v_add_f32_e32 v25, 1.0, v21
	s_delay_alu instid0(VALU_DEP_1) | instskip(SKIP_1) | instid1(VALU_DEP_2)
	v_dual_add_f32 v23, -1.0, v25 :: v_dual_add_f32 v22, v24, v22
	v_add_f32_e32 v29, -1.0, v21
	v_ldexp_f32 v15, v22, v15
	s_delay_alu instid0(VALU_DEP_2) | instskip(NEXT) | instid1(VALU_DEP_1)
	v_dual_sub_f32 v22, v21, v23 :: v_dual_add_f32 v23, 1.0, v29
	v_add_f32_e32 v22, v15, v22
	s_delay_alu instid0(VALU_DEP_1) | instskip(NEXT) | instid1(VALU_DEP_1)
	v_add_f32_e32 v32, v25, v22
	v_dual_sub_f32 v21, v21, v23 :: v_dual_sub_f32 v25, v32, v25
	s_delay_alu instid0(VALU_DEP_1) | instskip(SKIP_1) | instid1(VALU_DEP_1)
	v_add_f32_e32 v15, v15, v21
	v_rcp_f32_e32 v21, v32
	v_add_f32_e32 v23, v29, v15
	s_delay_alu instid0(TRANS32_DEP_1) | instid1(VALU_DEP_1)
	v_mul_f32_e32 v33, v23, v21
	s_delay_alu instid0(VALU_DEP_1) | instskip(SKIP_1) | instid1(VALU_DEP_2)
	v_mul_f32_e32 v24, v32, v33
	v_sub_f32_e32 v34, v22, v25
	v_dual_sub_f32 v29, v23, v29 :: v_dual_fma_f32 v30, v33, v32, -v24
	s_delay_alu instid0(VALU_DEP_1) | instskip(NEXT) | instid1(VALU_DEP_1)
	v_dual_sub_f32 v15, v15, v29 :: v_dual_fmac_f32 v30, v33, v34
	v_add_f32_e32 v22, v24, v30
	s_delay_alu instid0(VALU_DEP_1) | instskip(NEXT) | instid1(VALU_DEP_1)
	v_dual_sub_f32 v25, v23, v22 :: v_dual_mov_b32 v31, v22
	v_pk_add_f32 v[22:23], v[22:23], v[24:25] neg_lo:[0,1] neg_hi:[0,1]
	s_delay_alu instid0(VALU_DEP_1) | instskip(NEXT) | instid1(VALU_DEP_1)
	v_pk_add_f32 v[22:23], v[22:23], v[30:31] neg_lo:[0,1] neg_hi:[0,1]
	v_add_f32_e32 v15, v15, v23
	s_delay_alu instid0(VALU_DEP_1) | instskip(NEXT) | instid1(VALU_DEP_1)
	v_add_f32_e32 v15, v22, v15
	v_add_f32_e32 v23, v25, v15
	s_delay_alu instid0(VALU_DEP_1) | instskip(NEXT) | instid1(VALU_DEP_1)
	v_mul_f32_e32 v29, v21, v23
	v_mul_f32_e32 v30, v32, v29
	s_delay_alu instid0(VALU_DEP_1) | instskip(NEXT) | instid1(VALU_DEP_1)
	v_fma_f32 v24, v29, v32, -v30
	v_fmac_f32_e32 v24, v29, v34
	s_delay_alu instid0(VALU_DEP_1) | instskip(NEXT) | instid1(VALU_DEP_1)
	v_dual_add_f32 v22, v30, v24 :: v_dual_sub_f32 v32, v25, v23
	v_dual_sub_f32 v31, v23, v22 :: v_dual_mov_b32 v25, v22
	s_delay_alu instid0(VALU_DEP_2) | instskip(NEXT) | instid1(VALU_DEP_2)
	v_dual_add_f32 v15, v15, v32 :: v_dual_add_f32 v32, v33, v29
	v_pk_add_f32 v[22:23], v[22:23], v[30:31] neg_lo:[0,1] neg_hi:[0,1]
	s_delay_alu instid0(VALU_DEP_1) | instskip(NEXT) | instid1(VALU_DEP_1)
	v_pk_add_f32 v[22:23], v[22:23], v[24:25] neg_lo:[0,1] neg_hi:[0,1]
	v_add_f32_e32 v15, v15, v23
	s_delay_alu instid0(VALU_DEP_1) | instskip(NEXT) | instid1(VALU_DEP_1)
	v_dual_add_f32 v15, v22, v15 :: v_dual_sub_f32 v22, v32, v33
	v_dual_sub_f32 v22, v29, v22 :: v_dual_add_f32 v15, v31, v15
	s_delay_alu instid0(VALU_DEP_1) | instskip(NEXT) | instid1(VALU_DEP_1)
	v_mul_f32_e32 v15, v21, v15
	v_add_f32_e32 v21, v22, v15
	v_cvt_f32_i32_e32 v22, v8
	s_delay_alu instid0(VALU_DEP_2) | instskip(NEXT) | instid1(VALU_DEP_1)
	v_add_f32_e32 v29, v32, v21
	v_mul_f32_e32 v15, v29, v29
	v_ldexp_f32 v31, v29, 1
	s_delay_alu instid0(VALU_DEP_2) | instskip(NEXT) | instid1(VALU_DEP_1)
	v_dual_fmaak_f32 v24, s19, v15, 0x3ecc95a3 :: v_dual_mul_f32 v23, v29, v15
	v_fmaak_f32 v15, v15, v24, 0x3f2aaada
	s_delay_alu instid0(VALU_DEP_1) | instskip(NEXT) | instid1(VALU_DEP_1)
	v_pk_mul_f32 v[24:25], v[22:23], v[14:15]
	v_fma_f32 v30, 0x3f317218, v22, -v24
	s_delay_alu instid0(VALU_DEP_1) | instskip(NEXT) | instid1(VALU_DEP_1)
	v_fmac_f32_e32 v30, 0xb102e308, v22
	v_pk_add_f32 v[22:23], v[24:25], v[30:31]
	v_dual_sub_f32 v8, v29, v32 :: v_dual_mov_b32 v32, v24
	s_delay_alu instid0(VALU_DEP_1) | instskip(NEXT) | instid1(VALU_DEP_3)
	v_dual_sub_f32 v15, v23, v31 :: v_dual_sub_f32 v8, v21, v8
	v_dual_mov_b32 v31, v22 :: v_dual_mov_b32 v40, v23
	s_delay_alu instid0(VALU_DEP_2) | instskip(NEXT) | instid1(VALU_DEP_3)
	v_sub_f32_e32 v15, v25, v15
	v_ldexp_f32 v8, v8, 1
	v_pk_add_f32 v[24:25], v[22:23], v[24:25] neg_lo:[0,1] neg_hi:[0,1]
	s_delay_alu instid0(VALU_DEP_2) | instskip(SKIP_2) | instid1(VALU_DEP_1)
	v_add_f32_e32 v33, v8, v15
	v_max_num_f32_e64 v8, |v3|, |v3|
	v_max_num_f32_e64 v15, |v2|, |v2|
	v_max_num_f32_e32 v21, v15, v8
	s_delay_alu instid0(VALU_DEP_4) | instskip(NEXT) | instid1(VALU_DEP_2)
	v_pk_add_f32 v[34:35], v[22:23], v[32:33]
	v_frexp_exp_i32_f32_e32 v29, v21
	s_delay_alu instid0(VALU_DEP_2) | instskip(SKIP_1) | instid1(VALU_DEP_2)
	v_mov_b32_e32 v25, v35
	v_frexp_mant_f32_e32 v21, v21
	v_pk_add_f32 v[36:37], v[30:31], v[24:25]
	v_min_num_f32_e32 v15, v15, v8
	v_pk_add_f32 v[24:25], v[30:31], v[24:25] neg_lo:[0,1] neg_hi:[0,1]
	s_delay_alu instid0(VALU_DEP_4) | instskip(NEXT) | instid1(VALU_DEP_3)
	v_rcp_f32_e32 v21, v21
	v_mov_b32_e32 v8, v37
	s_delay_alu instid0(VALU_DEP_3) | instskip(SKIP_2) | instid1(VALU_DEP_4)
	v_frexp_exp_i32_f32_e32 v32, v15
	v_frexp_mant_f32_e32 v42, v15
	v_mov_b32_e32 v25, v37
	v_pk_add_f32 v[38:39], v[8:9], v[22:23] neg_lo:[0,1] neg_hi:[0,1]
	s_delay_alu instid0(VALU_DEP_4) | instskip(SKIP_1) | instid1(VALU_DEP_3)
	v_dual_mov_b32 v36, v35 :: v_dual_sub_nc_u32 v29, v32, v29
	v_dual_mov_b32 v23, v22 :: v_dual_mov_b32 v22, v33
	v_dual_mov_b32 v41, v38 :: v_dual_mov_b32 v15, v38
	s_delay_alu instid0(VALU_DEP_1) | instskip(NEXT) | instid1(VALU_DEP_2)
	v_pk_add_f32 v[30:31], v[36:37], v[40:41] neg_lo:[0,1] neg_hi:[0,1]
	v_pk_add_f32 v[32:33], v[34:35], v[14:15] neg_lo:[0,1] neg_hi:[0,1]
	v_mov_b32_e32 v32, v24
	s_delay_alu instid0(VALU_DEP_3) | instskip(NEXT) | instid1(VALU_DEP_1)
	v_pk_add_f32 v[22:23], v[22:23], v[30:31] neg_lo:[0,1] neg_hi:[0,1]
	v_pk_add_f32 v[30:31], v[32:33], v[22:23]
	s_delay_alu instid0(VALU_DEP_1) | instskip(NEXT) | instid1(VALU_DEP_1)
	v_dual_mul_f32 v21, v42, v21 :: v_dual_mov_b32 v32, v31
	v_ldexp_f32 v15, v21, v29
	s_delay_alu instid0(VALU_DEP_2) | instskip(NEXT) | instid1(VALU_DEP_2)
	v_pk_add_f32 v[32:33], v[30:31], v[32:33]
	v_mul_f32_e32 v21, v15, v15
	s_delay_alu instid0(VALU_DEP_2) | instskip(NEXT) | instid1(VALU_DEP_1)
	v_pk_add_f32 v[34:35], v[8:9], v[32:33]
	v_mov_b32_e32 v31, v34
	s_delay_alu instid0(VALU_DEP_1) | instskip(NEXT) | instid1(VALU_DEP_1)
	v_pk_add_f32 v[36:37], v[30:31], v[24:25] neg_lo:[0,1] neg_hi:[0,1]
	v_sub_f32_e32 v25, v30, v36
	s_delay_alu instid0(VALU_DEP_1) | instskip(SKIP_1) | instid1(VALU_DEP_1)
	v_sub_f32_e32 v24, v24, v25
	v_fmaak_f32 v23, s20, v21, 0xbc7a590c
	v_fmaak_f32 v23, v21, v23, 0x3d29fb3f
	s_delay_alu instid0(VALU_DEP_1) | instskip(NEXT) | instid1(VALU_DEP_1)
	v_dual_fmaak_f32 v8, v21, v23, 0xbd97d4d7 :: v_dual_mov_b32 v23, v32
	v_fmaak_f32 v8, v21, v8, 0x3dd931b2
	s_delay_alu instid0(VALU_DEP_2) | instskip(NEXT) | instid1(VALU_DEP_1)
	v_pk_add_f32 v[22:23], v[22:23], v[36:37] neg_lo:[0,1] neg_hi:[0,1]
	v_add_f32_e32 v22, v22, v24
	s_delay_alu instid0(VALU_DEP_3) | instskip(NEXT) | instid1(VALU_DEP_1)
	v_fmaak_f32 v8, v21, v8, 0xbe1160e6
	v_fmaak_f32 v8, v21, v8, 0x3e4cb8bf
	s_delay_alu instid0(VALU_DEP_1) | instskip(NEXT) | instid1(VALU_DEP_1)
	v_fmaak_f32 v8, v21, v8, 0xbeaaaa62
	v_dual_mul_f32 v8, v21, v8 :: v_dual_add_f32 v21, v22, v23
	s_delay_alu instid0(VALU_DEP_1) | instskip(NEXT) | instid1(VALU_DEP_1)
	v_dual_fmac_f32 v15, v15, v8 :: v_dual_add_f32 v8, v34, v21
	v_sub_f32_e32 v21, 0x3fc90fdb, v15
	s_delay_alu instid0(VALU_DEP_2) | instskip(SKIP_1) | instid1(VALU_DEP_3)
	v_cndmask_b32_e32 v8, 0x7f800000, v8, vcc_lo
	v_cmp_gt_i32_e32 vcc_lo, 0, v2
	v_cndmask_b32_e64 v15, v15, v21, s2
	v_cndmask_b32_e64 v21, 0, 0x40490fdb, vcc_lo
	v_cmp_ngt_f32_e32 vcc_lo, -1.0, v20
	s_delay_alu instid0(VALU_DEP_3) | instskip(SKIP_2) | instid1(VALU_DEP_2)
	v_sub_f32_e32 v22, 0x40490fdb, v15
	v_cndmask_b32_e32 v8, 0x7fc00000, v8, vcc_lo
	v_cmp_gt_f32_e32 vcc_lo, 0, v2
	v_cndmask_b32_e64 v8, 0xff800000, v8, s3
	s_delay_alu instid0(VALU_DEP_4)
	v_cndmask_b32_e32 v15, v15, v22, vcc_lo
	v_cndmask_b32_e32 v22, 0x3f490fdb, v26, vcc_lo
	v_cmp_gt_f32_e64 vcc_lo, 0x33800000, |v20|
	v_cmp_class_f32_e64 s3, v3, 0x204
	v_cndmask_b32_e32 v8, v8, v20, vcc_lo
	v_cmp_eq_f32_e32 vcc_lo, 0, v3
	v_cndmask_b32_e32 v15, v15, v21, vcc_lo
	s_and_b32 vcc_lo, s5, s3
                                        ; implicit-def: $vgpr20_vgpr21
	s_delay_alu instid0(VALU_DEP_1)
	v_dual_cndmask_b32 v29, v15, v22 :: v_dual_mul_f32 v8, 0.5, v8
.LBB180_79:                             ;   in Loop: Header=BB180_5 Depth=1
	s_and_not1_saveexec_b32 s26, s4
	s_cbranch_execz .LBB180_87
; %bb.80:                               ;   in Loop: Header=BB180_5 Depth=1
	v_pk_mul_f32 v[22:23], v[20:21], v[20:21]
                                        ; implicit-def: $vgpr8
                                        ; implicit-def: $vgpr29
	s_mov_b32 s3, exec_lo
	s_delay_alu instid0(VALU_DEP_1) | instskip(NEXT) | instid1(VALU_DEP_1)
	v_add_f32_e32 v15, v23, v22
	v_cmpx_ge_f32_e32 0x3f333333, v15
	s_xor_b32 s4, exec_lo, s3
	s_cbranch_execz .LBB180_82
; %bb.81:                               ;   in Loop: Header=BB180_5 Depth=1
	v_max_num_f32_e64 v8, |v3|, |v3|
	v_max_num_f32_e64 v20, |v2|, |v2|
	v_cmp_gt_f32_e32 vcc_lo, 0x800000, v15
	v_cmp_gt_i32_e64 s3, 0, v2
	v_cmp_class_f32_e64 s5, v2, 0x204
	v_cmp_class_f32_e64 s6, v3, 0x204
	v_dual_max_num_f32 v21, v20, v8 :: v_dual_min_num_f32 v8, v20, v8
	v_cndmask_b32_e64 v23, 0, 0x41b17218, vcc_lo
	s_delay_alu instid0(VALU_DEP_2) | instskip(SKIP_1) | instid1(VALU_DEP_2)
	v_frexp_mant_f32_e32 v22, v21
	v_frexp_exp_i32_f32_e32 v20, v21
	v_rcp_f32_e32 v21, v22
	v_nop
	v_frexp_exp_i32_f32_e32 v22, v8
	v_frexp_mant_f32_e32 v8, v8
	s_delay_alu instid0(TRANS32_DEP_1) | instid1(VALU_DEP_1)
	v_dual_sub_nc_u32 v20, v22, v20 :: v_dual_mul_f32 v8, v8, v21
	v_cndmask_b32_e64 v22, 0, 32, vcc_lo
	s_delay_alu instid0(VALU_DEP_2) | instskip(NEXT) | instid1(VALU_DEP_2)
	v_ldexp_f32 v8, v8, v20
	v_ldexp_f32 v15, v15, v22
	s_delay_alu instid0(VALU_DEP_1) | instskip(NEXT) | instid1(VALU_DEP_2)
	v_log_f32_e32 v15, v15
	v_mul_f32_e32 v20, v8, v8
	s_delay_alu instid0(VALU_DEP_1) | instskip(NEXT) | instid1(TRANS32_DEP_1)
	v_fmaak_f32 v21, s20, v20, 0xbc7a590c
	v_cmp_gt_f32_e64 vcc_lo, 0x7f800000, |v15|
	s_delay_alu instid0(VALU_DEP_2) | instskip(NEXT) | instid1(VALU_DEP_1)
	v_fmaak_f32 v21, v20, v21, 0x3d29fb3f
	v_fmaak_f32 v21, v20, v21, 0xbd97d4d7
	s_delay_alu instid0(VALU_DEP_1) | instskip(NEXT) | instid1(VALU_DEP_1)
	v_fmaak_f32 v21, v20, v21, 0x3dd931b2
	v_fmaak_f32 v21, v20, v21, 0xbe1160e6
	s_delay_alu instid0(VALU_DEP_1) | instskip(NEXT) | instid1(VALU_DEP_1)
	;; [unrolled: 3-line block ×3, first 2 shown]
	v_dual_mul_f32 v20, v20, v21 :: v_dual_mul_f32 v21, 0x3f317217, v15
	v_fmac_f32_e32 v8, v8, v20
	s_delay_alu instid0(VALU_DEP_2) | instskip(NEXT) | instid1(VALU_DEP_2)
	v_fma_f32 v20, 0x3f317217, v15, -v21
	v_sub_f32_e32 v21, 0x3fc90fdb, v8
	s_delay_alu instid0(VALU_DEP_2) | instskip(NEXT) | instid1(VALU_DEP_1)
	v_fmac_f32_e32 v20, 0x3377d1cf, v15
	v_fmac_f32_e32 v20, 0x3f317217, v15
	s_delay_alu instid0(VALU_DEP_3) | instskip(SKIP_2) | instid1(VALU_DEP_4)
	v_cndmask_b32_e64 v8, v8, v21, s2
	v_cndmask_b32_e64 v21, 0, 0x40490fdb, s3
	v_cmp_eq_f32_e64 s3, 0, v3
	v_cndmask_b32_e32 v15, v15, v20, vcc_lo
	s_delay_alu instid0(VALU_DEP_4) | instskip(SKIP_1) | instid1(VALU_DEP_2)
	v_sub_f32_e32 v22, 0x40490fdb, v8
	v_cmp_gt_f32_e32 vcc_lo, 0, v2
	v_dual_sub_f32 v15, v15, v23 :: v_dual_cndmask_b32 v8, v8, v22
	s_delay_alu instid0(VALU_DEP_1) | instskip(SKIP_2) | instid1(VALU_DEP_1)
	v_cndmask_b32_e64 v20, v8, v21, s3
	v_cndmask_b32_e32 v21, 0x3f490fdb, v26, vcc_lo
	s_and_b32 vcc_lo, s5, s6
	v_dual_mul_f32 v8, 0.5, v15 :: v_dual_cndmask_b32 v29, v20, v21
                                        ; implicit-def: $vgpr20
.LBB180_82:                             ;   in Loop: Header=BB180_5 Depth=1
	s_and_not1_saveexec_b32 s27, s4
	s_cbranch_execz .LBB180_86
; %bb.83:                               ;   in Loop: Header=BB180_5 Depth=1
	v_and_b32_e32 v23, 0x7fff0000, v20
	v_and_b32_e32 v22, 0x7fff0000, v21
	s_mov_b32 s28, 0
	s_delay_alu instid0(VALU_DEP_1) | instskip(SKIP_2) | instid1(VALU_DEP_2)
	v_dual_add_f32 v31, v23, v23 :: v_dual_add_f32 v15, v22, v22
	v_pk_add_f32 v[24:25], v[20:21], v[22:23] op_sel:[1,0] op_sel_hi:[0,1] neg_lo:[0,1] neg_hi:[0,1]
	v_pk_mul_f32 v[20:21], v[22:23], v[22:23]
	v_and_b32_e32 v33, 0xffff0000, v25
	s_delay_alu instid0(VALU_DEP_3) | instskip(NEXT) | instid1(VALU_DEP_2)
	v_and_b32_e32 v32, 0xffff0000, v24
	v_dual_mul_f32 v30, v31, v33 :: v_dual_add_f32 v35, v33, v33
	s_delay_alu instid0(VALU_DEP_2) | instskip(SKIP_2) | instid1(VALU_DEP_3)
	v_pk_add_f32 v[22:23], v[24:25], v[32:33] neg_lo:[0,1] neg_hi:[0,1]
	v_dual_mul_f32 v8, v15, v32 :: v_dual_add_f32 v34, v32, v32
	v_pk_mul_f32 v[24:25], v[32:33], v[32:33]
	v_mul_f32_e32 v29, v15, v22
	s_delay_alu instid0(VALU_DEP_3)
	v_dual_mul_f32 v32, v31, v23 :: v_dual_mul_f32 v15, v34, v22
	v_mul_f32_e32 v31, v35, v23
	v_pk_mul_f32 v[22:23], v[22:23], v[22:23]
.LBB180_84:                             ;   Parent Loop BB180_5 Depth=1
                                        ; =>  This Inner Loop Header: Depth=2
	v_cmp_nlt_f32_e32 vcc_lo, v20, v21
	v_dual_cndmask_b32 v33, v20, v21 :: v_dual_cndmask_b32 v20, v21, v20
	s_delay_alu instid0(VALU_DEP_1) | instskip(NEXT) | instid1(VALU_DEP_1)
	v_cmp_nlt_f32_e64 s3, v33, v8
	v_dual_cndmask_b32 v34, v33, v8, s3 :: v_dual_cndmask_b32 v21, v8, v33, s3
	s_and_b32 s3, vcc_lo, s3
	s_delay_alu instid0(VALU_DEP_1) | instskip(NEXT) | instid1(VALU_DEP_1)
	v_cmp_nlt_f32_e64 s4, v34, v30
	v_cndmask_b32_e64 v35, v34, v30, s4
	v_cndmask_b32_e64 v8, v30, v34, s4
	s_delay_alu instid0(VALU_DEP_2) | instskip(NEXT) | instid1(VALU_DEP_1)
	v_cmp_nlt_f32_e64 s5, v35, v24
	v_cndmask_b32_e64 v33, v35, v24, s5
	s_and_b32 s29, s4, s5
	s_delay_alu instid0(VALU_DEP_1) | instskip(NEXT) | instid1(VALU_DEP_1)
	v_cmp_nlt_f32_e64 s6, v33, v25
	v_dual_cndmask_b32 v34, v33, v25, s6 :: v_dual_cndmask_b32 v30, v24, v35, s5
	v_cndmask_b32_e64 v24, v25, v33, s6
	s_delay_alu instid0(VALU_DEP_2) | instskip(NEXT) | instid1(VALU_DEP_1)
	v_cmp_nlt_f32_e64 s7, v34, v29
	v_cndmask_b32_e64 v36, v34, v29, s7
	s_and_b32 s6, s6, s7
	s_delay_alu instid0(VALU_DEP_1) | instskip(NEXT) | instid1(VALU_DEP_1)
	v_cmp_nlt_f32_e64 s8, v36, v32
	v_cndmask_b32_e64 v37, v36, v32, s8
	s_and_b32 s6, s6, s8
	s_delay_alu instid0(VALU_DEP_1) | instskip(SKIP_1) | instid1(VALU_DEP_2)
	v_cmp_nlt_f32_e64 s9, v37, v15
	v_dual_cndmask_b32 v25, v29, v34, s7 :: v_dual_cndmask_b32 v29, v32, v36, s8
	v_cndmask_b32_e64 v35, v37, v15, s9
	s_and_b32 s7, s6, s9
	v_cndmask_b32_e64 v32, v15, v37, s9
	s_delay_alu instid0(VALU_DEP_2) | instskip(NEXT) | instid1(VALU_DEP_1)
	v_cmp_nlt_f32_e64 s4, v35, v31
	v_cndmask_b32_e64 v33, v35, v31, s4
	v_cndmask_b32_e64 v15, v31, v35, s4
	s_and_b32 s4, s7, s4
	s_delay_alu instid0(VALU_DEP_2) | instskip(NEXT) | instid1(VALU_DEP_1)
	v_cmp_nlt_f32_e64 s5, v33, v22
	v_cndmask_b32_e64 v34, v33, v22, s5
	s_and_b32 s4, s4, s5
	s_delay_alu instid0(VALU_DEP_1) | instskip(NEXT) | instid1(VALU_DEP_1)
	v_cmp_nlt_f32_e64 s6, v34, v23
	v_dual_cndmask_b32 v31, v22, v33, s5 :: v_dual_cndmask_b32 v22, v23, v34, s6
	s_and_b32 s4, s4, s6
	v_cndmask_b32_e64 v23, v34, v23, s6
	s_and_b32 s4, s4, s29
	s_delay_alu instid0(SALU_CYCLE_1) | instskip(NEXT) | instid1(SALU_CYCLE_1)
	s_and_b32 s3, s4, s3
	s_and_b32 s3, exec_lo, s3
	s_delay_alu instid0(SALU_CYCLE_1) | instskip(NEXT) | instid1(SALU_CYCLE_1)
	s_or_b32 s28, s3, s28
	s_and_not1_b32 exec_lo, exec_lo, s28
	s_cbranch_execnz .LBB180_84
; %bb.85:                               ;   in Loop: Header=BB180_5 Depth=1
	s_or_b32 exec_lo, exec_lo, s28
	v_add_f32_e32 v20, -1.0, v20
	v_cmp_class_f32_e64 s4, v2, 0x204
	s_delay_alu instid0(VALU_DEP_2) | instskip(NEXT) | instid1(VALU_DEP_1)
	v_add_f32_e32 v20, v20, v21
	v_add_f32_e32 v8, v20, v8
	s_delay_alu instid0(VALU_DEP_1) | instskip(NEXT) | instid1(VALU_DEP_1)
	v_add_f32_e32 v8, v8, v30
	v_add_f32_e32 v8, v8, v24
	s_delay_alu instid0(VALU_DEP_1) | instskip(NEXT) | instid1(VALU_DEP_1)
	v_add_f32_e32 v8, v8, v25
	v_add_f32_e32 v8, v8, v29
	s_delay_alu instid0(VALU_DEP_1) | instskip(NEXT) | instid1(VALU_DEP_1)
	v_add_f32_e32 v8, v8, v32
	v_add_f32_e32 v8, v8, v15
	s_delay_alu instid0(VALU_DEP_1) | instskip(NEXT) | instid1(VALU_DEP_1)
	v_add_f32_e32 v8, v8, v31
	v_add_f32_e32 v8, v8, v22
	s_delay_alu instid0(VALU_DEP_1) | instskip(NEXT) | instid1(VALU_DEP_1)
	v_add_f32_e32 v20, v23, v8
	v_add_f32_e32 v23, 1.0, v20
	s_delay_alu instid0(VALU_DEP_1) | instskip(SKIP_2) | instid1(VALU_DEP_2)
	v_cvt_f64_f32_e32 v[24:25], v23
	v_frexp_mant_f32_e32 v15, v23
	v_add_f32_e32 v21, -1.0, v23
	v_cmp_gt_f32_e32 vcc_lo, 0x3f2aaaab, v15
	s_delay_alu instid0(VALU_DEP_2) | instskip(SKIP_1) | instid1(VALU_DEP_1)
	v_mov_b32_e32 v22, v21
	v_frexp_exp_i32_f64_e32 v8, v[24:25]
	v_subrev_co_ci_u32_e64 v8, null, 0, v8, vcc_lo
	s_delay_alu instid0(VALU_DEP_1) | instskip(NEXT) | instid1(VALU_DEP_4)
	v_sub_nc_u32_e32 v15, 0, v8
	v_pk_add_f32 v[24:25], v[20:21], v[22:23] neg_lo:[0,1] neg_hi:[0,1]
	v_cmp_neq_f32_e32 vcc_lo, 0x7f800000, v20
	v_cmp_neq_f32_e64 s3, -1.0, v20
	s_delay_alu instid0(VALU_DEP_4) | instskip(NEXT) | instid1(VALU_DEP_4)
	v_ldexp_f32 v21, v23, v15
	v_add_f32_e32 v22, 1.0, v25
	s_delay_alu instid0(VALU_DEP_1) | instskip(SKIP_1) | instid1(VALU_DEP_2)
	v_dual_add_f32 v25, 1.0, v21 :: v_dual_add_f32 v22, v24, v22
	v_add_f32_e32 v29, -1.0, v21
	v_add_f32_e32 v23, -1.0, v25
	s_delay_alu instid0(VALU_DEP_3) | instskip(NEXT) | instid1(VALU_DEP_2)
	v_ldexp_f32 v15, v22, v15
	v_dual_sub_f32 v22, v21, v23 :: v_dual_add_f32 v23, 1.0, v29
	s_delay_alu instid0(VALU_DEP_1) | instskip(NEXT) | instid1(VALU_DEP_1)
	v_dual_sub_f32 v21, v21, v23 :: v_dual_add_f32 v22, v15, v22
	v_add_f32_e32 v15, v15, v21
	s_delay_alu instid0(VALU_DEP_1) | instskip(NEXT) | instid1(VALU_DEP_3)
	v_add_f32_e32 v23, v29, v15
	v_add_f32_e32 v32, v25, v22
	s_delay_alu instid0(VALU_DEP_1) | instskip(SKIP_1) | instid1(TRANS32_DEP_1)
	v_rcp_f32_e32 v21, v32
	v_nop
	v_mul_f32_e32 v33, v23, v21
	v_sub_f32_e32 v25, v32, v25
	v_sub_f32_e32 v29, v23, v29
	s_delay_alu instid0(VALU_DEP_2) | instskip(NEXT) | instid1(VALU_DEP_4)
	v_sub_f32_e32 v34, v22, v25
	v_mul_f32_e32 v24, v32, v33
	s_delay_alu instid0(VALU_DEP_1) | instskip(NEXT) | instid1(VALU_DEP_1)
	v_dual_sub_f32 v15, v15, v29 :: v_dual_fma_f32 v30, v33, v32, -v24
	v_fmac_f32_e32 v30, v33, v34
	s_delay_alu instid0(VALU_DEP_1) | instskip(NEXT) | instid1(VALU_DEP_1)
	v_add_f32_e32 v22, v24, v30
	v_dual_sub_f32 v25, v23, v22 :: v_dual_mov_b32 v31, v22
	s_delay_alu instid0(VALU_DEP_1) | instskip(NEXT) | instid1(VALU_DEP_1)
	v_pk_add_f32 v[22:23], v[22:23], v[24:25] neg_lo:[0,1] neg_hi:[0,1]
	v_pk_add_f32 v[22:23], v[22:23], v[30:31] neg_lo:[0,1] neg_hi:[0,1]
	s_delay_alu instid0(VALU_DEP_1) | instskip(NEXT) | instid1(VALU_DEP_1)
	v_add_f32_e32 v15, v15, v23
	v_add_f32_e32 v15, v22, v15
	s_delay_alu instid0(VALU_DEP_1) | instskip(NEXT) | instid1(VALU_DEP_1)
	v_add_f32_e32 v23, v25, v15
	v_mul_f32_e32 v29, v21, v23
	s_delay_alu instid0(VALU_DEP_1) | instskip(NEXT) | instid1(VALU_DEP_1)
	v_mul_f32_e32 v30, v32, v29
	v_fma_f32 v24, v29, v32, -v30
	s_delay_alu instid0(VALU_DEP_1) | instskip(NEXT) | instid1(VALU_DEP_1)
	v_fmac_f32_e32 v24, v29, v34
	v_dual_add_f32 v22, v30, v24 :: v_dual_sub_f32 v32, v25, v23
	s_delay_alu instid0(VALU_DEP_1) | instskip(NEXT) | instid1(VALU_DEP_2)
	v_dual_sub_f32 v31, v23, v22 :: v_dual_mov_b32 v25, v22
	v_dual_add_f32 v15, v15, v32 :: v_dual_add_f32 v32, v33, v29
	s_delay_alu instid0(VALU_DEP_2) | instskip(NEXT) | instid1(VALU_DEP_1)
	v_pk_add_f32 v[22:23], v[22:23], v[30:31] neg_lo:[0,1] neg_hi:[0,1]
	v_pk_add_f32 v[22:23], v[22:23], v[24:25] neg_lo:[0,1] neg_hi:[0,1]
	s_delay_alu instid0(VALU_DEP_1) | instskip(NEXT) | instid1(VALU_DEP_1)
	v_add_f32_e32 v15, v15, v23
	v_dual_add_f32 v15, v22, v15 :: v_dual_sub_f32 v22, v32, v33
	s_delay_alu instid0(VALU_DEP_1) | instskip(NEXT) | instid1(VALU_DEP_1)
	v_dual_sub_f32 v22, v29, v22 :: v_dual_add_f32 v15, v31, v15
	v_mul_f32_e32 v15, v21, v15
	s_delay_alu instid0(VALU_DEP_1) | instskip(SKIP_1) | instid1(VALU_DEP_2)
	v_add_f32_e32 v21, v22, v15
	v_cvt_f32_i32_e32 v22, v8
	v_add_f32_e32 v29, v32, v21
	s_delay_alu instid0(VALU_DEP_1) | instskip(SKIP_1) | instid1(VALU_DEP_2)
	v_mul_f32_e32 v15, v29, v29
	v_ldexp_f32 v31, v29, 1
	v_dual_fmaak_f32 v24, s19, v15, 0x3ecc95a3 :: v_dual_mul_f32 v23, v29, v15
	s_delay_alu instid0(VALU_DEP_1) | instskip(NEXT) | instid1(VALU_DEP_1)
	v_fmaak_f32 v15, v15, v24, 0x3f2aaada
	v_pk_mul_f32 v[24:25], v[22:23], v[14:15]
	s_delay_alu instid0(VALU_DEP_1) | instskip(NEXT) | instid1(VALU_DEP_1)
	v_fma_f32 v30, 0x3f317218, v22, -v24
	v_fmac_f32_e32 v30, 0xb102e308, v22
	s_delay_alu instid0(VALU_DEP_1) | instskip(SKIP_1) | instid1(VALU_DEP_1)
	v_pk_add_f32 v[22:23], v[24:25], v[30:31]
	v_dual_sub_f32 v8, v29, v32 :: v_dual_mov_b32 v32, v24
	v_dual_sub_f32 v15, v23, v31 :: v_dual_sub_f32 v8, v21, v8
	s_delay_alu instid0(VALU_DEP_3) | instskip(NEXT) | instid1(VALU_DEP_2)
	v_dual_mov_b32 v31, v22 :: v_dual_mov_b32 v40, v23
	v_sub_f32_e32 v15, v25, v15
	s_delay_alu instid0(VALU_DEP_3) | instskip(SKIP_1) | instid1(VALU_DEP_2)
	v_ldexp_f32 v8, v8, 1
	v_pk_add_f32 v[24:25], v[22:23], v[24:25] neg_lo:[0,1] neg_hi:[0,1]
	v_add_f32_e32 v33, v8, v15
	v_max_num_f32_e64 v8, |v3|, |v3|
	v_max_num_f32_e64 v15, |v2|, |v2|
	s_delay_alu instid0(VALU_DEP_1) | instskip(NEXT) | instid1(VALU_DEP_4)
	v_max_num_f32_e32 v21, v15, v8
	v_pk_add_f32 v[34:35], v[22:23], v[32:33]
	s_delay_alu instid0(VALU_DEP_2) | instskip(NEXT) | instid1(VALU_DEP_2)
	v_frexp_exp_i32_f32_e32 v29, v21
	v_mov_b32_e32 v25, v35
	v_frexp_mant_f32_e32 v21, v21
	s_delay_alu instid0(VALU_DEP_2) | instskip(SKIP_2) | instid1(VALU_DEP_4)
	v_pk_add_f32 v[36:37], v[30:31], v[24:25]
	v_min_num_f32_e32 v15, v15, v8
	v_pk_add_f32 v[24:25], v[30:31], v[24:25] neg_lo:[0,1] neg_hi:[0,1]
	v_rcp_f32_e32 v21, v21
	s_delay_alu instid0(VALU_DEP_3) | instskip(NEXT) | instid1(VALU_DEP_3)
	v_mov_b32_e32 v8, v37
	v_frexp_exp_i32_f32_e32 v32, v15
	v_frexp_mant_f32_e32 v42, v15
	v_mov_b32_e32 v25, v37
	s_delay_alu instid0(VALU_DEP_4) | instskip(NEXT) | instid1(VALU_DEP_4)
	v_pk_add_f32 v[38:39], v[8:9], v[22:23] neg_lo:[0,1] neg_hi:[0,1]
	v_dual_mov_b32 v36, v35 :: v_dual_sub_nc_u32 v29, v32, v29
	v_dual_mov_b32 v23, v22 :: v_dual_mov_b32 v22, v33
	s_delay_alu instid0(VALU_DEP_3) | instskip(NEXT) | instid1(VALU_DEP_1)
	v_dual_mov_b32 v41, v38 :: v_dual_mov_b32 v15, v38
	v_pk_add_f32 v[30:31], v[36:37], v[40:41] neg_lo:[0,1] neg_hi:[0,1]
	s_delay_alu instid0(VALU_DEP_2) | instskip(SKIP_1) | instid1(VALU_DEP_3)
	v_pk_add_f32 v[32:33], v[34:35], v[14:15] neg_lo:[0,1] neg_hi:[0,1]
	v_mov_b32_e32 v32, v24
	v_pk_add_f32 v[22:23], v[22:23], v[30:31] neg_lo:[0,1] neg_hi:[0,1]
	s_delay_alu instid0(VALU_DEP_1) | instskip(NEXT) | instid1(VALU_DEP_1)
	v_pk_add_f32 v[30:31], v[32:33], v[22:23]
	v_dual_mul_f32 v21, v42, v21 :: v_dual_mov_b32 v32, v31
	s_delay_alu instid0(VALU_DEP_1) | instskip(NEXT) | instid1(VALU_DEP_2)
	v_ldexp_f32 v15, v21, v29
	v_pk_add_f32 v[32:33], v[30:31], v[32:33]
	s_delay_alu instid0(VALU_DEP_2) | instskip(NEXT) | instid1(VALU_DEP_2)
	v_mul_f32_e32 v21, v15, v15
	v_pk_add_f32 v[34:35], v[8:9], v[32:33]
	s_delay_alu instid0(VALU_DEP_1) | instskip(NEXT) | instid1(VALU_DEP_1)
	v_mov_b32_e32 v31, v34
	v_pk_add_f32 v[36:37], v[30:31], v[24:25] neg_lo:[0,1] neg_hi:[0,1]
	s_delay_alu instid0(VALU_DEP_1) | instskip(NEXT) | instid1(VALU_DEP_1)
	v_sub_f32_e32 v25, v30, v36
	v_sub_f32_e32 v24, v24, v25
	v_fmaak_f32 v23, s20, v21, 0xbc7a590c
	s_delay_alu instid0(VALU_DEP_1) | instskip(NEXT) | instid1(VALU_DEP_1)
	v_fmaak_f32 v23, v21, v23, 0x3d29fb3f
	v_dual_fmaak_f32 v8, v21, v23, 0xbd97d4d7 :: v_dual_mov_b32 v23, v32
	s_delay_alu instid0(VALU_DEP_1) | instskip(NEXT) | instid1(VALU_DEP_2)
	v_fmaak_f32 v8, v21, v8, 0x3dd931b2
	v_pk_add_f32 v[22:23], v[22:23], v[36:37] neg_lo:[0,1] neg_hi:[0,1]
	s_delay_alu instid0(VALU_DEP_1) | instskip(NEXT) | instid1(VALU_DEP_3)
	v_add_f32_e32 v22, v22, v24
	v_fmaak_f32 v8, v21, v8, 0xbe1160e6
	s_delay_alu instid0(VALU_DEP_1) | instskip(NEXT) | instid1(VALU_DEP_1)
	v_fmaak_f32 v8, v21, v8, 0x3e4cb8bf
	v_fmaak_f32 v8, v21, v8, 0xbeaaaa62
	s_delay_alu instid0(VALU_DEP_1) | instskip(NEXT) | instid1(VALU_DEP_1)
	v_dual_mul_f32 v8, v21, v8 :: v_dual_add_f32 v21, v22, v23
	v_dual_fmac_f32 v15, v15, v8 :: v_dual_add_f32 v8, v34, v21
	s_delay_alu instid0(VALU_DEP_1) | instskip(NEXT) | instid1(VALU_DEP_2)
	v_sub_f32_e32 v21, 0x3fc90fdb, v15
	v_cndmask_b32_e32 v8, 0x7f800000, v8, vcc_lo
	v_cmp_gt_i32_e32 vcc_lo, 0, v2
	s_delay_alu instid0(VALU_DEP_3) | instskip(SKIP_2) | instid1(VALU_DEP_3)
	v_cndmask_b32_e64 v15, v15, v21, s2
	v_cndmask_b32_e64 v21, 0, 0x40490fdb, vcc_lo
	v_cmp_ngt_f32_e32 vcc_lo, -1.0, v20
	v_sub_f32_e32 v22, 0x40490fdb, v15
	v_cndmask_b32_e32 v8, 0x7fc00000, v8, vcc_lo
	v_cmp_gt_f32_e32 vcc_lo, 0, v2
	s_delay_alu instid0(VALU_DEP_2) | instskip(NEXT) | instid1(VALU_DEP_4)
	v_cndmask_b32_e64 v8, 0xff800000, v8, s3
	v_cndmask_b32_e32 v15, v15, v22, vcc_lo
	v_cndmask_b32_e32 v22, 0x3f490fdb, v26, vcc_lo
	v_cmp_gt_f32_e64 vcc_lo, 0x33800000, |v20|
	v_cmp_class_f32_e64 s3, v3, 0x204
	v_cndmask_b32_e32 v8, v8, v20, vcc_lo
	v_cmp_eq_f32_e32 vcc_lo, 0, v3
	v_cndmask_b32_e32 v15, v15, v21, vcc_lo
	s_and_b32 vcc_lo, s4, s3
	s_delay_alu instid0(VALU_DEP_1)
	v_dual_cndmask_b32 v29, v15, v22 :: v_dual_mul_f32 v8, 0.5, v8
.LBB180_86:                             ;   in Loop: Header=BB180_5 Depth=1
	s_or_b32 exec_lo, exec_lo, s27
.LBB180_87:                             ;   in Loop: Header=BB180_5 Depth=1
	s_delay_alu instid0(SALU_CYCLE_1)
	s_or_b32 exec_lo, exec_lo, s26
.LBB180_88:                             ;   in Loop: Header=BB180_5 Depth=1
	s_and_not1_saveexec_b32 s4, s25
	s_cbranch_execz .LBB180_90
; %bb.89:                               ;   in Loop: Header=BB180_5 Depth=1
	v_max_num_f32_e64 v8, |v3|, |v3|
	v_max_num_f32_e64 v15, |v2|, |v2|
	v_cmp_gt_i32_e64 s3, 0, v2
	v_cmp_class_f32_e64 s5, v2, 0x204
	v_cmp_class_f32_e64 s6, v3, 0x204
	s_delay_alu instid0(VALU_DEP_4) | instskip(NEXT) | instid1(VALU_DEP_1)
	v_dual_max_num_f32 v22, v15, v8 :: v_dual_min_num_f32 v8, v15, v8
	v_cvt_f64_f32_e32 v[20:21], v22
	v_frexp_exp_i32_f32_e32 v15, v22
	s_delay_alu instid0(VALU_DEP_3) | instskip(SKIP_4) | instid1(VALU_DEP_1)
	v_frexp_exp_i32_f32_e32 v23, v8
	v_frexp_mant_f32_e32 v8, v8
	v_cmp_neq_f32_e32 vcc_lo, 0x7f800000, v22
	v_frexp_exp_i32_f64_e32 v20, v[20:21]
	v_frexp_mant_f32_e32 v21, v22
	v_rcp_f32_e32 v21, v21
	v_nop
	s_delay_alu instid0(TRANS32_DEP_1) | instskip(NEXT) | instid1(VALU_DEP_1)
	v_dual_mul_f32 v8, v8, v21 :: v_dual_sub_nc_u32 v15, v23, v15
	v_ldexp_f32 v8, v8, v15
	s_delay_alu instid0(VALU_DEP_1) | instskip(NEXT) | instid1(VALU_DEP_1)
	v_mul_f32_e32 v21, v8, v8
	v_dual_fmaak_f32 v24, s20, v21, 0xbc7a590c :: v_dual_sub_nc_u32 v15, 0, v20
	s_delay_alu instid0(VALU_DEP_1) | instskip(SKIP_1) | instid1(VALU_DEP_2)
	v_ldexp_f32 v23, |v3|, v15
	v_ldexp_f32 v15, |v2|, v15
	v_dual_mul_f32 v23, v23, v23 :: v_dual_fmaak_f32 v24, v21, v24, 0x3d29fb3f
	s_delay_alu instid0(VALU_DEP_1) | instskip(NEXT) | instid1(VALU_DEP_2)
	v_fmac_f32_e32 v23, v15, v15
	v_fmaak_f32 v15, v21, v24, 0xbd97d4d7
	s_delay_alu instid0(VALU_DEP_2) | instskip(NEXT) | instid1(VALU_DEP_1)
	v_sqrt_f32_e32 v23, v23
	v_fmaak_f32 v15, v21, v15, 0x3dd931b2
	s_delay_alu instid0(VALU_DEP_1) | instskip(NEXT) | instid1(TRANS32_DEP_1)
	v_fmaak_f32 v15, v21, v15, 0xbe1160e6
	v_ldexp_f32 v20, v23, v20
	s_delay_alu instid0(VALU_DEP_2) | instskip(NEXT) | instid1(VALU_DEP_1)
	v_fmaak_f32 v15, v21, v15, 0x3e4cb8bf
	v_fmaak_f32 v15, v21, v15, 0xbeaaaa62
	s_delay_alu instid0(VALU_DEP_1) | instskip(NEXT) | instid1(VALU_DEP_1)
	v_dual_cndmask_b32 v20, 0x7f800000, v20 :: v_dual_mul_f32 v15, v21, v15
	v_cmp_gt_f32_e32 vcc_lo, 0x800000, v20
	v_cndmask_b32_e64 v22, 0, 32, vcc_lo
	v_cndmask_b32_e64 v23, 0, 0x41b17218, vcc_lo
	s_delay_alu instid0(VALU_DEP_2) | instskip(NEXT) | instid1(VALU_DEP_1)
	v_ldexp_f32 v20, v20, v22
	v_log_f32_e32 v20, v20
	v_nop
	s_delay_alu instid0(TRANS32_DEP_1) | instskip(SKIP_1) | instid1(VALU_DEP_2)
	v_dual_fmac_f32 v8, v8, v15 :: v_dual_mul_f32 v15, 0x3f317217, v20
	v_cmp_gt_f32_e64 vcc_lo, 0x7f800000, |v20|
	v_fma_f32 v15, 0x3f317217, v20, -v15
	s_delay_alu instid0(VALU_DEP_1) | instskip(NEXT) | instid1(VALU_DEP_1)
	v_fmac_f32_e32 v15, 0x3377d1cf, v20
	v_fmac_f32_e32 v15, 0x3f317217, v20
	s_delay_alu instid0(VALU_DEP_1) | instskip(SKIP_2) | instid1(VALU_DEP_2)
	v_cndmask_b32_e32 v15, v20, v15, vcc_lo
	v_sub_f32_e32 v21, 0x3fc90fdb, v8
	v_cmp_eq_f32_e32 vcc_lo, 0, v3
	v_cndmask_b32_e64 v8, v8, v21, s2
	v_cndmask_b32_e64 v21, 0, 0x40490fdb, s3
	v_cmp_gt_f32_e64 s3, 0, v2
	s_delay_alu instid0(VALU_DEP_3) | instskip(NEXT) | instid1(VALU_DEP_1)
	v_sub_f32_e32 v22, 0x40490fdb, v8
	v_cndmask_b32_e64 v8, v8, v22, s3
	v_cndmask_b32_e64 v22, 0x3f490fdb, v26, s3
	s_delay_alu instid0(VALU_DEP_2) | instskip(SKIP_1) | instid1(VALU_DEP_1)
	v_cndmask_b32_e32 v20, v8, v21, vcc_lo
	s_and_b32 vcc_lo, s5, s6
	v_dual_cndmask_b32 v29, v20, v22 :: v_dual_sub_f32 v8, v15, v23
.LBB180_90:                             ;   in Loop: Header=BB180_5 Depth=1
	s_or_b32 exec_lo, exec_lo, s4
                                        ; implicit-def: $vgpr20
.LBB180_91:                             ;   in Loop: Header=BB180_5 Depth=1
	s_and_not1_saveexec_b32 s4, s24
	s_cbranch_execz .LBB180_97
; %bb.92:                               ;   in Loop: Header=BB180_5 Depth=1
                                        ; implicit-def: $vgpr8
                                        ; implicit-def: $vgpr29
	s_mov_b32 s3, exec_lo
	v_cmpx_ngt_f32_e32 0x1fec1e4a, v20
	s_xor_b32 s5, exec_lo, s3
	s_cbranch_execz .LBB180_94
; %bb.93:                               ;   in Loop: Header=BB180_5 Depth=1
	v_pk_mul_f32 v[20:21], v[20:21], v[20:21]
	v_cmp_class_f32_e64 s6, v2, 0x204
	s_delay_alu instid0(VALU_DEP_2) | instskip(SKIP_1) | instid1(VALU_DEP_2)
	v_add_f32_e32 v23, 1.0, v20
	v_cmp_neq_f32_e64 s3, 0x7f800000, v20
	v_add_f32_e32 v21, -1.0, v23
	s_delay_alu instid0(VALU_DEP_1) | instskip(SKIP_2) | instid1(VALU_DEP_1)
	v_mov_b32_e32 v22, v21
	v_cvt_f64_f32_e32 v[24:25], v23
	v_frexp_mant_f32_e32 v15, v23
	v_cmp_gt_f32_e32 vcc_lo, 0x3f2aaaab, v15
	s_delay_alu instid0(VALU_DEP_3) | instskip(NEXT) | instid1(VALU_DEP_1)
	v_frexp_exp_i32_f64_e32 v8, v[24:25]
	v_subrev_co_ci_u32_e64 v8, null, 0, v8, vcc_lo
	v_cmp_gt_i32_e32 vcc_lo, 0, v2
	s_delay_alu instid0(VALU_DEP_2) | instskip(SKIP_1) | instid1(VALU_DEP_2)
	v_sub_nc_u32_e32 v15, 0, v8
	v_pk_add_f32 v[24:25], v[20:21], v[22:23] neg_lo:[0,1] neg_hi:[0,1]
	v_ldexp_f32 v21, v23, v15
	s_delay_alu instid0(VALU_DEP_2) | instskip(NEXT) | instid1(VALU_DEP_2)
	v_add_f32_e32 v22, 1.0, v25
	v_add_f32_e32 v25, 1.0, v21
	s_delay_alu instid0(VALU_DEP_1) | instskip(SKIP_1) | instid1(VALU_DEP_2)
	v_dual_add_f32 v23, -1.0, v25 :: v_dual_add_f32 v22, v24, v22
	v_add_f32_e32 v29, -1.0, v21
	v_ldexp_f32 v15, v22, v15
	s_delay_alu instid0(VALU_DEP_2) | instskip(NEXT) | instid1(VALU_DEP_1)
	v_dual_sub_f32 v22, v21, v23 :: v_dual_add_f32 v23, 1.0, v29
	v_add_f32_e32 v22, v15, v22
	s_delay_alu instid0(VALU_DEP_1) | instskip(NEXT) | instid1(VALU_DEP_3)
	v_add_f32_e32 v32, v25, v22
	v_sub_f32_e32 v21, v21, v23
	s_delay_alu instid0(VALU_DEP_1) | instskip(NEXT) | instid1(VALU_DEP_3)
	v_add_f32_e32 v15, v15, v21
	v_rcp_f32_e32 v21, v32
	v_sub_f32_e32 v25, v25, v32
	s_delay_alu instid0(VALU_DEP_1)
	v_dual_add_f32 v23, v29, v15 :: v_dual_add_f32 v34, v22, v25
	s_delay_alu instid0(TRANS32_DEP_1) | instid1(VALU_DEP_1)
	v_dual_mul_f32 v33, v23, v21 :: v_dual_sub_f32 v29, v29, v23
	s_delay_alu instid0(VALU_DEP_1) | instskip(NEXT) | instid1(VALU_DEP_1)
	v_mul_f32_e32 v24, v32, v33
	v_dual_add_f32 v15, v15, v29 :: v_dual_fma_f32 v30, v33, v32, -v24
	s_delay_alu instid0(VALU_DEP_1) | instskip(NEXT) | instid1(VALU_DEP_1)
	v_fmac_f32_e32 v30, v33, v34
	v_add_f32_e32 v22, v24, v30
	s_delay_alu instid0(VALU_DEP_1) | instskip(NEXT) | instid1(VALU_DEP_1)
	v_dual_sub_f32 v25, v23, v22 :: v_dual_mov_b32 v31, v22
	v_pk_add_f32 v[22:23], v[22:23], v[24:25] neg_lo:[0,1] neg_hi:[0,1]
	s_delay_alu instid0(VALU_DEP_1) | instskip(NEXT) | instid1(VALU_DEP_1)
	v_pk_add_f32 v[22:23], v[22:23], v[30:31] neg_lo:[0,1] neg_hi:[0,1]
	v_add_f32_e32 v15, v15, v23
	s_delay_alu instid0(VALU_DEP_1) | instskip(NEXT) | instid1(VALU_DEP_1)
	v_add_f32_e32 v15, v22, v15
	v_add_f32_e32 v23, v25, v15
	s_delay_alu instid0(VALU_DEP_1) | instskip(NEXT) | instid1(VALU_DEP_1)
	v_mul_f32_e32 v29, v21, v23
	v_mul_f32_e32 v30, v32, v29
	s_delay_alu instid0(VALU_DEP_1) | instskip(NEXT) | instid1(VALU_DEP_1)
	v_fma_f32 v24, v29, v32, -v30
	v_fmac_f32_e32 v24, v29, v34
	s_delay_alu instid0(VALU_DEP_1) | instskip(NEXT) | instid1(VALU_DEP_1)
	v_dual_add_f32 v22, v30, v24 :: v_dual_sub_f32 v32, v25, v23
	v_dual_sub_f32 v31, v23, v22 :: v_dual_mov_b32 v25, v22
	s_delay_alu instid0(VALU_DEP_2) | instskip(NEXT) | instid1(VALU_DEP_2)
	v_add_f32_e32 v15, v15, v32
	v_pk_add_f32 v[22:23], v[22:23], v[30:31] neg_lo:[0,1] neg_hi:[0,1]
	s_delay_alu instid0(VALU_DEP_1) | instskip(NEXT) | instid1(VALU_DEP_1)
	v_pk_add_f32 v[22:23], v[22:23], v[24:25] neg_lo:[0,1] neg_hi:[0,1]
	v_dual_add_f32 v15, v15, v23 :: v_dual_add_f32 v32, v33, v29
	s_delay_alu instid0(VALU_DEP_1) | instskip(NEXT) | instid1(VALU_DEP_1)
	v_dual_add_f32 v15, v22, v15 :: v_dual_sub_f32 v22, v32, v33
	v_dual_add_f32 v15, v31, v15 :: v_dual_sub_f32 v22, v29, v22
	s_delay_alu instid0(VALU_DEP_1) | instskip(NEXT) | instid1(VALU_DEP_1)
	v_mul_f32_e32 v15, v21, v15
	v_add_f32_e32 v21, v22, v15
	v_cvt_f32_i32_e32 v22, v8
	s_delay_alu instid0(VALU_DEP_2) | instskip(NEXT) | instid1(VALU_DEP_1)
	v_add_f32_e32 v29, v32, v21
	v_mul_f32_e32 v15, v29, v29
	v_ldexp_f32 v31, v29, 1
	s_delay_alu instid0(VALU_DEP_2) | instskip(NEXT) | instid1(VALU_DEP_1)
	v_dual_fmaak_f32 v24, s19, v15, 0x3ecc95a3 :: v_dual_mul_f32 v23, v29, v15
	v_fmaak_f32 v15, v15, v24, 0x3f2aaada
	s_delay_alu instid0(VALU_DEP_1) | instskip(NEXT) | instid1(VALU_DEP_1)
	v_pk_mul_f32 v[24:25], v[22:23], v[14:15]
	v_fma_f32 v30, 0x3f317218, v22, -v24
	s_delay_alu instid0(VALU_DEP_1) | instskip(NEXT) | instid1(VALU_DEP_1)
	v_fmac_f32_e32 v30, 0xb102e308, v22
	v_pk_add_f32 v[22:23], v[24:25], v[30:31]
	v_sub_f32_e32 v8, v29, v32
	v_max_num_f32_e64 v29, |v2|, |v2|
	s_delay_alu instid0(VALU_DEP_3) | instskip(NEXT) | instid1(VALU_DEP_3)
	v_dual_mov_b32 v32, v24 :: v_dual_sub_f32 v15, v23, v31
	v_dual_sub_f32 v8, v21, v8 :: v_dual_mov_b32 v31, v22
	v_max_num_f32_e64 v21, |v3|, |v3|
	s_delay_alu instid0(VALU_DEP_3) | instskip(NEXT) | instid1(VALU_DEP_3)
	v_dual_mov_b32 v40, v23 :: v_dual_sub_f32 v15, v25, v15
	v_ldexp_f32 v8, v8, 1
	v_pk_add_f32 v[24:25], v[22:23], v[24:25] neg_lo:[0,1] neg_hi:[0,1]
	s_delay_alu instid0(VALU_DEP_2) | instskip(SKIP_1) | instid1(VALU_DEP_2)
	v_dual_add_f32 v33, v8, v15 :: v_dual_max_num_f32 v8, v29, v21
	v_min_num_f32_e32 v21, v29, v21
	v_pk_add_f32 v[34:35], v[22:23], v[32:33]
	s_delay_alu instid0(VALU_DEP_3) | instskip(SKIP_1) | instid1(VALU_DEP_4)
	v_frexp_mant_f32_e32 v15, v8
	v_frexp_exp_i32_f32_e32 v29, v8
	v_frexp_exp_i32_f32_e32 v32, v21
	v_frexp_mant_f32_e32 v21, v21
	v_mov_b32_e32 v25, v35
	v_rcp_f32_e32 v15, v15
	s_delay_alu instid0(VALU_DEP_3) | instskip(NEXT) | instid1(VALU_DEP_2)
	v_sub_nc_u32_e32 v29, v32, v29
	v_pk_add_f32 v[36:37], v[30:31], v[24:25]
	v_mov_b32_e32 v36, v35
	v_pk_add_f32 v[24:25], v[30:31], v[24:25] neg_lo:[0,1] neg_hi:[0,1]
	s_delay_alu instid0(TRANS32_DEP_1) | instskip(NEXT) | instid1(VALU_DEP_4)
	v_mul_f32_e32 v15, v21, v15
	v_mov_b32_e32 v8, v37
	s_delay_alu instid0(VALU_DEP_2) | instskip(NEXT) | instid1(VALU_DEP_2)
	v_ldexp_f32 v21, v15, v29
	v_pk_add_f32 v[38:39], v[8:9], v[22:23] neg_lo:[0,1] neg_hi:[0,1]
	v_dual_mov_b32 v23, v22 :: v_dual_mov_b32 v22, v33
	s_delay_alu instid0(VALU_DEP_2) | instskip(SKIP_1) | instid1(VALU_DEP_2)
	v_dual_mul_f32 v29, v21, v21 :: v_dual_mov_b32 v41, v38
	v_mov_b32_e32 v15, v38
	v_pk_add_f32 v[30:31], v[36:37], v[40:41] neg_lo:[0,1] neg_hi:[0,1]
	s_delay_alu instid0(VALU_DEP_2) | instskip(SKIP_1) | instid1(VALU_DEP_3)
	v_pk_add_f32 v[32:33], v[34:35], v[14:15] neg_lo:[0,1] neg_hi:[0,1]
	v_mov_b32_e32 v32, v24
	v_pk_add_f32 v[22:23], v[22:23], v[30:31] neg_lo:[0,1] neg_hi:[0,1]
	s_delay_alu instid0(VALU_DEP_1) | instskip(NEXT) | instid1(VALU_DEP_1)
	v_pk_add_f32 v[30:31], v[32:33], v[22:23]
	v_dual_fmaak_f32 v15, s20, v29, 0xbc7a590c :: v_dual_mov_b32 v32, v31
	s_delay_alu instid0(VALU_DEP_1) | instskip(NEXT) | instid1(VALU_DEP_2)
	v_fmaak_f32 v15, v29, v15, 0x3d29fb3f
	v_pk_add_f32 v[32:33], v[30:31], v[32:33]
	s_delay_alu instid0(VALU_DEP_1) | instskip(NEXT) | instid1(VALU_DEP_2)
	v_dual_mov_b32 v25, v37 :: v_dual_mov_b32 v23, v32
	v_pk_add_f32 v[34:35], v[8:9], v[32:33]
	s_delay_alu instid0(VALU_DEP_4) | instskip(NEXT) | instid1(VALU_DEP_2)
	v_fmaak_f32 v15, v29, v15, 0xbd97d4d7
	v_mov_b32_e32 v31, v34
	s_delay_alu instid0(VALU_DEP_2) | instskip(NEXT) | instid1(VALU_DEP_2)
	v_fmaak_f32 v15, v29, v15, 0x3dd931b2
	v_pk_add_f32 v[36:37], v[30:31], v[24:25] neg_lo:[0,1] neg_hi:[0,1]
	s_delay_alu instid0(VALU_DEP_2) | instskip(NEXT) | instid1(VALU_DEP_2)
	v_fmaak_f32 v8, v29, v15, 0xbe1160e6
	v_pk_add_f32 v[22:23], v[22:23], v[36:37] neg_lo:[0,1] neg_hi:[0,1]
	v_sub_f32_e32 v15, v30, v36
	s_delay_alu instid0(VALU_DEP_1) | instskip(NEXT) | instid1(VALU_DEP_1)
	v_dual_fmaak_f32 v8, v29, v8, 0x3e4cb8bf :: v_dual_sub_f32 v15, v24, v15
	v_fmaak_f32 v8, v29, v8, 0xbeaaaa62
	s_delay_alu instid0(VALU_DEP_1) | instskip(NEXT) | instid1(VALU_DEP_1)
	v_mul_f32_e32 v8, v29, v8
	v_dual_fmac_f32 v21, v21, v8 :: v_dual_add_f32 v8, v22, v15
	s_delay_alu instid0(VALU_DEP_1) | instskip(NEXT) | instid1(VALU_DEP_1)
	v_dual_sub_f32 v15, 0x3fc90fdb, v21 :: v_dual_add_f32 v8, v8, v23
	v_cndmask_b32_e64 v15, v21, v15, s2
	v_cndmask_b32_e64 v21, 0, 0x40490fdb, vcc_lo
	s_delay_alu instid0(VALU_DEP_3) | instskip(SKIP_1) | instid1(VALU_DEP_4)
	v_add_f32_e32 v8, v34, v8
	v_cmp_gt_f32_e32 vcc_lo, 0, v2
	v_sub_f32_e32 v22, 0x40490fdb, v15
	s_delay_alu instid0(VALU_DEP_3) | instskip(SKIP_1) | instid1(VALU_DEP_3)
	v_cndmask_b32_e64 v8, 0x7f800000, v8, s3
	v_cmp_class_f32_e64 s3, v3, 0x204
	v_cndmask_b32_e32 v15, v15, v22, vcc_lo
	v_cndmask_b32_e32 v22, 0x3f490fdb, v26, vcc_lo
	v_cmp_gt_f32_e64 vcc_lo, 0x33800000, |v20|
	v_cndmask_b32_e32 v8, v8, v20, vcc_lo
	v_cmp_eq_f32_e32 vcc_lo, 0, v3
                                        ; implicit-def: $vgpr20
	s_delay_alu instid0(VALU_DEP_2) | instskip(SKIP_1) | instid1(VALU_DEP_1)
	v_dual_mul_f32 v8, 0.5, v8 :: v_dual_cndmask_b32 v15, v15, v21
	s_and_b32 vcc_lo, s6, s3
	v_cndmask_b32_e32 v29, v15, v22, vcc_lo
.LBB180_94:                             ;   in Loop: Header=BB180_5 Depth=1
	s_and_not1_saveexec_b32 s5, s5
	s_cbranch_execz .LBB180_96
; %bb.95:                               ;   in Loop: Header=BB180_5 Depth=1
	v_max_num_f32_e64 v8, |v3|, |v3|
	v_max_num_f32_e64 v15, |v2|, |v2|
	v_cmp_eq_f32_e64 s3, 0, v3
	v_cmp_gt_i32_e32 vcc_lo, 0, v2
	v_cmp_class_f32_e64 s6, v2, 0x204
	v_cmp_class_f32_e64 s7, v3, 0x204
	v_dual_max_num_f32 v21, v15, v8 :: v_dual_min_num_f32 v8, v15, v8
	s_delay_alu instid0(VALU_DEP_1) | instskip(SKIP_1) | instid1(VALU_DEP_2)
	v_frexp_mant_f32_e32 v22, v21
	v_frexp_exp_i32_f32_e32 v15, v21
	v_rcp_f32_e32 v21, v22
	v_nop
	v_frexp_exp_i32_f32_e32 v22, v8
	v_frexp_mant_f32_e32 v8, v8
	s_delay_alu instid0(TRANS32_DEP_1) | instid1(VALU_DEP_1)
	v_dual_mul_f32 v8, v8, v21 :: v_dual_sub_nc_u32 v15, v22, v15
	s_delay_alu instid0(VALU_DEP_1) | instskip(NEXT) | instid1(VALU_DEP_1)
	v_ldexp_f32 v8, v8, v15
	v_mul_f32_e32 v15, v8, v8
	s_delay_alu instid0(VALU_DEP_1) | instskip(NEXT) | instid1(VALU_DEP_1)
	v_fmaak_f32 v21, s20, v15, 0xbc7a590c
	v_fmaak_f32 v21, v15, v21, 0x3d29fb3f
	s_delay_alu instid0(VALU_DEP_1) | instskip(NEXT) | instid1(VALU_DEP_1)
	v_fmaak_f32 v21, v15, v21, 0xbd97d4d7
	v_fmaak_f32 v21, v15, v21, 0x3dd931b2
	;; [unrolled: 3-line block ×3, first 2 shown]
	s_delay_alu instid0(VALU_DEP_1) | instskip(NEXT) | instid1(VALU_DEP_1)
	v_fmaak_f32 v21, v15, v21, 0xbeaaaa62
	v_mul_f32_e32 v15, v15, v21
	v_cndmask_b32_e64 v21, 0, 0x40490fdb, vcc_lo
	v_cmp_gt_f32_e32 vcc_lo, 0, v2
	v_cndmask_b32_e32 v22, 0x3f490fdb, v26, vcc_lo
	s_delay_alu instid0(VALU_DEP_4) | instskip(NEXT) | instid1(VALU_DEP_1)
	v_fmac_f32_e32 v8, v8, v15
	v_sub_f32_e32 v15, 0x3fc90fdb, v8
	s_delay_alu instid0(VALU_DEP_1) | instskip(NEXT) | instid1(VALU_DEP_1)
	v_cndmask_b32_e64 v8, v8, v15, s2
	v_sub_f32_e32 v15, 0x40490fdb, v8
	s_delay_alu instid0(VALU_DEP_1) | instskip(SKIP_1) | instid1(VALU_DEP_1)
	v_dual_cndmask_b32 v8, v8, v15 :: v_dual_mul_f32 v15, 0.5, v20
	s_and_b32 vcc_lo, s6, s7
	v_cndmask_b32_e64 v21, v8, v21, s3
	s_delay_alu instid0(VALU_DEP_1)
	v_dual_mul_f32 v8, v20, v15 :: v_dual_cndmask_b32 v29, v21, v22
.LBB180_96:                             ;   in Loop: Header=BB180_5 Depth=1
	s_or_b32 exec_lo, exec_lo, s5
.LBB180_97:                             ;   in Loop: Header=BB180_5 Depth=1
	s_delay_alu instid0(SALU_CYCLE_1)
	s_or_b32 exec_lo, exec_lo, s4
.LBB180_98:                             ;   in Loop: Header=BB180_5 Depth=1
	s_and_not1_saveexec_b32 s4, s23
	s_cbranch_execz .LBB180_100
; %bb.99:                               ;   in Loop: Header=BB180_5 Depth=1
	v_div_scale_f32 v8, null, 0x402df854, 0x402df854, v2
	v_div_scale_f32 v15, null, 0x402df854, 0x402df854, v3
	v_div_scale_f32 v24, vcc_lo, v2, 0x402df854, v2
	s_delay_alu instid0(VALU_DEP_3) | instskip(NEXT) | instid1(VALU_DEP_2)
	v_rcp_f32_e32 v20, v8
	v_rcp_f32_e32 v21, v15
	v_cmp_class_f32_e64 s5, v3, 0x204
	s_delay_alu instid0(TRANS32_DEP_2) | instskip(NEXT) | instid1(TRANS32_DEP_1)
	v_fma_f32 v22, -v8, v20, 1.0
	v_fma_f32 v23, -v15, v21, 1.0
	s_delay_alu instid0(VALU_DEP_1) | instskip(SKIP_1) | instid1(VALU_DEP_1)
	v_dual_fmac_f32 v20, v22, v20 :: v_dual_fmac_f32 v21, v23, v21
	v_div_scale_f32 v22, s3, v3, 0x402df854, v3
	v_dual_mul_f32 v23, v24, v20 :: v_dual_mul_f32 v25, v22, v21
	s_delay_alu instid0(VALU_DEP_1) | instskip(NEXT) | instid1(VALU_DEP_1)
	v_dual_fma_f32 v29, -v8, v23, v24 :: v_dual_fma_f32 v30, -v15, v25, v22
	v_dual_fmac_f32 v23, v29, v20 :: v_dual_fmac_f32 v25, v30, v21
	s_delay_alu instid0(VALU_DEP_1) | instskip(NEXT) | instid1(VALU_DEP_1)
	v_dual_fma_f32 v8, -v8, v23, v24 :: v_dual_fma_f32 v15, -v15, v25, v22
	v_div_fmas_f32 v8, v8, v20, v23
	s_mov_b32 vcc_lo, s3
	v_max_num_f32_e64 v23, |v2|, |v2|
	s_delay_alu instid0(VALU_DEP_3) | instskip(SKIP_2) | instid1(VALU_DEP_3)
	v_div_fmas_f32 v15, v15, v21, v25
	v_cmp_class_f32_e64 s3, v2, 0x204
	v_div_fixup_f32 v8, v8, 0x402df854, v2
	v_div_fixup_f32 v15, v15, 0x402df854, v3
	s_delay_alu instid0(VALU_DEP_1) | instskip(NEXT) | instid1(VALU_DEP_1)
	v_max_num_f32_e64 v22, |v8|, |v15|
	v_cvt_f64_f32_e32 v[20:21], v22
	v_cmp_neq_f32_e32 vcc_lo, 0x7f800000, v22
	s_delay_alu instid0(VALU_DEP_2) | instskip(SKIP_1) | instid1(VALU_DEP_1)
	v_frexp_exp_i32_f64_e32 v20, v[20:21]
	v_max_num_f32_e64 v21, |v3|, |v3|
	v_dual_max_num_f32 v24, v23, v21 :: v_dual_min_num_f32 v21, v23, v21
	s_delay_alu instid0(VALU_DEP_1) | instskip(SKIP_1) | instid1(VALU_DEP_2)
	v_frexp_mant_f32_e32 v25, v24
	v_frexp_exp_i32_f32_e32 v23, v24
	v_rcp_f32_e32 v24, v25
	v_nop
	v_frexp_exp_i32_f32_e32 v25, v21
	v_frexp_mant_f32_e32 v21, v21
	s_delay_alu instid0(VALU_DEP_2)
	v_sub_nc_u32_e32 v23, v25, v23
	s_delay_alu instid0(TRANS32_DEP_1) | instid1(VALU_DEP_2)
	v_mul_f32_e32 v21, v21, v24
	v_sub_nc_u32_e32 v24, 0, v20
	s_delay_alu instid0(VALU_DEP_1) | instskip(SKIP_1) | instid1(VALU_DEP_2)
	v_ldexp_f32 v15, |v15|, v24
	v_ldexp_f32 v8, |v8|, v24
	v_mul_f32_e32 v15, v15, v15
	v_ldexp_f32 v21, v21, v23
	s_delay_alu instid0(VALU_DEP_1) | instskip(NEXT) | instid1(VALU_DEP_1)
	v_dual_fmac_f32 v15, v8, v8 :: v_dual_mul_f32 v23, v21, v21
	v_sqrt_f32_e32 v15, v15
	s_delay_alu instid0(VALU_DEP_1) | instskip(NEXT) | instid1(VALU_DEP_1)
	v_fmaak_f32 v24, s20, v23, 0xbc7a590c
	v_fmaak_f32 v8, v23, v24, 0x3d29fb3f
	s_delay_alu instid0(TRANS32_DEP_1) | instskip(NEXT) | instid1(VALU_DEP_2)
	v_ldexp_f32 v15, v15, v20
	v_fmaak_f32 v8, v23, v8, 0xbd97d4d7
	s_delay_alu instid0(VALU_DEP_1) | instskip(NEXT) | instid1(VALU_DEP_1)
	v_fmaak_f32 v8, v23, v8, 0x3dd931b2
	v_fmaak_f32 v8, v23, v8, 0xbe1160e6
	s_delay_alu instid0(VALU_DEP_1) | instskip(NEXT) | instid1(VALU_DEP_1)
	v_fmaak_f32 v8, v23, v8, 0x3e4cb8bf
	v_fmaak_f32 v8, v23, v8, 0xbeaaaa62
	s_delay_alu instid0(VALU_DEP_1) | instskip(NEXT) | instid1(VALU_DEP_1)
	v_dual_cndmask_b32 v15, 0x7f800000, v15 :: v_dual_mul_f32 v8, v23, v8
	v_cmp_gt_f32_e32 vcc_lo, 0x800000, v15
	s_delay_alu instid0(VALU_DEP_2) | instskip(SKIP_2) | instid1(VALU_DEP_2)
	v_fmac_f32_e32 v21, v21, v8
	v_cndmask_b32_e64 v20, 0, 32, vcc_lo
	v_cndmask_b32_e64 v23, 0, 0x41b17218, vcc_lo
	v_ldexp_f32 v15, v15, v20
	s_delay_alu instid0(VALU_DEP_1) | instskip(SKIP_1) | instid1(TRANS32_DEP_1)
	v_log_f32_e32 v15, v15
	v_nop
	v_mul_f32_e32 v20, 0x3f317217, v15
	v_cmp_gt_f32_e64 vcc_lo, 0x7f800000, |v15|
	s_delay_alu instid0(VALU_DEP_2) | instskip(SKIP_1) | instid1(VALU_DEP_2)
	v_fma_f32 v8, 0x3f317217, v15, -v20
	v_sub_f32_e32 v20, 0x3fc90fdb, v21
	v_fmac_f32_e32 v8, 0x3377d1cf, v15
	s_delay_alu instid0(VALU_DEP_1) | instskip(NEXT) | instid1(VALU_DEP_1)
	v_fmac_f32_e32 v8, 0x3f317217, v15
	v_cndmask_b32_e32 v8, v15, v8, vcc_lo
	s_delay_alu instid0(VALU_DEP_4) | instskip(SKIP_2) | instid1(VALU_DEP_4)
	v_cndmask_b32_e64 v20, v21, v20, s2
	v_cmp_gt_i32_e64 s2, 0, v2
	v_cmp_eq_f32_e32 vcc_lo, 0, v3
	v_sub_f32_e32 v8, v8, v23
	s_delay_alu instid0(VALU_DEP_4) | instskip(NEXT) | instid1(VALU_DEP_4)
	v_sub_f32_e32 v22, 0x40490fdb, v20
	v_cndmask_b32_e64 v21, 0, 0x40490fdb, s2
	v_cmp_gt_f32_e64 s2, 0, v2
	s_delay_alu instid0(VALU_DEP_1) | instskip(SKIP_1) | instid1(VALU_DEP_2)
	v_dual_add_f32 v8, 1.0, v8 :: v_dual_cndmask_b32 v15, v20, v22, s2
	v_cndmask_b32_e64 v20, 0x3f490fdb, v26, s2
	v_cndmask_b32_e32 v15, v15, v21, vcc_lo
	s_and_b32 vcc_lo, s3, s5
	s_delay_alu instid0(VALU_DEP_1)
	v_cndmask_b32_e32 v29, v15, v20, vcc_lo
.LBB180_100:                            ;   in Loop: Header=BB180_5 Depth=1
	s_or_b32 exec_lo, exec_lo, s4
.LBB180_101:                            ;   in Loop: Header=BB180_5 Depth=1
	s_and_not1_saveexec_b32 s2, s22
	s_cbranch_execz .LBB180_107
; %bb.102:                              ;   in Loop: Header=BB180_5 Depth=1
	v_cmp_ngt_f32_e64 s3, 0x20000000, |v2|
	v_cmp_ngt_f32_e64 s4, 0x20000000, |v3|
                                        ; implicit-def: $vgpr8
	s_or_b32 s3, s3, s4
	s_delay_alu instid0(SALU_CYCLE_1) | instskip(NEXT) | instid1(SALU_CYCLE_1)
	s_and_saveexec_b32 s4, s3
	s_xor_b32 s3, exec_lo, s4
; %bb.103:                              ;   in Loop: Header=BB180_5 Depth=1
	v_pk_mul_f32 v[20:21], v[2:3], v[2:3]
	s_delay_alu instid0(VALU_DEP_1)
	v_add_f32_e32 v8, v20, v21
; %bb.104:                              ;   in Loop: Header=BB180_5 Depth=1
	s_and_not1_saveexec_b32 s3, s3
; %bb.105:                              ;   in Loop: Header=BB180_5 Depth=1
	v_pk_mul_f32 v[20:21], v[2:3], 4.0 op_sel_hi:[1,0]
	s_delay_alu instid0(VALU_DEP_1) | instskip(NEXT) | instid1(VALU_DEP_1)
	v_pk_mul_f32 v[20:21], v[20:21], v[20:21]
	v_add_f32_e32 v2, v20, v21
	s_delay_alu instid0(VALU_DEP_1)
	v_mul_f32_e32 v8, 0x3d800000, v2
; %bb.106:                              ;   in Loop: Header=BB180_5 Depth=1
	s_or_b32 exec_lo, exec_lo, s3
	s_delay_alu instid0(VALU_DEP_1) | instskip(SKIP_3) | instid1(VALU_DEP_2)
	v_cmp_gt_f32_e32 vcc_lo, 0x800000, v8
	v_mov_b32_e32 v29, 0x7fc00000
	v_cndmask_b32_e64 v2, 0, 32, vcc_lo
	v_cndmask_b32_e64 v15, 0, 0x41b17218, vcc_lo
	v_ldexp_f32 v2, v8, v2
	s_delay_alu instid0(VALU_DEP_1) | instskip(SKIP_1) | instid1(TRANS32_DEP_1)
	v_log_f32_e32 v2, v2
	v_nop
	v_mul_f32_e32 v8, 0x3f317217, v2
	v_cmp_gt_f32_e64 vcc_lo, 0x7f800000, |v2|
	s_delay_alu instid0(VALU_DEP_2) | instskip(NEXT) | instid1(VALU_DEP_1)
	v_fma_f32 v8, 0x3f317217, v2, -v8
	v_fmac_f32_e32 v8, 0x3377d1cf, v2
	s_delay_alu instid0(VALU_DEP_1) | instskip(NEXT) | instid1(VALU_DEP_1)
	v_fmac_f32_e32 v8, 0x3f317217, v2
	v_cndmask_b32_e32 v2, v2, v8, vcc_lo
	s_delay_alu instid0(VALU_DEP_1)
	v_sub_f32_e32 v8, v2, v15
.LBB180_107:                            ;   in Loop: Header=BB180_5 Depth=1
	s_or_b32 exec_lo, exec_lo, s2
                                        ; implicit-def: $vgpr2
                                        ; implicit-def: $vgpr15
	s_delay_alu instid0(SALU_CYCLE_1)
	s_mov_b32 s2, exec_lo
	v_cmpx_o_f32_e32 v5, v4
	s_xor_b32 s22, exec_lo, s2
	s_cbranch_execz .LBB180_135
; %bb.108:                              ;   in Loop: Header=BB180_5 Depth=1
	v_cmp_lt_f32_e64 s2, |v4|, |v5|
                                        ; implicit-def: $vgpr2
                                        ; implicit-def: $vgpr15
	s_mov_b32 s4, exec_lo
	v_cndmask_b32_e64 v20, v5, v4, s2
	s_delay_alu instid0(VALU_DEP_1)
	v_cmpx_nlt_f32_e64 0x77f684df, |v20|
	s_xor_b32 s23, exec_lo, s4
	s_cbranch_execz .LBB180_132
; %bb.109:                              ;   in Loop: Header=BB180_5 Depth=1
	v_cndmask_b32_e64 v2, v4, v5, s2
	v_and_b32_e32 v20, 0x7fffffff, v20
                                        ; implicit-def: $vgpr15
	s_mov_b32 s3, exec_lo
	s_delay_alu instid0(VALU_DEP_2) | instskip(NEXT) | instid1(VALU_DEP_1)
	v_and_b32_e32 v21, 0x7fffffff, v2
                                        ; implicit-def: $vgpr2
	v_cmpx_neq_f32_e32 1.0, v21
	s_xor_b32 s24, exec_lo, s3
	s_cbranch_execz .LBB180_125
; %bb.110:                              ;   in Loop: Header=BB180_5 Depth=1
	v_dual_max_num_f32 v2, v20, v20 :: v_dual_max_num_f32 v15, v21, v21
	s_delay_alu instid0(VALU_DEP_1) | instskip(NEXT) | instid1(VALU_DEP_1)
	v_dual_min_num_f32 v22, v15, v2 :: v_dual_max_num_f32 v2, v15, v2
                                        ; implicit-def: $vgpr15
	v_cmp_ngt_f32_e32 vcc_lo, 0x358637bd, v22
	s_delay_alu instid0(VALU_DEP_2) | instskip(SKIP_1) | instid1(SALU_CYCLE_1)
	v_cmp_nlt_f32_e64 s3, 0x49742400, v2
                                        ; implicit-def: $vgpr2
	s_and_b32 s3, s3, vcc_lo
	s_and_saveexec_b32 s4, s3
	s_delay_alu instid0(SALU_CYCLE_1)
	s_xor_b32 s25, exec_lo, s4
	s_cbranch_execz .LBB180_122
; %bb.111:                              ;   in Loop: Header=BB180_5 Depth=1
                                        ; implicit-def: $vgpr2
                                        ; implicit-def: $vgpr15
	s_mov_b32 s3, exec_lo
	v_cmpx_le_f32_e32 1.0, v21
	s_xor_b32 s4, exec_lo, s3
	s_cbranch_execz .LBB180_113
; %bb.112:                              ;   in Loop: Header=BB180_5 Depth=1
	v_pk_add_f32 v[22:23], v[20:21], v[12:13] op_sel:[1,0]
	v_mov_b32_e32 v24, v20
	v_cmp_class_f32_e64 s5, v4, 0x204
	s_delay_alu instid0(VALU_DEP_3) | instskip(SKIP_1) | instid1(VALU_DEP_1)
	v_dual_mov_b32 v21, v22 :: v_dual_mov_b32 v25, v23
	v_mul_f32_e32 v2, v22, v23
	v_pk_fma_f32 v[20:21], v[20:21], v[24:25], v[2:3] op_sel_hi:[1,1,0]
	s_delay_alu instid0(VALU_DEP_1) | instskip(SKIP_1) | instid1(VALU_DEP_2)
	v_add_f32_e32 v23, 1.0, v20
	v_cmp_neq_f32_e64 s3, -1.0, v20
	v_add_f32_e32 v21, -1.0, v23
	s_delay_alu instid0(VALU_DEP_1) | instskip(SKIP_2) | instid1(VALU_DEP_1)
	v_mov_b32_e32 v22, v21
	v_cvt_f64_f32_e32 v[24:25], v23
	v_frexp_mant_f32_e32 v15, v23
	v_cmp_gt_f32_e32 vcc_lo, 0x3f2aaaab, v15
	s_delay_alu instid0(VALU_DEP_3) | instskip(NEXT) | instid1(VALU_DEP_1)
	v_frexp_exp_i32_f64_e32 v2, v[24:25]
	v_subrev_co_ci_u32_e64 v2, null, 0, v2, vcc_lo
	v_cmp_neq_f32_e32 vcc_lo, 0x7f800000, v20
	s_delay_alu instid0(VALU_DEP_2) | instskip(SKIP_1) | instid1(VALU_DEP_2)
	v_sub_nc_u32_e32 v15, 0, v2
	v_pk_add_f32 v[24:25], v[20:21], v[22:23] neg_lo:[0,1] neg_hi:[0,1]
	v_ldexp_f32 v21, v23, v15
	s_delay_alu instid0(VALU_DEP_2) | instskip(NEXT) | instid1(VALU_DEP_2)
	v_add_f32_e32 v22, 1.0, v25
	v_add_f32_e32 v25, 1.0, v21
	s_delay_alu instid0(VALU_DEP_1) | instskip(SKIP_1) | instid1(VALU_DEP_2)
	v_dual_add_f32 v23, -1.0, v25 :: v_dual_add_f32 v22, v24, v22
	v_add_f32_e32 v31, -1.0, v21
	v_ldexp_f32 v15, v22, v15
	s_delay_alu instid0(VALU_DEP_3) | instskip(NEXT) | instid1(VALU_DEP_1)
	v_sub_f32_e32 v22, v21, v23
	v_dual_add_f32 v23, 1.0, v31 :: v_dual_add_f32 v22, v15, v22
	s_delay_alu instid0(VALU_DEP_1) | instskip(NEXT) | instid1(VALU_DEP_1)
	v_add_f32_e32 v32, v25, v22
	v_dual_sub_f32 v21, v21, v23 :: v_dual_sub_f32 v25, v32, v25
	s_delay_alu instid0(VALU_DEP_1) | instskip(SKIP_1) | instid1(VALU_DEP_1)
	v_add_f32_e32 v15, v15, v21
	v_rcp_f32_e32 v21, v32
	v_add_f32_e32 v23, v31, v15
	s_delay_alu instid0(TRANS32_DEP_1) | instid1(VALU_DEP_1)
	v_mul_f32_e32 v33, v23, v21
	s_delay_alu instid0(VALU_DEP_1) | instskip(SKIP_1) | instid1(VALU_DEP_1)
	v_mul_f32_e32 v24, v32, v33
	v_dual_sub_f32 v34, v22, v25 :: v_dual_sub_f32 v35, v23, v31
	v_dual_fma_f32 v30, v33, v32, -v24 :: v_dual_sub_f32 v15, v15, v35
	s_delay_alu instid0(VALU_DEP_1) | instskip(NEXT) | instid1(VALU_DEP_1)
	v_fmac_f32_e32 v30, v33, v34
	v_add_f32_e32 v22, v24, v30
	s_delay_alu instid0(VALU_DEP_1) | instskip(NEXT) | instid1(VALU_DEP_1)
	v_dual_sub_f32 v25, v23, v22 :: v_dual_mov_b32 v31, v22
	v_pk_add_f32 v[22:23], v[22:23], v[24:25] neg_lo:[0,1] neg_hi:[0,1]
	s_delay_alu instid0(VALU_DEP_1) | instskip(NEXT) | instid1(VALU_DEP_1)
	v_pk_add_f32 v[22:23], v[22:23], v[30:31] neg_lo:[0,1] neg_hi:[0,1]
	v_add_f32_e32 v15, v15, v23
	s_delay_alu instid0(VALU_DEP_1) | instskip(NEXT) | instid1(VALU_DEP_1)
	v_add_f32_e32 v15, v22, v15
	v_add_f32_e32 v23, v25, v15
	s_delay_alu instid0(VALU_DEP_1) | instskip(NEXT) | instid1(VALU_DEP_1)
	v_mul_f32_e32 v35, v21, v23
	v_mul_f32_e32 v30, v32, v35
	s_delay_alu instid0(VALU_DEP_1) | instskip(NEXT) | instid1(VALU_DEP_1)
	v_fma_f32 v24, v35, v32, -v30
	v_dual_fmac_f32 v24, v35, v34 :: v_dual_sub_f32 v32, v25, v23
	s_delay_alu instid0(VALU_DEP_1) | instskip(NEXT) | instid1(VALU_DEP_2)
	v_add_f32_e32 v22, v30, v24
	v_dual_add_f32 v15, v15, v32 :: v_dual_add_f32 v32, v33, v35
	s_delay_alu instid0(VALU_DEP_2) | instskip(NEXT) | instid1(VALU_DEP_1)
	v_dual_sub_f32 v31, v23, v22 :: v_dual_mov_b32 v25, v22
	v_pk_add_f32 v[22:23], v[22:23], v[30:31] neg_lo:[0,1] neg_hi:[0,1]
	s_delay_alu instid0(VALU_DEP_1) | instskip(NEXT) | instid1(VALU_DEP_1)
	v_pk_add_f32 v[22:23], v[22:23], v[24:25] neg_lo:[0,1] neg_hi:[0,1]
	v_add_f32_e32 v15, v15, v23
	s_delay_alu instid0(VALU_DEP_1) | instskip(NEXT) | instid1(VALU_DEP_1)
	v_dual_add_f32 v15, v22, v15 :: v_dual_sub_f32 v22, v32, v33
	v_sub_f32_e32 v22, v35, v22
	s_delay_alu instid0(VALU_DEP_2) | instskip(NEXT) | instid1(VALU_DEP_1)
	v_add_f32_e32 v15, v31, v15
	v_mul_f32_e32 v15, v21, v15
	s_delay_alu instid0(VALU_DEP_1) | instskip(SKIP_1) | instid1(VALU_DEP_2)
	v_add_f32_e32 v21, v22, v15
	v_cvt_f32_i32_e32 v22, v2
	v_add_f32_e32 v33, v32, v21
	s_delay_alu instid0(VALU_DEP_1) | instskip(SKIP_2) | instid1(VALU_DEP_3)
	v_mul_f32_e32 v15, v33, v33
	v_ldexp_f32 v31, v33, 1
	v_sub_f32_e32 v2, v33, v32
	v_dual_fmaak_f32 v24, s19, v15, 0x3ecc95a3 :: v_dual_mul_f32 v23, v33, v15
	s_delay_alu instid0(VALU_DEP_1) | instskip(NEXT) | instid1(VALU_DEP_1)
	v_dual_sub_f32 v2, v21, v2 :: v_dual_fmaak_f32 v15, v15, v24, 0x3f2aaada
	v_ldexp_f32 v2, v2, 1
	s_delay_alu instid0(VALU_DEP_2) | instskip(NEXT) | instid1(VALU_DEP_1)
	v_pk_mul_f32 v[24:25], v[22:23], v[14:15]
	v_fma_f32 v30, 0x3f317218, v22, -v24
	v_mov_b32_e32 v32, v24
	s_delay_alu instid0(VALU_DEP_2) | instskip(NEXT) | instid1(VALU_DEP_1)
	v_fmac_f32_e32 v30, 0xb102e308, v22
	v_pk_add_f32 v[22:23], v[24:25], v[30:31]
	s_delay_alu instid0(VALU_DEP_1) | instskip(NEXT) | instid1(VALU_DEP_1)
	v_dual_sub_f32 v15, v23, v31 :: v_dual_mov_b32 v40, v23
	v_sub_f32_e32 v15, v25, v15
	s_delay_alu instid0(VALU_DEP_3) | instskip(NEXT) | instid1(VALU_DEP_2)
	v_pk_add_f32 v[24:25], v[22:23], v[24:25] neg_lo:[0,1] neg_hi:[0,1]
	v_add_f32_e32 v33, v2, v15
	v_max_num_f32_e64 v2, |v5|, |v5|
	v_max_num_f32_e64 v15, |v4|, |v4|
	v_mov_b32_e32 v31, v22
	s_delay_alu instid0(VALU_DEP_4) | instskip(NEXT) | instid1(VALU_DEP_3)
	v_pk_add_f32 v[34:35], v[22:23], v[32:33]
	v_max_num_f32_e32 v21, v15, v2
	s_delay_alu instid0(VALU_DEP_2) | instskip(NEXT) | instid1(VALU_DEP_2)
	v_mov_b32_e32 v25, v35
	v_frexp_exp_i32_f32_e32 v32, v21
	v_frexp_mant_f32_e32 v21, v21
	s_delay_alu instid0(VALU_DEP_3) | instskip(SKIP_2) | instid1(VALU_DEP_4)
	v_pk_add_f32 v[36:37], v[30:31], v[24:25]
	v_min_num_f32_e32 v15, v15, v2
	v_pk_add_f32 v[24:25], v[30:31], v[24:25] neg_lo:[0,1] neg_hi:[0,1]
	v_rcp_f32_e32 v21, v21
	s_delay_alu instid0(VALU_DEP_3) | instskip(NEXT) | instid1(VALU_DEP_3)
	v_mov_b32_e32 v2, v37
	v_frexp_exp_i32_f32_e32 v36, v15
	v_frexp_mant_f32_e32 v42, v15
	v_mov_b32_e32 v25, v37
	s_delay_alu instid0(VALU_DEP_4) | instskip(NEXT) | instid1(VALU_DEP_4)
	v_pk_add_f32 v[38:39], v[2:3], v[22:23] neg_lo:[0,1] neg_hi:[0,1]
	v_dual_mov_b32 v36, v35 :: v_dual_sub_nc_u32 v39, v36, v32
	v_dual_mov_b32 v23, v22 :: v_dual_mov_b32 v22, v33
	s_delay_alu instid0(VALU_DEP_3) | instskip(NEXT) | instid1(VALU_DEP_1)
	v_dual_mov_b32 v41, v38 :: v_dual_mov_b32 v15, v38
	v_pk_add_f32 v[30:31], v[36:37], v[40:41] neg_lo:[0,1] neg_hi:[0,1]
	s_delay_alu instid0(VALU_DEP_2) | instskip(SKIP_1) | instid1(VALU_DEP_3)
	v_pk_add_f32 v[32:33], v[34:35], v[14:15] neg_lo:[0,1] neg_hi:[0,1]
	v_mov_b32_e32 v32, v24
	v_pk_add_f32 v[22:23], v[22:23], v[30:31] neg_lo:[0,1] neg_hi:[0,1]
	s_delay_alu instid0(VALU_DEP_1) | instskip(NEXT) | instid1(VALU_DEP_1)
	v_pk_add_f32 v[30:31], v[32:33], v[22:23]
	v_dual_mul_f32 v21, v42, v21 :: v_dual_mov_b32 v32, v31
	s_delay_alu instid0(VALU_DEP_1) | instskip(NEXT) | instid1(VALU_DEP_2)
	v_ldexp_f32 v15, v21, v39
	v_pk_add_f32 v[32:33], v[30:31], v[32:33]
	s_delay_alu instid0(VALU_DEP_2) | instskip(NEXT) | instid1(VALU_DEP_2)
	v_mul_f32_e32 v21, v15, v15
	v_pk_add_f32 v[34:35], v[2:3], v[32:33]
	s_delay_alu instid0(VALU_DEP_1) | instskip(NEXT) | instid1(VALU_DEP_1)
	v_mov_b32_e32 v31, v34
	v_pk_add_f32 v[36:37], v[30:31], v[24:25] neg_lo:[0,1] neg_hi:[0,1]
	s_delay_alu instid0(VALU_DEP_1) | instskip(NEXT) | instid1(VALU_DEP_1)
	v_sub_f32_e32 v25, v30, v36
	v_sub_f32_e32 v24, v24, v25
	v_fmaak_f32 v23, s20, v21, 0xbc7a590c
	s_delay_alu instid0(VALU_DEP_1) | instskip(NEXT) | instid1(VALU_DEP_1)
	v_fmaak_f32 v23, v21, v23, 0x3d29fb3f
	v_dual_fmaak_f32 v2, v21, v23, 0xbd97d4d7 :: v_dual_mov_b32 v23, v32
	s_delay_alu instid0(VALU_DEP_1) | instskip(NEXT) | instid1(VALU_DEP_2)
	v_fmaak_f32 v2, v21, v2, 0x3dd931b2
	v_pk_add_f32 v[22:23], v[22:23], v[36:37] neg_lo:[0,1] neg_hi:[0,1]
	s_delay_alu instid0(VALU_DEP_1) | instskip(NEXT) | instid1(VALU_DEP_3)
	v_add_f32_e32 v22, v22, v24
	v_fmaak_f32 v2, v21, v2, 0xbe1160e6
	s_delay_alu instid0(VALU_DEP_1) | instskip(NEXT) | instid1(VALU_DEP_1)
	v_fmaak_f32 v2, v21, v2, 0x3e4cb8bf
	v_fmaak_f32 v2, v21, v2, 0xbeaaaa62
	s_delay_alu instid0(VALU_DEP_1) | instskip(NEXT) | instid1(VALU_DEP_1)
	v_dual_mul_f32 v2, v21, v2 :: v_dual_add_f32 v21, v22, v23
	v_dual_fmac_f32 v15, v15, v2 :: v_dual_add_f32 v2, v34, v21
	s_delay_alu instid0(VALU_DEP_1) | instskip(NEXT) | instid1(VALU_DEP_2)
	v_sub_f32_e32 v21, 0x3fc90fdb, v15
	v_cndmask_b32_e32 v2, 0x7f800000, v2, vcc_lo
	v_cmp_gt_i32_e32 vcc_lo, 0, v4
	s_delay_alu instid0(VALU_DEP_3) | instskip(SKIP_2) | instid1(VALU_DEP_3)
	v_cndmask_b32_e64 v15, v15, v21, s2
	v_cndmask_b32_e64 v21, 0, 0x40490fdb, vcc_lo
	v_cmp_ngt_f32_e32 vcc_lo, -1.0, v20
	v_sub_f32_e32 v22, 0x40490fdb, v15
	v_cndmask_b32_e32 v2, 0x7fc00000, v2, vcc_lo
	v_cmp_gt_f32_e32 vcc_lo, 0, v4
	s_delay_alu instid0(VALU_DEP_2) | instskip(NEXT) | instid1(VALU_DEP_4)
	v_cndmask_b32_e64 v2, 0xff800000, v2, s3
	v_cndmask_b32_e32 v15, v15, v22, vcc_lo
	v_cndmask_b32_e32 v22, 0x3f490fdb, v26, vcc_lo
	v_cmp_gt_f32_e64 vcc_lo, 0x33800000, |v20|
	v_cmp_class_f32_e64 s3, v5, 0x204
	v_cndmask_b32_e32 v2, v2, v20, vcc_lo
	v_cmp_eq_f32_e32 vcc_lo, 0, v5
	s_delay_alu instid0(VALU_DEP_2) | instskip(SKIP_1) | instid1(VALU_DEP_1)
	v_dual_mul_f32 v2, 0.5, v2 :: v_dual_cndmask_b32 v15, v15, v21
	s_and_b32 vcc_lo, s5, s3
                                        ; implicit-def: $vgpr20_vgpr21
	v_cndmask_b32_e32 v15, v15, v22, vcc_lo
.LBB180_113:                            ;   in Loop: Header=BB180_5 Depth=1
	s_and_not1_saveexec_b32 s26, s4
	s_cbranch_execz .LBB180_121
; %bb.114:                              ;   in Loop: Header=BB180_5 Depth=1
	v_pk_mul_f32 v[22:23], v[20:21], v[20:21]
                                        ; implicit-def: $vgpr2
                                        ; implicit-def: $vgpr15
	s_mov_b32 s3, exec_lo
	s_delay_alu instid0(VALU_DEP_1) | instskip(NEXT) | instid1(VALU_DEP_1)
	v_add_f32_e32 v22, v23, v22
	v_cmpx_ge_f32_e32 0x3f333333, v22
	s_xor_b32 s4, exec_lo, s3
	s_cbranch_execz .LBB180_116
; %bb.115:                              ;   in Loop: Header=BB180_5 Depth=1
	v_max_num_f32_e64 v2, |v5|, |v5|
	v_max_num_f32_e64 v15, |v4|, |v4|
	v_cmp_gt_f32_e32 vcc_lo, 0x800000, v22
	v_cmp_gt_i32_e64 s3, 0, v4
	v_cmp_class_f32_e64 s5, v4, 0x204
	v_cmp_class_f32_e64 s6, v5, 0x204
	v_dual_max_num_f32 v20, v15, v2 :: v_dual_min_num_f32 v2, v15, v2
	v_cndmask_b32_e64 v23, 0, 0x41b17218, vcc_lo
	s_delay_alu instid0(VALU_DEP_2) | instskip(SKIP_1) | instid1(VALU_DEP_2)
	v_frexp_mant_f32_e32 v21, v20
	v_frexp_exp_i32_f32_e32 v15, v20
	v_rcp_f32_e32 v20, v21
	v_nop
	v_frexp_exp_i32_f32_e32 v21, v2
	v_frexp_mant_f32_e32 v2, v2
	s_delay_alu instid0(TRANS32_DEP_1) | instid1(VALU_DEP_1)
	v_dual_mul_f32 v2, v2, v20 :: v_dual_sub_nc_u32 v15, v21, v15
	v_cndmask_b32_e64 v21, 0, 32, vcc_lo
	s_delay_alu instid0(VALU_DEP_2) | instskip(NEXT) | instid1(VALU_DEP_2)
	v_ldexp_f32 v2, v2, v15
	v_ldexp_f32 v21, v22, v21
	s_delay_alu instid0(VALU_DEP_1) | instskip(NEXT) | instid1(VALU_DEP_2)
	v_log_f32_e32 v21, v21
	v_mul_f32_e32 v15, v2, v2
	s_delay_alu instid0(VALU_DEP_1) | instskip(NEXT) | instid1(TRANS32_DEP_1)
	v_fmaak_f32 v20, s20, v15, 0xbc7a590c
	v_cmp_gt_f32_e64 vcc_lo, 0x7f800000, |v21|
	s_delay_alu instid0(VALU_DEP_2) | instskip(NEXT) | instid1(VALU_DEP_1)
	v_fmaak_f32 v20, v15, v20, 0x3d29fb3f
	v_fmaak_f32 v20, v15, v20, 0xbd97d4d7
	s_delay_alu instid0(VALU_DEP_1) | instskip(NEXT) | instid1(VALU_DEP_1)
	v_fmaak_f32 v20, v15, v20, 0x3dd931b2
	v_fmaak_f32 v20, v15, v20, 0xbe1160e6
	s_delay_alu instid0(VALU_DEP_1) | instskip(NEXT) | instid1(VALU_DEP_1)
	;; [unrolled: 3-line block ×3, first 2 shown]
	v_dual_mul_f32 v15, v15, v20 :: v_dual_mul_f32 v20, 0x3f317217, v21
	v_fmac_f32_e32 v2, v2, v15
	s_delay_alu instid0(VALU_DEP_2) | instskip(NEXT) | instid1(VALU_DEP_1)
	v_fma_f32 v15, 0x3f317217, v21, -v20
	v_fmac_f32_e32 v15, 0x3377d1cf, v21
	s_delay_alu instid0(VALU_DEP_3) | instskip(NEXT) | instid1(VALU_DEP_2)
	v_sub_f32_e32 v20, 0x3fc90fdb, v2
	v_fmac_f32_e32 v15, 0x3f317217, v21
	s_delay_alu instid0(VALU_DEP_1) | instskip(SKIP_1) | instid1(VALU_DEP_2)
	v_cndmask_b32_e32 v15, v21, v15, vcc_lo
	v_cmp_gt_f32_e32 vcc_lo, 0, v4
	v_sub_f32_e32 v15, v15, v23
	v_cndmask_b32_e32 v21, 0x3f490fdb, v26, vcc_lo
	v_cndmask_b32_e64 v2, v2, v20, s2
	v_cndmask_b32_e64 v20, 0, 0x40490fdb, s3
	v_cmp_eq_f32_e64 s3, 0, v5
	s_delay_alu instid0(VALU_DEP_3) | instskip(NEXT) | instid1(VALU_DEP_1)
	v_sub_f32_e32 v22, 0x40490fdb, v2
	v_cndmask_b32_e32 v2, v2, v22, vcc_lo
	s_and_b32 vcc_lo, s5, s6
	s_delay_alu instid0(VALU_DEP_1) | instskip(NEXT) | instid1(VALU_DEP_1)
	v_dual_cndmask_b32 v20, v2, v20, s3 :: v_dual_mul_f32 v2, 0.5, v15
	v_cndmask_b32_e32 v15, v20, v21, vcc_lo
                                        ; implicit-def: $vgpr20
.LBB180_116:                            ;   in Loop: Header=BB180_5 Depth=1
	s_and_not1_saveexec_b32 s27, s4
	s_cbranch_execz .LBB180_120
; %bb.117:                              ;   in Loop: Header=BB180_5 Depth=1
	v_and_b32_e32 v23, 0x7fff0000, v20
	v_and_b32_e32 v22, 0x7fff0000, v21
	s_mov_b32 s28, 0
	s_delay_alu instid0(VALU_DEP_1) | instskip(SKIP_2) | instid1(VALU_DEP_2)
	v_dual_add_f32 v34, v23, v23 :: v_dual_add_f32 v15, v22, v22
	v_pk_add_f32 v[24:25], v[20:21], v[22:23] op_sel:[1,0] op_sel_hi:[0,1] neg_lo:[0,1] neg_hi:[0,1]
	v_pk_mul_f32 v[20:21], v[22:23], v[22:23]
	v_and_b32_e32 v33, 0xffff0000, v25
	s_delay_alu instid0(VALU_DEP_3) | instskip(NEXT) | instid1(VALU_DEP_1)
	v_and_b32_e32 v32, 0xffff0000, v24
	v_dual_add_f32 v36, v33, v33 :: v_dual_add_f32 v35, v32, v32
	v_pk_add_f32 v[22:23], v[24:25], v[32:33] neg_lo:[0,1] neg_hi:[0,1]
	v_dual_mul_f32 v2, v15, v32 :: v_dual_mul_f32 v31, v34, v33
	v_pk_mul_f32 v[24:25], v[32:33], v[32:33]
	s_delay_alu instid0(VALU_DEP_3)
	v_dual_mul_f32 v30, v15, v22 :: v_dual_mul_f32 v33, v34, v23
	v_dual_mul_f32 v15, v35, v22 :: v_dual_mul_f32 v32, v36, v23
	v_pk_mul_f32 v[22:23], v[22:23], v[22:23]
.LBB180_118:                            ;   Parent Loop BB180_5 Depth=1
                                        ; =>  This Inner Loop Header: Depth=2
	v_cmp_nlt_f32_e32 vcc_lo, v20, v21
	v_dual_cndmask_b32 v34, v20, v21, vcc_lo :: v_dual_cndmask_b32 v20, v21, v20, vcc_lo
	s_delay_alu instid0(VALU_DEP_1) | instskip(NEXT) | instid1(VALU_DEP_1)
	v_cmp_nlt_f32_e64 s3, v34, v2
	v_cndmask_b32_e64 v35, v34, v2, s3
	v_cndmask_b32_e64 v21, v2, v34, s3
	s_and_b32 s3, vcc_lo, s3
	s_delay_alu instid0(VALU_DEP_2) | instskip(NEXT) | instid1(VALU_DEP_1)
	v_cmp_nlt_f32_e64 s4, v35, v31
	v_cndmask_b32_e64 v36, v35, v31, s4
	s_delay_alu instid0(VALU_DEP_1) | instskip(NEXT) | instid1(VALU_DEP_1)
	v_cmp_nlt_f32_e64 s5, v36, v24
	v_cndmask_b32_e64 v34, v36, v24, s5
	s_and_b32 s29, s4, s5
	s_delay_alu instid0(VALU_DEP_1) | instskip(SKIP_1) | instid1(VALU_DEP_2)
	v_cmp_nlt_f32_e64 s6, v34, v25
	v_dual_cndmask_b32 v2, v31, v35, s4 :: v_dual_cndmask_b32 v31, v24, v36, s5
	v_dual_cndmask_b32 v35, v34, v25, s6 :: v_dual_cndmask_b32 v24, v25, v34, s6
	s_delay_alu instid0(VALU_DEP_1) | instskip(NEXT) | instid1(VALU_DEP_1)
	v_cmp_nlt_f32_e64 s7, v35, v30
	v_cndmask_b32_e64 v37, v35, v30, s7
	s_and_b32 s6, s6, s7
	s_delay_alu instid0(VALU_DEP_1) | instskip(NEXT) | instid1(VALU_DEP_1)
	v_cmp_nlt_f32_e64 s8, v37, v33
	v_dual_cndmask_b32 v25, v30, v35, s7 :: v_dual_cndmask_b32 v30, v33, v37, s8
	v_cndmask_b32_e64 v38, v37, v33, s8
	s_and_b32 s6, s6, s8
	s_delay_alu instid0(VALU_DEP_1) | instskip(NEXT) | instid1(VALU_DEP_1)
	v_cmp_nlt_f32_e64 s9, v38, v15
	v_cndmask_b32_e64 v36, v38, v15, s9
	s_and_b32 s7, s6, s9
	s_delay_alu instid0(VALU_DEP_1) | instskip(NEXT) | instid1(VALU_DEP_1)
	v_cmp_nlt_f32_e64 s4, v36, v32
	v_dual_cndmask_b32 v34, v36, v32, s4 :: v_dual_cndmask_b32 v33, v15, v38, s9
	v_cndmask_b32_e64 v15, v32, v36, s4
	s_and_b32 s4, s7, s4
	s_delay_alu instid0(VALU_DEP_2) | instskip(NEXT) | instid1(VALU_DEP_1)
	v_cmp_nlt_f32_e64 s5, v34, v22
	v_cndmask_b32_e64 v35, v34, v22, s5
	s_and_b32 s4, s4, s5
	s_delay_alu instid0(VALU_DEP_1) | instskip(NEXT) | instid1(VALU_DEP_1)
	v_cmp_nlt_f32_e64 s6, v35, v23
	v_dual_cndmask_b32 v32, v22, v34, s5 :: v_dual_cndmask_b32 v22, v23, v35, s6
	s_and_b32 s4, s4, s6
	v_cndmask_b32_e64 v23, v35, v23, s6
	s_and_b32 s4, s4, s29
	s_delay_alu instid0(SALU_CYCLE_1) | instskip(NEXT) | instid1(SALU_CYCLE_1)
	s_and_b32 s3, s4, s3
	s_and_b32 s3, exec_lo, s3
	s_delay_alu instid0(SALU_CYCLE_1) | instskip(NEXT) | instid1(SALU_CYCLE_1)
	s_or_b32 s28, s3, s28
	s_and_not1_b32 exec_lo, exec_lo, s28
	s_cbranch_execnz .LBB180_118
; %bb.119:                              ;   in Loop: Header=BB180_5 Depth=1
	s_or_b32 exec_lo, exec_lo, s28
	v_add_f32_e32 v20, -1.0, v20
	v_cmp_class_f32_e64 s4, v4, 0x204
	s_delay_alu instid0(VALU_DEP_2) | instskip(NEXT) | instid1(VALU_DEP_1)
	v_add_f32_e32 v20, v20, v21
	v_add_f32_e32 v2, v20, v2
	s_delay_alu instid0(VALU_DEP_1) | instskip(NEXT) | instid1(VALU_DEP_1)
	v_add_f32_e32 v2, v2, v31
	v_add_f32_e32 v2, v2, v24
	s_delay_alu instid0(VALU_DEP_1) | instskip(NEXT) | instid1(VALU_DEP_1)
	;; [unrolled: 3-line block ×5, first 2 shown]
	v_add_f32_e32 v20, v23, v2
	v_add_f32_e32 v23, 1.0, v20
	s_delay_alu instid0(VALU_DEP_1) | instskip(SKIP_2) | instid1(VALU_DEP_2)
	v_cvt_f64_f32_e32 v[24:25], v23
	v_frexp_mant_f32_e32 v15, v23
	v_add_f32_e32 v21, -1.0, v23
	v_cmp_gt_f32_e32 vcc_lo, 0x3f2aaaab, v15
	s_delay_alu instid0(VALU_DEP_2) | instskip(SKIP_1) | instid1(VALU_DEP_1)
	v_mov_b32_e32 v22, v21
	v_frexp_exp_i32_f64_e32 v2, v[24:25]
	v_subrev_co_ci_u32_e64 v2, null, 0, v2, vcc_lo
	s_delay_alu instid0(VALU_DEP_1) | instskip(NEXT) | instid1(VALU_DEP_4)
	v_sub_nc_u32_e32 v15, 0, v2
	v_pk_add_f32 v[24:25], v[20:21], v[22:23] neg_lo:[0,1] neg_hi:[0,1]
	v_cmp_neq_f32_e32 vcc_lo, 0x7f800000, v20
	v_cmp_neq_f32_e64 s3, -1.0, v20
	s_delay_alu instid0(VALU_DEP_4) | instskip(NEXT) | instid1(VALU_DEP_4)
	v_ldexp_f32 v21, v23, v15
	v_add_f32_e32 v22, 1.0, v25
	s_delay_alu instid0(VALU_DEP_1) | instskip(NEXT) | instid1(VALU_DEP_1)
	v_dual_add_f32 v25, 1.0, v21 :: v_dual_add_f32 v22, v24, v22
	v_add_f32_e32 v23, -1.0, v25
	v_add_f32_e32 v31, -1.0, v21
	s_delay_alu instid0(VALU_DEP_3) | instskip(NEXT) | instid1(VALU_DEP_3)
	v_ldexp_f32 v15, v22, v15
	v_sub_f32_e32 v22, v21, v23
	s_delay_alu instid0(VALU_DEP_1) | instskip(NEXT) | instid1(VALU_DEP_1)
	v_dual_add_f32 v23, 1.0, v31 :: v_dual_add_f32 v22, v15, v22
	v_add_f32_e32 v32, v25, v22
	s_delay_alu instid0(VALU_DEP_1) | instskip(NEXT) | instid1(VALU_DEP_1)
	v_dual_sub_f32 v21, v21, v23 :: v_dual_sub_f32 v25, v32, v25
	v_add_f32_e32 v15, v15, v21
	v_rcp_f32_e32 v21, v32
	s_delay_alu instid0(VALU_DEP_1)
	v_add_f32_e32 v23, v31, v15
	s_delay_alu instid0(TRANS32_DEP_1) | instid1(VALU_DEP_1)
	v_mul_f32_e32 v33, v23, v21
	s_delay_alu instid0(VALU_DEP_1) | instskip(SKIP_1) | instid1(VALU_DEP_1)
	v_mul_f32_e32 v24, v32, v33
	v_dual_sub_f32 v34, v22, v25 :: v_dual_sub_f32 v35, v23, v31
	v_dual_fma_f32 v30, v33, v32, -v24 :: v_dual_sub_f32 v15, v15, v35
	s_delay_alu instid0(VALU_DEP_1) | instskip(NEXT) | instid1(VALU_DEP_1)
	v_fmac_f32_e32 v30, v33, v34
	v_add_f32_e32 v22, v24, v30
	s_delay_alu instid0(VALU_DEP_1) | instskip(NEXT) | instid1(VALU_DEP_1)
	v_dual_sub_f32 v25, v23, v22 :: v_dual_mov_b32 v31, v22
	v_pk_add_f32 v[22:23], v[22:23], v[24:25] neg_lo:[0,1] neg_hi:[0,1]
	s_delay_alu instid0(VALU_DEP_1) | instskip(NEXT) | instid1(VALU_DEP_1)
	v_pk_add_f32 v[22:23], v[22:23], v[30:31] neg_lo:[0,1] neg_hi:[0,1]
	v_add_f32_e32 v15, v15, v23
	s_delay_alu instid0(VALU_DEP_1) | instskip(NEXT) | instid1(VALU_DEP_1)
	v_add_f32_e32 v15, v22, v15
	v_add_f32_e32 v23, v25, v15
	s_delay_alu instid0(VALU_DEP_1) | instskip(NEXT) | instid1(VALU_DEP_1)
	v_mul_f32_e32 v35, v21, v23
	v_mul_f32_e32 v30, v32, v35
	s_delay_alu instid0(VALU_DEP_1) | instskip(NEXT) | instid1(VALU_DEP_1)
	v_fma_f32 v24, v35, v32, -v30
	v_dual_fmac_f32 v24, v35, v34 :: v_dual_sub_f32 v32, v25, v23
	s_delay_alu instid0(VALU_DEP_1) | instskip(NEXT) | instid1(VALU_DEP_2)
	v_add_f32_e32 v22, v30, v24
	v_dual_add_f32 v15, v15, v32 :: v_dual_add_f32 v32, v33, v35
	s_delay_alu instid0(VALU_DEP_2) | instskip(NEXT) | instid1(VALU_DEP_1)
	v_dual_sub_f32 v31, v23, v22 :: v_dual_mov_b32 v25, v22
	v_pk_add_f32 v[22:23], v[22:23], v[30:31] neg_lo:[0,1] neg_hi:[0,1]
	s_delay_alu instid0(VALU_DEP_1) | instskip(NEXT) | instid1(VALU_DEP_1)
	v_pk_add_f32 v[22:23], v[22:23], v[24:25] neg_lo:[0,1] neg_hi:[0,1]
	v_add_f32_e32 v15, v15, v23
	s_delay_alu instid0(VALU_DEP_1) | instskip(NEXT) | instid1(VALU_DEP_1)
	v_dual_add_f32 v15, v22, v15 :: v_dual_sub_f32 v22, v32, v33
	v_sub_f32_e32 v22, v35, v22
	s_delay_alu instid0(VALU_DEP_2) | instskip(NEXT) | instid1(VALU_DEP_1)
	v_add_f32_e32 v15, v31, v15
	v_mul_f32_e32 v15, v21, v15
	s_delay_alu instid0(VALU_DEP_1) | instskip(SKIP_1) | instid1(VALU_DEP_2)
	v_add_f32_e32 v21, v22, v15
	v_cvt_f32_i32_e32 v22, v2
	v_add_f32_e32 v33, v32, v21
	s_delay_alu instid0(VALU_DEP_1) | instskip(SKIP_2) | instid1(VALU_DEP_3)
	v_mul_f32_e32 v15, v33, v33
	v_ldexp_f32 v31, v33, 1
	v_sub_f32_e32 v2, v33, v32
	v_dual_fmaak_f32 v24, s19, v15, 0x3ecc95a3 :: v_dual_mul_f32 v23, v33, v15
	s_delay_alu instid0(VALU_DEP_1) | instskip(NEXT) | instid1(VALU_DEP_1)
	v_dual_sub_f32 v2, v21, v2 :: v_dual_fmaak_f32 v15, v15, v24, 0x3f2aaada
	v_ldexp_f32 v2, v2, 1
	s_delay_alu instid0(VALU_DEP_2) | instskip(NEXT) | instid1(VALU_DEP_1)
	v_pk_mul_f32 v[24:25], v[22:23], v[14:15]
	v_fma_f32 v30, 0x3f317218, v22, -v24
	v_mov_b32_e32 v32, v24
	s_delay_alu instid0(VALU_DEP_2) | instskip(NEXT) | instid1(VALU_DEP_1)
	v_fmac_f32_e32 v30, 0xb102e308, v22
	v_pk_add_f32 v[22:23], v[24:25], v[30:31]
	s_delay_alu instid0(VALU_DEP_1) | instskip(NEXT) | instid1(VALU_DEP_1)
	v_dual_sub_f32 v15, v23, v31 :: v_dual_mov_b32 v40, v23
	v_sub_f32_e32 v15, v25, v15
	s_delay_alu instid0(VALU_DEP_3) | instskip(NEXT) | instid1(VALU_DEP_2)
	v_pk_add_f32 v[24:25], v[22:23], v[24:25] neg_lo:[0,1] neg_hi:[0,1]
	v_add_f32_e32 v33, v2, v15
	v_max_num_f32_e64 v2, |v5|, |v5|
	v_max_num_f32_e64 v15, |v4|, |v4|
	v_mov_b32_e32 v31, v22
	s_delay_alu instid0(VALU_DEP_4) | instskip(NEXT) | instid1(VALU_DEP_3)
	v_pk_add_f32 v[34:35], v[22:23], v[32:33]
	v_max_num_f32_e32 v21, v15, v2
	s_delay_alu instid0(VALU_DEP_2) | instskip(NEXT) | instid1(VALU_DEP_2)
	v_mov_b32_e32 v25, v35
	v_frexp_exp_i32_f32_e32 v32, v21
	v_frexp_mant_f32_e32 v21, v21
	s_delay_alu instid0(VALU_DEP_3) | instskip(SKIP_2) | instid1(VALU_DEP_4)
	v_pk_add_f32 v[36:37], v[30:31], v[24:25]
	v_min_num_f32_e32 v15, v15, v2
	v_pk_add_f32 v[24:25], v[30:31], v[24:25] neg_lo:[0,1] neg_hi:[0,1]
	v_rcp_f32_e32 v21, v21
	s_delay_alu instid0(VALU_DEP_3) | instskip(NEXT) | instid1(VALU_DEP_3)
	v_mov_b32_e32 v2, v37
	v_frexp_exp_i32_f32_e32 v36, v15
	v_frexp_mant_f32_e32 v42, v15
	v_mov_b32_e32 v25, v37
	s_delay_alu instid0(VALU_DEP_4) | instskip(NEXT) | instid1(VALU_DEP_4)
	v_pk_add_f32 v[38:39], v[2:3], v[22:23] neg_lo:[0,1] neg_hi:[0,1]
	v_dual_mov_b32 v36, v35 :: v_dual_sub_nc_u32 v39, v36, v32
	v_dual_mov_b32 v23, v22 :: v_dual_mov_b32 v22, v33
	s_delay_alu instid0(VALU_DEP_3) | instskip(NEXT) | instid1(VALU_DEP_1)
	v_dual_mov_b32 v41, v38 :: v_dual_mov_b32 v15, v38
	v_pk_add_f32 v[30:31], v[36:37], v[40:41] neg_lo:[0,1] neg_hi:[0,1]
	s_delay_alu instid0(VALU_DEP_2) | instskip(SKIP_1) | instid1(VALU_DEP_3)
	v_pk_add_f32 v[32:33], v[34:35], v[14:15] neg_lo:[0,1] neg_hi:[0,1]
	v_mov_b32_e32 v32, v24
	v_pk_add_f32 v[22:23], v[22:23], v[30:31] neg_lo:[0,1] neg_hi:[0,1]
	s_delay_alu instid0(VALU_DEP_1) | instskip(NEXT) | instid1(VALU_DEP_1)
	v_pk_add_f32 v[30:31], v[32:33], v[22:23]
	v_dual_mul_f32 v21, v42, v21 :: v_dual_mov_b32 v32, v31
	s_delay_alu instid0(VALU_DEP_1) | instskip(NEXT) | instid1(VALU_DEP_2)
	v_ldexp_f32 v15, v21, v39
	v_pk_add_f32 v[32:33], v[30:31], v[32:33]
	s_delay_alu instid0(VALU_DEP_2) | instskip(NEXT) | instid1(VALU_DEP_2)
	v_mul_f32_e32 v21, v15, v15
	v_pk_add_f32 v[34:35], v[2:3], v[32:33]
	s_delay_alu instid0(VALU_DEP_1) | instskip(NEXT) | instid1(VALU_DEP_1)
	v_mov_b32_e32 v31, v34
	v_pk_add_f32 v[36:37], v[30:31], v[24:25] neg_lo:[0,1] neg_hi:[0,1]
	s_delay_alu instid0(VALU_DEP_1) | instskip(NEXT) | instid1(VALU_DEP_1)
	v_sub_f32_e32 v25, v30, v36
	v_sub_f32_e32 v24, v24, v25
	v_fmaak_f32 v23, s20, v21, 0xbc7a590c
	s_delay_alu instid0(VALU_DEP_1) | instskip(NEXT) | instid1(VALU_DEP_1)
	v_fmaak_f32 v23, v21, v23, 0x3d29fb3f
	v_dual_fmaak_f32 v2, v21, v23, 0xbd97d4d7 :: v_dual_mov_b32 v23, v32
	s_delay_alu instid0(VALU_DEP_1) | instskip(NEXT) | instid1(VALU_DEP_2)
	v_fmaak_f32 v2, v21, v2, 0x3dd931b2
	v_pk_add_f32 v[22:23], v[22:23], v[36:37] neg_lo:[0,1] neg_hi:[0,1]
	s_delay_alu instid0(VALU_DEP_1) | instskip(NEXT) | instid1(VALU_DEP_3)
	v_add_f32_e32 v22, v22, v24
	v_fmaak_f32 v2, v21, v2, 0xbe1160e6
	s_delay_alu instid0(VALU_DEP_1) | instskip(NEXT) | instid1(VALU_DEP_1)
	v_fmaak_f32 v2, v21, v2, 0x3e4cb8bf
	v_fmaak_f32 v2, v21, v2, 0xbeaaaa62
	s_delay_alu instid0(VALU_DEP_1) | instskip(NEXT) | instid1(VALU_DEP_1)
	v_dual_mul_f32 v2, v21, v2 :: v_dual_add_f32 v21, v22, v23
	v_dual_fmac_f32 v15, v15, v2 :: v_dual_add_f32 v2, v34, v21
	s_delay_alu instid0(VALU_DEP_1) | instskip(NEXT) | instid1(VALU_DEP_2)
	v_sub_f32_e32 v21, 0x3fc90fdb, v15
	v_cndmask_b32_e32 v2, 0x7f800000, v2, vcc_lo
	v_cmp_gt_i32_e32 vcc_lo, 0, v4
	s_delay_alu instid0(VALU_DEP_3) | instskip(SKIP_2) | instid1(VALU_DEP_3)
	v_cndmask_b32_e64 v15, v15, v21, s2
	v_cndmask_b32_e64 v21, 0, 0x40490fdb, vcc_lo
	v_cmp_ngt_f32_e32 vcc_lo, -1.0, v20
	v_sub_f32_e32 v22, 0x40490fdb, v15
	v_cndmask_b32_e32 v2, 0x7fc00000, v2, vcc_lo
	v_cmp_gt_f32_e32 vcc_lo, 0, v4
	s_delay_alu instid0(VALU_DEP_2) | instskip(NEXT) | instid1(VALU_DEP_4)
	v_cndmask_b32_e64 v2, 0xff800000, v2, s3
	v_cndmask_b32_e32 v15, v15, v22, vcc_lo
	v_cndmask_b32_e32 v22, 0x3f490fdb, v26, vcc_lo
	v_cmp_gt_f32_e64 vcc_lo, 0x33800000, |v20|
	v_cmp_class_f32_e64 s3, v5, 0x204
	v_cndmask_b32_e32 v2, v2, v20, vcc_lo
	v_cmp_eq_f32_e32 vcc_lo, 0, v5
	s_delay_alu instid0(VALU_DEP_2) | instskip(SKIP_1) | instid1(VALU_DEP_1)
	v_dual_mul_f32 v2, 0.5, v2 :: v_dual_cndmask_b32 v15, v15, v21
	s_and_b32 vcc_lo, s4, s3
	v_cndmask_b32_e32 v15, v15, v22, vcc_lo
.LBB180_120:                            ;   in Loop: Header=BB180_5 Depth=1
	s_or_b32 exec_lo, exec_lo, s27
.LBB180_121:                            ;   in Loop: Header=BB180_5 Depth=1
	s_delay_alu instid0(SALU_CYCLE_1)
	s_or_b32 exec_lo, exec_lo, s26
.LBB180_122:                            ;   in Loop: Header=BB180_5 Depth=1
	s_and_not1_saveexec_b32 s4, s25
	s_cbranch_execz .LBB180_124
; %bb.123:                              ;   in Loop: Header=BB180_5 Depth=1
	v_max_num_f32_e64 v2, |v5|, |v5|
	v_max_num_f32_e64 v15, |v4|, |v4|
	v_cmp_gt_i32_e64 s3, 0, v4
	v_cmp_class_f32_e64 s5, v4, 0x204
	v_cmp_class_f32_e64 s6, v5, 0x204
	s_delay_alu instid0(VALU_DEP_4) | instskip(NEXT) | instid1(VALU_DEP_1)
	v_dual_max_num_f32 v22, v15, v2 :: v_dual_min_num_f32 v2, v15, v2
	v_cvt_f64_f32_e32 v[20:21], v22
	v_frexp_exp_i32_f32_e32 v15, v22
	s_delay_alu instid0(VALU_DEP_3) | instskip(SKIP_4) | instid1(VALU_DEP_1)
	v_frexp_exp_i32_f32_e32 v23, v2
	v_frexp_mant_f32_e32 v2, v2
	v_cmp_neq_f32_e32 vcc_lo, 0x7f800000, v22
	v_frexp_exp_i32_f64_e32 v20, v[20:21]
	v_frexp_mant_f32_e32 v21, v22
	v_rcp_f32_e32 v21, v21
	v_nop
	s_delay_alu instid0(TRANS32_DEP_1) | instskip(NEXT) | instid1(VALU_DEP_1)
	v_dual_mul_f32 v2, v2, v21 :: v_dual_sub_nc_u32 v15, v23, v15
	v_ldexp_f32 v2, v2, v15
	s_delay_alu instid0(VALU_DEP_1) | instskip(NEXT) | instid1(VALU_DEP_1)
	v_dual_mul_f32 v21, v2, v2 :: v_dual_sub_nc_u32 v15, 0, v20
	v_ldexp_f32 v23, |v5|, v15
	s_delay_alu instid0(VALU_DEP_2) | instskip(SKIP_1) | instid1(VALU_DEP_2)
	v_fmaak_f32 v24, s20, v21, 0xbc7a590c
	v_ldexp_f32 v15, |v4|, v15
	v_dual_mul_f32 v23, v23, v23 :: v_dual_fmaak_f32 v24, v21, v24, 0x3d29fb3f
	s_delay_alu instid0(VALU_DEP_1) | instskip(NEXT) | instid1(VALU_DEP_2)
	v_fmac_f32_e32 v23, v15, v15
	v_fmaak_f32 v15, v21, v24, 0xbd97d4d7
	s_delay_alu instid0(VALU_DEP_2) | instskip(NEXT) | instid1(VALU_DEP_1)
	v_sqrt_f32_e32 v23, v23
	v_fmaak_f32 v15, v21, v15, 0x3dd931b2
	s_delay_alu instid0(VALU_DEP_1) | instskip(NEXT) | instid1(TRANS32_DEP_1)
	v_fmaak_f32 v15, v21, v15, 0xbe1160e6
	v_ldexp_f32 v20, v23, v20
	s_delay_alu instid0(VALU_DEP_2) | instskip(NEXT) | instid1(VALU_DEP_1)
	v_fmaak_f32 v15, v21, v15, 0x3e4cb8bf
	v_fmaak_f32 v15, v21, v15, 0xbeaaaa62
	s_delay_alu instid0(VALU_DEP_1) | instskip(NEXT) | instid1(VALU_DEP_1)
	v_dual_cndmask_b32 v20, 0x7f800000, v20 :: v_dual_mul_f32 v15, v21, v15
	v_cmp_gt_f32_e32 vcc_lo, 0x800000, v20
	v_cndmask_b32_e64 v22, 0, 32, vcc_lo
	v_cndmask_b32_e64 v23, 0, 0x41b17218, vcc_lo
	s_delay_alu instid0(VALU_DEP_2) | instskip(NEXT) | instid1(VALU_DEP_1)
	v_ldexp_f32 v20, v20, v22
	v_log_f32_e32 v20, v20
	v_nop
	s_delay_alu instid0(TRANS32_DEP_1) | instskip(SKIP_1) | instid1(VALU_DEP_2)
	v_dual_fmac_f32 v2, v2, v15 :: v_dual_mul_f32 v15, 0x3f317217, v20
	v_cmp_gt_f32_e64 vcc_lo, 0x7f800000, |v20|
	v_fma_f32 v15, 0x3f317217, v20, -v15
	s_delay_alu instid0(VALU_DEP_1) | instskip(NEXT) | instid1(VALU_DEP_1)
	v_fmac_f32_e32 v15, 0x3377d1cf, v20
	v_fmac_f32_e32 v15, 0x3f317217, v20
	s_delay_alu instid0(VALU_DEP_1) | instskip(SKIP_2) | instid1(VALU_DEP_2)
	v_cndmask_b32_e32 v15, v20, v15, vcc_lo
	v_sub_f32_e32 v21, 0x3fc90fdb, v2
	v_cmp_eq_f32_e32 vcc_lo, 0, v5
	v_cndmask_b32_e64 v2, v2, v21, s2
	v_cndmask_b32_e64 v21, 0, 0x40490fdb, s3
	v_cmp_gt_f32_e64 s3, 0, v4
	s_delay_alu instid0(VALU_DEP_3) | instskip(NEXT) | instid1(VALU_DEP_1)
	v_sub_f32_e32 v22, 0x40490fdb, v2
	v_cndmask_b32_e64 v2, v2, v22, s3
	v_cndmask_b32_e64 v22, 0x3f490fdb, v26, s3
	s_delay_alu instid0(VALU_DEP_2) | instskip(SKIP_1) | instid1(VALU_DEP_1)
	v_cndmask_b32_e32 v20, v2, v21, vcc_lo
	s_and_b32 vcc_lo, s5, s6
	v_dual_sub_f32 v2, v15, v23 :: v_dual_cndmask_b32 v15, v20, v22
.LBB180_124:                            ;   in Loop: Header=BB180_5 Depth=1
	s_or_b32 exec_lo, exec_lo, s4
                                        ; implicit-def: $vgpr20
.LBB180_125:                            ;   in Loop: Header=BB180_5 Depth=1
	s_and_not1_saveexec_b32 s4, s24
	s_cbranch_execz .LBB180_131
; %bb.126:                              ;   in Loop: Header=BB180_5 Depth=1
                                        ; implicit-def: $vgpr2
                                        ; implicit-def: $vgpr15
	s_mov_b32 s3, exec_lo
	v_cmpx_ngt_f32_e32 0x1fec1e4a, v20
	s_xor_b32 s5, exec_lo, s3
	s_cbranch_execz .LBB180_128
; %bb.127:                              ;   in Loop: Header=BB180_5 Depth=1
	v_pk_mul_f32 v[20:21], v[20:21], v[20:21]
	v_max_num_f32_e64 v36, |v4|, |v4|
	v_cmp_class_f32_e64 s6, v4, 0x204
	s_delay_alu instid0(VALU_DEP_3) | instskip(SKIP_1) | instid1(VALU_DEP_2)
	v_add_f32_e32 v23, 1.0, v20
	v_cmp_neq_f32_e64 s3, 0x7f800000, v20
	v_add_f32_e32 v21, -1.0, v23
	s_delay_alu instid0(VALU_DEP_1) | instskip(SKIP_2) | instid1(VALU_DEP_1)
	v_mov_b32_e32 v22, v21
	v_cvt_f64_f32_e32 v[24:25], v23
	v_frexp_mant_f32_e32 v15, v23
	v_cmp_gt_f32_e32 vcc_lo, 0x3f2aaaab, v15
	s_delay_alu instid0(VALU_DEP_3) | instskip(NEXT) | instid1(VALU_DEP_1)
	v_frexp_exp_i32_f64_e32 v2, v[24:25]
	v_subrev_co_ci_u32_e64 v2, null, 0, v2, vcc_lo
	v_cmp_gt_i32_e32 vcc_lo, 0, v4
	s_delay_alu instid0(VALU_DEP_2) | instskip(SKIP_1) | instid1(VALU_DEP_2)
	v_sub_nc_u32_e32 v15, 0, v2
	v_pk_add_f32 v[24:25], v[20:21], v[22:23] neg_lo:[0,1] neg_hi:[0,1]
	v_ldexp_f32 v21, v23, v15
	s_delay_alu instid0(VALU_DEP_2) | instskip(NEXT) | instid1(VALU_DEP_2)
	v_add_f32_e32 v22, 1.0, v25
	v_add_f32_e32 v25, 1.0, v21
	s_delay_alu instid0(VALU_DEP_1) | instskip(SKIP_1) | instid1(VALU_DEP_2)
	v_dual_add_f32 v23, -1.0, v25 :: v_dual_add_f32 v22, v24, v22
	v_add_f32_e32 v31, -1.0, v21
	v_ldexp_f32 v15, v22, v15
	s_delay_alu instid0(VALU_DEP_3) | instskip(NEXT) | instid1(VALU_DEP_1)
	v_sub_f32_e32 v22, v21, v23
	v_dual_add_f32 v23, 1.0, v31 :: v_dual_add_f32 v22, v15, v22
	s_delay_alu instid0(VALU_DEP_1) | instskip(NEXT) | instid1(VALU_DEP_2)
	v_add_f32_e32 v32, v25, v22
	v_sub_f32_e32 v21, v21, v23
	s_delay_alu instid0(VALU_DEP_1) | instskip(NEXT) | instid1(VALU_DEP_3)
	v_add_f32_e32 v15, v15, v21
	v_rcp_f32_e32 v21, v32
	s_delay_alu instid0(VALU_DEP_1)
	v_dual_sub_f32 v25, v25, v32 :: v_dual_add_f32 v23, v31, v15
	s_delay_alu instid0(TRANS32_DEP_1) | instid1(VALU_DEP_1)
	v_mul_f32_e32 v33, v23, v21
	s_delay_alu instid0(VALU_DEP_1) | instskip(NEXT) | instid1(VALU_DEP_1)
	v_dual_sub_f32 v35, v31, v23 :: v_dual_mul_f32 v24, v32, v33
	v_dual_add_f32 v34, v22, v25 :: v_dual_add_f32 v15, v15, v35
	s_delay_alu instid0(VALU_DEP_2) | instskip(NEXT) | instid1(VALU_DEP_1)
	v_fma_f32 v30, v33, v32, -v24
	v_fmac_f32_e32 v30, v33, v34
	s_delay_alu instid0(VALU_DEP_1) | instskip(NEXT) | instid1(VALU_DEP_1)
	v_add_f32_e32 v22, v24, v30
	v_dual_sub_f32 v25, v23, v22 :: v_dual_mov_b32 v31, v22
	s_delay_alu instid0(VALU_DEP_1) | instskip(NEXT) | instid1(VALU_DEP_1)
	v_pk_add_f32 v[22:23], v[22:23], v[24:25] neg_lo:[0,1] neg_hi:[0,1]
	v_pk_add_f32 v[22:23], v[22:23], v[30:31] neg_lo:[0,1] neg_hi:[0,1]
	s_delay_alu instid0(VALU_DEP_1) | instskip(NEXT) | instid1(VALU_DEP_1)
	v_add_f32_e32 v15, v15, v23
	v_add_f32_e32 v15, v22, v15
	s_delay_alu instid0(VALU_DEP_1) | instskip(NEXT) | instid1(VALU_DEP_1)
	v_add_f32_e32 v23, v25, v15
	v_mul_f32_e32 v35, v21, v23
	s_delay_alu instid0(VALU_DEP_1) | instskip(NEXT) | instid1(VALU_DEP_1)
	v_mul_f32_e32 v30, v32, v35
	v_fma_f32 v24, v35, v32, -v30
	s_delay_alu instid0(VALU_DEP_1) | instskip(NEXT) | instid1(VALU_DEP_1)
	v_dual_fmac_f32 v24, v35, v34 :: v_dual_sub_f32 v32, v25, v23
	v_add_f32_e32 v22, v30, v24
	s_delay_alu instid0(VALU_DEP_2) | instskip(NEXT) | instid1(VALU_DEP_2)
	v_dual_add_f32 v15, v15, v32 :: v_dual_add_f32 v32, v33, v35
	v_dual_sub_f32 v31, v23, v22 :: v_dual_mov_b32 v25, v22
	s_delay_alu instid0(VALU_DEP_1) | instskip(NEXT) | instid1(VALU_DEP_1)
	v_pk_add_f32 v[22:23], v[22:23], v[30:31] neg_lo:[0,1] neg_hi:[0,1]
	v_pk_add_f32 v[22:23], v[22:23], v[24:25] neg_lo:[0,1] neg_hi:[0,1]
	s_delay_alu instid0(VALU_DEP_1) | instskip(NEXT) | instid1(VALU_DEP_1)
	v_add_f32_e32 v15, v15, v23
	v_dual_add_f32 v15, v22, v15 :: v_dual_sub_f32 v22, v32, v33
	s_delay_alu instid0(VALU_DEP_1) | instskip(NEXT) | instid1(VALU_DEP_2)
	v_sub_f32_e32 v22, v35, v22
	v_add_f32_e32 v15, v31, v15
	s_delay_alu instid0(VALU_DEP_1) | instskip(NEXT) | instid1(VALU_DEP_1)
	v_mul_f32_e32 v15, v21, v15
	v_add_f32_e32 v21, v22, v15
	v_cvt_f32_i32_e32 v22, v2
	s_delay_alu instid0(VALU_DEP_2) | instskip(NEXT) | instid1(VALU_DEP_1)
	v_add_f32_e32 v33, v32, v21
	v_mul_f32_e32 v15, v33, v33
	v_ldexp_f32 v31, v33, 1
	v_sub_f32_e32 v2, v33, v32
	s_delay_alu instid0(VALU_DEP_3) | instskip(NEXT) | instid1(VALU_DEP_2)
	v_dual_fmaak_f32 v24, s19, v15, 0x3ecc95a3 :: v_dual_mul_f32 v23, v33, v15
	v_sub_f32_e32 v2, v21, v2
	v_max_num_f32_e64 v21, |v5|, |v5|
	s_delay_alu instid0(VALU_DEP_3) | instskip(NEXT) | instid1(VALU_DEP_3)
	v_fmaak_f32 v15, v15, v24, 0x3f2aaada
	v_ldexp_f32 v2, v2, 1
	s_delay_alu instid0(VALU_DEP_2) | instskip(NEXT) | instid1(VALU_DEP_1)
	v_pk_mul_f32 v[24:25], v[22:23], v[14:15]
	v_fma_f32 v30, 0x3f317218, v22, -v24
	v_mov_b32_e32 v32, v24
	s_delay_alu instid0(VALU_DEP_2) | instskip(NEXT) | instid1(VALU_DEP_1)
	v_fmac_f32_e32 v30, 0xb102e308, v22
	v_pk_add_f32 v[22:23], v[24:25], v[30:31]
	s_delay_alu instid0(VALU_DEP_1) | instskip(NEXT) | instid1(VALU_DEP_1)
	v_sub_f32_e32 v15, v23, v31
	v_sub_f32_e32 v15, v25, v15
	s_delay_alu instid0(VALU_DEP_3) | instskip(NEXT) | instid1(VALU_DEP_2)
	v_pk_add_f32 v[24:25], v[22:23], v[24:25] neg_lo:[0,1] neg_hi:[0,1]
	v_dual_add_f32 v33, v2, v15 :: v_dual_max_num_f32 v2, v36, v21
	v_min_num_f32_e32 v21, v36, v21
	s_delay_alu instid0(VALU_DEP_2) | instskip(SKIP_1) | instid1(VALU_DEP_4)
	v_pk_add_f32 v[34:35], v[22:23], v[32:33]
	v_mov_b32_e32 v31, v22
	v_frexp_mant_f32_e32 v15, v2
	v_frexp_exp_i32_f32_e32 v32, v2
	s_delay_alu instid0(VALU_DEP_4) | instskip(NEXT) | instid1(VALU_DEP_3)
	v_dual_mov_b32 v40, v23 :: v_dual_mov_b32 v25, v35
	v_rcp_f32_e32 v15, v15
	s_delay_alu instid0(VALU_DEP_1) | instskip(SKIP_1) | instid1(VALU_DEP_2)
	v_pk_add_f32 v[36:37], v[30:31], v[24:25]
	v_pk_add_f32 v[24:25], v[30:31], v[24:25] neg_lo:[0,1] neg_hi:[0,1]
	v_mov_b32_e32 v2, v37
	v_frexp_exp_i32_f32_e32 v36, v21
	v_frexp_mant_f32_e32 v21, v21
	v_mov_b32_e32 v25, v37
	s_delay_alu instid0(VALU_DEP_4) | instskip(NEXT) | instid1(VALU_DEP_3)
	v_pk_add_f32 v[38:39], v[2:3], v[22:23] neg_lo:[0,1] neg_hi:[0,1]
	v_dual_mul_f32 v15, v21, v15 :: v_dual_sub_nc_u32 v32, v36, v32
	v_dual_mov_b32 v36, v35 :: v_dual_mov_b32 v23, v22
	s_delay_alu instid0(VALU_DEP_3) | instskip(NEXT) | instid1(VALU_DEP_3)
	v_dual_mov_b32 v41, v38 :: v_dual_mov_b32 v22, v33
	v_ldexp_f32 v21, v15, v32
	v_mov_b32_e32 v15, v38
	s_delay_alu instid0(VALU_DEP_3) | instskip(NEXT) | instid1(VALU_DEP_3)
	v_pk_add_f32 v[30:31], v[36:37], v[40:41] neg_lo:[0,1] neg_hi:[0,1]
	v_mul_f32_e32 v38, v21, v21
	s_delay_alu instid0(VALU_DEP_3) | instskip(SKIP_1) | instid1(VALU_DEP_4)
	v_pk_add_f32 v[32:33], v[34:35], v[14:15] neg_lo:[0,1] neg_hi:[0,1]
	v_mov_b32_e32 v32, v24
	v_pk_add_f32 v[22:23], v[22:23], v[30:31] neg_lo:[0,1] neg_hi:[0,1]
	s_delay_alu instid0(VALU_DEP_1) | instskip(NEXT) | instid1(VALU_DEP_1)
	v_pk_add_f32 v[30:31], v[32:33], v[22:23]
	v_dual_fmaak_f32 v15, s20, v38, 0xbc7a590c :: v_dual_mov_b32 v32, v31
	s_delay_alu instid0(VALU_DEP_1) | instskip(NEXT) | instid1(VALU_DEP_2)
	v_fmaak_f32 v15, v38, v15, 0x3d29fb3f
	v_pk_add_f32 v[32:33], v[30:31], v[32:33]
	s_delay_alu instid0(VALU_DEP_2) | instskip(NEXT) | instid1(VALU_DEP_2)
	v_fmaak_f32 v15, v38, v15, 0xbd97d4d7
	v_pk_add_f32 v[34:35], v[2:3], v[32:33]
	s_delay_alu instid0(VALU_DEP_2) | instskip(NEXT) | instid1(VALU_DEP_2)
	v_fmaak_f32 v15, v38, v15, 0x3dd931b2
	v_dual_mov_b32 v23, v32 :: v_dual_mov_b32 v31, v34
	s_delay_alu instid0(VALU_DEP_2) | instskip(NEXT) | instid1(VALU_DEP_2)
	v_fmaak_f32 v2, v38, v15, 0xbe1160e6
	v_pk_add_f32 v[36:37], v[30:31], v[24:25] neg_lo:[0,1] neg_hi:[0,1]
	s_delay_alu instid0(VALU_DEP_1) | instskip(NEXT) | instid1(VALU_DEP_3)
	v_sub_f32_e32 v15, v30, v36
	v_fmaak_f32 v2, v38, v2, 0x3e4cb8bf
	s_delay_alu instid0(VALU_DEP_3) | instskip(NEXT) | instid1(VALU_DEP_2)
	v_pk_add_f32 v[22:23], v[22:23], v[36:37] neg_lo:[0,1] neg_hi:[0,1]
	v_dual_sub_f32 v15, v24, v15 :: v_dual_fmaak_f32 v2, v38, v2, 0xbeaaaa62
	s_delay_alu instid0(VALU_DEP_1) | instskip(NEXT) | instid1(VALU_DEP_1)
	v_mul_f32_e32 v2, v38, v2
	v_dual_fmac_f32 v21, v21, v2 :: v_dual_add_f32 v2, v22, v15
	s_delay_alu instid0(VALU_DEP_1) | instskip(NEXT) | instid1(VALU_DEP_1)
	v_sub_f32_e32 v15, 0x3fc90fdb, v21
	v_cndmask_b32_e64 v15, v21, v15, s2
	v_cndmask_b32_e64 v21, 0, 0x40490fdb, vcc_lo
	v_cmp_gt_f32_e32 vcc_lo, 0, v4
	s_delay_alu instid0(VALU_DEP_3) | instskip(NEXT) | instid1(VALU_DEP_1)
	v_sub_f32_e32 v22, 0x40490fdb, v15
	v_dual_add_f32 v2, v2, v23 :: v_dual_cndmask_b32 v15, v15, v22
	s_delay_alu instid0(VALU_DEP_1) | instskip(SKIP_2) | instid1(VALU_DEP_3)
	v_add_f32_e32 v2, v34, v2
	v_cndmask_b32_e32 v22, 0x3f490fdb, v26, vcc_lo
	v_cmp_gt_f32_e64 vcc_lo, 0x33800000, |v20|
	v_cndmask_b32_e64 v2, 0x7f800000, v2, s3
	v_cmp_class_f32_e64 s3, v5, 0x204
	s_delay_alu instid0(VALU_DEP_2) | instskip(SKIP_3) | instid1(VALU_DEP_1)
	v_cndmask_b32_e32 v2, v2, v20, vcc_lo
	v_cmp_eq_f32_e32 vcc_lo, 0, v5
                                        ; implicit-def: $vgpr20
	v_cndmask_b32_e32 v15, v15, v21, vcc_lo
	s_and_b32 vcc_lo, s6, s3
	v_cndmask_b32_e32 v15, v15, v22, vcc_lo
	v_mul_f32_e32 v2, 0.5, v2
.LBB180_128:                            ;   in Loop: Header=BB180_5 Depth=1
	s_and_not1_saveexec_b32 s5, s5
	s_cbranch_execz .LBB180_130
; %bb.129:                              ;   in Loop: Header=BB180_5 Depth=1
	v_max_num_f32_e64 v2, |v5|, |v5|
	v_max_num_f32_e64 v15, |v4|, |v4|
	v_cmp_eq_f32_e64 s3, 0, v5
	v_cmp_gt_i32_e32 vcc_lo, 0, v4
	v_cmp_class_f32_e64 s6, v4, 0x204
	v_cmp_class_f32_e64 s7, v5, 0x204
	v_dual_max_num_f32 v21, v15, v2 :: v_dual_min_num_f32 v2, v15, v2
	s_delay_alu instid0(VALU_DEP_1) | instskip(SKIP_1) | instid1(VALU_DEP_2)
	v_frexp_mant_f32_e32 v22, v21
	v_frexp_exp_i32_f32_e32 v15, v21
	v_rcp_f32_e32 v21, v22
	v_nop
	v_frexp_exp_i32_f32_e32 v22, v2
	v_frexp_mant_f32_e32 v2, v2
	s_delay_alu instid0(VALU_DEP_2)
	v_sub_nc_u32_e32 v15, v22, v15
	s_delay_alu instid0(TRANS32_DEP_1) | instid1(VALU_DEP_2)
	v_mul_f32_e32 v2, v2, v21
	s_delay_alu instid0(VALU_DEP_1) | instskip(NEXT) | instid1(VALU_DEP_1)
	v_ldexp_f32 v2, v2, v15
	v_mul_f32_e32 v15, v2, v2
	s_delay_alu instid0(VALU_DEP_1) | instskip(NEXT) | instid1(VALU_DEP_1)
	v_fmaak_f32 v21, s20, v15, 0xbc7a590c
	v_fmaak_f32 v21, v15, v21, 0x3d29fb3f
	s_delay_alu instid0(VALU_DEP_1) | instskip(NEXT) | instid1(VALU_DEP_1)
	v_fmaak_f32 v21, v15, v21, 0xbd97d4d7
	v_fmaak_f32 v21, v15, v21, 0x3dd931b2
	;; [unrolled: 3-line block ×3, first 2 shown]
	s_delay_alu instid0(VALU_DEP_1) | instskip(NEXT) | instid1(VALU_DEP_1)
	v_fmaak_f32 v21, v15, v21, 0xbeaaaa62
	v_mul_f32_e32 v15, v15, v21
	v_cndmask_b32_e64 v21, 0, 0x40490fdb, vcc_lo
	v_cmp_gt_f32_e32 vcc_lo, 0, v4
	s_delay_alu instid0(VALU_DEP_3) | instskip(SKIP_1) | instid1(VALU_DEP_2)
	v_fmac_f32_e32 v2, v2, v15
	v_cndmask_b32_e32 v22, 0x3f490fdb, v26, vcc_lo
	v_sub_f32_e32 v15, 0x3fc90fdb, v2
	s_delay_alu instid0(VALU_DEP_1) | instskip(NEXT) | instid1(VALU_DEP_1)
	v_cndmask_b32_e64 v2, v2, v15, s2
	v_sub_f32_e32 v15, 0x40490fdb, v2
	s_delay_alu instid0(VALU_DEP_1) | instskip(SKIP_1) | instid1(VALU_DEP_1)
	v_dual_cndmask_b32 v2, v2, v15 :: v_dual_mul_f32 v15, 0.5, v20
	s_and_b32 vcc_lo, s6, s7
	v_dual_cndmask_b32 v21, v2, v21, s3 :: v_dual_mul_f32 v2, v20, v15
	s_delay_alu instid0(VALU_DEP_1)
	v_cndmask_b32_e32 v15, v21, v22, vcc_lo
.LBB180_130:                            ;   in Loop: Header=BB180_5 Depth=1
	s_or_b32 exec_lo, exec_lo, s5
.LBB180_131:                            ;   in Loop: Header=BB180_5 Depth=1
	s_delay_alu instid0(SALU_CYCLE_1)
	s_or_b32 exec_lo, exec_lo, s4
.LBB180_132:                            ;   in Loop: Header=BB180_5 Depth=1
	s_and_not1_saveexec_b32 s4, s23
	s_cbranch_execz .LBB180_134
; %bb.133:                              ;   in Loop: Header=BB180_5 Depth=1
	v_div_scale_f32 v2, null, 0x402df854, 0x402df854, v4
	v_div_scale_f32 v15, null, 0x402df854, 0x402df854, v5
	v_div_scale_f32 v24, vcc_lo, v4, 0x402df854, v4
	s_delay_alu instid0(VALU_DEP_3) | instskip(NEXT) | instid1(VALU_DEP_2)
	v_rcp_f32_e32 v20, v2
	v_rcp_f32_e32 v21, v15
	v_cmp_class_f32_e64 s5, v5, 0x204
	s_delay_alu instid0(TRANS32_DEP_2) | instskip(NEXT) | instid1(TRANS32_DEP_1)
	v_fma_f32 v22, -v2, v20, 1.0
	v_fma_f32 v23, -v15, v21, 1.0
	s_delay_alu instid0(VALU_DEP_1) | instskip(SKIP_1) | instid1(VALU_DEP_1)
	v_dual_fmac_f32 v20, v22, v20 :: v_dual_fmac_f32 v21, v23, v21
	v_div_scale_f32 v22, s3, v5, 0x402df854, v5
	v_dual_mul_f32 v23, v24, v20 :: v_dual_mul_f32 v25, v22, v21
	s_delay_alu instid0(VALU_DEP_1) | instskip(NEXT) | instid1(VALU_DEP_1)
	v_dual_fma_f32 v30, -v2, v23, v24 :: v_dual_fma_f32 v31, -v15, v25, v22
	v_dual_fmac_f32 v23, v30, v20 :: v_dual_fmac_f32 v25, v31, v21
	s_delay_alu instid0(VALU_DEP_1) | instskip(NEXT) | instid1(VALU_DEP_1)
	v_dual_fma_f32 v2, -v2, v23, v24 :: v_dual_fma_f32 v15, -v15, v25, v22
	v_div_fmas_f32 v2, v2, v20, v23
	s_mov_b32 vcc_lo, s3
	v_max_num_f32_e64 v23, |v4|, |v4|
	s_delay_alu instid0(VALU_DEP_3) | instskip(SKIP_2) | instid1(VALU_DEP_3)
	v_div_fmas_f32 v15, v15, v21, v25
	v_cmp_class_f32_e64 s3, v4, 0x204
	v_div_fixup_f32 v2, v2, 0x402df854, v4
	v_div_fixup_f32 v15, v15, 0x402df854, v5
	s_delay_alu instid0(VALU_DEP_1) | instskip(NEXT) | instid1(VALU_DEP_1)
	v_max_num_f32_e64 v22, |v2|, |v15|
	v_cvt_f64_f32_e32 v[20:21], v22
	v_cmp_neq_f32_e32 vcc_lo, 0x7f800000, v22
	s_delay_alu instid0(VALU_DEP_2) | instskip(SKIP_1) | instid1(VALU_DEP_1)
	v_frexp_exp_i32_f64_e32 v20, v[20:21]
	v_max_num_f32_e64 v21, |v5|, |v5|
	v_dual_max_num_f32 v24, v23, v21 :: v_dual_min_num_f32 v21, v23, v21
	s_delay_alu instid0(VALU_DEP_1) | instskip(SKIP_1) | instid1(VALU_DEP_2)
	v_frexp_mant_f32_e32 v25, v24
	v_frexp_exp_i32_f32_e32 v23, v24
	v_rcp_f32_e32 v24, v25
	v_nop
	v_frexp_exp_i32_f32_e32 v25, v21
	v_frexp_mant_f32_e32 v21, v21
	s_delay_alu instid0(VALU_DEP_2)
	v_sub_nc_u32_e32 v23, v25, v23
	s_delay_alu instid0(TRANS32_DEP_1) | instid1(VALU_DEP_2)
	v_mul_f32_e32 v21, v21, v24
	v_sub_nc_u32_e32 v24, 0, v20
	s_delay_alu instid0(VALU_DEP_1) | instskip(SKIP_1) | instid1(VALU_DEP_2)
	v_ldexp_f32 v15, |v15|, v24
	v_ldexp_f32 v2, |v2|, v24
	v_mul_f32_e32 v15, v15, v15
	v_ldexp_f32 v21, v21, v23
	s_delay_alu instid0(VALU_DEP_1) | instskip(NEXT) | instid1(VALU_DEP_1)
	v_dual_fmac_f32 v15, v2, v2 :: v_dual_mul_f32 v23, v21, v21
	v_sqrt_f32_e32 v15, v15
	s_delay_alu instid0(VALU_DEP_1) | instskip(NEXT) | instid1(VALU_DEP_1)
	v_fmaak_f32 v24, s20, v23, 0xbc7a590c
	v_fmaak_f32 v2, v23, v24, 0x3d29fb3f
	s_delay_alu instid0(TRANS32_DEP_1) | instskip(NEXT) | instid1(VALU_DEP_2)
	v_ldexp_f32 v15, v15, v20
	v_fmaak_f32 v2, v23, v2, 0xbd97d4d7
	s_delay_alu instid0(VALU_DEP_1) | instskip(NEXT) | instid1(VALU_DEP_1)
	v_fmaak_f32 v2, v23, v2, 0x3dd931b2
	v_fmaak_f32 v2, v23, v2, 0xbe1160e6
	s_delay_alu instid0(VALU_DEP_1) | instskip(NEXT) | instid1(VALU_DEP_1)
	v_fmaak_f32 v2, v23, v2, 0x3e4cb8bf
	v_fmaak_f32 v2, v23, v2, 0xbeaaaa62
	s_delay_alu instid0(VALU_DEP_1) | instskip(NEXT) | instid1(VALU_DEP_1)
	v_dual_cndmask_b32 v15, 0x7f800000, v15 :: v_dual_mul_f32 v2, v23, v2
	v_cmp_gt_f32_e32 vcc_lo, 0x800000, v15
	s_delay_alu instid0(VALU_DEP_2) | instskip(SKIP_2) | instid1(VALU_DEP_2)
	v_fmac_f32_e32 v21, v21, v2
	v_cndmask_b32_e64 v20, 0, 32, vcc_lo
	v_cndmask_b32_e64 v23, 0, 0x41b17218, vcc_lo
	v_ldexp_f32 v15, v15, v20
	s_delay_alu instid0(VALU_DEP_1) | instskip(SKIP_1) | instid1(TRANS32_DEP_1)
	v_log_f32_e32 v15, v15
	v_nop
	v_mul_f32_e32 v20, 0x3f317217, v15
	v_cmp_gt_f32_e64 vcc_lo, 0x7f800000, |v15|
	s_delay_alu instid0(VALU_DEP_2) | instskip(SKIP_1) | instid1(VALU_DEP_2)
	v_fma_f32 v2, 0x3f317217, v15, -v20
	v_sub_f32_e32 v20, 0x3fc90fdb, v21
	v_fmac_f32_e32 v2, 0x3377d1cf, v15
	s_delay_alu instid0(VALU_DEP_1) | instskip(NEXT) | instid1(VALU_DEP_3)
	v_fmac_f32_e32 v2, 0x3f317217, v15
	v_cndmask_b32_e64 v20, v21, v20, s2
	v_cmp_gt_i32_e64 s2, 0, v4
	s_delay_alu instid0(VALU_DEP_3) | instskip(NEXT) | instid1(VALU_DEP_3)
	v_cndmask_b32_e32 v2, v15, v2, vcc_lo
	v_sub_f32_e32 v22, 0x40490fdb, v20
	s_delay_alu instid0(VALU_DEP_3) | instskip(SKIP_2) | instid1(VALU_DEP_2)
	v_cndmask_b32_e64 v21, 0, 0x40490fdb, s2
	v_cmp_gt_f32_e64 s2, 0, v4
	v_cmp_eq_f32_e32 vcc_lo, 0, v5
	v_dual_sub_f32 v2, v2, v23 :: v_dual_cndmask_b32 v15, v20, v22, s2
	v_cndmask_b32_e64 v20, 0x3f490fdb, v26, s2
	s_delay_alu instid0(VALU_DEP_2) | instskip(SKIP_1) | instid1(VALU_DEP_1)
	v_dual_add_f32 v2, 1.0, v2 :: v_dual_cndmask_b32 v15, v15, v21
	s_and_b32 vcc_lo, s3, s5
	v_cndmask_b32_e32 v15, v15, v20, vcc_lo
.LBB180_134:                            ;   in Loop: Header=BB180_5 Depth=1
	s_or_b32 exec_lo, exec_lo, s4
.LBB180_135:                            ;   in Loop: Header=BB180_5 Depth=1
	s_and_not1_saveexec_b32 s2, s22
	s_cbranch_execz .LBB180_4
; %bb.136:                              ;   in Loop: Header=BB180_5 Depth=1
	v_cmp_ngt_f32_e64 s3, 0x20000000, |v4|
	v_cmp_ngt_f32_e64 s4, 0x20000000, |v5|
                                        ; implicit-def: $vgpr2
	s_or_b32 s3, s3, s4
	s_delay_alu instid0(SALU_CYCLE_1) | instskip(NEXT) | instid1(SALU_CYCLE_1)
	s_and_saveexec_b32 s4, s3
	s_xor_b32 s3, exec_lo, s4
; %bb.137:                              ;   in Loop: Header=BB180_5 Depth=1
	v_pk_mul_f32 v[20:21], v[4:5], v[4:5]
	s_delay_alu instid0(VALU_DEP_1)
	v_add_f32_e32 v2, v20, v21
; %bb.138:                              ;   in Loop: Header=BB180_5 Depth=1
	s_and_not1_saveexec_b32 s3, s3
	s_cbranch_execz .LBB180_3
; %bb.139:                              ;   in Loop: Header=BB180_5 Depth=1
	v_pk_mul_f32 v[20:21], v[4:5], 4.0 op_sel_hi:[1,0]
	s_delay_alu instid0(VALU_DEP_1) | instskip(NEXT) | instid1(VALU_DEP_1)
	v_pk_mul_f32 v[20:21], v[20:21], v[20:21]
	v_add_f32_e32 v2, v20, v21
	s_delay_alu instid0(VALU_DEP_1)
	v_mul_f32_e32 v2, 0x3d800000, v2
	s_branch .LBB180_3
.LBB180_140:
	s_or_b32 exec_lo, exec_lo, s18
	s_mov_b32 s2, 0
.LBB180_141:
	s_delay_alu instid0(SALU_CYCLE_1)
	s_and_not1_b32 vcc_lo, exec_lo, s2
	s_cbranch_vccnz .LBB180_297
; %bb.142:
	v_cmp_lt_i64_e64 s2, s[10:11], 1
	s_and_b32 vcc_lo, exec_lo, s2
	s_cbranch_vccnz .LBB180_297
; %bb.143:
	v_min_i64 v[2:3], 0x10000, s[10:11]
	v_min_u64 v[4:5], 0x10000, s[10:11]
	s_load_b32 s0, s[0:1], 0xc5c
	v_mov_b64_e32 v[6:7], 0x3f800000bf800000
	v_dual_mov_b32 v1, 0 :: v_dual_mov_b32 v8, 0x3f317218
	v_mov_b32_e32 v32, 0x4016cbe4
	s_mov_b32 s17, 0
	s_mov_b64 s[24:25], 0
	s_mov_b32 s19, s17
	s_mov_b32 s21, s17
	;; [unrolled: 1-line block ×5, first 2 shown]
	s_wait_kmcnt 0x0
	s_and_b32 s16, s0, 0xffff
	s_delay_alu instid0(SALU_CYCLE_1)
	s_lshl_b32 s18, s16, 1
	s_mul_i32 s20, s16, 3
	s_lshl_b32 s22, s16, 2
	s_branch .LBB180_145
.LBB180_144:                            ;   in Loop: Header=BB180_145 Depth=1
	s_wait_xcnt 0x0
	s_or_b32 exec_lo, exec_lo, s1
	s_add_nc_u64 s[24:25], s[24:25], s[22:23]
	s_delay_alu instid0(SALU_CYCLE_1)
	v_cmp_ge_i64_e32 vcc_lo, s[24:25], v[2:3]
	s_cbranch_vccnz .LBB180_297
.LBB180_145:                            ; =>This Loop Header: Depth=1
                                        ;     Child Loop BB180_164 Depth 2
                                        ;     Child Loop BB180_198 Depth 2
	;; [unrolled: 1-line block ×4, first 2 shown]
	v_add_nc_u64_e32 v[20:21], s[24:25], v[0:1]
	v_dual_mov_b32 v24, 0 :: v_dual_mov_b32 v25, 0
	s_delay_alu instid0(VALU_DEP_2)
	v_cmp_lt_u64_e64 s3, v[20:21], v[4:5]
	s_and_saveexec_b32 s0, s3
	s_cbranch_execz .LBB180_147
; %bb.146:                              ;   in Loop: Header=BB180_145 Depth=1
	v_lshl_add_u64 v[10:11], v[20:21], 3, s[12:13]
	global_load_b64 v[24:25], v[10:11], off
.LBB180_147:                            ;   in Loop: Header=BB180_145 Depth=1
	s_wait_xcnt 0x0
	s_or_b32 exec_lo, exec_lo, s0
	v_add_nc_u64_e32 v[18:19], s[16:17], v[20:21]
	v_dual_mov_b32 v16, 0 :: v_dual_mov_b32 v22, 0
	v_mov_b32_e32 v23, 0
	s_delay_alu instid0(VALU_DEP_3)
	v_cmp_lt_u64_e64 s2, v[18:19], v[4:5]
	s_and_saveexec_b32 s0, s2
	s_cbranch_execz .LBB180_149
; %bb.148:                              ;   in Loop: Header=BB180_145 Depth=1
	v_lshl_add_u64 v[10:11], v[18:19], 3, s[12:13]
	global_load_b64 v[22:23], v[10:11], off
.LBB180_149:                            ;   in Loop: Header=BB180_145 Depth=1
	s_wait_xcnt 0x0
	s_or_b32 exec_lo, exec_lo, s0
	v_add_nc_u64_e32 v[12:13], s[18:19], v[20:21]
	v_mov_b32_e32 v17, 0
	s_delay_alu instid0(VALU_DEP_2)
	v_cmp_lt_u64_e64 s1, v[12:13], v[4:5]
	s_and_saveexec_b32 s0, s1
	s_cbranch_execz .LBB180_151
; %bb.150:                              ;   in Loop: Header=BB180_145 Depth=1
	v_lshl_add_u64 v[10:11], v[12:13], 3, s[12:13]
	global_load_b64 v[16:17], v[10:11], off
.LBB180_151:                            ;   in Loop: Header=BB180_145 Depth=1
	s_wait_xcnt 0x0
	s_or_b32 exec_lo, exec_lo, s0
	v_add_nc_u64_e32 v[10:11], s[20:21], v[20:21]
	v_mov_b32_e32 v14, 0
	s_delay_alu instid0(VALU_DEP_1) | instskip(NEXT) | instid1(VALU_DEP_3)
	v_mov_b32_e32 v15, v14
	v_cmp_lt_u64_e64 s0, v[10:11], v[4:5]
	s_and_saveexec_b32 s4, s0
	s_cbranch_execz .LBB180_153
; %bb.152:                              ;   in Loop: Header=BB180_145 Depth=1
	v_lshl_add_u64 v[14:15], v[10:11], 3, s[12:13]
	global_load_b64 v[14:15], v[14:15], off
.LBB180_153:                            ;   in Loop: Header=BB180_145 Depth=1
	s_wait_xcnt 0x0
	s_or_b32 exec_lo, exec_lo, s4
                                        ; implicit-def: $vgpr33
                                        ; implicit-def: $vgpr34
	s_delay_alu instid0(SALU_CYCLE_1)
	s_mov_b32 s4, exec_lo
	s_wait_loadcnt 0x0
	v_cmpx_o_f32_e32 v25, v24
	s_xor_b32 s28, exec_lo, s4
	s_cbranch_execz .LBB180_181
; %bb.154:                              ;   in Loop: Header=BB180_145 Depth=1
	v_cmp_lt_f32_e64 s4, |v24|, |v25|
                                        ; implicit-def: $vgpr33
                                        ; implicit-def: $vgpr34
	s_mov_b32 s6, exec_lo
	v_cndmask_b32_e64 v9, v25, v24, s4
	s_delay_alu instid0(VALU_DEP_1)
	v_cmpx_nlt_f32_e64 0x77f684df, |v9|
	s_xor_b32 s29, exec_lo, s6
	s_cbranch_execz .LBB180_178
; %bb.155:                              ;   in Loop: Header=BB180_145 Depth=1
	v_cndmask_b32_e64 v26, v24, v25, s4
                                        ; implicit-def: $vgpr33
                                        ; implicit-def: $vgpr34
	s_mov_b32 s5, exec_lo
	s_delay_alu instid0(VALU_DEP_1) | instskip(SKIP_1) | instid1(VALU_DEP_2)
	v_and_b32_e32 v27, 0x7fffffff, v26
	v_and_b32_e32 v26, 0x7fffffff, v9
	v_cmpx_neq_f32_e32 1.0, v27
	s_xor_b32 s30, exec_lo, s5
	s_cbranch_execz .LBB180_171
; %bb.156:                              ;   in Loop: Header=BB180_145 Depth=1
	s_delay_alu instid0(VALU_DEP_2) | instskip(NEXT) | instid1(VALU_DEP_1)
	v_dual_max_num_f32 v9, v26, v26 :: v_dual_max_num_f32 v28, v27, v27
                                        ; implicit-def: $vgpr33
                                        ; implicit-def: $vgpr34
	v_dual_min_num_f32 v29, v28, v9 :: v_dual_max_num_f32 v9, v28, v9
	s_delay_alu instid0(VALU_DEP_1) | instskip(NEXT) | instid1(VALU_DEP_2)
	v_cmp_ngt_f32_e32 vcc_lo, 0x358637bd, v29
	v_cmp_nlt_f32_e64 s5, 0x49742400, v9
	s_and_b32 s5, s5, vcc_lo
	s_delay_alu instid0(SALU_CYCLE_1) | instskip(NEXT) | instid1(SALU_CYCLE_1)
	s_and_saveexec_b32 s6, s5
	s_xor_b32 s31, exec_lo, s6
	s_cbranch_execz .LBB180_168
; %bb.157:                              ;   in Loop: Header=BB180_145 Depth=1
                                        ; implicit-def: $vgpr33
                                        ; implicit-def: $vgpr34
	s_mov_b32 s5, exec_lo
	v_cmpx_le_f32_e32 1.0, v27
	s_xor_b32 s6, exec_lo, s5
	s_cbranch_execz .LBB180_159
; %bb.158:                              ;   in Loop: Header=BB180_145 Depth=1
	v_pk_add_f32 v[28:29], v[26:27], v[6:7] op_sel:[1,0]
	v_mov_b32_e32 v30, v26
	v_cmp_class_f32_e64 s7, v24, 0x204
	s_delay_alu instid0(VALU_DEP_3) | instskip(SKIP_1) | instid1(VALU_DEP_1)
	v_dual_mov_b32 v27, v28 :: v_dual_mov_b32 v31, v29
	v_mul_f32_e32 v28, v28, v29
	v_pk_fma_f32 v[26:27], v[26:27], v[30:31], v[28:29] op_sel_hi:[1,1,0]
	s_delay_alu instid0(VALU_DEP_1) | instskip(SKIP_1) | instid1(VALU_DEP_2)
	v_add_f32_e32 v29, 1.0, v26
	v_cmp_neq_f32_e64 s5, -1.0, v26
	v_frexp_mant_f32_e32 v28, v29
	v_add_f32_e32 v27, -1.0, v29
	s_delay_alu instid0(VALU_DEP_2) | instskip(NEXT) | instid1(VALU_DEP_2)
	v_cmp_gt_f32_e32 vcc_lo, 0x3f2aaaab, v28
	v_mov_b32_e32 v28, v27
	v_cvt_f64_f32_e32 v[30:31], v29
	s_delay_alu instid0(VALU_DEP_1) | instskip(NEXT) | instid1(VALU_DEP_3)
	v_frexp_exp_i32_f64_e32 v9, v[30:31]
	v_pk_add_f32 v[30:31], v[26:27], v[28:29] neg_lo:[0,1] neg_hi:[0,1]
	s_delay_alu instid0(VALU_DEP_1) | instskip(NEXT) | instid1(VALU_DEP_3)
	v_add_f32_e32 v28, 1.0, v31
	v_subrev_co_ci_u32_e64 v9, null, 0, v9, vcc_lo
	v_cmp_neq_f32_e32 vcc_lo, 0x7f800000, v26
	s_delay_alu instid0(VALU_DEP_2) | instskip(NEXT) | instid1(VALU_DEP_1)
	v_sub_nc_u32_e32 v33, 0, v9
	v_ldexp_f32 v27, v29, v33
	s_delay_alu instid0(VALU_DEP_1) | instskip(NEXT) | instid1(VALU_DEP_1)
	v_dual_add_f32 v31, 1.0, v27 :: v_dual_add_f32 v28, v30, v28
	v_add_f32_e32 v29, -1.0, v31
	v_add_f32_e32 v35, -1.0, v27
	s_delay_alu instid0(VALU_DEP_3) | instskip(NEXT) | instid1(VALU_DEP_2)
	v_ldexp_f32 v28, v28, v33
	v_dual_sub_f32 v29, v27, v29 :: v_dual_add_f32 v30, 1.0, v35
	s_delay_alu instid0(VALU_DEP_1) | instskip(NEXT) | instid1(VALU_DEP_1)
	v_add_f32_e32 v33, v28, v29
	v_add_f32_e32 v36, v31, v33
	s_delay_alu instid0(VALU_DEP_1) | instskip(NEXT) | instid1(VALU_DEP_3)
	v_rcp_f32_e32 v37, v36
	v_sub_f32_e32 v27, v27, v30
	s_delay_alu instid0(VALU_DEP_1) | instskip(NEXT) | instid1(VALU_DEP_1)
	v_add_f32_e32 v27, v28, v27
	v_add_f32_e32 v29, v35, v27
	s_delay_alu instid0(TRANS32_DEP_1) | instid1(VALU_DEP_1)
	v_mul_f32_e32 v38, v29, v37
	s_delay_alu instid0(VALU_DEP_1) | instskip(NEXT) | instid1(VALU_DEP_1)
	v_dual_mul_f32 v30, v36, v38 :: v_dual_sub_f32 v28, v36, v31
	v_fma_f32 v34, v38, v36, -v30
	s_delay_alu instid0(VALU_DEP_2) | instskip(NEXT) | instid1(VALU_DEP_1)
	v_sub_f32_e32 v33, v33, v28
	v_fmac_f32_e32 v34, v38, v33
	s_delay_alu instid0(VALU_DEP_1) | instskip(NEXT) | instid1(VALU_DEP_1)
	v_dual_add_f32 v28, v30, v34 :: v_dual_sub_f32 v39, v29, v35
	v_dual_mov_b32 v35, v28 :: v_dual_sub_f32 v31, v29, v28
	s_delay_alu instid0(VALU_DEP_2) | instskip(NEXT) | instid1(VALU_DEP_2)
	v_sub_f32_e32 v27, v27, v39
	v_pk_add_f32 v[28:29], v[28:29], v[30:31] neg_lo:[0,1] neg_hi:[0,1]
	s_delay_alu instid0(VALU_DEP_1) | instskip(NEXT) | instid1(VALU_DEP_1)
	v_pk_add_f32 v[28:29], v[28:29], v[34:35] neg_lo:[0,1] neg_hi:[0,1]
	v_add_f32_e32 v27, v27, v29
	s_delay_alu instid0(VALU_DEP_1) | instskip(NEXT) | instid1(VALU_DEP_1)
	v_add_f32_e32 v27, v28, v27
	v_add_f32_e32 v29, v31, v27
	s_delay_alu instid0(VALU_DEP_1) | instskip(NEXT) | instid1(VALU_DEP_1)
	v_mul_f32_e32 v39, v37, v29
	v_mul_f32_e32 v34, v36, v39
	s_delay_alu instid0(VALU_DEP_1) | instskip(NEXT) | instid1(VALU_DEP_1)
	v_fma_f32 v30, v39, v36, -v34
	v_fmac_f32_e32 v30, v39, v33
	s_delay_alu instid0(VALU_DEP_1) | instskip(NEXT) | instid1(VALU_DEP_1)
	v_dual_add_f32 v28, v34, v30 :: v_dual_sub_f32 v33, v31, v29
	v_dual_mov_b32 v31, v28 :: v_dual_sub_f32 v35, v29, v28
	s_delay_alu instid0(VALU_DEP_2) | instskip(NEXT) | instid1(VALU_DEP_2)
	v_dual_add_f32 v27, v27, v33 :: v_dual_add_f32 v33, v38, v39
	v_pk_add_f32 v[28:29], v[28:29], v[34:35] neg_lo:[0,1] neg_hi:[0,1]
	s_delay_alu instid0(VALU_DEP_1) | instskip(NEXT) | instid1(VALU_DEP_1)
	v_pk_add_f32 v[28:29], v[28:29], v[30:31] neg_lo:[0,1] neg_hi:[0,1]
	v_add_f32_e32 v27, v27, v29
	s_delay_alu instid0(VALU_DEP_1) | instskip(NEXT) | instid1(VALU_DEP_1)
	v_dual_add_f32 v27, v28, v27 :: v_dual_sub_f32 v28, v33, v38
	v_sub_f32_e32 v28, v39, v28
	s_delay_alu instid0(VALU_DEP_2) | instskip(NEXT) | instid1(VALU_DEP_1)
	v_add_f32_e32 v27, v35, v27
	v_mul_f32_e32 v27, v37, v27
	s_delay_alu instid0(VALU_DEP_1) | instskip(SKIP_1) | instid1(VALU_DEP_2)
	v_add_f32_e32 v27, v28, v27
	v_cvt_f32_i32_e32 v28, v9
	v_add_f32_e32 v36, v33, v27
	s_delay_alu instid0(VALU_DEP_1) | instskip(NEXT) | instid1(VALU_DEP_1)
	v_mul_f32_e32 v30, v36, v36
	v_fmaak_f32 v31, s26, v30, 0x3ecc95a3
	v_mul_f32_e32 v29, v36, v30
	v_ldexp_f32 v35, v36, 1
	s_delay_alu instid0(VALU_DEP_3) | instskip(NEXT) | instid1(VALU_DEP_1)
	v_fmaak_f32 v9, v30, v31, 0x3f2aaada
	v_pk_mul_f32 v[30:31], v[28:29], v[8:9]
	s_delay_alu instid0(VALU_DEP_1) | instskip(NEXT) | instid1(VALU_DEP_1)
	v_fma_f32 v34, 0x3f317218, v28, -v30
	v_fmac_f32_e32 v34, 0xb102e308, v28
	s_delay_alu instid0(VALU_DEP_1) | instskip(SKIP_1) | instid1(VALU_DEP_1)
	v_pk_add_f32 v[28:29], v[30:31], v[34:35]
	v_dual_sub_f32 v9, v36, v33 :: v_dual_mov_b32 v36, v30
	v_dual_mov_b32 v44, v29 :: v_dual_sub_f32 v9, v27, v9
	s_delay_alu instid0(VALU_DEP_3) | instskip(NEXT) | instid1(VALU_DEP_2)
	v_dual_sub_f32 v27, v29, v35 :: v_dual_mov_b32 v35, v28
	v_ldexp_f32 v9, v9, 1
	s_delay_alu instid0(VALU_DEP_2) | instskip(SKIP_1) | instid1(VALU_DEP_2)
	v_sub_f32_e32 v27, v31, v27
	v_pk_add_f32 v[30:31], v[28:29], v[30:31] neg_lo:[0,1] neg_hi:[0,1]
	v_add_f32_e32 v37, v9, v27
	v_max_num_f32_e64 v9, |v25|, |v25|
	v_max_num_f32_e64 v27, |v24|, |v24|
	s_delay_alu instid0(VALU_DEP_3) | instskip(NEXT) | instid1(VALU_DEP_2)
	v_pk_add_f32 v[38:39], v[28:29], v[36:37]
	v_dual_max_num_f32 v33, v27, v9 :: v_dual_min_num_f32 v9, v27, v9
	s_delay_alu instid0(VALU_DEP_2) | instskip(NEXT) | instid1(VALU_DEP_2)
	v_mov_b32_e32 v31, v39
	v_frexp_exp_i32_f32_e32 v27, v33
	s_delay_alu instid0(VALU_DEP_3) | instskip(SKIP_1) | instid1(VALU_DEP_4)
	v_frexp_mant_f32_e32 v46, v9
	v_frexp_mant_f32_e32 v33, v33
	v_pk_add_f32 v[40:41], v[34:35], v[30:31]
	v_frexp_exp_i32_f32_e32 v40, v9
	v_pk_add_f32 v[30:31], v[34:35], v[30:31] neg_lo:[0,1] neg_hi:[0,1]
	s_delay_alu instid0(VALU_DEP_4) | instskip(NEXT) | instid1(VALU_DEP_2)
	v_rcp_f32_e32 v33, v33
	v_dual_mov_b32 v36, v41 :: v_dual_sub_nc_u32 v27, v40, v27
	s_delay_alu instid0(VALU_DEP_1) | instskip(SKIP_1) | instid1(VALU_DEP_2)
	v_pk_add_f32 v[42:43], v[36:37], v[28:29] neg_lo:[0,1] neg_hi:[0,1]
	v_dual_mov_b32 v40, v39 :: v_dual_mov_b32 v29, v28
	v_dual_mov_b32 v28, v37 :: v_dual_mov_b32 v45, v42
	v_mov_b32_e32 v9, v42
	s_delay_alu instid0(VALU_DEP_2) | instskip(NEXT) | instid1(VALU_DEP_2)
	v_pk_add_f32 v[34:35], v[40:41], v[44:45] neg_lo:[0,1] neg_hi:[0,1]
	v_pk_add_f32 v[38:39], v[38:39], v[8:9] neg_lo:[0,1] neg_hi:[0,1]
	v_mov_b32_e32 v38, v30
	s_delay_alu instid0(VALU_DEP_3) | instskip(NEXT) | instid1(VALU_DEP_1)
	v_pk_add_f32 v[28:29], v[28:29], v[34:35] neg_lo:[0,1] neg_hi:[0,1]
	v_pk_add_f32 v[34:35], v[38:39], v[28:29]
	s_delay_alu instid0(VALU_DEP_1) | instskip(NEXT) | instid1(VALU_DEP_1)
	v_dual_mul_f32 v31, v46, v33 :: v_dual_mov_b32 v38, v35
	v_ldexp_f32 v9, v31, v27
	s_delay_alu instid0(VALU_DEP_2) | instskip(SKIP_1) | instid1(VALU_DEP_2)
	v_pk_add_f32 v[38:39], v[34:35], v[38:39]
	v_mov_b32_e32 v31, v41
	v_pk_add_f32 v[36:37], v[36:37], v[38:39]
	s_delay_alu instid0(VALU_DEP_1) | instskip(NEXT) | instid1(VALU_DEP_1)
	v_dual_mul_f32 v27, v9, v9 :: v_dual_mov_b32 v35, v36
	v_pk_add_f32 v[40:41], v[34:35], v[30:31] neg_lo:[0,1] neg_hi:[0,1]
	s_delay_alu instid0(VALU_DEP_1) | instskip(NEXT) | instid1(VALU_DEP_1)
	v_sub_f32_e32 v33, v34, v40
	v_dual_fmaak_f32 v29, s27, v27, 0xbc7a590c :: v_dual_sub_f32 v30, v30, v33
	s_delay_alu instid0(VALU_DEP_1) | instskip(NEXT) | instid1(VALU_DEP_1)
	v_fmaak_f32 v29, v27, v29, 0x3d29fb3f
	v_fmaak_f32 v29, v27, v29, 0xbd97d4d7
	s_delay_alu instid0(VALU_DEP_1) | instskip(NEXT) | instid1(VALU_DEP_1)
	v_fmaak_f32 v29, v27, v29, 0x3dd931b2
	v_fmaak_f32 v31, v27, v29, 0xbe1160e6
	v_mov_b32_e32 v29, v38
	s_delay_alu instid0(VALU_DEP_1) | instskip(NEXT) | instid1(VALU_DEP_1)
	v_pk_add_f32 v[28:29], v[28:29], v[40:41] neg_lo:[0,1] neg_hi:[0,1]
	v_add_f32_e32 v28, v28, v30
	s_delay_alu instid0(VALU_DEP_1) | instskip(NEXT) | instid1(VALU_DEP_1)
	v_dual_add_f32 v28, v28, v29 :: v_dual_fmaak_f32 v31, v27, v31, 0x3e4cb8bf
	v_fmaak_f32 v31, v27, v31, 0xbeaaaa62
	s_delay_alu instid0(VALU_DEP_1) | instskip(NEXT) | instid1(VALU_DEP_1)
	v_mul_f32_e32 v27, v27, v31
	v_dual_fmac_f32 v9, v9, v27 :: v_dual_add_f32 v27, v36, v28
	s_delay_alu instid0(VALU_DEP_1) | instskip(NEXT) | instid1(VALU_DEP_2)
	v_sub_f32_e32 v28, 0x3fc90fdb, v9
	v_cndmask_b32_e32 v27, 0x7f800000, v27, vcc_lo
	v_cmp_gt_i32_e32 vcc_lo, 0, v24
	s_delay_alu instid0(VALU_DEP_3) | instskip(SKIP_2) | instid1(VALU_DEP_3)
	v_cndmask_b32_e64 v9, v9, v28, s4
	v_cndmask_b32_e64 v28, 0, 0x40490fdb, vcc_lo
	v_cmp_ngt_f32_e32 vcc_lo, -1.0, v26
	v_sub_f32_e32 v29, 0x40490fdb, v9
	v_cndmask_b32_e32 v27, 0x7fc00000, v27, vcc_lo
	v_cmp_gt_f32_e32 vcc_lo, 0, v24
	s_delay_alu instid0(VALU_DEP_2) | instskip(NEXT) | instid1(VALU_DEP_4)
	v_cndmask_b32_e64 v24, 0xff800000, v27, s5
	v_cndmask_b32_e32 v9, v9, v29, vcc_lo
	v_cndmask_b32_e32 v27, 0x3f490fdb, v32, vcc_lo
	v_cmp_gt_f32_e64 vcc_lo, 0x33800000, |v26|
	v_cmp_class_f32_e64 s5, v25, 0x204
	v_cndmask_b32_e32 v24, v24, v26, vcc_lo
	v_cmp_eq_f32_e32 vcc_lo, 0, v25
	s_delay_alu instid0(VALU_DEP_2) | instskip(SKIP_2) | instid1(VALU_DEP_1)
	v_mul_f32_e32 v33, 0.5, v24
	v_cndmask_b32_e32 v9, v9, v28, vcc_lo
	s_and_b32 vcc_lo, s5, s7
	v_cndmask_b32_e32 v34, v9, v27, vcc_lo
                                        ; implicit-def: $vgpr26_vgpr27
.LBB180_159:                            ;   in Loop: Header=BB180_145 Depth=1
	s_and_not1_saveexec_b32 s33, s6
	s_cbranch_execz .LBB180_167
; %bb.160:                              ;   in Loop: Header=BB180_145 Depth=1
	v_pk_mul_f32 v[28:29], v[26:27], v[26:27]
                                        ; implicit-def: $vgpr33
                                        ; implicit-def: $vgpr34
	s_mov_b32 s5, exec_lo
	s_delay_alu instid0(VALU_DEP_1) | instskip(NEXT) | instid1(VALU_DEP_1)
	v_add_f32_e32 v9, v29, v28
	v_cmpx_ge_f32_e32 0x3f333333, v9
	s_xor_b32 s6, exec_lo, s5
	s_cbranch_execz .LBB180_162
; %bb.161:                              ;   in Loop: Header=BB180_145 Depth=1
	v_max_num_f32_e64 v26, |v25|, |v25|
	v_max_num_f32_e64 v27, |v24|, |v24|
	v_cmp_gt_f32_e32 vcc_lo, 0x800000, v9
	v_cmp_gt_i32_e64 s5, 0, v24
	v_cmp_class_f32_e64 s7, v24, 0x204
	v_cmp_class_f32_e64 s8, v25, 0x204
	v_dual_max_num_f32 v28, v27, v26 :: v_dual_min_num_f32 v26, v27, v26
	v_cndmask_b32_e64 v30, 0, 0x41b17218, vcc_lo
	s_delay_alu instid0(VALU_DEP_2) | instskip(SKIP_1) | instid1(VALU_DEP_2)
	v_frexp_mant_f32_e32 v29, v28
	v_frexp_exp_i32_f32_e32 v27, v28
	v_rcp_f32_e32 v28, v29
	v_nop
	v_frexp_exp_i32_f32_e32 v29, v26
	v_frexp_mant_f32_e32 v26, v26
	s_delay_alu instid0(TRANS32_DEP_1) | instid1(VALU_DEP_1)
	v_dual_mul_f32 v26, v26, v28 :: v_dual_sub_nc_u32 v27, v29, v27
	v_cndmask_b32_e64 v29, 0, 32, vcc_lo
	s_delay_alu instid0(VALU_DEP_2) | instskip(NEXT) | instid1(VALU_DEP_2)
	v_ldexp_f32 v26, v26, v27
	v_ldexp_f32 v9, v9, v29
	s_delay_alu instid0(VALU_DEP_1) | instskip(NEXT) | instid1(VALU_DEP_2)
	v_log_f32_e32 v9, v9
	v_mul_f32_e32 v27, v26, v26
	s_delay_alu instid0(VALU_DEP_1) | instskip(NEXT) | instid1(TRANS32_DEP_1)
	v_fmaak_f32 v28, s27, v27, 0xbc7a590c
	v_cmp_gt_f32_e64 vcc_lo, 0x7f800000, |v9|
	s_delay_alu instid0(VALU_DEP_2) | instskip(NEXT) | instid1(VALU_DEP_1)
	v_fmaak_f32 v28, v27, v28, 0x3d29fb3f
	v_fmaak_f32 v28, v27, v28, 0xbd97d4d7
	s_delay_alu instid0(VALU_DEP_1) | instskip(NEXT) | instid1(VALU_DEP_1)
	v_fmaak_f32 v28, v27, v28, 0x3dd931b2
	v_fmaak_f32 v28, v27, v28, 0xbe1160e6
	s_delay_alu instid0(VALU_DEP_1) | instskip(NEXT) | instid1(VALU_DEP_1)
	;; [unrolled: 3-line block ×3, first 2 shown]
	v_dual_mul_f32 v27, v27, v28 :: v_dual_mul_f32 v28, 0x3f317217, v9
	v_fmac_f32_e32 v26, v26, v27
	s_delay_alu instid0(VALU_DEP_2) | instskip(NEXT) | instid1(VALU_DEP_1)
	v_fma_f32 v27, 0x3f317217, v9, -v28
	v_fmac_f32_e32 v27, 0x3377d1cf, v9
	s_delay_alu instid0(VALU_DEP_3) | instskip(NEXT) | instid1(VALU_DEP_2)
	v_sub_f32_e32 v28, 0x3fc90fdb, v26
	v_fmac_f32_e32 v27, 0x3f317217, v9
	s_delay_alu instid0(VALU_DEP_2) | instskip(SKIP_2) | instid1(VALU_DEP_4)
	v_cndmask_b32_e64 v26, v26, v28, s4
	v_cndmask_b32_e64 v28, 0, 0x40490fdb, s5
	v_cmp_eq_f32_e64 s5, 0, v25
	v_cndmask_b32_e32 v9, v9, v27, vcc_lo
	s_delay_alu instid0(VALU_DEP_4) | instskip(SKIP_1) | instid1(VALU_DEP_2)
	v_sub_f32_e32 v29, 0x40490fdb, v26
	v_cmp_gt_f32_e32 vcc_lo, 0, v24
	v_dual_sub_f32 v9, v9, v30 :: v_dual_cndmask_b32 v26, v26, v29
	s_delay_alu instid0(VALU_DEP_1) | instskip(SKIP_2) | instid1(VALU_DEP_1)
	v_dual_mul_f32 v33, 0.5, v9 :: v_dual_cndmask_b32 v24, v26, v28, s5
	v_cndmask_b32_e32 v26, 0x3f490fdb, v32, vcc_lo
	s_and_b32 vcc_lo, s8, s7
	v_cndmask_b32_e32 v34, v24, v26, vcc_lo
                                        ; implicit-def: $vgpr26
.LBB180_162:                            ;   in Loop: Header=BB180_145 Depth=1
	s_and_not1_saveexec_b32 s34, s6
	s_cbranch_execz .LBB180_166
; %bb.163:                              ;   in Loop: Header=BB180_145 Depth=1
	v_and_b32_e32 v29, 0x7fff0000, v26
	v_and_b32_e32 v28, 0x7fff0000, v27
	s_mov_b32 s35, 0
	s_delay_alu instid0(VALU_DEP_1) | instskip(SKIP_2) | instid1(VALU_DEP_2)
	v_dual_add_f32 v38, v29, v29 :: v_dual_add_f32 v33, v28, v28
	v_pk_add_f32 v[30:31], v[26:27], v[28:29] op_sel:[1,0] op_sel_hi:[0,1] neg_lo:[0,1] neg_hi:[0,1]
	v_pk_mul_f32 v[26:27], v[28:29], v[28:29]
	v_and_b32_e32 v37, 0xffff0000, v31
	s_delay_alu instid0(VALU_DEP_3) | instskip(NEXT) | instid1(VALU_DEP_1)
	v_and_b32_e32 v36, 0xffff0000, v30
	v_dual_add_f32 v40, v37, v37 :: v_dual_add_f32 v39, v36, v36
	v_pk_add_f32 v[28:29], v[30:31], v[36:37] neg_lo:[0,1] neg_hi:[0,1]
	v_dual_mul_f32 v9, v33, v36 :: v_dual_mul_f32 v35, v38, v37
	v_pk_mul_f32 v[30:31], v[36:37], v[36:37]
	s_delay_alu instid0(VALU_DEP_3)
	v_dual_mul_f32 v34, v33, v28 :: v_dual_mul_f32 v37, v38, v29
	v_dual_mul_f32 v33, v39, v28 :: v_dual_mul_f32 v36, v40, v29
	v_pk_mul_f32 v[28:29], v[28:29], v[28:29]
.LBB180_164:                            ;   Parent Loop BB180_145 Depth=1
                                        ; =>  This Inner Loop Header: Depth=2
	v_cmp_nlt_f32_e32 vcc_lo, v26, v27
	v_dual_cndmask_b32 v38, v26, v27, vcc_lo :: v_dual_cndmask_b32 v26, v27, v26, vcc_lo
	s_delay_alu instid0(VALU_DEP_1) | instskip(NEXT) | instid1(VALU_DEP_1)
	v_cmp_nlt_f32_e64 s5, v38, v9
	v_dual_cndmask_b32 v39, v38, v9, s5 :: v_dual_cndmask_b32 v27, v9, v38, s5
	s_and_b32 s5, vcc_lo, s5
	s_delay_alu instid0(VALU_DEP_1) | instskip(NEXT) | instid1(VALU_DEP_1)
	v_cmp_nlt_f32_e64 s6, v39, v35
	v_cndmask_b32_e64 v40, v39, v35, s6
	v_cndmask_b32_e64 v9, v35, v39, s6
	s_delay_alu instid0(VALU_DEP_2) | instskip(NEXT) | instid1(VALU_DEP_1)
	v_cmp_nlt_f32_e64 s7, v40, v30
	v_cndmask_b32_e64 v38, v40, v30, s7
	s_and_b32 s36, s6, s7
	s_delay_alu instid0(VALU_DEP_1) | instskip(NEXT) | instid1(VALU_DEP_1)
	v_cmp_nlt_f32_e64 s8, v38, v31
	v_cndmask_b32_e64 v39, v38, v31, s8
	s_delay_alu instid0(VALU_DEP_1) | instskip(NEXT) | instid1(VALU_DEP_1)
	v_cmp_nlt_f32_e64 s9, v39, v34
	v_dual_cndmask_b32 v41, v39, v34, s9 :: v_dual_cndmask_b32 v35, v30, v40, s7
	v_cndmask_b32_e64 v30, v31, v38, s8
	s_and_b32 s8, s8, s9
	s_delay_alu instid0(VALU_DEP_2) | instskip(NEXT) | instid1(VALU_DEP_1)
	v_cmp_nlt_f32_e64 s10, v41, v37
	v_dual_cndmask_b32 v42, v41, v37, s10 :: v_dual_cndmask_b32 v31, v34, v39, s9
	v_cndmask_b32_e64 v34, v37, v41, s10
	s_and_b32 s8, s8, s10
	s_delay_alu instid0(VALU_DEP_2) | instskip(NEXT) | instid1(VALU_DEP_1)
	v_cmp_nlt_f32_e64 s11, v42, v33
	v_dual_cndmask_b32 v40, v42, v33, s11 :: v_dual_cndmask_b32 v37, v33, v42, s11
	s_and_b32 s9, s8, s11
	s_delay_alu instid0(VALU_DEP_1) | instskip(NEXT) | instid1(VALU_DEP_1)
	v_cmp_nlt_f32_e64 s6, v40, v36
	v_cndmask_b32_e64 v38, v40, v36, s6
	s_delay_alu instid0(VALU_DEP_1) | instskip(NEXT) | instid1(VALU_DEP_1)
	v_cmp_nlt_f32_e64 s7, v38, v28
	v_cndmask_b32_e64 v39, v38, v28, s7
	v_cndmask_b32_e64 v33, v36, v40, s6
	;; [unrolled: 1-line block ×3, first 2 shown]
	s_and_b32 s6, s9, s6
	s_delay_alu instid0(SALU_CYCLE_1)
	s_and_b32 s6, s6, s7
	v_cmp_nlt_f32_e64 s8, v39, v29
	s_and_b32 s6, s6, s8
	v_cndmask_b32_e64 v28, v29, v39, s8
	s_and_b32 s6, s6, s36
	v_cndmask_b32_e64 v29, v39, v29, s8
	s_and_b32 s5, s6, s5
	s_delay_alu instid0(SALU_CYCLE_1) | instskip(NEXT) | instid1(SALU_CYCLE_1)
	s_and_b32 s5, exec_lo, s5
	s_or_b32 s35, s5, s35
	s_delay_alu instid0(SALU_CYCLE_1)
	s_and_not1_b32 exec_lo, exec_lo, s35
	s_cbranch_execnz .LBB180_164
; %bb.165:                              ;   in Loop: Header=BB180_145 Depth=1
	s_or_b32 exec_lo, exec_lo, s35
	v_add_f32_e32 v26, -1.0, v26
	v_cmp_class_f32_e64 s6, v24, 0x204
	s_delay_alu instid0(VALU_DEP_2) | instskip(NEXT) | instid1(VALU_DEP_1)
	v_add_f32_e32 v26, v26, v27
	v_add_f32_e32 v9, v26, v9
	s_delay_alu instid0(VALU_DEP_1) | instskip(NEXT) | instid1(VALU_DEP_1)
	v_add_f32_e32 v9, v9, v35
	v_add_f32_e32 v9, v9, v30
	s_delay_alu instid0(VALU_DEP_1) | instskip(NEXT) | instid1(VALU_DEP_1)
	;; [unrolled: 3-line block ×5, first 2 shown]
	v_add_f32_e32 v26, v29, v9
	v_add_f32_e32 v29, 1.0, v26
	s_delay_alu instid0(VALU_DEP_1) | instskip(SKIP_2) | instid1(VALU_DEP_2)
	v_cvt_f64_f32_e32 v[30:31], v29
	v_frexp_mant_f32_e32 v28, v29
	v_add_f32_e32 v27, -1.0, v29
	v_cmp_gt_f32_e32 vcc_lo, 0x3f2aaaab, v28
	s_delay_alu instid0(VALU_DEP_2) | instskip(SKIP_1) | instid1(VALU_DEP_1)
	v_mov_b32_e32 v28, v27
	v_frexp_exp_i32_f64_e32 v9, v[30:31]
	v_subrev_co_ci_u32_e64 v9, null, 0, v9, vcc_lo
	s_delay_alu instid0(VALU_DEP_1) | instskip(NEXT) | instid1(VALU_DEP_4)
	v_sub_nc_u32_e32 v33, 0, v9
	v_pk_add_f32 v[30:31], v[26:27], v[28:29] neg_lo:[0,1] neg_hi:[0,1]
	v_cmp_neq_f32_e32 vcc_lo, 0x7f800000, v26
	v_cmp_neq_f32_e64 s5, -1.0, v26
	s_delay_alu instid0(VALU_DEP_4) | instskip(NEXT) | instid1(VALU_DEP_4)
	v_ldexp_f32 v27, v29, v33
	v_add_f32_e32 v28, 1.0, v31
	s_delay_alu instid0(VALU_DEP_1) | instskip(NEXT) | instid1(VALU_DEP_1)
	v_dual_add_f32 v31, 1.0, v27 :: v_dual_add_f32 v28, v30, v28
	v_add_f32_e32 v29, -1.0, v31
	v_add_f32_e32 v35, -1.0, v27
	s_delay_alu instid0(VALU_DEP_3) | instskip(NEXT) | instid1(VALU_DEP_2)
	v_ldexp_f32 v28, v28, v33
	v_dual_sub_f32 v29, v27, v29 :: v_dual_add_f32 v30, 1.0, v35
	s_delay_alu instid0(VALU_DEP_1) | instskip(NEXT) | instid1(VALU_DEP_1)
	v_add_f32_e32 v33, v28, v29
	v_add_f32_e32 v36, v31, v33
	s_delay_alu instid0(VALU_DEP_1) | instskip(NEXT) | instid1(VALU_DEP_3)
	v_rcp_f32_e32 v37, v36
	v_sub_f32_e32 v27, v27, v30
	s_delay_alu instid0(VALU_DEP_1) | instskip(NEXT) | instid1(VALU_DEP_1)
	v_add_f32_e32 v27, v28, v27
	v_add_f32_e32 v29, v35, v27
	s_delay_alu instid0(TRANS32_DEP_1) | instid1(VALU_DEP_1)
	v_mul_f32_e32 v38, v29, v37
	s_delay_alu instid0(VALU_DEP_1) | instskip(NEXT) | instid1(VALU_DEP_1)
	v_dual_mul_f32 v30, v36, v38 :: v_dual_sub_f32 v28, v36, v31
	v_fma_f32 v34, v38, v36, -v30
	s_delay_alu instid0(VALU_DEP_2) | instskip(NEXT) | instid1(VALU_DEP_1)
	v_sub_f32_e32 v33, v33, v28
	v_fmac_f32_e32 v34, v38, v33
	s_delay_alu instid0(VALU_DEP_1) | instskip(NEXT) | instid1(VALU_DEP_1)
	v_dual_add_f32 v28, v30, v34 :: v_dual_sub_f32 v39, v29, v35
	v_dual_mov_b32 v35, v28 :: v_dual_sub_f32 v31, v29, v28
	s_delay_alu instid0(VALU_DEP_2) | instskip(NEXT) | instid1(VALU_DEP_2)
	v_sub_f32_e32 v27, v27, v39
	v_pk_add_f32 v[28:29], v[28:29], v[30:31] neg_lo:[0,1] neg_hi:[0,1]
	s_delay_alu instid0(VALU_DEP_1) | instskip(NEXT) | instid1(VALU_DEP_1)
	v_pk_add_f32 v[28:29], v[28:29], v[34:35] neg_lo:[0,1] neg_hi:[0,1]
	v_add_f32_e32 v27, v27, v29
	s_delay_alu instid0(VALU_DEP_1) | instskip(NEXT) | instid1(VALU_DEP_1)
	v_add_f32_e32 v27, v28, v27
	v_add_f32_e32 v29, v31, v27
	s_delay_alu instid0(VALU_DEP_1) | instskip(NEXT) | instid1(VALU_DEP_1)
	v_mul_f32_e32 v39, v37, v29
	v_mul_f32_e32 v34, v36, v39
	s_delay_alu instid0(VALU_DEP_1) | instskip(NEXT) | instid1(VALU_DEP_1)
	v_fma_f32 v30, v39, v36, -v34
	v_fmac_f32_e32 v30, v39, v33
	s_delay_alu instid0(VALU_DEP_1) | instskip(NEXT) | instid1(VALU_DEP_1)
	v_dual_add_f32 v28, v34, v30 :: v_dual_sub_f32 v33, v31, v29
	v_dual_mov_b32 v31, v28 :: v_dual_sub_f32 v35, v29, v28
	s_delay_alu instid0(VALU_DEP_2) | instskip(NEXT) | instid1(VALU_DEP_2)
	v_dual_add_f32 v27, v27, v33 :: v_dual_add_f32 v33, v38, v39
	v_pk_add_f32 v[28:29], v[28:29], v[34:35] neg_lo:[0,1] neg_hi:[0,1]
	s_delay_alu instid0(VALU_DEP_1) | instskip(NEXT) | instid1(VALU_DEP_1)
	v_pk_add_f32 v[28:29], v[28:29], v[30:31] neg_lo:[0,1] neg_hi:[0,1]
	v_add_f32_e32 v27, v27, v29
	s_delay_alu instid0(VALU_DEP_1) | instskip(NEXT) | instid1(VALU_DEP_1)
	v_dual_add_f32 v27, v28, v27 :: v_dual_sub_f32 v28, v33, v38
	v_sub_f32_e32 v28, v39, v28
	s_delay_alu instid0(VALU_DEP_2) | instskip(NEXT) | instid1(VALU_DEP_1)
	v_add_f32_e32 v27, v35, v27
	v_mul_f32_e32 v27, v37, v27
	s_delay_alu instid0(VALU_DEP_1) | instskip(SKIP_1) | instid1(VALU_DEP_2)
	v_add_f32_e32 v27, v28, v27
	v_cvt_f32_i32_e32 v28, v9
	v_add_f32_e32 v36, v33, v27
	s_delay_alu instid0(VALU_DEP_1) | instskip(NEXT) | instid1(VALU_DEP_1)
	v_mul_f32_e32 v30, v36, v36
	v_fmaak_f32 v31, s26, v30, 0x3ecc95a3
	v_mul_f32_e32 v29, v36, v30
	v_ldexp_f32 v35, v36, 1
	s_delay_alu instid0(VALU_DEP_3) | instskip(NEXT) | instid1(VALU_DEP_1)
	v_fmaak_f32 v9, v30, v31, 0x3f2aaada
	v_pk_mul_f32 v[30:31], v[28:29], v[8:9]
	s_delay_alu instid0(VALU_DEP_1) | instskip(NEXT) | instid1(VALU_DEP_1)
	v_fma_f32 v34, 0x3f317218, v28, -v30
	v_fmac_f32_e32 v34, 0xb102e308, v28
	s_delay_alu instid0(VALU_DEP_1) | instskip(SKIP_1) | instid1(VALU_DEP_1)
	v_pk_add_f32 v[28:29], v[30:31], v[34:35]
	v_dual_sub_f32 v9, v36, v33 :: v_dual_mov_b32 v36, v30
	v_dual_mov_b32 v44, v29 :: v_dual_sub_f32 v9, v27, v9
	s_delay_alu instid0(VALU_DEP_3) | instskip(NEXT) | instid1(VALU_DEP_2)
	v_dual_sub_f32 v27, v29, v35 :: v_dual_mov_b32 v35, v28
	v_ldexp_f32 v9, v9, 1
	s_delay_alu instid0(VALU_DEP_2) | instskip(SKIP_1) | instid1(VALU_DEP_2)
	v_sub_f32_e32 v27, v31, v27
	v_pk_add_f32 v[30:31], v[28:29], v[30:31] neg_lo:[0,1] neg_hi:[0,1]
	v_add_f32_e32 v37, v9, v27
	v_max_num_f32_e64 v9, |v25|, |v25|
	v_max_num_f32_e64 v27, |v24|, |v24|
	s_delay_alu instid0(VALU_DEP_3) | instskip(NEXT) | instid1(VALU_DEP_2)
	v_pk_add_f32 v[38:39], v[28:29], v[36:37]
	v_dual_max_num_f32 v33, v27, v9 :: v_dual_min_num_f32 v9, v27, v9
	s_delay_alu instid0(VALU_DEP_2) | instskip(NEXT) | instid1(VALU_DEP_2)
	v_mov_b32_e32 v31, v39
	v_frexp_exp_i32_f32_e32 v27, v33
	s_delay_alu instid0(VALU_DEP_3) | instskip(SKIP_1) | instid1(VALU_DEP_4)
	v_frexp_mant_f32_e32 v46, v9
	v_frexp_mant_f32_e32 v33, v33
	v_pk_add_f32 v[40:41], v[34:35], v[30:31]
	v_frexp_exp_i32_f32_e32 v40, v9
	v_pk_add_f32 v[30:31], v[34:35], v[30:31] neg_lo:[0,1] neg_hi:[0,1]
	s_delay_alu instid0(VALU_DEP_4) | instskip(NEXT) | instid1(VALU_DEP_2)
	v_rcp_f32_e32 v33, v33
	v_dual_mov_b32 v36, v41 :: v_dual_sub_nc_u32 v27, v40, v27
	s_delay_alu instid0(VALU_DEP_1) | instskip(SKIP_1) | instid1(VALU_DEP_2)
	v_pk_add_f32 v[42:43], v[36:37], v[28:29] neg_lo:[0,1] neg_hi:[0,1]
	v_dual_mov_b32 v40, v39 :: v_dual_mov_b32 v29, v28
	v_dual_mov_b32 v28, v37 :: v_dual_mov_b32 v45, v42
	v_mov_b32_e32 v9, v42
	s_delay_alu instid0(VALU_DEP_2) | instskip(NEXT) | instid1(VALU_DEP_2)
	v_pk_add_f32 v[34:35], v[40:41], v[44:45] neg_lo:[0,1] neg_hi:[0,1]
	v_pk_add_f32 v[38:39], v[38:39], v[8:9] neg_lo:[0,1] neg_hi:[0,1]
	v_mov_b32_e32 v38, v30
	s_delay_alu instid0(VALU_DEP_3) | instskip(NEXT) | instid1(VALU_DEP_1)
	v_pk_add_f32 v[28:29], v[28:29], v[34:35] neg_lo:[0,1] neg_hi:[0,1]
	v_pk_add_f32 v[34:35], v[38:39], v[28:29]
	s_delay_alu instid0(VALU_DEP_1) | instskip(NEXT) | instid1(VALU_DEP_1)
	v_dual_mul_f32 v31, v46, v33 :: v_dual_mov_b32 v38, v35
	v_ldexp_f32 v9, v31, v27
	s_delay_alu instid0(VALU_DEP_2) | instskip(SKIP_1) | instid1(VALU_DEP_2)
	v_pk_add_f32 v[38:39], v[34:35], v[38:39]
	v_mov_b32_e32 v31, v41
	v_pk_add_f32 v[36:37], v[36:37], v[38:39]
	s_delay_alu instid0(VALU_DEP_1) | instskip(NEXT) | instid1(VALU_DEP_1)
	v_dual_mul_f32 v27, v9, v9 :: v_dual_mov_b32 v35, v36
	v_pk_add_f32 v[40:41], v[34:35], v[30:31] neg_lo:[0,1] neg_hi:[0,1]
	s_delay_alu instid0(VALU_DEP_1) | instskip(NEXT) | instid1(VALU_DEP_1)
	v_sub_f32_e32 v33, v34, v40
	v_dual_fmaak_f32 v29, s27, v27, 0xbc7a590c :: v_dual_sub_f32 v30, v30, v33
	s_delay_alu instid0(VALU_DEP_1) | instskip(NEXT) | instid1(VALU_DEP_1)
	v_fmaak_f32 v29, v27, v29, 0x3d29fb3f
	v_fmaak_f32 v29, v27, v29, 0xbd97d4d7
	s_delay_alu instid0(VALU_DEP_1) | instskip(NEXT) | instid1(VALU_DEP_1)
	v_fmaak_f32 v29, v27, v29, 0x3dd931b2
	v_fmaak_f32 v31, v27, v29, 0xbe1160e6
	v_mov_b32_e32 v29, v38
	s_delay_alu instid0(VALU_DEP_1) | instskip(NEXT) | instid1(VALU_DEP_1)
	v_pk_add_f32 v[28:29], v[28:29], v[40:41] neg_lo:[0,1] neg_hi:[0,1]
	v_add_f32_e32 v28, v28, v30
	s_delay_alu instid0(VALU_DEP_1) | instskip(NEXT) | instid1(VALU_DEP_1)
	v_dual_add_f32 v28, v28, v29 :: v_dual_fmaak_f32 v31, v27, v31, 0x3e4cb8bf
	v_fmaak_f32 v31, v27, v31, 0xbeaaaa62
	s_delay_alu instid0(VALU_DEP_1) | instskip(NEXT) | instid1(VALU_DEP_1)
	v_mul_f32_e32 v27, v27, v31
	v_dual_fmac_f32 v9, v9, v27 :: v_dual_add_f32 v27, v36, v28
	s_delay_alu instid0(VALU_DEP_1) | instskip(NEXT) | instid1(VALU_DEP_2)
	v_sub_f32_e32 v28, 0x3fc90fdb, v9
	v_cndmask_b32_e32 v27, 0x7f800000, v27, vcc_lo
	v_cmp_gt_i32_e32 vcc_lo, 0, v24
	s_delay_alu instid0(VALU_DEP_3) | instskip(SKIP_2) | instid1(VALU_DEP_3)
	v_cndmask_b32_e64 v9, v9, v28, s4
	v_cndmask_b32_e64 v28, 0, 0x40490fdb, vcc_lo
	v_cmp_ngt_f32_e32 vcc_lo, -1.0, v26
	v_sub_f32_e32 v29, 0x40490fdb, v9
	v_cndmask_b32_e32 v27, 0x7fc00000, v27, vcc_lo
	v_cmp_gt_f32_e32 vcc_lo, 0, v24
	s_delay_alu instid0(VALU_DEP_2) | instskip(NEXT) | instid1(VALU_DEP_4)
	v_cndmask_b32_e64 v24, 0xff800000, v27, s5
	v_cndmask_b32_e32 v9, v9, v29, vcc_lo
	v_cndmask_b32_e32 v27, 0x3f490fdb, v32, vcc_lo
	v_cmp_gt_f32_e64 vcc_lo, 0x33800000, |v26|
	v_cmp_class_f32_e64 s5, v25, 0x204
	v_cndmask_b32_e32 v24, v24, v26, vcc_lo
	v_cmp_eq_f32_e32 vcc_lo, 0, v25
	s_delay_alu instid0(VALU_DEP_2) | instskip(SKIP_2) | instid1(VALU_DEP_1)
	v_mul_f32_e32 v33, 0.5, v24
	v_cndmask_b32_e32 v9, v9, v28, vcc_lo
	s_and_b32 vcc_lo, s5, s6
	v_cndmask_b32_e32 v34, v9, v27, vcc_lo
.LBB180_166:                            ;   in Loop: Header=BB180_145 Depth=1
	s_or_b32 exec_lo, exec_lo, s34
.LBB180_167:                            ;   in Loop: Header=BB180_145 Depth=1
	s_delay_alu instid0(SALU_CYCLE_1)
	s_or_b32 exec_lo, exec_lo, s33
.LBB180_168:                            ;   in Loop: Header=BB180_145 Depth=1
	s_and_not1_saveexec_b32 s6, s31
	s_cbranch_execz .LBB180_170
; %bb.169:                              ;   in Loop: Header=BB180_145 Depth=1
	v_max_num_f32_e64 v9, |v25|, |v25|
	v_max_num_f32_e64 v28, |v24|, |v24|
	v_cmp_gt_i32_e64 s5, 0, v24
	v_cmp_class_f32_e64 s7, v24, 0x204
	v_cmp_class_f32_e64 s8, v25, 0x204
	s_delay_alu instid0(VALU_DEP_4) | instskip(NEXT) | instid1(VALU_DEP_1)
	v_dual_max_num_f32 v29, v28, v9 :: v_dual_min_num_f32 v9, v28, v9
	v_cvt_f64_f32_e32 v[26:27], v29
	v_frexp_exp_i32_f32_e32 v28, v29
	s_delay_alu instid0(VALU_DEP_3) | instskip(SKIP_4) | instid1(VALU_DEP_1)
	v_frexp_exp_i32_f32_e32 v30, v9
	v_frexp_mant_f32_e32 v9, v9
	v_cmp_neq_f32_e32 vcc_lo, 0x7f800000, v29
	v_frexp_exp_i32_f64_e32 v26, v[26:27]
	v_frexp_mant_f32_e32 v27, v29
	v_rcp_f32_e32 v27, v27
	v_nop
	s_delay_alu instid0(TRANS32_DEP_1) | instskip(NEXT) | instid1(VALU_DEP_1)
	v_dual_mul_f32 v9, v9, v27 :: v_dual_sub_nc_u32 v28, v30, v28
	v_ldexp_f32 v9, v9, v28
	s_delay_alu instid0(VALU_DEP_1) | instskip(NEXT) | instid1(VALU_DEP_1)
	v_dual_mul_f32 v28, v9, v9 :: v_dual_sub_nc_u32 v27, 0, v26
	v_ldexp_f32 v30, |v25|, v27
	s_delay_alu instid0(VALU_DEP_2) | instskip(SKIP_1) | instid1(VALU_DEP_2)
	v_fmaak_f32 v31, s27, v28, 0xbc7a590c
	v_ldexp_f32 v27, |v24|, v27
	v_dual_mul_f32 v30, v30, v30 :: v_dual_fmaak_f32 v31, v28, v31, 0x3d29fb3f
	s_delay_alu instid0(VALU_DEP_1) | instskip(NEXT) | instid1(VALU_DEP_2)
	v_fmac_f32_e32 v30, v27, v27
	v_fmaak_f32 v27, v28, v31, 0xbd97d4d7
	s_delay_alu instid0(VALU_DEP_1) | instskip(NEXT) | instid1(VALU_DEP_3)
	v_fmaak_f32 v27, v28, v27, 0x3dd931b2
	v_sqrt_f32_e32 v30, v30
	s_delay_alu instid0(VALU_DEP_1) | instskip(NEXT) | instid1(TRANS32_DEP_1)
	v_fmaak_f32 v27, v28, v27, 0xbe1160e6
	v_ldexp_f32 v26, v30, v26
	s_delay_alu instid0(VALU_DEP_2) | instskip(NEXT) | instid1(VALU_DEP_1)
	v_fmaak_f32 v27, v28, v27, 0x3e4cb8bf
	v_fmaak_f32 v27, v28, v27, 0xbeaaaa62
	s_delay_alu instid0(VALU_DEP_1) | instskip(NEXT) | instid1(VALU_DEP_1)
	v_dual_cndmask_b32 v26, 0x7f800000, v26 :: v_dual_mul_f32 v27, v28, v27
	v_cmp_gt_f32_e32 vcc_lo, 0x800000, v26
	v_cndmask_b32_e64 v29, 0, 32, vcc_lo
	s_delay_alu instid0(VALU_DEP_1) | instskip(NEXT) | instid1(VALU_DEP_1)
	v_ldexp_f32 v26, v26, v29
	v_log_f32_e32 v26, v26
	v_fmac_f32_e32 v9, v9, v27
	s_delay_alu instid0(VALU_DEP_1) | instskip(NEXT) | instid1(TRANS32_DEP_1)
	v_sub_f32_e32 v28, 0x3fc90fdb, v9
	v_mul_f32_e32 v27, 0x3f317217, v26
	s_delay_alu instid0(VALU_DEP_2) | instskip(NEXT) | instid1(VALU_DEP_2)
	v_cndmask_b32_e64 v9, v9, v28, s4
	v_fma_f32 v27, 0x3f317217, v26, -v27
	v_cndmask_b32_e64 v28, 0, 0x40490fdb, s5
	v_cmp_gt_f32_e64 s5, 0, v24
	s_delay_alu instid0(VALU_DEP_4) | instskip(NEXT) | instid1(VALU_DEP_4)
	v_sub_f32_e32 v29, 0x40490fdb, v9
	v_fmac_f32_e32 v27, 0x3377d1cf, v26
	s_delay_alu instid0(VALU_DEP_3) | instskip(NEXT) | instid1(VALU_DEP_3)
	v_cndmask_b32_e64 v24, 0x3f490fdb, v32, s5
	v_cndmask_b32_e64 v9, v9, v29, s5
	s_delay_alu instid0(VALU_DEP_3) | instskip(SKIP_2) | instid1(VALU_DEP_3)
	v_fmac_f32_e32 v27, 0x3f317217, v26
	v_cndmask_b32_e64 v29, 0, 0x41b17218, vcc_lo
	v_cmp_gt_f32_e64 vcc_lo, 0x7f800000, |v26|
	v_cndmask_b32_e32 v26, v26, v27, vcc_lo
	v_cmp_eq_f32_e32 vcc_lo, 0, v25
	s_delay_alu instid0(VALU_DEP_2) | instskip(SKIP_1) | instid1(VALU_DEP_1)
	v_dual_sub_f32 v33, v26, v29 :: v_dual_cndmask_b32 v9, v9, v28, vcc_lo
	s_and_b32 vcc_lo, s8, s7
	v_cndmask_b32_e32 v34, v9, v24, vcc_lo
.LBB180_170:                            ;   in Loop: Header=BB180_145 Depth=1
	s_or_b32 exec_lo, exec_lo, s6
                                        ; implicit-def: $vgpr26
.LBB180_171:                            ;   in Loop: Header=BB180_145 Depth=1
	s_and_not1_saveexec_b32 s6, s30
	s_cbranch_execz .LBB180_177
; %bb.172:                              ;   in Loop: Header=BB180_145 Depth=1
                                        ; implicit-def: $vgpr33
                                        ; implicit-def: $vgpr34
	s_mov_b32 s5, exec_lo
	v_cmpx_ngt_f32_e32 0x1fec1e4a, v26
	s_xor_b32 s7, exec_lo, s5
	s_cbranch_execz .LBB180_174
; %bb.173:                              ;   in Loop: Header=BB180_145 Depth=1
	v_pk_mul_f32 v[26:27], v[26:27], v[26:27]
	v_max_num_f32_e64 v40, |v24|, |v24|
	v_cmp_class_f32_e64 s8, v24, 0x204
	s_delay_alu instid0(VALU_DEP_3) | instskip(SKIP_1) | instid1(VALU_DEP_2)
	v_add_f32_e32 v29, 1.0, v26
	v_cmp_neq_f32_e64 s5, 0x7f800000, v26
	v_frexp_mant_f32_e32 v28, v29
	v_add_f32_e32 v27, -1.0, v29
	s_delay_alu instid0(VALU_DEP_2) | instskip(NEXT) | instid1(VALU_DEP_2)
	v_cmp_gt_f32_e32 vcc_lo, 0x3f2aaaab, v28
	v_mov_b32_e32 v28, v27
	v_cvt_f64_f32_e32 v[30:31], v29
	s_delay_alu instid0(VALU_DEP_1) | instskip(NEXT) | instid1(VALU_DEP_3)
	v_frexp_exp_i32_f64_e32 v9, v[30:31]
	v_pk_add_f32 v[30:31], v[26:27], v[28:29] neg_lo:[0,1] neg_hi:[0,1]
	s_delay_alu instid0(VALU_DEP_1) | instskip(NEXT) | instid1(VALU_DEP_3)
	v_add_f32_e32 v28, 1.0, v31
	v_subrev_co_ci_u32_e64 v9, null, 0, v9, vcc_lo
	v_cmp_gt_i32_e32 vcc_lo, 0, v24
	s_delay_alu instid0(VALU_DEP_2) | instskip(NEXT) | instid1(VALU_DEP_1)
	v_sub_nc_u32_e32 v33, 0, v9
	v_ldexp_f32 v27, v29, v33
	s_delay_alu instid0(VALU_DEP_1) | instskip(NEXT) | instid1(VALU_DEP_1)
	v_dual_add_f32 v31, 1.0, v27 :: v_dual_add_f32 v28, v30, v28
	v_add_f32_e32 v29, -1.0, v31
	v_add_f32_e32 v35, -1.0, v27
	s_delay_alu instid0(VALU_DEP_3) | instskip(NEXT) | instid1(VALU_DEP_2)
	v_ldexp_f32 v28, v28, v33
	v_dual_sub_f32 v29, v27, v29 :: v_dual_add_f32 v30, 1.0, v35
	s_delay_alu instid0(VALU_DEP_1) | instskip(NEXT) | instid1(VALU_DEP_1)
	v_add_f32_e32 v33, v28, v29
	v_add_f32_e32 v36, v31, v33
	s_delay_alu instid0(VALU_DEP_1) | instskip(NEXT) | instid1(VALU_DEP_3)
	v_rcp_f32_e32 v37, v36
	v_sub_f32_e32 v27, v27, v30
	s_delay_alu instid0(VALU_DEP_1) | instskip(NEXT) | instid1(VALU_DEP_1)
	v_add_f32_e32 v27, v28, v27
	v_add_f32_e32 v29, v35, v27
	s_delay_alu instid0(TRANS32_DEP_1) | instid1(VALU_DEP_1)
	v_mul_f32_e32 v38, v29, v37
	s_delay_alu instid0(VALU_DEP_1) | instskip(NEXT) | instid1(VALU_DEP_1)
	v_dual_mul_f32 v30, v36, v38 :: v_dual_sub_f32 v28, v31, v36
	v_fma_f32 v34, v38, v36, -v30
	s_delay_alu instid0(VALU_DEP_2) | instskip(NEXT) | instid1(VALU_DEP_1)
	v_add_f32_e32 v33, v33, v28
	v_fmac_f32_e32 v34, v38, v33
	s_delay_alu instid0(VALU_DEP_1) | instskip(NEXT) | instid1(VALU_DEP_1)
	v_dual_add_f32 v28, v30, v34 :: v_dual_sub_f32 v39, v35, v29
	v_dual_mov_b32 v35, v28 :: v_dual_sub_f32 v31, v29, v28
	s_delay_alu instid0(VALU_DEP_2) | instskip(NEXT) | instid1(VALU_DEP_2)
	v_add_f32_e32 v27, v27, v39
	v_pk_add_f32 v[28:29], v[28:29], v[30:31] neg_lo:[0,1] neg_hi:[0,1]
	s_delay_alu instid0(VALU_DEP_1) | instskip(NEXT) | instid1(VALU_DEP_1)
	v_pk_add_f32 v[28:29], v[28:29], v[34:35] neg_lo:[0,1] neg_hi:[0,1]
	v_add_f32_e32 v27, v27, v29
	s_delay_alu instid0(VALU_DEP_1) | instskip(NEXT) | instid1(VALU_DEP_1)
	v_add_f32_e32 v27, v28, v27
	v_add_f32_e32 v29, v31, v27
	s_delay_alu instid0(VALU_DEP_1) | instskip(NEXT) | instid1(VALU_DEP_1)
	v_mul_f32_e32 v39, v37, v29
	v_mul_f32_e32 v34, v36, v39
	s_delay_alu instid0(VALU_DEP_1) | instskip(NEXT) | instid1(VALU_DEP_1)
	v_fma_f32 v30, v39, v36, -v34
	v_fmac_f32_e32 v30, v39, v33
	s_delay_alu instid0(VALU_DEP_1) | instskip(NEXT) | instid1(VALU_DEP_1)
	v_dual_add_f32 v28, v34, v30 :: v_dual_sub_f32 v33, v31, v29
	v_dual_mov_b32 v31, v28 :: v_dual_sub_f32 v35, v29, v28
	s_delay_alu instid0(VALU_DEP_2) | instskip(NEXT) | instid1(VALU_DEP_2)
	v_dual_add_f32 v27, v27, v33 :: v_dual_add_f32 v33, v38, v39
	v_pk_add_f32 v[28:29], v[28:29], v[34:35] neg_lo:[0,1] neg_hi:[0,1]
	s_delay_alu instid0(VALU_DEP_1) | instskip(NEXT) | instid1(VALU_DEP_1)
	v_pk_add_f32 v[28:29], v[28:29], v[30:31] neg_lo:[0,1] neg_hi:[0,1]
	v_add_f32_e32 v27, v27, v29
	s_delay_alu instid0(VALU_DEP_1) | instskip(NEXT) | instid1(VALU_DEP_1)
	v_dual_add_f32 v27, v28, v27 :: v_dual_sub_f32 v28, v33, v38
	v_sub_f32_e32 v28, v39, v28
	s_delay_alu instid0(VALU_DEP_2) | instskip(NEXT) | instid1(VALU_DEP_1)
	v_add_f32_e32 v27, v35, v27
	v_mul_f32_e32 v27, v37, v27
	s_delay_alu instid0(VALU_DEP_1) | instskip(SKIP_1) | instid1(VALU_DEP_2)
	v_add_f32_e32 v27, v28, v27
	v_cvt_f32_i32_e32 v28, v9
	v_add_f32_e32 v36, v33, v27
	s_delay_alu instid0(VALU_DEP_1) | instskip(NEXT) | instid1(VALU_DEP_1)
	v_mul_f32_e32 v30, v36, v36
	v_fmaak_f32 v31, s26, v30, 0x3ecc95a3
	v_mul_f32_e32 v29, v36, v30
	v_ldexp_f32 v35, v36, 1
	s_delay_alu instid0(VALU_DEP_3) | instskip(NEXT) | instid1(VALU_DEP_1)
	v_fmaak_f32 v9, v30, v31, 0x3f2aaada
	v_pk_mul_f32 v[30:31], v[28:29], v[8:9]
	s_delay_alu instid0(VALU_DEP_1) | instskip(NEXT) | instid1(VALU_DEP_1)
	v_fma_f32 v34, 0x3f317218, v28, -v30
	v_fmac_f32_e32 v34, 0xb102e308, v28
	s_delay_alu instid0(VALU_DEP_1) | instskip(SKIP_2) | instid1(VALU_DEP_2)
	v_pk_add_f32 v[28:29], v[30:31], v[34:35]
	v_sub_f32_e32 v9, v36, v33
	v_max_num_f32_e64 v33, |v25|, |v25|
	v_dual_mov_b32 v36, v30 :: v_dual_sub_f32 v9, v27, v9
	s_delay_alu instid0(VALU_DEP_4) | instskip(NEXT) | instid1(VALU_DEP_2)
	v_dual_sub_f32 v27, v29, v35 :: v_dual_mov_b32 v35, v28
	v_ldexp_f32 v9, v9, 1
	s_delay_alu instid0(VALU_DEP_2) | instskip(SKIP_1) | instid1(VALU_DEP_2)
	v_sub_f32_e32 v27, v31, v27
	v_pk_add_f32 v[30:31], v[28:29], v[30:31] neg_lo:[0,1] neg_hi:[0,1]
	v_dual_add_f32 v37, v9, v27 :: v_dual_max_num_f32 v9, v40, v33
	v_min_num_f32_e32 v33, v40, v33
	s_delay_alu instid0(VALU_DEP_2) | instskip(NEXT) | instid1(VALU_DEP_3)
	v_pk_add_f32 v[38:39], v[28:29], v[36:37]
	v_frexp_mant_f32_e32 v27, v9
	v_frexp_exp_i32_f32_e32 v9, v9
	s_delay_alu instid0(VALU_DEP_3) | instskip(NEXT) | instid1(VALU_DEP_3)
	v_dual_mov_b32 v44, v29 :: v_dual_mov_b32 v31, v39
	v_rcp_f32_e32 v27, v27
	s_delay_alu instid0(VALU_DEP_1) | instskip(SKIP_1) | instid1(VALU_DEP_2)
	v_pk_add_f32 v[40:41], v[34:35], v[30:31]
	v_pk_add_f32 v[30:31], v[34:35], v[30:31] neg_lo:[0,1] neg_hi:[0,1]
	v_mov_b32_e32 v36, v41
	v_frexp_exp_i32_f32_e32 v40, v33
	v_frexp_mant_f32_e32 v33, v33
	s_delay_alu instid0(VALU_DEP_3) | instskip(NEXT) | instid1(VALU_DEP_2)
	v_pk_add_f32 v[42:43], v[36:37], v[28:29] neg_lo:[0,1] neg_hi:[0,1]
	v_dual_sub_nc_u32 v9, v40, v9 :: v_dual_mul_f32 v27, v33, v27
	v_dual_mov_b32 v40, v39 :: v_dual_mov_b32 v29, v28
	s_delay_alu instid0(VALU_DEP_3) | instskip(NEXT) | instid1(VALU_DEP_3)
	v_dual_mov_b32 v45, v42 :: v_dual_mov_b32 v28, v37
	v_ldexp_f32 v27, v27, v9
	v_mov_b32_e32 v9, v42
	s_delay_alu instid0(VALU_DEP_3) | instskip(NEXT) | instid1(VALU_DEP_3)
	v_pk_add_f32 v[34:35], v[40:41], v[44:45] neg_lo:[0,1] neg_hi:[0,1]
	v_mul_f32_e32 v33, v27, v27
	s_delay_alu instid0(VALU_DEP_3) | instskip(SKIP_1) | instid1(VALU_DEP_4)
	v_pk_add_f32 v[38:39], v[38:39], v[8:9] neg_lo:[0,1] neg_hi:[0,1]
	v_mov_b32_e32 v38, v30
	v_pk_add_f32 v[28:29], v[28:29], v[34:35] neg_lo:[0,1] neg_hi:[0,1]
	s_delay_alu instid0(VALU_DEP_1) | instskip(NEXT) | instid1(VALU_DEP_1)
	v_pk_add_f32 v[34:35], v[38:39], v[28:29]
	v_dual_fmaak_f32 v9, s27, v33, 0xbc7a590c :: v_dual_mov_b32 v38, v35
	s_delay_alu instid0(VALU_DEP_1) | instskip(NEXT) | instid1(VALU_DEP_1)
	v_pk_add_f32 v[38:39], v[34:35], v[38:39]
	v_pk_add_f32 v[36:37], v[36:37], v[38:39]
	s_delay_alu instid0(VALU_DEP_1) | instskip(NEXT) | instid1(VALU_DEP_1)
	v_dual_mov_b32 v31, v41 :: v_dual_mov_b32 v35, v36
	v_pk_add_f32 v[40:41], v[34:35], v[30:31] neg_lo:[0,1] neg_hi:[0,1]
	s_delay_alu instid0(VALU_DEP_1) | instskip(NEXT) | instid1(VALU_DEP_1)
	v_sub_f32_e32 v31, v34, v40
	v_dual_fmaak_f32 v9, v33, v9, 0x3d29fb3f :: v_dual_sub_f32 v30, v30, v31
	s_delay_alu instid0(VALU_DEP_1) | instskip(NEXT) | instid1(VALU_DEP_1)
	v_fmaak_f32 v9, v33, v9, 0xbd97d4d7
	v_fmaak_f32 v9, v33, v9, 0x3dd931b2
	s_delay_alu instid0(VALU_DEP_1) | instskip(NEXT) | instid1(VALU_DEP_1)
	v_fmaak_f32 v9, v33, v9, 0xbe1160e6
	v_fmaak_f32 v9, v33, v9, 0x3e4cb8bf
	s_delay_alu instid0(VALU_DEP_1) | instskip(NEXT) | instid1(VALU_DEP_1)
	v_fmaak_f32 v9, v33, v9, 0xbeaaaa62
	v_dual_mov_b32 v29, v38 :: v_dual_mul_f32 v9, v33, v9
	s_delay_alu instid0(VALU_DEP_1) | instskip(NEXT) | instid1(VALU_DEP_1)
	v_pk_add_f32 v[28:29], v[28:29], v[40:41] neg_lo:[0,1] neg_hi:[0,1]
	v_dual_fmac_f32 v27, v27, v9 :: v_dual_add_f32 v9, v28, v30
	s_delay_alu instid0(VALU_DEP_1) | instskip(NEXT) | instid1(VALU_DEP_1)
	v_dual_sub_f32 v28, 0x3fc90fdb, v27 :: v_dual_add_f32 v9, v9, v29
	v_cndmask_b32_e64 v27, v27, v28, s4
	v_cndmask_b32_e64 v28, 0, 0x40490fdb, vcc_lo
	s_delay_alu instid0(VALU_DEP_3) | instskip(SKIP_1) | instid1(VALU_DEP_4)
	v_add_f32_e32 v9, v36, v9
	v_cmp_gt_f32_e32 vcc_lo, 0, v24
	v_sub_f32_e32 v29, 0x40490fdb, v27
	s_delay_alu instid0(VALU_DEP_3) | instskip(SKIP_1) | instid1(VALU_DEP_3)
	v_cndmask_b32_e64 v9, 0x7f800000, v9, s5
	v_cmp_class_f32_e64 s5, v25, 0x204
	v_cndmask_b32_e32 v24, v27, v29, vcc_lo
	v_cndmask_b32_e32 v27, 0x3f490fdb, v32, vcc_lo
	v_cmp_gt_f32_e64 vcc_lo, 0x33800000, |v26|
	v_cndmask_b32_e32 v9, v9, v26, vcc_lo
	v_cmp_eq_f32_e32 vcc_lo, 0, v25
                                        ; implicit-def: $vgpr26
	s_delay_alu instid0(VALU_DEP_2) | instskip(SKIP_1) | instid1(VALU_DEP_1)
	v_dual_mul_f32 v33, 0.5, v9 :: v_dual_cndmask_b32 v24, v24, v28
	s_and_b32 vcc_lo, s5, s8
	v_cndmask_b32_e32 v34, v24, v27, vcc_lo
.LBB180_174:                            ;   in Loop: Header=BB180_145 Depth=1
	s_and_not1_saveexec_b32 s7, s7
	s_cbranch_execz .LBB180_176
; %bb.175:                              ;   in Loop: Header=BB180_145 Depth=1
	v_max_num_f32_e64 v9, |v25|, |v25|
	v_max_num_f32_e64 v27, |v24|, |v24|
	v_cmp_eq_f32_e64 s5, 0, v25
	v_cmp_gt_i32_e32 vcc_lo, 0, v24
	v_cmp_class_f32_e64 s8, v24, 0x204
	v_cmp_class_f32_e64 s9, v25, 0x204
	v_dual_max_num_f32 v28, v27, v9 :: v_dual_min_num_f32 v9, v27, v9
	s_delay_alu instid0(VALU_DEP_1) | instskip(SKIP_1) | instid1(VALU_DEP_2)
	v_frexp_mant_f32_e32 v29, v28
	v_frexp_exp_i32_f32_e32 v27, v28
	v_rcp_f32_e32 v28, v29
	v_nop
	v_frexp_exp_i32_f32_e32 v29, v9
	v_frexp_mant_f32_e32 v9, v9
	s_delay_alu instid0(VALU_DEP_2)
	v_sub_nc_u32_e32 v27, v29, v27
	s_delay_alu instid0(TRANS32_DEP_1) | instid1(VALU_DEP_2)
	v_mul_f32_e32 v9, v9, v28
	s_delay_alu instid0(VALU_DEP_1) | instskip(NEXT) | instid1(VALU_DEP_1)
	v_ldexp_f32 v9, v9, v27
	v_mul_f32_e32 v27, v9, v9
	s_delay_alu instid0(VALU_DEP_1) | instskip(NEXT) | instid1(VALU_DEP_1)
	v_fmaak_f32 v28, s27, v27, 0xbc7a590c
	v_fmaak_f32 v28, v27, v28, 0x3d29fb3f
	s_delay_alu instid0(VALU_DEP_1) | instskip(NEXT) | instid1(VALU_DEP_1)
	v_fmaak_f32 v28, v27, v28, 0xbd97d4d7
	v_fmaak_f32 v28, v27, v28, 0x3dd931b2
	;; [unrolled: 3-line block ×3, first 2 shown]
	s_delay_alu instid0(VALU_DEP_1) | instskip(NEXT) | instid1(VALU_DEP_1)
	v_fmaak_f32 v28, v27, v28, 0xbeaaaa62
	v_mul_f32_e32 v27, v27, v28
	v_cndmask_b32_e64 v28, 0, 0x40490fdb, vcc_lo
	v_cmp_gt_f32_e32 vcc_lo, 0, v24
	s_delay_alu instid0(VALU_DEP_3) | instskip(NEXT) | instid1(VALU_DEP_1)
	v_dual_fmac_f32 v9, v9, v27 :: v_dual_cndmask_b32 v24, 0x3f490fdb, v32
	v_sub_f32_e32 v27, 0x3fc90fdb, v9
	s_delay_alu instid0(VALU_DEP_1) | instskip(NEXT) | instid1(VALU_DEP_1)
	v_cndmask_b32_e64 v9, v9, v27, s4
	v_sub_f32_e32 v27, 0x40490fdb, v9
	s_delay_alu instid0(VALU_DEP_1) | instskip(SKIP_1) | instid1(VALU_DEP_1)
	v_dual_cndmask_b32 v9, v9, v27, vcc_lo :: v_dual_mul_f32 v27, 0.5, v26
	s_and_b32 vcc_lo, s9, s8
	v_dual_cndmask_b32 v9, v9, v28, s5 :: v_dual_mul_f32 v33, v26, v27
	s_delay_alu instid0(VALU_DEP_1)
	v_cndmask_b32_e32 v34, v9, v24, vcc_lo
.LBB180_176:                            ;   in Loop: Header=BB180_145 Depth=1
	s_or_b32 exec_lo, exec_lo, s7
.LBB180_177:                            ;   in Loop: Header=BB180_145 Depth=1
	s_delay_alu instid0(SALU_CYCLE_1)
	s_or_b32 exec_lo, exec_lo, s6
.LBB180_178:                            ;   in Loop: Header=BB180_145 Depth=1
	s_and_not1_saveexec_b32 s6, s29
	s_cbranch_execz .LBB180_180
; %bb.179:                              ;   in Loop: Header=BB180_145 Depth=1
	v_div_scale_f32 v9, null, 0x402df854, 0x402df854, v24
	v_div_scale_f32 v26, null, 0x402df854, 0x402df854, v25
	v_div_scale_f32 v31, vcc_lo, v24, 0x402df854, v24
	s_delay_alu instid0(VALU_DEP_3) | instskip(NEXT) | instid1(VALU_DEP_2)
	v_rcp_f32_e32 v27, v9
	v_rcp_f32_e32 v28, v26
	v_cmp_class_f32_e64 s7, v25, 0x204
	s_delay_alu instid0(TRANS32_DEP_2) | instskip(NEXT) | instid1(TRANS32_DEP_1)
	v_fma_f32 v29, -v9, v27, 1.0
	v_fma_f32 v30, -v26, v28, 1.0
	s_delay_alu instid0(VALU_DEP_1) | instskip(SKIP_1) | instid1(VALU_DEP_1)
	v_dual_fmac_f32 v27, v29, v27 :: v_dual_fmac_f32 v28, v30, v28
	v_div_scale_f32 v29, s5, v25, 0x402df854, v25
	v_dual_mul_f32 v30, v31, v27 :: v_dual_mul_f32 v33, v29, v28
	s_delay_alu instid0(VALU_DEP_1) | instskip(NEXT) | instid1(VALU_DEP_1)
	v_dual_fma_f32 v34, -v9, v30, v31 :: v_dual_fma_f32 v35, -v26, v33, v29
	v_dual_fmac_f32 v30, v34, v27 :: v_dual_fmac_f32 v33, v35, v28
	s_delay_alu instid0(VALU_DEP_1) | instskip(NEXT) | instid1(VALU_DEP_1)
	v_dual_fma_f32 v9, -v9, v30, v31 :: v_dual_fma_f32 v26, -v26, v33, v29
	v_div_fmas_f32 v9, v9, v27, v30
	s_mov_b32 vcc_lo, s5
	v_max_num_f32_e64 v30, |v24|, |v24|
	s_delay_alu instid0(VALU_DEP_3) | instskip(SKIP_2) | instid1(VALU_DEP_3)
	v_div_fmas_f32 v26, v26, v28, v33
	v_cmp_class_f32_e64 s5, v24, 0x204
	v_div_fixup_f32 v9, v9, 0x402df854, v24
	v_div_fixup_f32 v28, v26, 0x402df854, v25
	s_delay_alu instid0(VALU_DEP_1) | instskip(NEXT) | instid1(VALU_DEP_1)
	v_max_num_f32_e64 v29, |v9|, |v28|
	v_cvt_f64_f32_e32 v[26:27], v29
	v_cmp_neq_f32_e32 vcc_lo, 0x7f800000, v29
	s_delay_alu instid0(VALU_DEP_2) | instskip(SKIP_1) | instid1(VALU_DEP_1)
	v_frexp_exp_i32_f64_e32 v26, v[26:27]
	v_max_num_f32_e64 v27, |v25|, |v25|
	v_dual_max_num_f32 v31, v30, v27 :: v_dual_min_num_f32 v27, v30, v27
	s_delay_alu instid0(VALU_DEP_1) | instskip(SKIP_1) | instid1(VALU_DEP_2)
	v_frexp_mant_f32_e32 v33, v31
	v_frexp_exp_i32_f32_e32 v30, v31
	v_rcp_f32_e32 v31, v33
	v_nop
	v_frexp_exp_i32_f32_e32 v33, v27
	v_frexp_mant_f32_e32 v27, v27
	s_delay_alu instid0(TRANS32_DEP_1) | instid1(VALU_DEP_1)
	v_dual_mul_f32 v27, v27, v31 :: v_dual_sub_nc_u32 v30, v33, v30
	s_delay_alu instid0(VALU_DEP_1) | instskip(NEXT) | instid1(VALU_DEP_1)
	v_ldexp_f32 v27, v27, v30
	v_dual_mul_f32 v30, v27, v27 :: v_dual_sub_nc_u32 v31, 0, v26
	s_delay_alu instid0(VALU_DEP_1) | instskip(SKIP_1) | instid1(VALU_DEP_2)
	v_ldexp_f32 v28, |v28|, v31
	v_ldexp_f32 v9, |v9|, v31
	v_dual_fmaak_f32 v31, s27, v30, 0xbc7a590c :: v_dual_mul_f32 v28, v28, v28
	s_delay_alu instid0(VALU_DEP_1) | instskip(NEXT) | instid1(VALU_DEP_1)
	v_dual_fmac_f32 v28, v9, v9 :: v_dual_fmaak_f32 v9, v30, v31, 0x3d29fb3f
	v_sqrt_f32_e32 v28, v28
	s_delay_alu instid0(VALU_DEP_1) | instskip(NEXT) | instid1(VALU_DEP_1)
	v_fmaak_f32 v9, v30, v9, 0xbd97d4d7
	v_fmaak_f32 v9, v30, v9, 0x3dd931b2
	s_delay_alu instid0(TRANS32_DEP_1) | instskip(NEXT) | instid1(VALU_DEP_2)
	v_ldexp_f32 v26, v28, v26
	v_fmaak_f32 v9, v30, v9, 0xbe1160e6
	s_delay_alu instid0(VALU_DEP_1) | instskip(NEXT) | instid1(VALU_DEP_1)
	v_fmaak_f32 v9, v30, v9, 0x3e4cb8bf
	v_fmaak_f32 v9, v30, v9, 0xbeaaaa62
	s_delay_alu instid0(VALU_DEP_1) | instskip(NEXT) | instid1(VALU_DEP_1)
	v_dual_cndmask_b32 v26, 0x7f800000, v26 :: v_dual_mul_f32 v9, v30, v9
	v_cmp_gt_f32_e32 vcc_lo, 0x800000, v26
	s_delay_alu instid0(VALU_DEP_2) | instskip(SKIP_2) | instid1(VALU_DEP_2)
	v_fmac_f32_e32 v27, v27, v9
	v_cndmask_b32_e64 v28, 0, 32, vcc_lo
	v_cndmask_b32_e64 v30, 0, 0x41b17218, vcc_lo
	v_ldexp_f32 v26, v26, v28
	s_delay_alu instid0(VALU_DEP_1) | instskip(SKIP_1) | instid1(TRANS32_DEP_1)
	v_log_f32_e32 v26, v26
	v_nop
	v_mul_f32_e32 v28, 0x3f317217, v26
	v_cmp_gt_f32_e64 vcc_lo, 0x7f800000, |v26|
	s_delay_alu instid0(VALU_DEP_2) | instskip(NEXT) | instid1(VALU_DEP_1)
	v_fma_f32 v9, 0x3f317217, v26, -v28
	v_fmac_f32_e32 v9, 0x3377d1cf, v26
	s_delay_alu instid0(VALU_DEP_1) | instskip(NEXT) | instid1(VALU_DEP_1)
	v_fmac_f32_e32 v9, 0x3f317217, v26
	v_dual_sub_f32 v28, 0x3fc90fdb, v27 :: v_dual_cndmask_b32 v9, v26, v9
	s_delay_alu instid0(VALU_DEP_1) | instskip(SKIP_2) | instid1(VALU_DEP_4)
	v_cndmask_b32_e64 v27, v27, v28, s4
	v_cmp_gt_i32_e64 s4, 0, v24
	v_cmp_eq_f32_e32 vcc_lo, 0, v25
	v_sub_f32_e32 v9, v9, v30
	s_delay_alu instid0(VALU_DEP_4) | instskip(NEXT) | instid1(VALU_DEP_4)
	v_sub_f32_e32 v29, 0x40490fdb, v27
	v_cndmask_b32_e64 v28, 0, 0x40490fdb, s4
	v_cmp_gt_f32_e64 s4, 0, v24
	s_delay_alu instid0(VALU_DEP_4) | instskip(NEXT) | instid1(VALU_DEP_2)
	v_add_f32_e32 v33, 1.0, v9
	v_cndmask_b32_e64 v24, v27, v29, s4
	v_cndmask_b32_e64 v26, 0x3f490fdb, v32, s4
	s_delay_alu instid0(VALU_DEP_2) | instskip(SKIP_1) | instid1(VALU_DEP_1)
	v_cndmask_b32_e32 v24, v24, v28, vcc_lo
	s_and_b32 vcc_lo, s7, s5
	v_cndmask_b32_e32 v34, v24, v26, vcc_lo
.LBB180_180:                            ;   in Loop: Header=BB180_145 Depth=1
	s_or_b32 exec_lo, exec_lo, s6
.LBB180_181:                            ;   in Loop: Header=BB180_145 Depth=1
	s_and_not1_saveexec_b32 s4, s28
	s_cbranch_execz .LBB180_187
; %bb.182:                              ;   in Loop: Header=BB180_145 Depth=1
	v_cmp_ngt_f32_e64 s5, 0x20000000, |v24|
	v_cmp_ngt_f32_e64 s6, 0x20000000, |v25|
                                        ; implicit-def: $vgpr9
	s_or_b32 s5, s6, s5
	s_delay_alu instid0(SALU_CYCLE_1) | instskip(NEXT) | instid1(SALU_CYCLE_1)
	s_and_saveexec_b32 s6, s5
	s_xor_b32 s5, exec_lo, s6
; %bb.183:                              ;   in Loop: Header=BB180_145 Depth=1
	v_pk_mul_f32 v[26:27], v[24:25], v[24:25]
	s_delay_alu instid0(VALU_DEP_1)
	v_add_f32_e32 v9, v27, v26
; %bb.184:                              ;   in Loop: Header=BB180_145 Depth=1
	s_and_not1_saveexec_b32 s5, s5
; %bb.185:                              ;   in Loop: Header=BB180_145 Depth=1
	v_pk_mul_f32 v[26:27], v[24:25], 4.0 op_sel_hi:[1,0]
	s_delay_alu instid0(VALU_DEP_1) | instskip(NEXT) | instid1(VALU_DEP_1)
	v_pk_mul_f32 v[26:27], v[26:27], v[26:27]
	v_add_f32_e32 v9, v27, v26
	s_delay_alu instid0(VALU_DEP_1)
	v_mul_f32_e32 v9, 0x3d800000, v9
; %bb.186:                              ;   in Loop: Header=BB180_145 Depth=1
	s_or_b32 exec_lo, exec_lo, s5
	s_delay_alu instid0(VALU_DEP_1) | instskip(SKIP_3) | instid1(VALU_DEP_2)
	v_cmp_gt_f32_e32 vcc_lo, 0x800000, v9
	v_mov_b32_e32 v34, 0x7fc00000
	v_cndmask_b32_e64 v24, 0, 32, vcc_lo
	v_cndmask_b32_e64 v26, 0, 0x41b17218, vcc_lo
	v_ldexp_f32 v9, v9, v24
	s_delay_alu instid0(VALU_DEP_1) | instskip(SKIP_1) | instid1(TRANS32_DEP_1)
	v_log_f32_e32 v9, v9
	v_nop
	v_mul_f32_e32 v24, 0x3f317217, v9
	v_cmp_gt_f32_e64 vcc_lo, 0x7f800000, |v9|
	s_delay_alu instid0(VALU_DEP_2) | instskip(NEXT) | instid1(VALU_DEP_1)
	v_fma_f32 v24, 0x3f317217, v9, -v24
	v_fmac_f32_e32 v24, 0x3377d1cf, v9
	s_delay_alu instid0(VALU_DEP_1) | instskip(NEXT) | instid1(VALU_DEP_1)
	v_fmac_f32_e32 v24, 0x3f317217, v9
	v_cndmask_b32_e32 v9, v9, v24, vcc_lo
	s_delay_alu instid0(VALU_DEP_1)
	v_sub_f32_e32 v33, v9, v26
.LBB180_187:                            ;   in Loop: Header=BB180_145 Depth=1
	s_or_b32 exec_lo, exec_lo, s4
                                        ; implicit-def: $vgpr24
                                        ; implicit-def: $vgpr35
	s_delay_alu instid0(SALU_CYCLE_1)
	s_mov_b32 s4, exec_lo
	v_cmpx_o_f32_e32 v23, v22
	s_xor_b32 s28, exec_lo, s4
	s_cbranch_execz .LBB180_215
; %bb.188:                              ;   in Loop: Header=BB180_145 Depth=1
	v_cmp_lt_f32_e64 s4, |v22|, |v23|
                                        ; implicit-def: $vgpr24
                                        ; implicit-def: $vgpr35
	s_mov_b32 s6, exec_lo
	v_cndmask_b32_e64 v9, v23, v22, s4
	s_delay_alu instid0(VALU_DEP_1)
	v_cmpx_nlt_f32_e64 0x77f684df, |v9|
	s_xor_b32 s29, exec_lo, s6
	s_cbranch_execz .LBB180_212
; %bb.189:                              ;   in Loop: Header=BB180_145 Depth=1
	v_cndmask_b32_e64 v24, v22, v23, s4
	v_and_b32_e32 v26, 0x7fffffff, v9
                                        ; implicit-def: $vgpr35
	s_mov_b32 s5, exec_lo
	s_delay_alu instid0(VALU_DEP_2) | instskip(NEXT) | instid1(VALU_DEP_1)
	v_and_b32_e32 v27, 0x7fffffff, v24
                                        ; implicit-def: $vgpr24
	v_cmpx_neq_f32_e32 1.0, v27
	s_xor_b32 s30, exec_lo, s5
	s_cbranch_execz .LBB180_205
; %bb.190:                              ;   in Loop: Header=BB180_145 Depth=1
	v_dual_max_num_f32 v9, v26, v26 :: v_dual_max_num_f32 v24, v27, v27
                                        ; implicit-def: $vgpr35
	s_delay_alu instid0(VALU_DEP_1) | instskip(NEXT) | instid1(VALU_DEP_1)
	v_dual_min_num_f32 v28, v24, v9 :: v_dual_max_num_f32 v9, v24, v9
                                        ; implicit-def: $vgpr24
	v_cmp_ngt_f32_e32 vcc_lo, 0x358637bd, v28
	s_delay_alu instid0(VALU_DEP_2) | instskip(SKIP_1) | instid1(SALU_CYCLE_1)
	v_cmp_nlt_f32_e64 s5, 0x49742400, v9
	s_and_b32 s5, s5, vcc_lo
	s_and_saveexec_b32 s6, s5
	s_delay_alu instid0(SALU_CYCLE_1)
	s_xor_b32 s31, exec_lo, s6
	s_cbranch_execz .LBB180_202
; %bb.191:                              ;   in Loop: Header=BB180_145 Depth=1
                                        ; implicit-def: $vgpr24
                                        ; implicit-def: $vgpr35
	s_mov_b32 s5, exec_lo
	v_cmpx_le_f32_e32 1.0, v27
	s_xor_b32 s6, exec_lo, s5
	s_cbranch_execz .LBB180_193
; %bb.192:                              ;   in Loop: Header=BB180_145 Depth=1
	v_pk_add_f32 v[28:29], v[26:27], v[6:7] op_sel:[1,0]
	v_mov_b32_e32 v30, v26
	v_cmp_class_f32_e64 s7, v22, 0x204
	s_delay_alu instid0(VALU_DEP_3) | instskip(SKIP_1) | instid1(VALU_DEP_1)
	v_dual_mov_b32 v27, v28 :: v_dual_mov_b32 v31, v29
	v_mul_f32_e32 v24, v28, v29
	v_pk_fma_f32 v[26:27], v[26:27], v[30:31], v[24:25] op_sel_hi:[1,1,0]
	s_delay_alu instid0(VALU_DEP_1) | instskip(SKIP_1) | instid1(VALU_DEP_2)
	v_add_f32_e32 v29, 1.0, v26
	v_cmp_neq_f32_e64 s5, -1.0, v26
	v_add_f32_e32 v27, -1.0, v29
	s_delay_alu instid0(VALU_DEP_1) | instskip(SKIP_2) | instid1(VALU_DEP_1)
	v_mov_b32_e32 v28, v27
	v_cvt_f64_f32_e32 v[30:31], v29
	v_frexp_mant_f32_e32 v24, v29
	v_cmp_gt_f32_e32 vcc_lo, 0x3f2aaaab, v24
	s_delay_alu instid0(VALU_DEP_3) | instskip(SKIP_1) | instid1(VALU_DEP_1)
	v_frexp_exp_i32_f64_e32 v9, v[30:31]
	v_pk_add_f32 v[30:31], v[26:27], v[28:29] neg_lo:[0,1] neg_hi:[0,1]
	v_add_f32_e32 v28, 1.0, v31
	s_delay_alu instid0(VALU_DEP_3) | instskip(SKIP_1) | instid1(VALU_DEP_2)
	v_subrev_co_ci_u32_e64 v9, null, 0, v9, vcc_lo
	v_cmp_neq_f32_e32 vcc_lo, 0x7f800000, v26
	v_sub_nc_u32_e32 v24, 0, v9
	s_delay_alu instid0(VALU_DEP_1) | instskip(NEXT) | instid1(VALU_DEP_1)
	v_ldexp_f32 v27, v29, v24
	v_dual_add_f32 v31, 1.0, v27 :: v_dual_add_f32 v28, v30, v28
	s_delay_alu instid0(VALU_DEP_1) | instskip(SKIP_1) | instid1(VALU_DEP_3)
	v_add_f32_e32 v29, -1.0, v31
	v_add_f32_e32 v35, -1.0, v27
	v_ldexp_f32 v24, v28, v24
	s_delay_alu instid0(VALU_DEP_2) | instskip(NEXT) | instid1(VALU_DEP_1)
	v_dual_sub_f32 v28, v27, v29 :: v_dual_add_f32 v29, 1.0, v35
	v_add_f32_e32 v28, v24, v28
	s_delay_alu instid0(VALU_DEP_1) | instskip(NEXT) | instid1(VALU_DEP_1)
	v_add_f32_e32 v38, v31, v28
	v_dual_sub_f32 v27, v27, v29 :: v_dual_sub_f32 v31, v38, v31
	s_delay_alu instid0(VALU_DEP_1) | instskip(SKIP_1) | instid1(VALU_DEP_1)
	v_add_f32_e32 v24, v24, v27
	v_rcp_f32_e32 v27, v38
	v_add_f32_e32 v29, v35, v24
	s_delay_alu instid0(TRANS32_DEP_1) | instid1(VALU_DEP_1)
	v_mul_f32_e32 v39, v29, v27
	s_delay_alu instid0(VALU_DEP_1) | instskip(SKIP_1) | instid1(VALU_DEP_2)
	v_mul_f32_e32 v30, v38, v39
	v_sub_f32_e32 v40, v28, v31
	v_dual_sub_f32 v35, v29, v35 :: v_dual_fma_f32 v36, v39, v38, -v30
	s_delay_alu instid0(VALU_DEP_1) | instskip(NEXT) | instid1(VALU_DEP_1)
	v_dual_sub_f32 v24, v24, v35 :: v_dual_fmac_f32 v36, v39, v40
	v_add_f32_e32 v28, v30, v36
	s_delay_alu instid0(VALU_DEP_1) | instskip(NEXT) | instid1(VALU_DEP_1)
	v_dual_sub_f32 v31, v29, v28 :: v_dual_mov_b32 v37, v28
	v_pk_add_f32 v[28:29], v[28:29], v[30:31] neg_lo:[0,1] neg_hi:[0,1]
	s_delay_alu instid0(VALU_DEP_1) | instskip(NEXT) | instid1(VALU_DEP_1)
	v_pk_add_f32 v[28:29], v[28:29], v[36:37] neg_lo:[0,1] neg_hi:[0,1]
	v_add_f32_e32 v24, v24, v29
	s_delay_alu instid0(VALU_DEP_1) | instskip(NEXT) | instid1(VALU_DEP_1)
	v_add_f32_e32 v24, v28, v24
	v_add_f32_e32 v29, v31, v24
	s_delay_alu instid0(VALU_DEP_1) | instskip(NEXT) | instid1(VALU_DEP_1)
	v_mul_f32_e32 v35, v27, v29
	v_mul_f32_e32 v36, v38, v35
	s_delay_alu instid0(VALU_DEP_1) | instskip(NEXT) | instid1(VALU_DEP_1)
	v_fma_f32 v30, v35, v38, -v36
	v_fmac_f32_e32 v30, v35, v40
	s_delay_alu instid0(VALU_DEP_1) | instskip(NEXT) | instid1(VALU_DEP_1)
	v_dual_add_f32 v28, v36, v30 :: v_dual_sub_f32 v38, v31, v29
	v_dual_sub_f32 v37, v29, v28 :: v_dual_mov_b32 v31, v28
	s_delay_alu instid0(VALU_DEP_2) | instskip(NEXT) | instid1(VALU_DEP_2)
	v_dual_add_f32 v24, v24, v38 :: v_dual_add_f32 v38, v39, v35
	v_pk_add_f32 v[28:29], v[28:29], v[36:37] neg_lo:[0,1] neg_hi:[0,1]
	s_delay_alu instid0(VALU_DEP_1) | instskip(NEXT) | instid1(VALU_DEP_1)
	v_pk_add_f32 v[28:29], v[28:29], v[30:31] neg_lo:[0,1] neg_hi:[0,1]
	v_add_f32_e32 v24, v24, v29
	s_delay_alu instid0(VALU_DEP_1) | instskip(NEXT) | instid1(VALU_DEP_1)
	v_dual_add_f32 v24, v28, v24 :: v_dual_sub_f32 v28, v38, v39
	v_add_f32_e32 v24, v37, v24
	s_delay_alu instid0(VALU_DEP_2) | instskip(NEXT) | instid1(VALU_DEP_2)
	v_sub_f32_e32 v28, v35, v28
	v_mul_f32_e32 v24, v27, v24
	s_delay_alu instid0(VALU_DEP_1) | instskip(SKIP_1) | instid1(VALU_DEP_2)
	v_add_f32_e32 v24, v28, v24
	v_cvt_f32_i32_e32 v28, v9
	v_add_f32_e32 v27, v38, v24
	s_delay_alu instid0(VALU_DEP_1) | instskip(NEXT) | instid1(VALU_DEP_1)
	v_mul_f32_e32 v30, v27, v27
	v_fmaak_f32 v31, s26, v30, 0x3ecc95a3
	v_mul_f32_e32 v29, v27, v30
	s_delay_alu instid0(VALU_DEP_2) | instskip(NEXT) | instid1(VALU_DEP_1)
	v_fmaak_f32 v9, v30, v31, 0x3f2aaada
	v_pk_mul_f32 v[30:31], v[28:29], v[8:9]
	v_sub_f32_e32 v9, v27, v38
	s_delay_alu instid0(VALU_DEP_2) | instskip(NEXT) | instid1(VALU_DEP_2)
	v_fma_f32 v36, 0x3f317218, v28, -v30
	v_sub_f32_e32 v9, v24, v9
	v_ldexp_f32 v37, v27, 1
	v_mov_b32_e32 v38, v30
	s_delay_alu instid0(VALU_DEP_4) | instskip(NEXT) | instid1(VALU_DEP_4)
	v_fmac_f32_e32 v36, 0xb102e308, v28
	v_ldexp_f32 v9, v9, 1
	s_delay_alu instid0(VALU_DEP_2) | instskip(NEXT) | instid1(VALU_DEP_1)
	v_pk_add_f32 v[28:29], v[30:31], v[36:37]
	v_dual_sub_f32 v24, v29, v37 :: v_dual_mov_b32 v37, v28
	s_delay_alu instid0(VALU_DEP_1) | instskip(SKIP_1) | instid1(VALU_DEP_2)
	v_dual_mov_b32 v46, v29 :: v_dual_sub_f32 v24, v31, v24
	v_pk_add_f32 v[30:31], v[28:29], v[30:31] neg_lo:[0,1] neg_hi:[0,1]
	v_add_f32_e32 v39, v9, v24
	v_max_num_f32_e64 v9, |v23|, |v23|
	v_max_num_f32_e64 v24, |v22|, |v22|
	s_delay_alu instid0(VALU_DEP_1) | instskip(NEXT) | instid1(VALU_DEP_4)
	v_max_num_f32_e32 v27, v24, v9
	v_pk_add_f32 v[40:41], v[28:29], v[38:39]
	s_delay_alu instid0(VALU_DEP_2) | instskip(NEXT) | instid1(VALU_DEP_2)
	v_frexp_exp_i32_f32_e32 v35, v27
	v_mov_b32_e32 v31, v41
	v_frexp_mant_f32_e32 v27, v27
	s_delay_alu instid0(VALU_DEP_2) | instskip(SKIP_2) | instid1(VALU_DEP_4)
	v_pk_add_f32 v[42:43], v[36:37], v[30:31]
	v_min_num_f32_e32 v9, v24, v9
	v_pk_add_f32 v[30:31], v[36:37], v[30:31] neg_lo:[0,1] neg_hi:[0,1]
	v_rcp_f32_e32 v27, v27
	s_delay_alu instid0(VALU_DEP_3) | instskip(NEXT) | instid1(VALU_DEP_3)
	v_mov_b32_e32 v24, v43
	v_frexp_exp_i32_f32_e32 v38, v9
	v_frexp_mant_f32_e32 v48, v9
	v_mov_b32_e32 v31, v43
	s_delay_alu instid0(VALU_DEP_4) | instskip(NEXT) | instid1(VALU_DEP_4)
	v_pk_add_f32 v[44:45], v[24:25], v[28:29] neg_lo:[0,1] neg_hi:[0,1]
	v_dual_mov_b32 v42, v41 :: v_dual_sub_nc_u32 v35, v38, v35
	v_dual_mov_b32 v29, v28 :: v_dual_mov_b32 v28, v39
	s_delay_alu instid0(VALU_DEP_3) | instskip(NEXT) | instid1(VALU_DEP_1)
	v_dual_mov_b32 v47, v44 :: v_dual_mov_b32 v9, v44
	v_pk_add_f32 v[36:37], v[42:43], v[46:47] neg_lo:[0,1] neg_hi:[0,1]
	s_delay_alu instid0(VALU_DEP_2) | instskip(SKIP_1) | instid1(VALU_DEP_3)
	v_pk_add_f32 v[38:39], v[40:41], v[8:9] neg_lo:[0,1] neg_hi:[0,1]
	v_mov_b32_e32 v38, v30
	v_pk_add_f32 v[28:29], v[28:29], v[36:37] neg_lo:[0,1] neg_hi:[0,1]
	s_delay_alu instid0(VALU_DEP_1) | instskip(NEXT) | instid1(VALU_DEP_1)
	v_pk_add_f32 v[36:37], v[38:39], v[28:29]
	v_dual_mul_f32 v27, v48, v27 :: v_dual_mov_b32 v38, v37
	s_delay_alu instid0(VALU_DEP_1) | instskip(NEXT) | instid1(VALU_DEP_2)
	v_ldexp_f32 v9, v27, v35
	v_pk_add_f32 v[38:39], v[36:37], v[38:39]
	s_delay_alu instid0(VALU_DEP_2) | instskip(NEXT) | instid1(VALU_DEP_2)
	v_mul_f32_e32 v27, v9, v9
	v_pk_add_f32 v[40:41], v[24:25], v[38:39]
	s_delay_alu instid0(VALU_DEP_1) | instskip(NEXT) | instid1(VALU_DEP_1)
	v_mov_b32_e32 v37, v40
	v_pk_add_f32 v[42:43], v[36:37], v[30:31] neg_lo:[0,1] neg_hi:[0,1]
	s_delay_alu instid0(VALU_DEP_1) | instskip(NEXT) | instid1(VALU_DEP_1)
	v_sub_f32_e32 v31, v36, v42
	v_sub_f32_e32 v30, v30, v31
	v_fmaak_f32 v29, s27, v27, 0xbc7a590c
	s_delay_alu instid0(VALU_DEP_1) | instskip(NEXT) | instid1(VALU_DEP_1)
	v_fmaak_f32 v29, v27, v29, 0x3d29fb3f
	v_dual_fmaak_f32 v24, v27, v29, 0xbd97d4d7 :: v_dual_mov_b32 v29, v38
	s_delay_alu instid0(VALU_DEP_1) | instskip(NEXT) | instid1(VALU_DEP_2)
	v_fmaak_f32 v24, v27, v24, 0x3dd931b2
	v_pk_add_f32 v[28:29], v[28:29], v[42:43] neg_lo:[0,1] neg_hi:[0,1]
	s_delay_alu instid0(VALU_DEP_1) | instskip(NEXT) | instid1(VALU_DEP_3)
	v_add_f32_e32 v28, v28, v30
	v_fmaak_f32 v24, v27, v24, 0xbe1160e6
	s_delay_alu instid0(VALU_DEP_1) | instskip(NEXT) | instid1(VALU_DEP_1)
	v_fmaak_f32 v24, v27, v24, 0x3e4cb8bf
	v_fmaak_f32 v24, v27, v24, 0xbeaaaa62
	s_delay_alu instid0(VALU_DEP_1) | instskip(NEXT) | instid1(VALU_DEP_1)
	v_dual_mul_f32 v24, v27, v24 :: v_dual_add_f32 v27, v28, v29
	v_dual_fmac_f32 v9, v9, v24 :: v_dual_add_f32 v24, v40, v27
	s_delay_alu instid0(VALU_DEP_1) | instskip(NEXT) | instid1(VALU_DEP_2)
	v_sub_f32_e32 v27, 0x3fc90fdb, v9
	v_cndmask_b32_e32 v24, 0x7f800000, v24, vcc_lo
	v_cmp_gt_i32_e32 vcc_lo, 0, v22
	s_delay_alu instid0(VALU_DEP_3) | instskip(SKIP_2) | instid1(VALU_DEP_3)
	v_cndmask_b32_e64 v9, v9, v27, s4
	v_cndmask_b32_e64 v27, 0, 0x40490fdb, vcc_lo
	v_cmp_ngt_f32_e32 vcc_lo, -1.0, v26
	v_sub_f32_e32 v28, 0x40490fdb, v9
	v_cndmask_b32_e32 v24, 0x7fc00000, v24, vcc_lo
	v_cmp_gt_f32_e32 vcc_lo, 0, v22
	s_delay_alu instid0(VALU_DEP_2) | instskip(NEXT) | instid1(VALU_DEP_4)
	v_cndmask_b32_e64 v22, 0xff800000, v24, s5
	v_cndmask_b32_e32 v9, v9, v28, vcc_lo
	v_cndmask_b32_e32 v28, 0x3f490fdb, v32, vcc_lo
	v_cmp_gt_f32_e64 vcc_lo, 0x33800000, |v26|
	v_cmp_class_f32_e64 s5, v23, 0x204
	v_cndmask_b32_e32 v22, v22, v26, vcc_lo
	v_cmp_eq_f32_e32 vcc_lo, 0, v23
	s_delay_alu instid0(VALU_DEP_2) | instskip(SKIP_1) | instid1(VALU_DEP_1)
	v_dual_mul_f32 v24, 0.5, v22 :: v_dual_cndmask_b32 v9, v9, v27
	s_and_b32 vcc_lo, s5, s7
                                        ; implicit-def: $vgpr26_vgpr27
	v_cndmask_b32_e32 v35, v9, v28, vcc_lo
.LBB180_193:                            ;   in Loop: Header=BB180_145 Depth=1
	s_and_not1_saveexec_b32 s33, s6
	s_cbranch_execz .LBB180_201
; %bb.194:                              ;   in Loop: Header=BB180_145 Depth=1
	v_pk_mul_f32 v[28:29], v[26:27], v[26:27]
                                        ; implicit-def: $vgpr24
                                        ; implicit-def: $vgpr35
	s_mov_b32 s5, exec_lo
	s_delay_alu instid0(VALU_DEP_1) | instskip(NEXT) | instid1(VALU_DEP_1)
	v_add_f32_e32 v9, v29, v28
	v_cmpx_ge_f32_e32 0x3f333333, v9
	s_xor_b32 s6, exec_lo, s5
	s_cbranch_execz .LBB180_196
; %bb.195:                              ;   in Loop: Header=BB180_145 Depth=1
	v_max_num_f32_e64 v24, |v23|, |v23|
	v_max_num_f32_e64 v26, |v22|, |v22|
	v_cmp_gt_f32_e32 vcc_lo, 0x800000, v9
	v_cmp_gt_i32_e64 s5, 0, v22
	v_cmp_class_f32_e64 s7, v22, 0x204
	v_cmp_class_f32_e64 s8, v23, 0x204
	v_dual_max_num_f32 v27, v26, v24 :: v_dual_min_num_f32 v24, v26, v24
	v_cndmask_b32_e64 v29, 0, 0x41b17218, vcc_lo
	s_delay_alu instid0(VALU_DEP_2) | instskip(SKIP_1) | instid1(VALU_DEP_2)
	v_frexp_mant_f32_e32 v28, v27
	v_frexp_exp_i32_f32_e32 v26, v27
	v_rcp_f32_e32 v27, v28
	v_nop
	v_frexp_exp_i32_f32_e32 v28, v24
	v_frexp_mant_f32_e32 v24, v24
	s_delay_alu instid0(VALU_DEP_2)
	v_sub_nc_u32_e32 v26, v28, v26
	s_delay_alu instid0(TRANS32_DEP_1) | instid1(VALU_DEP_2)
	v_mul_f32_e32 v24, v24, v27
	v_cndmask_b32_e64 v28, 0, 32, vcc_lo
	s_delay_alu instid0(VALU_DEP_2) | instskip(NEXT) | instid1(VALU_DEP_2)
	v_ldexp_f32 v24, v24, v26
	v_ldexp_f32 v9, v9, v28
	s_delay_alu instid0(VALU_DEP_2) | instskip(NEXT) | instid1(VALU_DEP_2)
	v_mul_f32_e32 v26, v24, v24
	v_log_f32_e32 v9, v9
	s_delay_alu instid0(VALU_DEP_1) | instskip(NEXT) | instid1(TRANS32_DEP_1)
	v_fmaak_f32 v27, s27, v26, 0xbc7a590c
	v_cmp_gt_f32_e64 vcc_lo, 0x7f800000, |v9|
	s_delay_alu instid0(VALU_DEP_2) | instskip(NEXT) | instid1(VALU_DEP_1)
	v_fmaak_f32 v27, v26, v27, 0x3d29fb3f
	v_fmaak_f32 v27, v26, v27, 0xbd97d4d7
	s_delay_alu instid0(VALU_DEP_1) | instskip(NEXT) | instid1(VALU_DEP_1)
	v_fmaak_f32 v27, v26, v27, 0x3dd931b2
	v_fmaak_f32 v27, v26, v27, 0xbe1160e6
	s_delay_alu instid0(VALU_DEP_1) | instskip(NEXT) | instid1(VALU_DEP_1)
	;; [unrolled: 3-line block ×3, first 2 shown]
	v_dual_mul_f32 v26, v26, v27 :: v_dual_mul_f32 v27, 0x3f317217, v9
	v_fmac_f32_e32 v24, v24, v26
	s_delay_alu instid0(VALU_DEP_2) | instskip(NEXT) | instid1(VALU_DEP_2)
	v_fma_f32 v26, 0x3f317217, v9, -v27
	v_sub_f32_e32 v27, 0x3fc90fdb, v24
	s_delay_alu instid0(VALU_DEP_2) | instskip(NEXT) | instid1(VALU_DEP_2)
	v_fmac_f32_e32 v26, 0x3377d1cf, v9
	v_cndmask_b32_e64 v24, v24, v27, s4
	s_delay_alu instid0(VALU_DEP_2) | instskip(SKIP_2) | instid1(VALU_DEP_3)
	v_fmac_f32_e32 v26, 0x3f317217, v9
	v_cndmask_b32_e64 v27, 0, 0x40490fdb, s5
	v_cmp_eq_f32_e64 s5, 0, v23
	v_dual_sub_f32 v28, 0x40490fdb, v24 :: v_dual_cndmask_b32 v9, v9, v26
	v_cmp_gt_f32_e32 vcc_lo, 0, v22
	s_delay_alu instid0(VALU_DEP_2) | instskip(SKIP_2) | instid1(VALU_DEP_2)
	v_dual_cndmask_b32 v24, v24, v28 :: v_dual_sub_f32 v9, v9, v29
	v_cndmask_b32_e32 v26, 0x3f490fdb, v32, vcc_lo
	s_and_b32 vcc_lo, s8, s7
	v_dual_cndmask_b32 v22, v24, v27, s5 :: v_dual_mul_f32 v24, 0.5, v9
	s_delay_alu instid0(VALU_DEP_1)
	v_cndmask_b32_e32 v35, v22, v26, vcc_lo
                                        ; implicit-def: $vgpr26
.LBB180_196:                            ;   in Loop: Header=BB180_145 Depth=1
	s_and_not1_saveexec_b32 s34, s6
	s_cbranch_execz .LBB180_200
; %bb.197:                              ;   in Loop: Header=BB180_145 Depth=1
	v_and_b32_e32 v29, 0x7fff0000, v26
	v_and_b32_e32 v28, 0x7fff0000, v27
	s_mov_b32 s35, 0
	s_delay_alu instid0(VALU_DEP_1) | instskip(SKIP_2) | instid1(VALU_DEP_2)
	v_dual_add_f32 v37, v29, v29 :: v_dual_add_f32 v24, v28, v28
	v_pk_add_f32 v[30:31], v[26:27], v[28:29] op_sel:[1,0] op_sel_hi:[0,1] neg_lo:[0,1] neg_hi:[0,1]
	v_pk_mul_f32 v[26:27], v[28:29], v[28:29]
	v_and_b32_e32 v39, 0xffff0000, v31
	s_delay_alu instid0(VALU_DEP_3) | instskip(NEXT) | instid1(VALU_DEP_1)
	v_and_b32_e32 v38, 0xffff0000, v30
	v_dual_add_f32 v41, v39, v39 :: v_dual_add_f32 v40, v38, v38
	v_pk_add_f32 v[28:29], v[30:31], v[38:39] neg_lo:[0,1] neg_hi:[0,1]
	v_dual_mul_f32 v9, v24, v38 :: v_dual_mul_f32 v36, v37, v39
	v_pk_mul_f32 v[30:31], v[38:39], v[38:39]
	s_delay_alu instid0(VALU_DEP_3)
	v_dual_mul_f32 v35, v24, v28 :: v_dual_mul_f32 v38, v37, v29
	v_dual_mul_f32 v24, v40, v28 :: v_dual_mul_f32 v37, v41, v29
	v_pk_mul_f32 v[28:29], v[28:29], v[28:29]
.LBB180_198:                            ;   Parent Loop BB180_145 Depth=1
                                        ; =>  This Inner Loop Header: Depth=2
	v_cmp_nlt_f32_e32 vcc_lo, v26, v27
	v_dual_cndmask_b32 v39, v26, v27 :: v_dual_cndmask_b32 v26, v27, v26
	s_delay_alu instid0(VALU_DEP_1) | instskip(NEXT) | instid1(VALU_DEP_1)
	v_cmp_nlt_f32_e64 s5, v39, v9
	v_dual_cndmask_b32 v40, v39, v9, s5 :: v_dual_cndmask_b32 v27, v9, v39, s5
	s_and_b32 s5, vcc_lo, s5
	s_delay_alu instid0(VALU_DEP_1) | instskip(NEXT) | instid1(VALU_DEP_1)
	v_cmp_nlt_f32_e64 s6, v40, v36
	v_cndmask_b32_e64 v41, v40, v36, s6
	v_cndmask_b32_e64 v9, v36, v40, s6
	s_delay_alu instid0(VALU_DEP_2) | instskip(NEXT) | instid1(VALU_DEP_1)
	v_cmp_nlt_f32_e64 s7, v41, v30
	v_cndmask_b32_e64 v39, v41, v30, s7
	s_and_b32 s36, s6, s7
	s_delay_alu instid0(VALU_DEP_1) | instskip(NEXT) | instid1(VALU_DEP_1)
	v_cmp_nlt_f32_e64 s8, v39, v31
	v_dual_cndmask_b32 v40, v39, v31, s8 :: v_dual_cndmask_b32 v36, v30, v41, s7
	v_cndmask_b32_e64 v30, v31, v39, s8
	s_delay_alu instid0(VALU_DEP_2) | instskip(NEXT) | instid1(VALU_DEP_1)
	v_cmp_nlt_f32_e64 s9, v40, v35
	v_cndmask_b32_e64 v42, v40, v35, s9
	s_and_b32 s8, s8, s9
	s_delay_alu instid0(VALU_DEP_1) | instskip(NEXT) | instid1(VALU_DEP_1)
	v_cmp_nlt_f32_e64 s10, v42, v38
	v_cndmask_b32_e64 v43, v42, v38, s10
	s_and_b32 s8, s8, s10
	s_delay_alu instid0(VALU_DEP_1) | instskip(NEXT) | instid1(VALU_DEP_1)
	v_cmp_nlt_f32_e64 s11, v43, v24
	v_cndmask_b32_e64 v41, v43, v24, s11
	v_dual_cndmask_b32 v31, v35, v40, s9 :: v_dual_cndmask_b32 v35, v38, v42, s10
	s_and_b32 s9, s8, s11
	v_cndmask_b32_e64 v38, v24, v43, s11
	s_delay_alu instid0(VALU_DEP_3) | instskip(NEXT) | instid1(VALU_DEP_1)
	v_cmp_nlt_f32_e64 s6, v41, v37
	v_cndmask_b32_e64 v39, v41, v37, s6
	v_cndmask_b32_e64 v24, v37, v41, s6
	s_and_b32 s6, s9, s6
	s_delay_alu instid0(VALU_DEP_2) | instskip(NEXT) | instid1(VALU_DEP_1)
	v_cmp_nlt_f32_e64 s7, v39, v28
	v_dual_cndmask_b32 v40, v39, v28, s7 :: v_dual_cndmask_b32 v37, v28, v39, s7
	s_and_b32 s6, s6, s7
	s_delay_alu instid0(VALU_DEP_1) | instskip(SKIP_3) | instid1(SALU_CYCLE_1)
	v_cmp_nlt_f32_e64 s8, v40, v29
	s_and_b32 s6, s6, s8
	v_dual_cndmask_b32 v28, v29, v40, s8 :: v_dual_cndmask_b32 v29, v40, v29, s8
	s_and_b32 s6, s6, s36
	s_and_b32 s5, s6, s5
	s_delay_alu instid0(SALU_CYCLE_1) | instskip(NEXT) | instid1(SALU_CYCLE_1)
	s_and_b32 s5, exec_lo, s5
	s_or_b32 s35, s5, s35
	s_delay_alu instid0(SALU_CYCLE_1)
	s_and_not1_b32 exec_lo, exec_lo, s35
	s_cbranch_execnz .LBB180_198
; %bb.199:                              ;   in Loop: Header=BB180_145 Depth=1
	s_or_b32 exec_lo, exec_lo, s35
	v_add_f32_e32 v26, -1.0, v26
	v_cmp_class_f32_e64 s6, v22, 0x204
	s_delay_alu instid0(VALU_DEP_2) | instskip(NEXT) | instid1(VALU_DEP_1)
	v_add_f32_e32 v26, v26, v27
	v_add_f32_e32 v9, v26, v9
	s_delay_alu instid0(VALU_DEP_1) | instskip(NEXT) | instid1(VALU_DEP_1)
	v_add_f32_e32 v9, v9, v36
	v_add_f32_e32 v9, v9, v30
	s_delay_alu instid0(VALU_DEP_1) | instskip(NEXT) | instid1(VALU_DEP_1)
	;; [unrolled: 3-line block ×5, first 2 shown]
	v_add_f32_e32 v26, v29, v9
	v_add_f32_e32 v29, 1.0, v26
	s_delay_alu instid0(VALU_DEP_1) | instskip(SKIP_2) | instid1(VALU_DEP_2)
	v_cvt_f64_f32_e32 v[30:31], v29
	v_frexp_mant_f32_e32 v24, v29
	v_add_f32_e32 v27, -1.0, v29
	v_cmp_gt_f32_e32 vcc_lo, 0x3f2aaaab, v24
	s_delay_alu instid0(VALU_DEP_2) | instskip(SKIP_1) | instid1(VALU_DEP_1)
	v_mov_b32_e32 v28, v27
	v_frexp_exp_i32_f64_e32 v9, v[30:31]
	v_subrev_co_ci_u32_e64 v9, null, 0, v9, vcc_lo
	s_delay_alu instid0(VALU_DEP_1) | instskip(NEXT) | instid1(VALU_DEP_4)
	v_sub_nc_u32_e32 v24, 0, v9
	v_pk_add_f32 v[30:31], v[26:27], v[28:29] neg_lo:[0,1] neg_hi:[0,1]
	v_cmp_neq_f32_e32 vcc_lo, 0x7f800000, v26
	v_cmp_neq_f32_e64 s5, -1.0, v26
	s_delay_alu instid0(VALU_DEP_4) | instskip(NEXT) | instid1(VALU_DEP_4)
	v_ldexp_f32 v27, v29, v24
	v_add_f32_e32 v28, 1.0, v31
	s_delay_alu instid0(VALU_DEP_1) | instskip(NEXT) | instid1(VALU_DEP_1)
	v_dual_add_f32 v31, 1.0, v27 :: v_dual_add_f32 v28, v30, v28
	v_add_f32_e32 v29, -1.0, v31
	v_add_f32_e32 v35, -1.0, v27
	s_delay_alu instid0(VALU_DEP_3) | instskip(NEXT) | instid1(VALU_DEP_2)
	v_ldexp_f32 v24, v28, v24
	v_dual_sub_f32 v28, v27, v29 :: v_dual_add_f32 v29, 1.0, v35
	s_delay_alu instid0(VALU_DEP_1) | instskip(NEXT) | instid1(VALU_DEP_1)
	v_add_f32_e32 v28, v24, v28
	v_add_f32_e32 v38, v31, v28
	s_delay_alu instid0(VALU_DEP_1) | instskip(NEXT) | instid1(VALU_DEP_1)
	v_dual_sub_f32 v27, v27, v29 :: v_dual_sub_f32 v31, v38, v31
	v_add_f32_e32 v24, v24, v27
	v_rcp_f32_e32 v27, v38
	s_delay_alu instid0(VALU_DEP_1)
	v_add_f32_e32 v29, v35, v24
	s_delay_alu instid0(TRANS32_DEP_1) | instid1(VALU_DEP_1)
	v_mul_f32_e32 v39, v29, v27
	s_delay_alu instid0(VALU_DEP_1) | instskip(SKIP_1) | instid1(VALU_DEP_2)
	v_mul_f32_e32 v30, v38, v39
	v_sub_f32_e32 v40, v28, v31
	v_dual_sub_f32 v35, v29, v35 :: v_dual_fma_f32 v36, v39, v38, -v30
	s_delay_alu instid0(VALU_DEP_1) | instskip(NEXT) | instid1(VALU_DEP_1)
	v_dual_sub_f32 v24, v24, v35 :: v_dual_fmac_f32 v36, v39, v40
	v_add_f32_e32 v28, v30, v36
	s_delay_alu instid0(VALU_DEP_1) | instskip(NEXT) | instid1(VALU_DEP_1)
	v_dual_sub_f32 v31, v29, v28 :: v_dual_mov_b32 v37, v28
	v_pk_add_f32 v[28:29], v[28:29], v[30:31] neg_lo:[0,1] neg_hi:[0,1]
	s_delay_alu instid0(VALU_DEP_1) | instskip(NEXT) | instid1(VALU_DEP_1)
	v_pk_add_f32 v[28:29], v[28:29], v[36:37] neg_lo:[0,1] neg_hi:[0,1]
	v_add_f32_e32 v24, v24, v29
	s_delay_alu instid0(VALU_DEP_1) | instskip(NEXT) | instid1(VALU_DEP_1)
	v_add_f32_e32 v24, v28, v24
	v_add_f32_e32 v29, v31, v24
	s_delay_alu instid0(VALU_DEP_1) | instskip(NEXT) | instid1(VALU_DEP_1)
	v_mul_f32_e32 v35, v27, v29
	v_mul_f32_e32 v36, v38, v35
	s_delay_alu instid0(VALU_DEP_1) | instskip(NEXT) | instid1(VALU_DEP_1)
	v_fma_f32 v30, v35, v38, -v36
	v_fmac_f32_e32 v30, v35, v40
	s_delay_alu instid0(VALU_DEP_1) | instskip(NEXT) | instid1(VALU_DEP_1)
	v_dual_add_f32 v28, v36, v30 :: v_dual_sub_f32 v38, v31, v29
	v_dual_sub_f32 v37, v29, v28 :: v_dual_mov_b32 v31, v28
	s_delay_alu instid0(VALU_DEP_2) | instskip(NEXT) | instid1(VALU_DEP_2)
	v_dual_add_f32 v24, v24, v38 :: v_dual_add_f32 v38, v39, v35
	v_pk_add_f32 v[28:29], v[28:29], v[36:37] neg_lo:[0,1] neg_hi:[0,1]
	s_delay_alu instid0(VALU_DEP_1) | instskip(NEXT) | instid1(VALU_DEP_1)
	v_pk_add_f32 v[28:29], v[28:29], v[30:31] neg_lo:[0,1] neg_hi:[0,1]
	v_add_f32_e32 v24, v24, v29
	s_delay_alu instid0(VALU_DEP_1) | instskip(NEXT) | instid1(VALU_DEP_1)
	v_dual_add_f32 v24, v28, v24 :: v_dual_sub_f32 v28, v38, v39
	v_add_f32_e32 v24, v37, v24
	s_delay_alu instid0(VALU_DEP_2) | instskip(NEXT) | instid1(VALU_DEP_2)
	v_sub_f32_e32 v28, v35, v28
	v_mul_f32_e32 v24, v27, v24
	s_delay_alu instid0(VALU_DEP_1) | instskip(SKIP_1) | instid1(VALU_DEP_2)
	v_add_f32_e32 v24, v28, v24
	v_cvt_f32_i32_e32 v28, v9
	v_add_f32_e32 v27, v38, v24
	s_delay_alu instid0(VALU_DEP_1) | instskip(NEXT) | instid1(VALU_DEP_1)
	v_mul_f32_e32 v30, v27, v27
	v_fmaak_f32 v31, s26, v30, 0x3ecc95a3
	v_mul_f32_e32 v29, v27, v30
	s_delay_alu instid0(VALU_DEP_2) | instskip(NEXT) | instid1(VALU_DEP_1)
	v_fmaak_f32 v9, v30, v31, 0x3f2aaada
	v_pk_mul_f32 v[30:31], v[28:29], v[8:9]
	v_sub_f32_e32 v9, v27, v38
	s_delay_alu instid0(VALU_DEP_2) | instskip(NEXT) | instid1(VALU_DEP_2)
	v_fma_f32 v36, 0x3f317218, v28, -v30
	v_sub_f32_e32 v9, v24, v9
	v_ldexp_f32 v37, v27, 1
	v_mov_b32_e32 v38, v30
	s_delay_alu instid0(VALU_DEP_4) | instskip(NEXT) | instid1(VALU_DEP_4)
	v_fmac_f32_e32 v36, 0xb102e308, v28
	v_ldexp_f32 v9, v9, 1
	s_delay_alu instid0(VALU_DEP_2) | instskip(NEXT) | instid1(VALU_DEP_1)
	v_pk_add_f32 v[28:29], v[30:31], v[36:37]
	v_dual_sub_f32 v24, v29, v37 :: v_dual_mov_b32 v37, v28
	s_delay_alu instid0(VALU_DEP_1) | instskip(SKIP_1) | instid1(VALU_DEP_2)
	v_dual_mov_b32 v46, v29 :: v_dual_sub_f32 v24, v31, v24
	v_pk_add_f32 v[30:31], v[28:29], v[30:31] neg_lo:[0,1] neg_hi:[0,1]
	v_add_f32_e32 v39, v9, v24
	v_max_num_f32_e64 v9, |v23|, |v23|
	v_max_num_f32_e64 v24, |v22|, |v22|
	s_delay_alu instid0(VALU_DEP_1) | instskip(NEXT) | instid1(VALU_DEP_4)
	v_max_num_f32_e32 v27, v24, v9
	v_pk_add_f32 v[40:41], v[28:29], v[38:39]
	s_delay_alu instid0(VALU_DEP_2) | instskip(NEXT) | instid1(VALU_DEP_2)
	v_frexp_exp_i32_f32_e32 v35, v27
	v_mov_b32_e32 v31, v41
	v_frexp_mant_f32_e32 v27, v27
	s_delay_alu instid0(VALU_DEP_2) | instskip(SKIP_2) | instid1(VALU_DEP_4)
	v_pk_add_f32 v[42:43], v[36:37], v[30:31]
	v_min_num_f32_e32 v9, v24, v9
	v_pk_add_f32 v[30:31], v[36:37], v[30:31] neg_lo:[0,1] neg_hi:[0,1]
	v_rcp_f32_e32 v27, v27
	s_delay_alu instid0(VALU_DEP_3) | instskip(NEXT) | instid1(VALU_DEP_3)
	v_mov_b32_e32 v24, v43
	v_frexp_exp_i32_f32_e32 v38, v9
	v_frexp_mant_f32_e32 v48, v9
	v_mov_b32_e32 v31, v43
	s_delay_alu instid0(VALU_DEP_4) | instskip(NEXT) | instid1(VALU_DEP_4)
	v_pk_add_f32 v[44:45], v[24:25], v[28:29] neg_lo:[0,1] neg_hi:[0,1]
	v_dual_mov_b32 v42, v41 :: v_dual_sub_nc_u32 v35, v38, v35
	v_dual_mov_b32 v29, v28 :: v_dual_mov_b32 v28, v39
	s_delay_alu instid0(VALU_DEP_3) | instskip(NEXT) | instid1(VALU_DEP_1)
	v_dual_mov_b32 v47, v44 :: v_dual_mov_b32 v9, v44
	v_pk_add_f32 v[36:37], v[42:43], v[46:47] neg_lo:[0,1] neg_hi:[0,1]
	s_delay_alu instid0(VALU_DEP_2) | instskip(SKIP_1) | instid1(VALU_DEP_3)
	v_pk_add_f32 v[38:39], v[40:41], v[8:9] neg_lo:[0,1] neg_hi:[0,1]
	v_mov_b32_e32 v38, v30
	v_pk_add_f32 v[28:29], v[28:29], v[36:37] neg_lo:[0,1] neg_hi:[0,1]
	s_delay_alu instid0(VALU_DEP_1) | instskip(NEXT) | instid1(VALU_DEP_1)
	v_pk_add_f32 v[36:37], v[38:39], v[28:29]
	v_dual_mul_f32 v27, v48, v27 :: v_dual_mov_b32 v38, v37
	s_delay_alu instid0(VALU_DEP_1) | instskip(NEXT) | instid1(VALU_DEP_2)
	v_ldexp_f32 v9, v27, v35
	v_pk_add_f32 v[38:39], v[36:37], v[38:39]
	s_delay_alu instid0(VALU_DEP_2) | instskip(NEXT) | instid1(VALU_DEP_2)
	v_mul_f32_e32 v27, v9, v9
	v_pk_add_f32 v[40:41], v[24:25], v[38:39]
	s_delay_alu instid0(VALU_DEP_1) | instskip(NEXT) | instid1(VALU_DEP_1)
	v_mov_b32_e32 v37, v40
	v_pk_add_f32 v[42:43], v[36:37], v[30:31] neg_lo:[0,1] neg_hi:[0,1]
	s_delay_alu instid0(VALU_DEP_1) | instskip(NEXT) | instid1(VALU_DEP_1)
	v_sub_f32_e32 v31, v36, v42
	v_sub_f32_e32 v30, v30, v31
	v_fmaak_f32 v29, s27, v27, 0xbc7a590c
	s_delay_alu instid0(VALU_DEP_1) | instskip(NEXT) | instid1(VALU_DEP_1)
	v_fmaak_f32 v29, v27, v29, 0x3d29fb3f
	v_dual_fmaak_f32 v24, v27, v29, 0xbd97d4d7 :: v_dual_mov_b32 v29, v38
	s_delay_alu instid0(VALU_DEP_1) | instskip(NEXT) | instid1(VALU_DEP_2)
	v_fmaak_f32 v24, v27, v24, 0x3dd931b2
	v_pk_add_f32 v[28:29], v[28:29], v[42:43] neg_lo:[0,1] neg_hi:[0,1]
	s_delay_alu instid0(VALU_DEP_1) | instskip(NEXT) | instid1(VALU_DEP_3)
	v_add_f32_e32 v28, v28, v30
	v_fmaak_f32 v24, v27, v24, 0xbe1160e6
	s_delay_alu instid0(VALU_DEP_1) | instskip(NEXT) | instid1(VALU_DEP_1)
	v_fmaak_f32 v24, v27, v24, 0x3e4cb8bf
	v_fmaak_f32 v24, v27, v24, 0xbeaaaa62
	s_delay_alu instid0(VALU_DEP_1) | instskip(NEXT) | instid1(VALU_DEP_1)
	v_dual_mul_f32 v24, v27, v24 :: v_dual_add_f32 v27, v28, v29
	v_dual_fmac_f32 v9, v9, v24 :: v_dual_add_f32 v24, v40, v27
	s_delay_alu instid0(VALU_DEP_1) | instskip(NEXT) | instid1(VALU_DEP_2)
	v_sub_f32_e32 v27, 0x3fc90fdb, v9
	v_cndmask_b32_e32 v24, 0x7f800000, v24, vcc_lo
	v_cmp_gt_i32_e32 vcc_lo, 0, v22
	s_delay_alu instid0(VALU_DEP_3) | instskip(SKIP_2) | instid1(VALU_DEP_3)
	v_cndmask_b32_e64 v9, v9, v27, s4
	v_cndmask_b32_e64 v27, 0, 0x40490fdb, vcc_lo
	v_cmp_ngt_f32_e32 vcc_lo, -1.0, v26
	v_sub_f32_e32 v28, 0x40490fdb, v9
	v_cndmask_b32_e32 v24, 0x7fc00000, v24, vcc_lo
	v_cmp_gt_f32_e32 vcc_lo, 0, v22
	s_delay_alu instid0(VALU_DEP_2) | instskip(NEXT) | instid1(VALU_DEP_4)
	v_cndmask_b32_e64 v22, 0xff800000, v24, s5
	v_cndmask_b32_e32 v9, v9, v28, vcc_lo
	v_cndmask_b32_e32 v28, 0x3f490fdb, v32, vcc_lo
	v_cmp_gt_f32_e64 vcc_lo, 0x33800000, |v26|
	v_cmp_class_f32_e64 s5, v23, 0x204
	v_cndmask_b32_e32 v22, v22, v26, vcc_lo
	v_cmp_eq_f32_e32 vcc_lo, 0, v23
	s_delay_alu instid0(VALU_DEP_2) | instskip(SKIP_1) | instid1(VALU_DEP_1)
	v_dual_mul_f32 v24, 0.5, v22 :: v_dual_cndmask_b32 v9, v9, v27
	s_and_b32 vcc_lo, s5, s6
	v_cndmask_b32_e32 v35, v9, v28, vcc_lo
.LBB180_200:                            ;   in Loop: Header=BB180_145 Depth=1
	s_or_b32 exec_lo, exec_lo, s34
.LBB180_201:                            ;   in Loop: Header=BB180_145 Depth=1
	s_delay_alu instid0(SALU_CYCLE_1)
	s_or_b32 exec_lo, exec_lo, s33
.LBB180_202:                            ;   in Loop: Header=BB180_145 Depth=1
	s_and_not1_saveexec_b32 s6, s31
	s_cbranch_execz .LBB180_204
; %bb.203:                              ;   in Loop: Header=BB180_145 Depth=1
	v_max_num_f32_e64 v9, |v23|, |v23|
	v_max_num_f32_e64 v24, |v22|, |v22|
	v_cmp_gt_i32_e64 s5, 0, v22
	v_cmp_class_f32_e64 s7, v22, 0x204
	v_cmp_class_f32_e64 s8, v23, 0x204
	s_delay_alu instid0(VALU_DEP_4) | instskip(NEXT) | instid1(VALU_DEP_1)
	v_dual_max_num_f32 v28, v24, v9 :: v_dual_min_num_f32 v9, v24, v9
	v_cvt_f64_f32_e32 v[26:27], v28
	v_frexp_exp_i32_f32_e32 v24, v28
	s_delay_alu instid0(VALU_DEP_3) | instskip(SKIP_2) | instid1(VALU_DEP_3)
	v_frexp_exp_i32_f32_e32 v29, v9
	v_frexp_mant_f32_e32 v9, v9
	v_cmp_neq_f32_e32 vcc_lo, 0x7f800000, v28
	v_sub_nc_u32_e32 v24, v29, v24
	v_frexp_exp_i32_f64_e32 v26, v[26:27]
	v_frexp_mant_f32_e32 v27, v28
	s_delay_alu instid0(VALU_DEP_1) | instskip(SKIP_1) | instid1(TRANS32_DEP_1)
	v_rcp_f32_e32 v27, v27
	v_nop
	v_mul_f32_e32 v9, v9, v27
	s_delay_alu instid0(VALU_DEP_1) | instskip(SKIP_1) | instid1(VALU_DEP_1)
	v_ldexp_f32 v9, v9, v24
	v_sub_nc_u32_e32 v24, 0, v26
	v_ldexp_f32 v29, |v23|, v24
	v_ldexp_f32 v24, |v22|, v24
	s_delay_alu instid0(VALU_DEP_2) | instskip(NEXT) | instid1(VALU_DEP_1)
	v_mul_f32_e32 v29, v29, v29
	v_dual_mul_f32 v27, v9, v9 :: v_dual_fmac_f32 v29, v24, v24
	s_delay_alu instid0(VALU_DEP_1) | instskip(NEXT) | instid1(VALU_DEP_2)
	v_fmaak_f32 v30, s27, v27, 0xbc7a590c
	v_sqrt_f32_e32 v29, v29
	s_delay_alu instid0(VALU_DEP_1) | instskip(NEXT) | instid1(VALU_DEP_1)
	v_fmaak_f32 v30, v27, v30, 0x3d29fb3f
	v_fmaak_f32 v24, v27, v30, 0xbd97d4d7
	s_delay_alu instid0(TRANS32_DEP_1) | instskip(NEXT) | instid1(VALU_DEP_2)
	v_ldexp_f32 v26, v29, v26
	v_fmaak_f32 v24, v27, v24, 0x3dd931b2
	s_delay_alu instid0(VALU_DEP_2) | instskip(NEXT) | instid1(VALU_DEP_2)
	v_cndmask_b32_e32 v26, 0x7f800000, v26, vcc_lo
	v_fmaak_f32 v24, v27, v24, 0xbe1160e6
	s_delay_alu instid0(VALU_DEP_2) | instskip(NEXT) | instid1(VALU_DEP_2)
	v_cmp_gt_f32_e32 vcc_lo, 0x800000, v26
	v_fmaak_f32 v24, v27, v24, 0x3e4cb8bf
	v_cndmask_b32_e64 v28, 0, 32, vcc_lo
	s_delay_alu instid0(VALU_DEP_2) | instskip(NEXT) | instid1(VALU_DEP_2)
	v_fmaak_f32 v24, v27, v24, 0xbeaaaa62
	v_ldexp_f32 v26, v26, v28
	s_delay_alu instid0(VALU_DEP_2) | instskip(NEXT) | instid1(VALU_DEP_2)
	v_mul_f32_e32 v24, v27, v24
	v_log_f32_e32 v26, v26
	v_nop
	s_delay_alu instid0(TRANS32_DEP_1) | instskip(NEXT) | instid1(VALU_DEP_1)
	v_dual_fmac_f32 v9, v9, v24 :: v_dual_mul_f32 v24, 0x3f317217, v26
	v_sub_f32_e32 v27, 0x3fc90fdb, v9
	s_delay_alu instid0(VALU_DEP_2) | instskip(NEXT) | instid1(VALU_DEP_1)
	v_fma_f32 v24, 0x3f317217, v26, -v24
	v_fmac_f32_e32 v24, 0x3377d1cf, v26
	s_delay_alu instid0(VALU_DEP_1) | instskip(NEXT) | instid1(VALU_DEP_4)
	v_fmac_f32_e32 v24, 0x3f317217, v26
	v_cndmask_b32_e64 v9, v9, v27, s4
	v_cndmask_b32_e64 v27, 0, 0x40490fdb, s5
	v_cmp_gt_f32_e64 s5, 0, v22
	s_delay_alu instid0(VALU_DEP_3) | instskip(NEXT) | instid1(VALU_DEP_2)
	v_sub_f32_e32 v28, 0x40490fdb, v9
	v_cndmask_b32_e64 v22, 0x3f490fdb, v32, s5
	s_delay_alu instid0(VALU_DEP_2) | instskip(SKIP_4) | instid1(VALU_DEP_2)
	v_cndmask_b32_e64 v9, v9, v28, s5
	v_cndmask_b32_e64 v28, 0, 0x41b17218, vcc_lo
	v_cmp_gt_f32_e64 vcc_lo, 0x7f800000, |v26|
	v_cndmask_b32_e32 v24, v26, v24, vcc_lo
	v_cmp_eq_f32_e32 vcc_lo, 0, v23
	v_dual_sub_f32 v24, v24, v28 :: v_dual_cndmask_b32 v9, v9, v27
	s_and_b32 vcc_lo, s8, s7
	s_delay_alu instid0(VALU_DEP_1)
	v_cndmask_b32_e32 v35, v9, v22, vcc_lo
.LBB180_204:                            ;   in Loop: Header=BB180_145 Depth=1
	s_or_b32 exec_lo, exec_lo, s6
                                        ; implicit-def: $vgpr26
.LBB180_205:                            ;   in Loop: Header=BB180_145 Depth=1
	s_and_not1_saveexec_b32 s6, s30
	s_cbranch_execz .LBB180_211
; %bb.206:                              ;   in Loop: Header=BB180_145 Depth=1
                                        ; implicit-def: $vgpr24
                                        ; implicit-def: $vgpr35
	s_mov_b32 s5, exec_lo
	v_cmpx_ngt_f32_e32 0x1fec1e4a, v26
	s_xor_b32 s7, exec_lo, s5
	s_cbranch_execz .LBB180_208
; %bb.207:                              ;   in Loop: Header=BB180_145 Depth=1
	v_pk_mul_f32 v[26:27], v[26:27], v[26:27]
	v_cmp_class_f32_e64 s8, v22, 0x204
	s_delay_alu instid0(VALU_DEP_2) | instskip(SKIP_1) | instid1(VALU_DEP_2)
	v_add_f32_e32 v29, 1.0, v26
	v_cmp_neq_f32_e64 s5, 0x7f800000, v26
	v_add_f32_e32 v27, -1.0, v29
	s_delay_alu instid0(VALU_DEP_1) | instskip(SKIP_2) | instid1(VALU_DEP_1)
	v_mov_b32_e32 v28, v27
	v_cvt_f64_f32_e32 v[30:31], v29
	v_frexp_mant_f32_e32 v24, v29
	v_cmp_gt_f32_e32 vcc_lo, 0x3f2aaaab, v24
	s_delay_alu instid0(VALU_DEP_3) | instskip(SKIP_1) | instid1(VALU_DEP_1)
	v_frexp_exp_i32_f64_e32 v9, v[30:31]
	v_pk_add_f32 v[30:31], v[26:27], v[28:29] neg_lo:[0,1] neg_hi:[0,1]
	v_add_f32_e32 v28, 1.0, v31
	s_delay_alu instid0(VALU_DEP_3) | instskip(SKIP_1) | instid1(VALU_DEP_2)
	v_subrev_co_ci_u32_e64 v9, null, 0, v9, vcc_lo
	v_cmp_gt_i32_e32 vcc_lo, 0, v22
	v_sub_nc_u32_e32 v24, 0, v9
	s_delay_alu instid0(VALU_DEP_1) | instskip(NEXT) | instid1(VALU_DEP_1)
	v_ldexp_f32 v27, v29, v24
	v_dual_add_f32 v31, 1.0, v27 :: v_dual_add_f32 v28, v30, v28
	s_delay_alu instid0(VALU_DEP_1) | instskip(SKIP_1) | instid1(VALU_DEP_3)
	v_add_f32_e32 v29, -1.0, v31
	v_add_f32_e32 v35, -1.0, v27
	v_ldexp_f32 v24, v28, v24
	s_delay_alu instid0(VALU_DEP_2) | instskip(NEXT) | instid1(VALU_DEP_1)
	v_dual_sub_f32 v28, v27, v29 :: v_dual_add_f32 v29, 1.0, v35
	v_add_f32_e32 v28, v24, v28
	s_delay_alu instid0(VALU_DEP_1) | instskip(NEXT) | instid1(VALU_DEP_3)
	v_add_f32_e32 v38, v31, v28
	v_sub_f32_e32 v27, v27, v29
	s_delay_alu instid0(VALU_DEP_1) | instskip(NEXT) | instid1(VALU_DEP_3)
	v_add_f32_e32 v24, v24, v27
	v_rcp_f32_e32 v27, v38
	v_sub_f32_e32 v31, v31, v38
	s_delay_alu instid0(VALU_DEP_1)
	v_dual_add_f32 v29, v35, v24 :: v_dual_add_f32 v40, v28, v31
	s_delay_alu instid0(TRANS32_DEP_1) | instid1(VALU_DEP_1)
	v_dual_mul_f32 v39, v29, v27 :: v_dual_sub_f32 v35, v35, v29
	s_delay_alu instid0(VALU_DEP_1) | instskip(NEXT) | instid1(VALU_DEP_1)
	v_mul_f32_e32 v30, v38, v39
	v_dual_add_f32 v24, v24, v35 :: v_dual_fma_f32 v36, v39, v38, -v30
	s_delay_alu instid0(VALU_DEP_1) | instskip(NEXT) | instid1(VALU_DEP_1)
	v_fmac_f32_e32 v36, v39, v40
	v_add_f32_e32 v28, v30, v36
	s_delay_alu instid0(VALU_DEP_1) | instskip(NEXT) | instid1(VALU_DEP_1)
	v_dual_sub_f32 v31, v29, v28 :: v_dual_mov_b32 v37, v28
	v_pk_add_f32 v[28:29], v[28:29], v[30:31] neg_lo:[0,1] neg_hi:[0,1]
	s_delay_alu instid0(VALU_DEP_1) | instskip(NEXT) | instid1(VALU_DEP_1)
	v_pk_add_f32 v[28:29], v[28:29], v[36:37] neg_lo:[0,1] neg_hi:[0,1]
	v_add_f32_e32 v24, v24, v29
	s_delay_alu instid0(VALU_DEP_1) | instskip(NEXT) | instid1(VALU_DEP_1)
	v_add_f32_e32 v24, v28, v24
	v_add_f32_e32 v29, v31, v24
	s_delay_alu instid0(VALU_DEP_1) | instskip(NEXT) | instid1(VALU_DEP_1)
	v_mul_f32_e32 v35, v27, v29
	v_mul_f32_e32 v36, v38, v35
	s_delay_alu instid0(VALU_DEP_1) | instskip(SKIP_1) | instid1(VALU_DEP_1)
	v_fma_f32 v30, v35, v38, -v36
	v_sub_f32_e32 v38, v31, v29
	v_dual_fmac_f32 v30, v35, v40 :: v_dual_add_f32 v24, v24, v38
	s_delay_alu instid0(VALU_DEP_1) | instskip(NEXT) | instid1(VALU_DEP_1)
	v_dual_add_f32 v38, v39, v35 :: v_dual_add_f32 v28, v36, v30
	v_dual_sub_f32 v37, v29, v28 :: v_dual_mov_b32 v31, v28
	s_delay_alu instid0(VALU_DEP_1) | instskip(NEXT) | instid1(VALU_DEP_1)
	v_pk_add_f32 v[28:29], v[28:29], v[36:37] neg_lo:[0,1] neg_hi:[0,1]
	v_pk_add_f32 v[28:29], v[28:29], v[30:31] neg_lo:[0,1] neg_hi:[0,1]
	s_delay_alu instid0(VALU_DEP_1) | instskip(NEXT) | instid1(VALU_DEP_1)
	v_add_f32_e32 v24, v24, v29
	v_dual_add_f32 v24, v28, v24 :: v_dual_sub_f32 v28, v38, v39
	s_delay_alu instid0(VALU_DEP_1) | instskip(NEXT) | instid1(VALU_DEP_2)
	v_add_f32_e32 v24, v37, v24
	v_sub_f32_e32 v28, v35, v28
	v_max_num_f32_e64 v35, |v22|, |v22|
	s_delay_alu instid0(VALU_DEP_3) | instskip(NEXT) | instid1(VALU_DEP_1)
	v_mul_f32_e32 v24, v27, v24
	v_add_f32_e32 v24, v28, v24
	v_cvt_f32_i32_e32 v28, v9
	s_delay_alu instid0(VALU_DEP_2) | instskip(NEXT) | instid1(VALU_DEP_1)
	v_add_f32_e32 v27, v38, v24
	v_mul_f32_e32 v30, v27, v27
	s_delay_alu instid0(VALU_DEP_1) | instskip(SKIP_1) | instid1(VALU_DEP_2)
	v_fmaak_f32 v31, s26, v30, 0x3ecc95a3
	v_mul_f32_e32 v29, v27, v30
	v_fmaak_f32 v9, v30, v31, 0x3f2aaada
	s_delay_alu instid0(VALU_DEP_1) | instskip(SKIP_1) | instid1(VALU_DEP_2)
	v_pk_mul_f32 v[30:31], v[28:29], v[8:9]
	v_sub_f32_e32 v9, v27, v38
	v_fma_f32 v36, 0x3f317218, v28, -v30
	s_delay_alu instid0(VALU_DEP_2)
	v_sub_f32_e32 v9, v24, v9
	v_ldexp_f32 v37, v27, 1
	v_max_num_f32_e64 v27, |v23|, |v23|
	v_mov_b32_e32 v38, v30
	v_fmac_f32_e32 v36, 0xb102e308, v28
	v_ldexp_f32 v9, v9, 1
	s_delay_alu instid0(VALU_DEP_2) | instskip(NEXT) | instid1(VALU_DEP_1)
	v_pk_add_f32 v[28:29], v[30:31], v[36:37]
	v_dual_sub_f32 v24, v29, v37 :: v_dual_mov_b32 v37, v28
	s_delay_alu instid0(VALU_DEP_1) | instskip(SKIP_1) | instid1(VALU_DEP_2)
	v_sub_f32_e32 v24, v31, v24
	v_pk_add_f32 v[30:31], v[28:29], v[30:31] neg_lo:[0,1] neg_hi:[0,1]
	v_dual_add_f32 v39, v9, v24 :: v_dual_max_num_f32 v9, v35, v27
	v_min_num_f32_e32 v27, v35, v27
	s_delay_alu instid0(VALU_DEP_2) | instskip(NEXT) | instid1(VALU_DEP_3)
	v_pk_add_f32 v[40:41], v[28:29], v[38:39]
	v_frexp_mant_f32_e32 v24, v9
	v_frexp_exp_i32_f32_e32 v9, v9
	s_delay_alu instid0(VALU_DEP_4) | instskip(SKIP_3) | instid1(VALU_DEP_3)
	v_frexp_exp_i32_f32_e32 v38, v27
	v_frexp_mant_f32_e32 v27, v27
	v_mov_b32_e32 v31, v41
	v_rcp_f32_e32 v35, v24
	v_dual_mov_b32 v46, v29 :: v_dual_sub_nc_u32 v9, v38, v9
	s_delay_alu instid0(VALU_DEP_2) | instskip(NEXT) | instid1(TRANS32_DEP_1)
	v_pk_add_f32 v[42:43], v[36:37], v[30:31]
	v_dual_mov_b32 v42, v41 :: v_dual_mul_f32 v27, v27, v35
	s_delay_alu instid0(VALU_DEP_2) | instskip(SKIP_1) | instid1(VALU_DEP_3)
	v_mov_b32_e32 v24, v43
	v_pk_add_f32 v[30:31], v[36:37], v[30:31] neg_lo:[0,1] neg_hi:[0,1]
	v_ldexp_f32 v27, v27, v9
	s_delay_alu instid0(VALU_DEP_3) | instskip(SKIP_1) | instid1(VALU_DEP_2)
	v_pk_add_f32 v[44:45], v[24:25], v[28:29] neg_lo:[0,1] neg_hi:[0,1]
	v_dual_mov_b32 v29, v28 :: v_dual_mov_b32 v28, v39
	v_dual_mul_f32 v35, v27, v27 :: v_dual_mov_b32 v47, v44
	v_mov_b32_e32 v9, v44
	s_delay_alu instid0(VALU_DEP_2) | instskip(NEXT) | instid1(VALU_DEP_2)
	v_pk_add_f32 v[36:37], v[42:43], v[46:47] neg_lo:[0,1] neg_hi:[0,1]
	v_pk_add_f32 v[38:39], v[40:41], v[8:9] neg_lo:[0,1] neg_hi:[0,1]
	v_mov_b32_e32 v38, v30
	s_delay_alu instid0(VALU_DEP_3) | instskip(NEXT) | instid1(VALU_DEP_1)
	v_pk_add_f32 v[28:29], v[28:29], v[36:37] neg_lo:[0,1] neg_hi:[0,1]
	v_pk_add_f32 v[36:37], v[38:39], v[28:29]
	s_delay_alu instid0(VALU_DEP_1) | instskip(NEXT) | instid1(VALU_DEP_1)
	v_dual_fmaak_f32 v9, s27, v35, 0xbc7a590c :: v_dual_mov_b32 v38, v37
	v_pk_add_f32 v[38:39], v[36:37], v[38:39]
	s_delay_alu instid0(VALU_DEP_1) | instskip(NEXT) | instid1(VALU_DEP_1)
	v_pk_add_f32 v[40:41], v[24:25], v[38:39]
	v_dual_mov_b32 v31, v43 :: v_dual_mov_b32 v37, v40
	s_delay_alu instid0(VALU_DEP_1) | instskip(NEXT) | instid1(VALU_DEP_1)
	v_pk_add_f32 v[42:43], v[36:37], v[30:31] neg_lo:[0,1] neg_hi:[0,1]
	v_dual_fmaak_f32 v9, v35, v9, 0x3d29fb3f :: v_dual_sub_f32 v24, v36, v42
	s_delay_alu instid0(VALU_DEP_1) | instskip(NEXT) | instid1(VALU_DEP_1)
	v_dual_fmaak_f32 v9, v35, v9, 0xbd97d4d7 :: v_dual_sub_f32 v24, v30, v24
	v_fmaak_f32 v9, v35, v9, 0x3dd931b2
	s_delay_alu instid0(VALU_DEP_1) | instskip(NEXT) | instid1(VALU_DEP_1)
	v_fmaak_f32 v9, v35, v9, 0xbe1160e6
	v_fmaak_f32 v9, v35, v9, 0x3e4cb8bf
	s_delay_alu instid0(VALU_DEP_1) | instskip(NEXT) | instid1(VALU_DEP_1)
	v_fmaak_f32 v9, v35, v9, 0xbeaaaa62
	v_dual_mov_b32 v29, v38 :: v_dual_mul_f32 v9, v35, v9
	s_delay_alu instid0(VALU_DEP_1) | instskip(NEXT) | instid1(VALU_DEP_1)
	v_pk_add_f32 v[28:29], v[28:29], v[42:43] neg_lo:[0,1] neg_hi:[0,1]
	v_dual_fmac_f32 v27, v27, v9 :: v_dual_add_f32 v9, v28, v24
	s_delay_alu instid0(VALU_DEP_1) | instskip(NEXT) | instid1(VALU_DEP_1)
	v_dual_sub_f32 v24, 0x3fc90fdb, v27 :: v_dual_add_f32 v9, v9, v29
	v_dual_cndmask_b32 v24, v27, v24, s4 :: v_dual_add_f32 v9, v40, v9
	v_cndmask_b32_e64 v27, 0, 0x40490fdb, vcc_lo
	v_cmp_gt_f32_e32 vcc_lo, 0, v22
	s_delay_alu instid0(VALU_DEP_3) | instskip(NEXT) | instid1(VALU_DEP_4)
	v_cndmask_b32_e64 v9, 0x7f800000, v9, s5
	v_sub_f32_e32 v28, 0x40490fdb, v24
	v_cmp_class_f32_e64 s5, v23, 0x204
	s_delay_alu instid0(VALU_DEP_2)
	v_cndmask_b32_e32 v22, v24, v28, vcc_lo
	v_cndmask_b32_e32 v28, 0x3f490fdb, v32, vcc_lo
	v_cmp_gt_f32_e64 vcc_lo, 0x33800000, |v26|
	v_cndmask_b32_e32 v9, v9, v26, vcc_lo
	v_cmp_eq_f32_e32 vcc_lo, 0, v23
                                        ; implicit-def: $vgpr26
	v_cndmask_b32_e32 v22, v22, v27, vcc_lo
	s_and_b32 vcc_lo, s5, s8
	s_delay_alu instid0(VALU_DEP_1)
	v_dual_mul_f32 v24, 0.5, v9 :: v_dual_cndmask_b32 v35, v22, v28
.LBB180_208:                            ;   in Loop: Header=BB180_145 Depth=1
	s_and_not1_saveexec_b32 s7, s7
	s_cbranch_execz .LBB180_210
; %bb.209:                              ;   in Loop: Header=BB180_145 Depth=1
	v_max_num_f32_e64 v9, |v23|, |v23|
	v_max_num_f32_e64 v24, |v22|, |v22|
	v_cmp_eq_f32_e64 s5, 0, v23
	v_cmp_gt_i32_e32 vcc_lo, 0, v22
	v_cmp_class_f32_e64 s8, v22, 0x204
	v_cmp_class_f32_e64 s9, v23, 0x204
	v_dual_max_num_f32 v27, v24, v9 :: v_dual_min_num_f32 v9, v24, v9
	s_delay_alu instid0(VALU_DEP_1) | instskip(SKIP_1) | instid1(VALU_DEP_2)
	v_frexp_mant_f32_e32 v28, v27
	v_frexp_exp_i32_f32_e32 v24, v27
	v_rcp_f32_e32 v27, v28
	v_nop
	v_frexp_exp_i32_f32_e32 v28, v9
	v_frexp_mant_f32_e32 v9, v9
	s_delay_alu instid0(TRANS32_DEP_1) | instid1(VALU_DEP_1)
	v_dual_mul_f32 v9, v9, v27 :: v_dual_sub_nc_u32 v24, v28, v24
	s_delay_alu instid0(VALU_DEP_1) | instskip(NEXT) | instid1(VALU_DEP_1)
	v_ldexp_f32 v9, v9, v24
	v_mul_f32_e32 v24, v9, v9
	s_delay_alu instid0(VALU_DEP_1) | instskip(NEXT) | instid1(VALU_DEP_1)
	v_fmaak_f32 v27, s27, v24, 0xbc7a590c
	v_fmaak_f32 v27, v24, v27, 0x3d29fb3f
	s_delay_alu instid0(VALU_DEP_1) | instskip(NEXT) | instid1(VALU_DEP_1)
	v_fmaak_f32 v27, v24, v27, 0xbd97d4d7
	v_fmaak_f32 v27, v24, v27, 0x3dd931b2
	;; [unrolled: 3-line block ×3, first 2 shown]
	s_delay_alu instid0(VALU_DEP_1) | instskip(NEXT) | instid1(VALU_DEP_1)
	v_fmaak_f32 v27, v24, v27, 0xbeaaaa62
	v_mul_f32_e32 v24, v24, v27
	v_cndmask_b32_e64 v27, 0, 0x40490fdb, vcc_lo
	v_cmp_gt_f32_e32 vcc_lo, 0, v22
	s_delay_alu instid0(VALU_DEP_3) | instskip(SKIP_1) | instid1(VALU_DEP_2)
	v_fmac_f32_e32 v9, v9, v24
	v_cndmask_b32_e32 v22, 0x3f490fdb, v32, vcc_lo
	v_sub_f32_e32 v24, 0x3fc90fdb, v9
	s_delay_alu instid0(VALU_DEP_1) | instskip(NEXT) | instid1(VALU_DEP_1)
	v_cndmask_b32_e64 v9, v9, v24, s4
	v_sub_f32_e32 v24, 0x40490fdb, v9
	s_delay_alu instid0(VALU_DEP_1) | instskip(SKIP_1) | instid1(VALU_DEP_1)
	v_dual_cndmask_b32 v9, v9, v24 :: v_dual_mul_f32 v24, 0.5, v26
	s_and_b32 vcc_lo, s9, s8
	v_dual_cndmask_b32 v9, v9, v27, s5 :: v_dual_mul_f32 v24, v26, v24
	s_delay_alu instid0(VALU_DEP_1)
	v_cndmask_b32_e32 v35, v9, v22, vcc_lo
.LBB180_210:                            ;   in Loop: Header=BB180_145 Depth=1
	s_or_b32 exec_lo, exec_lo, s7
.LBB180_211:                            ;   in Loop: Header=BB180_145 Depth=1
	s_delay_alu instid0(SALU_CYCLE_1)
	s_or_b32 exec_lo, exec_lo, s6
.LBB180_212:                            ;   in Loop: Header=BB180_145 Depth=1
	s_and_not1_saveexec_b32 s6, s29
	s_cbranch_execz .LBB180_214
; %bb.213:                              ;   in Loop: Header=BB180_145 Depth=1
	v_div_scale_f32 v9, null, 0x402df854, 0x402df854, v22
	v_div_scale_f32 v24, null, 0x402df854, 0x402df854, v23
	v_div_scale_f32 v30, vcc_lo, v22, 0x402df854, v22
	s_delay_alu instid0(VALU_DEP_3) | instskip(NEXT) | instid1(VALU_DEP_2)
	v_rcp_f32_e32 v26, v9
	v_rcp_f32_e32 v27, v24
	v_cmp_class_f32_e64 s7, v23, 0x204
	s_delay_alu instid0(TRANS32_DEP_2) | instskip(NEXT) | instid1(TRANS32_DEP_1)
	v_fma_f32 v28, -v9, v26, 1.0
	v_fma_f32 v29, -v24, v27, 1.0
	s_delay_alu instid0(VALU_DEP_1) | instskip(SKIP_1) | instid1(VALU_DEP_1)
	v_dual_fmac_f32 v26, v28, v26 :: v_dual_fmac_f32 v27, v29, v27
	v_div_scale_f32 v28, s5, v23, 0x402df854, v23
	v_dual_mul_f32 v29, v30, v26 :: v_dual_mul_f32 v31, v28, v27
	s_delay_alu instid0(VALU_DEP_1) | instskip(NEXT) | instid1(VALU_DEP_1)
	v_dual_fma_f32 v35, -v9, v29, v30 :: v_dual_fma_f32 v36, -v24, v31, v28
	v_dual_fmac_f32 v29, v35, v26 :: v_dual_fmac_f32 v31, v36, v27
	s_delay_alu instid0(VALU_DEP_1) | instskip(NEXT) | instid1(VALU_DEP_1)
	v_dual_fma_f32 v9, -v9, v29, v30 :: v_dual_fma_f32 v24, -v24, v31, v28
	v_div_fmas_f32 v9, v9, v26, v29
	s_mov_b32 vcc_lo, s5
	v_max_num_f32_e64 v29, |v22|, |v22|
	s_delay_alu instid0(VALU_DEP_3) | instskip(SKIP_2) | instid1(VALU_DEP_3)
	v_div_fmas_f32 v24, v24, v27, v31
	v_cmp_class_f32_e64 s5, v22, 0x204
	v_div_fixup_f32 v9, v9, 0x402df854, v22
	v_div_fixup_f32 v24, v24, 0x402df854, v23
	s_delay_alu instid0(VALU_DEP_1) | instskip(NEXT) | instid1(VALU_DEP_1)
	v_max_num_f32_e64 v28, |v9|, |v24|
	v_cvt_f64_f32_e32 v[26:27], v28
	v_cmp_neq_f32_e32 vcc_lo, 0x7f800000, v28
	s_delay_alu instid0(VALU_DEP_2) | instskip(SKIP_1) | instid1(VALU_DEP_1)
	v_frexp_exp_i32_f64_e32 v26, v[26:27]
	v_max_num_f32_e64 v27, |v23|, |v23|
	v_dual_max_num_f32 v30, v29, v27 :: v_dual_min_num_f32 v27, v29, v27
	s_delay_alu instid0(VALU_DEP_1) | instskip(SKIP_1) | instid1(VALU_DEP_2)
	v_frexp_mant_f32_e32 v31, v30
	v_frexp_exp_i32_f32_e32 v29, v30
	v_rcp_f32_e32 v30, v31
	v_nop
	v_frexp_exp_i32_f32_e32 v31, v27
	v_frexp_mant_f32_e32 v27, v27
	s_delay_alu instid0(VALU_DEP_2)
	v_sub_nc_u32_e32 v29, v31, v29
	s_delay_alu instid0(TRANS32_DEP_1) | instid1(VALU_DEP_2)
	v_mul_f32_e32 v27, v27, v30
	v_sub_nc_u32_e32 v30, 0, v26
	s_delay_alu instid0(VALU_DEP_1) | instskip(SKIP_1) | instid1(VALU_DEP_2)
	v_ldexp_f32 v24, |v24|, v30
	v_ldexp_f32 v9, |v9|, v30
	v_mul_f32_e32 v24, v24, v24
	v_ldexp_f32 v27, v27, v29
	s_delay_alu instid0(VALU_DEP_1) | instskip(NEXT) | instid1(VALU_DEP_1)
	v_dual_fmac_f32 v24, v9, v9 :: v_dual_mul_f32 v29, v27, v27
	v_sqrt_f32_e32 v24, v24
	s_delay_alu instid0(VALU_DEP_1) | instskip(NEXT) | instid1(VALU_DEP_1)
	v_fmaak_f32 v30, s27, v29, 0xbc7a590c
	v_fmaak_f32 v9, v29, v30, 0x3d29fb3f
	s_delay_alu instid0(TRANS32_DEP_1) | instskip(NEXT) | instid1(VALU_DEP_2)
	v_ldexp_f32 v24, v24, v26
	v_fmaak_f32 v9, v29, v9, 0xbd97d4d7
	s_delay_alu instid0(VALU_DEP_1) | instskip(NEXT) | instid1(VALU_DEP_1)
	v_fmaak_f32 v9, v29, v9, 0x3dd931b2
	v_fmaak_f32 v9, v29, v9, 0xbe1160e6
	s_delay_alu instid0(VALU_DEP_1) | instskip(NEXT) | instid1(VALU_DEP_1)
	v_fmaak_f32 v9, v29, v9, 0x3e4cb8bf
	v_fmaak_f32 v9, v29, v9, 0xbeaaaa62
	s_delay_alu instid0(VALU_DEP_1) | instskip(NEXT) | instid1(VALU_DEP_1)
	v_dual_cndmask_b32 v24, 0x7f800000, v24 :: v_dual_mul_f32 v9, v29, v9
	v_cmp_gt_f32_e32 vcc_lo, 0x800000, v24
	s_delay_alu instid0(VALU_DEP_2) | instskip(SKIP_2) | instid1(VALU_DEP_2)
	v_fmac_f32_e32 v27, v27, v9
	v_cndmask_b32_e64 v26, 0, 32, vcc_lo
	v_cndmask_b32_e64 v29, 0, 0x41b17218, vcc_lo
	v_ldexp_f32 v24, v24, v26
	s_delay_alu instid0(VALU_DEP_1) | instskip(SKIP_1) | instid1(TRANS32_DEP_1)
	v_log_f32_e32 v24, v24
	v_nop
	v_mul_f32_e32 v26, 0x3f317217, v24
	v_cmp_gt_f32_e64 vcc_lo, 0x7f800000, |v24|
	s_delay_alu instid0(VALU_DEP_2) | instskip(NEXT) | instid1(VALU_DEP_1)
	v_fma_f32 v9, 0x3f317217, v24, -v26
	v_fmac_f32_e32 v9, 0x3377d1cf, v24
	s_delay_alu instid0(VALU_DEP_1) | instskip(NEXT) | instid1(VALU_DEP_1)
	v_fmac_f32_e32 v9, 0x3f317217, v24
	v_dual_sub_f32 v26, 0x3fc90fdb, v27 :: v_dual_cndmask_b32 v9, v24, v9
	v_cmp_eq_f32_e32 vcc_lo, 0, v23
	s_delay_alu instid0(VALU_DEP_2) | instskip(SKIP_1) | instid1(VALU_DEP_2)
	v_dual_sub_f32 v9, v9, v29 :: v_dual_cndmask_b32 v26, v27, v26, s4
	v_cmp_gt_i32_e64 s4, 0, v22
	v_add_f32_e32 v24, 1.0, v9
	s_delay_alu instid0(VALU_DEP_3) | instskip(NEXT) | instid1(VALU_DEP_3)
	v_sub_f32_e32 v28, 0x40490fdb, v26
	v_cndmask_b32_e64 v27, 0, 0x40490fdb, s4
	v_cmp_gt_f32_e64 s4, 0, v22
	s_delay_alu instid0(VALU_DEP_1) | instskip(SKIP_1) | instid1(VALU_DEP_2)
	v_cndmask_b32_e64 v22, v26, v28, s4
	v_cndmask_b32_e64 v26, 0x3f490fdb, v32, s4
	v_cndmask_b32_e32 v22, v22, v27, vcc_lo
	s_and_b32 vcc_lo, s7, s5
	s_delay_alu instid0(VALU_DEP_1)
	v_cndmask_b32_e32 v35, v22, v26, vcc_lo
.LBB180_214:                            ;   in Loop: Header=BB180_145 Depth=1
	s_or_b32 exec_lo, exec_lo, s6
.LBB180_215:                            ;   in Loop: Header=BB180_145 Depth=1
	s_and_not1_saveexec_b32 s4, s28
	s_cbranch_execz .LBB180_221
; %bb.216:                              ;   in Loop: Header=BB180_145 Depth=1
	v_cmp_ngt_f32_e64 s5, 0x20000000, |v22|
	v_cmp_ngt_f32_e64 s6, 0x20000000, |v23|
                                        ; implicit-def: $vgpr9
	s_or_b32 s5, s6, s5
	s_delay_alu instid0(SALU_CYCLE_1) | instskip(NEXT) | instid1(SALU_CYCLE_1)
	s_and_saveexec_b32 s6, s5
	s_xor_b32 s5, exec_lo, s6
; %bb.217:                              ;   in Loop: Header=BB180_145 Depth=1
	v_pk_mul_f32 v[26:27], v[22:23], v[22:23]
	s_delay_alu instid0(VALU_DEP_1)
	v_add_f32_e32 v9, v27, v26
; %bb.218:                              ;   in Loop: Header=BB180_145 Depth=1
	s_and_not1_saveexec_b32 s5, s5
; %bb.219:                              ;   in Loop: Header=BB180_145 Depth=1
	v_pk_mul_f32 v[26:27], v[22:23], 4.0 op_sel_hi:[1,0]
	s_delay_alu instid0(VALU_DEP_1) | instskip(NEXT) | instid1(VALU_DEP_1)
	v_pk_mul_f32 v[26:27], v[26:27], v[26:27]
	v_add_f32_e32 v9, v27, v26
	s_delay_alu instid0(VALU_DEP_1)
	v_mul_f32_e32 v9, 0x3d800000, v9
; %bb.220:                              ;   in Loop: Header=BB180_145 Depth=1
	s_or_b32 exec_lo, exec_lo, s5
	s_delay_alu instid0(VALU_DEP_1) | instskip(SKIP_3) | instid1(VALU_DEP_2)
	v_cmp_gt_f32_e32 vcc_lo, 0x800000, v9
	v_mov_b32_e32 v35, 0x7fc00000
	v_cndmask_b32_e64 v22, 0, 32, vcc_lo
	v_cndmask_b32_e64 v24, 0, 0x41b17218, vcc_lo
	v_ldexp_f32 v9, v9, v22
	s_delay_alu instid0(VALU_DEP_1) | instskip(SKIP_1) | instid1(TRANS32_DEP_1)
	v_log_f32_e32 v9, v9
	v_nop
	v_mul_f32_e32 v22, 0x3f317217, v9
	v_cmp_gt_f32_e64 vcc_lo, 0x7f800000, |v9|
	s_delay_alu instid0(VALU_DEP_2) | instskip(NEXT) | instid1(VALU_DEP_1)
	v_fma_f32 v22, 0x3f317217, v9, -v22
	v_fmac_f32_e32 v22, 0x3377d1cf, v9
	s_delay_alu instid0(VALU_DEP_1) | instskip(NEXT) | instid1(VALU_DEP_1)
	v_fmac_f32_e32 v22, 0x3f317217, v9
	v_cndmask_b32_e32 v9, v9, v22, vcc_lo
	s_delay_alu instid0(VALU_DEP_1)
	v_sub_f32_e32 v24, v9, v24
.LBB180_221:                            ;   in Loop: Header=BB180_145 Depth=1
	s_or_b32 exec_lo, exec_lo, s4
                                        ; implicit-def: $vgpr22
                                        ; implicit-def: $vgpr36
	s_delay_alu instid0(SALU_CYCLE_1)
	s_mov_b32 s4, exec_lo
	v_cmpx_o_f32_e32 v17, v16
	s_xor_b32 s28, exec_lo, s4
	s_cbranch_execz .LBB180_249
; %bb.222:                              ;   in Loop: Header=BB180_145 Depth=1
	v_cmp_lt_f32_e64 s4, |v16|, |v17|
                                        ; implicit-def: $vgpr22
                                        ; implicit-def: $vgpr36
	s_mov_b32 s6, exec_lo
	v_cndmask_b32_e64 v9, v17, v16, s4
	s_delay_alu instid0(VALU_DEP_1)
	v_cmpx_nlt_f32_e64 0x77f684df, |v9|
	s_xor_b32 s29, exec_lo, s6
	s_cbranch_execz .LBB180_246
; %bb.223:                              ;   in Loop: Header=BB180_145 Depth=1
	v_cndmask_b32_e64 v22, v16, v17, s4
	v_and_b32_e32 v26, 0x7fffffff, v9
                                        ; implicit-def: $vgpr36
	s_mov_b32 s5, exec_lo
	s_delay_alu instid0(VALU_DEP_2) | instskip(NEXT) | instid1(VALU_DEP_1)
	v_and_b32_e32 v27, 0x7fffffff, v22
                                        ; implicit-def: $vgpr22
	v_cmpx_neq_f32_e32 1.0, v27
	s_xor_b32 s30, exec_lo, s5
	s_cbranch_execz .LBB180_239
; %bb.224:                              ;   in Loop: Header=BB180_145 Depth=1
	v_dual_max_num_f32 v9, v26, v26 :: v_dual_max_num_f32 v22, v27, v27
                                        ; implicit-def: $vgpr36
	s_delay_alu instid0(VALU_DEP_1) | instskip(NEXT) | instid1(VALU_DEP_1)
	v_dual_min_num_f32 v28, v22, v9 :: v_dual_max_num_f32 v9, v22, v9
                                        ; implicit-def: $vgpr22
	v_cmp_ngt_f32_e32 vcc_lo, 0x358637bd, v28
	s_delay_alu instid0(VALU_DEP_2) | instskip(SKIP_1) | instid1(SALU_CYCLE_1)
	v_cmp_nlt_f32_e64 s5, 0x49742400, v9
	s_and_b32 s5, s5, vcc_lo
	s_and_saveexec_b32 s6, s5
	s_delay_alu instid0(SALU_CYCLE_1)
	s_xor_b32 s31, exec_lo, s6
	s_cbranch_execz .LBB180_236
; %bb.225:                              ;   in Loop: Header=BB180_145 Depth=1
                                        ; implicit-def: $vgpr22
                                        ; implicit-def: $vgpr36
	s_mov_b32 s5, exec_lo
	v_cmpx_le_f32_e32 1.0, v27
	s_xor_b32 s6, exec_lo, s5
	s_cbranch_execz .LBB180_227
; %bb.226:                              ;   in Loop: Header=BB180_145 Depth=1
	v_pk_add_f32 v[28:29], v[26:27], v[6:7] op_sel:[1,0]
	v_mov_b32_e32 v30, v26
	v_cmp_class_f32_e64 s7, v16, 0x204
	s_delay_alu instid0(VALU_DEP_3) | instskip(SKIP_1) | instid1(VALU_DEP_1)
	v_dual_mov_b32 v27, v28 :: v_dual_mov_b32 v31, v29
	v_mul_f32_e32 v22, v28, v29
	v_pk_fma_f32 v[26:27], v[26:27], v[30:31], v[22:23] op_sel_hi:[1,1,0]
	s_delay_alu instid0(VALU_DEP_1) | instskip(SKIP_1) | instid1(VALU_DEP_2)
	v_add_f32_e32 v29, 1.0, v26
	v_cmp_neq_f32_e64 s5, -1.0, v26
	v_add_f32_e32 v27, -1.0, v29
	s_delay_alu instid0(VALU_DEP_1) | instskip(SKIP_2) | instid1(VALU_DEP_1)
	v_mov_b32_e32 v28, v27
	v_cvt_f64_f32_e32 v[30:31], v29
	v_frexp_mant_f32_e32 v22, v29
	v_cmp_gt_f32_e32 vcc_lo, 0x3f2aaaab, v22
	s_delay_alu instid0(VALU_DEP_3) | instskip(SKIP_1) | instid1(VALU_DEP_1)
	v_frexp_exp_i32_f64_e32 v9, v[30:31]
	v_pk_add_f32 v[30:31], v[26:27], v[28:29] neg_lo:[0,1] neg_hi:[0,1]
	v_add_f32_e32 v28, 1.0, v31
	s_delay_alu instid0(VALU_DEP_3) | instskip(SKIP_1) | instid1(VALU_DEP_2)
	v_subrev_co_ci_u32_e64 v9, null, 0, v9, vcc_lo
	v_cmp_neq_f32_e32 vcc_lo, 0x7f800000, v26
	v_sub_nc_u32_e32 v22, 0, v9
	s_delay_alu instid0(VALU_DEP_1) | instskip(NEXT) | instid1(VALU_DEP_1)
	v_ldexp_f32 v27, v29, v22
	v_dual_add_f32 v31, 1.0, v27 :: v_dual_add_f32 v28, v30, v28
	s_delay_alu instid0(VALU_DEP_1) | instskip(SKIP_1) | instid1(VALU_DEP_3)
	v_add_f32_e32 v29, -1.0, v31
	v_add_f32_e32 v37, -1.0, v27
	v_ldexp_f32 v22, v28, v22
	s_delay_alu instid0(VALU_DEP_3) | instskip(NEXT) | instid1(VALU_DEP_1)
	v_sub_f32_e32 v28, v27, v29
	v_dual_add_f32 v29, 1.0, v37 :: v_dual_add_f32 v28, v22, v28
	s_delay_alu instid0(VALU_DEP_1) | instskip(NEXT) | instid1(VALU_DEP_1)
	v_sub_f32_e32 v27, v27, v29
	v_dual_add_f32 v38, v31, v28 :: v_dual_add_f32 v22, v22, v27
	s_delay_alu instid0(VALU_DEP_1) | instskip(NEXT) | instid1(VALU_DEP_1)
	v_rcp_f32_e32 v27, v38
	v_add_f32_e32 v29, v37, v22
	s_delay_alu instid0(TRANS32_DEP_1) | instid1(VALU_DEP_1)
	v_mul_f32_e32 v39, v29, v27
	s_delay_alu instid0(VALU_DEP_1) | instskip(NEXT) | instid1(VALU_DEP_1)
	v_mul_f32_e32 v30, v38, v39
	v_dual_sub_f32 v31, v38, v31 :: v_dual_fma_f32 v36, v39, v38, -v30
	s_delay_alu instid0(VALU_DEP_1) | instskip(NEXT) | instid1(VALU_DEP_1)
	v_sub_f32_e32 v40, v28, v31
	v_fmac_f32_e32 v36, v39, v40
	s_delay_alu instid0(VALU_DEP_1) | instskip(NEXT) | instid1(VALU_DEP_1)
	v_dual_add_f32 v28, v30, v36 :: v_dual_sub_f32 v41, v29, v37
	v_dual_mov_b32 v37, v28 :: v_dual_sub_f32 v31, v29, v28
	s_delay_alu instid0(VALU_DEP_2) | instskip(NEXT) | instid1(VALU_DEP_2)
	v_sub_f32_e32 v22, v22, v41
	v_pk_add_f32 v[28:29], v[28:29], v[30:31] neg_lo:[0,1] neg_hi:[0,1]
	s_delay_alu instid0(VALU_DEP_1) | instskip(NEXT) | instid1(VALU_DEP_1)
	v_pk_add_f32 v[28:29], v[28:29], v[36:37] neg_lo:[0,1] neg_hi:[0,1]
	v_add_f32_e32 v22, v22, v29
	s_delay_alu instid0(VALU_DEP_1) | instskip(NEXT) | instid1(VALU_DEP_1)
	v_add_f32_e32 v22, v28, v22
	v_add_f32_e32 v29, v31, v22
	s_delay_alu instid0(VALU_DEP_1) | instskip(NEXT) | instid1(VALU_DEP_1)
	v_mul_f32_e32 v41, v27, v29
	v_mul_f32_e32 v36, v38, v41
	s_delay_alu instid0(VALU_DEP_1) | instskip(NEXT) | instid1(VALU_DEP_1)
	v_fma_f32 v30, v41, v38, -v36
	v_dual_fmac_f32 v30, v41, v40 :: v_dual_sub_f32 v38, v31, v29
	s_delay_alu instid0(VALU_DEP_1) | instskip(NEXT) | instid1(VALU_DEP_2)
	v_add_f32_e32 v28, v36, v30
	v_dual_add_f32 v22, v22, v38 :: v_dual_add_f32 v38, v39, v41
	s_delay_alu instid0(VALU_DEP_2) | instskip(NEXT) | instid1(VALU_DEP_1)
	v_dual_sub_f32 v37, v29, v28 :: v_dual_mov_b32 v31, v28
	v_pk_add_f32 v[28:29], v[28:29], v[36:37] neg_lo:[0,1] neg_hi:[0,1]
	s_delay_alu instid0(VALU_DEP_1) | instskip(NEXT) | instid1(VALU_DEP_1)
	v_pk_add_f32 v[28:29], v[28:29], v[30:31] neg_lo:[0,1] neg_hi:[0,1]
	v_add_f32_e32 v22, v22, v29
	s_delay_alu instid0(VALU_DEP_1) | instskip(NEXT) | instid1(VALU_DEP_1)
	v_dual_add_f32 v22, v28, v22 :: v_dual_sub_f32 v28, v38, v39
	v_add_f32_e32 v22, v37, v22
	s_delay_alu instid0(VALU_DEP_1) | instskip(NEXT) | instid1(VALU_DEP_1)
	v_dual_sub_f32 v28, v41, v28 :: v_dual_mul_f32 v22, v27, v22
	v_add_f32_e32 v22, v28, v22
	v_cvt_f32_i32_e32 v28, v9
	s_delay_alu instid0(VALU_DEP_2) | instskip(NEXT) | instid1(VALU_DEP_1)
	v_add_f32_e32 v27, v38, v22
	v_mul_f32_e32 v30, v27, v27
	s_delay_alu instid0(VALU_DEP_1) | instskip(SKIP_1) | instid1(VALU_DEP_2)
	v_fmaak_f32 v31, s26, v30, 0x3ecc95a3
	v_mul_f32_e32 v29, v27, v30
	v_fmaak_f32 v9, v30, v31, 0x3f2aaada
	s_delay_alu instid0(VALU_DEP_1) | instskip(NEXT) | instid1(VALU_DEP_1)
	v_pk_mul_f32 v[30:31], v[28:29], v[8:9]
	v_fma_f32 v36, 0x3f317218, v28, -v30
	s_delay_alu instid0(VALU_DEP_1) | instskip(SKIP_1) | instid1(VALU_DEP_1)
	v_fmac_f32_e32 v36, 0xb102e308, v28
	v_ldexp_f32 v37, v27, 1
	v_pk_add_f32 v[28:29], v[30:31], v[36:37]
	v_dual_sub_f32 v9, v27, v38 :: v_dual_mov_b32 v38, v30
	s_delay_alu instid0(VALU_DEP_1) | instskip(NEXT) | instid1(VALU_DEP_3)
	v_dual_mov_b32 v46, v29 :: v_dual_sub_f32 v9, v22, v9
	v_dual_sub_f32 v22, v29, v37 :: v_dual_mov_b32 v37, v28
	s_delay_alu instid0(VALU_DEP_2) | instskip(NEXT) | instid1(VALU_DEP_2)
	v_ldexp_f32 v9, v9, 1
	v_sub_f32_e32 v22, v31, v22
	v_pk_add_f32 v[30:31], v[28:29], v[30:31] neg_lo:[0,1] neg_hi:[0,1]
	s_delay_alu instid0(VALU_DEP_2) | instskip(SKIP_2) | instid1(VALU_DEP_1)
	v_add_f32_e32 v39, v9, v22
	v_max_num_f32_e64 v9, |v17|, |v17|
	v_max_num_f32_e64 v22, |v16|, |v16|
	v_max_num_f32_e32 v27, v22, v9
	s_delay_alu instid0(VALU_DEP_4) | instskip(NEXT) | instid1(VALU_DEP_2)
	v_pk_add_f32 v[40:41], v[28:29], v[38:39]
	v_frexp_exp_i32_f32_e32 v38, v27
	s_delay_alu instid0(VALU_DEP_2) | instskip(SKIP_1) | instid1(VALU_DEP_2)
	v_mov_b32_e32 v31, v41
	v_frexp_mant_f32_e32 v27, v27
	v_pk_add_f32 v[42:43], v[36:37], v[30:31]
	v_min_num_f32_e32 v9, v22, v9
	v_pk_add_f32 v[30:31], v[36:37], v[30:31] neg_lo:[0,1] neg_hi:[0,1]
	s_delay_alu instid0(VALU_DEP_4) | instskip(NEXT) | instid1(VALU_DEP_3)
	v_rcp_f32_e32 v27, v27
	v_mov_b32_e32 v22, v43
	s_delay_alu instid0(VALU_DEP_3) | instskip(SKIP_2) | instid1(VALU_DEP_4)
	v_frexp_exp_i32_f32_e32 v42, v9
	v_frexp_mant_f32_e32 v48, v9
	v_mov_b32_e32 v31, v43
	v_pk_add_f32 v[44:45], v[22:23], v[28:29] neg_lo:[0,1] neg_hi:[0,1]
	s_delay_alu instid0(VALU_DEP_4) | instskip(SKIP_1) | instid1(VALU_DEP_3)
	v_dual_mov_b32 v42, v41 :: v_dual_sub_nc_u32 v45, v42, v38
	v_dual_mov_b32 v29, v28 :: v_dual_mov_b32 v28, v39
	v_dual_mov_b32 v47, v44 :: v_dual_mov_b32 v9, v44
	s_delay_alu instid0(VALU_DEP_1) | instskip(NEXT) | instid1(VALU_DEP_2)
	v_pk_add_f32 v[36:37], v[42:43], v[46:47] neg_lo:[0,1] neg_hi:[0,1]
	v_pk_add_f32 v[38:39], v[40:41], v[8:9] neg_lo:[0,1] neg_hi:[0,1]
	v_mov_b32_e32 v38, v30
	s_delay_alu instid0(VALU_DEP_3) | instskip(NEXT) | instid1(VALU_DEP_1)
	v_pk_add_f32 v[28:29], v[28:29], v[36:37] neg_lo:[0,1] neg_hi:[0,1]
	v_pk_add_f32 v[36:37], v[38:39], v[28:29]
	s_delay_alu instid0(VALU_DEP_1) | instskip(NEXT) | instid1(VALU_DEP_1)
	v_dual_mul_f32 v27, v48, v27 :: v_dual_mov_b32 v38, v37
	v_ldexp_f32 v9, v27, v45
	s_delay_alu instid0(VALU_DEP_2) | instskip(NEXT) | instid1(VALU_DEP_2)
	v_pk_add_f32 v[38:39], v[36:37], v[38:39]
	v_mul_f32_e32 v27, v9, v9
	s_delay_alu instid0(VALU_DEP_2) | instskip(NEXT) | instid1(VALU_DEP_1)
	v_pk_add_f32 v[40:41], v[22:23], v[38:39]
	v_mov_b32_e32 v37, v40
	s_delay_alu instid0(VALU_DEP_1) | instskip(NEXT) | instid1(VALU_DEP_1)
	v_pk_add_f32 v[42:43], v[36:37], v[30:31] neg_lo:[0,1] neg_hi:[0,1]
	v_sub_f32_e32 v31, v36, v42
	s_delay_alu instid0(VALU_DEP_1) | instskip(SKIP_1) | instid1(VALU_DEP_1)
	v_sub_f32_e32 v30, v30, v31
	v_fmaak_f32 v29, s27, v27, 0xbc7a590c
	v_fmaak_f32 v29, v27, v29, 0x3d29fb3f
	s_delay_alu instid0(VALU_DEP_1) | instskip(NEXT) | instid1(VALU_DEP_1)
	v_dual_fmaak_f32 v22, v27, v29, 0xbd97d4d7 :: v_dual_mov_b32 v29, v38
	v_fmaak_f32 v22, v27, v22, 0x3dd931b2
	s_delay_alu instid0(VALU_DEP_2) | instskip(NEXT) | instid1(VALU_DEP_1)
	v_pk_add_f32 v[28:29], v[28:29], v[42:43] neg_lo:[0,1] neg_hi:[0,1]
	v_add_f32_e32 v28, v28, v30
	s_delay_alu instid0(VALU_DEP_3) | instskip(NEXT) | instid1(VALU_DEP_1)
	v_fmaak_f32 v22, v27, v22, 0xbe1160e6
	v_fmaak_f32 v22, v27, v22, 0x3e4cb8bf
	s_delay_alu instid0(VALU_DEP_1) | instskip(NEXT) | instid1(VALU_DEP_1)
	v_fmaak_f32 v22, v27, v22, 0xbeaaaa62
	v_dual_mul_f32 v22, v27, v22 :: v_dual_add_f32 v27, v28, v29
	s_delay_alu instid0(VALU_DEP_1) | instskip(NEXT) | instid1(VALU_DEP_1)
	v_dual_fmac_f32 v9, v9, v22 :: v_dual_add_f32 v22, v40, v27
	v_sub_f32_e32 v27, 0x3fc90fdb, v9
	s_delay_alu instid0(VALU_DEP_2) | instskip(SKIP_1) | instid1(VALU_DEP_3)
	v_cndmask_b32_e32 v22, 0x7f800000, v22, vcc_lo
	v_cmp_gt_i32_e32 vcc_lo, 0, v16
	v_cndmask_b32_e64 v9, v9, v27, s4
	v_cndmask_b32_e64 v27, 0, 0x40490fdb, vcc_lo
	v_cmp_ngt_f32_e32 vcc_lo, -1.0, v26
	s_delay_alu instid0(VALU_DEP_3) | instskip(SKIP_2) | instid1(VALU_DEP_2)
	v_sub_f32_e32 v28, 0x40490fdb, v9
	v_cndmask_b32_e32 v22, 0x7fc00000, v22, vcc_lo
	v_cmp_gt_f32_e32 vcc_lo, 0, v16
	v_cndmask_b32_e64 v16, 0xff800000, v22, s5
	s_delay_alu instid0(VALU_DEP_4)
	v_cndmask_b32_e32 v9, v9, v28, vcc_lo
	v_cndmask_b32_e32 v28, 0x3f490fdb, v32, vcc_lo
	v_cmp_gt_f32_e64 vcc_lo, 0x33800000, |v26|
	v_cmp_class_f32_e64 s5, v17, 0x204
	v_cndmask_b32_e32 v16, v16, v26, vcc_lo
	v_cmp_eq_f32_e32 vcc_lo, 0, v17
	v_cndmask_b32_e32 v9, v9, v27, vcc_lo
	s_and_b32 vcc_lo, s5, s7
                                        ; implicit-def: $vgpr26_vgpr27
	s_delay_alu instid0(VALU_DEP_1)
	v_cndmask_b32_e32 v36, v9, v28, vcc_lo
	v_mul_f32_e32 v22, 0.5, v16
.LBB180_227:                            ;   in Loop: Header=BB180_145 Depth=1
	s_and_not1_saveexec_b32 s33, s6
	s_cbranch_execz .LBB180_235
; %bb.228:                              ;   in Loop: Header=BB180_145 Depth=1
	v_pk_mul_f32 v[28:29], v[26:27], v[26:27]
                                        ; implicit-def: $vgpr22
                                        ; implicit-def: $vgpr36
	s_mov_b32 s5, exec_lo
	s_delay_alu instid0(VALU_DEP_1) | instskip(NEXT) | instid1(VALU_DEP_1)
	v_add_f32_e32 v9, v29, v28
	v_cmpx_ge_f32_e32 0x3f333333, v9
	s_xor_b32 s6, exec_lo, s5
	s_cbranch_execz .LBB180_230
; %bb.229:                              ;   in Loop: Header=BB180_145 Depth=1
	v_max_num_f32_e64 v22, |v17|, |v17|
	v_max_num_f32_e64 v26, |v16|, |v16|
	v_cmp_gt_f32_e32 vcc_lo, 0x800000, v9
	v_cmp_gt_i32_e64 s5, 0, v16
	v_cmp_class_f32_e64 s7, v16, 0x204
	v_cmp_class_f32_e64 s8, v17, 0x204
	v_dual_max_num_f32 v27, v26, v22 :: v_dual_min_num_f32 v22, v26, v22
	v_cndmask_b32_e64 v29, 0, 0x41b17218, vcc_lo
	s_delay_alu instid0(VALU_DEP_2) | instskip(SKIP_1) | instid1(VALU_DEP_2)
	v_frexp_mant_f32_e32 v28, v27
	v_frexp_exp_i32_f32_e32 v26, v27
	v_rcp_f32_e32 v27, v28
	v_nop
	v_frexp_exp_i32_f32_e32 v28, v22
	v_frexp_mant_f32_e32 v22, v22
	s_delay_alu instid0(TRANS32_DEP_1) | instid1(VALU_DEP_1)
	v_dual_sub_nc_u32 v26, v28, v26 :: v_dual_mul_f32 v22, v22, v27
	v_cndmask_b32_e64 v28, 0, 32, vcc_lo
	s_delay_alu instid0(VALU_DEP_2) | instskip(NEXT) | instid1(VALU_DEP_2)
	v_ldexp_f32 v22, v22, v26
	v_ldexp_f32 v9, v9, v28
	s_delay_alu instid0(VALU_DEP_1) | instskip(NEXT) | instid1(VALU_DEP_2)
	v_log_f32_e32 v9, v9
	v_mul_f32_e32 v26, v22, v22
	s_delay_alu instid0(VALU_DEP_1) | instskip(NEXT) | instid1(TRANS32_DEP_1)
	v_fmaak_f32 v27, s27, v26, 0xbc7a590c
	v_cmp_gt_f32_e64 vcc_lo, 0x7f800000, |v9|
	s_delay_alu instid0(VALU_DEP_2) | instskip(NEXT) | instid1(VALU_DEP_1)
	v_fmaak_f32 v27, v26, v27, 0x3d29fb3f
	v_fmaak_f32 v27, v26, v27, 0xbd97d4d7
	s_delay_alu instid0(VALU_DEP_1) | instskip(NEXT) | instid1(VALU_DEP_1)
	v_fmaak_f32 v27, v26, v27, 0x3dd931b2
	v_fmaak_f32 v27, v26, v27, 0xbe1160e6
	s_delay_alu instid0(VALU_DEP_1) | instskip(NEXT) | instid1(VALU_DEP_1)
	;; [unrolled: 3-line block ×3, first 2 shown]
	v_dual_mul_f32 v26, v26, v27 :: v_dual_mul_f32 v27, 0x3f317217, v9
	v_fmac_f32_e32 v22, v22, v26
	s_delay_alu instid0(VALU_DEP_2) | instskip(NEXT) | instid1(VALU_DEP_2)
	v_fma_f32 v26, 0x3f317217, v9, -v27
	v_sub_f32_e32 v27, 0x3fc90fdb, v22
	s_delay_alu instid0(VALU_DEP_2) | instskip(NEXT) | instid1(VALU_DEP_1)
	v_fmac_f32_e32 v26, 0x3377d1cf, v9
	v_fmac_f32_e32 v26, 0x3f317217, v9
	s_delay_alu instid0(VALU_DEP_3) | instskip(SKIP_2) | instid1(VALU_DEP_4)
	v_cndmask_b32_e64 v22, v22, v27, s4
	v_cndmask_b32_e64 v27, 0, 0x40490fdb, s5
	v_cmp_eq_f32_e64 s5, 0, v17
	v_cndmask_b32_e32 v9, v9, v26, vcc_lo
	s_delay_alu instid0(VALU_DEP_4) | instskip(SKIP_1) | instid1(VALU_DEP_2)
	v_sub_f32_e32 v28, 0x40490fdb, v22
	v_cmp_gt_f32_e32 vcc_lo, 0, v16
	v_dual_sub_f32 v9, v9, v29 :: v_dual_cndmask_b32 v22, v22, v28
	v_cndmask_b32_e32 v26, 0x3f490fdb, v32, vcc_lo
	s_and_b32 vcc_lo, s8, s7
	s_delay_alu instid0(VALU_DEP_2) | instskip(NEXT) | instid1(VALU_DEP_1)
	v_dual_cndmask_b32 v16, v22, v27, s5 :: v_dual_mul_f32 v22, 0.5, v9
	v_cndmask_b32_e32 v36, v16, v26, vcc_lo
                                        ; implicit-def: $vgpr26
.LBB180_230:                            ;   in Loop: Header=BB180_145 Depth=1
	s_and_not1_saveexec_b32 s34, s6
	s_cbranch_execz .LBB180_234
; %bb.231:                              ;   in Loop: Header=BB180_145 Depth=1
	v_and_b32_e32 v29, 0x7fff0000, v26
	v_and_b32_e32 v28, 0x7fff0000, v27
	s_mov_b32 s35, 0
	s_delay_alu instid0(VALU_DEP_1) | instskip(SKIP_2) | instid1(VALU_DEP_2)
	v_dual_add_f32 v40, v29, v29 :: v_dual_add_f32 v22, v28, v28
	v_pk_add_f32 v[30:31], v[26:27], v[28:29] op_sel:[1,0] op_sel_hi:[0,1] neg_lo:[0,1] neg_hi:[0,1]
	v_pk_mul_f32 v[26:27], v[28:29], v[28:29]
	v_and_b32_e32 v39, 0xffff0000, v31
	s_delay_alu instid0(VALU_DEP_3) | instskip(NEXT) | instid1(VALU_DEP_1)
	v_and_b32_e32 v38, 0xffff0000, v30
	v_dual_add_f32 v42, v39, v39 :: v_dual_add_f32 v41, v38, v38
	v_pk_add_f32 v[28:29], v[30:31], v[38:39] neg_lo:[0,1] neg_hi:[0,1]
	v_dual_mul_f32 v9, v22, v38 :: v_dual_mul_f32 v37, v40, v39
	v_pk_mul_f32 v[30:31], v[38:39], v[38:39]
	s_delay_alu instid0(VALU_DEP_3)
	v_dual_mul_f32 v36, v22, v28 :: v_dual_mul_f32 v39, v40, v29
	v_dual_mul_f32 v22, v41, v28 :: v_dual_mul_f32 v38, v42, v29
	v_pk_mul_f32 v[28:29], v[28:29], v[28:29]
.LBB180_232:                            ;   Parent Loop BB180_145 Depth=1
                                        ; =>  This Inner Loop Header: Depth=2
	v_cmp_nlt_f32_e32 vcc_lo, v26, v27
	v_dual_cndmask_b32 v40, v26, v27, vcc_lo :: v_dual_cndmask_b32 v26, v27, v26, vcc_lo
	s_delay_alu instid0(VALU_DEP_1) | instskip(NEXT) | instid1(VALU_DEP_1)
	v_cmp_nlt_f32_e64 s5, v40, v9
	v_dual_cndmask_b32 v41, v40, v9, s5 :: v_dual_cndmask_b32 v27, v9, v40, s5
	s_and_b32 s5, vcc_lo, s5
	s_delay_alu instid0(VALU_DEP_1) | instskip(NEXT) | instid1(VALU_DEP_1)
	v_cmp_nlt_f32_e64 s6, v41, v37
	v_cndmask_b32_e64 v42, v41, v37, s6
	v_cndmask_b32_e64 v9, v37, v41, s6
	s_delay_alu instid0(VALU_DEP_2) | instskip(NEXT) | instid1(VALU_DEP_1)
	v_cmp_nlt_f32_e64 s7, v42, v30
	v_cndmask_b32_e64 v40, v42, v30, s7
	s_and_b32 s36, s6, s7
	s_delay_alu instid0(VALU_DEP_1) | instskip(NEXT) | instid1(VALU_DEP_1)
	v_cmp_nlt_f32_e64 s8, v40, v31
	v_dual_cndmask_b32 v41, v40, v31, s8 :: v_dual_cndmask_b32 v37, v30, v42, s7
	v_cndmask_b32_e64 v30, v31, v40, s8
	s_delay_alu instid0(VALU_DEP_2) | instskip(NEXT) | instid1(VALU_DEP_1)
	v_cmp_nlt_f32_e64 s9, v41, v36
	v_cndmask_b32_e64 v43, v41, v36, s9
	s_and_b32 s8, s8, s9
	s_delay_alu instid0(VALU_DEP_1) | instskip(NEXT) | instid1(VALU_DEP_1)
	v_cmp_nlt_f32_e64 s10, v43, v39
	v_dual_cndmask_b32 v31, v36, v41, s9 :: v_dual_cndmask_b32 v36, v39, v43, s10
	v_cndmask_b32_e64 v44, v43, v39, s10
	s_and_b32 s8, s8, s10
	s_delay_alu instid0(VALU_DEP_1) | instskip(NEXT) | instid1(VALU_DEP_1)
	v_cmp_nlt_f32_e64 s11, v44, v22
	v_cndmask_b32_e64 v42, v44, v22, s11
	s_and_b32 s9, s8, s11
	s_delay_alu instid0(VALU_DEP_1) | instskip(NEXT) | instid1(VALU_DEP_1)
	v_cmp_nlt_f32_e64 s6, v42, v38
	v_cndmask_b32_e64 v40, v42, v38, s6
	s_delay_alu instid0(VALU_DEP_1) | instskip(NEXT) | instid1(VALU_DEP_1)
	v_cmp_nlt_f32_e64 s7, v40, v28
	v_cndmask_b32_e64 v41, v40, v28, s7
	v_cndmask_b32_e64 v39, v22, v44, s11
	;; [unrolled: 1-line block ×3, first 2 shown]
	s_and_b32 s6, s9, s6
	s_delay_alu instid0(VALU_DEP_3)
	v_cmp_nlt_f32_e64 s8, v41, v29
	s_and_b32 s6, s6, s7
	v_cndmask_b32_e64 v38, v28, v40, s7
	s_and_b32 s6, s6, s8
	v_cndmask_b32_e64 v28, v29, v41, s8
	;; [unrolled: 2-line block ×3, first 2 shown]
	s_and_b32 s5, s6, s5
	s_delay_alu instid0(SALU_CYCLE_1) | instskip(NEXT) | instid1(SALU_CYCLE_1)
	s_and_b32 s5, exec_lo, s5
	s_or_b32 s35, s5, s35
	s_delay_alu instid0(SALU_CYCLE_1)
	s_and_not1_b32 exec_lo, exec_lo, s35
	s_cbranch_execnz .LBB180_232
; %bb.233:                              ;   in Loop: Header=BB180_145 Depth=1
	s_or_b32 exec_lo, exec_lo, s35
	v_add_f32_e32 v26, -1.0, v26
	v_cmp_class_f32_e64 s6, v16, 0x204
	s_delay_alu instid0(VALU_DEP_2) | instskip(NEXT) | instid1(VALU_DEP_1)
	v_add_f32_e32 v26, v26, v27
	v_add_f32_e32 v9, v26, v9
	s_delay_alu instid0(VALU_DEP_1) | instskip(NEXT) | instid1(VALU_DEP_1)
	v_add_f32_e32 v9, v9, v37
	v_add_f32_e32 v9, v9, v30
	s_delay_alu instid0(VALU_DEP_1) | instskip(NEXT) | instid1(VALU_DEP_1)
	;; [unrolled: 3-line block ×5, first 2 shown]
	v_add_f32_e32 v26, v29, v9
	v_add_f32_e32 v29, 1.0, v26
	s_delay_alu instid0(VALU_DEP_1) | instskip(SKIP_2) | instid1(VALU_DEP_2)
	v_cvt_f64_f32_e32 v[30:31], v29
	v_frexp_mant_f32_e32 v22, v29
	v_add_f32_e32 v27, -1.0, v29
	v_cmp_gt_f32_e32 vcc_lo, 0x3f2aaaab, v22
	s_delay_alu instid0(VALU_DEP_2) | instskip(SKIP_1) | instid1(VALU_DEP_1)
	v_mov_b32_e32 v28, v27
	v_frexp_exp_i32_f64_e32 v9, v[30:31]
	v_subrev_co_ci_u32_e64 v9, null, 0, v9, vcc_lo
	s_delay_alu instid0(VALU_DEP_1) | instskip(NEXT) | instid1(VALU_DEP_4)
	v_sub_nc_u32_e32 v22, 0, v9
	v_pk_add_f32 v[30:31], v[26:27], v[28:29] neg_lo:[0,1] neg_hi:[0,1]
	v_cmp_neq_f32_e32 vcc_lo, 0x7f800000, v26
	v_cmp_neq_f32_e64 s5, -1.0, v26
	s_delay_alu instid0(VALU_DEP_4) | instskip(NEXT) | instid1(VALU_DEP_4)
	v_ldexp_f32 v27, v29, v22
	v_add_f32_e32 v28, 1.0, v31
	s_delay_alu instid0(VALU_DEP_1) | instskip(NEXT) | instid1(VALU_DEP_1)
	v_dual_add_f32 v31, 1.0, v27 :: v_dual_add_f32 v28, v30, v28
	v_add_f32_e32 v29, -1.0, v31
	v_add_f32_e32 v37, -1.0, v27
	s_delay_alu instid0(VALU_DEP_3) | instskip(NEXT) | instid1(VALU_DEP_3)
	v_ldexp_f32 v22, v28, v22
	v_sub_f32_e32 v28, v27, v29
	s_delay_alu instid0(VALU_DEP_1) | instskip(NEXT) | instid1(VALU_DEP_1)
	v_dual_add_f32 v29, 1.0, v37 :: v_dual_add_f32 v28, v22, v28
	v_sub_f32_e32 v27, v27, v29
	s_delay_alu instid0(VALU_DEP_1) | instskip(NEXT) | instid1(VALU_DEP_1)
	v_dual_add_f32 v38, v31, v28 :: v_dual_add_f32 v22, v22, v27
	v_rcp_f32_e32 v27, v38
	s_delay_alu instid0(VALU_DEP_1)
	v_add_f32_e32 v29, v37, v22
	s_delay_alu instid0(TRANS32_DEP_1) | instid1(VALU_DEP_1)
	v_mul_f32_e32 v39, v29, v27
	s_delay_alu instid0(VALU_DEP_1) | instskip(NEXT) | instid1(VALU_DEP_1)
	v_mul_f32_e32 v30, v38, v39
	v_dual_sub_f32 v31, v38, v31 :: v_dual_fma_f32 v36, v39, v38, -v30
	s_delay_alu instid0(VALU_DEP_1) | instskip(NEXT) | instid1(VALU_DEP_1)
	v_sub_f32_e32 v40, v28, v31
	v_fmac_f32_e32 v36, v39, v40
	s_delay_alu instid0(VALU_DEP_1) | instskip(NEXT) | instid1(VALU_DEP_1)
	v_dual_add_f32 v28, v30, v36 :: v_dual_sub_f32 v41, v29, v37
	v_dual_mov_b32 v37, v28 :: v_dual_sub_f32 v31, v29, v28
	s_delay_alu instid0(VALU_DEP_2) | instskip(NEXT) | instid1(VALU_DEP_2)
	v_sub_f32_e32 v22, v22, v41
	v_pk_add_f32 v[28:29], v[28:29], v[30:31] neg_lo:[0,1] neg_hi:[0,1]
	s_delay_alu instid0(VALU_DEP_1) | instskip(NEXT) | instid1(VALU_DEP_1)
	v_pk_add_f32 v[28:29], v[28:29], v[36:37] neg_lo:[0,1] neg_hi:[0,1]
	v_add_f32_e32 v22, v22, v29
	s_delay_alu instid0(VALU_DEP_1) | instskip(NEXT) | instid1(VALU_DEP_1)
	v_add_f32_e32 v22, v28, v22
	v_add_f32_e32 v29, v31, v22
	s_delay_alu instid0(VALU_DEP_1) | instskip(NEXT) | instid1(VALU_DEP_1)
	v_mul_f32_e32 v41, v27, v29
	v_mul_f32_e32 v36, v38, v41
	s_delay_alu instid0(VALU_DEP_1) | instskip(NEXT) | instid1(VALU_DEP_1)
	v_fma_f32 v30, v41, v38, -v36
	v_dual_fmac_f32 v30, v41, v40 :: v_dual_sub_f32 v38, v31, v29
	s_delay_alu instid0(VALU_DEP_1) | instskip(NEXT) | instid1(VALU_DEP_2)
	v_add_f32_e32 v28, v36, v30
	v_dual_add_f32 v22, v22, v38 :: v_dual_add_f32 v38, v39, v41
	s_delay_alu instid0(VALU_DEP_2) | instskip(NEXT) | instid1(VALU_DEP_1)
	v_dual_sub_f32 v37, v29, v28 :: v_dual_mov_b32 v31, v28
	v_pk_add_f32 v[28:29], v[28:29], v[36:37] neg_lo:[0,1] neg_hi:[0,1]
	s_delay_alu instid0(VALU_DEP_1) | instskip(NEXT) | instid1(VALU_DEP_1)
	v_pk_add_f32 v[28:29], v[28:29], v[30:31] neg_lo:[0,1] neg_hi:[0,1]
	v_add_f32_e32 v22, v22, v29
	s_delay_alu instid0(VALU_DEP_1) | instskip(NEXT) | instid1(VALU_DEP_1)
	v_dual_add_f32 v22, v28, v22 :: v_dual_sub_f32 v28, v38, v39
	v_add_f32_e32 v22, v37, v22
	s_delay_alu instid0(VALU_DEP_1) | instskip(NEXT) | instid1(VALU_DEP_1)
	v_dual_sub_f32 v28, v41, v28 :: v_dual_mul_f32 v22, v27, v22
	v_add_f32_e32 v22, v28, v22
	v_cvt_f32_i32_e32 v28, v9
	s_delay_alu instid0(VALU_DEP_2) | instskip(NEXT) | instid1(VALU_DEP_1)
	v_add_f32_e32 v27, v38, v22
	v_mul_f32_e32 v30, v27, v27
	s_delay_alu instid0(VALU_DEP_1) | instskip(SKIP_1) | instid1(VALU_DEP_2)
	v_fmaak_f32 v31, s26, v30, 0x3ecc95a3
	v_mul_f32_e32 v29, v27, v30
	v_fmaak_f32 v9, v30, v31, 0x3f2aaada
	s_delay_alu instid0(VALU_DEP_1) | instskip(NEXT) | instid1(VALU_DEP_1)
	v_pk_mul_f32 v[30:31], v[28:29], v[8:9]
	v_fma_f32 v36, 0x3f317218, v28, -v30
	s_delay_alu instid0(VALU_DEP_1) | instskip(SKIP_1) | instid1(VALU_DEP_1)
	v_fmac_f32_e32 v36, 0xb102e308, v28
	v_ldexp_f32 v37, v27, 1
	v_pk_add_f32 v[28:29], v[30:31], v[36:37]
	v_dual_sub_f32 v9, v27, v38 :: v_dual_mov_b32 v38, v30
	s_delay_alu instid0(VALU_DEP_1) | instskip(NEXT) | instid1(VALU_DEP_3)
	v_dual_mov_b32 v46, v29 :: v_dual_sub_f32 v9, v22, v9
	v_dual_sub_f32 v22, v29, v37 :: v_dual_mov_b32 v37, v28
	s_delay_alu instid0(VALU_DEP_2) | instskip(NEXT) | instid1(VALU_DEP_2)
	v_ldexp_f32 v9, v9, 1
	v_sub_f32_e32 v22, v31, v22
	v_pk_add_f32 v[30:31], v[28:29], v[30:31] neg_lo:[0,1] neg_hi:[0,1]
	s_delay_alu instid0(VALU_DEP_2) | instskip(SKIP_2) | instid1(VALU_DEP_1)
	v_add_f32_e32 v39, v9, v22
	v_max_num_f32_e64 v9, |v17|, |v17|
	v_max_num_f32_e64 v22, |v16|, |v16|
	v_max_num_f32_e32 v27, v22, v9
	s_delay_alu instid0(VALU_DEP_4) | instskip(NEXT) | instid1(VALU_DEP_2)
	v_pk_add_f32 v[40:41], v[28:29], v[38:39]
	v_frexp_exp_i32_f32_e32 v38, v27
	s_delay_alu instid0(VALU_DEP_2) | instskip(SKIP_1) | instid1(VALU_DEP_2)
	v_mov_b32_e32 v31, v41
	v_frexp_mant_f32_e32 v27, v27
	v_pk_add_f32 v[42:43], v[36:37], v[30:31]
	v_min_num_f32_e32 v9, v22, v9
	v_pk_add_f32 v[30:31], v[36:37], v[30:31] neg_lo:[0,1] neg_hi:[0,1]
	s_delay_alu instid0(VALU_DEP_4) | instskip(NEXT) | instid1(VALU_DEP_3)
	v_rcp_f32_e32 v27, v27
	v_mov_b32_e32 v22, v43
	s_delay_alu instid0(VALU_DEP_3) | instskip(SKIP_2) | instid1(VALU_DEP_4)
	v_frexp_exp_i32_f32_e32 v42, v9
	v_frexp_mant_f32_e32 v48, v9
	v_mov_b32_e32 v31, v43
	v_pk_add_f32 v[44:45], v[22:23], v[28:29] neg_lo:[0,1] neg_hi:[0,1]
	s_delay_alu instid0(VALU_DEP_4) | instskip(SKIP_1) | instid1(VALU_DEP_3)
	v_dual_mov_b32 v42, v41 :: v_dual_sub_nc_u32 v45, v42, v38
	v_dual_mov_b32 v29, v28 :: v_dual_mov_b32 v28, v39
	v_dual_mov_b32 v47, v44 :: v_dual_mov_b32 v9, v44
	s_delay_alu instid0(VALU_DEP_1) | instskip(NEXT) | instid1(VALU_DEP_2)
	v_pk_add_f32 v[36:37], v[42:43], v[46:47] neg_lo:[0,1] neg_hi:[0,1]
	v_pk_add_f32 v[38:39], v[40:41], v[8:9] neg_lo:[0,1] neg_hi:[0,1]
	v_mov_b32_e32 v38, v30
	s_delay_alu instid0(VALU_DEP_3) | instskip(NEXT) | instid1(VALU_DEP_1)
	v_pk_add_f32 v[28:29], v[28:29], v[36:37] neg_lo:[0,1] neg_hi:[0,1]
	v_pk_add_f32 v[36:37], v[38:39], v[28:29]
	s_delay_alu instid0(VALU_DEP_1) | instskip(NEXT) | instid1(VALU_DEP_1)
	v_dual_mul_f32 v27, v48, v27 :: v_dual_mov_b32 v38, v37
	v_ldexp_f32 v9, v27, v45
	s_delay_alu instid0(VALU_DEP_2) | instskip(NEXT) | instid1(VALU_DEP_2)
	v_pk_add_f32 v[38:39], v[36:37], v[38:39]
	v_mul_f32_e32 v27, v9, v9
	s_delay_alu instid0(VALU_DEP_2) | instskip(NEXT) | instid1(VALU_DEP_1)
	v_pk_add_f32 v[40:41], v[22:23], v[38:39]
	v_mov_b32_e32 v37, v40
	s_delay_alu instid0(VALU_DEP_1) | instskip(NEXT) | instid1(VALU_DEP_1)
	v_pk_add_f32 v[42:43], v[36:37], v[30:31] neg_lo:[0,1] neg_hi:[0,1]
	v_sub_f32_e32 v31, v36, v42
	s_delay_alu instid0(VALU_DEP_1) | instskip(SKIP_1) | instid1(VALU_DEP_1)
	v_sub_f32_e32 v30, v30, v31
	v_fmaak_f32 v29, s27, v27, 0xbc7a590c
	v_fmaak_f32 v29, v27, v29, 0x3d29fb3f
	s_delay_alu instid0(VALU_DEP_1) | instskip(NEXT) | instid1(VALU_DEP_1)
	v_dual_fmaak_f32 v22, v27, v29, 0xbd97d4d7 :: v_dual_mov_b32 v29, v38
	v_fmaak_f32 v22, v27, v22, 0x3dd931b2
	s_delay_alu instid0(VALU_DEP_2) | instskip(NEXT) | instid1(VALU_DEP_1)
	v_pk_add_f32 v[28:29], v[28:29], v[42:43] neg_lo:[0,1] neg_hi:[0,1]
	v_add_f32_e32 v28, v28, v30
	s_delay_alu instid0(VALU_DEP_3) | instskip(NEXT) | instid1(VALU_DEP_1)
	v_fmaak_f32 v22, v27, v22, 0xbe1160e6
	v_fmaak_f32 v22, v27, v22, 0x3e4cb8bf
	s_delay_alu instid0(VALU_DEP_1) | instskip(NEXT) | instid1(VALU_DEP_1)
	v_fmaak_f32 v22, v27, v22, 0xbeaaaa62
	v_dual_mul_f32 v22, v27, v22 :: v_dual_add_f32 v27, v28, v29
	s_delay_alu instid0(VALU_DEP_1) | instskip(NEXT) | instid1(VALU_DEP_1)
	v_dual_fmac_f32 v9, v9, v22 :: v_dual_add_f32 v22, v40, v27
	v_sub_f32_e32 v27, 0x3fc90fdb, v9
	s_delay_alu instid0(VALU_DEP_2) | instskip(SKIP_1) | instid1(VALU_DEP_3)
	v_cndmask_b32_e32 v22, 0x7f800000, v22, vcc_lo
	v_cmp_gt_i32_e32 vcc_lo, 0, v16
	v_cndmask_b32_e64 v9, v9, v27, s4
	v_cndmask_b32_e64 v27, 0, 0x40490fdb, vcc_lo
	v_cmp_ngt_f32_e32 vcc_lo, -1.0, v26
	s_delay_alu instid0(VALU_DEP_3) | instskip(SKIP_2) | instid1(VALU_DEP_2)
	v_sub_f32_e32 v28, 0x40490fdb, v9
	v_cndmask_b32_e32 v22, 0x7fc00000, v22, vcc_lo
	v_cmp_gt_f32_e32 vcc_lo, 0, v16
	v_cndmask_b32_e64 v16, 0xff800000, v22, s5
	s_delay_alu instid0(VALU_DEP_4)
	v_cndmask_b32_e32 v9, v9, v28, vcc_lo
	v_cndmask_b32_e32 v28, 0x3f490fdb, v32, vcc_lo
	v_cmp_gt_f32_e64 vcc_lo, 0x33800000, |v26|
	v_cmp_class_f32_e64 s5, v17, 0x204
	v_cndmask_b32_e32 v16, v16, v26, vcc_lo
	v_cmp_eq_f32_e32 vcc_lo, 0, v17
	v_cndmask_b32_e32 v9, v9, v27, vcc_lo
	s_and_b32 vcc_lo, s5, s6
	s_delay_alu instid0(VALU_DEP_1)
	v_cndmask_b32_e32 v36, v9, v28, vcc_lo
	v_mul_f32_e32 v22, 0.5, v16
.LBB180_234:                            ;   in Loop: Header=BB180_145 Depth=1
	s_or_b32 exec_lo, exec_lo, s34
.LBB180_235:                            ;   in Loop: Header=BB180_145 Depth=1
	s_delay_alu instid0(SALU_CYCLE_1)
	s_or_b32 exec_lo, exec_lo, s33
.LBB180_236:                            ;   in Loop: Header=BB180_145 Depth=1
	s_and_not1_saveexec_b32 s6, s31
	s_cbranch_execz .LBB180_238
; %bb.237:                              ;   in Loop: Header=BB180_145 Depth=1
	v_max_num_f32_e64 v9, |v17|, |v17|
	v_max_num_f32_e64 v22, |v16|, |v16|
	v_cmp_gt_i32_e64 s5, 0, v16
	v_cmp_class_f32_e64 s7, v16, 0x204
	v_cmp_class_f32_e64 s8, v17, 0x204
	s_delay_alu instid0(VALU_DEP_4) | instskip(NEXT) | instid1(VALU_DEP_1)
	v_dual_max_num_f32 v28, v22, v9 :: v_dual_min_num_f32 v9, v22, v9
	v_cvt_f64_f32_e32 v[26:27], v28
	v_frexp_exp_i32_f32_e32 v22, v28
	s_delay_alu instid0(VALU_DEP_3) | instskip(SKIP_2) | instid1(VALU_DEP_3)
	v_frexp_exp_i32_f32_e32 v29, v9
	v_frexp_mant_f32_e32 v9, v9
	v_cmp_neq_f32_e32 vcc_lo, 0x7f800000, v28
	v_sub_nc_u32_e32 v22, v29, v22
	v_frexp_exp_i32_f64_e32 v26, v[26:27]
	v_frexp_mant_f32_e32 v27, v28
	s_delay_alu instid0(VALU_DEP_1) | instskip(SKIP_1) | instid1(TRANS32_DEP_1)
	v_rcp_f32_e32 v27, v27
	v_nop
	v_mul_f32_e32 v9, v9, v27
	s_delay_alu instid0(VALU_DEP_1) | instskip(SKIP_1) | instid1(VALU_DEP_1)
	v_ldexp_f32 v9, v9, v22
	v_sub_nc_u32_e32 v22, 0, v26
	v_ldexp_f32 v29, |v17|, v22
	v_ldexp_f32 v22, |v16|, v22
	s_delay_alu instid0(VALU_DEP_2) | instskip(NEXT) | instid1(VALU_DEP_1)
	v_mul_f32_e32 v29, v29, v29
	v_dual_mul_f32 v27, v9, v9 :: v_dual_fmac_f32 v29, v22, v22
	s_delay_alu instid0(VALU_DEP_1) | instskip(NEXT) | instid1(VALU_DEP_2)
	v_fmaak_f32 v30, s27, v27, 0xbc7a590c
	v_sqrt_f32_e32 v29, v29
	s_delay_alu instid0(VALU_DEP_1) | instskip(NEXT) | instid1(VALU_DEP_1)
	v_fmaak_f32 v30, v27, v30, 0x3d29fb3f
	v_fmaak_f32 v22, v27, v30, 0xbd97d4d7
	s_delay_alu instid0(TRANS32_DEP_1) | instskip(NEXT) | instid1(VALU_DEP_2)
	v_ldexp_f32 v26, v29, v26
	v_fmaak_f32 v22, v27, v22, 0x3dd931b2
	s_delay_alu instid0(VALU_DEP_2) | instskip(NEXT) | instid1(VALU_DEP_2)
	v_cndmask_b32_e32 v26, 0x7f800000, v26, vcc_lo
	v_fmaak_f32 v22, v27, v22, 0xbe1160e6
	s_delay_alu instid0(VALU_DEP_2) | instskip(NEXT) | instid1(VALU_DEP_2)
	v_cmp_gt_f32_e32 vcc_lo, 0x800000, v26
	v_fmaak_f32 v22, v27, v22, 0x3e4cb8bf
	v_cndmask_b32_e64 v28, 0, 32, vcc_lo
	s_delay_alu instid0(VALU_DEP_2) | instskip(NEXT) | instid1(VALU_DEP_2)
	v_fmaak_f32 v22, v27, v22, 0xbeaaaa62
	v_ldexp_f32 v26, v26, v28
	s_delay_alu instid0(VALU_DEP_2) | instskip(NEXT) | instid1(VALU_DEP_2)
	v_mul_f32_e32 v22, v27, v22
	v_log_f32_e32 v26, v26
	s_delay_alu instid0(VALU_DEP_1) | instskip(NEXT) | instid1(TRANS32_DEP_1)
	v_fmac_f32_e32 v9, v9, v22
	v_mul_f32_e32 v22, 0x3f317217, v26
	s_delay_alu instid0(VALU_DEP_2) | instskip(NEXT) | instid1(VALU_DEP_2)
	v_sub_f32_e32 v27, 0x3fc90fdb, v9
	v_fma_f32 v22, 0x3f317217, v26, -v22
	s_delay_alu instid0(VALU_DEP_1) | instskip(NEXT) | instid1(VALU_DEP_1)
	v_fmac_f32_e32 v22, 0x3377d1cf, v26
	v_fmac_f32_e32 v22, 0x3f317217, v26
	s_delay_alu instid0(VALU_DEP_4) | instskip(SKIP_2) | instid1(VALU_DEP_3)
	v_cndmask_b32_e64 v9, v9, v27, s4
	v_cndmask_b32_e64 v27, 0, 0x40490fdb, s5
	v_cmp_gt_f32_e64 s5, 0, v16
	v_sub_f32_e32 v28, 0x40490fdb, v9
	s_delay_alu instid0(VALU_DEP_2) | instskip(NEXT) | instid1(VALU_DEP_2)
	v_cndmask_b32_e64 v16, 0x3f490fdb, v32, s5
	v_cndmask_b32_e64 v9, v9, v28, s5
	v_cndmask_b32_e64 v28, 0, 0x41b17218, vcc_lo
	v_cmp_gt_f32_e64 vcc_lo, 0x7f800000, |v26|
	v_cndmask_b32_e32 v22, v26, v22, vcc_lo
	v_cmp_eq_f32_e32 vcc_lo, 0, v17
	s_delay_alu instid0(VALU_DEP_2) | instskip(SKIP_1) | instid1(VALU_DEP_1)
	v_dual_sub_f32 v22, v22, v28 :: v_dual_cndmask_b32 v9, v9, v27
	s_and_b32 vcc_lo, s8, s7
	v_cndmask_b32_e32 v36, v9, v16, vcc_lo
.LBB180_238:                            ;   in Loop: Header=BB180_145 Depth=1
	s_or_b32 exec_lo, exec_lo, s6
                                        ; implicit-def: $vgpr26
.LBB180_239:                            ;   in Loop: Header=BB180_145 Depth=1
	s_and_not1_saveexec_b32 s6, s30
	s_cbranch_execz .LBB180_245
; %bb.240:                              ;   in Loop: Header=BB180_145 Depth=1
                                        ; implicit-def: $vgpr22
                                        ; implicit-def: $vgpr36
	s_mov_b32 s5, exec_lo
	v_cmpx_ngt_f32_e32 0x1fec1e4a, v26
	s_xor_b32 s7, exec_lo, s5
	s_cbranch_execz .LBB180_242
; %bb.241:                              ;   in Loop: Header=BB180_145 Depth=1
	v_pk_mul_f32 v[26:27], v[26:27], v[26:27]
	v_max_num_f32_e64 v42, |v16|, |v16|
	v_cmp_class_f32_e64 s8, v16, 0x204
	s_delay_alu instid0(VALU_DEP_3) | instskip(SKIP_1) | instid1(VALU_DEP_2)
	v_add_f32_e32 v29, 1.0, v26
	v_cmp_neq_f32_e64 s5, 0x7f800000, v26
	v_add_f32_e32 v27, -1.0, v29
	s_delay_alu instid0(VALU_DEP_1) | instskip(SKIP_2) | instid1(VALU_DEP_1)
	v_mov_b32_e32 v28, v27
	v_cvt_f64_f32_e32 v[30:31], v29
	v_frexp_mant_f32_e32 v22, v29
	v_cmp_gt_f32_e32 vcc_lo, 0x3f2aaaab, v22
	s_delay_alu instid0(VALU_DEP_3) | instskip(SKIP_1) | instid1(VALU_DEP_1)
	v_frexp_exp_i32_f64_e32 v9, v[30:31]
	v_pk_add_f32 v[30:31], v[26:27], v[28:29] neg_lo:[0,1] neg_hi:[0,1]
	v_add_f32_e32 v28, 1.0, v31
	s_delay_alu instid0(VALU_DEP_3) | instskip(SKIP_1) | instid1(VALU_DEP_2)
	v_subrev_co_ci_u32_e64 v9, null, 0, v9, vcc_lo
	v_cmp_gt_i32_e32 vcc_lo, 0, v16
	v_sub_nc_u32_e32 v22, 0, v9
	s_delay_alu instid0(VALU_DEP_1) | instskip(NEXT) | instid1(VALU_DEP_1)
	v_ldexp_f32 v27, v29, v22
	v_dual_add_f32 v31, 1.0, v27 :: v_dual_add_f32 v28, v30, v28
	s_delay_alu instid0(VALU_DEP_1) | instskip(SKIP_1) | instid1(VALU_DEP_3)
	v_add_f32_e32 v29, -1.0, v31
	v_add_f32_e32 v37, -1.0, v27
	v_ldexp_f32 v22, v28, v22
	s_delay_alu instid0(VALU_DEP_3) | instskip(NEXT) | instid1(VALU_DEP_1)
	v_sub_f32_e32 v28, v27, v29
	v_dual_add_f32 v29, 1.0, v37 :: v_dual_add_f32 v28, v22, v28
	s_delay_alu instid0(VALU_DEP_1) | instskip(NEXT) | instid1(VALU_DEP_1)
	v_sub_f32_e32 v27, v27, v29
	v_dual_add_f32 v38, v31, v28 :: v_dual_add_f32 v22, v22, v27
	s_delay_alu instid0(VALU_DEP_1) | instskip(NEXT) | instid1(VALU_DEP_1)
	v_rcp_f32_e32 v27, v38
	v_add_f32_e32 v29, v37, v22
	s_delay_alu instid0(VALU_DEP_1) | instskip(NEXT) | instid1(TRANS32_DEP_1)
	v_dual_sub_f32 v31, v31, v38 :: v_dual_sub_f32 v41, v37, v29
	v_mul_f32_e32 v39, v29, v27
	s_delay_alu instid0(VALU_DEP_2) | instskip(NEXT) | instid1(VALU_DEP_2)
	v_dual_add_f32 v40, v28, v31 :: v_dual_add_f32 v22, v22, v41
	v_mul_f32_e32 v30, v38, v39
	s_delay_alu instid0(VALU_DEP_1) | instskip(NEXT) | instid1(VALU_DEP_1)
	v_fma_f32 v36, v39, v38, -v30
	v_fmac_f32_e32 v36, v39, v40
	s_delay_alu instid0(VALU_DEP_1) | instskip(NEXT) | instid1(VALU_DEP_1)
	v_add_f32_e32 v28, v30, v36
	v_dual_sub_f32 v31, v29, v28 :: v_dual_mov_b32 v37, v28
	s_delay_alu instid0(VALU_DEP_1) | instskip(NEXT) | instid1(VALU_DEP_1)
	v_pk_add_f32 v[28:29], v[28:29], v[30:31] neg_lo:[0,1] neg_hi:[0,1]
	v_pk_add_f32 v[28:29], v[28:29], v[36:37] neg_lo:[0,1] neg_hi:[0,1]
	s_delay_alu instid0(VALU_DEP_1) | instskip(NEXT) | instid1(VALU_DEP_1)
	v_add_f32_e32 v22, v22, v29
	v_add_f32_e32 v22, v28, v22
	s_delay_alu instid0(VALU_DEP_1) | instskip(NEXT) | instid1(VALU_DEP_1)
	v_add_f32_e32 v29, v31, v22
	v_mul_f32_e32 v41, v27, v29
	s_delay_alu instid0(VALU_DEP_1) | instskip(NEXT) | instid1(VALU_DEP_1)
	v_mul_f32_e32 v36, v38, v41
	v_fma_f32 v30, v41, v38, -v36
	s_delay_alu instid0(VALU_DEP_1) | instskip(NEXT) | instid1(VALU_DEP_1)
	v_dual_fmac_f32 v30, v41, v40 :: v_dual_sub_f32 v38, v31, v29
	v_add_f32_e32 v28, v36, v30
	s_delay_alu instid0(VALU_DEP_2) | instskip(NEXT) | instid1(VALU_DEP_2)
	v_dual_add_f32 v22, v22, v38 :: v_dual_add_f32 v38, v39, v41
	v_dual_sub_f32 v37, v29, v28 :: v_dual_mov_b32 v31, v28
	s_delay_alu instid0(VALU_DEP_1) | instskip(NEXT) | instid1(VALU_DEP_1)
	v_pk_add_f32 v[28:29], v[28:29], v[36:37] neg_lo:[0,1] neg_hi:[0,1]
	v_pk_add_f32 v[28:29], v[28:29], v[30:31] neg_lo:[0,1] neg_hi:[0,1]
	s_delay_alu instid0(VALU_DEP_1) | instskip(NEXT) | instid1(VALU_DEP_1)
	v_add_f32_e32 v22, v22, v29
	v_dual_add_f32 v22, v28, v22 :: v_dual_sub_f32 v28, v38, v39
	s_delay_alu instid0(VALU_DEP_1) | instskip(NEXT) | instid1(VALU_DEP_1)
	v_add_f32_e32 v22, v37, v22
	v_dual_sub_f32 v28, v41, v28 :: v_dual_mul_f32 v22, v27, v22
	s_delay_alu instid0(VALU_DEP_1) | instskip(SKIP_1) | instid1(VALU_DEP_2)
	v_add_f32_e32 v22, v28, v22
	v_cvt_f32_i32_e32 v28, v9
	v_add_f32_e32 v27, v38, v22
	s_delay_alu instid0(VALU_DEP_1) | instskip(NEXT) | instid1(VALU_DEP_1)
	v_mul_f32_e32 v30, v27, v27
	v_fmaak_f32 v31, s26, v30, 0x3ecc95a3
	v_mul_f32_e32 v29, v27, v30
	s_delay_alu instid0(VALU_DEP_2) | instskip(NEXT) | instid1(VALU_DEP_1)
	v_fmaak_f32 v9, v30, v31, 0x3f2aaada
	v_pk_mul_f32 v[30:31], v[28:29], v[8:9]
	s_delay_alu instid0(VALU_DEP_1) | instskip(NEXT) | instid1(VALU_DEP_1)
	v_fma_f32 v36, 0x3f317218, v28, -v30
	v_fmac_f32_e32 v36, 0xb102e308, v28
	v_ldexp_f32 v37, v27, 1
	s_delay_alu instid0(VALU_DEP_1) | instskip(SKIP_2) | instid1(VALU_DEP_2)
	v_pk_add_f32 v[28:29], v[30:31], v[36:37]
	v_dual_sub_f32 v9, v27, v38 :: v_dual_mov_b32 v38, v30
	v_max_num_f32_e64 v27, |v17|, |v17|
	v_sub_f32_e32 v9, v22, v9
	s_delay_alu instid0(VALU_DEP_4) | instskip(NEXT) | instid1(VALU_DEP_2)
	v_dual_sub_f32 v22, v29, v37 :: v_dual_mov_b32 v37, v28
	v_ldexp_f32 v9, v9, 1
	s_delay_alu instid0(VALU_DEP_2) | instskip(SKIP_1) | instid1(VALU_DEP_2)
	v_sub_f32_e32 v22, v31, v22
	v_pk_add_f32 v[30:31], v[28:29], v[30:31] neg_lo:[0,1] neg_hi:[0,1]
	v_dual_add_f32 v39, v9, v22 :: v_dual_max_num_f32 v9, v42, v27
	v_min_num_f32_e32 v27, v42, v27
	s_delay_alu instid0(VALU_DEP_2) | instskip(NEXT) | instid1(VALU_DEP_3)
	v_pk_add_f32 v[40:41], v[28:29], v[38:39]
	v_frexp_mant_f32_e32 v22, v9
	v_frexp_exp_i32_f32_e32 v9, v9
	s_delay_alu instid0(VALU_DEP_3) | instskip(NEXT) | instid1(VALU_DEP_3)
	v_dual_mov_b32 v46, v29 :: v_dual_mov_b32 v31, v41
	v_rcp_f32_e32 v38, v22
	s_delay_alu instid0(VALU_DEP_1) | instskip(SKIP_2) | instid1(VALU_DEP_2)
	v_pk_add_f32 v[42:43], v[36:37], v[30:31]
	v_frexp_exp_i32_f32_e32 v42, v27
	v_frexp_mant_f32_e32 v27, v27
	v_dual_mov_b32 v22, v43 :: v_dual_sub_nc_u32 v9, v42, v9
	s_delay_alu instid0(TRANS32_DEP_1) | instid1(VALU_DEP_2)
	v_dual_mul_f32 v27, v27, v38 :: v_dual_mov_b32 v42, v41
	v_pk_add_f32 v[30:31], v[36:37], v[30:31] neg_lo:[0,1] neg_hi:[0,1]
	s_delay_alu instid0(VALU_DEP_3) | instskip(SKIP_1) | instid1(VALU_DEP_4)
	v_pk_add_f32 v[44:45], v[22:23], v[28:29] neg_lo:[0,1] neg_hi:[0,1]
	v_mov_b32_e32 v29, v28
	v_ldexp_f32 v27, v27, v9
	s_delay_alu instid0(VALU_DEP_3) | instskip(NEXT) | instid1(VALU_DEP_2)
	v_dual_mov_b32 v28, v39 :: v_dual_mov_b32 v9, v44
	v_dual_mov_b32 v47, v44 :: v_dual_mul_f32 v44, v27, v27
	s_delay_alu instid0(VALU_DEP_2) | instskip(NEXT) | instid1(VALU_DEP_2)
	v_pk_add_f32 v[38:39], v[40:41], v[8:9] neg_lo:[0,1] neg_hi:[0,1]
	v_pk_add_f32 v[36:37], v[42:43], v[46:47] neg_lo:[0,1] neg_hi:[0,1]
	v_mov_b32_e32 v38, v30
	s_delay_alu instid0(VALU_DEP_2) | instskip(NEXT) | instid1(VALU_DEP_1)
	v_pk_add_f32 v[28:29], v[28:29], v[36:37] neg_lo:[0,1] neg_hi:[0,1]
	v_pk_add_f32 v[36:37], v[38:39], v[28:29]
	s_delay_alu instid0(VALU_DEP_1) | instskip(NEXT) | instid1(VALU_DEP_1)
	v_dual_fmaak_f32 v9, s27, v44, 0xbc7a590c :: v_dual_mov_b32 v38, v37
	v_pk_add_f32 v[38:39], v[36:37], v[38:39]
	s_delay_alu instid0(VALU_DEP_1) | instskip(NEXT) | instid1(VALU_DEP_1)
	v_pk_add_f32 v[40:41], v[22:23], v[38:39]
	v_dual_mov_b32 v31, v43 :: v_dual_mov_b32 v37, v40
	s_delay_alu instid0(VALU_DEP_1) | instskip(NEXT) | instid1(VALU_DEP_1)
	v_pk_add_f32 v[42:43], v[36:37], v[30:31] neg_lo:[0,1] neg_hi:[0,1]
	v_dual_mov_b32 v29, v38 :: v_dual_sub_f32 v22, v36, v42
	v_fmaak_f32 v9, v44, v9, 0x3d29fb3f
	s_delay_alu instid0(VALU_DEP_2) | instskip(NEXT) | instid1(VALU_DEP_2)
	v_pk_add_f32 v[28:29], v[28:29], v[42:43] neg_lo:[0,1] neg_hi:[0,1]
	v_dual_sub_f32 v22, v30, v22 :: v_dual_fmaak_f32 v9, v44, v9, 0xbd97d4d7
	s_delay_alu instid0(VALU_DEP_1) | instskip(NEXT) | instid1(VALU_DEP_1)
	v_fmaak_f32 v9, v44, v9, 0x3dd931b2
	v_fmaak_f32 v9, v44, v9, 0xbe1160e6
	s_delay_alu instid0(VALU_DEP_1) | instskip(NEXT) | instid1(VALU_DEP_1)
	v_fmaak_f32 v9, v44, v9, 0x3e4cb8bf
	v_fmaak_f32 v9, v44, v9, 0xbeaaaa62
	s_delay_alu instid0(VALU_DEP_1) | instskip(NEXT) | instid1(VALU_DEP_1)
	v_mul_f32_e32 v9, v44, v9
	v_dual_fmac_f32 v27, v27, v9 :: v_dual_add_f32 v9, v28, v22
	s_delay_alu instid0(VALU_DEP_1) | instskip(NEXT) | instid1(VALU_DEP_1)
	v_dual_sub_f32 v22, 0x3fc90fdb, v27 :: v_dual_add_f32 v9, v9, v29
	v_cndmask_b32_e64 v22, v27, v22, s4
	v_cndmask_b32_e64 v27, 0, 0x40490fdb, vcc_lo
	s_delay_alu instid0(VALU_DEP_3) | instskip(SKIP_1) | instid1(VALU_DEP_4)
	v_add_f32_e32 v9, v40, v9
	v_cmp_gt_f32_e32 vcc_lo, 0, v16
	v_sub_f32_e32 v28, 0x40490fdb, v22
	s_delay_alu instid0(VALU_DEP_3) | instskip(SKIP_1) | instid1(VALU_DEP_3)
	v_cndmask_b32_e64 v9, 0x7f800000, v9, s5
	v_cmp_class_f32_e64 s5, v17, 0x204
	v_cndmask_b32_e32 v16, v22, v28, vcc_lo
	v_cndmask_b32_e32 v28, 0x3f490fdb, v32, vcc_lo
	v_cmp_gt_f32_e64 vcc_lo, 0x33800000, |v26|
	v_cndmask_b32_e32 v9, v9, v26, vcc_lo
	v_cmp_eq_f32_e32 vcc_lo, 0, v17
                                        ; implicit-def: $vgpr26
	v_cndmask_b32_e32 v16, v16, v27, vcc_lo
	s_and_b32 vcc_lo, s5, s8
	s_delay_alu instid0(VALU_DEP_1) | instid1(SALU_CYCLE_1)
	v_dual_mul_f32 v22, 0.5, v9 :: v_dual_cndmask_b32 v36, v16, v28, vcc_lo
.LBB180_242:                            ;   in Loop: Header=BB180_145 Depth=1
	s_and_not1_saveexec_b32 s7, s7
	s_cbranch_execz .LBB180_244
; %bb.243:                              ;   in Loop: Header=BB180_145 Depth=1
	v_max_num_f32_e64 v9, |v17|, |v17|
	v_max_num_f32_e64 v22, |v16|, |v16|
	v_cmp_eq_f32_e64 s5, 0, v17
	v_cmp_gt_i32_e32 vcc_lo, 0, v16
	v_cmp_class_f32_e64 s8, v16, 0x204
	v_cmp_class_f32_e64 s9, v17, 0x204
	v_dual_max_num_f32 v27, v22, v9 :: v_dual_min_num_f32 v9, v22, v9
	s_delay_alu instid0(VALU_DEP_1) | instskip(SKIP_1) | instid1(VALU_DEP_2)
	v_frexp_mant_f32_e32 v28, v27
	v_frexp_exp_i32_f32_e32 v22, v27
	v_rcp_f32_e32 v27, v28
	v_nop
	v_frexp_exp_i32_f32_e32 v28, v9
	v_frexp_mant_f32_e32 v9, v9
	s_delay_alu instid0(TRANS32_DEP_1) | instid1(VALU_DEP_1)
	v_dual_mul_f32 v9, v9, v27 :: v_dual_sub_nc_u32 v22, v28, v22
	s_delay_alu instid0(VALU_DEP_1) | instskip(NEXT) | instid1(VALU_DEP_1)
	v_ldexp_f32 v9, v9, v22
	v_mul_f32_e32 v22, v9, v9
	s_delay_alu instid0(VALU_DEP_1) | instskip(NEXT) | instid1(VALU_DEP_1)
	v_fmaak_f32 v27, s27, v22, 0xbc7a590c
	v_fmaak_f32 v27, v22, v27, 0x3d29fb3f
	s_delay_alu instid0(VALU_DEP_1) | instskip(NEXT) | instid1(VALU_DEP_1)
	v_fmaak_f32 v27, v22, v27, 0xbd97d4d7
	v_fmaak_f32 v27, v22, v27, 0x3dd931b2
	;; [unrolled: 3-line block ×3, first 2 shown]
	s_delay_alu instid0(VALU_DEP_1) | instskip(NEXT) | instid1(VALU_DEP_1)
	v_fmaak_f32 v27, v22, v27, 0xbeaaaa62
	v_mul_f32_e32 v22, v22, v27
	v_cndmask_b32_e64 v27, 0, 0x40490fdb, vcc_lo
	v_cmp_gt_f32_e32 vcc_lo, 0, v16
	s_delay_alu instid0(VALU_DEP_3) | instskip(NEXT) | instid1(VALU_DEP_1)
	v_dual_fmac_f32 v9, v9, v22 :: v_dual_cndmask_b32 v16, 0x3f490fdb, v32
	v_sub_f32_e32 v22, 0x3fc90fdb, v9
	s_delay_alu instid0(VALU_DEP_1) | instskip(NEXT) | instid1(VALU_DEP_1)
	v_cndmask_b32_e64 v9, v9, v22, s4
	v_sub_f32_e32 v22, 0x40490fdb, v9
	s_delay_alu instid0(VALU_DEP_1) | instskip(SKIP_2) | instid1(VALU_DEP_1)
	v_cndmask_b32_e32 v9, v9, v22, vcc_lo
	v_mul_f32_e32 v22, 0.5, v26
	s_and_b32 vcc_lo, s9, s8
	v_dual_cndmask_b32 v9, v9, v27, s5 :: v_dual_mul_f32 v22, v26, v22
	s_delay_alu instid0(VALU_DEP_1)
	v_cndmask_b32_e32 v36, v9, v16, vcc_lo
.LBB180_244:                            ;   in Loop: Header=BB180_145 Depth=1
	s_or_b32 exec_lo, exec_lo, s7
.LBB180_245:                            ;   in Loop: Header=BB180_145 Depth=1
	s_delay_alu instid0(SALU_CYCLE_1)
	s_or_b32 exec_lo, exec_lo, s6
.LBB180_246:                            ;   in Loop: Header=BB180_145 Depth=1
	s_and_not1_saveexec_b32 s6, s29
	s_cbranch_execz .LBB180_248
; %bb.247:                              ;   in Loop: Header=BB180_145 Depth=1
	v_div_scale_f32 v9, null, 0x402df854, 0x402df854, v16
	v_div_scale_f32 v22, null, 0x402df854, 0x402df854, v17
	v_div_scale_f32 v30, vcc_lo, v16, 0x402df854, v16
	s_delay_alu instid0(VALU_DEP_3) | instskip(NEXT) | instid1(VALU_DEP_2)
	v_rcp_f32_e32 v26, v9
	v_rcp_f32_e32 v27, v22
	v_cmp_class_f32_e64 s7, v17, 0x204
	s_delay_alu instid0(TRANS32_DEP_2) | instskip(NEXT) | instid1(TRANS32_DEP_1)
	v_fma_f32 v28, -v9, v26, 1.0
	v_fma_f32 v29, -v22, v27, 1.0
	s_delay_alu instid0(VALU_DEP_1) | instskip(SKIP_1) | instid1(VALU_DEP_1)
	v_dual_fmac_f32 v26, v28, v26 :: v_dual_fmac_f32 v27, v29, v27
	v_div_scale_f32 v28, s5, v17, 0x402df854, v17
	v_dual_mul_f32 v29, v30, v26 :: v_dual_mul_f32 v31, v28, v27
	s_delay_alu instid0(VALU_DEP_1) | instskip(NEXT) | instid1(VALU_DEP_1)
	v_dual_fma_f32 v36, -v9, v29, v30 :: v_dual_fma_f32 v37, -v22, v31, v28
	v_dual_fmac_f32 v29, v36, v26 :: v_dual_fmac_f32 v31, v37, v27
	s_delay_alu instid0(VALU_DEP_1) | instskip(NEXT) | instid1(VALU_DEP_1)
	v_dual_fma_f32 v9, -v9, v29, v30 :: v_dual_fma_f32 v22, -v22, v31, v28
	v_div_fmas_f32 v9, v9, v26, v29
	s_mov_b32 vcc_lo, s5
	v_max_num_f32_e64 v29, |v16|, |v16|
	s_delay_alu instid0(VALU_DEP_3) | instskip(SKIP_2) | instid1(VALU_DEP_3)
	v_div_fmas_f32 v22, v22, v27, v31
	v_cmp_class_f32_e64 s5, v16, 0x204
	v_div_fixup_f32 v9, v9, 0x402df854, v16
	v_div_fixup_f32 v22, v22, 0x402df854, v17
	s_delay_alu instid0(VALU_DEP_1) | instskip(NEXT) | instid1(VALU_DEP_1)
	v_max_num_f32_e64 v28, |v9|, |v22|
	v_cvt_f64_f32_e32 v[26:27], v28
	v_cmp_neq_f32_e32 vcc_lo, 0x7f800000, v28
	s_delay_alu instid0(VALU_DEP_2) | instskip(SKIP_1) | instid1(VALU_DEP_1)
	v_frexp_exp_i32_f64_e32 v26, v[26:27]
	v_max_num_f32_e64 v27, |v17|, |v17|
	v_dual_max_num_f32 v30, v29, v27 :: v_dual_min_num_f32 v27, v29, v27
	s_delay_alu instid0(VALU_DEP_1) | instskip(SKIP_1) | instid1(VALU_DEP_2)
	v_frexp_mant_f32_e32 v31, v30
	v_frexp_exp_i32_f32_e32 v29, v30
	v_rcp_f32_e32 v30, v31
	v_nop
	v_frexp_exp_i32_f32_e32 v31, v27
	v_frexp_mant_f32_e32 v27, v27
	s_delay_alu instid0(VALU_DEP_2)
	v_sub_nc_u32_e32 v29, v31, v29
	s_delay_alu instid0(TRANS32_DEP_1) | instid1(VALU_DEP_2)
	v_mul_f32_e32 v27, v27, v30
	v_sub_nc_u32_e32 v30, 0, v26
	s_delay_alu instid0(VALU_DEP_2) | instskip(NEXT) | instid1(VALU_DEP_2)
	v_ldexp_f32 v27, v27, v29
	v_ldexp_f32 v22, |v22|, v30
	s_delay_alu instid0(VALU_DEP_2) | instskip(SKIP_1) | instid1(VALU_DEP_3)
	v_mul_f32_e32 v29, v27, v27
	v_ldexp_f32 v9, |v9|, v30
	v_mul_f32_e32 v22, v22, v22
	s_delay_alu instid0(VALU_DEP_3) | instskip(NEXT) | instid1(VALU_DEP_2)
	v_fmaak_f32 v30, s27, v29, 0xbc7a590c
	v_fmac_f32_e32 v22, v9, v9
	s_delay_alu instid0(VALU_DEP_2) | instskip(NEXT) | instid1(VALU_DEP_1)
	v_fmaak_f32 v9, v29, v30, 0x3d29fb3f
	v_fmaak_f32 v9, v29, v9, 0xbd97d4d7
	s_delay_alu instid0(VALU_DEP_1) | instskip(NEXT) | instid1(VALU_DEP_1)
	v_fmaak_f32 v9, v29, v9, 0x3dd931b2
	v_fmaak_f32 v9, v29, v9, 0xbe1160e6
	s_delay_alu instid0(VALU_DEP_1) | instskip(NEXT) | instid1(VALU_DEP_1)
	;; [unrolled: 3-line block ×3, first 2 shown]
	v_mul_f32_e32 v9, v29, v9
	v_fmac_f32_e32 v27, v27, v9
	v_sqrt_f32_e32 v22, v22
	v_nop
	s_delay_alu instid0(TRANS32_DEP_1) | instskip(NEXT) | instid1(VALU_DEP_1)
	v_ldexp_f32 v22, v22, v26
	v_cndmask_b32_e32 v22, 0x7f800000, v22, vcc_lo
	s_delay_alu instid0(VALU_DEP_1) | instskip(SKIP_2) | instid1(VALU_DEP_2)
	v_cmp_gt_f32_e32 vcc_lo, 0x800000, v22
	v_cndmask_b32_e64 v26, 0, 32, vcc_lo
	v_cndmask_b32_e64 v29, 0, 0x41b17218, vcc_lo
	v_ldexp_f32 v22, v22, v26
	s_delay_alu instid0(VALU_DEP_1) | instskip(SKIP_1) | instid1(TRANS32_DEP_1)
	v_log_f32_e32 v22, v22
	v_nop
	v_mul_f32_e32 v26, 0x3f317217, v22
	v_cmp_gt_f32_e64 vcc_lo, 0x7f800000, |v22|
	s_delay_alu instid0(VALU_DEP_2) | instskip(NEXT) | instid1(VALU_DEP_1)
	v_fma_f32 v9, 0x3f317217, v22, -v26
	v_fmac_f32_e32 v9, 0x3377d1cf, v22
	s_delay_alu instid0(VALU_DEP_1) | instskip(NEXT) | instid1(VALU_DEP_1)
	v_fmac_f32_e32 v9, 0x3f317217, v22
	v_dual_sub_f32 v26, 0x3fc90fdb, v27 :: v_dual_cndmask_b32 v9, v22, v9
	v_cmp_eq_f32_e32 vcc_lo, 0, v17
	s_delay_alu instid0(VALU_DEP_2) | instskip(SKIP_1) | instid1(VALU_DEP_2)
	v_dual_sub_f32 v9, v9, v29 :: v_dual_cndmask_b32 v26, v27, v26, s4
	v_cmp_gt_i32_e64 s4, 0, v16
	v_add_f32_e32 v22, 1.0, v9
	s_delay_alu instid0(VALU_DEP_3) | instskip(NEXT) | instid1(VALU_DEP_3)
	v_sub_f32_e32 v28, 0x40490fdb, v26
	v_cndmask_b32_e64 v27, 0, 0x40490fdb, s4
	v_cmp_gt_f32_e64 s4, 0, v16
	s_delay_alu instid0(VALU_DEP_1) | instskip(SKIP_1) | instid1(VALU_DEP_2)
	v_cndmask_b32_e64 v16, v26, v28, s4
	v_cndmask_b32_e64 v26, 0x3f490fdb, v32, s4
	v_cndmask_b32_e32 v16, v16, v27, vcc_lo
	s_and_b32 vcc_lo, s7, s5
	s_delay_alu instid0(VALU_DEP_1)
	v_cndmask_b32_e32 v36, v16, v26, vcc_lo
.LBB180_248:                            ;   in Loop: Header=BB180_145 Depth=1
	s_or_b32 exec_lo, exec_lo, s6
.LBB180_249:                            ;   in Loop: Header=BB180_145 Depth=1
	s_and_not1_saveexec_b32 s4, s28
	s_cbranch_execz .LBB180_255
; %bb.250:                              ;   in Loop: Header=BB180_145 Depth=1
	v_cmp_ngt_f32_e64 s5, 0x20000000, |v16|
	v_cmp_ngt_f32_e64 s6, 0x20000000, |v17|
                                        ; implicit-def: $vgpr9
	s_or_b32 s5, s6, s5
	s_delay_alu instid0(SALU_CYCLE_1) | instskip(NEXT) | instid1(SALU_CYCLE_1)
	s_and_saveexec_b32 s6, s5
	s_xor_b32 s5, exec_lo, s6
; %bb.251:                              ;   in Loop: Header=BB180_145 Depth=1
	v_pk_mul_f32 v[26:27], v[16:17], v[16:17]
	s_delay_alu instid0(VALU_DEP_1)
	v_add_f32_e32 v9, v27, v26
; %bb.252:                              ;   in Loop: Header=BB180_145 Depth=1
	s_and_not1_saveexec_b32 s5, s5
; %bb.253:                              ;   in Loop: Header=BB180_145 Depth=1
	v_pk_mul_f32 v[26:27], v[16:17], 4.0 op_sel_hi:[1,0]
	s_delay_alu instid0(VALU_DEP_1) | instskip(NEXT) | instid1(VALU_DEP_1)
	v_pk_mul_f32 v[26:27], v[26:27], v[26:27]
	v_add_f32_e32 v9, v27, v26
	s_delay_alu instid0(VALU_DEP_1)
	v_mul_f32_e32 v9, 0x3d800000, v9
; %bb.254:                              ;   in Loop: Header=BB180_145 Depth=1
	s_or_b32 exec_lo, exec_lo, s5
	s_delay_alu instid0(VALU_DEP_1) | instskip(SKIP_3) | instid1(VALU_DEP_2)
	v_cmp_gt_f32_e32 vcc_lo, 0x800000, v9
	v_mov_b32_e32 v36, 0x7fc00000
	v_cndmask_b32_e64 v16, 0, 32, vcc_lo
	v_cndmask_b32_e64 v22, 0, 0x41b17218, vcc_lo
	v_ldexp_f32 v9, v9, v16
	s_delay_alu instid0(VALU_DEP_1) | instskip(SKIP_1) | instid1(TRANS32_DEP_1)
	v_log_f32_e32 v9, v9
	v_nop
	v_mul_f32_e32 v16, 0x3f317217, v9
	v_cmp_gt_f32_e64 vcc_lo, 0x7f800000, |v9|
	s_delay_alu instid0(VALU_DEP_2) | instskip(NEXT) | instid1(VALU_DEP_1)
	v_fma_f32 v16, 0x3f317217, v9, -v16
	v_fmac_f32_e32 v16, 0x3377d1cf, v9
	s_delay_alu instid0(VALU_DEP_1) | instskip(NEXT) | instid1(VALU_DEP_1)
	v_fmac_f32_e32 v16, 0x3f317217, v9
	v_cndmask_b32_e32 v9, v9, v16, vcc_lo
	s_delay_alu instid0(VALU_DEP_1)
	v_sub_f32_e32 v22, v9, v22
.LBB180_255:                            ;   in Loop: Header=BB180_145 Depth=1
	s_or_b32 exec_lo, exec_lo, s4
                                        ; implicit-def: $vgpr9
                                        ; implicit-def: $vgpr16
	s_delay_alu instid0(SALU_CYCLE_1)
	s_mov_b32 s4, exec_lo
	v_cmpx_o_f32_e32 v15, v14
	s_xor_b32 s28, exec_lo, s4
	s_cbranch_execnz .LBB180_261
; %bb.256:                              ;   in Loop: Header=BB180_145 Depth=1
	s_and_not1_saveexec_b32 s4, s28
	s_cbranch_execnz .LBB180_288
.LBB180_257:                            ;   in Loop: Header=BB180_145 Depth=1
	s_or_b32 exec_lo, exec_lo, s4
	s_and_saveexec_b32 s4, s3
	s_delay_alu instid0(SALU_CYCLE_1)
	s_xor_b32 s4, exec_lo, s4
	s_cbranch_execnz .LBB180_293
.LBB180_258:                            ;   in Loop: Header=BB180_145 Depth=1
	s_or_b32 exec_lo, exec_lo, s4
	s_and_saveexec_b32 s3, s2
	s_cbranch_execnz .LBB180_294
.LBB180_259:                            ;   in Loop: Header=BB180_145 Depth=1
	s_or_b32 exec_lo, exec_lo, s3
	s_and_saveexec_b32 s2, s1
	s_cbranch_execnz .LBB180_295
.LBB180_260:                            ;   in Loop: Header=BB180_145 Depth=1
	s_or_b32 exec_lo, exec_lo, s2
	s_and_saveexec_b32 s1, s0
	s_cbranch_execz .LBB180_144
	s_branch .LBB180_296
.LBB180_261:                            ;   in Loop: Header=BB180_145 Depth=1
	v_cmp_lt_f32_e64 s4, |v14|, |v15|
                                        ; implicit-def: $vgpr9
                                        ; implicit-def: $vgpr16
	s_mov_b32 s6, exec_lo
	v_cndmask_b32_e64 v26, v15, v14, s4
	s_delay_alu instid0(VALU_DEP_1)
	v_cmpx_nlt_f32_e64 0x77f684df, |v26|
	s_xor_b32 s29, exec_lo, s6
	s_cbranch_execz .LBB180_285
; %bb.262:                              ;   in Loop: Header=BB180_145 Depth=1
	v_cndmask_b32_e64 v9, v14, v15, s4
	v_and_b32_e32 v26, 0x7fffffff, v26
                                        ; implicit-def: $vgpr16
	s_mov_b32 s5, exec_lo
	s_delay_alu instid0(VALU_DEP_2) | instskip(NEXT) | instid1(VALU_DEP_1)
	v_and_b32_e32 v27, 0x7fffffff, v9
                                        ; implicit-def: $vgpr9
	v_cmpx_neq_f32_e32 1.0, v27
	s_xor_b32 s30, exec_lo, s5
	s_cbranch_execz .LBB180_278
; %bb.263:                              ;   in Loop: Header=BB180_145 Depth=1
	v_dual_max_num_f32 v9, v26, v26 :: v_dual_max_num_f32 v16, v27, v27
	s_delay_alu instid0(VALU_DEP_1) | instskip(NEXT) | instid1(VALU_DEP_1)
	v_dual_min_num_f32 v28, v16, v9 :: v_dual_max_num_f32 v9, v16, v9
                                        ; implicit-def: $vgpr16
	v_cmp_ngt_f32_e32 vcc_lo, 0x358637bd, v28
	s_delay_alu instid0(VALU_DEP_2) | instskip(SKIP_1) | instid1(SALU_CYCLE_1)
	v_cmp_nlt_f32_e64 s5, 0x49742400, v9
                                        ; implicit-def: $vgpr9
	s_and_b32 s5, s5, vcc_lo
	s_and_saveexec_b32 s6, s5
	s_delay_alu instid0(SALU_CYCLE_1)
	s_xor_b32 s31, exec_lo, s6
	s_cbranch_execz .LBB180_275
; %bb.264:                              ;   in Loop: Header=BB180_145 Depth=1
                                        ; implicit-def: $vgpr9
                                        ; implicit-def: $vgpr16
	s_mov_b32 s5, exec_lo
	v_cmpx_le_f32_e32 1.0, v27
	s_xor_b32 s6, exec_lo, s5
	s_cbranch_execz .LBB180_266
; %bb.265:                              ;   in Loop: Header=BB180_145 Depth=1
	v_pk_add_f32 v[28:29], v[26:27], v[6:7] op_sel:[1,0]
	v_mov_b32_e32 v30, v26
	v_cmp_class_f32_e64 s7, v14, 0x204
	s_delay_alu instid0(VALU_DEP_3) | instskip(SKIP_1) | instid1(VALU_DEP_1)
	v_dual_mov_b32 v27, v28 :: v_dual_mov_b32 v31, v29
	v_mul_f32_e32 v16, v28, v29
	v_pk_fma_f32 v[26:27], v[26:27], v[30:31], v[16:17] op_sel_hi:[1,1,0]
	s_delay_alu instid0(VALU_DEP_1) | instskip(SKIP_1) | instid1(VALU_DEP_2)
	v_add_f32_e32 v29, 1.0, v26
	v_cmp_neq_f32_e64 s5, -1.0, v26
	v_add_f32_e32 v27, -1.0, v29
	s_delay_alu instid0(VALU_DEP_1) | instskip(SKIP_2) | instid1(VALU_DEP_1)
	v_mov_b32_e32 v28, v27
	v_cvt_f64_f32_e32 v[30:31], v29
	v_frexp_mant_f32_e32 v16, v29
	v_cmp_gt_f32_e32 vcc_lo, 0x3f2aaaab, v16
	s_delay_alu instid0(VALU_DEP_3) | instskip(SKIP_1) | instid1(VALU_DEP_1)
	v_frexp_exp_i32_f64_e32 v9, v[30:31]
	v_pk_add_f32 v[30:31], v[26:27], v[28:29] neg_lo:[0,1] neg_hi:[0,1]
	v_add_f32_e32 v28, 1.0, v31
	s_delay_alu instid0(VALU_DEP_3) | instskip(SKIP_1) | instid1(VALU_DEP_2)
	v_subrev_co_ci_u32_e64 v9, null, 0, v9, vcc_lo
	v_cmp_neq_f32_e32 vcc_lo, 0x7f800000, v26
	v_sub_nc_u32_e32 v16, 0, v9
	s_delay_alu instid0(VALU_DEP_1) | instskip(NEXT) | instid1(VALU_DEP_1)
	v_ldexp_f32 v27, v29, v16
	v_dual_add_f32 v31, 1.0, v27 :: v_dual_add_f32 v28, v30, v28
	s_delay_alu instid0(VALU_DEP_1) | instskip(SKIP_1) | instid1(VALU_DEP_3)
	v_add_f32_e32 v29, -1.0, v31
	v_add_f32_e32 v37, -1.0, v27
	v_ldexp_f32 v16, v28, v16
	s_delay_alu instid0(VALU_DEP_3) | instskip(NEXT) | instid1(VALU_DEP_1)
	v_sub_f32_e32 v28, v27, v29
	v_dual_add_f32 v29, 1.0, v37 :: v_dual_add_f32 v28, v16, v28
	s_delay_alu instid0(VALU_DEP_1) | instskip(NEXT) | instid1(VALU_DEP_1)
	v_sub_f32_e32 v27, v27, v29
	v_dual_add_f32 v40, v31, v28 :: v_dual_add_f32 v16, v16, v27
	s_delay_alu instid0(VALU_DEP_1) | instskip(NEXT) | instid1(VALU_DEP_1)
	v_rcp_f32_e32 v27, v40
	v_add_f32_e32 v29, v37, v16
	s_delay_alu instid0(TRANS32_DEP_1) | instid1(VALU_DEP_1)
	v_dual_sub_f32 v37, v29, v37 :: v_dual_mul_f32 v41, v29, v27
	v_sub_f32_e32 v31, v40, v31
	s_delay_alu instid0(VALU_DEP_2) | instskip(NEXT) | instid1(VALU_DEP_3)
	v_sub_f32_e32 v16, v16, v37
	v_mul_f32_e32 v30, v40, v41
	s_delay_alu instid0(VALU_DEP_1) | instskip(NEXT) | instid1(VALU_DEP_1)
	v_dual_sub_f32 v42, v28, v31 :: v_dual_fma_f32 v38, v41, v40, -v30
	v_fmac_f32_e32 v38, v41, v42
	s_delay_alu instid0(VALU_DEP_1) | instskip(NEXT) | instid1(VALU_DEP_1)
	v_add_f32_e32 v28, v30, v38
	v_dual_sub_f32 v31, v29, v28 :: v_dual_mov_b32 v39, v28
	s_delay_alu instid0(VALU_DEP_1) | instskip(NEXT) | instid1(VALU_DEP_1)
	v_pk_add_f32 v[28:29], v[28:29], v[30:31] neg_lo:[0,1] neg_hi:[0,1]
	v_pk_add_f32 v[28:29], v[28:29], v[38:39] neg_lo:[0,1] neg_hi:[0,1]
	s_delay_alu instid0(VALU_DEP_1) | instskip(NEXT) | instid1(VALU_DEP_1)
	v_add_f32_e32 v16, v16, v29
	v_add_f32_e32 v16, v28, v16
	s_delay_alu instid0(VALU_DEP_1) | instskip(NEXT) | instid1(VALU_DEP_1)
	v_add_f32_e32 v29, v31, v16
	v_mul_f32_e32 v37, v27, v29
	s_delay_alu instid0(VALU_DEP_1) | instskip(NEXT) | instid1(VALU_DEP_1)
	v_mul_f32_e32 v38, v40, v37
	v_dual_fma_f32 v30, v37, v40, -v38 :: v_dual_sub_f32 v40, v31, v29
	s_delay_alu instid0(VALU_DEP_1) | instskip(NEXT) | instid1(VALU_DEP_1)
	v_dual_fmac_f32 v30, v37, v42 :: v_dual_add_f32 v16, v16, v40
	v_dual_add_f32 v40, v41, v37 :: v_dual_add_f32 v28, v38, v30
	s_delay_alu instid0(VALU_DEP_1) | instskip(NEXT) | instid1(VALU_DEP_1)
	v_dual_sub_f32 v39, v29, v28 :: v_dual_mov_b32 v31, v28
	v_pk_add_f32 v[28:29], v[28:29], v[38:39] neg_lo:[0,1] neg_hi:[0,1]
	s_delay_alu instid0(VALU_DEP_1) | instskip(NEXT) | instid1(VALU_DEP_1)
	v_pk_add_f32 v[28:29], v[28:29], v[30:31] neg_lo:[0,1] neg_hi:[0,1]
	v_add_f32_e32 v16, v16, v29
	s_delay_alu instid0(VALU_DEP_1) | instskip(NEXT) | instid1(VALU_DEP_1)
	v_add_f32_e32 v16, v28, v16
	v_dual_sub_f32 v28, v40, v41 :: v_dual_add_f32 v16, v39, v16
	s_delay_alu instid0(VALU_DEP_1) | instskip(NEXT) | instid1(VALU_DEP_2)
	v_sub_f32_e32 v28, v37, v28
	v_mul_f32_e32 v16, v27, v16
	s_delay_alu instid0(VALU_DEP_1) | instskip(SKIP_1) | instid1(VALU_DEP_2)
	v_add_f32_e32 v16, v28, v16
	v_cvt_f32_i32_e32 v28, v9
	v_add_f32_e32 v27, v40, v16
	s_delay_alu instid0(VALU_DEP_1) | instskip(SKIP_1) | instid1(VALU_DEP_2)
	v_mul_f32_e32 v30, v27, v27
	v_ldexp_f32 v39, v27, 1
	v_fmaak_f32 v31, s26, v30, 0x3ecc95a3
	v_mul_f32_e32 v29, v27, v30
	s_delay_alu instid0(VALU_DEP_2) | instskip(NEXT) | instid1(VALU_DEP_1)
	v_fmaak_f32 v9, v30, v31, 0x3f2aaada
	v_pk_mul_f32 v[30:31], v[28:29], v[8:9]
	s_delay_alu instid0(VALU_DEP_1) | instskip(SKIP_1) | instid1(VALU_DEP_1)
	v_dual_sub_f32 v9, v27, v40 :: v_dual_mov_b32 v40, v30
	v_fma_f32 v38, 0x3f317218, v28, -v30
	v_dual_sub_f32 v9, v16, v9 :: v_dual_fmac_f32 v38, 0xb102e308, v28
	s_delay_alu instid0(VALU_DEP_1) | instskip(NEXT) | instid1(VALU_DEP_2)
	v_ldexp_f32 v9, v9, 1
	v_pk_add_f32 v[28:29], v[30:31], v[38:39]
	s_delay_alu instid0(VALU_DEP_1) | instskip(NEXT) | instid1(VALU_DEP_1)
	v_dual_sub_f32 v16, v29, v39 :: v_dual_mov_b32 v39, v28
	v_dual_mov_b32 v48, v29 :: v_dual_sub_f32 v16, v31, v16
	v_pk_add_f32 v[30:31], v[28:29], v[30:31] neg_lo:[0,1] neg_hi:[0,1]
	s_delay_alu instid0(VALU_DEP_2) | instskip(SKIP_2) | instid1(VALU_DEP_3)
	v_add_f32_e32 v41, v9, v16
	v_max_num_f32_e64 v9, |v15|, |v15|
	v_max_num_f32_e64 v16, |v14|, |v14|
	v_pk_add_f32 v[42:43], v[28:29], v[40:41]
	s_delay_alu instid0(VALU_DEP_1) | instskip(NEXT) | instid1(VALU_DEP_1)
	v_dual_max_num_f32 v27, v16, v9 :: v_dual_mov_b32 v31, v43
	v_frexp_exp_i32_f32_e32 v37, v27
	v_frexp_mant_f32_e32 v27, v27
	s_delay_alu instid0(VALU_DEP_3) | instskip(SKIP_2) | instid1(VALU_DEP_4)
	v_pk_add_f32 v[44:45], v[38:39], v[30:31]
	v_min_num_f32_e32 v9, v16, v9
	v_pk_add_f32 v[30:31], v[38:39], v[30:31] neg_lo:[0,1] neg_hi:[0,1]
	v_rcp_f32_e32 v27, v27
	s_delay_alu instid0(VALU_DEP_3) | instskip(NEXT) | instid1(VALU_DEP_3)
	v_mov_b32_e32 v16, v45
	v_frexp_exp_i32_f32_e32 v40, v9
	v_frexp_mant_f32_e32 v50, v9
	s_delay_alu instid0(VALU_DEP_3) | instskip(NEXT) | instid1(VALU_DEP_3)
	v_pk_add_f32 v[46:47], v[16:17], v[28:29] neg_lo:[0,1] neg_hi:[0,1]
	v_dual_mov_b32 v44, v43 :: v_dual_sub_nc_u32 v37, v40, v37
	v_dual_mov_b32 v29, v28 :: v_dual_mov_b32 v28, v41
	s_delay_alu instid0(VALU_DEP_3) | instskip(NEXT) | instid1(VALU_DEP_1)
	v_dual_mov_b32 v49, v46 :: v_dual_mov_b32 v9, v46
	v_pk_add_f32 v[38:39], v[44:45], v[48:49] neg_lo:[0,1] neg_hi:[0,1]
	s_delay_alu instid0(VALU_DEP_2) | instskip(SKIP_1) | instid1(VALU_DEP_3)
	v_pk_add_f32 v[40:41], v[42:43], v[8:9] neg_lo:[0,1] neg_hi:[0,1]
	v_mov_b32_e32 v40, v30
	v_pk_add_f32 v[28:29], v[28:29], v[38:39] neg_lo:[0,1] neg_hi:[0,1]
	s_delay_alu instid0(VALU_DEP_1) | instskip(NEXT) | instid1(VALU_DEP_1)
	v_pk_add_f32 v[38:39], v[40:41], v[28:29]
	v_dual_mul_f32 v27, v50, v27 :: v_dual_mov_b32 v40, v39
	s_delay_alu instid0(VALU_DEP_1) | instskip(NEXT) | instid1(VALU_DEP_2)
	v_ldexp_f32 v9, v27, v37
	v_pk_add_f32 v[40:41], v[38:39], v[40:41]
	s_delay_alu instid0(VALU_DEP_1) | instskip(NEXT) | instid1(VALU_DEP_1)
	v_pk_add_f32 v[42:43], v[16:17], v[40:41]
	v_dual_mul_f32 v27, v9, v9 :: v_dual_mov_b32 v39, v42
	v_mov_b32_e32 v31, v45
	s_delay_alu instid0(VALU_DEP_1) | instskip(NEXT) | instid1(VALU_DEP_1)
	v_pk_add_f32 v[44:45], v[38:39], v[30:31] neg_lo:[0,1] neg_hi:[0,1]
	v_sub_f32_e32 v31, v38, v44
	s_delay_alu instid0(VALU_DEP_1) | instskip(SKIP_1) | instid1(VALU_DEP_1)
	v_sub_f32_e32 v30, v30, v31
	v_fmaak_f32 v29, s27, v27, 0xbc7a590c
	v_fmaak_f32 v29, v27, v29, 0x3d29fb3f
	s_delay_alu instid0(VALU_DEP_1) | instskip(NEXT) | instid1(VALU_DEP_1)
	v_dual_fmaak_f32 v16, v27, v29, 0xbd97d4d7 :: v_dual_mov_b32 v29, v40
	v_fmaak_f32 v16, v27, v16, 0x3dd931b2
	s_delay_alu instid0(VALU_DEP_2) | instskip(NEXT) | instid1(VALU_DEP_1)
	v_pk_add_f32 v[28:29], v[28:29], v[44:45] neg_lo:[0,1] neg_hi:[0,1]
	v_add_f32_e32 v28, v28, v30
	s_delay_alu instid0(VALU_DEP_3) | instskip(NEXT) | instid1(VALU_DEP_1)
	v_fmaak_f32 v16, v27, v16, 0xbe1160e6
	v_fmaak_f32 v16, v27, v16, 0x3e4cb8bf
	s_delay_alu instid0(VALU_DEP_1) | instskip(NEXT) | instid1(VALU_DEP_1)
	v_fmaak_f32 v16, v27, v16, 0xbeaaaa62
	v_dual_mul_f32 v16, v27, v16 :: v_dual_add_f32 v27, v28, v29
	s_delay_alu instid0(VALU_DEP_1) | instskip(NEXT) | instid1(VALU_DEP_1)
	v_dual_fmac_f32 v9, v9, v16 :: v_dual_add_f32 v16, v42, v27
	v_sub_f32_e32 v27, 0x3fc90fdb, v9
	s_delay_alu instid0(VALU_DEP_2) | instskip(SKIP_1) | instid1(VALU_DEP_3)
	v_cndmask_b32_e32 v16, 0x7f800000, v16, vcc_lo
	v_cmp_gt_i32_e32 vcc_lo, 0, v14
	v_cndmask_b32_e64 v9, v9, v27, s4
	v_cndmask_b32_e64 v27, 0, 0x40490fdb, vcc_lo
	v_cmp_ngt_f32_e32 vcc_lo, -1.0, v26
	s_delay_alu instid0(VALU_DEP_3) | instskip(SKIP_2) | instid1(VALU_DEP_2)
	v_sub_f32_e32 v28, 0x40490fdb, v9
	v_cndmask_b32_e32 v16, 0x7fc00000, v16, vcc_lo
	v_cmp_gt_f32_e32 vcc_lo, 0, v14
	v_cndmask_b32_e64 v14, 0xff800000, v16, s5
	s_delay_alu instid0(VALU_DEP_4)
	v_cndmask_b32_e32 v9, v9, v28, vcc_lo
	v_cndmask_b32_e32 v16, 0x3f490fdb, v32, vcc_lo
	v_cmp_gt_f32_e64 vcc_lo, 0x33800000, |v26|
	v_cmp_class_f32_e64 s5, v15, 0x204
	v_cndmask_b32_e32 v14, v14, v26, vcc_lo
	v_cmp_eq_f32_e32 vcc_lo, 0, v15
	v_cndmask_b32_e32 v26, v9, v27, vcc_lo
	s_and_b32 vcc_lo, s5, s7
	s_delay_alu instid0(VALU_DEP_1)
	v_dual_mul_f32 v9, 0.5, v14 :: v_dual_cndmask_b32 v16, v26, v16
                                        ; implicit-def: $vgpr26_vgpr27
.LBB180_266:                            ;   in Loop: Header=BB180_145 Depth=1
	s_and_not1_saveexec_b32 s33, s6
	s_cbranch_execz .LBB180_274
; %bb.267:                              ;   in Loop: Header=BB180_145 Depth=1
	v_pk_mul_f32 v[28:29], v[26:27], v[26:27]
                                        ; implicit-def: $vgpr9
                                        ; implicit-def: $vgpr16
	s_mov_b32 s5, exec_lo
	s_delay_alu instid0(VALU_DEP_1) | instskip(NEXT) | instid1(VALU_DEP_1)
	v_add_f32_e32 v28, v29, v28
	v_cmpx_ge_f32_e32 0x3f333333, v28
	s_xor_b32 s6, exec_lo, s5
	s_cbranch_execz .LBB180_269
; %bb.268:                              ;   in Loop: Header=BB180_145 Depth=1
	v_max_num_f32_e64 v9, |v15|, |v15|
	v_max_num_f32_e64 v16, |v14|, |v14|
	v_cmp_gt_f32_e32 vcc_lo, 0x800000, v28
	v_cmp_gt_i32_e64 s5, 0, v14
	v_cmp_class_f32_e64 s7, v14, 0x204
	v_cmp_class_f32_e64 s8, v15, 0x204
	v_dual_max_num_f32 v26, v16, v9 :: v_dual_min_num_f32 v9, v16, v9
	v_cndmask_b32_e64 v29, 0, 0x41b17218, vcc_lo
	s_delay_alu instid0(VALU_DEP_2) | instskip(SKIP_1) | instid1(VALU_DEP_2)
	v_frexp_mant_f32_e32 v27, v26
	v_frexp_exp_i32_f32_e32 v16, v26
	v_rcp_f32_e32 v26, v27
	v_nop
	v_frexp_exp_i32_f32_e32 v27, v9
	v_frexp_mant_f32_e32 v9, v9
	s_delay_alu instid0(TRANS32_DEP_1) | instid1(VALU_DEP_1)
	v_dual_mul_f32 v9, v9, v26 :: v_dual_sub_nc_u32 v16, v27, v16
	v_cndmask_b32_e64 v27, 0, 32, vcc_lo
	s_delay_alu instid0(VALU_DEP_2) | instskip(NEXT) | instid1(VALU_DEP_2)
	v_ldexp_f32 v9, v9, v16
	v_ldexp_f32 v27, v28, v27
	s_delay_alu instid0(VALU_DEP_2) | instskip(NEXT) | instid1(VALU_DEP_2)
	v_mul_f32_e32 v16, v9, v9
	v_log_f32_e32 v27, v27
	s_delay_alu instid0(VALU_DEP_1) | instskip(NEXT) | instid1(TRANS32_DEP_1)
	v_fmaak_f32 v26, s27, v16, 0xbc7a590c
	v_cmp_gt_f32_e64 vcc_lo, 0x7f800000, |v27|
	s_delay_alu instid0(VALU_DEP_2) | instskip(NEXT) | instid1(VALU_DEP_1)
	v_fmaak_f32 v26, v16, v26, 0x3d29fb3f
	v_fmaak_f32 v26, v16, v26, 0xbd97d4d7
	s_delay_alu instid0(VALU_DEP_1) | instskip(NEXT) | instid1(VALU_DEP_1)
	v_fmaak_f32 v26, v16, v26, 0x3dd931b2
	v_fmaak_f32 v26, v16, v26, 0xbe1160e6
	s_delay_alu instid0(VALU_DEP_1) | instskip(NEXT) | instid1(VALU_DEP_1)
	;; [unrolled: 3-line block ×3, first 2 shown]
	v_mul_f32_e32 v16, v16, v26
	v_dual_mul_f32 v26, 0x3f317217, v27 :: v_dual_fmac_f32 v9, v9, v16
	s_delay_alu instid0(VALU_DEP_1) | instskip(NEXT) | instid1(VALU_DEP_2)
	v_fma_f32 v16, 0x3f317217, v27, -v26
	v_sub_f32_e32 v26, 0x3fc90fdb, v9
	s_delay_alu instid0(VALU_DEP_2) | instskip(NEXT) | instid1(VALU_DEP_2)
	v_fmac_f32_e32 v16, 0x3377d1cf, v27
	v_cndmask_b32_e64 v9, v9, v26, s4
	s_delay_alu instid0(VALU_DEP_2) | instskip(SKIP_2) | instid1(VALU_DEP_4)
	v_fmac_f32_e32 v16, 0x3f317217, v27
	v_cndmask_b32_e64 v26, 0, 0x40490fdb, s5
	v_cmp_eq_f32_e64 s5, 0, v15
	v_sub_f32_e32 v28, 0x40490fdb, v9
	s_delay_alu instid0(VALU_DEP_4) | instskip(SKIP_1) | instid1(VALU_DEP_2)
	v_cndmask_b32_e32 v16, v27, v16, vcc_lo
	v_cmp_gt_f32_e32 vcc_lo, 0, v14
	v_dual_cndmask_b32 v9, v9, v28 :: v_dual_sub_f32 v14, v16, v29
	s_delay_alu instid0(VALU_DEP_1) | instskip(SKIP_2) | instid1(VALU_DEP_3)
	v_cndmask_b32_e64 v16, v9, v26, s5
	v_cndmask_b32_e32 v26, 0x3f490fdb, v32, vcc_lo
	s_and_b32 vcc_lo, s8, s7
	v_mul_f32_e32 v9, 0.5, v14
	s_delay_alu instid0(VALU_DEP_2)
	v_cndmask_b32_e32 v16, v16, v26, vcc_lo
                                        ; implicit-def: $vgpr26
.LBB180_269:                            ;   in Loop: Header=BB180_145 Depth=1
	s_and_not1_saveexec_b32 s34, s6
	s_cbranch_execz .LBB180_273
; %bb.270:                              ;   in Loop: Header=BB180_145 Depth=1
	v_and_b32_e32 v29, 0x7fff0000, v26
	v_and_b32_e32 v28, 0x7fff0000, v27
	s_mov_b32 s35, 0
	s_delay_alu instid0(VALU_DEP_1) | instskip(SKIP_2) | instid1(VALU_DEP_2)
	v_dual_add_f32 v39, v29, v29 :: v_dual_add_f32 v16, v28, v28
	v_pk_add_f32 v[30:31], v[26:27], v[28:29] op_sel:[1,0] op_sel_hi:[0,1] neg_lo:[0,1] neg_hi:[0,1]
	v_pk_mul_f32 v[26:27], v[28:29], v[28:29]
	v_and_b32_e32 v41, 0xffff0000, v31
	s_delay_alu instid0(VALU_DEP_3) | instskip(NEXT) | instid1(VALU_DEP_1)
	v_and_b32_e32 v40, 0xffff0000, v30
	v_dual_add_f32 v43, v41, v41 :: v_dual_add_f32 v42, v40, v40
	v_pk_add_f32 v[28:29], v[30:31], v[40:41] neg_lo:[0,1] neg_hi:[0,1]
	v_dual_mul_f32 v9, v16, v40 :: v_dual_mul_f32 v38, v39, v41
	v_pk_mul_f32 v[30:31], v[40:41], v[40:41]
	s_delay_alu instid0(VALU_DEP_3)
	v_dual_mul_f32 v37, v16, v28 :: v_dual_mul_f32 v40, v39, v29
	v_dual_mul_f32 v16, v42, v28 :: v_dual_mul_f32 v39, v43, v29
	v_pk_mul_f32 v[28:29], v[28:29], v[28:29]
.LBB180_271:                            ;   Parent Loop BB180_145 Depth=1
                                        ; =>  This Inner Loop Header: Depth=2
	v_cmp_nlt_f32_e32 vcc_lo, v26, v27
	v_dual_cndmask_b32 v41, v26, v27 :: v_dual_cndmask_b32 v26, v27, v26
	s_delay_alu instid0(VALU_DEP_1) | instskip(NEXT) | instid1(VALU_DEP_1)
	v_cmp_nlt_f32_e64 s5, v41, v9
	v_cndmask_b32_e64 v42, v41, v9, s5
	v_cndmask_b32_e64 v27, v9, v41, s5
	s_and_b32 s5, vcc_lo, s5
	s_delay_alu instid0(VALU_DEP_2) | instskip(NEXT) | instid1(VALU_DEP_1)
	v_cmp_nlt_f32_e64 s6, v42, v38
	v_cndmask_b32_e64 v43, v42, v38, s6
	s_delay_alu instid0(VALU_DEP_1) | instskip(NEXT) | instid1(VALU_DEP_1)
	v_cmp_nlt_f32_e64 s7, v43, v30
	v_cndmask_b32_e64 v41, v43, v30, s7
	s_and_b32 s36, s6, s7
	s_delay_alu instid0(VALU_DEP_1) | instskip(SKIP_2) | instid1(VALU_DEP_3)
	v_cmp_nlt_f32_e64 s8, v41, v31
	v_cndmask_b32_e64 v9, v38, v42, s6
	v_cndmask_b32_e64 v38, v30, v43, s7
	;; [unrolled: 1-line block ×3, first 2 shown]
	s_delay_alu instid0(VALU_DEP_1) | instskip(NEXT) | instid1(VALU_DEP_1)
	v_cmp_nlt_f32_e64 s9, v42, v37
	v_dual_cndmask_b32 v30, v31, v41, s8 :: v_dual_cndmask_b32 v31, v37, v42, s9
	v_cndmask_b32_e64 v44, v42, v37, s9
	s_and_b32 s8, s8, s9
	s_delay_alu instid0(VALU_DEP_1) | instskip(NEXT) | instid1(VALU_DEP_1)
	v_cmp_nlt_f32_e64 s10, v44, v40
	v_cndmask_b32_e64 v45, v44, v40, s10
	s_and_b32 s8, s8, s10
	s_delay_alu instid0(VALU_DEP_1) | instskip(NEXT) | instid1(VALU_DEP_1)
	v_cmp_nlt_f32_e64 s11, v45, v16
	v_cndmask_b32_e64 v43, v45, v16, s11
	s_and_b32 s9, s8, s11
	v_cndmask_b32_e64 v37, v40, v44, s10
	v_cndmask_b32_e64 v40, v16, v45, s11
	s_delay_alu instid0(VALU_DEP_3) | instskip(NEXT) | instid1(VALU_DEP_1)
	v_cmp_nlt_f32_e64 s6, v43, v39
	v_cndmask_b32_e64 v41, v43, v39, s6
	s_delay_alu instid0(VALU_DEP_1)
	v_cmp_nlt_f32_e64 s7, v41, v28
	v_cndmask_b32_e64 v16, v39, v43, s6
	s_and_b32 s6, s9, s6
	v_cndmask_b32_e64 v42, v41, v28, s7
	s_and_b32 s6, s6, s7
	v_cndmask_b32_e64 v39, v28, v41, s7
	s_delay_alu instid0(VALU_DEP_2) | instskip(SKIP_3) | instid1(SALU_CYCLE_1)
	v_cmp_nlt_f32_e64 s8, v42, v29
	s_and_b32 s6, s6, s8
	v_dual_cndmask_b32 v28, v29, v42, s8 :: v_dual_cndmask_b32 v29, v42, v29, s8
	s_and_b32 s6, s6, s36
	s_and_b32 s5, s6, s5
	s_delay_alu instid0(SALU_CYCLE_1) | instskip(NEXT) | instid1(SALU_CYCLE_1)
	s_and_b32 s5, exec_lo, s5
	s_or_b32 s35, s5, s35
	s_delay_alu instid0(SALU_CYCLE_1)
	s_and_not1_b32 exec_lo, exec_lo, s35
	s_cbranch_execnz .LBB180_271
; %bb.272:                              ;   in Loop: Header=BB180_145 Depth=1
	s_or_b32 exec_lo, exec_lo, s35
	v_add_f32_e32 v26, -1.0, v26
	v_cmp_class_f32_e64 s6, v14, 0x204
	s_delay_alu instid0(VALU_DEP_2) | instskip(NEXT) | instid1(VALU_DEP_1)
	v_add_f32_e32 v26, v26, v27
	v_add_f32_e32 v9, v26, v9
	s_delay_alu instid0(VALU_DEP_1) | instskip(NEXT) | instid1(VALU_DEP_1)
	v_add_f32_e32 v9, v9, v38
	v_add_f32_e32 v9, v9, v30
	s_delay_alu instid0(VALU_DEP_1) | instskip(NEXT) | instid1(VALU_DEP_1)
	;; [unrolled: 3-line block ×5, first 2 shown]
	v_add_f32_e32 v26, v29, v9
	v_add_f32_e32 v29, 1.0, v26
	s_delay_alu instid0(VALU_DEP_1) | instskip(SKIP_2) | instid1(VALU_DEP_2)
	v_cvt_f64_f32_e32 v[30:31], v29
	v_frexp_mant_f32_e32 v16, v29
	v_add_f32_e32 v27, -1.0, v29
	v_cmp_gt_f32_e32 vcc_lo, 0x3f2aaaab, v16
	s_delay_alu instid0(VALU_DEP_2) | instskip(SKIP_1) | instid1(VALU_DEP_1)
	v_mov_b32_e32 v28, v27
	v_frexp_exp_i32_f64_e32 v9, v[30:31]
	v_subrev_co_ci_u32_e64 v9, null, 0, v9, vcc_lo
	s_delay_alu instid0(VALU_DEP_1) | instskip(NEXT) | instid1(VALU_DEP_4)
	v_sub_nc_u32_e32 v16, 0, v9
	v_pk_add_f32 v[30:31], v[26:27], v[28:29] neg_lo:[0,1] neg_hi:[0,1]
	v_cmp_neq_f32_e32 vcc_lo, 0x7f800000, v26
	v_cmp_neq_f32_e64 s5, -1.0, v26
	s_delay_alu instid0(VALU_DEP_4) | instskip(NEXT) | instid1(VALU_DEP_4)
	v_ldexp_f32 v27, v29, v16
	v_add_f32_e32 v28, 1.0, v31
	s_delay_alu instid0(VALU_DEP_1) | instskip(NEXT) | instid1(VALU_DEP_1)
	v_dual_add_f32 v31, 1.0, v27 :: v_dual_add_f32 v28, v30, v28
	v_add_f32_e32 v29, -1.0, v31
	v_add_f32_e32 v37, -1.0, v27
	s_delay_alu instid0(VALU_DEP_3) | instskip(NEXT) | instid1(VALU_DEP_3)
	v_ldexp_f32 v16, v28, v16
	v_sub_f32_e32 v28, v27, v29
	s_delay_alu instid0(VALU_DEP_1) | instskip(NEXT) | instid1(VALU_DEP_1)
	v_dual_add_f32 v29, 1.0, v37 :: v_dual_add_f32 v28, v16, v28
	v_sub_f32_e32 v27, v27, v29
	s_delay_alu instid0(VALU_DEP_1) | instskip(NEXT) | instid1(VALU_DEP_1)
	v_dual_add_f32 v40, v31, v28 :: v_dual_add_f32 v16, v16, v27
	v_rcp_f32_e32 v27, v40
	s_delay_alu instid0(VALU_DEP_1)
	v_add_f32_e32 v29, v37, v16
	s_delay_alu instid0(TRANS32_DEP_1) | instid1(VALU_DEP_1)
	v_dual_sub_f32 v37, v29, v37 :: v_dual_mul_f32 v41, v29, v27
	v_sub_f32_e32 v31, v40, v31
	s_delay_alu instid0(VALU_DEP_2) | instskip(NEXT) | instid1(VALU_DEP_3)
	v_sub_f32_e32 v16, v16, v37
	v_mul_f32_e32 v30, v40, v41
	s_delay_alu instid0(VALU_DEP_1) | instskip(NEXT) | instid1(VALU_DEP_1)
	v_dual_sub_f32 v42, v28, v31 :: v_dual_fma_f32 v38, v41, v40, -v30
	v_fmac_f32_e32 v38, v41, v42
	s_delay_alu instid0(VALU_DEP_1) | instskip(NEXT) | instid1(VALU_DEP_1)
	v_add_f32_e32 v28, v30, v38
	v_dual_sub_f32 v31, v29, v28 :: v_dual_mov_b32 v39, v28
	s_delay_alu instid0(VALU_DEP_1) | instskip(NEXT) | instid1(VALU_DEP_1)
	v_pk_add_f32 v[28:29], v[28:29], v[30:31] neg_lo:[0,1] neg_hi:[0,1]
	v_pk_add_f32 v[28:29], v[28:29], v[38:39] neg_lo:[0,1] neg_hi:[0,1]
	s_delay_alu instid0(VALU_DEP_1) | instskip(NEXT) | instid1(VALU_DEP_1)
	v_add_f32_e32 v16, v16, v29
	v_add_f32_e32 v16, v28, v16
	s_delay_alu instid0(VALU_DEP_1) | instskip(NEXT) | instid1(VALU_DEP_1)
	v_add_f32_e32 v29, v31, v16
	v_mul_f32_e32 v37, v27, v29
	s_delay_alu instid0(VALU_DEP_1) | instskip(NEXT) | instid1(VALU_DEP_1)
	v_mul_f32_e32 v38, v40, v37
	v_dual_fma_f32 v30, v37, v40, -v38 :: v_dual_sub_f32 v40, v31, v29
	s_delay_alu instid0(VALU_DEP_1) | instskip(NEXT) | instid1(VALU_DEP_1)
	v_dual_fmac_f32 v30, v37, v42 :: v_dual_add_f32 v16, v16, v40
	v_dual_add_f32 v40, v41, v37 :: v_dual_add_f32 v28, v38, v30
	s_delay_alu instid0(VALU_DEP_1) | instskip(NEXT) | instid1(VALU_DEP_1)
	v_dual_sub_f32 v39, v29, v28 :: v_dual_mov_b32 v31, v28
	v_pk_add_f32 v[28:29], v[28:29], v[38:39] neg_lo:[0,1] neg_hi:[0,1]
	s_delay_alu instid0(VALU_DEP_1) | instskip(NEXT) | instid1(VALU_DEP_1)
	v_pk_add_f32 v[28:29], v[28:29], v[30:31] neg_lo:[0,1] neg_hi:[0,1]
	v_add_f32_e32 v16, v16, v29
	s_delay_alu instid0(VALU_DEP_1) | instskip(NEXT) | instid1(VALU_DEP_1)
	v_add_f32_e32 v16, v28, v16
	v_dual_sub_f32 v28, v40, v41 :: v_dual_add_f32 v16, v39, v16
	s_delay_alu instid0(VALU_DEP_1) | instskip(NEXT) | instid1(VALU_DEP_2)
	v_sub_f32_e32 v28, v37, v28
	v_mul_f32_e32 v16, v27, v16
	s_delay_alu instid0(VALU_DEP_1) | instskip(SKIP_1) | instid1(VALU_DEP_2)
	v_add_f32_e32 v16, v28, v16
	v_cvt_f32_i32_e32 v28, v9
	v_add_f32_e32 v27, v40, v16
	s_delay_alu instid0(VALU_DEP_1) | instskip(SKIP_1) | instid1(VALU_DEP_2)
	v_mul_f32_e32 v30, v27, v27
	v_ldexp_f32 v39, v27, 1
	v_fmaak_f32 v31, s26, v30, 0x3ecc95a3
	v_mul_f32_e32 v29, v27, v30
	s_delay_alu instid0(VALU_DEP_2) | instskip(NEXT) | instid1(VALU_DEP_1)
	v_fmaak_f32 v9, v30, v31, 0x3f2aaada
	v_pk_mul_f32 v[30:31], v[28:29], v[8:9]
	s_delay_alu instid0(VALU_DEP_1) | instskip(SKIP_1) | instid1(VALU_DEP_1)
	v_dual_sub_f32 v9, v27, v40 :: v_dual_mov_b32 v40, v30
	v_fma_f32 v38, 0x3f317218, v28, -v30
	v_dual_sub_f32 v9, v16, v9 :: v_dual_fmac_f32 v38, 0xb102e308, v28
	s_delay_alu instid0(VALU_DEP_1) | instskip(NEXT) | instid1(VALU_DEP_2)
	v_ldexp_f32 v9, v9, 1
	v_pk_add_f32 v[28:29], v[30:31], v[38:39]
	s_delay_alu instid0(VALU_DEP_1) | instskip(NEXT) | instid1(VALU_DEP_1)
	v_dual_sub_f32 v16, v29, v39 :: v_dual_mov_b32 v39, v28
	v_dual_mov_b32 v48, v29 :: v_dual_sub_f32 v16, v31, v16
	v_pk_add_f32 v[30:31], v[28:29], v[30:31] neg_lo:[0,1] neg_hi:[0,1]
	s_delay_alu instid0(VALU_DEP_2) | instskip(SKIP_2) | instid1(VALU_DEP_3)
	v_add_f32_e32 v41, v9, v16
	v_max_num_f32_e64 v9, |v15|, |v15|
	v_max_num_f32_e64 v16, |v14|, |v14|
	v_pk_add_f32 v[42:43], v[28:29], v[40:41]
	s_delay_alu instid0(VALU_DEP_1) | instskip(NEXT) | instid1(VALU_DEP_1)
	v_dual_max_num_f32 v27, v16, v9 :: v_dual_mov_b32 v31, v43
	v_frexp_exp_i32_f32_e32 v37, v27
	v_frexp_mant_f32_e32 v27, v27
	s_delay_alu instid0(VALU_DEP_3) | instskip(SKIP_2) | instid1(VALU_DEP_4)
	v_pk_add_f32 v[44:45], v[38:39], v[30:31]
	v_min_num_f32_e32 v9, v16, v9
	v_pk_add_f32 v[30:31], v[38:39], v[30:31] neg_lo:[0,1] neg_hi:[0,1]
	v_rcp_f32_e32 v27, v27
	s_delay_alu instid0(VALU_DEP_3) | instskip(NEXT) | instid1(VALU_DEP_3)
	v_mov_b32_e32 v16, v45
	v_frexp_exp_i32_f32_e32 v40, v9
	v_frexp_mant_f32_e32 v50, v9
	s_delay_alu instid0(VALU_DEP_3) | instskip(NEXT) | instid1(VALU_DEP_3)
	v_pk_add_f32 v[46:47], v[16:17], v[28:29] neg_lo:[0,1] neg_hi:[0,1]
	v_dual_mov_b32 v44, v43 :: v_dual_sub_nc_u32 v37, v40, v37
	v_dual_mov_b32 v29, v28 :: v_dual_mov_b32 v28, v41
	s_delay_alu instid0(VALU_DEP_3) | instskip(NEXT) | instid1(VALU_DEP_1)
	v_dual_mov_b32 v49, v46 :: v_dual_mov_b32 v9, v46
	v_pk_add_f32 v[38:39], v[44:45], v[48:49] neg_lo:[0,1] neg_hi:[0,1]
	s_delay_alu instid0(VALU_DEP_2) | instskip(SKIP_1) | instid1(VALU_DEP_3)
	v_pk_add_f32 v[40:41], v[42:43], v[8:9] neg_lo:[0,1] neg_hi:[0,1]
	v_mov_b32_e32 v40, v30
	v_pk_add_f32 v[28:29], v[28:29], v[38:39] neg_lo:[0,1] neg_hi:[0,1]
	s_delay_alu instid0(VALU_DEP_1) | instskip(NEXT) | instid1(VALU_DEP_1)
	v_pk_add_f32 v[38:39], v[40:41], v[28:29]
	v_dual_mul_f32 v27, v50, v27 :: v_dual_mov_b32 v40, v39
	s_delay_alu instid0(VALU_DEP_1) | instskip(NEXT) | instid1(VALU_DEP_2)
	v_ldexp_f32 v9, v27, v37
	v_pk_add_f32 v[40:41], v[38:39], v[40:41]
	s_delay_alu instid0(VALU_DEP_1) | instskip(NEXT) | instid1(VALU_DEP_1)
	v_pk_add_f32 v[42:43], v[16:17], v[40:41]
	v_dual_mul_f32 v27, v9, v9 :: v_dual_mov_b32 v39, v42
	v_mov_b32_e32 v31, v45
	s_delay_alu instid0(VALU_DEP_1) | instskip(NEXT) | instid1(VALU_DEP_1)
	v_pk_add_f32 v[44:45], v[38:39], v[30:31] neg_lo:[0,1] neg_hi:[0,1]
	v_sub_f32_e32 v31, v38, v44
	s_delay_alu instid0(VALU_DEP_1) | instskip(SKIP_1) | instid1(VALU_DEP_1)
	v_sub_f32_e32 v30, v30, v31
	v_fmaak_f32 v29, s27, v27, 0xbc7a590c
	v_fmaak_f32 v29, v27, v29, 0x3d29fb3f
	s_delay_alu instid0(VALU_DEP_1) | instskip(NEXT) | instid1(VALU_DEP_1)
	v_dual_fmaak_f32 v16, v27, v29, 0xbd97d4d7 :: v_dual_mov_b32 v29, v40
	v_fmaak_f32 v16, v27, v16, 0x3dd931b2
	s_delay_alu instid0(VALU_DEP_2) | instskip(NEXT) | instid1(VALU_DEP_1)
	v_pk_add_f32 v[28:29], v[28:29], v[44:45] neg_lo:[0,1] neg_hi:[0,1]
	v_add_f32_e32 v28, v28, v30
	s_delay_alu instid0(VALU_DEP_3) | instskip(NEXT) | instid1(VALU_DEP_1)
	v_fmaak_f32 v16, v27, v16, 0xbe1160e6
	v_fmaak_f32 v16, v27, v16, 0x3e4cb8bf
	s_delay_alu instid0(VALU_DEP_1) | instskip(NEXT) | instid1(VALU_DEP_1)
	v_fmaak_f32 v16, v27, v16, 0xbeaaaa62
	v_dual_mul_f32 v16, v27, v16 :: v_dual_add_f32 v27, v28, v29
	s_delay_alu instid0(VALU_DEP_1) | instskip(NEXT) | instid1(VALU_DEP_1)
	v_dual_fmac_f32 v9, v9, v16 :: v_dual_add_f32 v16, v42, v27
	v_sub_f32_e32 v27, 0x3fc90fdb, v9
	s_delay_alu instid0(VALU_DEP_2) | instskip(SKIP_1) | instid1(VALU_DEP_3)
	v_cndmask_b32_e32 v16, 0x7f800000, v16, vcc_lo
	v_cmp_gt_i32_e32 vcc_lo, 0, v14
	v_cndmask_b32_e64 v9, v9, v27, s4
	v_cndmask_b32_e64 v27, 0, 0x40490fdb, vcc_lo
	v_cmp_ngt_f32_e32 vcc_lo, -1.0, v26
	s_delay_alu instid0(VALU_DEP_3) | instskip(SKIP_2) | instid1(VALU_DEP_2)
	v_sub_f32_e32 v28, 0x40490fdb, v9
	v_cndmask_b32_e32 v16, 0x7fc00000, v16, vcc_lo
	v_cmp_gt_f32_e32 vcc_lo, 0, v14
	v_cndmask_b32_e64 v14, 0xff800000, v16, s5
	s_delay_alu instid0(VALU_DEP_4)
	v_cndmask_b32_e32 v9, v9, v28, vcc_lo
	v_cndmask_b32_e32 v16, 0x3f490fdb, v32, vcc_lo
	v_cmp_gt_f32_e64 vcc_lo, 0x33800000, |v26|
	v_cmp_class_f32_e64 s5, v15, 0x204
	v_cndmask_b32_e32 v14, v14, v26, vcc_lo
	v_cmp_eq_f32_e32 vcc_lo, 0, v15
	v_cndmask_b32_e32 v26, v9, v27, vcc_lo
	s_and_b32 vcc_lo, s5, s6
	s_delay_alu instid0(VALU_DEP_1)
	v_dual_mul_f32 v9, 0.5, v14 :: v_dual_cndmask_b32 v16, v26, v16
.LBB180_273:                            ;   in Loop: Header=BB180_145 Depth=1
	s_or_b32 exec_lo, exec_lo, s34
.LBB180_274:                            ;   in Loop: Header=BB180_145 Depth=1
	s_delay_alu instid0(SALU_CYCLE_1)
	s_or_b32 exec_lo, exec_lo, s33
.LBB180_275:                            ;   in Loop: Header=BB180_145 Depth=1
	s_and_not1_saveexec_b32 s6, s31
	s_cbranch_execz .LBB180_277
; %bb.276:                              ;   in Loop: Header=BB180_145 Depth=1
	v_max_num_f32_e64 v9, |v15|, |v15|
	v_max_num_f32_e64 v16, |v14|, |v14|
	v_cmp_gt_i32_e64 s5, 0, v14
	v_cmp_class_f32_e64 s7, v14, 0x204
	v_cmp_class_f32_e64 s8, v15, 0x204
	s_delay_alu instid0(VALU_DEP_4) | instskip(NEXT) | instid1(VALU_DEP_1)
	v_dual_max_num_f32 v28, v16, v9 :: v_dual_min_num_f32 v9, v16, v9
	v_cvt_f64_f32_e32 v[26:27], v28
	v_frexp_exp_i32_f32_e32 v16, v28
	s_delay_alu instid0(VALU_DEP_3) | instskip(SKIP_2) | instid1(VALU_DEP_3)
	v_frexp_exp_i32_f32_e32 v29, v9
	v_frexp_mant_f32_e32 v9, v9
	v_cmp_neq_f32_e32 vcc_lo, 0x7f800000, v28
	v_sub_nc_u32_e32 v16, v29, v16
	v_frexp_exp_i32_f64_e32 v26, v[26:27]
	v_frexp_mant_f32_e32 v27, v28
	s_delay_alu instid0(VALU_DEP_1) | instskip(SKIP_1) | instid1(TRANS32_DEP_1)
	v_rcp_f32_e32 v27, v27
	v_nop
	v_mul_f32_e32 v9, v9, v27
	s_delay_alu instid0(VALU_DEP_1) | instskip(SKIP_1) | instid1(VALU_DEP_1)
	v_ldexp_f32 v9, v9, v16
	v_sub_nc_u32_e32 v16, 0, v26
	v_ldexp_f32 v29, |v15|, v16
	v_ldexp_f32 v16, |v14|, v16
	s_delay_alu instid0(VALU_DEP_2) | instskip(NEXT) | instid1(VALU_DEP_1)
	v_mul_f32_e32 v29, v29, v29
	v_dual_mul_f32 v27, v9, v9 :: v_dual_fmac_f32 v29, v16, v16
	s_delay_alu instid0(VALU_DEP_1) | instskip(NEXT) | instid1(VALU_DEP_2)
	v_fmaak_f32 v30, s27, v27, 0xbc7a590c
	v_sqrt_f32_e32 v29, v29
	s_delay_alu instid0(VALU_DEP_1) | instskip(NEXT) | instid1(VALU_DEP_1)
	v_fmaak_f32 v30, v27, v30, 0x3d29fb3f
	v_fmaak_f32 v16, v27, v30, 0xbd97d4d7
	s_delay_alu instid0(TRANS32_DEP_1) | instskip(NEXT) | instid1(VALU_DEP_2)
	v_ldexp_f32 v26, v29, v26
	v_fmaak_f32 v16, v27, v16, 0x3dd931b2
	s_delay_alu instid0(VALU_DEP_2) | instskip(NEXT) | instid1(VALU_DEP_2)
	v_cndmask_b32_e32 v26, 0x7f800000, v26, vcc_lo
	v_fmaak_f32 v16, v27, v16, 0xbe1160e6
	s_delay_alu instid0(VALU_DEP_2) | instskip(NEXT) | instid1(VALU_DEP_2)
	v_cmp_gt_f32_e32 vcc_lo, 0x800000, v26
	v_fmaak_f32 v16, v27, v16, 0x3e4cb8bf
	v_cndmask_b32_e64 v28, 0, 32, vcc_lo
	s_delay_alu instid0(VALU_DEP_2) | instskip(NEXT) | instid1(VALU_DEP_2)
	v_fmaak_f32 v16, v27, v16, 0xbeaaaa62
	v_ldexp_f32 v26, v26, v28
	s_delay_alu instid0(VALU_DEP_2) | instskip(NEXT) | instid1(VALU_DEP_2)
	v_mul_f32_e32 v16, v27, v16
	v_log_f32_e32 v26, v26
	v_nop
	s_delay_alu instid0(TRANS32_DEP_1) | instskip(NEXT) | instid1(VALU_DEP_1)
	v_dual_fmac_f32 v9, v9, v16 :: v_dual_mul_f32 v16, 0x3f317217, v26
	v_sub_f32_e32 v27, 0x3fc90fdb, v9
	s_delay_alu instid0(VALU_DEP_2) | instskip(NEXT) | instid1(VALU_DEP_1)
	v_fma_f32 v16, 0x3f317217, v26, -v16
	v_fmac_f32_e32 v16, 0x3377d1cf, v26
	s_delay_alu instid0(VALU_DEP_1) | instskip(NEXT) | instid1(VALU_DEP_4)
	v_fmac_f32_e32 v16, 0x3f317217, v26
	v_cndmask_b32_e64 v9, v9, v27, s4
	v_cndmask_b32_e64 v27, 0, 0x40490fdb, s5
	v_cmp_gt_f32_e64 s5, 0, v14
	s_delay_alu instid0(VALU_DEP_3) | instskip(NEXT) | instid1(VALU_DEP_2)
	v_sub_f32_e32 v28, 0x40490fdb, v9
	v_cndmask_b32_e64 v14, 0x3f490fdb, v32, s5
	s_delay_alu instid0(VALU_DEP_2)
	v_cndmask_b32_e64 v9, v9, v28, s5
	v_cndmask_b32_e64 v28, 0, 0x41b17218, vcc_lo
	v_cmp_gt_f32_e64 vcc_lo, 0x7f800000, |v26|
	v_cndmask_b32_e32 v16, v26, v16, vcc_lo
	v_cmp_eq_f32_e32 vcc_lo, 0, v15
	v_cndmask_b32_e32 v26, v9, v27, vcc_lo
	s_and_b32 vcc_lo, s8, s7
	s_delay_alu instid0(VALU_DEP_1)
	v_dual_sub_f32 v9, v16, v28 :: v_dual_cndmask_b32 v16, v26, v14
.LBB180_277:                            ;   in Loop: Header=BB180_145 Depth=1
	s_or_b32 exec_lo, exec_lo, s6
                                        ; implicit-def: $vgpr26
.LBB180_278:                            ;   in Loop: Header=BB180_145 Depth=1
	s_and_not1_saveexec_b32 s6, s30
	s_cbranch_execz .LBB180_284
; %bb.279:                              ;   in Loop: Header=BB180_145 Depth=1
                                        ; implicit-def: $vgpr9
                                        ; implicit-def: $vgpr16
	s_mov_b32 s5, exec_lo
	v_cmpx_ngt_f32_e32 0x1fec1e4a, v26
	s_xor_b32 s7, exec_lo, s5
	s_cbranch_execz .LBB180_281
; %bb.280:                              ;   in Loop: Header=BB180_145 Depth=1
	v_pk_mul_f32 v[26:27], v[26:27], v[26:27]
	v_cmp_class_f32_e64 s8, v14, 0x204
	s_delay_alu instid0(VALU_DEP_2) | instskip(SKIP_1) | instid1(VALU_DEP_2)
	v_add_f32_e32 v29, 1.0, v26
	v_cmp_neq_f32_e64 s5, 0x7f800000, v26
	v_add_f32_e32 v27, -1.0, v29
	s_delay_alu instid0(VALU_DEP_1) | instskip(SKIP_2) | instid1(VALU_DEP_1)
	v_mov_b32_e32 v28, v27
	v_cvt_f64_f32_e32 v[30:31], v29
	v_frexp_mant_f32_e32 v16, v29
	v_cmp_gt_f32_e32 vcc_lo, 0x3f2aaaab, v16
	s_delay_alu instid0(VALU_DEP_3) | instskip(SKIP_1) | instid1(VALU_DEP_1)
	v_frexp_exp_i32_f64_e32 v9, v[30:31]
	v_pk_add_f32 v[30:31], v[26:27], v[28:29] neg_lo:[0,1] neg_hi:[0,1]
	v_add_f32_e32 v28, 1.0, v31
	s_delay_alu instid0(VALU_DEP_3) | instskip(SKIP_1) | instid1(VALU_DEP_2)
	v_subrev_co_ci_u32_e64 v9, null, 0, v9, vcc_lo
	v_cmp_gt_i32_e32 vcc_lo, 0, v14
	v_sub_nc_u32_e32 v16, 0, v9
	s_delay_alu instid0(VALU_DEP_1) | instskip(NEXT) | instid1(VALU_DEP_1)
	v_ldexp_f32 v27, v29, v16
	v_dual_add_f32 v31, 1.0, v27 :: v_dual_add_f32 v28, v30, v28
	s_delay_alu instid0(VALU_DEP_1) | instskip(SKIP_1) | instid1(VALU_DEP_3)
	v_add_f32_e32 v29, -1.0, v31
	v_add_f32_e32 v37, -1.0, v27
	v_ldexp_f32 v16, v28, v16
	s_delay_alu instid0(VALU_DEP_3) | instskip(NEXT) | instid1(VALU_DEP_1)
	v_sub_f32_e32 v28, v27, v29
	v_dual_add_f32 v29, 1.0, v37 :: v_dual_add_f32 v28, v16, v28
	s_delay_alu instid0(VALU_DEP_1) | instskip(NEXT) | instid1(VALU_DEP_1)
	v_sub_f32_e32 v27, v27, v29
	v_dual_add_f32 v40, v31, v28 :: v_dual_add_f32 v16, v16, v27
	s_delay_alu instid0(VALU_DEP_1) | instskip(NEXT) | instid1(VALU_DEP_1)
	v_rcp_f32_e32 v27, v40
	v_add_f32_e32 v29, v37, v16
	s_delay_alu instid0(VALU_DEP_1) | instskip(NEXT) | instid1(TRANS32_DEP_1)
	v_dual_sub_f32 v31, v31, v40 :: v_dual_sub_f32 v37, v37, v29
	v_mul_f32_e32 v41, v29, v27
	s_delay_alu instid0(VALU_DEP_2) | instskip(NEXT) | instid1(VALU_DEP_3)
	v_add_f32_e32 v42, v28, v31
	v_add_f32_e32 v16, v16, v37
	s_delay_alu instid0(VALU_DEP_3) | instskip(NEXT) | instid1(VALU_DEP_1)
	v_mul_f32_e32 v30, v40, v41
	v_fma_f32 v38, v41, v40, -v30
	s_delay_alu instid0(VALU_DEP_1) | instskip(NEXT) | instid1(VALU_DEP_1)
	v_fmac_f32_e32 v38, v41, v42
	v_add_f32_e32 v28, v30, v38
	s_delay_alu instid0(VALU_DEP_1) | instskip(NEXT) | instid1(VALU_DEP_1)
	v_dual_sub_f32 v31, v29, v28 :: v_dual_mov_b32 v39, v28
	v_pk_add_f32 v[28:29], v[28:29], v[30:31] neg_lo:[0,1] neg_hi:[0,1]
	s_delay_alu instid0(VALU_DEP_1) | instskip(NEXT) | instid1(VALU_DEP_1)
	v_pk_add_f32 v[28:29], v[28:29], v[38:39] neg_lo:[0,1] neg_hi:[0,1]
	v_add_f32_e32 v16, v16, v29
	s_delay_alu instid0(VALU_DEP_1) | instskip(NEXT) | instid1(VALU_DEP_1)
	v_add_f32_e32 v16, v28, v16
	v_add_f32_e32 v29, v31, v16
	s_delay_alu instid0(VALU_DEP_1) | instskip(NEXT) | instid1(VALU_DEP_1)
	v_mul_f32_e32 v37, v27, v29
	v_mul_f32_e32 v38, v40, v37
	s_delay_alu instid0(VALU_DEP_1) | instskip(NEXT) | instid1(VALU_DEP_1)
	v_dual_fma_f32 v30, v37, v40, -v38 :: v_dual_sub_f32 v40, v31, v29
	v_dual_fmac_f32 v30, v37, v42 :: v_dual_add_f32 v16, v16, v40
	s_delay_alu instid0(VALU_DEP_1) | instskip(NEXT) | instid1(VALU_DEP_1)
	v_dual_add_f32 v40, v41, v37 :: v_dual_add_f32 v28, v38, v30
	v_dual_sub_f32 v39, v29, v28 :: v_dual_mov_b32 v31, v28
	s_delay_alu instid0(VALU_DEP_1) | instskip(NEXT) | instid1(VALU_DEP_1)
	v_pk_add_f32 v[28:29], v[28:29], v[38:39] neg_lo:[0,1] neg_hi:[0,1]
	v_pk_add_f32 v[28:29], v[28:29], v[30:31] neg_lo:[0,1] neg_hi:[0,1]
	s_delay_alu instid0(VALU_DEP_1) | instskip(NEXT) | instid1(VALU_DEP_1)
	v_add_f32_e32 v16, v16, v29
	v_add_f32_e32 v16, v28, v16
	s_delay_alu instid0(VALU_DEP_1) | instskip(NEXT) | instid1(VALU_DEP_1)
	v_dual_sub_f32 v28, v40, v41 :: v_dual_add_f32 v16, v39, v16
	v_sub_f32_e32 v28, v37, v28
	v_max_num_f32_e64 v37, |v14|, |v14|
	s_delay_alu instid0(VALU_DEP_3) | instskip(NEXT) | instid1(VALU_DEP_1)
	v_mul_f32_e32 v16, v27, v16
	v_add_f32_e32 v16, v28, v16
	v_cvt_f32_i32_e32 v28, v9
	s_delay_alu instid0(VALU_DEP_2) | instskip(NEXT) | instid1(VALU_DEP_1)
	v_add_f32_e32 v27, v40, v16
	v_mul_f32_e32 v30, v27, v27
	v_ldexp_f32 v39, v27, 1
	s_delay_alu instid0(VALU_DEP_2) | instskip(SKIP_1) | instid1(VALU_DEP_2)
	v_fmaak_f32 v31, s26, v30, 0x3ecc95a3
	v_mul_f32_e32 v29, v27, v30
	v_fmaak_f32 v9, v30, v31, 0x3f2aaada
	s_delay_alu instid0(VALU_DEP_1) | instskip(SKIP_2) | instid1(VALU_DEP_3)
	v_pk_mul_f32 v[30:31], v[28:29], v[8:9]
	v_sub_f32_e32 v9, v27, v40
	v_max_num_f32_e64 v27, |v15|, |v15|
	v_fma_f32 v38, 0x3f317218, v28, -v30
	s_delay_alu instid0(VALU_DEP_3) | instskip(NEXT) | instid1(VALU_DEP_2)
	v_dual_mov_b32 v40, v30 :: v_dual_sub_f32 v9, v16, v9
	v_fmac_f32_e32 v38, 0xb102e308, v28
	s_delay_alu instid0(VALU_DEP_2) | instskip(NEXT) | instid1(VALU_DEP_2)
	v_ldexp_f32 v9, v9, 1
	v_pk_add_f32 v[28:29], v[30:31], v[38:39]
	s_delay_alu instid0(VALU_DEP_1) | instskip(NEXT) | instid1(VALU_DEP_1)
	v_dual_sub_f32 v16, v29, v39 :: v_dual_mov_b32 v39, v28
	v_sub_f32_e32 v16, v31, v16
	v_pk_add_f32 v[30:31], v[28:29], v[30:31] neg_lo:[0,1] neg_hi:[0,1]
	s_delay_alu instid0(VALU_DEP_2) | instskip(NEXT) | instid1(VALU_DEP_1)
	v_add_f32_e32 v41, v9, v16
	v_pk_add_f32 v[42:43], v[28:29], v[40:41]
	v_max_num_f32_e32 v9, v37, v27
	s_delay_alu instid0(VALU_DEP_2) | instskip(NEXT) | instid1(VALU_DEP_2)
	v_dual_mov_b32 v48, v29 :: v_dual_mov_b32 v31, v43
	v_frexp_mant_f32_e32 v16, v9
	v_frexp_exp_i32_f32_e32 v9, v9
	v_min_num_f32_e32 v27, v37, v27
	s_delay_alu instid0(VALU_DEP_4) | instskip(NEXT) | instid1(VALU_DEP_4)
	v_pk_add_f32 v[44:45], v[38:39], v[30:31]
	v_rcp_f32_e32 v37, v16
	v_mov_b32_e32 v44, v43
	s_delay_alu instid0(VALU_DEP_3) | instskip(SKIP_1) | instid1(VALU_DEP_2)
	v_frexp_exp_i32_f32_e32 v40, v27
	v_pk_add_f32 v[30:31], v[38:39], v[30:31] neg_lo:[0,1] neg_hi:[0,1]
	v_sub_nc_u32_e32 v9, v40, v9
	v_frexp_mant_f32_e32 v27, v27
	s_delay_alu instid0(TRANS32_DEP_1) | instid1(VALU_DEP_1)
	v_dual_mov_b32 v16, v45 :: v_dual_mul_f32 v27, v27, v37
	s_delay_alu instid0(VALU_DEP_1) | instskip(SKIP_1) | instid1(VALU_DEP_3)
	v_pk_add_f32 v[46:47], v[16:17], v[28:29] neg_lo:[0,1] neg_hi:[0,1]
	v_dual_mov_b32 v29, v28 :: v_dual_mov_b32 v28, v41
	v_ldexp_f32 v27, v27, v9
	s_delay_alu instid0(VALU_DEP_3) | instskip(NEXT) | instid1(VALU_DEP_2)
	v_dual_mov_b32 v49, v46 :: v_dual_mov_b32 v9, v46
	v_mul_f32_e32 v37, v27, v27
	s_delay_alu instid0(VALU_DEP_2) | instskip(NEXT) | instid1(VALU_DEP_3)
	v_pk_add_f32 v[38:39], v[44:45], v[48:49] neg_lo:[0,1] neg_hi:[0,1]
	v_pk_add_f32 v[40:41], v[42:43], v[8:9] neg_lo:[0,1] neg_hi:[0,1]
	v_mov_b32_e32 v40, v30
	s_delay_alu instid0(VALU_DEP_3) | instskip(NEXT) | instid1(VALU_DEP_1)
	v_pk_add_f32 v[28:29], v[28:29], v[38:39] neg_lo:[0,1] neg_hi:[0,1]
	v_pk_add_f32 v[38:39], v[40:41], v[28:29]
	s_delay_alu instid0(VALU_DEP_1) | instskip(NEXT) | instid1(VALU_DEP_1)
	v_dual_fmaak_f32 v9, s27, v37, 0xbc7a590c :: v_dual_mov_b32 v40, v39
	v_pk_add_f32 v[40:41], v[38:39], v[40:41]
	s_delay_alu instid0(VALU_DEP_1) | instskip(NEXT) | instid1(VALU_DEP_1)
	v_pk_add_f32 v[42:43], v[16:17], v[40:41]
	v_dual_mov_b32 v31, v45 :: v_dual_mov_b32 v39, v42
	s_delay_alu instid0(VALU_DEP_1) | instskip(NEXT) | instid1(VALU_DEP_1)
	v_pk_add_f32 v[44:45], v[38:39], v[30:31] neg_lo:[0,1] neg_hi:[0,1]
	v_dual_fmaak_f32 v9, v37, v9, 0x3d29fb3f :: v_dual_sub_f32 v16, v38, v44
	s_delay_alu instid0(VALU_DEP_1) | instskip(NEXT) | instid1(VALU_DEP_1)
	v_dual_fmaak_f32 v9, v37, v9, 0xbd97d4d7 :: v_dual_sub_f32 v16, v30, v16
	v_fmaak_f32 v9, v37, v9, 0x3dd931b2
	s_delay_alu instid0(VALU_DEP_1) | instskip(NEXT) | instid1(VALU_DEP_1)
	v_fmaak_f32 v9, v37, v9, 0xbe1160e6
	v_fmaak_f32 v9, v37, v9, 0x3e4cb8bf
	s_delay_alu instid0(VALU_DEP_1) | instskip(NEXT) | instid1(VALU_DEP_1)
	v_fmaak_f32 v9, v37, v9, 0xbeaaaa62
	v_dual_mov_b32 v29, v40 :: v_dual_mul_f32 v9, v37, v9
	s_delay_alu instid0(VALU_DEP_1) | instskip(NEXT) | instid1(VALU_DEP_1)
	v_pk_add_f32 v[28:29], v[28:29], v[44:45] neg_lo:[0,1] neg_hi:[0,1]
	v_dual_fmac_f32 v27, v27, v9 :: v_dual_add_f32 v9, v28, v16
	s_delay_alu instid0(VALU_DEP_1) | instskip(NEXT) | instid1(VALU_DEP_1)
	v_dual_sub_f32 v16, 0x3fc90fdb, v27 :: v_dual_add_f32 v9, v9, v29
	v_dual_cndmask_b32 v16, v27, v16, s4 :: v_dual_add_f32 v9, v42, v9
	v_cndmask_b32_e64 v27, 0, 0x40490fdb, vcc_lo
	v_cmp_gt_f32_e32 vcc_lo, 0, v14
	s_delay_alu instid0(VALU_DEP_3) | instskip(NEXT) | instid1(VALU_DEP_4)
	v_cndmask_b32_e64 v9, 0x7f800000, v9, s5
	v_sub_f32_e32 v28, 0x40490fdb, v16
	v_cmp_class_f32_e64 s5, v15, 0x204
	s_delay_alu instid0(VALU_DEP_2) | instskip(SKIP_4) | instid1(VALU_DEP_2)
	v_cndmask_b32_e32 v14, v16, v28, vcc_lo
	v_cndmask_b32_e32 v16, 0x3f490fdb, v32, vcc_lo
	v_cmp_gt_f32_e64 vcc_lo, 0x33800000, |v26|
	v_cndmask_b32_e32 v9, v9, v26, vcc_lo
	v_cmp_eq_f32_e32 vcc_lo, 0, v15
                                        ; implicit-def: $vgpr26
	v_dual_mul_f32 v9, 0.5, v9 :: v_dual_cndmask_b32 v14, v14, v27
	s_and_b32 vcc_lo, s5, s8
	s_delay_alu instid0(VALU_DEP_1)
	v_cndmask_b32_e32 v16, v14, v16, vcc_lo
.LBB180_281:                            ;   in Loop: Header=BB180_145 Depth=1
	s_and_not1_saveexec_b32 s7, s7
	s_cbranch_execz .LBB180_283
; %bb.282:                              ;   in Loop: Header=BB180_145 Depth=1
	v_max_num_f32_e64 v9, |v15|, |v15|
	v_max_num_f32_e64 v16, |v14|, |v14|
	v_cmp_eq_f32_e64 s5, 0, v15
	v_cmp_gt_i32_e32 vcc_lo, 0, v14
	v_cmp_class_f32_e64 s8, v14, 0x204
	v_cmp_class_f32_e64 s9, v15, 0x204
	v_dual_max_num_f32 v27, v16, v9 :: v_dual_min_num_f32 v9, v16, v9
	s_delay_alu instid0(VALU_DEP_1) | instskip(SKIP_1) | instid1(VALU_DEP_2)
	v_frexp_mant_f32_e32 v28, v27
	v_frexp_exp_i32_f32_e32 v16, v27
	v_rcp_f32_e32 v27, v28
	v_nop
	v_frexp_exp_i32_f32_e32 v28, v9
	v_frexp_mant_f32_e32 v9, v9
	s_delay_alu instid0(TRANS32_DEP_1) | instid1(VALU_DEP_1)
	v_dual_mul_f32 v9, v9, v27 :: v_dual_sub_nc_u32 v16, v28, v16
	s_delay_alu instid0(VALU_DEP_1) | instskip(NEXT) | instid1(VALU_DEP_1)
	v_ldexp_f32 v9, v9, v16
	v_mul_f32_e32 v16, v9, v9
	s_delay_alu instid0(VALU_DEP_1) | instskip(NEXT) | instid1(VALU_DEP_1)
	v_fmaak_f32 v27, s27, v16, 0xbc7a590c
	v_fmaak_f32 v27, v16, v27, 0x3d29fb3f
	s_delay_alu instid0(VALU_DEP_1) | instskip(NEXT) | instid1(VALU_DEP_1)
	v_fmaak_f32 v27, v16, v27, 0xbd97d4d7
	v_fmaak_f32 v27, v16, v27, 0x3dd931b2
	;; [unrolled: 3-line block ×3, first 2 shown]
	s_delay_alu instid0(VALU_DEP_1) | instskip(NEXT) | instid1(VALU_DEP_1)
	v_fmaak_f32 v27, v16, v27, 0xbeaaaa62
	v_mul_f32_e32 v16, v16, v27
	v_cndmask_b32_e64 v27, 0, 0x40490fdb, vcc_lo
	v_cmp_gt_f32_e32 vcc_lo, 0, v14
	s_delay_alu instid0(VALU_DEP_3) | instskip(NEXT) | instid1(VALU_DEP_1)
	v_fmac_f32_e32 v9, v9, v16
	v_sub_f32_e32 v16, 0x3fc90fdb, v9
	s_delay_alu instid0(VALU_DEP_1) | instskip(NEXT) | instid1(VALU_DEP_1)
	v_cndmask_b32_e64 v9, v9, v16, s4
	v_sub_f32_e32 v16, 0x40490fdb, v9
	s_delay_alu instid0(VALU_DEP_1) | instskip(NEXT) | instid1(VALU_DEP_1)
	v_dual_cndmask_b32 v9, v9, v16 :: v_dual_mul_f32 v16, 0.5, v26
	v_cndmask_b32_e64 v14, v9, v27, s5
	v_cndmask_b32_e32 v27, 0x3f490fdb, v32, vcc_lo
	s_and_b32 vcc_lo, s9, s8
	s_delay_alu instid0(VALU_DEP_3) | instskip(NEXT) | instid1(VALU_DEP_2)
	v_mul_f32_e32 v9, v26, v16
	v_cndmask_b32_e32 v16, v14, v27, vcc_lo
.LBB180_283:                            ;   in Loop: Header=BB180_145 Depth=1
	s_or_b32 exec_lo, exec_lo, s7
.LBB180_284:                            ;   in Loop: Header=BB180_145 Depth=1
	s_delay_alu instid0(SALU_CYCLE_1)
	s_or_b32 exec_lo, exec_lo, s6
.LBB180_285:                            ;   in Loop: Header=BB180_145 Depth=1
	s_and_not1_saveexec_b32 s6, s29
	s_cbranch_execz .LBB180_287
; %bb.286:                              ;   in Loop: Header=BB180_145 Depth=1
	v_div_scale_f32 v9, null, 0x402df854, 0x402df854, v14
	v_div_scale_f32 v16, null, 0x402df854, 0x402df854, v15
	v_div_scale_f32 v30, vcc_lo, v14, 0x402df854, v14
	s_delay_alu instid0(VALU_DEP_3) | instskip(NEXT) | instid1(VALU_DEP_2)
	v_rcp_f32_e32 v26, v9
	v_rcp_f32_e32 v27, v16
	v_cmp_class_f32_e64 s7, v15, 0x204
	s_delay_alu instid0(TRANS32_DEP_2) | instskip(NEXT) | instid1(TRANS32_DEP_1)
	v_fma_f32 v28, -v9, v26, 1.0
	v_fma_f32 v29, -v16, v27, 1.0
	s_delay_alu instid0(VALU_DEP_1) | instskip(SKIP_1) | instid1(VALU_DEP_1)
	v_dual_fmac_f32 v26, v28, v26 :: v_dual_fmac_f32 v27, v29, v27
	v_div_scale_f32 v28, s5, v15, 0x402df854, v15
	v_dual_mul_f32 v29, v30, v26 :: v_dual_mul_f32 v31, v28, v27
	s_delay_alu instid0(VALU_DEP_1) | instskip(NEXT) | instid1(VALU_DEP_1)
	v_dual_fma_f32 v37, -v9, v29, v30 :: v_dual_fma_f32 v38, -v16, v31, v28
	v_dual_fmac_f32 v29, v37, v26 :: v_dual_fmac_f32 v31, v38, v27
	s_delay_alu instid0(VALU_DEP_1) | instskip(NEXT) | instid1(VALU_DEP_1)
	v_dual_fma_f32 v9, -v9, v29, v30 :: v_dual_fma_f32 v16, -v16, v31, v28
	v_div_fmas_f32 v9, v9, v26, v29
	s_mov_b32 vcc_lo, s5
	v_max_num_f32_e64 v29, |v14|, |v14|
	s_delay_alu instid0(VALU_DEP_3) | instskip(SKIP_2) | instid1(VALU_DEP_3)
	v_div_fmas_f32 v16, v16, v27, v31
	v_cmp_class_f32_e64 s5, v14, 0x204
	v_div_fixup_f32 v9, v9, 0x402df854, v14
	v_div_fixup_f32 v16, v16, 0x402df854, v15
	s_delay_alu instid0(VALU_DEP_1) | instskip(NEXT) | instid1(VALU_DEP_1)
	v_max_num_f32_e64 v28, |v9|, |v16|
	v_cvt_f64_f32_e32 v[26:27], v28
	v_cmp_neq_f32_e32 vcc_lo, 0x7f800000, v28
	s_delay_alu instid0(VALU_DEP_2) | instskip(SKIP_1) | instid1(VALU_DEP_1)
	v_frexp_exp_i32_f64_e32 v26, v[26:27]
	v_max_num_f32_e64 v27, |v15|, |v15|
	v_dual_max_num_f32 v30, v29, v27 :: v_dual_min_num_f32 v27, v29, v27
	s_delay_alu instid0(VALU_DEP_1) | instskip(SKIP_1) | instid1(VALU_DEP_2)
	v_frexp_mant_f32_e32 v31, v30
	v_frexp_exp_i32_f32_e32 v29, v30
	v_rcp_f32_e32 v30, v31
	v_nop
	v_frexp_exp_i32_f32_e32 v31, v27
	v_frexp_mant_f32_e32 v27, v27
	s_delay_alu instid0(VALU_DEP_2)
	v_sub_nc_u32_e32 v29, v31, v29
	s_delay_alu instid0(TRANS32_DEP_1) | instid1(VALU_DEP_2)
	v_mul_f32_e32 v27, v27, v30
	v_sub_nc_u32_e32 v30, 0, v26
	s_delay_alu instid0(VALU_DEP_1) | instskip(SKIP_1) | instid1(VALU_DEP_2)
	v_ldexp_f32 v16, |v16|, v30
	v_ldexp_f32 v9, |v9|, v30
	v_mul_f32_e32 v16, v16, v16
	v_ldexp_f32 v27, v27, v29
	s_delay_alu instid0(VALU_DEP_1) | instskip(NEXT) | instid1(VALU_DEP_1)
	v_dual_fmac_f32 v16, v9, v9 :: v_dual_mul_f32 v29, v27, v27
	v_sqrt_f32_e32 v16, v16
	s_delay_alu instid0(VALU_DEP_1) | instskip(NEXT) | instid1(VALU_DEP_1)
	v_fmaak_f32 v30, s27, v29, 0xbc7a590c
	v_fmaak_f32 v9, v29, v30, 0x3d29fb3f
	s_delay_alu instid0(TRANS32_DEP_1) | instskip(NEXT) | instid1(VALU_DEP_2)
	v_ldexp_f32 v16, v16, v26
	v_fmaak_f32 v9, v29, v9, 0xbd97d4d7
	s_delay_alu instid0(VALU_DEP_1) | instskip(NEXT) | instid1(VALU_DEP_1)
	v_fmaak_f32 v9, v29, v9, 0x3dd931b2
	v_fmaak_f32 v9, v29, v9, 0xbe1160e6
	s_delay_alu instid0(VALU_DEP_1) | instskip(NEXT) | instid1(VALU_DEP_1)
	v_fmaak_f32 v9, v29, v9, 0x3e4cb8bf
	v_fmaak_f32 v9, v29, v9, 0xbeaaaa62
	s_delay_alu instid0(VALU_DEP_1) | instskip(NEXT) | instid1(VALU_DEP_1)
	v_dual_cndmask_b32 v16, 0x7f800000, v16 :: v_dual_mul_f32 v9, v29, v9
	v_cmp_gt_f32_e32 vcc_lo, 0x800000, v16
	s_delay_alu instid0(VALU_DEP_2) | instskip(SKIP_2) | instid1(VALU_DEP_2)
	v_fmac_f32_e32 v27, v27, v9
	v_cndmask_b32_e64 v26, 0, 32, vcc_lo
	v_cndmask_b32_e64 v29, 0, 0x41b17218, vcc_lo
	v_ldexp_f32 v16, v16, v26
	s_delay_alu instid0(VALU_DEP_1) | instskip(SKIP_1) | instid1(TRANS32_DEP_1)
	v_log_f32_e32 v16, v16
	v_nop
	v_mul_f32_e32 v26, 0x3f317217, v16
	v_cmp_gt_f32_e64 vcc_lo, 0x7f800000, |v16|
	s_delay_alu instid0(VALU_DEP_2) | instskip(NEXT) | instid1(VALU_DEP_1)
	v_fma_f32 v9, 0x3f317217, v16, -v26
	v_fmac_f32_e32 v9, 0x3377d1cf, v16
	s_delay_alu instid0(VALU_DEP_1) | instskip(NEXT) | instid1(VALU_DEP_1)
	v_fmac_f32_e32 v9, 0x3f317217, v16
	v_dual_sub_f32 v26, 0x3fc90fdb, v27 :: v_dual_cndmask_b32 v9, v16, v9
	v_cmp_eq_f32_e32 vcc_lo, 0, v15
	s_delay_alu instid0(VALU_DEP_2) | instskip(SKIP_1) | instid1(VALU_DEP_2)
	v_dual_sub_f32 v9, v9, v29 :: v_dual_cndmask_b32 v26, v27, v26, s4
	v_cmp_gt_i32_e64 s4, 0, v14
	v_dual_add_f32 v9, 1.0, v9 :: v_dual_sub_f32 v28, 0x40490fdb, v26
	s_delay_alu instid0(VALU_DEP_2) | instskip(SKIP_1) | instid1(VALU_DEP_1)
	v_cndmask_b32_e64 v27, 0, 0x40490fdb, s4
	v_cmp_gt_f32_e64 s4, 0, v14
	v_cndmask_b32_e64 v14, v26, v28, s4
	v_cndmask_b32_e64 v16, 0x3f490fdb, v32, s4
	s_delay_alu instid0(VALU_DEP_2) | instskip(SKIP_1) | instid1(VALU_DEP_1)
	v_cndmask_b32_e32 v14, v14, v27, vcc_lo
	s_and_b32 vcc_lo, s7, s5
	v_cndmask_b32_e32 v16, v14, v16, vcc_lo
.LBB180_287:                            ;   in Loop: Header=BB180_145 Depth=1
	s_or_b32 exec_lo, exec_lo, s6
	s_and_not1_saveexec_b32 s4, s28
	s_cbranch_execz .LBB180_257
.LBB180_288:                            ;   in Loop: Header=BB180_145 Depth=1
	v_cmp_ngt_f32_e64 s5, 0x20000000, |v14|
	v_cmp_ngt_f32_e64 s6, 0x20000000, |v15|
                                        ; implicit-def: $vgpr9
	s_or_b32 s5, s6, s5
	s_delay_alu instid0(SALU_CYCLE_1) | instskip(NEXT) | instid1(SALU_CYCLE_1)
	s_and_saveexec_b32 s6, s5
	s_xor_b32 s5, exec_lo, s6
; %bb.289:                              ;   in Loop: Header=BB180_145 Depth=1
	v_pk_mul_f32 v[26:27], v[14:15], v[14:15]
	s_delay_alu instid0(VALU_DEP_1)
	v_add_f32_e32 v9, v27, v26
; %bb.290:                              ;   in Loop: Header=BB180_145 Depth=1
	s_and_not1_saveexec_b32 s5, s5
; %bb.291:                              ;   in Loop: Header=BB180_145 Depth=1
	v_pk_mul_f32 v[26:27], v[14:15], 4.0 op_sel_hi:[1,0]
	s_delay_alu instid0(VALU_DEP_1) | instskip(NEXT) | instid1(VALU_DEP_1)
	v_pk_mul_f32 v[26:27], v[26:27], v[26:27]
	v_add_f32_e32 v9, v27, v26
	s_delay_alu instid0(VALU_DEP_1)
	v_mul_f32_e32 v9, 0x3d800000, v9
; %bb.292:                              ;   in Loop: Header=BB180_145 Depth=1
	s_or_b32 exec_lo, exec_lo, s5
	s_delay_alu instid0(VALU_DEP_1) | instskip(SKIP_2) | instid1(VALU_DEP_2)
	v_cmp_gt_f32_e32 vcc_lo, 0x800000, v9
	v_cndmask_b32_e64 v14, 0, 32, vcc_lo
	v_cndmask_b32_e64 v16, 0, 0x41b17218, vcc_lo
	v_ldexp_f32 v9, v9, v14
	s_delay_alu instid0(VALU_DEP_1) | instskip(SKIP_1) | instid1(TRANS32_DEP_1)
	v_log_f32_e32 v9, v9
	v_nop
	v_mul_f32_e32 v14, 0x3f317217, v9
	v_cmp_gt_f32_e64 vcc_lo, 0x7f800000, |v9|
	s_delay_alu instid0(VALU_DEP_2) | instskip(NEXT) | instid1(VALU_DEP_1)
	v_fma_f32 v14, 0x3f317217, v9, -v14
	v_fmac_f32_e32 v14, 0x3377d1cf, v9
	s_delay_alu instid0(VALU_DEP_1) | instskip(NEXT) | instid1(VALU_DEP_1)
	v_fmac_f32_e32 v14, 0x3f317217, v9
	v_cndmask_b32_e32 v9, v9, v14, vcc_lo
	s_delay_alu instid0(VALU_DEP_1) | instskip(SKIP_2) | instid1(SALU_CYCLE_1)
	v_dual_sub_f32 v9, v9, v16 :: v_dual_mov_b32 v16, 0x7fc00000
	s_or_b32 exec_lo, exec_lo, s4
	s_and_saveexec_b32 s4, s3
	s_xor_b32 s4, exec_lo, s4
	s_cbranch_execz .LBB180_258
.LBB180_293:                            ;   in Loop: Header=BB180_145 Depth=1
	v_bfi_b32 v14, 0x7fffffff, v34, v25
	v_div_scale_f32 v26, null, 0x40135d8e, 0x40135d8e, v33
	v_lshl_add_u64 v[20:21], v[20:21], 3, s[14:15]
	s_delay_alu instid0(VALU_DEP_3) | instskip(NEXT) | instid1(VALU_DEP_3)
	v_div_scale_f32 v25, null, 0x40135d8e, 0x40135d8e, v14
	v_rcp_f32_e32 v28, v26
	v_div_scale_f32 v31, vcc_lo, v14, 0x40135d8e, v14
	s_delay_alu instid0(VALU_DEP_2) | instskip(NEXT) | instid1(TRANS32_DEP_2)
	v_rcp_f32_e32 v27, v25
	v_fma_f32 v30, -v26, v28, 1.0
	s_delay_alu instid0(TRANS32_DEP_1) | instskip(NEXT) | instid1(VALU_DEP_1)
	v_fma_f32 v29, -v25, v27, 1.0
	v_dual_fmac_f32 v28, v30, v28 :: v_dual_fmac_f32 v27, v29, v27
	v_div_scale_f32 v29, s3, v33, 0x40135d8e, v33
	s_delay_alu instid0(VALU_DEP_1) | instskip(NEXT) | instid1(VALU_DEP_1)
	v_dual_mul_f32 v30, v31, v27 :: v_dual_mul_f32 v34, v29, v28
	v_fma_f32 v38, -v26, v34, v29
	s_delay_alu instid0(VALU_DEP_1) | instskip(NEXT) | instid1(VALU_DEP_1)
	v_dual_fma_f32 v37, -v25, v30, v31 :: v_dual_fmac_f32 v34, v38, v28
	v_dual_fmac_f32 v30, v37, v27 :: v_dual_fma_f32 v26, -v26, v34, v29
	s_delay_alu instid0(VALU_DEP_1) | instskip(NEXT) | instid1(VALU_DEP_1)
	v_fma_f32 v25, -v25, v30, v31
	v_div_fmas_f32 v25, v25, v27, v30
	s_mov_b32 vcc_lo, s3
	s_delay_alu instid0(VALU_DEP_3) | instskip(NEXT) | instid1(VALU_DEP_2)
	v_div_fmas_f32 v26, v26, v28, v34
	v_div_fixup_f32 v27, v25, 0x40135d8e, v14
	s_delay_alu instid0(VALU_DEP_2)
	v_div_fixup_f32 v26, v26, 0x40135d8e, v33
	global_store_b64 v[20:21], v[26:27], off
	s_wait_xcnt 0x0
	s_or_b32 exec_lo, exec_lo, s4
	s_and_saveexec_b32 s3, s2
	s_cbranch_execz .LBB180_259
.LBB180_294:                            ;   in Loop: Header=BB180_145 Depth=1
	v_bfi_b32 v14, 0x7fffffff, v35, v23
	v_div_scale_f32 v21, null, 0x40135d8e, 0x40135d8e, v24
	v_lshl_add_u64 v[18:19], v[18:19], 3, s[14:15]
	s_delay_alu instid0(VALU_DEP_3) | instskip(NEXT) | instid1(VALU_DEP_3)
	v_div_scale_f32 v20, null, 0x40135d8e, 0x40135d8e, v14
	v_rcp_f32_e32 v25, v21
	v_div_scale_f32 v28, vcc_lo, v14, 0x40135d8e, v14
	s_delay_alu instid0(VALU_DEP_2) | instskip(NEXT) | instid1(TRANS32_DEP_2)
	v_rcp_f32_e32 v23, v20
	v_fma_f32 v27, -v21, v25, 1.0
	s_delay_alu instid0(TRANS32_DEP_1) | instskip(NEXT) | instid1(VALU_DEP_1)
	v_fma_f32 v26, -v20, v23, 1.0
	v_dual_fmac_f32 v25, v27, v25 :: v_dual_fmac_f32 v23, v26, v23
	v_div_scale_f32 v26, s2, v24, 0x40135d8e, v24
	s_delay_alu instid0(VALU_DEP_1) | instskip(NEXT) | instid1(VALU_DEP_1)
	v_dual_mul_f32 v27, v28, v23 :: v_dual_mul_f32 v29, v26, v25
	v_dual_fma_f32 v30, -v20, v27, v28 :: v_dual_fma_f32 v31, -v21, v29, v26
	s_delay_alu instid0(VALU_DEP_1) | instskip(NEXT) | instid1(VALU_DEP_1)
	v_dual_fmac_f32 v27, v30, v23 :: v_dual_fmac_f32 v29, v31, v25
	v_dual_fma_f32 v20, -v20, v27, v28 :: v_dual_fma_f32 v21, -v21, v29, v26
	s_delay_alu instid0(VALU_DEP_1) | instskip(SKIP_1) | instid1(VALU_DEP_2)
	v_div_fmas_f32 v20, v20, v23, v27
	s_mov_b32 vcc_lo, s2
	v_div_fmas_f32 v23, v21, v25, v29
	s_delay_alu instid0(VALU_DEP_2) | instskip(NEXT) | instid1(VALU_DEP_2)
	v_div_fixup_f32 v21, v20, 0x40135d8e, v14
	v_div_fixup_f32 v20, v23, 0x40135d8e, v24
	global_store_b64 v[18:19], v[20:21], off
	s_wait_xcnt 0x0
	s_or_b32 exec_lo, exec_lo, s3
	s_and_saveexec_b32 s2, s1
	s_cbranch_execz .LBB180_260
.LBB180_295:                            ;   in Loop: Header=BB180_145 Depth=1
	v_bfi_b32 v14, 0x7fffffff, v36, v17
	v_div_scale_f32 v18, null, 0x40135d8e, 0x40135d8e, v22
	v_lshl_add_u64 v[12:13], v[12:13], 3, s[14:15]
	s_delay_alu instid0(VALU_DEP_3) | instskip(NEXT) | instid1(VALU_DEP_3)
	v_div_scale_f32 v17, null, 0x40135d8e, 0x40135d8e, v14
	v_rcp_f32_e32 v20, v18
	v_div_scale_f32 v24, vcc_lo, v14, 0x40135d8e, v14
	s_delay_alu instid0(VALU_DEP_2) | instskip(NEXT) | instid1(TRANS32_DEP_2)
	v_rcp_f32_e32 v19, v17
	v_fma_f32 v23, -v18, v20, 1.0
	s_delay_alu instid0(TRANS32_DEP_1) | instskip(NEXT) | instid1(VALU_DEP_1)
	v_fma_f32 v21, -v17, v19, 1.0
	v_dual_fmac_f32 v20, v23, v20 :: v_dual_fmac_f32 v19, v21, v19
	v_div_scale_f32 v21, s1, v22, 0x40135d8e, v22
	s_delay_alu instid0(VALU_DEP_1) | instskip(NEXT) | instid1(VALU_DEP_1)
	v_dual_mul_f32 v23, v24, v19 :: v_dual_mul_f32 v25, v21, v20
	v_dual_fma_f32 v26, -v17, v23, v24 :: v_dual_fma_f32 v27, -v18, v25, v21
	s_delay_alu instid0(VALU_DEP_1) | instskip(NEXT) | instid1(VALU_DEP_1)
	v_dual_fmac_f32 v23, v26, v19 :: v_dual_fmac_f32 v25, v27, v20
	v_dual_fma_f32 v17, -v17, v23, v24 :: v_dual_fma_f32 v18, -v18, v25, v21
	s_delay_alu instid0(VALU_DEP_1) | instskip(SKIP_1) | instid1(VALU_DEP_2)
	v_div_fmas_f32 v17, v17, v19, v23
	s_mov_b32 vcc_lo, s1
	v_div_fmas_f32 v18, v18, v20, v25
	s_delay_alu instid0(VALU_DEP_2) | instskip(NEXT) | instid1(VALU_DEP_2)
	v_div_fixup_f32 v19, v17, 0x40135d8e, v14
	v_div_fixup_f32 v18, v18, 0x40135d8e, v22
	global_store_b64 v[12:13], v[18:19], off
	s_wait_xcnt 0x0
	s_or_b32 exec_lo, exec_lo, s2
	s_and_saveexec_b32 s1, s0
	s_cbranch_execz .LBB180_144
.LBB180_296:                            ;   in Loop: Header=BB180_145 Depth=1
	v_bfi_b32 v12, 0x7fffffff, v16, v15
	v_div_scale_f32 v14, null, 0x40135d8e, 0x40135d8e, v9
	v_lshl_add_u64 v[10:11], v[10:11], 3, s[14:15]
	s_delay_alu instid0(VALU_DEP_3) | instskip(NEXT) | instid1(VALU_DEP_3)
	v_div_scale_f32 v13, null, 0x40135d8e, 0x40135d8e, v12
	v_rcp_f32_e32 v16, v14
	v_div_scale_f32 v19, vcc_lo, v12, 0x40135d8e, v12
	s_delay_alu instid0(VALU_DEP_2) | instskip(NEXT) | instid1(TRANS32_DEP_2)
	v_rcp_f32_e32 v15, v13
	v_fma_f32 v18, -v14, v16, 1.0
	s_delay_alu instid0(TRANS32_DEP_1) | instskip(NEXT) | instid1(VALU_DEP_1)
	v_fma_f32 v17, -v13, v15, 1.0
	v_dual_fmac_f32 v16, v18, v16 :: v_dual_fmac_f32 v15, v17, v15
	v_div_scale_f32 v17, s0, v9, 0x40135d8e, v9
	s_delay_alu instid0(VALU_DEP_1) | instskip(NEXT) | instid1(VALU_DEP_1)
	v_dual_mul_f32 v18, v19, v15 :: v_dual_mul_f32 v20, v17, v16
	v_dual_fma_f32 v21, -v13, v18, v19 :: v_dual_fma_f32 v22, -v14, v20, v17
	s_delay_alu instid0(VALU_DEP_1) | instskip(NEXT) | instid1(VALU_DEP_1)
	v_dual_fmac_f32 v18, v21, v15 :: v_dual_fmac_f32 v20, v22, v16
	v_dual_fma_f32 v13, -v13, v18, v19 :: v_dual_fma_f32 v14, -v14, v20, v17
	s_delay_alu instid0(VALU_DEP_1) | instskip(SKIP_1) | instid1(VALU_DEP_2)
	v_div_fmas_f32 v13, v13, v15, v18
	s_mov_b32 vcc_lo, s0
	v_div_fmas_f32 v14, v14, v16, v20
	s_delay_alu instid0(VALU_DEP_2) | instskip(NEXT) | instid1(VALU_DEP_2)
	v_div_fixup_f32 v13, v13, 0x40135d8e, v12
	v_div_fixup_f32 v12, v14, 0x40135d8e, v9
	global_store_b64 v[10:11], v[12:13], off
	s_branch .LBB180_144
.LBB180_297:
	s_endpgm
	.section	.rodata,"a",@progbits
	.p2align	6, 0x0
	.amdhsa_kernel _ZN2at6native12_GLOBAL__N_125multi_tensor_apply_kernelINS1_18TensorListMetadataILi2EEENS1_14UnaryOpFunctorIN3c107complexIfEELi2ELi1ELi1EEEJNS0_5Log10IS8_EEEEEvT_T0_DpT1_
		.amdhsa_group_segment_fixed_size 0
		.amdhsa_private_segment_fixed_size 0
		.amdhsa_kernarg_size 3408
		.amdhsa_user_sgpr_count 2
		.amdhsa_user_sgpr_dispatch_ptr 0
		.amdhsa_user_sgpr_queue_ptr 0
		.amdhsa_user_sgpr_kernarg_segment_ptr 1
		.amdhsa_user_sgpr_dispatch_id 0
		.amdhsa_user_sgpr_kernarg_preload_length 0
		.amdhsa_user_sgpr_kernarg_preload_offset 0
		.amdhsa_user_sgpr_private_segment_size 0
		.amdhsa_wavefront_size32 1
		.amdhsa_uses_dynamic_stack 0
		.amdhsa_enable_private_segment 0
		.amdhsa_system_sgpr_workgroup_id_x 1
		.amdhsa_system_sgpr_workgroup_id_y 0
		.amdhsa_system_sgpr_workgroup_id_z 0
		.amdhsa_system_sgpr_workgroup_info 0
		.amdhsa_system_vgpr_workitem_id 0
		.amdhsa_next_free_vgpr 51
		.amdhsa_next_free_sgpr 37
		.amdhsa_named_barrier_count 0
		.amdhsa_reserve_vcc 1
		.amdhsa_float_round_mode_32 0
		.amdhsa_float_round_mode_16_64 0
		.amdhsa_float_denorm_mode_32 3
		.amdhsa_float_denorm_mode_16_64 3
		.amdhsa_fp16_overflow 0
		.amdhsa_memory_ordered 1
		.amdhsa_forward_progress 1
		.amdhsa_inst_pref_size 255
		.amdhsa_round_robin_scheduling 0
		.amdhsa_exception_fp_ieee_invalid_op 0
		.amdhsa_exception_fp_denorm_src 0
		.amdhsa_exception_fp_ieee_div_zero 0
		.amdhsa_exception_fp_ieee_overflow 0
		.amdhsa_exception_fp_ieee_underflow 0
		.amdhsa_exception_fp_ieee_inexact 0
		.amdhsa_exception_int_div_zero 0
	.end_amdhsa_kernel
	.section	.text._ZN2at6native12_GLOBAL__N_125multi_tensor_apply_kernelINS1_18TensorListMetadataILi2EEENS1_14UnaryOpFunctorIN3c107complexIfEELi2ELi1ELi1EEEJNS0_5Log10IS8_EEEEEvT_T0_DpT1_,"axG",@progbits,_ZN2at6native12_GLOBAL__N_125multi_tensor_apply_kernelINS1_18TensorListMetadataILi2EEENS1_14UnaryOpFunctorIN3c107complexIfEELi2ELi1ELi1EEEJNS0_5Log10IS8_EEEEEvT_T0_DpT1_,comdat
.Lfunc_end180:
	.size	_ZN2at6native12_GLOBAL__N_125multi_tensor_apply_kernelINS1_18TensorListMetadataILi2EEENS1_14UnaryOpFunctorIN3c107complexIfEELi2ELi1ELi1EEEJNS0_5Log10IS8_EEEEEvT_T0_DpT1_, .Lfunc_end180-_ZN2at6native12_GLOBAL__N_125multi_tensor_apply_kernelINS1_18TensorListMetadataILi2EEENS1_14UnaryOpFunctorIN3c107complexIfEELi2ELi1ELi1EEEJNS0_5Log10IS8_EEEEEvT_T0_DpT1_
                                        ; -- End function
	.set _ZN2at6native12_GLOBAL__N_125multi_tensor_apply_kernelINS1_18TensorListMetadataILi2EEENS1_14UnaryOpFunctorIN3c107complexIfEELi2ELi1ELi1EEEJNS0_5Log10IS8_EEEEEvT_T0_DpT1_.num_vgpr, 51
	.set _ZN2at6native12_GLOBAL__N_125multi_tensor_apply_kernelINS1_18TensorListMetadataILi2EEENS1_14UnaryOpFunctorIN3c107complexIfEELi2ELi1ELi1EEEJNS0_5Log10IS8_EEEEEvT_T0_DpT1_.num_agpr, 0
	.set _ZN2at6native12_GLOBAL__N_125multi_tensor_apply_kernelINS1_18TensorListMetadataILi2EEENS1_14UnaryOpFunctorIN3c107complexIfEELi2ELi1ELi1EEEJNS0_5Log10IS8_EEEEEvT_T0_DpT1_.numbered_sgpr, 37
	.set _ZN2at6native12_GLOBAL__N_125multi_tensor_apply_kernelINS1_18TensorListMetadataILi2EEENS1_14UnaryOpFunctorIN3c107complexIfEELi2ELi1ELi1EEEJNS0_5Log10IS8_EEEEEvT_T0_DpT1_.num_named_barrier, 0
	.set _ZN2at6native12_GLOBAL__N_125multi_tensor_apply_kernelINS1_18TensorListMetadataILi2EEENS1_14UnaryOpFunctorIN3c107complexIfEELi2ELi1ELi1EEEJNS0_5Log10IS8_EEEEEvT_T0_DpT1_.private_seg_size, 0
	.set _ZN2at6native12_GLOBAL__N_125multi_tensor_apply_kernelINS1_18TensorListMetadataILi2EEENS1_14UnaryOpFunctorIN3c107complexIfEELi2ELi1ELi1EEEJNS0_5Log10IS8_EEEEEvT_T0_DpT1_.uses_vcc, 1
	.set _ZN2at6native12_GLOBAL__N_125multi_tensor_apply_kernelINS1_18TensorListMetadataILi2EEENS1_14UnaryOpFunctorIN3c107complexIfEELi2ELi1ELi1EEEJNS0_5Log10IS8_EEEEEvT_T0_DpT1_.uses_flat_scratch, 0
	.set _ZN2at6native12_GLOBAL__N_125multi_tensor_apply_kernelINS1_18TensorListMetadataILi2EEENS1_14UnaryOpFunctorIN3c107complexIfEELi2ELi1ELi1EEEJNS0_5Log10IS8_EEEEEvT_T0_DpT1_.has_dyn_sized_stack, 0
	.set _ZN2at6native12_GLOBAL__N_125multi_tensor_apply_kernelINS1_18TensorListMetadataILi2EEENS1_14UnaryOpFunctorIN3c107complexIfEELi2ELi1ELi1EEEJNS0_5Log10IS8_EEEEEvT_T0_DpT1_.has_recursion, 0
	.set _ZN2at6native12_GLOBAL__N_125multi_tensor_apply_kernelINS1_18TensorListMetadataILi2EEENS1_14UnaryOpFunctorIN3c107complexIfEELi2ELi1ELi1EEEJNS0_5Log10IS8_EEEEEvT_T0_DpT1_.has_indirect_call, 0
	.section	.AMDGPU.csdata,"",@progbits
; Kernel info:
; codeLenInByte = 53192
; TotalNumSgprs: 39
; NumVgprs: 51
; ScratchSize: 0
; MemoryBound: 1
; FloatMode: 240
; IeeeMode: 1
; LDSByteSize: 0 bytes/workgroup (compile time only)
; SGPRBlocks: 0
; VGPRBlocks: 3
; NumSGPRsForWavesPerEU: 39
; NumVGPRsForWavesPerEU: 51
; NamedBarCnt: 0
; Occupancy: 16
; WaveLimiterHint : 0
; COMPUTE_PGM_RSRC2:SCRATCH_EN: 0
; COMPUTE_PGM_RSRC2:USER_SGPR: 2
; COMPUTE_PGM_RSRC2:TRAP_HANDLER: 0
; COMPUTE_PGM_RSRC2:TGID_X_EN: 1
; COMPUTE_PGM_RSRC2:TGID_Y_EN: 0
; COMPUTE_PGM_RSRC2:TGID_Z_EN: 0
; COMPUTE_PGM_RSRC2:TIDIG_COMP_CNT: 0
	.section	.text._ZN2at6native12_GLOBAL__N_125multi_tensor_apply_kernelINS1_18TensorListMetadataILi2EEENS1_14UnaryOpFunctorIN3c104HalfELi2ELi1ELi1EEEJNS0_5Log10IfEEEEEvT_T0_DpT1_,"axG",@progbits,_ZN2at6native12_GLOBAL__N_125multi_tensor_apply_kernelINS1_18TensorListMetadataILi2EEENS1_14UnaryOpFunctorIN3c104HalfELi2ELi1ELi1EEEJNS0_5Log10IfEEEEEvT_T0_DpT1_,comdat
	.globl	_ZN2at6native12_GLOBAL__N_125multi_tensor_apply_kernelINS1_18TensorListMetadataILi2EEENS1_14UnaryOpFunctorIN3c104HalfELi2ELi1ELi1EEEJNS0_5Log10IfEEEEEvT_T0_DpT1_ ; -- Begin function _ZN2at6native12_GLOBAL__N_125multi_tensor_apply_kernelINS1_18TensorListMetadataILi2EEENS1_14UnaryOpFunctorIN3c104HalfELi2ELi1ELi1EEEJNS0_5Log10IfEEEEEvT_T0_DpT1_
	.p2align	8
	.type	_ZN2at6native12_GLOBAL__N_125multi_tensor_apply_kernelINS1_18TensorListMetadataILi2EEENS1_14UnaryOpFunctorIN3c104HalfELi2ELi1ELi1EEEJNS0_5Log10IfEEEEEvT_T0_DpT1_,@function
_ZN2at6native12_GLOBAL__N_125multi_tensor_apply_kernelINS1_18TensorListMetadataILi2EEENS1_14UnaryOpFunctorIN3c104HalfELi2ELi1ELi1EEEJNS0_5Log10IfEEEEEvT_T0_DpT1_: ; @_ZN2at6native12_GLOBAL__N_125multi_tensor_apply_kernelINS1_18TensorListMetadataILi2EEENS1_14UnaryOpFunctorIN3c104HalfELi2ELi1ELi1EEEJNS0_5Log10IfEEEEEvT_T0_DpT1_
; %bb.0:
	s_bfe_u32 s2, ttmp6, 0x4000c
	s_and_b32 s3, ttmp6, 15
	s_add_co_i32 s2, s2, 1
	s_getreg_b32 s4, hwreg(HW_REG_IB_STS2, 6, 4)
	s_mul_i32 s2, ttmp9, s2
	s_delay_alu instid0(SALU_CYCLE_1)
	s_add_co_i32 s3, s3, s2
	s_cmp_eq_u32 s4, 0
	s_cselect_b32 s2, ttmp9, s3
	s_mov_b32 s3, 0
	s_load_u8 s14, s[0:1], s2 offset:0x600
	s_add_nc_u64 s[4:5], s[0:1], s[2:3]
	s_mul_u64 s[6:7], s[2:3], 3
	s_mov_b32 s15, s3
	s_add_nc_u64 s[4:5], s[4:5], s[6:7]
	s_load_b32 s6, s[4:5], 0x740
	s_wait_kmcnt 0x0
	s_clause 0x2
	s_load_b64 s[8:9], s[0:1], s14 offset:0x0 scale_offset
	s_load_b64 s[10:11], s[0:1], s14 offset:0x200 scale_offset
	;; [unrolled: 1-line block ×3, first 2 shown]
	s_ashr_i32 s7, s6, 31
	s_delay_alu instid0(SALU_CYCLE_1)
	s_lshl_b64 s[4:5], s[6:7], 17
	s_wait_kmcnt 0x0
	s_and_b64 s[18:19], s[10:11], 7
	s_add_nc_u64 s[16:17], s[8:9], s[4:5]
	s_and_b32 s14, s12, 3
	s_and_b32 s2, s16, 7
	s_or_b64 s[14:15], s[18:19], s[14:15]
	s_lshl_b64 s[6:7], s[6:7], 16
	s_or_b64 s[2:3], s[14:15], s[2:3]
	s_sub_nc_u64 s[6:7], s[12:13], s[6:7]
	s_cmp_eq_u64 s[2:3], 0
	s_mov_b32 s2, -1
	s_cbranch_scc0 .LBB181_5
; %bb.1:
	v_min_i64 v[2:3], 0x10000, s[6:7]
	v_dual_mov_b32 v5, 0 :: v_dual_lshlrev_b32 v4, 2, v0
	s_mov_b32 s3, exec_lo
	s_delay_alu instid0(VALU_DEP_1)
	v_cmpx_lt_i64_e64 v[4:5], v[2:3]
	s_cbranch_execz .LBB181_4
; %bb.2:
	s_load_b32 s2, s[0:1], 0xc5c
	v_dual_mov_b32 v1, v5 :: v_dual_lshlrev_b32 v4, 3, v0
	s_mov_b32 s13, 0
	s_delay_alu instid0(SALU_CYCLE_1) | instskip(NEXT) | instid1(VALU_DEP_1)
	s_mov_b32 s15, s13
	v_add_nc_u64_e32 v[4:5], s[4:5], v[4:5]
	s_delay_alu instid0(VALU_DEP_2) | instskip(SKIP_3) | instid1(SALU_CYCLE_1)
	v_mov_b64_e32 v[6:7], v[0:1]
	s_mov_b32 s16, s13
	s_wait_kmcnt 0x0
	s_and_b32 s12, s2, 0xffff
	s_lshl_b32 s14, s12, 3
.LBB181_3:                              ; =>This Inner Loop Header: Depth=1
	s_delay_alu instid0(VALU_DEP_2) | instskip(NEXT) | instid1(VALU_DEP_2)
	v_add_nc_u64_e32 v[8:9], s[8:9], v[4:5]
	v_add_nc_u64_e32 v[6:7], s[12:13], v[6:7]
	global_load_b64 v[8:9], v[8:9], off
	v_lshlrev_b64_e32 v[10:11], 2, v[6:7]
	s_wait_loadcnt 0x0
	v_cvt_f32_f16_e32 v1, v8
	s_wait_xcnt 0x0
	v_dual_lshrrev_b32 v8, 16, v8 :: v_dual_lshrrev_b32 v12, 16, v9
	v_cvt_f32_f16_e32 v9, v9
	s_delay_alu instid0(VALU_DEP_3) | instskip(NEXT) | instid1(VALU_DEP_2)
	v_log_f32_e32 v1, v1
	v_cvt_f32_f16_e32 v8, v8
	s_delay_alu instid0(VALU_DEP_3) | instskip(NEXT) | instid1(VALU_DEP_3)
	v_cvt_f32_f16_e32 v12, v12
	v_log_f32_e32 v9, v9
	s_delay_alu instid0(VALU_DEP_2) | instskip(NEXT) | instid1(VALU_DEP_1)
	v_log_f32_e32 v8, v8
	v_log_f32_e32 v12, v12
	v_mul_f32_e32 v13, 0x3e9a209a, v1
	v_cmp_gt_f32_e64 s2, 0x7f800000, |v1|
	s_delay_alu instid0(TRANS32_DEP_3) | instskip(SKIP_1) | instid1(TRANS32_DEP_2)
	v_mul_f32_e32 v14, 0x3e9a209a, v9
	v_cmp_gt_f32_e64 vcc_lo, 0x7f800000, |v9|
	v_mul_f32_e32 v15, 0x3e9a209a, v8
	s_delay_alu instid0(TRANS32_DEP_1) | instskip(SKIP_2) | instid1(VALU_DEP_4)
	v_mul_f32_e32 v16, 0x3e9a209a, v12
	v_fma_f32 v13, 0x3e9a209a, v1, -v13
	v_fma_f32 v14, 0x3e9a209a, v9, -v14
	;; [unrolled: 1-line block ×3, first 2 shown]
	s_delay_alu instid0(VALU_DEP_4) | instskip(NEXT) | instid1(VALU_DEP_4)
	v_fma_f32 v16, 0x3e9a209a, v12, -v16
	v_fmac_f32_e32 v13, 0x3284fbcf, v1
	s_delay_alu instid0(VALU_DEP_3) | instskip(NEXT) | instid1(VALU_DEP_3)
	v_dual_fmac_f32 v14, 0x3284fbcf, v9 :: v_dual_fmac_f32 v15, 0x3284fbcf, v8
	v_fmac_f32_e32 v16, 0x3284fbcf, v12
	s_delay_alu instid0(VALU_DEP_3) | instskip(NEXT) | instid1(VALU_DEP_3)
	v_fmac_f32_e32 v13, 0x3e9a209a, v1
	v_dual_fmac_f32 v14, 0x3e9a209a, v9 :: v_dual_fmac_f32 v15, 0x3e9a209a, v8
	s_delay_alu instid0(VALU_DEP_3) | instskip(NEXT) | instid1(VALU_DEP_3)
	v_fmac_f32_e32 v16, 0x3e9a209a, v12
	v_cndmask_b32_e64 v1, v1, v13, s2
	v_cmp_gt_f32_e64 s2, 0x7f800000, |v8|
	s_delay_alu instid0(VALU_DEP_4) | instskip(SKIP_1) | instid1(VALU_DEP_3)
	v_cndmask_b32_e32 v13, v9, v14, vcc_lo
	v_cmp_gt_f32_e64 vcc_lo, 0x7f800000, |v12|
	v_cndmask_b32_e64 v14, v8, v15, s2
	v_add_nc_u64_e32 v[8:9], s[10:11], v[4:5]
	v_cndmask_b32_e32 v12, v12, v16, vcc_lo
	v_cmp_ge_i64_e32 vcc_lo, v[10:11], v[2:3]
	v_add_nc_u64_e32 v[4:5], s[14:15], v[4:5]
	v_cvt_pk_f16_f32 v10, v1, v14
	s_delay_alu instid0(VALU_DEP_4)
	v_cvt_pk_f16_f32 v11, v13, v12
	s_or_b32 s16, vcc_lo, s16
	global_store_b64 v[8:9], v[10:11], off
	s_wait_xcnt 0x0
	s_and_not1_b32 exec_lo, exec_lo, s16
	s_cbranch_execnz .LBB181_3
.LBB181_4:
	s_or_b32 exec_lo, exec_lo, s3
	s_mov_b32 s2, 0
.LBB181_5:
	s_delay_alu instid0(SALU_CYCLE_1)
	s_and_not1_b32 vcc_lo, exec_lo, s2
	s_cbranch_vccnz .LBB181_25
; %bb.6:
	v_cmp_lt_i64_e64 s2, s[6:7], 1
	s_and_b32 vcc_lo, exec_lo, s2
	s_cbranch_vccnz .LBB181_25
; %bb.7:
	s_load_b32 s0, s[0:1], 0xc5c
	v_min_i64 v[2:3], 0x10000, s[6:7]
	v_min_u64 v[4:5], 0x10000, s[6:7]
	v_dual_mov_b32 v1, 0 :: v_dual_lshlrev_b32 v10, 1, v0
	s_wait_xcnt 0x0
	s_mov_b32 s1, 0
	s_delay_alu instid0(SALU_CYCLE_1) | instskip(NEXT) | instid1(VALU_DEP_1)
	s_mov_b32 s7, s1
	v_dual_mov_b32 v11, v1 :: v_dual_mov_b32 v27, v1
	s_mov_b32 s3, s1
	s_mov_b32 s13, s1
	s_delay_alu instid0(VALU_DEP_1) | instskip(SKIP_2) | instid1(SALU_CYCLE_1)
	v_add_nc_u64_e32 v[6:7], s[8:9], v[10:11]
	s_wait_kmcnt 0x0
	s_and_b32 s0, s0, 0xffff
	v_add_nc_u64_e32 v[8:9], s[0:1], v[0:1]
	v_mad_nc_u64_u32 v[22:23], s0, 6, v[10:11]
	s_lshl_b32 s6, s0, 2
	s_mul_i32 s12, s0, 3
	v_add_nc_u64_e32 v[18:19], s[6:7], v[10:11]
	s_lshl_b32 s2, s0, 1
	v_add_nc_u64_e32 v[10:11], s[10:11], v[10:11]
	v_lshlrev_b32_e32 v26, 1, v8
	v_add_nc_u64_e32 v[12:13], s[12:13], v[0:1]
	v_add_nc_u64_e32 v[14:15], s[2:3], v[0:1]
	v_add_nc_u64_e32 v[16:17], s[8:9], v[18:19]
	v_add_nc_u64_e32 v[18:19], s[10:11], v[18:19]
	v_add_nc_u64_e32 v[20:21], s[8:9], v[22:23]
	v_add_nc_u64_e32 v[22:23], s[10:11], v[22:23]
	v_add_nc_u64_e32 v[24:25], s[8:9], v[26:27]
	v_add_nc_u64_e32 v[26:27], s[10:11], v[26:27]
	s_lshl_b32 s8, s0, 3
	s_mov_b32 s9, s1
	s_mov_b64 s[10:11], 0
	s_branch .LBB181_9
.LBB181_8:                              ;   in Loop: Header=BB181_9 Depth=1
	s_wait_xcnt 0x0
	s_or_b32 exec_lo, exec_lo, s1
	s_add_nc_u64 s[10:11], s[10:11], s[6:7]
	v_add_nc_u64_e32 v[6:7], s[8:9], v[6:7]
	v_cmp_ge_i64_e32 vcc_lo, s[10:11], v[2:3]
	v_add_nc_u64_e32 v[10:11], s[8:9], v[10:11]
	v_add_nc_u64_e32 v[20:21], s[8:9], v[20:21]
	v_add_nc_u64_e32 v[22:23], s[8:9], v[22:23]
	v_add_nc_u64_e32 v[16:17], s[8:9], v[16:17]
	v_add_nc_u64_e32 v[18:19], s[8:9], v[18:19]
	v_add_nc_u64_e32 v[24:25], s[8:9], v[24:25]
	v_add_nc_u64_e32 v[26:27], s[8:9], v[26:27]
	s_cbranch_vccnz .LBB181_25
.LBB181_9:                              ; =>This Inner Loop Header: Depth=1
	v_add_nc_u64_e32 v[28:29], s[10:11], v[0:1]
	v_mov_b32_e32 v31, 0
	s_delay_alu instid0(VALU_DEP_2)
	v_cmp_lt_u64_e64 s2, v[28:29], v[4:5]
	s_and_saveexec_b32 s0, s2
	s_cbranch_execz .LBB181_11
; %bb.10:                               ;   in Loop: Header=BB181_9 Depth=1
	v_add_nc_u64_e32 v[28:29], s[4:5], v[6:7]
	global_load_u16 v28, v[28:29], off
	s_wait_loadcnt 0x0
	v_cvt_f32_f16_e32 v31, v28
.LBB181_11:                             ;   in Loop: Header=BB181_9 Depth=1
	s_wait_xcnt 0x0
	s_or_b32 exec_lo, exec_lo, s0
	v_add_nc_u64_e32 v[28:29], s[10:11], v[8:9]
	v_mov_b32_e32 v30, 0
	s_delay_alu instid0(VALU_DEP_2)
	v_cmp_lt_u64_e64 s1, v[28:29], v[4:5]
	v_mov_b32_e32 v28, 0
	s_and_saveexec_b32 s0, s1
	s_cbranch_execz .LBB181_13
; %bb.12:                               ;   in Loop: Header=BB181_9 Depth=1
	v_add_nc_u64_e32 v[32:33], s[4:5], v[24:25]
	global_load_u16 v29, v[32:33], off
	s_wait_loadcnt 0x0
	v_cvt_f32_f16_e32 v30, v29
.LBB181_13:                             ;   in Loop: Header=BB181_9 Depth=1
	s_wait_xcnt 0x0
	s_or_b32 exec_lo, exec_lo, s0
	v_add_nc_u64_e32 v[32:33], s[10:11], v[14:15]
	s_delay_alu instid0(VALU_DEP_1)
	v_cmp_lt_u64_e64 s0, v[32:33], v[4:5]
	s_and_saveexec_b32 s3, s0
	s_cbranch_execz .LBB181_15
; %bb.14:                               ;   in Loop: Header=BB181_9 Depth=1
	v_add_nc_u64_e32 v[28:29], s[4:5], v[16:17]
	global_load_u16 v28, v[28:29], off
	s_wait_loadcnt 0x0
	v_cvt_f32_f16_e32 v28, v28
.LBB181_15:                             ;   in Loop: Header=BB181_9 Depth=1
	s_or_b32 exec_lo, exec_lo, s3
	v_add_nc_u64_e32 v[32:33], s[10:11], v[12:13]
	v_mov_b32_e32 v29, 0
	s_delay_alu instid0(VALU_DEP_2)
	v_cmp_lt_u64_e32 vcc_lo, v[32:33], v[4:5]
	s_and_saveexec_b32 s3, vcc_lo
	s_cbranch_execnz .LBB181_20
; %bb.16:                               ;   in Loop: Header=BB181_9 Depth=1
	s_or_b32 exec_lo, exec_lo, s3
	s_and_saveexec_b32 s12, s2
	s_cbranch_execnz .LBB181_21
.LBB181_17:                             ;   in Loop: Header=BB181_9 Depth=1
	s_or_b32 exec_lo, exec_lo, s12
	s_and_saveexec_b32 s3, s1
	s_cbranch_execnz .LBB181_22
.LBB181_18:                             ;   in Loop: Header=BB181_9 Depth=1
	s_or_b32 exec_lo, exec_lo, s3
	s_and_saveexec_b32 s2, s0
	s_cbranch_execnz .LBB181_23
.LBB181_19:                             ;   in Loop: Header=BB181_9 Depth=1
	s_or_b32 exec_lo, exec_lo, s2
	s_and_saveexec_b32 s1, vcc_lo
	s_cbranch_execz .LBB181_8
	s_branch .LBB181_24
.LBB181_20:                             ;   in Loop: Header=BB181_9 Depth=1
	v_add_nc_u64_e32 v[32:33], s[4:5], v[20:21]
	global_load_u16 v29, v[32:33], off
	s_wait_loadcnt 0x0
	v_cvt_f32_f16_e32 v29, v29
	s_wait_xcnt 0x0
	s_or_b32 exec_lo, exec_lo, s3
	s_and_saveexec_b32 s12, s2
	s_cbranch_execz .LBB181_17
.LBB181_21:                             ;   in Loop: Header=BB181_9 Depth=1
	v_cmp_gt_f32_e64 s2, 0x800000, v31
	s_delay_alu instid0(VALU_DEP_1) | instskip(NEXT) | instid1(VALU_DEP_1)
	v_cndmask_b32_e64 v32, 0, 32, s2
	v_ldexp_f32 v31, v31, v32
	s_delay_alu instid0(VALU_DEP_1) | instskip(SKIP_1) | instid1(TRANS32_DEP_1)
	v_log_f32_e32 v31, v31
	v_nop
	v_mul_f32_e32 v32, 0x3e9a209a, v31
	v_cmp_gt_f32_e64 s3, 0x7f800000, |v31|
	s_delay_alu instid0(VALU_DEP_2) | instskip(NEXT) | instid1(VALU_DEP_1)
	v_fma_f32 v32, 0x3e9a209a, v31, -v32
	v_fmac_f32_e32 v32, 0x3284fbcf, v31
	s_delay_alu instid0(VALU_DEP_1) | instskip(NEXT) | instid1(VALU_DEP_1)
	v_fmac_f32_e32 v32, 0x3e9a209a, v31
	v_cndmask_b32_e64 v31, v31, v32, s3
	v_cndmask_b32_e64 v32, 0, 0x411a209b, s2
	s_delay_alu instid0(VALU_DEP_1) | instskip(SKIP_1) | instid1(VALU_DEP_2)
	v_sub_f32_e32 v31, v31, v32
	v_add_nc_u64_e32 v[32:33], s[4:5], v[10:11]
	v_cvt_f16_f32_e32 v31, v31
	global_store_b16 v[32:33], v31, off
	s_wait_xcnt 0x0
	s_or_b32 exec_lo, exec_lo, s12
	s_and_saveexec_b32 s3, s1
	s_cbranch_execz .LBB181_18
.LBB181_22:                             ;   in Loop: Header=BB181_9 Depth=1
	v_cmp_gt_f32_e64 s1, 0x800000, v30
	s_delay_alu instid0(VALU_DEP_1) | instskip(NEXT) | instid1(VALU_DEP_1)
	v_cndmask_b32_e64 v31, 0, 32, s1
	v_ldexp_f32 v30, v30, v31
	s_delay_alu instid0(VALU_DEP_1) | instskip(SKIP_1) | instid1(TRANS32_DEP_1)
	v_log_f32_e32 v30, v30
	v_nop
	v_mul_f32_e32 v31, 0x3e9a209a, v30
	v_cmp_gt_f32_e64 s2, 0x7f800000, |v30|
	s_delay_alu instid0(VALU_DEP_2) | instskip(NEXT) | instid1(VALU_DEP_1)
	v_fma_f32 v31, 0x3e9a209a, v30, -v31
	v_fmac_f32_e32 v31, 0x3284fbcf, v30
	s_delay_alu instid0(VALU_DEP_1) | instskip(NEXT) | instid1(VALU_DEP_1)
	v_fmac_f32_e32 v31, 0x3e9a209a, v30
	v_cndmask_b32_e64 v30, v30, v31, s2
	v_cndmask_b32_e64 v31, 0, 0x411a209b, s1
	s_delay_alu instid0(VALU_DEP_1) | instskip(SKIP_1) | instid1(VALU_DEP_2)
	v_sub_f32_e32 v32, v30, v31
	v_add_nc_u64_e32 v[30:31], s[4:5], v[26:27]
	v_cvt_f16_f32_e32 v32, v32
	global_store_b16 v[30:31], v32, off
	s_wait_xcnt 0x0
	s_or_b32 exec_lo, exec_lo, s3
	s_and_saveexec_b32 s2, s0
	s_cbranch_execz .LBB181_19
.LBB181_23:                             ;   in Loop: Header=BB181_9 Depth=1
	v_cmp_gt_f32_e64 s0, 0x800000, v28
	s_delay_alu instid0(VALU_DEP_1) | instskip(NEXT) | instid1(VALU_DEP_1)
	v_cndmask_b32_e64 v30, 0, 32, s0
	v_ldexp_f32 v28, v28, v30
	s_delay_alu instid0(VALU_DEP_1) | instskip(SKIP_1) | instid1(TRANS32_DEP_1)
	v_log_f32_e32 v28, v28
	v_nop
	v_mul_f32_e32 v30, 0x3e9a209a, v28
	v_cmp_gt_f32_e64 s1, 0x7f800000, |v28|
	s_delay_alu instid0(VALU_DEP_2) | instskip(NEXT) | instid1(VALU_DEP_1)
	v_fma_f32 v30, 0x3e9a209a, v28, -v30
	v_fmac_f32_e32 v30, 0x3284fbcf, v28
	s_delay_alu instid0(VALU_DEP_1) | instskip(NEXT) | instid1(VALU_DEP_1)
	v_fmac_f32_e32 v30, 0x3e9a209a, v28
	v_cndmask_b32_e64 v28, v28, v30, s1
	v_cndmask_b32_e64 v30, 0, 0x411a209b, s0
	s_delay_alu instid0(VALU_DEP_1) | instskip(SKIP_1) | instid1(VALU_DEP_2)
	v_sub_f32_e32 v28, v28, v30
	v_add_nc_u64_e32 v[30:31], s[4:5], v[18:19]
	v_cvt_f16_f32_e32 v28, v28
	global_store_b16 v[30:31], v28, off
	s_wait_xcnt 0x0
	s_or_b32 exec_lo, exec_lo, s2
	s_and_saveexec_b32 s1, vcc_lo
	s_cbranch_execz .LBB181_8
.LBB181_24:                             ;   in Loop: Header=BB181_9 Depth=1
	v_cmp_gt_f32_e32 vcc_lo, 0x800000, v29
	v_cndmask_b32_e64 v28, 0, 32, vcc_lo
	s_delay_alu instid0(VALU_DEP_1) | instskip(NEXT) | instid1(VALU_DEP_1)
	v_ldexp_f32 v28, v29, v28
	v_log_f32_e32 v28, v28
	v_nop
	s_delay_alu instid0(TRANS32_DEP_1) | instskip(SKIP_1) | instid1(VALU_DEP_2)
	v_mul_f32_e32 v29, 0x3e9a209a, v28
	v_cmp_gt_f32_e64 s0, 0x7f800000, |v28|
	v_fma_f32 v29, 0x3e9a209a, v28, -v29
	s_delay_alu instid0(VALU_DEP_1) | instskip(NEXT) | instid1(VALU_DEP_1)
	v_fmac_f32_e32 v29, 0x3284fbcf, v28
	v_fmac_f32_e32 v29, 0x3e9a209a, v28
	s_delay_alu instid0(VALU_DEP_1) | instskip(SKIP_1) | instid1(VALU_DEP_1)
	v_cndmask_b32_e64 v28, v28, v29, s0
	v_cndmask_b32_e64 v29, 0, 0x411a209b, vcc_lo
	v_sub_f32_e32 v30, v28, v29
	v_add_nc_u64_e32 v[28:29], s[4:5], v[22:23]
	s_delay_alu instid0(VALU_DEP_2)
	v_cvt_f16_f32_e32 v30, v30
	global_store_b16 v[28:29], v30, off
	s_branch .LBB181_8
.LBB181_25:
	s_endpgm
	.section	.rodata,"a",@progbits
	.p2align	6, 0x0
	.amdhsa_kernel _ZN2at6native12_GLOBAL__N_125multi_tensor_apply_kernelINS1_18TensorListMetadataILi2EEENS1_14UnaryOpFunctorIN3c104HalfELi2ELi1ELi1EEEJNS0_5Log10IfEEEEEvT_T0_DpT1_
		.amdhsa_group_segment_fixed_size 0
		.amdhsa_private_segment_fixed_size 0
		.amdhsa_kernarg_size 3408
		.amdhsa_user_sgpr_count 2
		.amdhsa_user_sgpr_dispatch_ptr 0
		.amdhsa_user_sgpr_queue_ptr 0
		.amdhsa_user_sgpr_kernarg_segment_ptr 1
		.amdhsa_user_sgpr_dispatch_id 0
		.amdhsa_user_sgpr_kernarg_preload_length 0
		.amdhsa_user_sgpr_kernarg_preload_offset 0
		.amdhsa_user_sgpr_private_segment_size 0
		.amdhsa_wavefront_size32 1
		.amdhsa_uses_dynamic_stack 0
		.amdhsa_enable_private_segment 0
		.amdhsa_system_sgpr_workgroup_id_x 1
		.amdhsa_system_sgpr_workgroup_id_y 0
		.amdhsa_system_sgpr_workgroup_id_z 0
		.amdhsa_system_sgpr_workgroup_info 0
		.amdhsa_system_vgpr_workitem_id 0
		.amdhsa_next_free_vgpr 34
		.amdhsa_next_free_sgpr 20
		.amdhsa_named_barrier_count 0
		.amdhsa_reserve_vcc 1
		.amdhsa_float_round_mode_32 0
		.amdhsa_float_round_mode_16_64 0
		.amdhsa_float_denorm_mode_32 3
		.amdhsa_float_denorm_mode_16_64 3
		.amdhsa_fp16_overflow 0
		.amdhsa_memory_ordered 1
		.amdhsa_forward_progress 1
		.amdhsa_inst_pref_size 15
		.amdhsa_round_robin_scheduling 0
		.amdhsa_exception_fp_ieee_invalid_op 0
		.amdhsa_exception_fp_denorm_src 0
		.amdhsa_exception_fp_ieee_div_zero 0
		.amdhsa_exception_fp_ieee_overflow 0
		.amdhsa_exception_fp_ieee_underflow 0
		.amdhsa_exception_fp_ieee_inexact 0
		.amdhsa_exception_int_div_zero 0
	.end_amdhsa_kernel
	.section	.text._ZN2at6native12_GLOBAL__N_125multi_tensor_apply_kernelINS1_18TensorListMetadataILi2EEENS1_14UnaryOpFunctorIN3c104HalfELi2ELi1ELi1EEEJNS0_5Log10IfEEEEEvT_T0_DpT1_,"axG",@progbits,_ZN2at6native12_GLOBAL__N_125multi_tensor_apply_kernelINS1_18TensorListMetadataILi2EEENS1_14UnaryOpFunctorIN3c104HalfELi2ELi1ELi1EEEJNS0_5Log10IfEEEEEvT_T0_DpT1_,comdat
.Lfunc_end181:
	.size	_ZN2at6native12_GLOBAL__N_125multi_tensor_apply_kernelINS1_18TensorListMetadataILi2EEENS1_14UnaryOpFunctorIN3c104HalfELi2ELi1ELi1EEEJNS0_5Log10IfEEEEEvT_T0_DpT1_, .Lfunc_end181-_ZN2at6native12_GLOBAL__N_125multi_tensor_apply_kernelINS1_18TensorListMetadataILi2EEENS1_14UnaryOpFunctorIN3c104HalfELi2ELi1ELi1EEEJNS0_5Log10IfEEEEEvT_T0_DpT1_
                                        ; -- End function
	.set _ZN2at6native12_GLOBAL__N_125multi_tensor_apply_kernelINS1_18TensorListMetadataILi2EEENS1_14UnaryOpFunctorIN3c104HalfELi2ELi1ELi1EEEJNS0_5Log10IfEEEEEvT_T0_DpT1_.num_vgpr, 34
	.set _ZN2at6native12_GLOBAL__N_125multi_tensor_apply_kernelINS1_18TensorListMetadataILi2EEENS1_14UnaryOpFunctorIN3c104HalfELi2ELi1ELi1EEEJNS0_5Log10IfEEEEEvT_T0_DpT1_.num_agpr, 0
	.set _ZN2at6native12_GLOBAL__N_125multi_tensor_apply_kernelINS1_18TensorListMetadataILi2EEENS1_14UnaryOpFunctorIN3c104HalfELi2ELi1ELi1EEEJNS0_5Log10IfEEEEEvT_T0_DpT1_.numbered_sgpr, 20
	.set _ZN2at6native12_GLOBAL__N_125multi_tensor_apply_kernelINS1_18TensorListMetadataILi2EEENS1_14UnaryOpFunctorIN3c104HalfELi2ELi1ELi1EEEJNS0_5Log10IfEEEEEvT_T0_DpT1_.num_named_barrier, 0
	.set _ZN2at6native12_GLOBAL__N_125multi_tensor_apply_kernelINS1_18TensorListMetadataILi2EEENS1_14UnaryOpFunctorIN3c104HalfELi2ELi1ELi1EEEJNS0_5Log10IfEEEEEvT_T0_DpT1_.private_seg_size, 0
	.set _ZN2at6native12_GLOBAL__N_125multi_tensor_apply_kernelINS1_18TensorListMetadataILi2EEENS1_14UnaryOpFunctorIN3c104HalfELi2ELi1ELi1EEEJNS0_5Log10IfEEEEEvT_T0_DpT1_.uses_vcc, 1
	.set _ZN2at6native12_GLOBAL__N_125multi_tensor_apply_kernelINS1_18TensorListMetadataILi2EEENS1_14UnaryOpFunctorIN3c104HalfELi2ELi1ELi1EEEJNS0_5Log10IfEEEEEvT_T0_DpT1_.uses_flat_scratch, 0
	.set _ZN2at6native12_GLOBAL__N_125multi_tensor_apply_kernelINS1_18TensorListMetadataILi2EEENS1_14UnaryOpFunctorIN3c104HalfELi2ELi1ELi1EEEJNS0_5Log10IfEEEEEvT_T0_DpT1_.has_dyn_sized_stack, 0
	.set _ZN2at6native12_GLOBAL__N_125multi_tensor_apply_kernelINS1_18TensorListMetadataILi2EEENS1_14UnaryOpFunctorIN3c104HalfELi2ELi1ELi1EEEJNS0_5Log10IfEEEEEvT_T0_DpT1_.has_recursion, 0
	.set _ZN2at6native12_GLOBAL__N_125multi_tensor_apply_kernelINS1_18TensorListMetadataILi2EEENS1_14UnaryOpFunctorIN3c104HalfELi2ELi1ELi1EEEJNS0_5Log10IfEEEEEvT_T0_DpT1_.has_indirect_call, 0
	.section	.AMDGPU.csdata,"",@progbits
; Kernel info:
; codeLenInByte = 1860
; TotalNumSgprs: 22
; NumVgprs: 34
; ScratchSize: 0
; MemoryBound: 0
; FloatMode: 240
; IeeeMode: 1
; LDSByteSize: 0 bytes/workgroup (compile time only)
; SGPRBlocks: 0
; VGPRBlocks: 2
; NumSGPRsForWavesPerEU: 22
; NumVGPRsForWavesPerEU: 34
; NamedBarCnt: 0
; Occupancy: 16
; WaveLimiterHint : 0
; COMPUTE_PGM_RSRC2:SCRATCH_EN: 0
; COMPUTE_PGM_RSRC2:USER_SGPR: 2
; COMPUTE_PGM_RSRC2:TRAP_HANDLER: 0
; COMPUTE_PGM_RSRC2:TGID_X_EN: 1
; COMPUTE_PGM_RSRC2:TGID_Y_EN: 0
; COMPUTE_PGM_RSRC2:TGID_Z_EN: 0
; COMPUTE_PGM_RSRC2:TIDIG_COMP_CNT: 0
	.section	.text._ZN2at6native12_GLOBAL__N_125multi_tensor_apply_kernelINS1_18TensorListMetadataILi2EEENS1_14UnaryOpFunctorIN3c108BFloat16ELi2ELi1ELi1EEEJNS0_5Log10IfEEEEEvT_T0_DpT1_,"axG",@progbits,_ZN2at6native12_GLOBAL__N_125multi_tensor_apply_kernelINS1_18TensorListMetadataILi2EEENS1_14UnaryOpFunctorIN3c108BFloat16ELi2ELi1ELi1EEEJNS0_5Log10IfEEEEEvT_T0_DpT1_,comdat
	.globl	_ZN2at6native12_GLOBAL__N_125multi_tensor_apply_kernelINS1_18TensorListMetadataILi2EEENS1_14UnaryOpFunctorIN3c108BFloat16ELi2ELi1ELi1EEEJNS0_5Log10IfEEEEEvT_T0_DpT1_ ; -- Begin function _ZN2at6native12_GLOBAL__N_125multi_tensor_apply_kernelINS1_18TensorListMetadataILi2EEENS1_14UnaryOpFunctorIN3c108BFloat16ELi2ELi1ELi1EEEJNS0_5Log10IfEEEEEvT_T0_DpT1_
	.p2align	8
	.type	_ZN2at6native12_GLOBAL__N_125multi_tensor_apply_kernelINS1_18TensorListMetadataILi2EEENS1_14UnaryOpFunctorIN3c108BFloat16ELi2ELi1ELi1EEEJNS0_5Log10IfEEEEEvT_T0_DpT1_,@function
_ZN2at6native12_GLOBAL__N_125multi_tensor_apply_kernelINS1_18TensorListMetadataILi2EEENS1_14UnaryOpFunctorIN3c108BFloat16ELi2ELi1ELi1EEEJNS0_5Log10IfEEEEEvT_T0_DpT1_: ; @_ZN2at6native12_GLOBAL__N_125multi_tensor_apply_kernelINS1_18TensorListMetadataILi2EEENS1_14UnaryOpFunctorIN3c108BFloat16ELi2ELi1ELi1EEEJNS0_5Log10IfEEEEEvT_T0_DpT1_
; %bb.0:
	s_bfe_u32 s2, ttmp6, 0x4000c
	s_and_b32 s3, ttmp6, 15
	s_add_co_i32 s2, s2, 1
	s_getreg_b32 s4, hwreg(HW_REG_IB_STS2, 6, 4)
	s_mul_i32 s2, ttmp9, s2
	s_delay_alu instid0(SALU_CYCLE_1)
	s_add_co_i32 s3, s3, s2
	s_cmp_eq_u32 s4, 0
	s_cselect_b32 s2, ttmp9, s3
	s_mov_b32 s3, 0
	s_load_u8 s11, s[0:1], s2 offset:0x600
	s_add_nc_u64 s[4:5], s[0:1], s[2:3]
	s_mul_u64 s[6:7], s[2:3], 3
	s_mov_b32 s15, s3
	s_add_nc_u64 s[4:5], s[4:5], s[6:7]
	s_load_b32 s10, s[4:5], 0x740
	s_wait_kmcnt 0x0
	s_clause 0x2
	s_load_b64 s[6:7], s[0:1], s11 offset:0x0 scale_offset
	s_load_b64 s[8:9], s[0:1], s11 offset:0x200 scale_offset
	;; [unrolled: 1-line block ×3, first 2 shown]
	s_wait_xcnt 0x0
	s_ashr_i32 s11, s10, 31
	s_delay_alu instid0(SALU_CYCLE_1)
	s_lshl_b64 s[4:5], s[10:11], 17
	s_wait_kmcnt 0x0
	s_and_b64 s[18:19], s[8:9], 7
	s_add_nc_u64 s[16:17], s[6:7], s[4:5]
	s_and_b32 s14, s12, 3
	s_and_b32 s2, s16, 7
	s_or_b64 s[14:15], s[18:19], s[14:15]
	s_lshl_b64 s[10:11], s[10:11], 16
	s_or_b64 s[2:3], s[14:15], s[2:3]
	s_sub_nc_u64 s[10:11], s[12:13], s[10:11]
	s_cmp_eq_u64 s[2:3], 0
	s_mov_b32 s2, -1
	s_cbranch_scc0 .LBB182_5
; %bb.1:
	v_min_i64 v[2:3], 0x10000, s[10:11]
	v_dual_mov_b32 v5, 0 :: v_dual_lshlrev_b32 v4, 2, v0
	s_mov_b32 s16, exec_lo
	s_delay_alu instid0(VALU_DEP_1)
	v_cmpx_lt_i64_e64 v[4:5], v[2:3]
	s_cbranch_execz .LBB182_4
; %bb.2:
	s_load_b32 s2, s[0:1], 0xc5c
	v_dual_mov_b32 v1, v5 :: v_dual_lshlrev_b32 v4, 3, v0
	s_mov_b32 s13, 0
	s_delay_alu instid0(SALU_CYCLE_1) | instskip(NEXT) | instid1(VALU_DEP_1)
	s_mov_b32 s15, s13
	v_add_nc_u64_e32 v[4:5], s[4:5], v[4:5]
	s_delay_alu instid0(VALU_DEP_2) | instskip(SKIP_3) | instid1(SALU_CYCLE_1)
	v_mov_b64_e32 v[6:7], v[0:1]
	s_mov_b32 s17, s13
	s_wait_kmcnt 0x0
	s_and_b32 s12, s2, 0xffff
	s_lshl_b32 s14, s12, 3
.LBB182_3:                              ; =>This Inner Loop Header: Depth=1
	s_delay_alu instid0(VALU_DEP_2) | instskip(NEXT) | instid1(VALU_DEP_2)
	v_add_nc_u64_e32 v[8:9], s[6:7], v[4:5]
	v_add_nc_u64_e32 v[6:7], s[12:13], v[6:7]
	global_load_b64 v[8:9], v[8:9], off
	v_lshlrev_b64_e32 v[10:11], 2, v[6:7]
	s_wait_loadcnt 0x0
	v_lshlrev_b32_e32 v1, 16, v8
	v_and_b32_e32 v12, 0xffff0000, v8
	s_wait_xcnt 0x0
	v_alignbit_b32 v8, v9, v8, 16
	v_and_b32_e32 v9, 0xffff0000, v9
	v_cmp_gt_f32_e32 vcc_lo, 0x800000, v1
	v_cmp_gt_f32_e64 s2, 0x800000, v12
	s_delay_alu instid0(VALU_DEP_4) | instskip(NEXT) | instid1(VALU_DEP_4)
	v_and_b32_e32 v8, 0xffff0000, v8
	v_cmp_gt_f32_e64 s3, 0x800000, v9
	v_cndmask_b32_e64 v13, 0, 32, vcc_lo
	s_delay_alu instid0(VALU_DEP_4) | instskip(NEXT) | instid1(VALU_DEP_3)
	v_cndmask_b32_e64 v14, 0, 32, s2
	v_cndmask_b32_e64 v15, 0, 32, s3
	s_delay_alu instid0(VALU_DEP_3) | instskip(SKIP_1) | instid1(VALU_DEP_4)
	v_ldexp_f32 v1, v1, v13
	v_cndmask_b32_e64 v13, 0, 0x411a209b, vcc_lo
	v_ldexp_f32 v12, v12, v14
	v_cmp_gt_f32_e32 vcc_lo, 0x800000, v8
	v_ldexp_f32 v9, v9, v15
	v_log_f32_e32 v1, v1
	v_cndmask_b32_e64 v15, 0, 0x411a209b, s3
	v_log_f32_e32 v12, v12
	v_cndmask_b32_e64 v16, 0, 32, vcc_lo
	v_log_f32_e32 v9, v9
	v_cndmask_b32_e64 v14, 0, 0x411a209b, s2
	s_delay_alu instid0(TRANS32_DEP_3) | instskip(NEXT) | instid1(VALU_DEP_3)
	v_mul_f32_e32 v17, 0x3e9a209a, v1
	v_ldexp_f32 v8, v8, v16
	s_delay_alu instid0(TRANS32_DEP_2)
	v_mul_f32_e32 v18, 0x3e9a209a, v12
	v_cndmask_b32_e64 v16, 0, 0x411a209b, vcc_lo
	v_cmp_gt_f32_e64 vcc_lo, 0x7f800000, |v12|
	v_fma_f32 v17, 0x3e9a209a, v1, -v17
	v_log_f32_e32 v8, v8
	v_fma_f32 v18, 0x3e9a209a, v12, -v18
	v_cmp_gt_f32_e64 s3, 0x7f800000, |v1|
	v_cmp_gt_f32_e64 s2, 0x7f800000, |v9|
	s_delay_alu instid0(VALU_DEP_3) | instskip(NEXT) | instid1(TRANS32_DEP_1)
	v_dual_fmac_f32 v17, 0x3284fbcf, v1 :: v_dual_fmac_f32 v18, 0x3284fbcf, v12
	v_dual_mul_f32 v19, 0x3e9a209a, v9 :: v_dual_mul_f32 v20, 0x3e9a209a, v8
	s_delay_alu instid0(VALU_DEP_2) | instskip(NEXT) | instid1(VALU_DEP_2)
	v_fmac_f32_e32 v18, 0x3e9a209a, v12
	v_fma_f32 v19, 0x3e9a209a, v9, -v19
	s_delay_alu instid0(VALU_DEP_3) | instskip(NEXT) | instid1(VALU_DEP_2)
	v_fma_f32 v20, 0x3e9a209a, v8, -v20
	v_dual_cndmask_b32 v12, v12, v18 :: v_dual_fmac_f32 v19, 0x3284fbcf, v9
	s_delay_alu instid0(VALU_DEP_2) | instskip(SKIP_2) | instid1(VALU_DEP_4)
	v_fmac_f32_e32 v20, 0x3284fbcf, v8
	v_fmac_f32_e32 v17, 0x3e9a209a, v1
	v_cmp_gt_f32_e64 vcc_lo, 0x7f800000, |v8|
	v_dual_sub_f32 v12, v12, v14 :: v_dual_fmac_f32 v19, 0x3e9a209a, v9
	s_delay_alu instid0(VALU_DEP_4) | instskip(NEXT) | instid1(VALU_DEP_4)
	v_fmac_f32_e32 v20, 0x3e9a209a, v8
	v_cndmask_b32_e64 v1, v1, v17, s3
	s_delay_alu instid0(VALU_DEP_3) | instskip(NEXT) | instid1(VALU_DEP_3)
	v_bfe_u32 v14, v12, 16, 1
	v_dual_cndmask_b32 v9, v9, v19, s2 :: v_dual_cndmask_b32 v8, v8, v20, vcc_lo
	s_delay_alu instid0(VALU_DEP_3) | instskip(SKIP_1) | instid1(VALU_DEP_4)
	v_sub_f32_e32 v1, v1, v13
	v_cmp_o_f32_e32 vcc_lo, v12, v12
	v_add3_u32 v14, v12, v14, 0x7fff
	s_delay_alu instid0(VALU_DEP_4) | instskip(NEXT) | instid1(VALU_DEP_4)
	v_sub_f32_e32 v8, v8, v16
	v_bfe_u32 v13, v1, 16, 1
	v_cmp_o_f32_e64 s2, v1, v1
	s_delay_alu instid0(VALU_DEP_4) | instskip(NEXT) | instid1(VALU_DEP_4)
	v_and_b32_e32 v14, 0xffff0000, v14
	v_bfe_u32 v16, v8, 16, 1
	s_delay_alu instid0(VALU_DEP_4) | instskip(NEXT) | instid1(VALU_DEP_3)
	v_add3_u32 v13, v1, v13, 0x7fff
	v_dual_sub_f32 v9, v9, v15 :: v_dual_cndmask_b32 v12, 0x7fc00000, v14
	s_delay_alu instid0(VALU_DEP_3) | instskip(NEXT) | instid1(VALU_DEP_3)
	v_add3_u32 v16, v8, v16, 0x7fff
	v_lshrrev_b32_e32 v13, 16, v13
	s_delay_alu instid0(VALU_DEP_3) | instskip(SKIP_1) | instid1(VALU_DEP_4)
	v_bfe_u32 v15, v9, 16, 1
	v_cmp_o_f32_e32 vcc_lo, v9, v9
	v_lshrrev_b32_e32 v1, 16, v16
	s_delay_alu instid0(VALU_DEP_4) | instskip(NEXT) | instid1(VALU_DEP_4)
	v_cndmask_b32_e64 v13, 0x7fc0, v13, s2
	v_add3_u32 v15, v9, v15, 0x7fff
	s_delay_alu instid0(VALU_DEP_2) | instskip(NEXT) | instid1(VALU_DEP_2)
	v_or_b32_e32 v12, v13, v12
	v_and_b32_e32 v15, 0xffff0000, v15
	s_delay_alu instid0(VALU_DEP_1)
	v_cndmask_b32_e32 v14, 0x7fc00000, v15, vcc_lo
	v_cmp_o_f32_e32 vcc_lo, v8, v8
	v_add_nc_u64_e32 v[8:9], s[8:9], v[4:5]
	v_add_nc_u64_e32 v[4:5], s[14:15], v[4:5]
	v_cndmask_b32_e32 v1, 0x7fc0, v1, vcc_lo
	v_cmp_ge_i64_e32 vcc_lo, v[10:11], v[2:3]
	v_or3_b32 v10, v12, 0, 0
	s_delay_alu instid0(VALU_DEP_3)
	v_or3_b32 v11, 0, v1, v14
	s_or_b32 s17, vcc_lo, s17
	global_store_b64 v[8:9], v[10:11], off
	s_wait_xcnt 0x0
	s_and_not1_b32 exec_lo, exec_lo, s17
	s_cbranch_execnz .LBB182_3
.LBB182_4:
	s_or_b32 exec_lo, exec_lo, s16
	s_mov_b32 s2, 0
.LBB182_5:
	s_delay_alu instid0(SALU_CYCLE_1)
	s_and_not1_b32 vcc_lo, exec_lo, s2
	s_cbranch_vccnz .LBB182_25
; %bb.6:
	v_cmp_lt_i64_e64 s2, s[10:11], 1
	s_and_b32 vcc_lo, exec_lo, s2
	s_cbranch_vccnz .LBB182_25
; %bb.7:
	s_load_b32 s0, s[0:1], 0xc5c
	v_min_i64 v[2:3], 0x10000, s[10:11]
	v_min_u64 v[4:5], 0x10000, s[10:11]
	v_dual_mov_b32 v1, 0 :: v_dual_lshlrev_b32 v10, 1, v0
	s_wait_xcnt 0x0
	s_mov_b32 s1, 0
	s_delay_alu instid0(SALU_CYCLE_1) | instskip(NEXT) | instid1(VALU_DEP_1)
	s_mov_b32 s11, s1
	v_dual_mov_b32 v11, v1 :: v_dual_mov_b32 v27, v1
	s_mov_b32 s3, s1
	s_mov_b32 s13, s1
	s_delay_alu instid0(VALU_DEP_1) | instskip(SKIP_2) | instid1(SALU_CYCLE_1)
	v_add_nc_u64_e32 v[6:7], s[6:7], v[10:11]
	s_wait_kmcnt 0x0
	s_and_b32 s0, s0, 0xffff
	v_add_nc_u64_e32 v[8:9], s[0:1], v[0:1]
	v_mad_nc_u64_u32 v[22:23], s0, 6, v[10:11]
	s_lshl_b32 s10, s0, 2
	s_mul_i32 s12, s0, 3
	v_add_nc_u64_e32 v[18:19], s[10:11], v[10:11]
	s_lshl_b32 s2, s0, 1
	v_add_nc_u64_e32 v[10:11], s[8:9], v[10:11]
	v_lshlrev_b32_e32 v26, 1, v8
	v_add_nc_u64_e32 v[12:13], s[12:13], v[0:1]
	v_add_nc_u64_e32 v[14:15], s[2:3], v[0:1]
	;; [unrolled: 1-line block ×8, first 2 shown]
	s_lshl_b32 s6, s0, 3
	s_mov_b32 s7, s1
	s_mov_b64 s[8:9], 0
	s_branch .LBB182_9
.LBB182_8:                              ;   in Loop: Header=BB182_9 Depth=1
	s_wait_xcnt 0x0
	s_or_b32 exec_lo, exec_lo, s1
	s_add_nc_u64 s[8:9], s[8:9], s[10:11]
	v_add_nc_u64_e32 v[6:7], s[6:7], v[6:7]
	v_cmp_ge_i64_e32 vcc_lo, s[8:9], v[2:3]
	v_add_nc_u64_e32 v[10:11], s[6:7], v[10:11]
	v_add_nc_u64_e32 v[20:21], s[6:7], v[20:21]
	;; [unrolled: 1-line block ×7, first 2 shown]
	s_cbranch_vccnz .LBB182_25
.LBB182_9:                              ; =>This Inner Loop Header: Depth=1
	v_add_nc_u64_e32 v[28:29], s[8:9], v[0:1]
	v_mov_b32_e32 v31, 0
	s_delay_alu instid0(VALU_DEP_2)
	v_cmp_lt_u64_e64 s2, v[28:29], v[4:5]
	s_and_saveexec_b32 s0, s2
	s_cbranch_execz .LBB182_11
; %bb.10:                               ;   in Loop: Header=BB182_9 Depth=1
	v_add_nc_u64_e32 v[28:29], s[4:5], v[6:7]
	global_load_u16 v28, v[28:29], off
	s_wait_loadcnt 0x0
	v_lshlrev_b32_e32 v31, 16, v28
.LBB182_11:                             ;   in Loop: Header=BB182_9 Depth=1
	s_wait_xcnt 0x0
	s_or_b32 exec_lo, exec_lo, s0
	v_add_nc_u64_e32 v[28:29], s[8:9], v[8:9]
	v_mov_b32_e32 v30, 0
	s_delay_alu instid0(VALU_DEP_2)
	v_cmp_lt_u64_e64 s1, v[28:29], v[4:5]
	v_mov_b32_e32 v28, 0
	s_and_saveexec_b32 s0, s1
	s_cbranch_execz .LBB182_13
; %bb.12:                               ;   in Loop: Header=BB182_9 Depth=1
	v_add_nc_u64_e32 v[32:33], s[4:5], v[24:25]
	global_load_u16 v29, v[32:33], off
	s_wait_loadcnt 0x0
	v_lshlrev_b32_e32 v30, 16, v29
.LBB182_13:                             ;   in Loop: Header=BB182_9 Depth=1
	s_wait_xcnt 0x0
	s_or_b32 exec_lo, exec_lo, s0
	v_add_nc_u64_e32 v[32:33], s[8:9], v[14:15]
	s_delay_alu instid0(VALU_DEP_1)
	v_cmp_lt_u64_e64 s0, v[32:33], v[4:5]
	s_and_saveexec_b32 s3, s0
	s_cbranch_execz .LBB182_15
; %bb.14:                               ;   in Loop: Header=BB182_9 Depth=1
	v_add_nc_u64_e32 v[28:29], s[4:5], v[16:17]
	global_load_u16 v28, v[28:29], off
	s_wait_loadcnt 0x0
	v_lshlrev_b32_e32 v28, 16, v28
.LBB182_15:                             ;   in Loop: Header=BB182_9 Depth=1
	s_or_b32 exec_lo, exec_lo, s3
	v_add_nc_u64_e32 v[32:33], s[8:9], v[12:13]
	v_mov_b32_e32 v29, 0
	s_delay_alu instid0(VALU_DEP_2)
	v_cmp_lt_u64_e32 vcc_lo, v[32:33], v[4:5]
	s_and_saveexec_b32 s3, vcc_lo
	s_cbranch_execnz .LBB182_20
; %bb.16:                               ;   in Loop: Header=BB182_9 Depth=1
	s_or_b32 exec_lo, exec_lo, s3
	s_and_saveexec_b32 s12, s2
	s_cbranch_execnz .LBB182_21
.LBB182_17:                             ;   in Loop: Header=BB182_9 Depth=1
	s_or_b32 exec_lo, exec_lo, s12
	s_and_saveexec_b32 s3, s1
	s_cbranch_execnz .LBB182_22
.LBB182_18:                             ;   in Loop: Header=BB182_9 Depth=1
	s_or_b32 exec_lo, exec_lo, s3
	s_and_saveexec_b32 s2, s0
	s_cbranch_execnz .LBB182_23
.LBB182_19:                             ;   in Loop: Header=BB182_9 Depth=1
	s_or_b32 exec_lo, exec_lo, s2
	s_and_saveexec_b32 s1, vcc_lo
	s_cbranch_execz .LBB182_8
	s_branch .LBB182_24
.LBB182_20:                             ;   in Loop: Header=BB182_9 Depth=1
	v_add_nc_u64_e32 v[32:33], s[4:5], v[20:21]
	global_load_u16 v29, v[32:33], off
	s_wait_loadcnt 0x0
	v_lshlrev_b32_e32 v29, 16, v29
	s_wait_xcnt 0x0
	s_or_b32 exec_lo, exec_lo, s3
	s_and_saveexec_b32 s12, s2
	s_cbranch_execz .LBB182_17
.LBB182_21:                             ;   in Loop: Header=BB182_9 Depth=1
	v_cmp_gt_f32_e64 s2, 0x800000, v31
	s_delay_alu instid0(VALU_DEP_1) | instskip(NEXT) | instid1(VALU_DEP_1)
	v_cndmask_b32_e64 v32, 0, 32, s2
	v_ldexp_f32 v31, v31, v32
	s_delay_alu instid0(VALU_DEP_1) | instskip(SKIP_1) | instid1(TRANS32_DEP_1)
	v_log_f32_e32 v31, v31
	v_nop
	v_mul_f32_e32 v32, 0x3e9a209a, v31
	v_cmp_gt_f32_e64 s3, 0x7f800000, |v31|
	s_delay_alu instid0(VALU_DEP_2) | instskip(NEXT) | instid1(VALU_DEP_1)
	v_fma_f32 v32, 0x3e9a209a, v31, -v32
	v_fmac_f32_e32 v32, 0x3284fbcf, v31
	s_delay_alu instid0(VALU_DEP_1) | instskip(NEXT) | instid1(VALU_DEP_1)
	v_fmac_f32_e32 v32, 0x3e9a209a, v31
	v_cndmask_b32_e64 v31, v31, v32, s3
	v_cndmask_b32_e64 v32, 0, 0x411a209b, s2
	s_delay_alu instid0(VALU_DEP_1) | instskip(NEXT) | instid1(VALU_DEP_1)
	v_sub_f32_e32 v31, v31, v32
	v_bfe_u32 v32, v31, 16, 1
	v_cmp_o_f32_e64 s2, v31, v31
	s_delay_alu instid0(VALU_DEP_2) | instskip(NEXT) | instid1(VALU_DEP_1)
	v_add3_u32 v32, v31, v32, 0x7fff
	v_lshrrev_b32_e32 v34, 16, v32
	v_add_nc_u64_e32 v[32:33], s[4:5], v[10:11]
	s_delay_alu instid0(VALU_DEP_2)
	v_cndmask_b32_e64 v31, 0x7fc0, v34, s2
	global_store_b16 v[32:33], v31, off
	s_wait_xcnt 0x0
	s_or_b32 exec_lo, exec_lo, s12
	s_and_saveexec_b32 s3, s1
	s_cbranch_execz .LBB182_18
.LBB182_22:                             ;   in Loop: Header=BB182_9 Depth=1
	v_cmp_gt_f32_e64 s1, 0x800000, v30
	s_delay_alu instid0(VALU_DEP_1) | instskip(NEXT) | instid1(VALU_DEP_1)
	v_cndmask_b32_e64 v31, 0, 32, s1
	v_ldexp_f32 v30, v30, v31
	s_delay_alu instid0(VALU_DEP_1) | instskip(SKIP_1) | instid1(TRANS32_DEP_1)
	v_log_f32_e32 v30, v30
	v_nop
	v_mul_f32_e32 v31, 0x3e9a209a, v30
	v_cmp_gt_f32_e64 s2, 0x7f800000, |v30|
	s_delay_alu instid0(VALU_DEP_2) | instskip(NEXT) | instid1(VALU_DEP_1)
	v_fma_f32 v31, 0x3e9a209a, v30, -v31
	v_fmac_f32_e32 v31, 0x3284fbcf, v30
	s_delay_alu instid0(VALU_DEP_1) | instskip(NEXT) | instid1(VALU_DEP_1)
	v_fmac_f32_e32 v31, 0x3e9a209a, v30
	v_cndmask_b32_e64 v30, v30, v31, s2
	v_cndmask_b32_e64 v31, 0, 0x411a209b, s1
	s_delay_alu instid0(VALU_DEP_1) | instskip(NEXT) | instid1(VALU_DEP_1)
	v_sub_f32_e32 v32, v30, v31
	v_bfe_u32 v30, v32, 16, 1
	s_delay_alu instid0(VALU_DEP_1) | instskip(NEXT) | instid1(VALU_DEP_1)
	v_add3_u32 v30, v32, v30, 0x7fff
	v_lshrrev_b32_e32 v33, 16, v30
	v_cmp_o_f32_e64 s1, v32, v32
	v_add_nc_u64_e32 v[30:31], s[4:5], v[26:27]
	s_delay_alu instid0(VALU_DEP_2)
	v_cndmask_b32_e64 v32, 0x7fc0, v33, s1
	global_store_b16 v[30:31], v32, off
	s_wait_xcnt 0x0
	s_or_b32 exec_lo, exec_lo, s3
	s_and_saveexec_b32 s2, s0
	s_cbranch_execz .LBB182_19
.LBB182_23:                             ;   in Loop: Header=BB182_9 Depth=1
	v_cmp_gt_f32_e64 s0, 0x800000, v28
	s_delay_alu instid0(VALU_DEP_1) | instskip(NEXT) | instid1(VALU_DEP_1)
	v_cndmask_b32_e64 v30, 0, 32, s0
	v_ldexp_f32 v28, v28, v30
	s_delay_alu instid0(VALU_DEP_1) | instskip(SKIP_1) | instid1(TRANS32_DEP_1)
	v_log_f32_e32 v28, v28
	v_nop
	v_mul_f32_e32 v30, 0x3e9a209a, v28
	v_cmp_gt_f32_e64 s1, 0x7f800000, |v28|
	s_delay_alu instid0(VALU_DEP_2) | instskip(NEXT) | instid1(VALU_DEP_1)
	v_fma_f32 v30, 0x3e9a209a, v28, -v30
	v_fmac_f32_e32 v30, 0x3284fbcf, v28
	s_delay_alu instid0(VALU_DEP_1) | instskip(NEXT) | instid1(VALU_DEP_1)
	v_fmac_f32_e32 v30, 0x3e9a209a, v28
	v_cndmask_b32_e64 v28, v28, v30, s1
	v_cndmask_b32_e64 v30, 0, 0x411a209b, s0
	s_delay_alu instid0(VALU_DEP_1) | instskip(NEXT) | instid1(VALU_DEP_1)
	v_sub_f32_e32 v28, v28, v30
	v_bfe_u32 v30, v28, 16, 1
	v_cmp_o_f32_e64 s0, v28, v28
	s_delay_alu instid0(VALU_DEP_2) | instskip(NEXT) | instid1(VALU_DEP_1)
	v_add3_u32 v30, v28, v30, 0x7fff
	v_lshrrev_b32_e32 v32, 16, v30
	v_add_nc_u64_e32 v[30:31], s[4:5], v[18:19]
	s_delay_alu instid0(VALU_DEP_2)
	v_cndmask_b32_e64 v28, 0x7fc0, v32, s0
	global_store_b16 v[30:31], v28, off
	s_wait_xcnt 0x0
	s_or_b32 exec_lo, exec_lo, s2
	s_and_saveexec_b32 s1, vcc_lo
	s_cbranch_execz .LBB182_8
.LBB182_24:                             ;   in Loop: Header=BB182_9 Depth=1
	v_cmp_gt_f32_e32 vcc_lo, 0x800000, v29
	v_cndmask_b32_e64 v28, 0, 32, vcc_lo
	s_delay_alu instid0(VALU_DEP_1) | instskip(NEXT) | instid1(VALU_DEP_1)
	v_ldexp_f32 v28, v29, v28
	v_log_f32_e32 v28, v28
	v_nop
	s_delay_alu instid0(TRANS32_DEP_1) | instskip(SKIP_1) | instid1(VALU_DEP_2)
	v_mul_f32_e32 v29, 0x3e9a209a, v28
	v_cmp_gt_f32_e64 s0, 0x7f800000, |v28|
	v_fma_f32 v29, 0x3e9a209a, v28, -v29
	s_delay_alu instid0(VALU_DEP_1) | instskip(NEXT) | instid1(VALU_DEP_1)
	v_fmac_f32_e32 v29, 0x3284fbcf, v28
	v_fmac_f32_e32 v29, 0x3e9a209a, v28
	s_delay_alu instid0(VALU_DEP_1) | instskip(SKIP_1) | instid1(VALU_DEP_1)
	v_cndmask_b32_e64 v28, v28, v29, s0
	v_cndmask_b32_e64 v29, 0, 0x411a209b, vcc_lo
	v_sub_f32_e32 v30, v28, v29
	s_delay_alu instid0(VALU_DEP_1) | instskip(NEXT) | instid1(VALU_DEP_1)
	v_bfe_u32 v28, v30, 16, 1
	v_add3_u32 v28, v30, v28, 0x7fff
	s_delay_alu instid0(VALU_DEP_1) | instskip(SKIP_2) | instid1(VALU_DEP_3)
	v_lshrrev_b32_e32 v31, 16, v28
	v_cmp_o_f32_e32 vcc_lo, v30, v30
	v_add_nc_u64_e32 v[28:29], s[4:5], v[22:23]
	v_cndmask_b32_e32 v30, 0x7fc0, v31, vcc_lo
	global_store_b16 v[28:29], v30, off
	s_branch .LBB182_8
.LBB182_25:
	s_endpgm
	.section	.rodata,"a",@progbits
	.p2align	6, 0x0
	.amdhsa_kernel _ZN2at6native12_GLOBAL__N_125multi_tensor_apply_kernelINS1_18TensorListMetadataILi2EEENS1_14UnaryOpFunctorIN3c108BFloat16ELi2ELi1ELi1EEEJNS0_5Log10IfEEEEEvT_T0_DpT1_
		.amdhsa_group_segment_fixed_size 0
		.amdhsa_private_segment_fixed_size 0
		.amdhsa_kernarg_size 3408
		.amdhsa_user_sgpr_count 2
		.amdhsa_user_sgpr_dispatch_ptr 0
		.amdhsa_user_sgpr_queue_ptr 0
		.amdhsa_user_sgpr_kernarg_segment_ptr 1
		.amdhsa_user_sgpr_dispatch_id 0
		.amdhsa_user_sgpr_kernarg_preload_length 0
		.amdhsa_user_sgpr_kernarg_preload_offset 0
		.amdhsa_user_sgpr_private_segment_size 0
		.amdhsa_wavefront_size32 1
		.amdhsa_uses_dynamic_stack 0
		.amdhsa_enable_private_segment 0
		.amdhsa_system_sgpr_workgroup_id_x 1
		.amdhsa_system_sgpr_workgroup_id_y 0
		.amdhsa_system_sgpr_workgroup_id_z 0
		.amdhsa_system_sgpr_workgroup_info 0
		.amdhsa_system_vgpr_workitem_id 0
		.amdhsa_next_free_vgpr 35
		.amdhsa_next_free_sgpr 20
		.amdhsa_named_barrier_count 0
		.amdhsa_reserve_vcc 1
		.amdhsa_float_round_mode_32 0
		.amdhsa_float_round_mode_16_64 0
		.amdhsa_float_denorm_mode_32 3
		.amdhsa_float_denorm_mode_16_64 3
		.amdhsa_fp16_overflow 0
		.amdhsa_memory_ordered 1
		.amdhsa_forward_progress 1
		.amdhsa_inst_pref_size 19
		.amdhsa_round_robin_scheduling 0
		.amdhsa_exception_fp_ieee_invalid_op 0
		.amdhsa_exception_fp_denorm_src 0
		.amdhsa_exception_fp_ieee_div_zero 0
		.amdhsa_exception_fp_ieee_overflow 0
		.amdhsa_exception_fp_ieee_underflow 0
		.amdhsa_exception_fp_ieee_inexact 0
		.amdhsa_exception_int_div_zero 0
	.end_amdhsa_kernel
	.section	.text._ZN2at6native12_GLOBAL__N_125multi_tensor_apply_kernelINS1_18TensorListMetadataILi2EEENS1_14UnaryOpFunctorIN3c108BFloat16ELi2ELi1ELi1EEEJNS0_5Log10IfEEEEEvT_T0_DpT1_,"axG",@progbits,_ZN2at6native12_GLOBAL__N_125multi_tensor_apply_kernelINS1_18TensorListMetadataILi2EEENS1_14UnaryOpFunctorIN3c108BFloat16ELi2ELi1ELi1EEEJNS0_5Log10IfEEEEEvT_T0_DpT1_,comdat
.Lfunc_end182:
	.size	_ZN2at6native12_GLOBAL__N_125multi_tensor_apply_kernelINS1_18TensorListMetadataILi2EEENS1_14UnaryOpFunctorIN3c108BFloat16ELi2ELi1ELi1EEEJNS0_5Log10IfEEEEEvT_T0_DpT1_, .Lfunc_end182-_ZN2at6native12_GLOBAL__N_125multi_tensor_apply_kernelINS1_18TensorListMetadataILi2EEENS1_14UnaryOpFunctorIN3c108BFloat16ELi2ELi1ELi1EEEJNS0_5Log10IfEEEEEvT_T0_DpT1_
                                        ; -- End function
	.set _ZN2at6native12_GLOBAL__N_125multi_tensor_apply_kernelINS1_18TensorListMetadataILi2EEENS1_14UnaryOpFunctorIN3c108BFloat16ELi2ELi1ELi1EEEJNS0_5Log10IfEEEEEvT_T0_DpT1_.num_vgpr, 35
	.set _ZN2at6native12_GLOBAL__N_125multi_tensor_apply_kernelINS1_18TensorListMetadataILi2EEENS1_14UnaryOpFunctorIN3c108BFloat16ELi2ELi1ELi1EEEJNS0_5Log10IfEEEEEvT_T0_DpT1_.num_agpr, 0
	.set _ZN2at6native12_GLOBAL__N_125multi_tensor_apply_kernelINS1_18TensorListMetadataILi2EEENS1_14UnaryOpFunctorIN3c108BFloat16ELi2ELi1ELi1EEEJNS0_5Log10IfEEEEEvT_T0_DpT1_.numbered_sgpr, 20
	.set _ZN2at6native12_GLOBAL__N_125multi_tensor_apply_kernelINS1_18TensorListMetadataILi2EEENS1_14UnaryOpFunctorIN3c108BFloat16ELi2ELi1ELi1EEEJNS0_5Log10IfEEEEEvT_T0_DpT1_.num_named_barrier, 0
	.set _ZN2at6native12_GLOBAL__N_125multi_tensor_apply_kernelINS1_18TensorListMetadataILi2EEENS1_14UnaryOpFunctorIN3c108BFloat16ELi2ELi1ELi1EEEJNS0_5Log10IfEEEEEvT_T0_DpT1_.private_seg_size, 0
	.set _ZN2at6native12_GLOBAL__N_125multi_tensor_apply_kernelINS1_18TensorListMetadataILi2EEENS1_14UnaryOpFunctorIN3c108BFloat16ELi2ELi1ELi1EEEJNS0_5Log10IfEEEEEvT_T0_DpT1_.uses_vcc, 1
	.set _ZN2at6native12_GLOBAL__N_125multi_tensor_apply_kernelINS1_18TensorListMetadataILi2EEENS1_14UnaryOpFunctorIN3c108BFloat16ELi2ELi1ELi1EEEJNS0_5Log10IfEEEEEvT_T0_DpT1_.uses_flat_scratch, 0
	.set _ZN2at6native12_GLOBAL__N_125multi_tensor_apply_kernelINS1_18TensorListMetadataILi2EEENS1_14UnaryOpFunctorIN3c108BFloat16ELi2ELi1ELi1EEEJNS0_5Log10IfEEEEEvT_T0_DpT1_.has_dyn_sized_stack, 0
	.set _ZN2at6native12_GLOBAL__N_125multi_tensor_apply_kernelINS1_18TensorListMetadataILi2EEENS1_14UnaryOpFunctorIN3c108BFloat16ELi2ELi1ELi1EEEJNS0_5Log10IfEEEEEvT_T0_DpT1_.has_recursion, 0
	.set _ZN2at6native12_GLOBAL__N_125multi_tensor_apply_kernelINS1_18TensorListMetadataILi2EEENS1_14UnaryOpFunctorIN3c108BFloat16ELi2ELi1ELi1EEEJNS0_5Log10IfEEEEEvT_T0_DpT1_.has_indirect_call, 0
	.section	.AMDGPU.csdata,"",@progbits
; Kernel info:
; codeLenInByte = 2424
; TotalNumSgprs: 22
; NumVgprs: 35
; ScratchSize: 0
; MemoryBound: 0
; FloatMode: 240
; IeeeMode: 1
; LDSByteSize: 0 bytes/workgroup (compile time only)
; SGPRBlocks: 0
; VGPRBlocks: 2
; NumSGPRsForWavesPerEU: 22
; NumVGPRsForWavesPerEU: 35
; NamedBarCnt: 0
; Occupancy: 16
; WaveLimiterHint : 0
; COMPUTE_PGM_RSRC2:SCRATCH_EN: 0
; COMPUTE_PGM_RSRC2:USER_SGPR: 2
; COMPUTE_PGM_RSRC2:TRAP_HANDLER: 0
; COMPUTE_PGM_RSRC2:TGID_X_EN: 1
; COMPUTE_PGM_RSRC2:TGID_Y_EN: 0
; COMPUTE_PGM_RSRC2:TGID_Z_EN: 0
; COMPUTE_PGM_RSRC2:TIDIG_COMP_CNT: 0
	.section	.text._ZN2at6native12_GLOBAL__N_125multi_tensor_apply_kernelINS1_18TensorListMetadataILi1EEENS1_14UnaryOpFunctorIdLi1ELi1ELi0EEEJNS0_5Log10IdEEEEEvT_T0_DpT1_,"axG",@progbits,_ZN2at6native12_GLOBAL__N_125multi_tensor_apply_kernelINS1_18TensorListMetadataILi1EEENS1_14UnaryOpFunctorIdLi1ELi1ELi0EEEJNS0_5Log10IdEEEEEvT_T0_DpT1_,comdat
	.globl	_ZN2at6native12_GLOBAL__N_125multi_tensor_apply_kernelINS1_18TensorListMetadataILi1EEENS1_14UnaryOpFunctorIdLi1ELi1ELi0EEEJNS0_5Log10IdEEEEEvT_T0_DpT1_ ; -- Begin function _ZN2at6native12_GLOBAL__N_125multi_tensor_apply_kernelINS1_18TensorListMetadataILi1EEENS1_14UnaryOpFunctorIdLi1ELi1ELi0EEEJNS0_5Log10IdEEEEEvT_T0_DpT1_
	.p2align	8
	.type	_ZN2at6native12_GLOBAL__N_125multi_tensor_apply_kernelINS1_18TensorListMetadataILi1EEENS1_14UnaryOpFunctorIdLi1ELi1ELi0EEEJNS0_5Log10IdEEEEEvT_T0_DpT1_,@function
_ZN2at6native12_GLOBAL__N_125multi_tensor_apply_kernelINS1_18TensorListMetadataILi1EEENS1_14UnaryOpFunctorIdLi1ELi1ELi0EEEJNS0_5Log10IdEEEEEvT_T0_DpT1_: ; @_ZN2at6native12_GLOBAL__N_125multi_tensor_apply_kernelINS1_18TensorListMetadataILi1EEENS1_14UnaryOpFunctorIdLi1ELi1ELi0EEEJNS0_5Log10IdEEEEEvT_T0_DpT1_
; %bb.0:
	s_bfe_u32 s2, ttmp6, 0x4000c
	s_and_b32 s3, ttmp6, 15
	s_add_co_i32 s2, s2, 1
	s_getreg_b32 s4, hwreg(HW_REG_IB_STS2, 6, 4)
	s_mul_i32 s2, ttmp9, s2
	s_delay_alu instid0(SALU_CYCLE_1)
	s_add_co_i32 s3, s3, s2
	s_cmp_eq_u32 s4, 0
	s_cselect_b32 s2, ttmp9, s3
	s_mov_b32 s3, 0
	s_load_u8 s8, s[0:1], s2 offset:0x6e0
	s_add_nc_u64 s[4:5], s[0:1], s[2:3]
	s_mul_u64 s[6:7], s[2:3], 3
	s_delay_alu instid0(SALU_CYCLE_1)
	s_add_nc_u64 s[4:5], s[4:5], s[6:7]
	s_load_b32 s10, s[4:5], 0x820
	s_wait_kmcnt 0x0
	s_clause 0x1
	s_load_b64 s[6:7], s[0:1], s8 offset:0x0 scale_offset
	s_load_b64 s[12:13], s[0:1], s8 offset:0x370 scale_offset
	s_ashr_i32 s11, s10, 31
	s_wait_kmcnt 0x0
	s_and_b64 s[4:5], s[6:7], 31
	s_and_b32 s2, s12, 3
	s_lshl_b64 s[8:9], s[10:11], 19
	s_or_b64 s[2:3], s[4:5], s[2:3]
	s_lshl_b64 s[4:5], s[10:11], 16
	s_cmp_eq_u64 s[2:3], 0
	s_sub_nc_u64 s[10:11], s[12:13], s[4:5]
	s_cbranch_scc1 .LBB183_21
; %bb.1:
	v_cmp_lt_i64_e64 s2, s[10:11], 1
	s_and_b32 vcc_lo, exec_lo, s2
	s_cbranch_vccnz .LBB183_20
; %bb.2:
	s_load_b32 s4, s[0:1], 0xd3c
	v_min_i64 v[2:3], 0x10000, s[10:11]
	v_min_u64 v[4:5], 0x10000, s[10:11]
	v_dual_mov_b32 v1, 0 :: v_dual_lshlrev_b32 v10, 3, v0
	s_mov_b32 s25, 0
	s_add_nc_u64 s[2:3], s[6:7], s[8:9]
	s_mov_b32 s5, s25
	s_delay_alu instid0(VALU_DEP_1) | instskip(SKIP_3) | instid1(VALU_DEP_2)
	v_dual_mov_b32 v11, v1 :: v_dual_mov_b32 v17, v1
	s_mov_b32 s21, s25
	v_mov_b64_e32 v[6:7], 0x3fc385386b47b09a
	s_mov_b64 s[12:13], 0x3fe5555555555555
	v_add_nc_u64_e32 v[10:11], s[2:3], v[10:11]
	s_mov_b64 s[14:15], 0x3fd34413509f79ff
	s_mov_b32 s17, s25
	s_mov_b32 s19, s25
	s_mov_b64 s[26:27], 0
                                        ; implicit-def: $vgpr18_vgpr19
                                        ; implicit-def: $vgpr18_vgpr19
	;; [unrolled: 1-line block ×5, first 2 shown]
	s_wait_kmcnt 0x0
	s_and_b32 s24, s4, 0xffff
	s_delay_alu instid0(SALU_CYCLE_1)
	v_add_nc_u64_e32 v[8:9], s[24:25], v[0:1]
	s_lshl_b32 s4, s24, 1
	s_mul_i32 s20, s24, 3
	v_add_nc_u64_e32 v[14:15], s[4:5], v[0:1]
	v_add_nc_u64_e32 v[12:13], s[20:21], v[0:1]
	s_lshl_b32 s16, s24, 2
	s_lshl_b32 s18, s24, 5
	v_lshlrev_b32_e32 v16, 3, v8
	s_mov_b64 s[20:21], 0x3fdbcb7b1526e50e
	s_mul_u64 s[22:23], s[24:25], 24
	s_lshl_b32 s24, s24, 4
	s_delay_alu instid0(VALU_DEP_1)
	v_add_nc_u64_e32 v[16:17], s[2:3], v[16:17]
	s_branch .LBB183_4
.LBB183_3:                              ;   in Loop: Header=BB183_4 Depth=1
	s_wait_xcnt 0x0
	s_or_b32 exec_lo, exec_lo, s2
	s_add_nc_u64 s[26:27], s[26:27], s[16:17]
	v_add_nc_u64_e32 v[10:11], s[18:19], v[10:11]
	v_cmp_lt_i64_e32 vcc_lo, s[26:27], v[2:3]
	v_add_nc_u64_e32 v[16:17], s[18:19], v[16:17]
	s_cbranch_vccz .LBB183_20
.LBB183_4:                              ; =>This Inner Loop Header: Depth=1
	s_wait_loadcnt 0x0
	v_add_nc_u64_e32 v[18:19], s[26:27], v[0:1]
	v_mov_b64_e32 v[26:27], 0
	v_mov_b64_e32 v[28:29], 0
	s_delay_alu instid0(VALU_DEP_3)
	v_cmp_lt_u64_e64 s4, v[18:19], v[4:5]
	s_and_saveexec_b32 s2, s4
	s_cbranch_execz .LBB183_6
; %bb.5:                                ;   in Loop: Header=BB183_4 Depth=1
	global_load_b64 v[28:29], v[10:11], off
.LBB183_6:                              ;   in Loop: Header=BB183_4 Depth=1
	s_wait_xcnt 0x0
	s_or_b32 exec_lo, exec_lo, s2
	v_add_nc_u64_e32 v[18:19], s[26:27], v[8:9]
	s_delay_alu instid0(VALU_DEP_1)
	v_cmp_lt_u64_e64 s3, v[18:19], v[4:5]
	s_and_saveexec_b32 s2, s3
	s_cbranch_execz .LBB183_8
; %bb.7:                                ;   in Loop: Header=BB183_4 Depth=1
	global_load_b64 v[26:27], v[16:17], off
.LBB183_8:                              ;   in Loop: Header=BB183_4 Depth=1
	s_wait_xcnt 0x0
	s_or_b32 exec_lo, exec_lo, s2
	v_add_nc_u64_e32 v[20:21], s[26:27], v[14:15]
	v_mov_b64_e32 v[18:19], 0
	v_add_nc_u64_e32 v[22:23], s[24:25], v[10:11]
	v_mov_b64_e32 v[24:25], 0
	s_delay_alu instid0(VALU_DEP_4)
	v_cmp_lt_u64_e64 s2, v[20:21], v[4:5]
	s_and_saveexec_b32 s5, s2
	s_cbranch_execz .LBB183_10
; %bb.9:                                ;   in Loop: Header=BB183_4 Depth=1
	global_load_b64 v[24:25], v[22:23], off
.LBB183_10:                             ;   in Loop: Header=BB183_4 Depth=1
	s_wait_xcnt 0x0
	s_or_b32 exec_lo, exec_lo, s5
	v_add_nc_u64_e32 v[20:21], s[26:27], v[12:13]
	s_delay_alu instid0(VALU_DEP_1)
	v_cmp_lt_u64_e32 vcc_lo, v[20:21], v[4:5]
	v_add_nc_u64_e32 v[20:21], s[22:23], v[10:11]
	s_and_saveexec_b32 s5, vcc_lo
	s_cbranch_execnz .LBB183_15
; %bb.11:                               ;   in Loop: Header=BB183_4 Depth=1
	s_or_b32 exec_lo, exec_lo, s5
	s_and_saveexec_b32 s5, s4
	s_cbranch_execnz .LBB183_16
.LBB183_12:                             ;   in Loop: Header=BB183_4 Depth=1
	s_or_b32 exec_lo, exec_lo, s5
	s_and_saveexec_b32 s4, s3
	s_cbranch_execnz .LBB183_17
.LBB183_13:                             ;   in Loop: Header=BB183_4 Depth=1
	s_or_b32 exec_lo, exec_lo, s4
	s_and_saveexec_b32 s3, s2
	s_cbranch_execnz .LBB183_18
.LBB183_14:                             ;   in Loop: Header=BB183_4 Depth=1
	s_or_b32 exec_lo, exec_lo, s3
	s_and_saveexec_b32 s2, vcc_lo
	s_cbranch_execz .LBB183_3
	s_branch .LBB183_19
.LBB183_15:                             ;   in Loop: Header=BB183_4 Depth=1
	global_load_b64 v[18:19], v[20:21], off
	s_wait_xcnt 0x0
	s_or_b32 exec_lo, exec_lo, s5
	s_and_saveexec_b32 s5, s4
	s_cbranch_execz .LBB183_12
.LBB183_16:                             ;   in Loop: Header=BB183_4 Depth=1
	s_wait_loadcnt 0x0
	v_frexp_mant_f64_e32 v[30:31], v[28:29]
	v_frexp_exp_i32_f64_e32 v32, v[28:29]
	s_delay_alu instid0(VALU_DEP_2) | instskip(NEXT) | instid1(VALU_DEP_1)
	v_cmp_gt_f64_e64 s4, s[12:13], v[30:31]
	v_subrev_co_ci_u32_e64 v44, null, 0, v32, s4
	v_cndmask_b32_e64 v32, 0, 1, s4
	v_cmp_class_f64_e64 s4, v[28:29], 0x204
	s_delay_alu instid0(VALU_DEP_2) | instskip(NEXT) | instid1(VALU_DEP_1)
	v_ldexp_f64 v[30:31], v[30:31], v32
	v_add_f64_e32 v[32:33], 1.0, v[30:31]
	v_add_f64_e32 v[38:39], -1.0, v[30:31]
	s_delay_alu instid0(VALU_DEP_2) | instskip(SKIP_1) | instid1(VALU_DEP_1)
	v_rcp_f64_e32 v[34:35], v[32:33]
	v_add_f64_e32 v[40:41], -1.0, v[32:33]
	v_add_f64_e64 v[30:31], v[30:31], -v[40:41]
	s_delay_alu instid0(TRANS32_DEP_1) | instskip(NEXT) | instid1(VALU_DEP_1)
	v_fma_f64 v[36:37], -v[32:33], v[34:35], 1.0
	v_fmac_f64_e32 v[34:35], v[36:37], v[34:35]
	s_delay_alu instid0(VALU_DEP_1) | instskip(NEXT) | instid1(VALU_DEP_1)
	v_fma_f64 v[36:37], -v[32:33], v[34:35], 1.0
	v_fmac_f64_e32 v[34:35], v[36:37], v[34:35]
	s_delay_alu instid0(VALU_DEP_1) | instskip(NEXT) | instid1(VALU_DEP_1)
	v_mul_f64_e32 v[36:37], v[38:39], v[34:35]
	v_mul_f64_e32 v[42:43], v[32:33], v[36:37]
	s_delay_alu instid0(VALU_DEP_1) | instskip(NEXT) | instid1(VALU_DEP_1)
	v_fma_f64 v[32:33], v[36:37], v[32:33], -v[42:43]
	v_fmac_f64_e32 v[32:33], v[36:37], v[30:31]
	s_delay_alu instid0(VALU_DEP_1) | instskip(NEXT) | instid1(VALU_DEP_1)
	v_add_f64_e32 v[30:31], v[42:43], v[32:33]
	v_add_f64_e64 v[40:41], v[38:39], -v[30:31]
	v_add_f64_e64 v[42:43], v[30:31], -v[42:43]
	s_delay_alu instid0(VALU_DEP_2) | instskip(NEXT) | instid1(VALU_DEP_2)
	v_add_f64_e64 v[38:39], v[38:39], -v[40:41]
	v_add_f64_e64 v[32:33], v[42:43], -v[32:33]
	s_delay_alu instid0(VALU_DEP_2) | instskip(NEXT) | instid1(VALU_DEP_1)
	v_add_f64_e64 v[30:31], v[38:39], -v[30:31]
	v_add_f64_e32 v[30:31], v[32:33], v[30:31]
	s_delay_alu instid0(VALU_DEP_1) | instskip(NEXT) | instid1(VALU_DEP_1)
	v_add_f64_e32 v[30:31], v[40:41], v[30:31]
	v_mul_f64_e32 v[30:31], v[34:35], v[30:31]
	s_delay_alu instid0(VALU_DEP_1) | instskip(NEXT) | instid1(VALU_DEP_1)
	v_add_f64_e32 v[32:33], v[36:37], v[30:31]
	v_mul_f64_e32 v[34:35], v[32:33], v[32:33]
	s_delay_alu instid0(VALU_DEP_1) | instskip(SKIP_1) | instid1(VALU_DEP_2)
	v_fmamk_f64 v[38:39], v[34:35], 0x3fc3ab76bf559e2b, v[6:7]
	v_mul_f64_e32 v[40:41], v[32:33], v[34:35]
	v_fmaak_f64 v[38:39], v[34:35], v[38:39], 0x3fc7474dd7f4df2e
	s_delay_alu instid0(VALU_DEP_1) | instskip(NEXT) | instid1(VALU_DEP_1)
	v_fmaak_f64 v[38:39], v[34:35], v[38:39], 0x3fcc71c016291751
	v_fmaak_f64 v[38:39], v[34:35], v[38:39], 0x3fd249249b27acf1
	s_delay_alu instid0(VALU_DEP_1) | instskip(NEXT) | instid1(VALU_DEP_1)
	v_fmaak_f64 v[38:39], v[34:35], v[38:39], 0x3fd99999998ef7b6
	v_fmaak_f64 v[34:35], v[34:35], v[38:39], 0x3fe5555555555780
	v_ldexp_f64 v[38:39], v[32:33], 1
	v_add_f64_e64 v[32:33], v[32:33], -v[36:37]
	s_delay_alu instid0(VALU_DEP_3) | instskip(NEXT) | instid1(VALU_DEP_2)
	v_mul_f64_e32 v[34:35], v[40:41], v[34:35]
	v_add_f64_e64 v[30:31], v[30:31], -v[32:33]
	s_delay_alu instid0(VALU_DEP_2) | instskip(NEXT) | instid1(VALU_DEP_2)
	v_add_f64_e32 v[36:37], v[38:39], v[34:35]
	v_ldexp_f64 v[30:31], v[30:31], 1
	s_delay_alu instid0(VALU_DEP_2) | instskip(NEXT) | instid1(VALU_DEP_1)
	v_add_f64_e64 v[32:33], v[36:37], -v[38:39]
	v_add_f64_e64 v[32:33], v[34:35], -v[32:33]
	v_cvt_f64_i32_e32 v[34:35], v44
	s_delay_alu instid0(VALU_DEP_2) | instskip(NEXT) | instid1(VALU_DEP_2)
	v_add_f64_e32 v[30:31], v[30:31], v[32:33]
	v_mul_f64_e32 v[40:41], 0x3fd34413509f79ff, v[34:35]
	s_delay_alu instid0(VALU_DEP_2) | instskip(NEXT) | instid1(VALU_DEP_2)
	v_add_f64_e32 v[32:33], v[36:37], v[30:31]
	v_fma_f64 v[42:43], v[34:35], s[14:15], -v[40:41]
	s_delay_alu instid0(VALU_DEP_2) | instskip(SKIP_1) | instid1(VALU_DEP_3)
	v_add_f64_e64 v[36:37], v[32:33], -v[36:37]
	v_mul_f64_e32 v[38:39], 0x3fdbcb7b1526e50e, v[32:33]
	v_fmac_f64_e32 v[42:43], 0xbc49dc1da994fd21, v[34:35]
	s_delay_alu instid0(VALU_DEP_3) | instskip(NEXT) | instid1(VALU_DEP_3)
	v_add_f64_e64 v[30:31], v[30:31], -v[36:37]
	v_fma_f64 v[36:37], v[32:33], s[20:21], -v[38:39]
	s_delay_alu instid0(VALU_DEP_1) | instskip(NEXT) | instid1(VALU_DEP_4)
	v_fmac_f64_e32 v[36:37], 0x3fdbcb7b1526e50e, v[30:31]
	v_add_f64_e32 v[30:31], v[40:41], v[42:43]
	s_delay_alu instid0(VALU_DEP_2) | instskip(NEXT) | instid1(VALU_DEP_2)
	v_fmac_f64_e32 v[36:37], 0x3c695355baaafad3, v[32:33]
	v_add_f64_e64 v[40:41], v[30:31], -v[40:41]
	s_delay_alu instid0(VALU_DEP_2) | instskip(NEXT) | instid1(VALU_DEP_2)
	v_add_f64_e32 v[32:33], v[38:39], v[36:37]
	v_add_f64_e64 v[40:41], v[42:43], -v[40:41]
	s_delay_alu instid0(VALU_DEP_2) | instskip(SKIP_1) | instid1(VALU_DEP_2)
	v_add_f64_e32 v[34:35], v[30:31], v[32:33]
	v_add_f64_e64 v[38:39], v[32:33], -v[38:39]
	v_add_f64_e64 v[44:45], v[34:35], -v[30:31]
	s_delay_alu instid0(VALU_DEP_2) | instskip(NEXT) | instid1(VALU_DEP_2)
	v_add_f64_e64 v[36:37], v[36:37], -v[38:39]
	v_add_f64_e64 v[46:47], v[34:35], -v[44:45]
	;; [unrolled: 1-line block ×3, first 2 shown]
	s_delay_alu instid0(VALU_DEP_3) | instskip(NEXT) | instid1(VALU_DEP_3)
	v_add_f64_e32 v[38:39], v[40:41], v[36:37]
	v_add_f64_e64 v[30:31], v[30:31], -v[46:47]
	s_delay_alu instid0(VALU_DEP_1) | instskip(NEXT) | instid1(VALU_DEP_3)
	v_add_f64_e32 v[30:31], v[32:33], v[30:31]
	v_add_f64_e64 v[32:33], v[38:39], -v[40:41]
	s_delay_alu instid0(VALU_DEP_2) | instskip(NEXT) | instid1(VALU_DEP_2)
	v_add_f64_e32 v[30:31], v[38:39], v[30:31]
	v_add_f64_e64 v[38:39], v[38:39], -v[32:33]
	v_add_f64_e64 v[32:33], v[36:37], -v[32:33]
	s_delay_alu instid0(VALU_DEP_3) | instskip(NEXT) | instid1(VALU_DEP_3)
	v_add_f64_e32 v[42:43], v[34:35], v[30:31]
	v_add_f64_e64 v[36:37], v[40:41], -v[38:39]
	s_delay_alu instid0(VALU_DEP_2) | instskip(NEXT) | instid1(VALU_DEP_2)
	v_add_f64_e64 v[34:35], v[42:43], -v[34:35]
	v_add_f64_e32 v[32:33], v[32:33], v[36:37]
	s_delay_alu instid0(VALU_DEP_2) | instskip(NEXT) | instid1(VALU_DEP_1)
	v_add_f64_e64 v[30:31], v[30:31], -v[34:35]
	v_add_f64_e32 v[30:31], v[32:33], v[30:31]
	s_delay_alu instid0(VALU_DEP_1) | instskip(NEXT) | instid1(VALU_DEP_1)
	v_add_f64_e32 v[30:31], v[42:43], v[30:31]
	v_dual_cndmask_b32 v30, v30, v28, s4 :: v_dual_cndmask_b32 v31, v31, v29, s4
	v_cmp_ngt_f64_e64 s4, 0, v[28:29]
	s_delay_alu instid0(VALU_DEP_1) | instskip(SKIP_1) | instid1(VALU_DEP_1)
	v_cndmask_b32_e64 v31, 0x7ff80000, v31, s4
	v_cmp_nge_f64_e64 s4, 0, v[28:29]
	v_cndmask_b32_e64 v30, 0, v30, s4
	v_cmp_neq_f64_e64 s4, 0, v[28:29]
	s_delay_alu instid0(VALU_DEP_1)
	v_cndmask_b32_e64 v31, 0xfff00000, v31, s4
	global_store_b64 v[10:11], v[30:31], off
	s_wait_xcnt 0x0
	s_or_b32 exec_lo, exec_lo, s5
	s_and_saveexec_b32 s4, s3
	s_cbranch_execz .LBB183_13
.LBB183_17:                             ;   in Loop: Header=BB183_4 Depth=1
	s_wait_loadcnt 0x0
	v_frexp_mant_f64_e32 v[28:29], v[26:27]
	s_delay_alu instid0(VALU_DEP_1) | instskip(NEXT) | instid1(VALU_DEP_1)
	v_cmp_gt_f64_e64 s3, s[12:13], v[28:29]
	v_cndmask_b32_e64 v30, 0, 1, s3
	s_delay_alu instid0(VALU_DEP_1) | instskip(NEXT) | instid1(VALU_DEP_1)
	v_ldexp_f64 v[28:29], v[28:29], v30
	v_add_f64_e32 v[30:31], 1.0, v[28:29]
	v_add_f64_e32 v[36:37], -1.0, v[28:29]
	s_delay_alu instid0(VALU_DEP_2) | instskip(SKIP_1) | instid1(VALU_DEP_1)
	v_rcp_f64_e32 v[32:33], v[30:31]
	v_add_f64_e32 v[38:39], -1.0, v[30:31]
	v_add_f64_e64 v[28:29], v[28:29], -v[38:39]
	s_delay_alu instid0(TRANS32_DEP_1) | instskip(NEXT) | instid1(VALU_DEP_1)
	v_fma_f64 v[34:35], -v[30:31], v[32:33], 1.0
	v_fmac_f64_e32 v[32:33], v[34:35], v[32:33]
	s_delay_alu instid0(VALU_DEP_1) | instskip(NEXT) | instid1(VALU_DEP_1)
	v_fma_f64 v[34:35], -v[30:31], v[32:33], 1.0
	v_fmac_f64_e32 v[32:33], v[34:35], v[32:33]
	s_delay_alu instid0(VALU_DEP_1) | instskip(NEXT) | instid1(VALU_DEP_1)
	v_mul_f64_e32 v[34:35], v[36:37], v[32:33]
	v_mul_f64_e32 v[40:41], v[30:31], v[34:35]
	s_delay_alu instid0(VALU_DEP_1) | instskip(NEXT) | instid1(VALU_DEP_1)
	v_fma_f64 v[30:31], v[34:35], v[30:31], -v[40:41]
	v_fmac_f64_e32 v[30:31], v[34:35], v[28:29]
	s_delay_alu instid0(VALU_DEP_1) | instskip(NEXT) | instid1(VALU_DEP_1)
	v_add_f64_e32 v[28:29], v[40:41], v[30:31]
	v_add_f64_e64 v[38:39], v[36:37], -v[28:29]
	v_add_f64_e64 v[40:41], v[28:29], -v[40:41]
	s_delay_alu instid0(VALU_DEP_2) | instskip(NEXT) | instid1(VALU_DEP_2)
	v_add_f64_e64 v[36:37], v[36:37], -v[38:39]
	v_add_f64_e64 v[30:31], v[40:41], -v[30:31]
	s_delay_alu instid0(VALU_DEP_2) | instskip(NEXT) | instid1(VALU_DEP_1)
	v_add_f64_e64 v[28:29], v[36:37], -v[28:29]
	v_add_f64_e32 v[28:29], v[30:31], v[28:29]
	s_delay_alu instid0(VALU_DEP_1) | instskip(NEXT) | instid1(VALU_DEP_1)
	v_add_f64_e32 v[28:29], v[38:39], v[28:29]
	v_mul_f64_e32 v[28:29], v[32:33], v[28:29]
	s_delay_alu instid0(VALU_DEP_1) | instskip(NEXT) | instid1(VALU_DEP_1)
	v_add_f64_e32 v[30:31], v[34:35], v[28:29]
	v_mul_f64_e32 v[32:33], v[30:31], v[30:31]
	s_delay_alu instid0(VALU_DEP_1) | instskip(SKIP_1) | instid1(VALU_DEP_2)
	v_fmamk_f64 v[36:37], v[32:33], 0x3fc3ab76bf559e2b, v[6:7]
	v_mul_f64_e32 v[38:39], v[30:31], v[32:33]
	v_fmaak_f64 v[36:37], v[32:33], v[36:37], 0x3fc7474dd7f4df2e
	s_delay_alu instid0(VALU_DEP_1) | instskip(NEXT) | instid1(VALU_DEP_1)
	v_fmaak_f64 v[36:37], v[32:33], v[36:37], 0x3fcc71c016291751
	v_fmaak_f64 v[36:37], v[32:33], v[36:37], 0x3fd249249b27acf1
	s_delay_alu instid0(VALU_DEP_1) | instskip(NEXT) | instid1(VALU_DEP_1)
	v_fmaak_f64 v[36:37], v[32:33], v[36:37], 0x3fd99999998ef7b6
	v_fmaak_f64 v[32:33], v[32:33], v[36:37], 0x3fe5555555555780
	v_ldexp_f64 v[36:37], v[30:31], 1
	v_add_f64_e64 v[30:31], v[30:31], -v[34:35]
	s_delay_alu instid0(VALU_DEP_3) | instskip(NEXT) | instid1(VALU_DEP_2)
	v_mul_f64_e32 v[32:33], v[38:39], v[32:33]
	v_add_f64_e64 v[28:29], v[28:29], -v[30:31]
	s_delay_alu instid0(VALU_DEP_2) | instskip(NEXT) | instid1(VALU_DEP_2)
	v_add_f64_e32 v[34:35], v[36:37], v[32:33]
	v_ldexp_f64 v[28:29], v[28:29], 1
	s_delay_alu instid0(VALU_DEP_2) | instskip(NEXT) | instid1(VALU_DEP_1)
	v_add_f64_e64 v[30:31], v[34:35], -v[36:37]
	v_add_f64_e64 v[30:31], v[32:33], -v[30:31]
	v_frexp_exp_i32_f64_e32 v32, v[26:27]
	s_delay_alu instid0(VALU_DEP_2) | instskip(NEXT) | instid1(VALU_DEP_2)
	v_add_f64_e32 v[28:29], v[28:29], v[30:31]
	v_subrev_co_ci_u32_e64 v32, null, 0, v32, s3
	v_cmp_class_f64_e64 s3, v[26:27], 0x204
	s_delay_alu instid0(VALU_DEP_2) | instskip(NEXT) | instid1(VALU_DEP_4)
	v_cvt_f64_i32_e32 v[32:33], v32
	v_add_f64_e32 v[30:31], v[34:35], v[28:29]
	s_delay_alu instid0(VALU_DEP_2) | instskip(NEXT) | instid1(VALU_DEP_2)
	v_mul_f64_e32 v[38:39], 0x3fd34413509f79ff, v[32:33]
	v_add_f64_e64 v[34:35], v[30:31], -v[34:35]
	v_mul_f64_e32 v[36:37], 0x3fdbcb7b1526e50e, v[30:31]
	s_delay_alu instid0(VALU_DEP_3) | instskip(NEXT) | instid1(VALU_DEP_3)
	v_fma_f64 v[40:41], v[32:33], s[14:15], -v[38:39]
	v_add_f64_e64 v[28:29], v[28:29], -v[34:35]
	s_delay_alu instid0(VALU_DEP_3) | instskip(NEXT) | instid1(VALU_DEP_3)
	v_fma_f64 v[34:35], v[30:31], s[20:21], -v[36:37]
	v_fmac_f64_e32 v[40:41], 0xbc49dc1da994fd21, v[32:33]
	s_delay_alu instid0(VALU_DEP_2) | instskip(NEXT) | instid1(VALU_DEP_2)
	v_fmac_f64_e32 v[34:35], 0x3fdbcb7b1526e50e, v[28:29]
	v_add_f64_e32 v[28:29], v[38:39], v[40:41]
	s_delay_alu instid0(VALU_DEP_2) | instskip(NEXT) | instid1(VALU_DEP_2)
	v_fmac_f64_e32 v[34:35], 0x3c695355baaafad3, v[30:31]
	v_add_f64_e64 v[38:39], v[28:29], -v[38:39]
	s_delay_alu instid0(VALU_DEP_2) | instskip(NEXT) | instid1(VALU_DEP_2)
	v_add_f64_e32 v[30:31], v[36:37], v[34:35]
	v_add_f64_e64 v[38:39], v[40:41], -v[38:39]
	s_delay_alu instid0(VALU_DEP_2) | instskip(SKIP_1) | instid1(VALU_DEP_2)
	v_add_f64_e32 v[32:33], v[28:29], v[30:31]
	v_add_f64_e64 v[36:37], v[30:31], -v[36:37]
	v_add_f64_e64 v[42:43], v[32:33], -v[28:29]
	s_delay_alu instid0(VALU_DEP_2) | instskip(NEXT) | instid1(VALU_DEP_2)
	v_add_f64_e64 v[34:35], v[34:35], -v[36:37]
	v_add_f64_e64 v[44:45], v[32:33], -v[42:43]
	;; [unrolled: 1-line block ×3, first 2 shown]
	s_delay_alu instid0(VALU_DEP_3) | instskip(NEXT) | instid1(VALU_DEP_3)
	v_add_f64_e32 v[36:37], v[38:39], v[34:35]
	v_add_f64_e64 v[28:29], v[28:29], -v[44:45]
	s_delay_alu instid0(VALU_DEP_1) | instskip(NEXT) | instid1(VALU_DEP_3)
	v_add_f64_e32 v[28:29], v[30:31], v[28:29]
	v_add_f64_e64 v[30:31], v[36:37], -v[38:39]
	s_delay_alu instid0(VALU_DEP_2) | instskip(NEXT) | instid1(VALU_DEP_2)
	v_add_f64_e32 v[28:29], v[36:37], v[28:29]
	v_add_f64_e64 v[36:37], v[36:37], -v[30:31]
	v_add_f64_e64 v[30:31], v[34:35], -v[30:31]
	s_delay_alu instid0(VALU_DEP_3) | instskip(NEXT) | instid1(VALU_DEP_3)
	v_add_f64_e32 v[40:41], v[32:33], v[28:29]
	v_add_f64_e64 v[34:35], v[38:39], -v[36:37]
	s_delay_alu instid0(VALU_DEP_2) | instskip(NEXT) | instid1(VALU_DEP_2)
	v_add_f64_e64 v[32:33], v[40:41], -v[32:33]
	v_add_f64_e32 v[30:31], v[30:31], v[34:35]
	s_delay_alu instid0(VALU_DEP_2) | instskip(NEXT) | instid1(VALU_DEP_1)
	v_add_f64_e64 v[28:29], v[28:29], -v[32:33]
	v_add_f64_e32 v[28:29], v[30:31], v[28:29]
	s_delay_alu instid0(VALU_DEP_1) | instskip(NEXT) | instid1(VALU_DEP_1)
	v_add_f64_e32 v[28:29], v[40:41], v[28:29]
	v_dual_cndmask_b32 v28, v28, v26, s3 :: v_dual_cndmask_b32 v29, v29, v27, s3
	v_cmp_ngt_f64_e64 s3, 0, v[26:27]
	s_delay_alu instid0(VALU_DEP_1) | instskip(SKIP_1) | instid1(VALU_DEP_1)
	v_cndmask_b32_e64 v29, 0x7ff80000, v29, s3
	v_cmp_nge_f64_e64 s3, 0, v[26:27]
	v_cndmask_b32_e64 v28, 0, v28, s3
	v_cmp_neq_f64_e64 s3, 0, v[26:27]
	s_delay_alu instid0(VALU_DEP_1)
	v_cndmask_b32_e64 v29, 0xfff00000, v29, s3
	global_store_b64 v[16:17], v[28:29], off
	s_wait_xcnt 0x0
	s_or_b32 exec_lo, exec_lo, s4
	s_and_saveexec_b32 s3, s2
	s_cbranch_execz .LBB183_14
.LBB183_18:                             ;   in Loop: Header=BB183_4 Depth=1
	s_wait_loadcnt 0x0
	v_frexp_mant_f64_e32 v[26:27], v[24:25]
	s_delay_alu instid0(VALU_DEP_1) | instskip(NEXT) | instid1(VALU_DEP_1)
	v_cmp_gt_f64_e64 s2, s[12:13], v[26:27]
	v_cndmask_b32_e64 v28, 0, 1, s2
	s_delay_alu instid0(VALU_DEP_1) | instskip(NEXT) | instid1(VALU_DEP_1)
	v_ldexp_f64 v[26:27], v[26:27], v28
	v_add_f64_e32 v[28:29], 1.0, v[26:27]
	v_add_f64_e32 v[34:35], -1.0, v[26:27]
	s_delay_alu instid0(VALU_DEP_2) | instskip(SKIP_1) | instid1(VALU_DEP_1)
	v_rcp_f64_e32 v[30:31], v[28:29]
	v_add_f64_e32 v[36:37], -1.0, v[28:29]
	v_add_f64_e64 v[26:27], v[26:27], -v[36:37]
	s_delay_alu instid0(TRANS32_DEP_1) | instskip(NEXT) | instid1(VALU_DEP_1)
	v_fma_f64 v[32:33], -v[28:29], v[30:31], 1.0
	v_fmac_f64_e32 v[30:31], v[32:33], v[30:31]
	s_delay_alu instid0(VALU_DEP_1) | instskip(NEXT) | instid1(VALU_DEP_1)
	v_fma_f64 v[32:33], -v[28:29], v[30:31], 1.0
	v_fmac_f64_e32 v[30:31], v[32:33], v[30:31]
	s_delay_alu instid0(VALU_DEP_1) | instskip(NEXT) | instid1(VALU_DEP_1)
	v_mul_f64_e32 v[32:33], v[34:35], v[30:31]
	v_mul_f64_e32 v[38:39], v[28:29], v[32:33]
	s_delay_alu instid0(VALU_DEP_1) | instskip(NEXT) | instid1(VALU_DEP_1)
	v_fma_f64 v[28:29], v[32:33], v[28:29], -v[38:39]
	v_fmac_f64_e32 v[28:29], v[32:33], v[26:27]
	s_delay_alu instid0(VALU_DEP_1) | instskip(NEXT) | instid1(VALU_DEP_1)
	v_add_f64_e32 v[26:27], v[38:39], v[28:29]
	v_add_f64_e64 v[36:37], v[34:35], -v[26:27]
	v_add_f64_e64 v[38:39], v[26:27], -v[38:39]
	s_delay_alu instid0(VALU_DEP_2) | instskip(NEXT) | instid1(VALU_DEP_2)
	v_add_f64_e64 v[34:35], v[34:35], -v[36:37]
	v_add_f64_e64 v[28:29], v[38:39], -v[28:29]
	s_delay_alu instid0(VALU_DEP_2) | instskip(NEXT) | instid1(VALU_DEP_1)
	v_add_f64_e64 v[26:27], v[34:35], -v[26:27]
	v_add_f64_e32 v[26:27], v[28:29], v[26:27]
	s_delay_alu instid0(VALU_DEP_1) | instskip(NEXT) | instid1(VALU_DEP_1)
	v_add_f64_e32 v[26:27], v[36:37], v[26:27]
	v_mul_f64_e32 v[26:27], v[30:31], v[26:27]
	s_delay_alu instid0(VALU_DEP_1) | instskip(NEXT) | instid1(VALU_DEP_1)
	v_add_f64_e32 v[28:29], v[32:33], v[26:27]
	v_mul_f64_e32 v[30:31], v[28:29], v[28:29]
	s_delay_alu instid0(VALU_DEP_1) | instskip(SKIP_1) | instid1(VALU_DEP_2)
	v_fmamk_f64 v[34:35], v[30:31], 0x3fc3ab76bf559e2b, v[6:7]
	v_mul_f64_e32 v[36:37], v[28:29], v[30:31]
	v_fmaak_f64 v[34:35], v[30:31], v[34:35], 0x3fc7474dd7f4df2e
	s_delay_alu instid0(VALU_DEP_1) | instskip(NEXT) | instid1(VALU_DEP_1)
	v_fmaak_f64 v[34:35], v[30:31], v[34:35], 0x3fcc71c016291751
	v_fmaak_f64 v[34:35], v[30:31], v[34:35], 0x3fd249249b27acf1
	s_delay_alu instid0(VALU_DEP_1) | instskip(NEXT) | instid1(VALU_DEP_1)
	v_fmaak_f64 v[34:35], v[30:31], v[34:35], 0x3fd99999998ef7b6
	v_fmaak_f64 v[30:31], v[30:31], v[34:35], 0x3fe5555555555780
	v_ldexp_f64 v[34:35], v[28:29], 1
	v_add_f64_e64 v[28:29], v[28:29], -v[32:33]
	s_delay_alu instid0(VALU_DEP_3) | instskip(NEXT) | instid1(VALU_DEP_2)
	v_mul_f64_e32 v[30:31], v[36:37], v[30:31]
	v_add_f64_e64 v[26:27], v[26:27], -v[28:29]
	s_delay_alu instid0(VALU_DEP_2) | instskip(NEXT) | instid1(VALU_DEP_2)
	v_add_f64_e32 v[32:33], v[34:35], v[30:31]
	v_ldexp_f64 v[26:27], v[26:27], 1
	s_delay_alu instid0(VALU_DEP_2) | instskip(NEXT) | instid1(VALU_DEP_1)
	v_add_f64_e64 v[28:29], v[32:33], -v[34:35]
	v_add_f64_e64 v[28:29], v[30:31], -v[28:29]
	v_frexp_exp_i32_f64_e32 v30, v[24:25]
	s_delay_alu instid0(VALU_DEP_2) | instskip(NEXT) | instid1(VALU_DEP_2)
	v_add_f64_e32 v[26:27], v[26:27], v[28:29]
	v_subrev_co_ci_u32_e64 v30, null, 0, v30, s2
	v_cmp_class_f64_e64 s2, v[24:25], 0x204
	s_delay_alu instid0(VALU_DEP_2) | instskip(NEXT) | instid1(VALU_DEP_4)
	v_cvt_f64_i32_e32 v[30:31], v30
	v_add_f64_e32 v[28:29], v[32:33], v[26:27]
	s_delay_alu instid0(VALU_DEP_2) | instskip(NEXT) | instid1(VALU_DEP_2)
	v_mul_f64_e32 v[36:37], 0x3fd34413509f79ff, v[30:31]
	v_add_f64_e64 v[32:33], v[28:29], -v[32:33]
	v_mul_f64_e32 v[34:35], 0x3fdbcb7b1526e50e, v[28:29]
	s_delay_alu instid0(VALU_DEP_3) | instskip(NEXT) | instid1(VALU_DEP_3)
	v_fma_f64 v[38:39], v[30:31], s[14:15], -v[36:37]
	v_add_f64_e64 v[26:27], v[26:27], -v[32:33]
	s_delay_alu instid0(VALU_DEP_3) | instskip(NEXT) | instid1(VALU_DEP_3)
	v_fma_f64 v[32:33], v[28:29], s[20:21], -v[34:35]
	v_fmac_f64_e32 v[38:39], 0xbc49dc1da994fd21, v[30:31]
	s_delay_alu instid0(VALU_DEP_2) | instskip(NEXT) | instid1(VALU_DEP_2)
	v_fmac_f64_e32 v[32:33], 0x3fdbcb7b1526e50e, v[26:27]
	v_add_f64_e32 v[26:27], v[36:37], v[38:39]
	s_delay_alu instid0(VALU_DEP_2) | instskip(NEXT) | instid1(VALU_DEP_2)
	v_fmac_f64_e32 v[32:33], 0x3c695355baaafad3, v[28:29]
	v_add_f64_e64 v[36:37], v[26:27], -v[36:37]
	s_delay_alu instid0(VALU_DEP_2) | instskip(NEXT) | instid1(VALU_DEP_2)
	v_add_f64_e32 v[28:29], v[34:35], v[32:33]
	v_add_f64_e64 v[36:37], v[38:39], -v[36:37]
	s_delay_alu instid0(VALU_DEP_2) | instskip(SKIP_1) | instid1(VALU_DEP_2)
	v_add_f64_e32 v[30:31], v[26:27], v[28:29]
	v_add_f64_e64 v[34:35], v[28:29], -v[34:35]
	v_add_f64_e64 v[40:41], v[30:31], -v[26:27]
	s_delay_alu instid0(VALU_DEP_2) | instskip(NEXT) | instid1(VALU_DEP_2)
	v_add_f64_e64 v[32:33], v[32:33], -v[34:35]
	v_add_f64_e64 v[42:43], v[30:31], -v[40:41]
	;; [unrolled: 1-line block ×3, first 2 shown]
	s_delay_alu instid0(VALU_DEP_3) | instskip(NEXT) | instid1(VALU_DEP_3)
	v_add_f64_e32 v[34:35], v[36:37], v[32:33]
	v_add_f64_e64 v[26:27], v[26:27], -v[42:43]
	s_delay_alu instid0(VALU_DEP_1) | instskip(NEXT) | instid1(VALU_DEP_3)
	v_add_f64_e32 v[26:27], v[28:29], v[26:27]
	v_add_f64_e64 v[28:29], v[34:35], -v[36:37]
	s_delay_alu instid0(VALU_DEP_2) | instskip(NEXT) | instid1(VALU_DEP_2)
	v_add_f64_e32 v[26:27], v[34:35], v[26:27]
	v_add_f64_e64 v[34:35], v[34:35], -v[28:29]
	v_add_f64_e64 v[28:29], v[32:33], -v[28:29]
	s_delay_alu instid0(VALU_DEP_3) | instskip(NEXT) | instid1(VALU_DEP_3)
	v_add_f64_e32 v[38:39], v[30:31], v[26:27]
	v_add_f64_e64 v[32:33], v[36:37], -v[34:35]
	s_delay_alu instid0(VALU_DEP_2) | instskip(NEXT) | instid1(VALU_DEP_2)
	v_add_f64_e64 v[30:31], v[38:39], -v[30:31]
	v_add_f64_e32 v[28:29], v[28:29], v[32:33]
	s_delay_alu instid0(VALU_DEP_2) | instskip(NEXT) | instid1(VALU_DEP_1)
	v_add_f64_e64 v[26:27], v[26:27], -v[30:31]
	v_add_f64_e32 v[26:27], v[28:29], v[26:27]
	s_delay_alu instid0(VALU_DEP_1) | instskip(NEXT) | instid1(VALU_DEP_1)
	v_add_f64_e32 v[26:27], v[38:39], v[26:27]
	v_dual_cndmask_b32 v26, v26, v24, s2 :: v_dual_cndmask_b32 v27, v27, v25, s2
	v_cmp_ngt_f64_e64 s2, 0, v[24:25]
	s_delay_alu instid0(VALU_DEP_1) | instskip(SKIP_1) | instid1(VALU_DEP_1)
	v_cndmask_b32_e64 v27, 0x7ff80000, v27, s2
	v_cmp_nge_f64_e64 s2, 0, v[24:25]
	v_cndmask_b32_e64 v26, 0, v26, s2
	v_cmp_neq_f64_e64 s2, 0, v[24:25]
	s_delay_alu instid0(VALU_DEP_1)
	v_cndmask_b32_e64 v27, 0xfff00000, v27, s2
	global_store_b64 v[22:23], v[26:27], off
	s_wait_xcnt 0x0
	s_or_b32 exec_lo, exec_lo, s3
	s_and_saveexec_b32 s2, vcc_lo
	s_cbranch_execz .LBB183_3
.LBB183_19:                             ;   in Loop: Header=BB183_4 Depth=1
	s_wait_loadcnt 0x0
	v_frexp_mant_f64_e32 v[22:23], v[18:19]
	s_delay_alu instid0(VALU_DEP_1) | instskip(SKIP_1) | instid1(VALU_DEP_1)
	v_cmp_gt_f64_e32 vcc_lo, s[12:13], v[22:23]
	v_cndmask_b32_e64 v24, 0, 1, vcc_lo
	v_ldexp_f64 v[22:23], v[22:23], v24
	s_delay_alu instid0(VALU_DEP_1) | instskip(SKIP_1) | instid1(VALU_DEP_2)
	v_add_f64_e32 v[24:25], 1.0, v[22:23]
	v_add_f64_e32 v[30:31], -1.0, v[22:23]
	v_rcp_f64_e32 v[26:27], v[24:25]
	v_add_f64_e32 v[32:33], -1.0, v[24:25]
	s_delay_alu instid0(VALU_DEP_1) | instskip(NEXT) | instid1(TRANS32_DEP_1)
	v_add_f64_e64 v[22:23], v[22:23], -v[32:33]
	v_fma_f64 v[28:29], -v[24:25], v[26:27], 1.0
	s_delay_alu instid0(VALU_DEP_1) | instskip(NEXT) | instid1(VALU_DEP_1)
	v_fmac_f64_e32 v[26:27], v[28:29], v[26:27]
	v_fma_f64 v[28:29], -v[24:25], v[26:27], 1.0
	s_delay_alu instid0(VALU_DEP_1) | instskip(NEXT) | instid1(VALU_DEP_1)
	v_fmac_f64_e32 v[26:27], v[28:29], v[26:27]
	v_mul_f64_e32 v[28:29], v[30:31], v[26:27]
	s_delay_alu instid0(VALU_DEP_1) | instskip(NEXT) | instid1(VALU_DEP_1)
	v_mul_f64_e32 v[34:35], v[24:25], v[28:29]
	v_fma_f64 v[24:25], v[28:29], v[24:25], -v[34:35]
	s_delay_alu instid0(VALU_DEP_1) | instskip(NEXT) | instid1(VALU_DEP_1)
	v_fmac_f64_e32 v[24:25], v[28:29], v[22:23]
	v_add_f64_e32 v[22:23], v[34:35], v[24:25]
	s_delay_alu instid0(VALU_DEP_1) | instskip(SKIP_1) | instid1(VALU_DEP_2)
	v_add_f64_e64 v[32:33], v[30:31], -v[22:23]
	v_add_f64_e64 v[34:35], v[22:23], -v[34:35]
	;; [unrolled: 1-line block ×3, first 2 shown]
	s_delay_alu instid0(VALU_DEP_2) | instskip(NEXT) | instid1(VALU_DEP_2)
	v_add_f64_e64 v[24:25], v[34:35], -v[24:25]
	v_add_f64_e64 v[22:23], v[30:31], -v[22:23]
	s_delay_alu instid0(VALU_DEP_1) | instskip(NEXT) | instid1(VALU_DEP_1)
	v_add_f64_e32 v[22:23], v[24:25], v[22:23]
	v_add_f64_e32 v[22:23], v[32:33], v[22:23]
	s_delay_alu instid0(VALU_DEP_1) | instskip(NEXT) | instid1(VALU_DEP_1)
	v_mul_f64_e32 v[22:23], v[26:27], v[22:23]
	v_add_f64_e32 v[24:25], v[28:29], v[22:23]
	s_delay_alu instid0(VALU_DEP_1) | instskip(NEXT) | instid1(VALU_DEP_1)
	v_mul_f64_e32 v[26:27], v[24:25], v[24:25]
	v_fmamk_f64 v[30:31], v[26:27], 0x3fc3ab76bf559e2b, v[6:7]
	v_mul_f64_e32 v[32:33], v[24:25], v[26:27]
	s_delay_alu instid0(VALU_DEP_2) | instskip(NEXT) | instid1(VALU_DEP_1)
	v_fmaak_f64 v[30:31], v[26:27], v[30:31], 0x3fc7474dd7f4df2e
	v_fmaak_f64 v[30:31], v[26:27], v[30:31], 0x3fcc71c016291751
	s_delay_alu instid0(VALU_DEP_1) | instskip(NEXT) | instid1(VALU_DEP_1)
	v_fmaak_f64 v[30:31], v[26:27], v[30:31], 0x3fd249249b27acf1
	v_fmaak_f64 v[30:31], v[26:27], v[30:31], 0x3fd99999998ef7b6
	s_delay_alu instid0(VALU_DEP_1) | instskip(SKIP_2) | instid1(VALU_DEP_3)
	v_fmaak_f64 v[26:27], v[26:27], v[30:31], 0x3fe5555555555780
	v_ldexp_f64 v[30:31], v[24:25], 1
	v_add_f64_e64 v[24:25], v[24:25], -v[28:29]
	v_mul_f64_e32 v[26:27], v[32:33], v[26:27]
	s_delay_alu instid0(VALU_DEP_2) | instskip(NEXT) | instid1(VALU_DEP_2)
	v_add_f64_e64 v[22:23], v[22:23], -v[24:25]
	v_add_f64_e32 v[28:29], v[30:31], v[26:27]
	s_delay_alu instid0(VALU_DEP_2) | instskip(NEXT) | instid1(VALU_DEP_2)
	v_ldexp_f64 v[22:23], v[22:23], 1
	v_add_f64_e64 v[24:25], v[28:29], -v[30:31]
	s_delay_alu instid0(VALU_DEP_1) | instskip(SKIP_1) | instid1(VALU_DEP_2)
	v_add_f64_e64 v[24:25], v[26:27], -v[24:25]
	v_frexp_exp_i32_f64_e32 v26, v[18:19]
	v_add_f64_e32 v[22:23], v[22:23], v[24:25]
	s_delay_alu instid0(VALU_DEP_2) | instskip(SKIP_1) | instid1(VALU_DEP_2)
	v_subrev_co_ci_u32_e64 v26, null, 0, v26, vcc_lo
	v_cmp_class_f64_e64 vcc_lo, v[18:19], 0x204
	v_cvt_f64_i32_e32 v[26:27], v26
	s_delay_alu instid0(VALU_DEP_4) | instskip(NEXT) | instid1(VALU_DEP_2)
	v_add_f64_e32 v[24:25], v[28:29], v[22:23]
	v_mul_f64_e32 v[32:33], 0x3fd34413509f79ff, v[26:27]
	s_delay_alu instid0(VALU_DEP_2) | instskip(SKIP_1) | instid1(VALU_DEP_3)
	v_add_f64_e64 v[28:29], v[24:25], -v[28:29]
	v_mul_f64_e32 v[30:31], 0x3fdbcb7b1526e50e, v[24:25]
	v_fma_f64 v[34:35], v[26:27], s[14:15], -v[32:33]
	s_delay_alu instid0(VALU_DEP_3) | instskip(NEXT) | instid1(VALU_DEP_3)
	v_add_f64_e64 v[22:23], v[22:23], -v[28:29]
	v_fma_f64 v[28:29], v[24:25], s[20:21], -v[30:31]
	s_delay_alu instid0(VALU_DEP_3) | instskip(NEXT) | instid1(VALU_DEP_2)
	v_fmac_f64_e32 v[34:35], 0xbc49dc1da994fd21, v[26:27]
	v_fmac_f64_e32 v[28:29], 0x3fdbcb7b1526e50e, v[22:23]
	s_delay_alu instid0(VALU_DEP_2) | instskip(NEXT) | instid1(VALU_DEP_2)
	v_add_f64_e32 v[22:23], v[32:33], v[34:35]
	v_fmac_f64_e32 v[28:29], 0x3c695355baaafad3, v[24:25]
	s_delay_alu instid0(VALU_DEP_2) | instskip(NEXT) | instid1(VALU_DEP_2)
	v_add_f64_e64 v[32:33], v[22:23], -v[32:33]
	v_add_f64_e32 v[24:25], v[30:31], v[28:29]
	s_delay_alu instid0(VALU_DEP_2) | instskip(NEXT) | instid1(VALU_DEP_2)
	v_add_f64_e64 v[32:33], v[34:35], -v[32:33]
	v_add_f64_e32 v[26:27], v[22:23], v[24:25]
	v_add_f64_e64 v[30:31], v[24:25], -v[30:31]
	s_delay_alu instid0(VALU_DEP_2) | instskip(NEXT) | instid1(VALU_DEP_2)
	v_add_f64_e64 v[36:37], v[26:27], -v[22:23]
	v_add_f64_e64 v[28:29], v[28:29], -v[30:31]
	s_delay_alu instid0(VALU_DEP_2) | instskip(SKIP_1) | instid1(VALU_DEP_3)
	v_add_f64_e64 v[38:39], v[26:27], -v[36:37]
	v_add_f64_e64 v[24:25], v[24:25], -v[36:37]
	v_add_f64_e32 v[30:31], v[32:33], v[28:29]
	s_delay_alu instid0(VALU_DEP_3) | instskip(NEXT) | instid1(VALU_DEP_1)
	v_add_f64_e64 v[22:23], v[22:23], -v[38:39]
	v_add_f64_e32 v[22:23], v[24:25], v[22:23]
	s_delay_alu instid0(VALU_DEP_3) | instskip(NEXT) | instid1(VALU_DEP_2)
	v_add_f64_e64 v[24:25], v[30:31], -v[32:33]
	v_add_f64_e32 v[22:23], v[30:31], v[22:23]
	s_delay_alu instid0(VALU_DEP_2) | instskip(SKIP_1) | instid1(VALU_DEP_3)
	v_add_f64_e64 v[30:31], v[30:31], -v[24:25]
	v_add_f64_e64 v[24:25], v[28:29], -v[24:25]
	v_add_f64_e32 v[34:35], v[26:27], v[22:23]
	s_delay_alu instid0(VALU_DEP_3) | instskip(NEXT) | instid1(VALU_DEP_2)
	v_add_f64_e64 v[28:29], v[32:33], -v[30:31]
	v_add_f64_e64 v[26:27], v[34:35], -v[26:27]
	s_delay_alu instid0(VALU_DEP_2) | instskip(NEXT) | instid1(VALU_DEP_2)
	v_add_f64_e32 v[24:25], v[24:25], v[28:29]
	v_add_f64_e64 v[22:23], v[22:23], -v[26:27]
	s_delay_alu instid0(VALU_DEP_1) | instskip(NEXT) | instid1(VALU_DEP_1)
	v_add_f64_e32 v[22:23], v[24:25], v[22:23]
	v_add_f64_e32 v[22:23], v[34:35], v[22:23]
	s_delay_alu instid0(VALU_DEP_1) | instskip(SKIP_1) | instid1(VALU_DEP_2)
	v_dual_cndmask_b32 v22, v22, v18 :: v_dual_cndmask_b32 v23, v23, v19
	v_cmp_ngt_f64_e32 vcc_lo, 0, v[18:19]
	v_cndmask_b32_e32 v23, 0x7ff80000, v23, vcc_lo
	v_cmp_nge_f64_e32 vcc_lo, 0, v[18:19]
	s_delay_alu instid0(VALU_DEP_4) | instskip(SKIP_1) | instid1(VALU_DEP_4)
	v_cndmask_b32_e32 v22, 0, v22, vcc_lo
	v_cmp_neq_f64_e32 vcc_lo, 0, v[18:19]
	v_cndmask_b32_e32 v23, 0xfff00000, v23, vcc_lo
	global_store_b64 v[20:21], v[22:23], off
	s_branch .LBB183_3
.LBB183_20:
	s_cbranch_execz .LBB183_22
	s_branch .LBB183_25
.LBB183_21:
.LBB183_22:
	v_min_i64 v[10:11], 0x10000, s[10:11]
	v_dual_mov_b32 v3, 0 :: v_dual_lshlrev_b32 v2, 2, v0
	s_mov_b32 s2, exec_lo
	s_delay_alu instid0(VALU_DEP_1)
	v_cmpx_lt_i64_e64 v[2:3], v[10:11]
	s_cbranch_execz .LBB183_25
; %bb.23:
	s_load_b32 s2, s[0:1], 0xd3c
	v_dual_mov_b32 v1, v3 :: v_dual_lshlrev_b32 v2, 5, v0
	s_wait_xcnt 0x0
	s_add_nc_u64 s[0:1], s[6:7], s[8:9]
	v_mov_b64_e32 v[12:13], 0x3fc385386b47b09a
	s_mov_b32 s11, 0
	v_add_nc_u64_e32 v[2:3], s[0:1], v[2:3]
	s_mov_b64 s[4:5], 0x3fe5555555555555
	s_mov_b64 s[6:7], 0x3fd34413509f79ff
	;; [unrolled: 1-line block ×3, first 2 shown]
	s_mov_b32 s13, s11
	s_mov_b32 s3, s11
	s_delay_alu instid0(VALU_DEP_1) | instskip(SKIP_2) | instid1(SALU_CYCLE_1)
	v_add_nc_u64_e32 v[14:15], 16, v[2:3]
                                        ; implicit-def: $vgpr2_vgpr3
                                        ; implicit-def: $vgpr2_vgpr3
                                        ; implicit-def: $vgpr2_vgpr3
                                        ; implicit-def: $vgpr2_vgpr3
                                        ; implicit-def: $vgpr2_vgpr3
	s_wait_kmcnt 0x0
	s_and_b32 s10, s2, 0xffff
	s_lshl_b32 s12, s10, 5
.LBB183_24:                             ; =>This Inner Loop Header: Depth=1
	s_clause 0x1
	global_load_b128 v[6:9], v[14:15], off offset:-16
	global_load_b128 v[2:5], v[14:15], off
	v_add_nc_u64_e32 v[0:1], s[10:11], v[0:1]
	s_wait_loadcnt 0x1
	v_frexp_mant_f64_e32 v[16:17], v[6:7]
	v_frexp_mant_f64_e32 v[18:19], v[8:9]
	s_wait_loadcnt 0x0
	v_frexp_mant_f64_e32 v[22:23], v[4:5]
	s_delay_alu instid0(VALU_DEP_3) | instskip(NEXT) | instid1(VALU_DEP_3)
	v_cmp_gt_f64_e32 vcc_lo, s[4:5], v[16:17]
	v_cmp_gt_f64_e64 s0, s[4:5], v[18:19]
	s_delay_alu instid0(VALU_DEP_3) | instskip(SKIP_1) | instid1(VALU_DEP_3)
	v_cmp_gt_f64_e64 s2, s[4:5], v[22:23]
	v_cndmask_b32_e64 v20, 0, 1, vcc_lo
	v_cndmask_b32_e64 v21, 0, 1, s0
	s_delay_alu instid0(VALU_DEP_3) | instskip(NEXT) | instid1(VALU_DEP_3)
	v_cndmask_b32_e64 v30, 0, 1, s2
	v_ldexp_f64 v[16:17], v[16:17], v20
	s_delay_alu instid0(VALU_DEP_3) | instskip(SKIP_1) | instid1(VALU_DEP_4)
	v_ldexp_f64 v[18:19], v[18:19], v21
	v_frexp_mant_f64_e32 v[20:21], v[2:3]
	v_ldexp_f64 v[22:23], v[22:23], v30
	s_delay_alu instid0(VALU_DEP_4) | instskip(NEXT) | instid1(VALU_DEP_4)
	v_add_f64_e32 v[24:25], 1.0, v[16:17]
	v_add_f64_e32 v[26:27], 1.0, v[18:19]
	s_delay_alu instid0(VALU_DEP_4) | instskip(NEXT) | instid1(VALU_DEP_4)
	v_cmp_gt_f64_e64 s1, s[4:5], v[20:21]
	v_add_f64_e32 v[34:35], 1.0, v[22:23]
	v_add_f64_e32 v[48:49], -1.0, v[16:17]
	v_add_f64_e32 v[50:51], -1.0, v[18:19]
	v_rcp_f64_e32 v[30:31], v[26:27]
	s_delay_alu instid0(VALU_DEP_4) | instskip(NEXT) | instid1(VALU_DEP_4)
	v_cndmask_b32_e64 v28, 0, 1, s1
	v_rcp_f64_e32 v[42:43], v[34:35]
	s_delay_alu instid0(VALU_DEP_1) | instskip(SKIP_1) | instid1(VALU_DEP_1)
	v_ldexp_f64 v[20:21], v[20:21], v28
	v_rcp_f64_e32 v[28:29], v[24:25]
	v_add_f64_e32 v[32:33], 1.0, v[20:21]
	s_delay_alu instid0(TRANS32_DEP_3) | instskip(NEXT) | instid1(TRANS32_DEP_2)
	v_fma_f64 v[38:39], -v[26:27], v[30:31], 1.0
	v_fma_f64 v[44:45], -v[34:35], v[42:43], 1.0
	v_add_f64_e32 v[56:57], -1.0, v[20:21]
	s_delay_alu instid0(TRANS32_DEP_1) | instskip(SKIP_1) | instid1(VALU_DEP_4)
	v_fma_f64 v[36:37], -v[24:25], v[28:29], 1.0
	v_rcp_f64_e32 v[40:41], v[32:33]
	v_fmac_f64_e32 v[30:31], v[38:39], v[30:31]
	s_delay_alu instid0(VALU_DEP_4) | instskip(SKIP_1) | instid1(VALU_DEP_4)
	v_fmac_f64_e32 v[42:43], v[44:45], v[42:43]
	v_add_f64_e32 v[58:59], -1.0, v[32:33]
	v_fmac_f64_e32 v[28:29], v[36:37], v[28:29]
	s_delay_alu instid0(VALU_DEP_4) | instskip(NEXT) | instid1(VALU_DEP_4)
	v_fma_f64 v[46:47], -v[26:27], v[30:31], 1.0
	v_fma_f64 v[52:53], -v[34:35], v[42:43], 1.0
	s_delay_alu instid0(VALU_DEP_4) | instskip(NEXT) | instid1(TRANS32_DEP_1)
	v_add_f64_e64 v[20:21], v[20:21], -v[58:59]
	v_fma_f64 v[36:37], -v[32:33], v[40:41], 1.0
	v_fma_f64 v[38:39], -v[24:25], v[28:29], 1.0
	v_fmac_f64_e32 v[30:31], v[46:47], v[30:31]
	v_fmac_f64_e32 v[42:43], v[52:53], v[42:43]
	v_add_f64_e32 v[52:53], -1.0, v[22:23]
	v_fmac_f64_e32 v[40:41], v[36:37], v[40:41]
	v_fmac_f64_e32 v[28:29], v[38:39], v[28:29]
	v_add_f64_e32 v[36:37], -1.0, v[24:25]
	v_add_f64_e32 v[38:39], -1.0, v[26:27]
	v_mul_f64_e32 v[54:55], v[50:51], v[30:31]
	v_mul_f64_e32 v[58:59], v[52:53], v[42:43]
	v_fma_f64 v[44:45], -v[32:33], v[40:41], 1.0
	v_mul_f64_e32 v[46:47], v[48:49], v[28:29]
	v_add_f64_e64 v[16:17], v[16:17], -v[36:37]
	v_add_f64_e32 v[36:37], -1.0, v[34:35]
	v_add_f64_e64 v[18:19], v[18:19], -v[38:39]
	v_fmac_f64_e32 v[40:41], v[44:45], v[40:41]
	v_mul_f64_e32 v[38:39], v[24:25], v[46:47]
	v_mul_f64_e32 v[44:45], v[26:27], v[54:55]
	v_add_f64_e64 v[22:23], v[22:23], -v[36:37]
	s_delay_alu instid0(VALU_DEP_4) | instskip(NEXT) | instid1(VALU_DEP_4)
	v_mul_f64_e32 v[36:37], v[56:57], v[40:41]
	v_fma_f64 v[24:25], v[46:47], v[24:25], -v[38:39]
	s_delay_alu instid0(VALU_DEP_4) | instskip(NEXT) | instid1(VALU_DEP_2)
	v_fma_f64 v[26:27], v[54:55], v[26:27], -v[44:45]
	v_fmac_f64_e32 v[24:25], v[46:47], v[16:17]
	s_delay_alu instid0(VALU_DEP_4) | instskip(NEXT) | instid1(VALU_DEP_3)
	v_mul_f64_e32 v[16:17], v[32:33], v[36:37]
	v_fmac_f64_e32 v[26:27], v[54:55], v[18:19]
	v_mul_f64_e32 v[18:19], v[34:35], v[58:59]
	s_delay_alu instid0(VALU_DEP_3) | instskip(NEXT) | instid1(VALU_DEP_2)
	v_fma_f64 v[32:33], v[36:37], v[32:33], -v[16:17]
	v_fma_f64 v[34:35], v[58:59], v[34:35], -v[18:19]
	s_delay_alu instid0(VALU_DEP_2) | instskip(SKIP_1) | instid1(VALU_DEP_3)
	v_fmac_f64_e32 v[32:33], v[36:37], v[20:21]
	v_add_f64_e32 v[20:21], v[38:39], v[24:25]
	v_fmac_f64_e32 v[34:35], v[58:59], v[22:23]
	v_add_f64_e32 v[22:23], v[44:45], v[26:27]
	s_delay_alu instid0(VALU_DEP_3) | instskip(NEXT) | instid1(VALU_DEP_2)
	v_add_f64_e64 v[38:39], v[20:21], -v[38:39]
	v_add_f64_e64 v[44:45], v[22:23], -v[44:45]
	s_delay_alu instid0(VALU_DEP_2) | instskip(SKIP_1) | instid1(VALU_DEP_3)
	v_add_f64_e64 v[24:25], v[38:39], -v[24:25]
	v_add_f64_e32 v[38:39], v[16:17], v[32:33]
	v_add_f64_e64 v[26:27], v[44:45], -v[26:27]
	v_add_f64_e32 v[44:45], v[18:19], v[34:35]
	s_delay_alu instid0(VALU_DEP_3) | instskip(NEXT) | instid1(VALU_DEP_2)
	v_add_f64_e64 v[16:17], v[38:39], -v[16:17]
	v_add_f64_e64 v[18:19], v[44:45], -v[18:19]
	s_delay_alu instid0(VALU_DEP_2) | instskip(SKIP_1) | instid1(VALU_DEP_3)
	v_add_f64_e64 v[16:17], v[16:17], -v[32:33]
	v_add_f64_e64 v[32:33], v[48:49], -v[20:21]
	;; [unrolled: 1-line block ×4, first 2 shown]
	s_delay_alu instid0(VALU_DEP_3) | instskip(NEXT) | instid1(VALU_DEP_2)
	v_add_f64_e64 v[48:49], v[48:49], -v[32:33]
	v_add_f64_e64 v[50:51], v[50:51], -v[34:35]
	s_delay_alu instid0(VALU_DEP_2) | instskip(SKIP_1) | instid1(VALU_DEP_3)
	v_add_f64_e64 v[20:21], v[48:49], -v[20:21]
	v_add_f64_e64 v[48:49], v[56:57], -v[38:39]
	;; [unrolled: 1-line block ×4, first 2 shown]
	s_delay_alu instid0(VALU_DEP_4) | instskip(NEXT) | instid1(VALU_DEP_4)
	v_add_f64_e32 v[20:21], v[24:25], v[20:21]
	v_add_f64_e64 v[56:57], v[56:57], -v[48:49]
	s_delay_alu instid0(VALU_DEP_4) | instskip(NEXT) | instid1(VALU_DEP_4)
	v_add_f64_e32 v[22:23], v[26:27], v[22:23]
	v_add_f64_e64 v[52:53], v[52:53], -v[50:51]
	;; [unrolled: 3-line block ×4, first 2 shown]
	s_delay_alu instid0(VALU_DEP_4) | instskip(NEXT) | instid1(VALU_DEP_4)
	v_mul_f64_e32 v[20:21], v[28:29], v[20:21]
	v_add_f64_e32 v[16:17], v[16:17], v[38:39]
	s_delay_alu instid0(VALU_DEP_4) | instskip(NEXT) | instid1(VALU_DEP_4)
	v_mul_f64_e32 v[22:23], v[30:31], v[22:23]
	v_add_f64_e32 v[18:19], v[18:19], v[44:45]
	s_delay_alu instid0(VALU_DEP_4) | instskip(NEXT) | instid1(VALU_DEP_4)
	v_add_f64_e32 v[24:25], v[46:47], v[20:21]
	v_add_f64_e32 v[16:17], v[48:49], v[16:17]
	s_delay_alu instid0(VALU_DEP_4) | instskip(NEXT) | instid1(VALU_DEP_4)
	v_add_f64_e32 v[26:27], v[54:55], v[22:23]
	v_add_f64_e32 v[18:19], v[50:51], v[18:19]
	s_delay_alu instid0(VALU_DEP_4) | instskip(NEXT) | instid1(VALU_DEP_4)
	v_mul_f64_e32 v[32:33], v[24:25], v[24:25]
	v_mul_f64_e32 v[16:17], v[40:41], v[16:17]
	s_delay_alu instid0(VALU_DEP_4) | instskip(NEXT) | instid1(VALU_DEP_4)
	v_mul_f64_e32 v[34:35], v[26:27], v[26:27]
	v_mul_f64_e32 v[18:19], v[42:43], v[18:19]
	s_delay_alu instid0(VALU_DEP_4) | instskip(NEXT) | instid1(VALU_DEP_4)
	v_fmamk_f64 v[42:43], v[32:33], 0x3fc3ab76bf559e2b, v[12:13]
	v_add_f64_e32 v[28:29], v[36:37], v[16:17]
	s_delay_alu instid0(VALU_DEP_4) | instskip(NEXT) | instid1(VALU_DEP_4)
	v_fmamk_f64 v[44:45], v[34:35], 0x3fc3ab76bf559e2b, v[12:13]
	v_add_f64_e32 v[30:31], v[58:59], v[18:19]
	v_mul_f64_e32 v[52:53], v[24:25], v[32:33]
	v_mul_f64_e32 v[56:57], v[26:27], v[34:35]
	v_fmaak_f64 v[42:43], v[32:33], v[42:43], 0x3fc7474dd7f4df2e
	v_fmaak_f64 v[44:45], v[34:35], v[44:45], 0x3fc7474dd7f4df2e
	s_delay_alu instid0(VALU_DEP_2) | instskip(NEXT) | instid1(VALU_DEP_2)
	v_fmaak_f64 v[42:43], v[32:33], v[42:43], 0x3fcc71c016291751
	v_fmaak_f64 v[44:45], v[34:35], v[44:45], 0x3fcc71c016291751
	s_delay_alu instid0(VALU_DEP_2) | instskip(NEXT) | instid1(VALU_DEP_2)
	;; [unrolled: 3-line block ×3, first 2 shown]
	v_fmaak_f64 v[42:43], v[32:33], v[42:43], 0x3fd99999998ef7b6
	v_fmaak_f64 v[44:45], v[34:35], v[44:45], 0x3fd99999998ef7b6
	v_mul_f64_e32 v[38:39], v[28:29], v[28:29]
	v_mul_f64_e32 v[40:41], v[30:31], v[30:31]
	s_delay_alu instid0(VALU_DEP_4) | instskip(NEXT) | instid1(VALU_DEP_4)
	v_fmaak_f64 v[32:33], v[32:33], v[42:43], 0x3fe5555555555780
	v_fmaak_f64 v[34:35], v[34:35], v[44:45], 0x3fe5555555555780
	s_delay_alu instid0(VALU_DEP_2) | instskip(NEXT) | instid1(VALU_DEP_2)
	v_mul_f64_e32 v[32:33], v[52:53], v[32:33]
	v_mul_f64_e32 v[34:35], v[56:57], v[34:35]
	v_ldexp_f64 v[52:53], v[28:29], 1
	v_frexp_exp_i32_f64_e32 v56, v[6:7]
	v_frexp_exp_i32_f64_e32 v57, v[8:9]
	v_fmamk_f64 v[48:49], v[38:39], 0x3fc3ab76bf559e2b, v[12:13]
	v_mul_f64_e32 v[42:43], v[28:29], v[38:39]
	v_fmamk_f64 v[50:51], v[40:41], 0x3fc3ab76bf559e2b, v[12:13]
	v_mul_f64_e32 v[44:45], v[30:31], v[40:41]
	v_add_f64_e64 v[28:29], v[28:29], -v[36:37]
	v_fmaak_f64 v[48:49], v[38:39], v[48:49], 0x3fc7474dd7f4df2e
	s_delay_alu instid0(VALU_DEP_4) | instskip(SKIP_1) | instid1(VALU_DEP_3)
	v_fmaak_f64 v[50:51], v[40:41], v[50:51], 0x3fc7474dd7f4df2e
	v_subrev_co_ci_u32_e64 v56, null, 0, v56, vcc_lo
	v_fmaak_f64 v[48:49], v[38:39], v[48:49], 0x3fcc71c016291751
	s_delay_alu instid0(VALU_DEP_3)
	v_fmaak_f64 v[50:51], v[40:41], v[50:51], 0x3fcc71c016291751
	v_subrev_co_ci_u32_e64 v57, null, 0, v57, s0
	v_cmp_class_f64_e64 vcc_lo, v[6:7], 0x204
	v_cmp_class_f64_e64 s0, v[8:9], 0x204
	v_fmaak_f64 v[48:49], v[38:39], v[48:49], 0x3fd249249b27acf1
	v_fmaak_f64 v[50:51], v[40:41], v[50:51], 0x3fd249249b27acf1
	s_delay_alu instid0(VALU_DEP_2) | instskip(NEXT) | instid1(VALU_DEP_2)
	v_fmaak_f64 v[48:49], v[38:39], v[48:49], 0x3fd99999998ef7b6
	v_fmaak_f64 v[50:51], v[40:41], v[50:51], 0x3fd99999998ef7b6
	s_delay_alu instid0(VALU_DEP_2) | instskip(NEXT) | instid1(VALU_DEP_2)
	v_fmaak_f64 v[38:39], v[38:39], v[48:49], 0x3fe5555555555780
	v_fmaak_f64 v[40:41], v[40:41], v[50:51], 0x3fe5555555555780
	v_ldexp_f64 v[48:49], v[24:25], 1
	v_ldexp_f64 v[50:51], v[26:27], 1
	v_add_f64_e64 v[24:25], v[24:25], -v[46:47]
	v_add_f64_e64 v[26:27], v[26:27], -v[54:55]
	;; [unrolled: 1-line block ×3, first 2 shown]
	v_mul_f64_e32 v[38:39], v[42:43], v[38:39]
	v_ldexp_f64 v[42:43], v[30:31], 1
	v_mul_f64_e32 v[40:41], v[44:45], v[40:41]
	v_add_f64_e64 v[30:31], v[30:31], -v[58:59]
	v_frexp_exp_i32_f64_e32 v58, v[2:3]
	v_frexp_exp_i32_f64_e32 v59, v[4:5]
	v_add_f64_e32 v[44:45], v[48:49], v[32:33]
	v_add_f64_e32 v[46:47], v[50:51], v[34:35]
	v_add_f64_e64 v[20:21], v[20:21], -v[24:25]
	v_cvt_f64_i32_e32 v[24:25], v56
	v_cvt_f64_i32_e32 v[56:57], v57
	v_add_f64_e32 v[36:37], v[52:53], v[38:39]
	v_add_f64_e64 v[22:23], v[22:23], -v[26:27]
	v_add_f64_e32 v[54:55], v[42:43], v[40:41]
	v_add_f64_e64 v[18:19], v[18:19], -v[30:31]
	v_ldexp_f64 v[16:17], v[16:17], 1
	v_add_f64_e64 v[48:49], v[44:45], -v[48:49]
	v_add_f64_e64 v[26:27], v[46:47], -v[50:51]
	v_subrev_co_ci_u32_e64 v50, null, 0, v59, s2
	v_ldexp_f64 v[20:21], v[20:21], 1
	v_add_f64_e64 v[28:29], v[36:37], -v[52:53]
	v_mul_f64_e32 v[52:53], 0x3fd34413509f79ff, v[24:25]
	v_add_f64_e64 v[30:31], v[54:55], -v[42:43]
	v_subrev_co_ci_u32_e64 v42, null, 0, v58, s1
	v_cvt_f64_i32_e32 v[50:51], v50
	v_mul_f64_e32 v[58:59], 0x3fd34413509f79ff, v[56:57]
	v_ldexp_f64 v[22:23], v[22:23], 1
	s_delay_alu instid0(VALU_DEP_4)
	v_cvt_f64_i32_e32 v[42:43], v42
	v_ldexp_f64 v[18:19], v[18:19], 1
	v_cmp_class_f64_e64 s1, v[2:3], 0x204
	v_cmp_class_f64_e64 s2, v[4:5], 0x204
	v_add_f64_e64 v[32:33], v[32:33], -v[48:49]
	v_add_f64_e64 v[26:27], v[34:35], -v[26:27]
	;; [unrolled: 1-line block ×4, first 2 shown]
	v_mul_f64_e32 v[34:35], 0x3fd34413509f79ff, v[42:43]
	v_add_f64_e32 v[20:21], v[20:21], v[32:33]
	v_mul_f64_e32 v[32:33], 0x3fd34413509f79ff, v[50:51]
	v_add_f64_e32 v[22:23], v[22:23], v[26:27]
	v_fma_f64 v[26:27], v[24:25], s[6:7], -v[52:53]
	v_add_f64_e32 v[16:17], v[16:17], v[28:29]
	v_fma_f64 v[28:29], v[56:57], s[6:7], -v[58:59]
	;; [unrolled: 2-line block ×4, first 2 shown]
	v_add_f64_e32 v[48:49], v[46:47], v[22:23]
	v_fmac_f64_e32 v[26:27], 0xbc49dc1da994fd21, v[24:25]
	v_add_f64_e32 v[24:25], v[36:37], v[16:17]
	v_fmac_f64_e32 v[28:29], 0xbc49dc1da994fd21, v[56:57]
	;; [unrolled: 2-line block ×3, first 2 shown]
	v_add_f64_e64 v[42:43], v[38:39], -v[44:45]
	v_fmac_f64_e32 v[40:41], 0xbc49dc1da994fd21, v[50:51]
	v_add_f64_e64 v[44:45], v[48:49], -v[46:47]
	v_mul_f64_e32 v[46:47], 0x3fdbcb7b1526e50e, v[38:39]
	v_mul_f64_e32 v[50:51], 0x3fdbcb7b1526e50e, v[48:49]
	v_add_f64_e64 v[36:37], v[24:25], -v[36:37]
	v_add_f64_e64 v[54:55], v[56:57], -v[54:55]
	v_add_f64_e64 v[20:21], v[20:21], -v[42:43]
	v_mul_f64_e32 v[42:43], 0x3fdbcb7b1526e50e, v[24:25]
	v_add_f64_e64 v[22:23], v[22:23], -v[44:45]
	v_fma_f64 v[44:45], v[38:39], s[8:9], -v[46:47]
	v_add_f64_e64 v[16:17], v[16:17], -v[36:37]
	v_fma_f64 v[36:37], v[48:49], s[8:9], -v[50:51]
	v_add_f64_e64 v[18:19], v[18:19], -v[54:55]
	v_mul_f64_e32 v[54:55], 0x3fdbcb7b1526e50e, v[56:57]
	v_fmac_f64_e32 v[44:45], 0x3fdbcb7b1526e50e, v[20:21]
	v_fma_f64 v[20:21], v[24:25], s[8:9], -v[42:43]
	v_fmac_f64_e32 v[36:37], 0x3fdbcb7b1526e50e, v[22:23]
	s_delay_alu instid0(VALU_DEP_4) | instskip(NEXT) | instid1(VALU_DEP_4)
	v_fma_f64 v[22:23], v[56:57], s[8:9], -v[54:55]
	v_fmac_f64_e32 v[44:45], 0x3c695355baaafad3, v[38:39]
	s_delay_alu instid0(VALU_DEP_4)
	v_fmac_f64_e32 v[20:21], 0x3fdbcb7b1526e50e, v[16:17]
	v_add_f64_e32 v[16:17], v[52:53], v[26:27]
	v_add_f64_e32 v[38:39], v[34:35], v[30:31]
	v_fmac_f64_e32 v[36:37], 0x3c695355baaafad3, v[48:49]
	v_fmac_f64_e32 v[22:23], 0x3fdbcb7b1526e50e, v[18:19]
	v_add_f64_e32 v[18:19], v[58:59], v[28:29]
	v_add_f64_e32 v[48:49], v[32:33], v[40:41]
	v_fmac_f64_e32 v[20:21], 0x3c695355baaafad3, v[24:25]
	v_add_f64_e64 v[52:53], v[16:17], -v[52:53]
	v_add_f64_e64 v[34:35], v[38:39], -v[34:35]
	v_add_f64_e32 v[24:25], v[46:47], v[44:45]
	v_fmac_f64_e32 v[22:23], 0x3c695355baaafad3, v[56:57]
	v_add_f64_e64 v[58:59], v[18:19], -v[58:59]
	v_add_f64_e64 v[32:33], v[48:49], -v[32:33]
	v_add_f64_e32 v[56:57], v[50:51], v[36:37]
	v_add_f64_e64 v[26:27], v[26:27], -v[52:53]
	v_add_f64_e64 v[30:31], v[30:31], -v[34:35]
	v_add_f64_e32 v[34:35], v[42:43], v[20:21]
	v_add_f64_e32 v[52:53], v[54:55], v[22:23]
	v_add_f64_e64 v[28:29], v[28:29], -v[58:59]
	v_add_f64_e64 v[46:47], v[24:25], -v[46:47]
	v_add_f64_e32 v[58:59], v[16:17], v[24:25]
	v_add_f64_e64 v[32:33], v[40:41], -v[32:33]
	v_add_f64_e64 v[40:41], v[56:57], -v[50:51]
	v_add_f64_e32 v[50:51], v[18:19], v[56:57]
	v_add_f64_e64 v[42:43], v[34:35], -v[42:43]
	v_add_f64_e64 v[54:55], v[52:53], -v[54:55]
	v_add_f64_e64 v[44:45], v[44:45], -v[46:47]
	v_add_f64_e64 v[46:47], v[58:59], -v[16:17]
	;; [unrolled: 1-line block ×6, first 2 shown]
	v_add_f64_e32 v[54:55], v[38:39], v[34:35]
	v_add_f64_e64 v[42:43], v[58:59], -v[46:47]
	v_add_f64_e64 v[24:25], v[24:25], -v[46:47]
	;; [unrolled: 1-line block ×4, first 2 shown]
	v_add_f64_e32 v[56:57], v[48:49], v[52:53]
	v_add_f64_e64 v[16:17], v[16:17], -v[42:43]
	v_add_f64_e64 v[42:43], v[54:55], -v[38:39]
	;; [unrolled: 1-line block ×3, first 2 shown]
	s_delay_alu instid0(VALU_DEP_4) | instskip(NEXT) | instid1(VALU_DEP_4)
	v_add_f64_e64 v[46:47], v[56:57], -v[48:49]
	v_add_f64_e32 v[16:17], v[24:25], v[16:17]
	s_delay_alu instid0(VALU_DEP_4)
	v_add_f64_e64 v[34:35], v[34:35], -v[42:43]
	v_add_f64_e64 v[42:43], v[54:55], -v[42:43]
	v_add_f64_e32 v[18:19], v[40:41], v[18:19]
	v_add_f64_e32 v[40:41], v[30:31], v[20:21]
	v_add_f64_e64 v[52:53], v[52:53], -v[46:47]
	v_add_f64_e64 v[46:47], v[56:57], -v[46:47]
	;; [unrolled: 1-line block ×3, first 2 shown]
	v_add_f64_e32 v[42:43], v[26:27], v[44:45]
	s_delay_alu instid0(VALU_DEP_3) | instskip(SKIP_1) | instid1(VALU_DEP_4)
	v_add_f64_e64 v[46:47], v[48:49], -v[46:47]
	v_add_f64_e32 v[48:49], v[28:29], v[36:37]
	v_add_f64_e32 v[34:35], v[34:35], v[38:39]
	s_delay_alu instid0(VALU_DEP_4)
	v_add_f64_e64 v[24:25], v[42:43], -v[26:27]
	v_add_f64_e32 v[16:17], v[42:43], v[16:17]
	v_add_f64_e32 v[46:47], v[52:53], v[46:47]
	v_add_f64_e64 v[38:39], v[48:49], -v[28:29]
	v_add_f64_e32 v[52:53], v[32:33], v[22:23]
	v_add_f64_e32 v[18:19], v[48:49], v[18:19]
	;; [unrolled: 1-line block ×3, first 2 shown]
	v_add_f64_e64 v[44:45], v[44:45], -v[24:25]
	v_add_f64_e64 v[24:25], v[42:43], -v[24:25]
	;; [unrolled: 1-line block ×6, first 2 shown]
	v_add_f64_e32 v[46:47], v[52:53], v[46:47]
	v_add_f64_e64 v[24:25], v[26:27], -v[24:25]
	v_add_f64_e64 v[40:41], v[40:41], -v[42:43]
	;; [unrolled: 1-line block ×3, first 2 shown]
	v_add_f64_e32 v[26:27], v[54:55], v[34:35]
	v_add_f64_e64 v[28:29], v[28:29], -v[38:39]
	v_add_f64_e64 v[42:43], v[52:53], -v[48:49]
	v_add_f64_e32 v[52:53], v[58:59], v[16:17]
	v_add_f64_e64 v[22:23], v[22:23], -v[48:49]
	v_add_f64_e32 v[48:49], v[50:51], v[18:19]
	v_add_f64_e32 v[38:39], v[56:57], v[46:47]
	;; [unrolled: 1-line block ×3, first 2 shown]
	v_add_f64_e64 v[30:31], v[30:31], -v[40:41]
	v_add_f64_e64 v[40:41], v[26:27], -v[54:55]
	v_add_f64_e32 v[28:29], v[36:37], v[28:29]
	v_add_f64_e64 v[32:33], v[32:33], -v[42:43]
	v_add_f64_e64 v[58:59], v[52:53], -v[58:59]
	;; [unrolled: 1-line block ×4, first 2 shown]
	v_add_f64_e32 v[20:21], v[20:21], v[30:31]
	v_add_f64_e64 v[30:31], v[34:35], -v[40:41]
	v_add_f64_e32 v[22:23], v[22:23], v[32:33]
	v_add_f64_e64 v[16:17], v[16:17], -v[58:59]
	v_add_f64_e64 v[18:19], v[18:19], -v[50:51]
	;; [unrolled: 1-line block ×3, first 2 shown]
	v_add_f64_e32 v[20:21], v[20:21], v[30:31]
	s_delay_alu instid0(VALU_DEP_4)
	v_add_f64_e32 v[16:17], v[24:25], v[16:17]
	v_lshlrev_b64_e32 v[24:25], 2, v[0:1]
	v_add_f64_e32 v[18:19], v[28:29], v[18:19]
	v_add_f64_e32 v[22:23], v[22:23], v[32:33]
	;; [unrolled: 1-line block ×4, first 2 shown]
	s_delay_alu instid0(VALU_DEP_4) | instskip(NEXT) | instid1(VALU_DEP_4)
	v_add_f64_e32 v[18:19], v[48:49], v[18:19]
	v_add_f64_e32 v[22:23], v[38:39], v[22:23]
	s_delay_alu instid0(VALU_DEP_4) | instskip(NEXT) | instid1(VALU_DEP_4)
	v_dual_cndmask_b32 v21, v21, v3, s1 :: v_dual_cndmask_b32 v20, v20, v2, s1
	v_dual_cndmask_b32 v16, v16, v6 :: v_dual_cndmask_b32 v17, v17, v7
	v_cmp_ngt_f64_e32 vcc_lo, 0, v[6:7]
	v_dual_cndmask_b32 v19, v19, v9, s0 :: v_dual_cndmask_b32 v18, v18, v8, s0
	v_dual_cndmask_b32 v23, v23, v5, s2 :: v_dual_cndmask_b32 v22, v22, v4, s2
	s_delay_alu instid0(VALU_DEP_4)
	v_cndmask_b32_e32 v17, 0x7ff80000, v17, vcc_lo
	v_cmp_nge_f64_e32 vcc_lo, 0, v[6:7]
	v_cndmask_b32_e32 v16, 0, v16, vcc_lo
	v_cmp_ngt_f64_e32 vcc_lo, 0, v[8:9]
	v_cndmask_b32_e32 v19, 0x7ff80000, v19, vcc_lo
	v_cmp_nge_f64_e32 vcc_lo, 0, v[8:9]
	v_cndmask_b32_e32 v18, 0, v18, vcc_lo
	v_cmp_ngt_f64_e32 vcc_lo, 0, v[2:3]
	;; [unrolled: 4-line block ×3, first 2 shown]
	v_cndmask_b32_e32 v23, 0x7ff80000, v23, vcc_lo
	v_cmp_nge_f64_e32 vcc_lo, 0, v[4:5]
	v_cndmask_b32_e32 v22, 0, v22, vcc_lo
	v_cmp_neq_f64_e32 vcc_lo, 0, v[6:7]
	v_cndmask_b32_e32 v17, 0xfff00000, v17, vcc_lo
	v_cmp_neq_f64_e32 vcc_lo, 0, v[8:9]
	;; [unrolled: 2-line block ×4, first 2 shown]
	v_cndmask_b32_e32 v23, 0xfff00000, v23, vcc_lo
	v_cmp_ge_i64_e32 vcc_lo, v[24:25], v[10:11]
	s_clause 0x1
	global_store_b128 v[14:15], v[16:19], off offset:-16
	global_store_b128 v[14:15], v[20:23], off
	s_wait_xcnt 0x0
	v_add_nc_u64_e32 v[14:15], s[12:13], v[14:15]
	s_or_b32 s3, vcc_lo, s3
	s_delay_alu instid0(SALU_CYCLE_1)
	s_and_not1_b32 exec_lo, exec_lo, s3
	s_cbranch_execnz .LBB183_24
.LBB183_25:
	s_endpgm
	.section	.rodata,"a",@progbits
	.p2align	6, 0x0
	.amdhsa_kernel _ZN2at6native12_GLOBAL__N_125multi_tensor_apply_kernelINS1_18TensorListMetadataILi1EEENS1_14UnaryOpFunctorIdLi1ELi1ELi0EEEJNS0_5Log10IdEEEEEvT_T0_DpT1_
		.amdhsa_group_segment_fixed_size 0
		.amdhsa_private_segment_fixed_size 0
		.amdhsa_kernarg_size 3632
		.amdhsa_user_sgpr_count 2
		.amdhsa_user_sgpr_dispatch_ptr 0
		.amdhsa_user_sgpr_queue_ptr 0
		.amdhsa_user_sgpr_kernarg_segment_ptr 1
		.amdhsa_user_sgpr_dispatch_id 0
		.amdhsa_user_sgpr_kernarg_preload_length 0
		.amdhsa_user_sgpr_kernarg_preload_offset 0
		.amdhsa_user_sgpr_private_segment_size 0
		.amdhsa_wavefront_size32 1
		.amdhsa_uses_dynamic_stack 0
		.amdhsa_enable_private_segment 0
		.amdhsa_system_sgpr_workgroup_id_x 1
		.amdhsa_system_sgpr_workgroup_id_y 0
		.amdhsa_system_sgpr_workgroup_id_z 0
		.amdhsa_system_sgpr_workgroup_info 0
		.amdhsa_system_vgpr_workitem_id 0
		.amdhsa_next_free_vgpr 60
		.amdhsa_next_free_sgpr 28
		.amdhsa_named_barrier_count 0
		.amdhsa_reserve_vcc 1
		.amdhsa_float_round_mode_32 0
		.amdhsa_float_round_mode_16_64 0
		.amdhsa_float_denorm_mode_32 3
		.amdhsa_float_denorm_mode_16_64 3
		.amdhsa_fp16_overflow 0
		.amdhsa_memory_ordered 1
		.amdhsa_forward_progress 1
		.amdhsa_inst_pref_size 54
		.amdhsa_round_robin_scheduling 0
		.amdhsa_exception_fp_ieee_invalid_op 0
		.amdhsa_exception_fp_denorm_src 0
		.amdhsa_exception_fp_ieee_div_zero 0
		.amdhsa_exception_fp_ieee_overflow 0
		.amdhsa_exception_fp_ieee_underflow 0
		.amdhsa_exception_fp_ieee_inexact 0
		.amdhsa_exception_int_div_zero 0
	.end_amdhsa_kernel
	.section	.text._ZN2at6native12_GLOBAL__N_125multi_tensor_apply_kernelINS1_18TensorListMetadataILi1EEENS1_14UnaryOpFunctorIdLi1ELi1ELi0EEEJNS0_5Log10IdEEEEEvT_T0_DpT1_,"axG",@progbits,_ZN2at6native12_GLOBAL__N_125multi_tensor_apply_kernelINS1_18TensorListMetadataILi1EEENS1_14UnaryOpFunctorIdLi1ELi1ELi0EEEJNS0_5Log10IdEEEEEvT_T0_DpT1_,comdat
.Lfunc_end183:
	.size	_ZN2at6native12_GLOBAL__N_125multi_tensor_apply_kernelINS1_18TensorListMetadataILi1EEENS1_14UnaryOpFunctorIdLi1ELi1ELi0EEEJNS0_5Log10IdEEEEEvT_T0_DpT1_, .Lfunc_end183-_ZN2at6native12_GLOBAL__N_125multi_tensor_apply_kernelINS1_18TensorListMetadataILi1EEENS1_14UnaryOpFunctorIdLi1ELi1ELi0EEEJNS0_5Log10IdEEEEEvT_T0_DpT1_
                                        ; -- End function
	.set _ZN2at6native12_GLOBAL__N_125multi_tensor_apply_kernelINS1_18TensorListMetadataILi1EEENS1_14UnaryOpFunctorIdLi1ELi1ELi0EEEJNS0_5Log10IdEEEEEvT_T0_DpT1_.num_vgpr, 60
	.set _ZN2at6native12_GLOBAL__N_125multi_tensor_apply_kernelINS1_18TensorListMetadataILi1EEENS1_14UnaryOpFunctorIdLi1ELi1ELi0EEEJNS0_5Log10IdEEEEEvT_T0_DpT1_.num_agpr, 0
	.set _ZN2at6native12_GLOBAL__N_125multi_tensor_apply_kernelINS1_18TensorListMetadataILi1EEENS1_14UnaryOpFunctorIdLi1ELi1ELi0EEEJNS0_5Log10IdEEEEEvT_T0_DpT1_.numbered_sgpr, 28
	.set _ZN2at6native12_GLOBAL__N_125multi_tensor_apply_kernelINS1_18TensorListMetadataILi1EEENS1_14UnaryOpFunctorIdLi1ELi1ELi0EEEJNS0_5Log10IdEEEEEvT_T0_DpT1_.num_named_barrier, 0
	.set _ZN2at6native12_GLOBAL__N_125multi_tensor_apply_kernelINS1_18TensorListMetadataILi1EEENS1_14UnaryOpFunctorIdLi1ELi1ELi0EEEJNS0_5Log10IdEEEEEvT_T0_DpT1_.private_seg_size, 0
	.set _ZN2at6native12_GLOBAL__N_125multi_tensor_apply_kernelINS1_18TensorListMetadataILi1EEENS1_14UnaryOpFunctorIdLi1ELi1ELi0EEEJNS0_5Log10IdEEEEEvT_T0_DpT1_.uses_vcc, 1
	.set _ZN2at6native12_GLOBAL__N_125multi_tensor_apply_kernelINS1_18TensorListMetadataILi1EEENS1_14UnaryOpFunctorIdLi1ELi1ELi0EEEJNS0_5Log10IdEEEEEvT_T0_DpT1_.uses_flat_scratch, 0
	.set _ZN2at6native12_GLOBAL__N_125multi_tensor_apply_kernelINS1_18TensorListMetadataILi1EEENS1_14UnaryOpFunctorIdLi1ELi1ELi0EEEJNS0_5Log10IdEEEEEvT_T0_DpT1_.has_dyn_sized_stack, 0
	.set _ZN2at6native12_GLOBAL__N_125multi_tensor_apply_kernelINS1_18TensorListMetadataILi1EEENS1_14UnaryOpFunctorIdLi1ELi1ELi0EEEJNS0_5Log10IdEEEEEvT_T0_DpT1_.has_recursion, 0
	.set _ZN2at6native12_GLOBAL__N_125multi_tensor_apply_kernelINS1_18TensorListMetadataILi1EEENS1_14UnaryOpFunctorIdLi1ELi1ELi0EEEJNS0_5Log10IdEEEEEvT_T0_DpT1_.has_indirect_call, 0
	.section	.AMDGPU.csdata,"",@progbits
; Kernel info:
; codeLenInByte = 6820
; TotalNumSgprs: 30
; NumVgprs: 60
; ScratchSize: 0
; MemoryBound: 0
; FloatMode: 240
; IeeeMode: 1
; LDSByteSize: 0 bytes/workgroup (compile time only)
; SGPRBlocks: 0
; VGPRBlocks: 3
; NumSGPRsForWavesPerEU: 30
; NumVGPRsForWavesPerEU: 60
; NamedBarCnt: 0
; Occupancy: 16
; WaveLimiterHint : 0
; COMPUTE_PGM_RSRC2:SCRATCH_EN: 0
; COMPUTE_PGM_RSRC2:USER_SGPR: 2
; COMPUTE_PGM_RSRC2:TRAP_HANDLER: 0
; COMPUTE_PGM_RSRC2:TGID_X_EN: 1
; COMPUTE_PGM_RSRC2:TGID_Y_EN: 0
; COMPUTE_PGM_RSRC2:TGID_Z_EN: 0
; COMPUTE_PGM_RSRC2:TIDIG_COMP_CNT: 0
	.section	.text._ZN2at6native12_GLOBAL__N_125multi_tensor_apply_kernelINS1_18TensorListMetadataILi1EEENS1_14UnaryOpFunctorIfLi1ELi1ELi0EEEJNS0_5Log10IfEEEEEvT_T0_DpT1_,"axG",@progbits,_ZN2at6native12_GLOBAL__N_125multi_tensor_apply_kernelINS1_18TensorListMetadataILi1EEENS1_14UnaryOpFunctorIfLi1ELi1ELi0EEEJNS0_5Log10IfEEEEEvT_T0_DpT1_,comdat
	.globl	_ZN2at6native12_GLOBAL__N_125multi_tensor_apply_kernelINS1_18TensorListMetadataILi1EEENS1_14UnaryOpFunctorIfLi1ELi1ELi0EEEJNS0_5Log10IfEEEEEvT_T0_DpT1_ ; -- Begin function _ZN2at6native12_GLOBAL__N_125multi_tensor_apply_kernelINS1_18TensorListMetadataILi1EEENS1_14UnaryOpFunctorIfLi1ELi1ELi0EEEJNS0_5Log10IfEEEEEvT_T0_DpT1_
	.p2align	8
	.type	_ZN2at6native12_GLOBAL__N_125multi_tensor_apply_kernelINS1_18TensorListMetadataILi1EEENS1_14UnaryOpFunctorIfLi1ELi1ELi0EEEJNS0_5Log10IfEEEEEvT_T0_DpT1_,@function
_ZN2at6native12_GLOBAL__N_125multi_tensor_apply_kernelINS1_18TensorListMetadataILi1EEENS1_14UnaryOpFunctorIfLi1ELi1ELi0EEEJNS0_5Log10IfEEEEEvT_T0_DpT1_: ; @_ZN2at6native12_GLOBAL__N_125multi_tensor_apply_kernelINS1_18TensorListMetadataILi1EEENS1_14UnaryOpFunctorIfLi1ELi1ELi0EEEJNS0_5Log10IfEEEEEvT_T0_DpT1_
; %bb.0:
	s_bfe_u32 s2, ttmp6, 0x4000c
	s_and_b32 s3, ttmp6, 15
	s_add_co_i32 s2, s2, 1
	s_getreg_b32 s4, hwreg(HW_REG_IB_STS2, 6, 4)
	s_mul_i32 s2, ttmp9, s2
	s_delay_alu instid0(SALU_CYCLE_1)
	s_add_co_i32 s3, s3, s2
	s_cmp_eq_u32 s4, 0
	s_cselect_b32 s2, ttmp9, s3
	s_mov_b32 s3, 0
	s_load_u8 s10, s[0:1], s2 offset:0x6e0
	s_add_nc_u64 s[4:5], s[0:1], s[2:3]
	s_mul_u64 s[6:7], s[2:3], 3
	s_delay_alu instid0(SALU_CYCLE_1)
	s_add_nc_u64 s[4:5], s[4:5], s[6:7]
	s_load_b32 s6, s[4:5], 0x820
	s_wait_kmcnt 0x0
	s_clause 0x1
	s_load_b64 s[8:9], s[0:1], s10 offset:0x0 scale_offset
	s_load_b64 s[12:13], s[0:1], s10 offset:0x370 scale_offset
	s_ashr_i32 s7, s6, 31
	s_wait_kmcnt 0x0
	s_and_b64 s[4:5], s[8:9], 15
	s_and_b32 s2, s12, 3
	s_lshl_b64 s[10:11], s[6:7], 18
	s_or_b64 s[2:3], s[4:5], s[2:3]
	s_lshl_b64 s[4:5], s[6:7], 16
	s_cmp_eq_u64 s[2:3], 0
	s_sub_nc_u64 s[6:7], s[12:13], s[4:5]
	s_cbranch_scc1 .LBB184_21
; %bb.1:
	v_cmp_lt_i64_e64 s2, s[6:7], 1
	s_and_b32 vcc_lo, exec_lo, s2
	s_cbranch_vccnz .LBB184_20
; %bb.2:
	s_load_b32 s4, s[0:1], 0xd3c
	v_min_i64 v[2:3], 0x10000, s[6:7]
	v_min_u64 v[4:5], 0x10000, s[6:7]
	v_dual_mov_b32 v1, 0 :: v_dual_lshlrev_b32 v8, 2, v0
	s_mov_b32 s19, 0
	s_add_nc_u64 s[2:3], s[8:9], s[10:11]
	s_mov_b32 s5, s19
	s_delay_alu instid0(VALU_DEP_1)
	v_mov_b32_e32 v15, v1
	s_mov_b32 s17, s19
	s_mov_b32 s13, s19
	s_mov_b32 s15, s19
	s_mov_b64 s[20:21], 0
	s_wait_kmcnt 0x0
	s_and_b32 s18, s4, 0xffff
	s_delay_alu instid0(SALU_CYCLE_1)
	v_add_nc_u64_e32 v[6:7], s[18:19], v[0:1]
	v_mov_b32_e32 v9, v1
	s_lshl_b32 s4, s18, 1
	s_mul_i32 s16, s18, 3
	v_add_nc_u64_e32 v[12:13], s[4:5], v[0:1]
	v_add_nc_u64_e32 v[10:11], s[16:17], v[0:1]
	s_lshl_b32 s12, s18, 2
	v_lshlrev_b32_e32 v14, 2, v6
	v_add_nc_u64_e32 v[8:9], s[2:3], v[8:9]
	s_lshl_b32 s14, s18, 4
	s_mul_u64 s[16:17], s[18:19], 12
	s_lshl_b32 s18, s18, 3
	v_add_nc_u64_e32 v[14:15], s[2:3], v[14:15]
	s_branch .LBB184_4
.LBB184_3:                              ;   in Loop: Header=BB184_4 Depth=1
	s_wait_xcnt 0x0
	s_or_b32 exec_lo, exec_lo, s3
	s_add_nc_u64 s[20:21], s[20:21], s[12:13]
	v_add_nc_u64_e32 v[8:9], s[14:15], v[8:9]
	v_cmp_lt_i64_e32 vcc_lo, s[20:21], v[2:3]
	v_add_nc_u64_e32 v[14:15], s[14:15], v[14:15]
	s_cbranch_vccz .LBB184_20
.LBB184_4:                              ; =>This Inner Loop Header: Depth=1
	v_add_nc_u64_e32 v[16:17], s[20:21], v[0:1]
	s_wait_loadcnt 0x0
	v_mov_b32_e32 v23, 0
	s_delay_alu instid0(VALU_DEP_2)
	v_cmp_lt_u64_e64 s4, v[16:17], v[4:5]
	s_and_saveexec_b32 s2, s4
	s_cbranch_execz .LBB184_6
; %bb.5:                                ;   in Loop: Header=BB184_4 Depth=1
	global_load_b32 v23, v[8:9], off
.LBB184_6:                              ;   in Loop: Header=BB184_4 Depth=1
	s_wait_xcnt 0x0
	s_or_b32 exec_lo, exec_lo, s2
	v_add_nc_u64_e32 v[16:17], s[20:21], v[6:7]
	v_dual_mov_b32 v20, 0 :: v_dual_mov_b32 v22, 0
	s_delay_alu instid0(VALU_DEP_2)
	v_cmp_lt_u64_e64 s3, v[16:17], v[4:5]
	s_and_saveexec_b32 s2, s3
	s_cbranch_execz .LBB184_8
; %bb.7:                                ;   in Loop: Header=BB184_4 Depth=1
	global_load_b32 v22, v[14:15], off
.LBB184_8:                              ;   in Loop: Header=BB184_4 Depth=1
	s_wait_xcnt 0x0
	s_or_b32 exec_lo, exec_lo, s2
	v_add_nc_u64_e32 v[16:17], s[20:21], v[12:13]
	v_add_nc_u64_e32 v[18:19], s[18:19], v[8:9]
	s_delay_alu instid0(VALU_DEP_2)
	v_cmp_lt_u64_e64 s2, v[16:17], v[4:5]
	s_and_saveexec_b32 s5, s2
	s_cbranch_execz .LBB184_10
; %bb.9:                                ;   in Loop: Header=BB184_4 Depth=1
	global_load_b32 v20, v[18:19], off
.LBB184_10:                             ;   in Loop: Header=BB184_4 Depth=1
	s_wait_xcnt 0x0
	s_or_b32 exec_lo, exec_lo, s5
	v_add_nc_u64_e32 v[16:17], s[20:21], v[10:11]
	v_mov_b32_e32 v21, 0
	s_delay_alu instid0(VALU_DEP_2)
	v_cmp_lt_u64_e32 vcc_lo, v[16:17], v[4:5]
	v_add_nc_u64_e32 v[16:17], s[16:17], v[8:9]
	s_and_saveexec_b32 s5, vcc_lo
	s_cbranch_execnz .LBB184_15
; %bb.11:                               ;   in Loop: Header=BB184_4 Depth=1
	s_or_b32 exec_lo, exec_lo, s5
	s_and_saveexec_b32 s22, s4
	s_cbranch_execnz .LBB184_16
.LBB184_12:                             ;   in Loop: Header=BB184_4 Depth=1
	s_or_b32 exec_lo, exec_lo, s22
	s_and_saveexec_b32 s5, s3
	s_cbranch_execnz .LBB184_17
.LBB184_13:                             ;   in Loop: Header=BB184_4 Depth=1
	s_or_b32 exec_lo, exec_lo, s5
	s_and_saveexec_b32 s4, s2
	s_cbranch_execnz .LBB184_18
.LBB184_14:                             ;   in Loop: Header=BB184_4 Depth=1
	s_or_b32 exec_lo, exec_lo, s4
	s_and_saveexec_b32 s3, vcc_lo
	s_cbranch_execz .LBB184_3
	s_branch .LBB184_19
.LBB184_15:                             ;   in Loop: Header=BB184_4 Depth=1
	global_load_b32 v21, v[16:17], off
	s_wait_xcnt 0x0
	s_or_b32 exec_lo, exec_lo, s5
	s_and_saveexec_b32 s22, s4
	s_cbranch_execz .LBB184_12
.LBB184_16:                             ;   in Loop: Header=BB184_4 Depth=1
	s_wait_loadcnt 0x0
	v_cmp_gt_f32_e64 s4, 0x800000, v23
	s_delay_alu instid0(VALU_DEP_1) | instskip(NEXT) | instid1(VALU_DEP_1)
	v_cndmask_b32_e64 v24, 0, 32, s4
	v_ldexp_f32 v23, v23, v24
	s_delay_alu instid0(VALU_DEP_1) | instskip(SKIP_1) | instid1(TRANS32_DEP_1)
	v_log_f32_e32 v23, v23
	v_nop
	v_mul_f32_e32 v24, 0x3e9a209a, v23
	v_cmp_gt_f32_e64 s5, 0x7f800000, |v23|
	s_delay_alu instid0(VALU_DEP_2) | instskip(NEXT) | instid1(VALU_DEP_1)
	v_fma_f32 v24, 0x3e9a209a, v23, -v24
	v_fmac_f32_e32 v24, 0x3284fbcf, v23
	s_delay_alu instid0(VALU_DEP_1) | instskip(NEXT) | instid1(VALU_DEP_1)
	v_fmac_f32_e32 v24, 0x3e9a209a, v23
	v_cndmask_b32_e64 v23, v23, v24, s5
	v_cndmask_b32_e64 v24, 0, 0x411a209b, s4
	s_delay_alu instid0(VALU_DEP_1)
	v_sub_f32_e32 v23, v23, v24
	global_store_b32 v[8:9], v23, off
	s_wait_xcnt 0x0
	s_or_b32 exec_lo, exec_lo, s22
	s_and_saveexec_b32 s5, s3
	s_cbranch_execz .LBB184_13
.LBB184_17:                             ;   in Loop: Header=BB184_4 Depth=1
	s_wait_loadcnt 0x0
	v_cmp_gt_f32_e64 s3, 0x800000, v22
	s_delay_alu instid0(VALU_DEP_1) | instskip(NEXT) | instid1(VALU_DEP_1)
	v_cndmask_b32_e64 v23, 0, 32, s3
	v_ldexp_f32 v22, v22, v23
	s_delay_alu instid0(VALU_DEP_1) | instskip(SKIP_1) | instid1(TRANS32_DEP_1)
	v_log_f32_e32 v22, v22
	v_nop
	v_mul_f32_e32 v23, 0x3e9a209a, v22
	v_cmp_gt_f32_e64 s4, 0x7f800000, |v22|
	s_delay_alu instid0(VALU_DEP_2) | instskip(NEXT) | instid1(VALU_DEP_1)
	v_fma_f32 v23, 0x3e9a209a, v22, -v23
	v_fmac_f32_e32 v23, 0x3284fbcf, v22
	s_delay_alu instid0(VALU_DEP_1) | instskip(NEXT) | instid1(VALU_DEP_1)
	v_fmac_f32_e32 v23, 0x3e9a209a, v22
	v_cndmask_b32_e64 v22, v22, v23, s4
	v_cndmask_b32_e64 v23, 0, 0x411a209b, s3
	s_delay_alu instid0(VALU_DEP_1)
	v_sub_f32_e32 v22, v22, v23
	global_store_b32 v[14:15], v22, off
	s_wait_xcnt 0x0
	s_or_b32 exec_lo, exec_lo, s5
	s_and_saveexec_b32 s4, s2
	s_cbranch_execz .LBB184_14
.LBB184_18:                             ;   in Loop: Header=BB184_4 Depth=1
	s_wait_loadcnt 0x0
	v_cmp_gt_f32_e64 s2, 0x800000, v20
	s_delay_alu instid0(VALU_DEP_1) | instskip(NEXT) | instid1(VALU_DEP_1)
	v_cndmask_b32_e64 v22, 0, 32, s2
	v_ldexp_f32 v20, v20, v22
	s_delay_alu instid0(VALU_DEP_1) | instskip(SKIP_1) | instid1(TRANS32_DEP_1)
	v_log_f32_e32 v20, v20
	v_nop
	v_mul_f32_e32 v22, 0x3e9a209a, v20
	v_cmp_gt_f32_e64 s3, 0x7f800000, |v20|
	s_delay_alu instid0(VALU_DEP_2) | instskip(NEXT) | instid1(VALU_DEP_1)
	v_fma_f32 v22, 0x3e9a209a, v20, -v22
	v_fmac_f32_e32 v22, 0x3284fbcf, v20
	s_delay_alu instid0(VALU_DEP_1) | instskip(NEXT) | instid1(VALU_DEP_1)
	v_fmac_f32_e32 v22, 0x3e9a209a, v20
	v_cndmask_b32_e64 v20, v20, v22, s3
	v_cndmask_b32_e64 v22, 0, 0x411a209b, s2
	s_delay_alu instid0(VALU_DEP_1)
	v_sub_f32_e32 v20, v20, v22
	global_store_b32 v[18:19], v20, off
	s_wait_xcnt 0x0
	s_or_b32 exec_lo, exec_lo, s4
	s_and_saveexec_b32 s3, vcc_lo
	s_cbranch_execz .LBB184_3
.LBB184_19:                             ;   in Loop: Header=BB184_4 Depth=1
	s_wait_loadcnt 0x0
	v_cmp_gt_f32_e32 vcc_lo, 0x800000, v21
	v_cndmask_b32_e64 v18, 0, 32, vcc_lo
	s_delay_alu instid0(VALU_DEP_1) | instskip(NEXT) | instid1(VALU_DEP_1)
	v_ldexp_f32 v18, v21, v18
	v_log_f32_e32 v18, v18
	v_nop
	s_delay_alu instid0(TRANS32_DEP_1) | instskip(SKIP_1) | instid1(VALU_DEP_2)
	v_mul_f32_e32 v19, 0x3e9a209a, v18
	v_cmp_gt_f32_e64 s2, 0x7f800000, |v18|
	v_fma_f32 v19, 0x3e9a209a, v18, -v19
	s_delay_alu instid0(VALU_DEP_1) | instskip(NEXT) | instid1(VALU_DEP_1)
	v_fmac_f32_e32 v19, 0x3284fbcf, v18
	v_fmac_f32_e32 v19, 0x3e9a209a, v18
	s_delay_alu instid0(VALU_DEP_1) | instskip(SKIP_1) | instid1(VALU_DEP_1)
	v_cndmask_b32_e64 v18, v18, v19, s2
	v_cndmask_b32_e64 v19, 0, 0x411a209b, vcc_lo
	v_sub_f32_e32 v18, v18, v19
	global_store_b32 v[16:17], v18, off
	s_branch .LBB184_3
.LBB184_20:
	s_cbranch_execz .LBB184_22
	s_branch .LBB184_30
.LBB184_21:
.LBB184_22:
	v_min_i64 v[2:3], 0x10000, s[6:7]
	v_dual_mov_b32 v5, 0 :: v_dual_lshlrev_b32 v4, 2, v0
	s_mov_b32 s2, exec_lo
	s_delay_alu instid0(VALU_DEP_1)
	v_cmpx_lt_i64_e64 v[4:5], v[2:3]
	s_cbranch_execz .LBB184_30
; %bb.23:
	v_dual_mov_b32 v7, v5 :: v_dual_add_nc_u32 v6, 4, v4
	s_mov_b32 s7, 0
	s_load_b32 s0, s[0:1], 0xd3c
	v_dual_mov_b32 v1, v5 :: v_dual_mov_b32 v9, s7
	s_delay_alu instid0(VALU_DEP_2) | instskip(SKIP_2) | instid1(SALU_CYCLE_1)
	v_max_i64 v[6:7], v[2:3], v[6:7]
	s_wait_kmcnt 0x0
	s_and_b32 s12, s0, 0xffff
	s_cmp_eq_u32 s12, 1
	s_cselect_b32 s0, -1, 0
	s_delay_alu instid0(VALU_DEP_1) | instskip(NEXT) | instid1(VALU_DEP_1)
	v_add_nc_u64_e32 v[6:7], -4, v[6:7]
	v_cmp_ne_u64_e32 vcc_lo, v[6:7], v[4:5]
	v_cndmask_b32_e64 v8, 0, 1, vcc_lo
	s_delay_alu instid0(VALU_DEP_1) | instskip(NEXT) | instid1(VALU_DEP_1)
	v_or_b32_e32 v4, v4, v8
	v_sub_nc_u64_e32 v[6:7], v[6:7], v[4:5]
	s_delay_alu instid0(VALU_DEP_1) | instskip(NEXT) | instid1(VALU_DEP_1)
	v_lshrrev_b64 v[6:7], 2, v[6:7]
	v_add_nc_u64_e32 v[6:7], v[6:7], v[8:9]
	s_delay_alu instid0(VALU_DEP_1)
	v_cmp_ne_u64_e32 vcc_lo, 0, v[6:7]
	s_and_b32 s1, vcc_lo, s0
	s_mov_b32 s0, -1
	s_and_saveexec_b32 s13, s1
	s_cbranch_execz .LBB184_27
; %bb.24:
	v_dual_mov_b32 v9, 0 :: v_dual_lshlrev_b32 v8, 4, v0
	v_add_nc_u64_e32 v[4:5], 1, v[6:7]
	s_add_nc_u64 s[0:1], s[8:9], s[10:11]
	s_delay_alu instid0(VALU_DEP_2) | instid1(SALU_CYCLE_1)
	v_add_nc_u64_e32 v[8:9], s[0:1], v[8:9]
	s_delay_alu instid0(VALU_DEP_2) | instskip(NEXT) | instid1(VALU_DEP_2)
	v_dual_mov_b32 v7, v5 :: v_dual_bitop2_b32 v6, -2, v4 bitop3:0x40
	v_add_nc_u64_e32 v[8:9], 28, v[8:9]
	s_delay_alu instid0(VALU_DEP_2)
	v_mov_b64_e32 v[10:11], v[6:7]
.LBB184_25:                             ; =>This Inner Loop Header: Depth=1
	s_clause 0x1
	global_load_b128 v[12:15], v[8:9], off offset:-12
	global_load_b128 v[16:19], v[8:9], off offset:-28
	v_add_nc_u64_e32 v[10:11], -2, v[10:11]
	s_wait_loadcnt 0x1
	v_cmp_gt_f32_e32 vcc_lo, 0x800000, v12
	s_wait_loadcnt 0x0
	v_cmp_gt_f32_e64 s0, 0x800000, v16
	v_cmp_gt_f32_e64 s1, 0x800000, v13
	;; [unrolled: 1-line block ×4, first 2 shown]
	v_cndmask_b32_e64 v20, 0, 32, vcc_lo
	v_cndmask_b32_e64 v21, 0, 32, s0
	v_cndmask_b32_e64 v22, 0, 32, s1
	;; [unrolled: 1-line block ×4, first 2 shown]
	v_ldexp_f32 v12, v12, v20
	v_ldexp_f32 v16, v16, v21
	;; [unrolled: 1-line block ×4, first 2 shown]
	v_cmp_gt_f32_e64 s4, 0x800000, v18
	v_log_f32_e32 v12, v12
	v_log_f32_e32 v16, v16
	;; [unrolled: 1-line block ×4, first 2 shown]
	v_cmp_gt_f32_e64 s5, 0x800000, v15
	v_cmp_gt_f32_e64 s6, 0x800000, v19
	v_cndmask_b32_e64 v25, 0, 32, s4
	v_mul_f32_e32 v28, 0x3e9a209a, v12
	s_delay_alu instid0(TRANS32_DEP_2) | instskip(NEXT) | instid1(TRANS32_DEP_1)
	v_dual_mul_f32 v29, 0x3e9a209a, v16 :: v_dual_mul_f32 v30, 0x3e9a209a, v13
	v_mul_f32_e32 v31, 0x3e9a209a, v17
	v_cndmask_b32_e64 v26, 0, 32, s5
	s_delay_alu instid0(VALU_DEP_4)
	v_fma_f32 v28, 0x3e9a209a, v12, -v28
	v_cndmask_b32_e64 v27, 0, 32, s6
	v_ldexp_f32 v14, v14, v24
	v_fma_f32 v29, 0x3e9a209a, v16, -v29
	v_fma_f32 v30, 0x3e9a209a, v13, -v30
	;; [unrolled: 1-line block ×3, first 2 shown]
	v_fmac_f32_e32 v28, 0x3284fbcf, v12
	v_ldexp_f32 v18, v18, v25
	v_ldexp_f32 v15, v15, v26
	;; [unrolled: 1-line block ×3, first 2 shown]
	v_log_f32_e32 v14, v14
	v_cndmask_b32_e64 v20, 0, 0x411a209b, vcc_lo
	v_dual_fmac_f32 v29, 0x3284fbcf, v16 :: v_dual_fmac_f32 v30, 0x3284fbcf, v13
	v_fmac_f32_e32 v31, 0x3284fbcf, v17
	v_fmac_f32_e32 v28, 0x3e9a209a, v12
	v_cmp_gt_f32_e64 vcc_lo, 0x7f800000, |v12|
	v_log_f32_e32 v18, v18
	v_log_f32_e32 v15, v15
	;; [unrolled: 1-line block ×3, first 2 shown]
	v_dual_mul_f32 v32, 0x3e9a209a, v14 :: v_dual_fmac_f32 v29, 0x3e9a209a, v16
	v_fmac_f32_e32 v30, 0x3e9a209a, v13
	v_dual_fmac_f32 v31, 0x3e9a209a, v17 :: v_dual_cndmask_b32 v12, v12, v28
	v_cmp_gt_f32_e64 vcc_lo, 0x7f800000, |v16|
	s_delay_alu instid0(TRANS32_DEP_2) | instskip(NEXT) | instid1(TRANS32_DEP_1)
	v_dual_mul_f32 v33, 0x3e9a209a, v18 :: v_dual_mul_f32 v34, 0x3e9a209a, v15
	v_mul_f32_e32 v35, 0x3e9a209a, v19
	v_fma_f32 v32, 0x3e9a209a, v14, -v32
	v_cndmask_b32_e32 v16, v16, v29, vcc_lo
	v_cmp_gt_f32_e64 vcc_lo, 0x7f800000, |v13|
	v_fma_f32 v33, 0x3e9a209a, v18, -v33
	v_fma_f32 v34, 0x3e9a209a, v15, -v34
	;; [unrolled: 1-line block ×3, first 2 shown]
	v_fmac_f32_e32 v32, 0x3284fbcf, v14
	v_cndmask_b32_e32 v13, v13, v30, vcc_lo
	v_cmp_gt_f32_e64 vcc_lo, 0x7f800000, |v17|
	v_dual_fmac_f32 v33, 0x3284fbcf, v18 :: v_dual_fmac_f32 v34, 0x3284fbcf, v15
	v_fmac_f32_e32 v35, 0x3284fbcf, v19
	v_dual_fmac_f32 v32, 0x3e9a209a, v14 :: v_dual_cndmask_b32 v17, v17, v31
	v_cmp_gt_f32_e64 vcc_lo, 0x7f800000, |v14|
	s_delay_alu instid0(VALU_DEP_4) | instskip(NEXT) | instid1(VALU_DEP_4)
	v_dual_fmac_f32 v33, 0x3e9a209a, v18 :: v_dual_fmac_f32 v34, 0x3e9a209a, v15
	v_fmac_f32_e32 v35, 0x3e9a209a, v19
	v_cndmask_b32_e64 v21, 0, 0x411a209b, s0
	v_cndmask_b32_e32 v14, v14, v32, vcc_lo
	v_cmp_gt_f32_e64 vcc_lo, 0x7f800000, |v18|
	v_cndmask_b32_e64 v23, 0, 0x411a209b, s2
	v_cndmask_b32_e64 v24, 0, 0x411a209b, s3
	;; [unrolled: 1-line block ×4, first 2 shown]
	v_cndmask_b32_e32 v18, v18, v33, vcc_lo
	v_cmp_gt_f32_e64 vcc_lo, 0x7f800000, |v15|
	v_cndmask_b32_e64 v22, 0, 0x411a209b, s1
	v_cndmask_b32_e64 v26, 0, 0x411a209b, s5
	v_dual_sub_f32 v16, v16, v21 :: v_dual_sub_f32 v17, v17, v23
	v_cndmask_b32_e32 v15, v15, v34, vcc_lo
	v_cmp_gt_f32_e64 vcc_lo, 0x7f800000, |v19|
	v_dual_sub_f32 v12, v12, v20 :: v_dual_sub_f32 v13, v13, v22
	s_delay_alu instid0(VALU_DEP_3) | instskip(SKIP_3) | instid1(VALU_DEP_3)
	v_sub_f32_e32 v15, v15, v26
	v_dual_cndmask_b32 v19, v19, v35 :: v_dual_sub_f32 v14, v14, v24
	v_sub_f32_e32 v18, v18, v25
	v_cmp_eq_u64_e32 vcc_lo, 0, v[10:11]
	v_sub_f32_e32 v19, v19, v27
	s_clause 0x1
	global_store_b128 v[8:9], v[16:19], off offset:-28
	global_store_b128 v[8:9], v[12:15], off offset:-12
	s_wait_xcnt 0x0
	v_add_nc_u64_e32 v[8:9], 32, v[8:9]
	s_or_b32 s7, vcc_lo, s7
	s_delay_alu instid0(SALU_CYCLE_1)
	s_and_not1_b32 exec_lo, exec_lo, s7
	s_cbranch_execnz .LBB184_25
; %bb.26:
	s_or_b32 exec_lo, exec_lo, s7
	v_cmp_ne_u64_e32 vcc_lo, v[4:5], v[6:7]
	v_add_nc_u64_e32 v[0:1], v[6:7], v[0:1]
	s_or_not1_b32 s0, vcc_lo, exec_lo
.LBB184_27:
	s_or_b32 exec_lo, exec_lo, s13
	s_delay_alu instid0(SALU_CYCLE_1)
	s_and_b32 exec_lo, exec_lo, s0
	s_cbranch_execz .LBB184_30
; %bb.28:
	s_add_nc_u64 s[0:1], s[8:9], s[10:11]
	s_mov_b32 s13, 0
	v_lshl_add_u64 v[4:5], v[0:1], 4, s[0:1]
	s_lshl_b32 s4, s12, 4
	s_mov_b32 s5, s13
	s_mov_b32 s3, s13
	s_delay_alu instid0(VALU_DEP_1)
	v_add_nc_u64_e32 v[4:5], 8, v[4:5]
.LBB184_29:                             ; =>This Inner Loop Header: Depth=1
	global_load_b128 v[6:9], v[4:5], off offset:-8
	v_add_nc_u64_e32 v[0:1], s[12:13], v[0:1]
	s_wait_loadcnt 0x0
	v_cmp_gt_f32_e32 vcc_lo, 0x800000, v6
	v_cmp_gt_f32_e64 s0, 0x800000, v7
	v_cmp_gt_f32_e64 s1, 0x800000, v8
	;; [unrolled: 1-line block ×3, first 2 shown]
	v_cndmask_b32_e64 v10, 0, 32, vcc_lo
	s_delay_alu instid0(VALU_DEP_4) | instskip(NEXT) | instid1(VALU_DEP_4)
	v_cndmask_b32_e64 v11, 0, 32, s0
	v_cndmask_b32_e64 v12, 0, 32, s1
	s_delay_alu instid0(VALU_DEP_4)
	v_cndmask_b32_e64 v13, 0, 32, s2
	v_cndmask_b32_e64 v15, 0, 0x411a209b, s0
	v_ldexp_f32 v6, v6, v10
	v_ldexp_f32 v7, v7, v11
	;; [unrolled: 1-line block ×4, first 2 shown]
	v_cndmask_b32_e64 v12, 0, 0x411a209b, vcc_lo
	v_log_f32_e32 v6, v6
	v_log_f32_e32 v7, v7
	;; [unrolled: 1-line block ×4, first 2 shown]
	v_cndmask_b32_e64 v16, 0, 0x411a209b, s1
	v_cndmask_b32_e64 v17, 0, 0x411a209b, s2
	s_delay_alu instid0(TRANS32_DEP_3) | instskip(NEXT) | instid1(TRANS32_DEP_1)
	v_dual_mul_f32 v10, 0x3e9a209a, v6 :: v_dual_mul_f32 v11, 0x3e9a209a, v7
	v_dual_mul_f32 v13, 0x3e9a209a, v8 :: v_dual_mul_f32 v14, 0x3e9a209a, v9
	v_cmp_gt_f32_e64 vcc_lo, 0x7f800000, |v6|
	s_delay_alu instid0(VALU_DEP_3) | instskip(NEXT) | instid1(VALU_DEP_4)
	v_fma_f32 v10, 0x3e9a209a, v6, -v10
	v_fma_f32 v11, 0x3e9a209a, v7, -v11
	s_delay_alu instid0(VALU_DEP_4) | instskip(SKIP_1) | instid1(VALU_DEP_3)
	v_fma_f32 v13, 0x3e9a209a, v8, -v13
	v_fma_f32 v14, 0x3e9a209a, v9, -v14
	v_dual_fmac_f32 v10, 0x3284fbcf, v6 :: v_dual_fmac_f32 v11, 0x3284fbcf, v7
	s_delay_alu instid0(VALU_DEP_2) | instskip(NEXT) | instid1(VALU_DEP_2)
	v_dual_fmac_f32 v13, 0x3284fbcf, v8 :: v_dual_fmac_f32 v14, 0x3284fbcf, v9
	v_dual_fmac_f32 v10, 0x3e9a209a, v6 :: v_dual_fmac_f32 v11, 0x3e9a209a, v7
	s_delay_alu instid0(VALU_DEP_2) | instskip(NEXT) | instid1(VALU_DEP_2)
	v_dual_fmac_f32 v13, 0x3e9a209a, v8 :: v_dual_fmac_f32 v14, 0x3e9a209a, v9
	v_cndmask_b32_e32 v6, v6, v10, vcc_lo
	v_cmp_gt_f32_e64 vcc_lo, 0x7f800000, |v7|
	s_delay_alu instid0(VALU_DEP_4) | instskip(SKIP_2) | instid1(VALU_DEP_3)
	v_cndmask_b32_e32 v7, v7, v11, vcc_lo
	v_cmp_gt_f32_e64 vcc_lo, 0x7f800000, |v8|
	v_lshlrev_b64_e32 v[10:11], 2, v[0:1]
	v_dual_sub_f32 v6, v6, v12 :: v_dual_sub_f32 v7, v7, v15
	v_cndmask_b32_e32 v8, v8, v13, vcc_lo
	v_cmp_gt_f32_e64 vcc_lo, 0x7f800000, |v9|
	s_delay_alu instid0(VALU_DEP_2) | instskip(SKIP_1) | instid1(VALU_DEP_2)
	v_dual_cndmask_b32 v9, v9, v14 :: v_dual_sub_f32 v8, v8, v16
	v_cmp_ge_i64_e32 vcc_lo, v[10:11], v[2:3]
	v_sub_f32_e32 v9, v9, v17
	s_or_b32 s3, vcc_lo, s3
	global_store_b128 v[4:5], v[6:9], off offset:-8
	s_wait_xcnt 0x0
	v_add_nc_u64_e32 v[4:5], s[4:5], v[4:5]
	s_and_not1_b32 exec_lo, exec_lo, s3
	s_cbranch_execnz .LBB184_29
.LBB184_30:
	s_endpgm
	.section	.rodata,"a",@progbits
	.p2align	6, 0x0
	.amdhsa_kernel _ZN2at6native12_GLOBAL__N_125multi_tensor_apply_kernelINS1_18TensorListMetadataILi1EEENS1_14UnaryOpFunctorIfLi1ELi1ELi0EEEJNS0_5Log10IfEEEEEvT_T0_DpT1_
		.amdhsa_group_segment_fixed_size 0
		.amdhsa_private_segment_fixed_size 0
		.amdhsa_kernarg_size 3632
		.amdhsa_user_sgpr_count 2
		.amdhsa_user_sgpr_dispatch_ptr 0
		.amdhsa_user_sgpr_queue_ptr 0
		.amdhsa_user_sgpr_kernarg_segment_ptr 1
		.amdhsa_user_sgpr_dispatch_id 0
		.amdhsa_user_sgpr_kernarg_preload_length 0
		.amdhsa_user_sgpr_kernarg_preload_offset 0
		.amdhsa_user_sgpr_private_segment_size 0
		.amdhsa_wavefront_size32 1
		.amdhsa_uses_dynamic_stack 0
		.amdhsa_enable_private_segment 0
		.amdhsa_system_sgpr_workgroup_id_x 1
		.amdhsa_system_sgpr_workgroup_id_y 0
		.amdhsa_system_sgpr_workgroup_id_z 0
		.amdhsa_system_sgpr_workgroup_info 0
		.amdhsa_system_vgpr_workitem_id 0
		.amdhsa_next_free_vgpr 36
		.amdhsa_next_free_sgpr 23
		.amdhsa_named_barrier_count 0
		.amdhsa_reserve_vcc 1
		.amdhsa_float_round_mode_32 0
		.amdhsa_float_round_mode_16_64 0
		.amdhsa_float_denorm_mode_32 3
		.amdhsa_float_denorm_mode_16_64 3
		.amdhsa_fp16_overflow 0
		.amdhsa_memory_ordered 1
		.amdhsa_forward_progress 1
		.amdhsa_inst_pref_size 23
		.amdhsa_round_robin_scheduling 0
		.amdhsa_exception_fp_ieee_invalid_op 0
		.amdhsa_exception_fp_denorm_src 0
		.amdhsa_exception_fp_ieee_div_zero 0
		.amdhsa_exception_fp_ieee_overflow 0
		.amdhsa_exception_fp_ieee_underflow 0
		.amdhsa_exception_fp_ieee_inexact 0
		.amdhsa_exception_int_div_zero 0
	.end_amdhsa_kernel
	.section	.text._ZN2at6native12_GLOBAL__N_125multi_tensor_apply_kernelINS1_18TensorListMetadataILi1EEENS1_14UnaryOpFunctorIfLi1ELi1ELi0EEEJNS0_5Log10IfEEEEEvT_T0_DpT1_,"axG",@progbits,_ZN2at6native12_GLOBAL__N_125multi_tensor_apply_kernelINS1_18TensorListMetadataILi1EEENS1_14UnaryOpFunctorIfLi1ELi1ELi0EEEJNS0_5Log10IfEEEEEvT_T0_DpT1_,comdat
.Lfunc_end184:
	.size	_ZN2at6native12_GLOBAL__N_125multi_tensor_apply_kernelINS1_18TensorListMetadataILi1EEENS1_14UnaryOpFunctorIfLi1ELi1ELi0EEEJNS0_5Log10IfEEEEEvT_T0_DpT1_, .Lfunc_end184-_ZN2at6native12_GLOBAL__N_125multi_tensor_apply_kernelINS1_18TensorListMetadataILi1EEENS1_14UnaryOpFunctorIfLi1ELi1ELi0EEEJNS0_5Log10IfEEEEEvT_T0_DpT1_
                                        ; -- End function
	.set _ZN2at6native12_GLOBAL__N_125multi_tensor_apply_kernelINS1_18TensorListMetadataILi1EEENS1_14UnaryOpFunctorIfLi1ELi1ELi0EEEJNS0_5Log10IfEEEEEvT_T0_DpT1_.num_vgpr, 36
	.set _ZN2at6native12_GLOBAL__N_125multi_tensor_apply_kernelINS1_18TensorListMetadataILi1EEENS1_14UnaryOpFunctorIfLi1ELi1ELi0EEEJNS0_5Log10IfEEEEEvT_T0_DpT1_.num_agpr, 0
	.set _ZN2at6native12_GLOBAL__N_125multi_tensor_apply_kernelINS1_18TensorListMetadataILi1EEENS1_14UnaryOpFunctorIfLi1ELi1ELi0EEEJNS0_5Log10IfEEEEEvT_T0_DpT1_.numbered_sgpr, 23
	.set _ZN2at6native12_GLOBAL__N_125multi_tensor_apply_kernelINS1_18TensorListMetadataILi1EEENS1_14UnaryOpFunctorIfLi1ELi1ELi0EEEJNS0_5Log10IfEEEEEvT_T0_DpT1_.num_named_barrier, 0
	.set _ZN2at6native12_GLOBAL__N_125multi_tensor_apply_kernelINS1_18TensorListMetadataILi1EEENS1_14UnaryOpFunctorIfLi1ELi1ELi0EEEJNS0_5Log10IfEEEEEvT_T0_DpT1_.private_seg_size, 0
	.set _ZN2at6native12_GLOBAL__N_125multi_tensor_apply_kernelINS1_18TensorListMetadataILi1EEENS1_14UnaryOpFunctorIfLi1ELi1ELi0EEEJNS0_5Log10IfEEEEEvT_T0_DpT1_.uses_vcc, 1
	.set _ZN2at6native12_GLOBAL__N_125multi_tensor_apply_kernelINS1_18TensorListMetadataILi1EEENS1_14UnaryOpFunctorIfLi1ELi1ELi0EEEJNS0_5Log10IfEEEEEvT_T0_DpT1_.uses_flat_scratch, 0
	.set _ZN2at6native12_GLOBAL__N_125multi_tensor_apply_kernelINS1_18TensorListMetadataILi1EEENS1_14UnaryOpFunctorIfLi1ELi1ELi0EEEJNS0_5Log10IfEEEEEvT_T0_DpT1_.has_dyn_sized_stack, 0
	.set _ZN2at6native12_GLOBAL__N_125multi_tensor_apply_kernelINS1_18TensorListMetadataILi1EEENS1_14UnaryOpFunctorIfLi1ELi1ELi0EEEJNS0_5Log10IfEEEEEvT_T0_DpT1_.has_recursion, 0
	.set _ZN2at6native12_GLOBAL__N_125multi_tensor_apply_kernelINS1_18TensorListMetadataILi1EEENS1_14UnaryOpFunctorIfLi1ELi1ELi0EEEJNS0_5Log10IfEEEEEvT_T0_DpT1_.has_indirect_call, 0
	.section	.AMDGPU.csdata,"",@progbits
; Kernel info:
; codeLenInByte = 2880
; TotalNumSgprs: 25
; NumVgprs: 36
; ScratchSize: 0
; MemoryBound: 0
; FloatMode: 240
; IeeeMode: 1
; LDSByteSize: 0 bytes/workgroup (compile time only)
; SGPRBlocks: 0
; VGPRBlocks: 2
; NumSGPRsForWavesPerEU: 25
; NumVGPRsForWavesPerEU: 36
; NamedBarCnt: 0
; Occupancy: 16
; WaveLimiterHint : 0
; COMPUTE_PGM_RSRC2:SCRATCH_EN: 0
; COMPUTE_PGM_RSRC2:USER_SGPR: 2
; COMPUTE_PGM_RSRC2:TRAP_HANDLER: 0
; COMPUTE_PGM_RSRC2:TGID_X_EN: 1
; COMPUTE_PGM_RSRC2:TGID_Y_EN: 0
; COMPUTE_PGM_RSRC2:TGID_Z_EN: 0
; COMPUTE_PGM_RSRC2:TIDIG_COMP_CNT: 0
	.section	.text._ZN2at6native12_GLOBAL__N_125multi_tensor_apply_kernelINS1_18TensorListMetadataILi1EEENS1_14UnaryOpFunctorIN3c107complexIdEELi1ELi1ELi0EEEJNS0_5Log10IS8_EEEEEvT_T0_DpT1_,"axG",@progbits,_ZN2at6native12_GLOBAL__N_125multi_tensor_apply_kernelINS1_18TensorListMetadataILi1EEENS1_14UnaryOpFunctorIN3c107complexIdEELi1ELi1ELi0EEEJNS0_5Log10IS8_EEEEEvT_T0_DpT1_,comdat
	.globl	_ZN2at6native12_GLOBAL__N_125multi_tensor_apply_kernelINS1_18TensorListMetadataILi1EEENS1_14UnaryOpFunctorIN3c107complexIdEELi1ELi1ELi0EEEJNS0_5Log10IS8_EEEEEvT_T0_DpT1_ ; -- Begin function _ZN2at6native12_GLOBAL__N_125multi_tensor_apply_kernelINS1_18TensorListMetadataILi1EEENS1_14UnaryOpFunctorIN3c107complexIdEELi1ELi1ELi0EEEJNS0_5Log10IS8_EEEEEvT_T0_DpT1_
	.p2align	8
	.type	_ZN2at6native12_GLOBAL__N_125multi_tensor_apply_kernelINS1_18TensorListMetadataILi1EEENS1_14UnaryOpFunctorIN3c107complexIdEELi1ELi1ELi0EEEJNS0_5Log10IS8_EEEEEvT_T0_DpT1_,@function
_ZN2at6native12_GLOBAL__N_125multi_tensor_apply_kernelINS1_18TensorListMetadataILi1EEENS1_14UnaryOpFunctorIN3c107complexIdEELi1ELi1ELi0EEEJNS0_5Log10IS8_EEEEEvT_T0_DpT1_: ; @_ZN2at6native12_GLOBAL__N_125multi_tensor_apply_kernelINS1_18TensorListMetadataILi1EEENS1_14UnaryOpFunctorIN3c107complexIdEELi1ELi1ELi0EEEJNS0_5Log10IS8_EEEEEvT_T0_DpT1_
; %bb.0:
	s_bfe_u32 s2, ttmp6, 0x4000c
	s_and_b32 s3, ttmp6, 15
	s_add_co_i32 s2, s2, 1
	s_getreg_b32 s4, hwreg(HW_REG_IB_STS2, 6, 4)
	s_mul_i32 s2, ttmp9, s2
	s_delay_alu instid0(SALU_CYCLE_1)
	s_add_co_i32 s3, s3, s2
	s_cmp_eq_u32 s4, 0
	s_cselect_b32 s2, ttmp9, s3
	s_mov_b32 s3, 0
	s_load_u8 s12, s[0:1], s2 offset:0x6e0
	s_add_nc_u64 s[4:5], s[0:1], s[2:3]
	s_mul_u64 s[6:7], s[2:3], 3
	s_delay_alu instid0(SALU_CYCLE_1)
	s_add_nc_u64 s[4:5], s[4:5], s[6:7]
	s_load_b32 s6, s[4:5], 0x820
	s_wait_kmcnt 0x0
	s_clause 0x1
	s_load_b64 s[8:9], s[0:1], s12 offset:0x0 scale_offset
	s_load_b64 s[10:11], s[0:1], s12 offset:0x370 scale_offset
	s_ashr_i32 s7, s6, 31
	s_delay_alu instid0(SALU_CYCLE_1) | instskip(SKIP_3) | instid1(SALU_CYCLE_1)
	s_lshl_b64 s[4:5], s[6:7], 20
	s_wait_kmcnt 0x0
	s_and_b32 s2, s10, 3
	s_add_nc_u64 s[18:19], s[8:9], s[4:5]
	s_and_b64 s[4:5], s[18:19], 63
	s_delay_alu instid0(SALU_CYCLE_1)
	s_or_b64 s[2:3], s[4:5], s[2:3]
	s_lshl_b64 s[4:5], s[6:7], 16
	s_cmp_eq_u64 s[2:3], 0
	s_sub_nc_u64 s[20:21], s[10:11], s[4:5]
	s_cbranch_scc1 .LBB185_157
; %bb.1:
	v_cmp_lt_i64_e64 s2, s[20:21], 1
	s_and_b32 vcc_lo, exec_lo, s2
	s_cbranch_vccnz .LBB185_156
; %bb.2:
	v_min_i64 v[18:19], 0x10000, s[20:21]
	v_min_u64 v[22:23], 0x10000, s[20:21]
	s_load_b32 s2, s[0:1], 0xd3c
	v_dual_mov_b32 v20, 0 :: v_dual_mov_b32 v69, 0x4002d97c
	v_mov_b64_e32 v[24:25], 0x3fc385386b47b09a
	v_mov_b64_e32 v[26:27], 0xbf23e260bd3237f4
	s_delay_alu instid0(VALU_DEP_3)
	v_dual_mov_b32 v68, 0x7f3321d2 :: v_dual_mov_b32 v1, v20
	s_mov_b32 s23, 0
	s_mov_b64 s[24:25], 0x7fd1ccf385ebc8a0
	s_mov_b64 s[26:27], 0x358dee7a4ad4b81f
	;; [unrolled: 1-line block ×5, first 2 shown]
	s_mov_b32 s37, s23
	s_mov_b32 s39, s23
	s_mov_b64 s[40:41], 0x3ff921fb54442d18
	s_mov_b64 s[42:43], 0x400921fb54442d18
	;; [unrolled: 1-line block ×5, first 2 shown]
	s_wait_kmcnt 0x0
	s_and_b32 s22, s2, 0xffff
	s_mov_b64 s[50:51], 0x40026bb1bbb55516
	s_lshl_b32 s36, s22, 1
	s_mul_i32 s38, s22, 3
	s_lshl_b32 s52, s22, 2
	s_mov_b32 s53, s23
	s_mov_b64 s[54:55], 0
                                        ; implicit-def: $vgpr2_vgpr3
                                        ; implicit-def: $vgpr2_vgpr3
	;; [unrolled: 1-line block ×23, first 2 shown]
	s_branch .LBB185_4
.LBB185_3:                              ;   in Loop: Header=BB185_4 Depth=1
	s_wait_xcnt 0x0
	s_or_b32 exec_lo, exec_lo, s3
	s_add_nc_u64 s[54:55], s[54:55], s[52:53]
	s_delay_alu instid0(SALU_CYCLE_1)
	v_cmp_ge_i64_e32 vcc_lo, s[54:55], v[18:19]
	s_cbranch_vccnz .LBB185_156
.LBB185_4:                              ; =>This Loop Header: Depth=1
                                        ;     Child Loop BB185_23 Depth 2
                                        ;     Child Loop BB185_57 Depth 2
	;; [unrolled: 1-line block ×4, first 2 shown]
	v_add_nc_u64_e32 v[2:3], s[54:55], v[0:1]
	v_mov_b64_e32 v[12:13], 0
	v_mov_b64_e32 v[16:17], 0
	v_mov_b64_e32 v[14:15], 0
	s_delay_alu instid0(VALU_DEP_4)
	v_cmp_lt_u64_e64 s5, v[2:3], v[22:23]
	v_lshl_add_u64 v[34:35], v[2:3], 4, s[18:19]
	s_and_saveexec_b32 s2, s5
	s_cbranch_execz .LBB185_6
; %bb.5:                                ;   in Loop: Header=BB185_4 Depth=1
	global_load_b128 v[14:17], v[34:35], off
.LBB185_6:                              ;   in Loop: Header=BB185_4 Depth=1
	s_wait_xcnt 0x0
	s_or_b32 exec_lo, exec_lo, s2
	v_add_nc_u64_e32 v[4:5], s[22:23], v[2:3]
	v_mov_b64_e32 v[10:11], 0
	s_delay_alu instid0(VALU_DEP_2)
	v_cmp_lt_u64_e64 s4, v[4:5], v[22:23]
	v_lshl_add_u64 v[32:33], v[4:5], 4, s[18:19]
	s_and_saveexec_b32 s2, s4
	s_cbranch_execz .LBB185_8
; %bb.7:                                ;   in Loop: Header=BB185_4 Depth=1
	global_load_b128 v[10:13], v[32:33], off
.LBB185_8:                              ;   in Loop: Header=BB185_4 Depth=1
	s_wait_xcnt 0x0
	s_or_b32 exec_lo, exec_lo, s2
	v_add_nc_u64_e32 v[28:29], s[36:37], v[2:3]
	v_mov_b64_e32 v[4:5], 0
	v_mov_b64_e32 v[8:9], 0
	;; [unrolled: 1-line block ×3, first 2 shown]
	s_delay_alu instid0(VALU_DEP_4)
	v_cmp_lt_u64_e64 s3, v[28:29], v[22:23]
	v_lshl_add_u64 v[30:31], v[28:29], 4, s[18:19]
	s_and_saveexec_b32 s2, s3
	s_cbranch_execz .LBB185_10
; %bb.9:                                ;   in Loop: Header=BB185_4 Depth=1
	global_load_b128 v[6:9], v[30:31], off
.LBB185_10:                             ;   in Loop: Header=BB185_4 Depth=1
	s_wait_xcnt 0x0
	s_or_b32 exec_lo, exec_lo, s2
	v_add_nc_u64_e32 v[28:29], s[38:39], v[2:3]
	v_mov_b64_e32 v[2:3], 0
	s_delay_alu instid0(VALU_DEP_2)
	v_cmp_lt_u64_e64 s2, v[28:29], v[22:23]
	v_lshl_add_u64 v[28:29], v[28:29], 4, s[18:19]
	s_and_saveexec_b32 s6, s2
	s_cbranch_execz .LBB185_12
; %bb.11:                               ;   in Loop: Header=BB185_4 Depth=1
	global_load_b128 v[2:5], v[28:29], off
.LBB185_12:                             ;   in Loop: Header=BB185_4 Depth=1
	s_wait_xcnt 0x0
	s_or_b32 exec_lo, exec_lo, s6
                                        ; implicit-def: $vgpr36_vgpr37
                                        ; implicit-def: $vgpr38_vgpr39
	s_delay_alu instid0(SALU_CYCLE_1)
	s_mov_b32 s6, exec_lo
	s_wait_loadcnt 0x0
	v_cmpx_o_f64_e32 v[14:15], v[16:17]
	s_xor_b32 s17, exec_lo, s6
	s_cbranch_execz .LBB185_40
; %bb.13:                               ;   in Loop: Header=BB185_4 Depth=1
	v_cmp_lt_f64_e64 s6, |v[14:15]|, |v[16:17]|
	v_and_b32_e32 v41, 0x7fffffff, v15
	v_and_b32_e32 v21, 0x7fffffff, v17
	v_mov_b32_e32 v40, v16
                                        ; implicit-def: $vgpr36_vgpr37
                                        ; implicit-def: $vgpr38_vgpr39
	s_mov_b32 s7, exec_lo
	s_delay_alu instid0(VALU_DEP_2) | instskip(NEXT) | instid1(VALU_DEP_1)
	v_dual_cndmask_b32 v43, v21, v41, s6 :: v_dual_cndmask_b32 v42, v16, v14, s6
	v_cmpx_nlt_f64_e32 s[24:25], v[42:43]
	s_xor_b32 s33, exec_lo, s7
	s_cbranch_execz .LBB185_37
; %bb.14:                               ;   in Loop: Header=BB185_4 Depth=1
	v_dual_cndmask_b32 v45, v41, v21, s6 :: v_dual_cndmask_b32 v44, v14, v40, s6
                                        ; implicit-def: $vgpr36_vgpr37
                                        ; implicit-def: $vgpr38_vgpr39
	s_mov_b32 s7, exec_lo
	s_delay_alu instid0(VALU_DEP_1)
	v_cmpx_neq_f64_e32 1.0, v[44:45]
	s_xor_b32 s56, exec_lo, s7
	s_cbranch_execz .LBB185_30
; %bb.15:                               ;   in Loop: Header=BB185_4 Depth=1
	v_max_num_f64_e32 v[36:37], v[42:43], v[42:43]
	v_max_num_f64_e32 v[38:39], v[44:45], v[44:45]
	s_delay_alu instid0(VALU_DEP_1) | instskip(SKIP_1) | instid1(VALU_DEP_2)
	v_min_num_f64_e32 v[40:41], v[38:39], v[36:37]
	v_max_num_f64_e32 v[36:37], v[38:39], v[36:37]
                                        ; implicit-def: $vgpr38_vgpr39
	v_cmp_ngt_f64_e32 vcc_lo, s[26:27], v[40:41]
	s_delay_alu instid0(VALU_DEP_2) | instskip(SKIP_1) | instid1(SALU_CYCLE_1)
	v_cmp_nlt_f64_e64 s7, s[28:29], v[36:37]
                                        ; implicit-def: $vgpr36_vgpr37
	s_and_b32 s7, s7, vcc_lo
	s_and_saveexec_b32 s8, s7
	s_delay_alu instid0(SALU_CYCLE_1)
	s_xor_b32 s57, exec_lo, s8
	s_cbranch_execz .LBB185_27
; %bb.16:                               ;   in Loop: Header=BB185_4 Depth=1
                                        ; implicit-def: $vgpr36_vgpr37
                                        ; implicit-def: $vgpr38_vgpr39
	s_mov_b32 s7, exec_lo
	v_cmpx_le_f64_e32 1.0, v[44:45]
	s_xor_b32 s10, exec_lo, s7
	s_cbranch_execz .LBB185_18
; %bb.17:                               ;   in Loop: Header=BB185_4 Depth=1
	v_add_f64_e32 v[36:37], -1.0, v[44:45]
	v_cmp_eq_f64_e64 s7, 0, v[16:17]
	v_add_f64_e32 v[38:39], 1.0, v[44:45]
	v_cmp_class_f64_e64 s12, v[14:15], 0x204
	v_cmp_class_f64_e64 s11, v[16:17], 0x204
	s_delay_alu instid0(VALU_DEP_3) | instskip(NEXT) | instid1(VALU_DEP_1)
	v_mul_f64_e32 v[40:41], v[36:37], v[38:39]
	v_fmac_f64_e32 v[40:41], v[42:43], v[42:43]
	s_delay_alu instid0(VALU_DEP_1) | instskip(SKIP_2) | instid1(VALU_DEP_3)
	v_add_f64_e32 v[36:37], 1.0, v[40:41]
	v_cmp_nge_f64_e64 s8, -1.0, v[40:41]
	v_cmp_neq_f64_e64 s9, 0x7ff00000, v[40:41]
	v_frexp_mant_f64_e32 v[38:39], v[36:37]
	v_frexp_exp_i32_f64_e32 v21, v[36:37]
	v_add_f64_e32 v[42:43], -1.0, v[36:37]
	s_delay_alu instid0(VALU_DEP_3) | instskip(NEXT) | instid1(VALU_DEP_2)
	v_cmp_gt_f64_e32 vcc_lo, s[30:31], v[38:39]
	v_add_f64_e64 v[38:39], v[42:43], -v[36:37]
	v_add_f64_e64 v[42:43], v[40:41], -v[42:43]
	v_subrev_co_ci_u32_e64 v21, null, 0, v21, vcc_lo
	s_delay_alu instid0(VALU_DEP_1) | instskip(NEXT) | instid1(VALU_DEP_1)
	v_dual_add_f64 v[38:39], 1.0, v[38:39] :: v_dual_sub_nc_u32 v46, 0, v21
	v_ldexp_f64 v[36:37], v[36:37], v46
	s_delay_alu instid0(VALU_DEP_2) | instskip(NEXT) | instid1(VALU_DEP_2)
	v_add_f64_e32 v[38:39], v[42:43], v[38:39]
	v_add_f64_e32 v[44:45], 1.0, v[36:37]
	v_add_f64_e32 v[50:51], -1.0, v[36:37]
	s_delay_alu instid0(VALU_DEP_3) | instskip(NEXT) | instid1(VALU_DEP_3)
	v_ldexp_f64 v[38:39], v[38:39], v46
	v_add_f64_e32 v[42:43], -1.0, v[44:45]
	s_delay_alu instid0(VALU_DEP_3) | instskip(NEXT) | instid1(VALU_DEP_2)
	v_add_f64_e32 v[52:53], 1.0, v[50:51]
	v_add_f64_e64 v[42:43], v[36:37], -v[42:43]
	s_delay_alu instid0(VALU_DEP_2) | instskip(NEXT) | instid1(VALU_DEP_2)
	v_add_f64_e64 v[36:37], v[36:37], -v[52:53]
	v_add_f64_e32 v[42:43], v[38:39], v[42:43]
	s_delay_alu instid0(VALU_DEP_2) | instskip(NEXT) | instid1(VALU_DEP_2)
	v_add_f64_e32 v[36:37], v[38:39], v[36:37]
	v_add_f64_e32 v[46:47], v[44:45], v[42:43]
	s_delay_alu instid0(VALU_DEP_2) | instskip(NEXT) | instid1(VALU_DEP_2)
	v_add_f64_e32 v[52:53], v[50:51], v[36:37]
	v_rcp_f64_e32 v[48:49], v[46:47]
	v_add_f64_e64 v[44:45], v[46:47], -v[44:45]
	s_delay_alu instid0(VALU_DEP_2) | instskip(NEXT) | instid1(VALU_DEP_2)
	v_add_f64_e64 v[50:51], v[52:53], -v[50:51]
	v_add_f64_e64 v[42:43], v[42:43], -v[44:45]
	s_delay_alu instid0(VALU_DEP_2) | instskip(NEXT) | instid1(TRANS32_DEP_1)
	v_add_f64_e64 v[36:37], v[36:37], -v[50:51]
	v_fma_f64 v[54:55], -v[46:47], v[48:49], 1.0
	s_delay_alu instid0(VALU_DEP_1) | instskip(NEXT) | instid1(VALU_DEP_1)
	v_fmac_f64_e32 v[48:49], v[54:55], v[48:49]
	v_fma_f64 v[38:39], -v[46:47], v[48:49], 1.0
	s_delay_alu instid0(VALU_DEP_1) | instskip(NEXT) | instid1(VALU_DEP_1)
	v_fmac_f64_e32 v[48:49], v[38:39], v[48:49]
	v_mul_f64_e32 v[38:39], v[52:53], v[48:49]
	s_delay_alu instid0(VALU_DEP_1) | instskip(NEXT) | instid1(VALU_DEP_1)
	v_mul_f64_e32 v[54:55], v[46:47], v[38:39]
	v_fma_f64 v[44:45], v[38:39], v[46:47], -v[54:55]
	s_delay_alu instid0(VALU_DEP_1) | instskip(NEXT) | instid1(VALU_DEP_1)
	v_fmac_f64_e32 v[44:45], v[38:39], v[42:43]
	v_add_f64_e32 v[56:57], v[54:55], v[44:45]
	s_delay_alu instid0(VALU_DEP_1) | instskip(SKIP_1) | instid1(VALU_DEP_2)
	v_add_f64_e64 v[58:59], v[52:53], -v[56:57]
	v_add_f64_e64 v[50:51], v[56:57], -v[54:55]
	;; [unrolled: 1-line block ×3, first 2 shown]
	s_delay_alu instid0(VALU_DEP_2) | instskip(NEXT) | instid1(VALU_DEP_2)
	v_add_f64_e64 v[44:45], v[50:51], -v[44:45]
	v_add_f64_e64 v[52:53], v[52:53], -v[56:57]
	s_delay_alu instid0(VALU_DEP_1) | instskip(NEXT) | instid1(VALU_DEP_1)
	v_add_f64_e32 v[36:37], v[36:37], v[52:53]
	v_add_f64_e32 v[36:37], v[44:45], v[36:37]
	s_delay_alu instid0(VALU_DEP_1) | instskip(NEXT) | instid1(VALU_DEP_1)
	v_add_f64_e32 v[44:45], v[58:59], v[36:37]
	v_mul_f64_e32 v[50:51], v[48:49], v[44:45]
	v_add_f64_e64 v[56:57], v[58:59], -v[44:45]
	s_delay_alu instid0(VALU_DEP_2) | instskip(NEXT) | instid1(VALU_DEP_2)
	v_mul_f64_e32 v[52:53], v[46:47], v[50:51]
	v_add_f64_e32 v[36:37], v[36:37], v[56:57]
	s_delay_alu instid0(VALU_DEP_2) | instskip(NEXT) | instid1(VALU_DEP_1)
	v_fma_f64 v[46:47], v[50:51], v[46:47], -v[52:53]
	v_fmac_f64_e32 v[46:47], v[50:51], v[42:43]
	s_delay_alu instid0(VALU_DEP_1) | instskip(NEXT) | instid1(VALU_DEP_1)
	v_add_f64_e32 v[42:43], v[52:53], v[46:47]
	v_add_f64_e64 v[54:55], v[44:45], -v[42:43]
	v_add_f64_e64 v[52:53], v[42:43], -v[52:53]
	s_delay_alu instid0(VALU_DEP_2) | instskip(NEXT) | instid1(VALU_DEP_1)
	v_add_f64_e64 v[44:45], v[44:45], -v[54:55]
	v_add_f64_e64 v[42:43], v[44:45], -v[42:43]
	s_delay_alu instid0(VALU_DEP_3) | instskip(SKIP_1) | instid1(VALU_DEP_3)
	v_add_f64_e64 v[44:45], v[52:53], -v[46:47]
	v_max_num_f64_e64 v[46:47], |v[14:15]|, |v[14:15]|
	v_add_f64_e32 v[36:37], v[36:37], v[42:43]
	v_add_f64_e32 v[42:43], v[38:39], v[50:51]
	s_delay_alu instid0(VALU_DEP_2) | instskip(NEXT) | instid1(VALU_DEP_2)
	v_add_f64_e32 v[36:37], v[44:45], v[36:37]
	v_add_f64_e64 v[38:39], v[42:43], -v[38:39]
	v_max_num_f64_e64 v[44:45], |v[16:17]|, |v[16:17]|
	s_delay_alu instid0(VALU_DEP_3) | instskip(NEXT) | instid1(VALU_DEP_3)
	v_add_f64_e32 v[36:37], v[54:55], v[36:37]
	v_add_f64_e64 v[38:39], v[50:51], -v[38:39]
	s_delay_alu instid0(VALU_DEP_2) | instskip(NEXT) | instid1(VALU_DEP_1)
	v_mul_f64_e32 v[36:37], v[48:49], v[36:37]
	v_add_f64_e32 v[36:37], v[38:39], v[36:37]
	v_max_num_f64_e32 v[38:39], v[46:47], v[44:45]
	v_min_num_f64_e32 v[44:45], v[46:47], v[44:45]
	s_delay_alu instid0(VALU_DEP_3) | instskip(NEXT) | instid1(VALU_DEP_2)
	v_add_f64_e32 v[46:47], v[42:43], v[36:37]
	v_div_scale_f64 v[48:49], null, v[38:39], v[38:39], v[44:45]
	s_delay_alu instid0(VALU_DEP_2) | instskip(SKIP_1) | instid1(VALU_DEP_3)
	v_mul_f64_e32 v[50:51], v[46:47], v[46:47]
	v_add_f64_e64 v[42:43], v[46:47], -v[42:43]
	v_rcp_f64_e32 v[52:53], v[48:49]
	s_delay_alu instid0(VALU_DEP_2) | instskip(SKIP_1) | instid1(VALU_DEP_3)
	v_fmamk_f64 v[54:55], v[50:51], 0x3fc3ab76bf559e2b, v[24:25]
	v_mul_f64_e32 v[56:57], v[46:47], v[50:51]
	v_add_f64_e64 v[36:37], v[36:37], -v[42:43]
	s_delay_alu instid0(VALU_DEP_3) | instskip(NEXT) | instid1(TRANS32_DEP_1)
	v_fmaak_f64 v[54:55], v[50:51], v[54:55], 0x3fc7474dd7f4df2e
	v_fma_f64 v[58:59], -v[48:49], v[52:53], 1.0
	s_delay_alu instid0(VALU_DEP_2) | instskip(NEXT) | instid1(VALU_DEP_1)
	v_fmaak_f64 v[54:55], v[50:51], v[54:55], 0x3fcc71c016291751
	v_fmaak_f64 v[54:55], v[50:51], v[54:55], 0x3fd249249b27acf1
	s_delay_alu instid0(VALU_DEP_1) | instskip(SKIP_1) | instid1(VALU_DEP_2)
	v_fmaak_f64 v[54:55], v[50:51], v[54:55], 0x3fd99999998ef7b6
	v_ldexp_f64 v[36:37], v[36:37], 1
	v_fmaak_f64 v[50:51], v[50:51], v[54:55], 0x3fe5555555555780
	v_ldexp_f64 v[54:55], v[46:47], 1
	v_fmac_f64_e32 v[52:53], v[52:53], v[58:59]
	s_delay_alu instid0(VALU_DEP_3) | instskip(SKIP_2) | instid1(VALU_DEP_4)
	v_mul_f64_e32 v[50:51], v[56:57], v[50:51]
	v_cvt_f64_i32_e32 v[56:57], v21
	v_ashrrev_i32_e32 v21, 31, v15
	v_fma_f64 v[58:59], -v[48:49], v[52:53], 1.0
	s_delay_alu instid0(VALU_DEP_4) | instskip(NEXT) | instid1(VALU_DEP_4)
	v_add_f64_e32 v[46:47], v[54:55], v[50:51]
	v_mul_f64_e32 v[60:61], 0x3fe62e42fefa39ef, v[56:57]
	s_delay_alu instid0(VALU_DEP_3) | instskip(NEXT) | instid1(VALU_DEP_3)
	v_fmac_f64_e32 v[52:53], v[52:53], v[58:59]
	v_add_f64_e64 v[42:43], v[46:47], -v[54:55]
	v_div_scale_f64 v[54:55], vcc_lo, v[44:45], v[38:39], v[44:45]
	s_delay_alu instid0(VALU_DEP_4) | instskip(NEXT) | instid1(VALU_DEP_3)
	v_fma_f64 v[58:59], v[56:57], s[34:35], -v[60:61]
	v_add_f64_e64 v[42:43], v[50:51], -v[42:43]
	s_delay_alu instid0(VALU_DEP_3) | instskip(NEXT) | instid1(VALU_DEP_3)
	v_mul_f64_e32 v[50:51], v[54:55], v[52:53]
	v_fmac_f64_e32 v[58:59], 0x3c7abc9e3b39803f, v[56:57]
	s_delay_alu instid0(VALU_DEP_3) | instskip(NEXT) | instid1(VALU_DEP_3)
	v_add_f64_e32 v[36:37], v[36:37], v[42:43]
	v_fma_f64 v[42:43], -v[48:49], v[50:51], v[54:55]
	s_delay_alu instid0(VALU_DEP_3) | instskip(NEXT) | instid1(VALU_DEP_3)
	v_add_f64_e32 v[48:49], v[60:61], v[58:59]
	v_add_f64_e32 v[54:55], v[46:47], v[36:37]
	s_delay_alu instid0(VALU_DEP_3) | instskip(SKIP_1) | instid1(VALU_DEP_4)
	v_div_fmas_f64 v[42:43], v[42:43], v[52:53], v[50:51]
	v_cmp_gt_i32_e32 vcc_lo, 0, v15
	v_add_f64_e64 v[52:53], v[48:49], -v[60:61]
	v_and_b32_e32 v15, 0x400921fb, v21
	v_cndmask_b32_e32 v14, 0x3fe921fb, v69, vcc_lo
	s_delay_alu instid0(VALU_DEP_1) | instskip(SKIP_4) | instid1(VALU_DEP_4)
	v_bfi_b32 v14, 0x7fffffff, v14, v17
	v_add_f64_e32 v[50:51], v[48:49], v[54:55]
	v_div_fixup_f64 v[38:39], v[42:43], v[38:39], v[44:45]
	v_add_f64_e64 v[46:47], v[54:55], -v[46:47]
	v_add_f64_e64 v[52:53], v[58:59], -v[52:53]
	v_add_f64_e64 v[42:43], v[50:51], -v[48:49]
	s_delay_alu instid0(VALU_DEP_4) | instskip(NEXT) | instid1(VALU_DEP_4)
	v_mul_f64_e32 v[44:45], v[38:39], v[38:39]
	v_add_f64_e64 v[36:37], v[36:37], -v[46:47]
	s_delay_alu instid0(VALU_DEP_3) | instskip(NEXT) | instid1(VALU_DEP_3)
	v_add_f64_e64 v[56:57], v[50:51], -v[42:43]
	v_fmamk_f64 v[60:61], v[44:45], 0x3eeba404b5e68a13, v[26:27]
	v_add_f64_e64 v[42:43], v[54:55], -v[42:43]
	s_delay_alu instid0(VALU_DEP_4) | instskip(NEXT) | instid1(VALU_DEP_3)
	v_add_f64_e32 v[54:55], v[52:53], v[36:37]
	v_fmaak_f64 v[60:61], v[44:45], v[60:61], 0x3f4b2bb069efb384
	v_add_f64_e64 v[46:47], v[48:49], -v[56:57]
	s_delay_alu instid0(VALU_DEP_2) | instskip(NEXT) | instid1(VALU_DEP_1)
	v_fmaak_f64 v[48:49], v[44:45], v[60:61], 0xbf67952daf56de9b
	v_fmaak_f64 v[48:49], v[44:45], v[48:49], 0x3f7d6d43a595c56f
	s_delay_alu instid0(VALU_DEP_1) | instskip(NEXT) | instid1(VALU_DEP_1)
	v_fmaak_f64 v[48:49], v[44:45], v[48:49], 0xbf8c6ea4a57d9582
	v_fmaak_f64 v[48:49], v[44:45], v[48:49], 0x3f967e295f08b19f
	s_delay_alu instid0(VALU_DEP_1) | instskip(SKIP_1) | instid1(VALU_DEP_2)
	v_fmaak_f64 v[48:49], v[44:45], v[48:49], 0xbf9e9ae6fc27006a
	v_add_f64_e32 v[42:43], v[42:43], v[46:47]
	v_fmaak_f64 v[46:47], v[44:45], v[48:49], 0x3fa2c15b5711927a
	v_add_f64_e64 v[48:49], v[54:55], -v[52:53]
	s_delay_alu instid0(VALU_DEP_2) | instskip(NEXT) | instid1(VALU_DEP_1)
	v_fmaak_f64 v[46:47], v[44:45], v[46:47], 0xbfa59976e82d3ff0
	v_fmaak_f64 v[46:47], v[44:45], v[46:47], 0x3fa82d5d6ef28734
	s_delay_alu instid0(VALU_DEP_1) | instskip(NEXT) | instid1(VALU_DEP_1)
	v_fmaak_f64 v[46:47], v[44:45], v[46:47], 0xbfaae5ce6a214619
	v_fmaak_f64 v[46:47], v[44:45], v[46:47], 0x3fae1bb48427b883
	v_add_f64_e32 v[42:43], v[54:55], v[42:43]
	v_add_f64_e64 v[54:55], v[54:55], -v[48:49]
	v_add_f64_e64 v[36:37], v[36:37], -v[48:49]
	s_delay_alu instid0(VALU_DEP_4) | instskip(NEXT) | instid1(VALU_DEP_1)
	v_fmaak_f64 v[46:47], v[44:45], v[46:47], 0xbfb110e48b207f05
	v_fmaak_f64 v[46:47], v[44:45], v[46:47], 0x3fb3b13657b87036
	s_delay_alu instid0(VALU_DEP_1) | instskip(NEXT) | instid1(VALU_DEP_1)
	v_fmaak_f64 v[46:47], v[44:45], v[46:47], 0xbfb745d119378e4f
	v_fmaak_f64 v[46:47], v[44:45], v[46:47], 0x3fbc71c717e1913c
	v_add_f64_e32 v[56:57], v[50:51], v[42:43]
	s_delay_alu instid0(VALU_DEP_2) | instskip(NEXT) | instid1(VALU_DEP_1)
	v_fmaak_f64 v[46:47], v[44:45], v[46:47], 0xbfc2492492376b7d
	v_fmaak_f64 v[46:47], v[44:45], v[46:47], 0x3fc99999999952cc
	s_delay_alu instid0(VALU_DEP_1) | instskip(NEXT) | instid1(VALU_DEP_1)
	v_fmaak_f64 v[46:47], v[44:45], v[46:47], 0xbfd5555555555523
	v_mul_f64_e32 v[44:45], v[44:45], v[46:47]
	v_add_f64_e64 v[46:47], v[52:53], -v[54:55]
	v_add_f64_e64 v[48:49], v[56:57], -v[50:51]
	s_delay_alu instid0(VALU_DEP_3) | instskip(NEXT) | instid1(VALU_DEP_3)
	v_fmac_f64_e32 v[38:39], v[38:39], v[44:45]
	v_add_f64_e32 v[36:37], v[36:37], v[46:47]
	s_delay_alu instid0(VALU_DEP_3) | instskip(NEXT) | instid1(VALU_DEP_3)
	v_add_f64_e64 v[42:43], v[42:43], -v[48:49]
	v_add_f64_e64 v[44:45], -v[38:39], s[40:41]
	s_delay_alu instid0(VALU_DEP_1) | instskip(NEXT) | instid1(VALU_DEP_2)
	v_dual_add_f64 v[36:37], v[36:37], v[42:43] :: v_dual_cndmask_b32 v39, v39, v45, s6
	v_cndmask_b32_e64 v38, v38, v44, s6
	v_and_b32_e32 v45, 0x54442d18, v21
	v_cndmask_b32_e32 v44, 0x54442d18, v68, vcc_lo
	s_delay_alu instid0(VALU_DEP_3) | instskip(NEXT) | instid1(VALU_DEP_1)
	v_add_f64_e64 v[42:43], -v[38:39], s[42:43]
	v_dual_add_f64 v[36:37], v[56:57], v[36:37] :: v_dual_cndmask_b32 v38, v38, v42, vcc_lo
	s_delay_alu instid0(VALU_DEP_2) | instskip(SKIP_1) | instid1(VALU_DEP_3)
	v_cndmask_b32_e32 v21, v39, v43, vcc_lo
	v_cmp_ngt_f64_e32 vcc_lo, -1.0, v[40:41]
	v_mul_f64_e32 v[36:37], 0.5, v[36:37]
                                        ; implicit-def: $vgpr42_vgpr43
	s_delay_alu instid0(VALU_DEP_3)
	v_dual_cndmask_b32 v38, v38, v45, s7 :: v_dual_cndmask_b32 v15, v21, v15, s7
	s_and_b32 s7, s8, s9
	s_delay_alu instid0(VALU_DEP_2) | instid1(SALU_CYCLE_1)
	v_cndmask_b32_e64 v36, 0, v36, s7
	v_cmp_neq_f64_e64 s7, -1.0, v[40:41]
	s_delay_alu instid0(VALU_DEP_4) | instskip(NEXT) | instid1(VALU_DEP_1)
	v_cndmask_b32_e64 v37, 0x7ff00000, v37, s9
	v_cndmask_b32_e32 v21, 0x7ff80000, v37, vcc_lo
	s_and_b32 vcc_lo, s11, s12
	v_dual_cndmask_b32 v39, v15, v14 :: v_dual_cndmask_b32 v38, v38, v44
                                        ; implicit-def: $vgpr44_vgpr45
	s_delay_alu instid0(VALU_DEP_2)
	v_cndmask_b32_e64 v37, 0xfff00000, v21, s7
.LBB185_18:                             ;   in Loop: Header=BB185_4 Depth=1
	s_and_not1_saveexec_b32 s58, s10
	s_cbranch_execz .LBB185_26
; %bb.19:                               ;   in Loop: Header=BB185_4 Depth=1
	v_mul_f64_e32 v[40:41], v[42:43], v[42:43]
                                        ; implicit-def: $vgpr36_vgpr37
                                        ; implicit-def: $vgpr38_vgpr39
	s_mov_b32 s7, exec_lo
	s_delay_alu instid0(VALU_DEP_1) | instskip(NEXT) | instid1(VALU_DEP_1)
	v_fmac_f64_e32 v[40:41], v[44:45], v[44:45]
	v_cmpx_ge_f64_e32 s[44:45], v[40:41]
	s_xor_b32 s9, exec_lo, s7
	s_cbranch_execz .LBB185_21
; %bb.20:                               ;   in Loop: Header=BB185_4 Depth=1
	v_frexp_mant_f64_e32 v[36:37], v[40:41]
	v_cmp_eq_f64_e64 s7, 0, v[16:17]
	v_cmp_neq_f64_e64 s8, 0, v[40:41]
	v_cmp_class_f64_e64 s10, v[16:17], 0x204
	v_cmp_class_f64_e64 s11, v[14:15], 0x204
	v_cmp_gt_f64_e32 vcc_lo, s[30:31], v[36:37]
	v_cndmask_b32_e64 v21, 0, 1, vcc_lo
	s_delay_alu instid0(VALU_DEP_1) | instskip(SKIP_1) | instid1(VALU_DEP_2)
	v_ldexp_f64 v[36:37], v[36:37], v21
	v_frexp_exp_i32_f64_e32 v21, v[40:41]
	v_add_f64_e32 v[38:39], 1.0, v[36:37]
	v_add_f64_e32 v[46:47], -1.0, v[36:37]
	s_delay_alu instid0(VALU_DEP_3) | instskip(NEXT) | instid1(VALU_DEP_3)
	v_subrev_co_ci_u32_e64 v21, null, 0, v21, vcc_lo
	v_rcp_f64_e32 v[42:43], v[38:39]
	v_add_f64_e32 v[48:49], -1.0, v[38:39]
	s_delay_alu instid0(VALU_DEP_1) | instskip(NEXT) | instid1(TRANS32_DEP_1)
	v_add_f64_e64 v[36:37], v[36:37], -v[48:49]
	v_fma_f64 v[44:45], -v[38:39], v[42:43], 1.0
	s_delay_alu instid0(VALU_DEP_1) | instskip(NEXT) | instid1(VALU_DEP_1)
	v_fmac_f64_e32 v[42:43], v[44:45], v[42:43]
	v_fma_f64 v[44:45], -v[38:39], v[42:43], 1.0
	s_delay_alu instid0(VALU_DEP_1) | instskip(NEXT) | instid1(VALU_DEP_1)
	v_fmac_f64_e32 v[42:43], v[44:45], v[42:43]
	v_mul_f64_e32 v[44:45], v[46:47], v[42:43]
	s_delay_alu instid0(VALU_DEP_1) | instskip(NEXT) | instid1(VALU_DEP_1)
	v_mul_f64_e32 v[50:51], v[38:39], v[44:45]
	v_fma_f64 v[38:39], v[44:45], v[38:39], -v[50:51]
	s_delay_alu instid0(VALU_DEP_1) | instskip(NEXT) | instid1(VALU_DEP_1)
	v_fmac_f64_e32 v[38:39], v[44:45], v[36:37]
	v_add_f64_e32 v[36:37], v[50:51], v[38:39]
	s_delay_alu instid0(VALU_DEP_1) | instskip(SKIP_1) | instid1(VALU_DEP_2)
	v_add_f64_e64 v[48:49], v[46:47], -v[36:37]
	v_add_f64_e64 v[50:51], v[36:37], -v[50:51]
	;; [unrolled: 1-line block ×3, first 2 shown]
	s_delay_alu instid0(VALU_DEP_2) | instskip(NEXT) | instid1(VALU_DEP_2)
	v_add_f64_e64 v[38:39], v[50:51], -v[38:39]
	v_add_f64_e64 v[36:37], v[46:47], -v[36:37]
	v_max_num_f64_e64 v[46:47], |v[14:15]|, |v[14:15]|
	s_delay_alu instid0(VALU_DEP_2) | instskip(SKIP_1) | instid1(VALU_DEP_2)
	v_add_f64_e32 v[36:37], v[38:39], v[36:37]
	v_max_num_f64_e64 v[38:39], |v[16:17]|, |v[16:17]|
	v_add_f64_e32 v[36:37], v[48:49], v[36:37]
	s_delay_alu instid0(VALU_DEP_1) | instskip(NEXT) | instid1(VALU_DEP_3)
	v_mul_f64_e32 v[36:37], v[42:43], v[36:37]
	v_max_num_f64_e32 v[42:43], v[46:47], v[38:39]
	v_min_num_f64_e32 v[38:39], v[46:47], v[38:39]
	s_delay_alu instid0(VALU_DEP_3) | instskip(NEXT) | instid1(VALU_DEP_2)
	v_add_f64_e32 v[46:47], v[44:45], v[36:37]
	v_div_scale_f64 v[48:49], null, v[42:43], v[42:43], v[38:39]
	s_delay_alu instid0(VALU_DEP_2) | instskip(SKIP_1) | instid1(VALU_DEP_3)
	v_mul_f64_e32 v[50:51], v[46:47], v[46:47]
	v_add_f64_e64 v[44:45], v[46:47], -v[44:45]
	v_rcp_f64_e32 v[52:53], v[48:49]
	s_delay_alu instid0(VALU_DEP_2) | instskip(SKIP_1) | instid1(VALU_DEP_3)
	v_fmamk_f64 v[54:55], v[50:51], 0x3fc3ab76bf559e2b, v[24:25]
	v_mul_f64_e32 v[56:57], v[46:47], v[50:51]
	v_add_f64_e64 v[36:37], v[36:37], -v[44:45]
	s_delay_alu instid0(VALU_DEP_3) | instskip(NEXT) | instid1(TRANS32_DEP_1)
	v_fmaak_f64 v[54:55], v[50:51], v[54:55], 0x3fc7474dd7f4df2e
	v_fma_f64 v[58:59], -v[48:49], v[52:53], 1.0
	s_delay_alu instid0(VALU_DEP_2) | instskip(NEXT) | instid1(VALU_DEP_1)
	v_fmaak_f64 v[54:55], v[50:51], v[54:55], 0x3fcc71c016291751
	v_fmaak_f64 v[54:55], v[50:51], v[54:55], 0x3fd249249b27acf1
	s_delay_alu instid0(VALU_DEP_1) | instskip(SKIP_1) | instid1(VALU_DEP_2)
	v_fmaak_f64 v[54:55], v[50:51], v[54:55], 0x3fd99999998ef7b6
	v_ldexp_f64 v[36:37], v[36:37], 1
	v_fmaak_f64 v[50:51], v[50:51], v[54:55], 0x3fe5555555555780
	v_ldexp_f64 v[54:55], v[46:47], 1
	v_fmac_f64_e32 v[52:53], v[52:53], v[58:59]
	s_delay_alu instid0(VALU_DEP_3) | instskip(SKIP_2) | instid1(VALU_DEP_4)
	v_mul_f64_e32 v[50:51], v[56:57], v[50:51]
	v_cvt_f64_i32_e32 v[56:57], v21
	v_ashrrev_i32_e32 v21, 31, v15
	v_fma_f64 v[58:59], -v[48:49], v[52:53], 1.0
	s_delay_alu instid0(VALU_DEP_4) | instskip(NEXT) | instid1(VALU_DEP_4)
	v_add_f64_e32 v[46:47], v[54:55], v[50:51]
	v_mul_f64_e32 v[60:61], 0x3fe62e42fefa39ef, v[56:57]
	s_delay_alu instid0(VALU_DEP_3) | instskip(NEXT) | instid1(VALU_DEP_3)
	v_fmac_f64_e32 v[52:53], v[52:53], v[58:59]
	v_add_f64_e64 v[44:45], v[46:47], -v[54:55]
	v_div_scale_f64 v[54:55], vcc_lo, v[38:39], v[42:43], v[38:39]
	s_delay_alu instid0(VALU_DEP_4) | instskip(NEXT) | instid1(VALU_DEP_3)
	v_fma_f64 v[58:59], v[56:57], s[34:35], -v[60:61]
	v_add_f64_e64 v[44:45], v[50:51], -v[44:45]
	s_delay_alu instid0(VALU_DEP_3) | instskip(NEXT) | instid1(VALU_DEP_3)
	v_mul_f64_e32 v[50:51], v[54:55], v[52:53]
	v_fmac_f64_e32 v[58:59], 0x3c7abc9e3b39803f, v[56:57]
	s_delay_alu instid0(VALU_DEP_3) | instskip(NEXT) | instid1(VALU_DEP_3)
	v_add_f64_e32 v[36:37], v[36:37], v[44:45]
	v_fma_f64 v[44:45], -v[48:49], v[50:51], v[54:55]
	s_delay_alu instid0(VALU_DEP_3) | instskip(NEXT) | instid1(VALU_DEP_3)
	v_add_f64_e32 v[48:49], v[60:61], v[58:59]
	v_add_f64_e32 v[54:55], v[46:47], v[36:37]
	s_delay_alu instid0(VALU_DEP_3) | instskip(SKIP_1) | instid1(VALU_DEP_4)
	v_div_fmas_f64 v[44:45], v[44:45], v[52:53], v[50:51]
	v_cmp_gt_i32_e32 vcc_lo, 0, v15
	v_add_f64_e64 v[52:53], v[48:49], -v[60:61]
	s_delay_alu instid0(VALU_DEP_4) | instskip(NEXT) | instid1(VALU_DEP_4)
	v_add_f64_e32 v[50:51], v[48:49], v[54:55]
	v_div_fixup_f64 v[38:39], v[44:45], v[42:43], v[38:39]
	v_add_f64_e64 v[46:47], v[54:55], -v[46:47]
	s_delay_alu instid0(VALU_DEP_4) | instskip(NEXT) | instid1(VALU_DEP_4)
	v_add_f64_e64 v[52:53], v[58:59], -v[52:53]
	v_add_f64_e64 v[42:43], v[50:51], -v[48:49]
	s_delay_alu instid0(VALU_DEP_4) | instskip(NEXT) | instid1(VALU_DEP_4)
	v_mul_f64_e32 v[44:45], v[38:39], v[38:39]
	v_add_f64_e64 v[36:37], v[36:37], -v[46:47]
	s_delay_alu instid0(VALU_DEP_3) | instskip(NEXT) | instid1(VALU_DEP_3)
	v_add_f64_e64 v[56:57], v[50:51], -v[42:43]
	v_fmamk_f64 v[60:61], v[44:45], 0x3eeba404b5e68a13, v[26:27]
	v_add_f64_e64 v[42:43], v[54:55], -v[42:43]
	s_delay_alu instid0(VALU_DEP_4) | instskip(NEXT) | instid1(VALU_DEP_3)
	v_add_f64_e32 v[54:55], v[52:53], v[36:37]
	v_fmaak_f64 v[60:61], v[44:45], v[60:61], 0x3f4b2bb069efb384
	s_delay_alu instid0(VALU_DEP_1) | instskip(SKIP_1) | instid1(VALU_DEP_2)
	v_fmaak_f64 v[60:61], v[44:45], v[60:61], 0xbf67952daf56de9b
	v_add_f64_e64 v[46:47], v[48:49], -v[56:57]
	v_fmaak_f64 v[48:49], v[44:45], v[60:61], 0x3f7d6d43a595c56f
	s_delay_alu instid0(VALU_DEP_1) | instskip(NEXT) | instid1(VALU_DEP_1)
	v_fmaak_f64 v[48:49], v[44:45], v[48:49], 0xbf8c6ea4a57d9582
	v_fmaak_f64 v[48:49], v[44:45], v[48:49], 0x3f967e295f08b19f
	s_delay_alu instid0(VALU_DEP_1) | instskip(NEXT) | instid1(VALU_DEP_1)
	v_fmaak_f64 v[48:49], v[44:45], v[48:49], 0xbf9e9ae6fc27006a
	v_fmaak_f64 v[48:49], v[44:45], v[48:49], 0x3fa2c15b5711927a
	v_add_f64_e32 v[42:43], v[42:43], v[46:47]
	s_delay_alu instid0(VALU_DEP_2) | instskip(SKIP_1) | instid1(VALU_DEP_2)
	v_fmaak_f64 v[46:47], v[44:45], v[48:49], 0xbfa59976e82d3ff0
	v_add_f64_e64 v[48:49], v[54:55], -v[52:53]
	v_fmaak_f64 v[46:47], v[44:45], v[46:47], 0x3fa82d5d6ef28734
	s_delay_alu instid0(VALU_DEP_1) | instskip(NEXT) | instid1(VALU_DEP_1)
	v_fmaak_f64 v[46:47], v[44:45], v[46:47], 0xbfaae5ce6a214619
	v_fmaak_f64 v[46:47], v[44:45], v[46:47], 0x3fae1bb48427b883
	s_delay_alu instid0(VALU_DEP_1) | instskip(SKIP_3) | instid1(VALU_DEP_4)
	v_fmaak_f64 v[46:47], v[44:45], v[46:47], 0xbfb110e48b207f05
	v_add_f64_e32 v[42:43], v[54:55], v[42:43]
	v_add_f64_e64 v[54:55], v[54:55], -v[48:49]
	v_add_f64_e64 v[36:37], v[36:37], -v[48:49]
	v_fmaak_f64 v[46:47], v[44:45], v[46:47], 0x3fb3b13657b87036
	s_delay_alu instid0(VALU_DEP_1) | instskip(NEXT) | instid1(VALU_DEP_1)
	v_fmaak_f64 v[46:47], v[44:45], v[46:47], 0xbfb745d119378e4f
	v_fmaak_f64 v[46:47], v[44:45], v[46:47], 0x3fbc71c717e1913c
	s_delay_alu instid0(VALU_DEP_1) | instskip(SKIP_1) | instid1(VALU_DEP_2)
	v_fmaak_f64 v[46:47], v[44:45], v[46:47], 0xbfc2492492376b7d
	v_add_f64_e32 v[56:57], v[50:51], v[42:43]
	v_fmaak_f64 v[46:47], v[44:45], v[46:47], 0x3fc99999999952cc
	s_delay_alu instid0(VALU_DEP_1) | instskip(NEXT) | instid1(VALU_DEP_1)
	v_fmaak_f64 v[46:47], v[44:45], v[46:47], 0xbfd5555555555523
	v_mul_f64_e32 v[44:45], v[44:45], v[46:47]
	v_add_f64_e64 v[46:47], v[52:53], -v[54:55]
	v_add_f64_e64 v[48:49], v[56:57], -v[50:51]
	s_delay_alu instid0(VALU_DEP_3) | instskip(NEXT) | instid1(VALU_DEP_3)
	v_fmac_f64_e32 v[38:39], v[38:39], v[44:45]
	v_add_f64_e32 v[36:37], v[36:37], v[46:47]
	s_delay_alu instid0(VALU_DEP_3) | instskip(NEXT) | instid1(VALU_DEP_3)
	v_add_f64_e64 v[42:43], v[42:43], -v[48:49]
	v_add_f64_e64 v[44:45], -v[38:39], s[40:41]
	s_delay_alu instid0(VALU_DEP_1) | instskip(NEXT) | instid1(VALU_DEP_2)
	v_dual_add_f64 v[36:37], v[36:37], v[42:43] :: v_dual_cndmask_b32 v39, v39, v45, s6
	v_cndmask_b32_e64 v38, v38, v44, s6
	v_and_b32_e32 v45, 0x54442d18, v21
	v_and_b32_e32 v21, 0x400921fb, v21
	v_cndmask_b32_e32 v44, 0x54442d18, v68, vcc_lo
	s_delay_alu instid0(VALU_DEP_4) | instskip(NEXT) | instid1(VALU_DEP_1)
	v_add_f64_e64 v[42:43], -v[38:39], s[42:43]
	v_dual_add_f64 v[36:37], v[56:57], v[36:37] :: v_dual_cndmask_b32 v38, v38, v42, vcc_lo
	s_delay_alu instid0(VALU_DEP_1) | instskip(NEXT) | instid1(VALU_DEP_2)
	v_cndmask_b32_e64 v38, v38, v45, s7
	v_mul_f64_e32 v[14:15], 0.5, v[36:37]
	v_cndmask_b32_e32 v36, 0x3fe921fb, v69, vcc_lo
	v_cndmask_b32_e32 v37, v39, v43, vcc_lo
	s_and_b32 vcc_lo, s10, s11
                                        ; implicit-def: $vgpr42_vgpr43
	v_cndmask_b32_e32 v38, v38, v44, vcc_lo
	s_delay_alu instid0(VALU_DEP_3) | instskip(NEXT) | instid1(VALU_DEP_3)
	v_bfi_b32 v36, 0x7fffffff, v36, v17
	v_cndmask_b32_e64 v21, v37, v21, s7
                                        ; implicit-def: $vgpr44_vgpr45
	s_delay_alu instid0(VALU_DEP_1)
	v_cndmask_b32_e32 v39, v21, v36, vcc_lo
	v_cndmask_b32_e64 v37, 0xfff00000, v15, s8
	v_cndmask_b32_e64 v36, 0, v14, s8
.LBB185_21:                             ;   in Loop: Header=BB185_4 Depth=1
	s_and_not1_saveexec_b32 s59, s9
	s_cbranch_execz .LBB185_25
; %bb.22:                               ;   in Loop: Header=BB185_4 Depth=1
	v_and_b32_e32 v21, 0x7ffffff8, v45
	v_and_b32_e32 v39, 0x7ffffff8, v43
	v_mov_b32_e32 v38, v20
	s_mov_b32 s60, 0
	v_mov_b32_e32 v46, v20
	v_add_f64_e64 v[36:37], v[44:45], -v[20:21]
	s_delay_alu instid0(VALU_DEP_3) | instskip(SKIP_2) | instid1(VALU_DEP_4)
	v_dual_add_f64 v[40:41], v[42:43], -v[38:39] :: v_dual_mov_b32 v44, v20
	v_add_f64_e32 v[48:49], v[20:21], v[20:21]
	v_add_f64_e32 v[56:57], v[38:39], v[38:39]
	v_dual_mul_f64 v[42:43], v[38:39], v[38:39] :: v_dual_bitop2_b32 v45, -8, v37 bitop3:0x40
	s_delay_alu instid0(VALU_DEP_4) | instskip(NEXT) | instid1(VALU_DEP_2)
	v_and_b32_e32 v47, -8, v41
	v_add_f64_e64 v[58:59], v[36:37], -v[44:45]
	v_add_f64_e32 v[62:63], v[44:45], v[44:45]
	s_delay_alu instid0(VALU_DEP_3)
	v_add_f64_e64 v[60:61], v[40:41], -v[46:47]
	v_add_f64_e32 v[64:65], v[46:47], v[46:47]
	v_mul_f64_e32 v[36:37], v[20:21], v[20:21]
	v_mul_f64_e32 v[54:55], v[48:49], v[44:45]
	v_mul_f64_e32 v[52:53], v[44:45], v[44:45]
	v_mul_f64_e32 v[38:39], v[46:47], v[46:47]
	v_mul_f64_e32 v[40:41], v[56:57], v[46:47]
	v_mul_f64_e32 v[50:51], v[48:49], v[58:59]
	v_mul_f64_e32 v[46:47], v[62:63], v[58:59]
	v_mul_f64_e32 v[48:49], v[56:57], v[60:61]
	v_mul_f64_e32 v[44:45], v[64:65], v[60:61]
	v_mul_f64_e32 v[56:57], v[58:59], v[58:59]
	v_mul_f64_e32 v[58:59], v[60:61], v[60:61]
.LBB185_23:                             ;   Parent Loop BB185_4 Depth=1
                                        ; =>  This Inner Loop Header: Depth=2
	v_cmp_nlt_f64_e32 vcc_lo, v[36:37], v[42:43]
	v_dual_cndmask_b32 v61, v37, v43 :: v_dual_cndmask_b32 v60, v36, v42
	v_dual_cndmask_b32 v37, v43, v37 :: v_dual_cndmask_b32 v36, v42, v36
	s_delay_alu instid0(VALU_DEP_2) | instskip(NEXT) | instid1(VALU_DEP_1)
	v_cmp_nlt_f64_e64 s7, v[60:61], v[54:55]
	v_dual_cndmask_b32 v63, v61, v55, s7 :: v_dual_cndmask_b32 v62, v60, v54, s7
	v_dual_cndmask_b32 v43, v55, v61, s7 :: v_dual_cndmask_b32 v42, v54, v60, s7
	s_and_b32 s7, vcc_lo, s7
	s_delay_alu instid0(VALU_DEP_2) | instskip(NEXT) | instid1(VALU_DEP_1)
	v_cmp_nlt_f64_e64 s8, v[62:63], v[40:41]
	v_dual_cndmask_b32 v65, v63, v41, s8 :: v_dual_cndmask_b32 v64, v62, v40, s8
	v_dual_cndmask_b32 v55, v41, v63, s8 :: v_dual_cndmask_b32 v54, v40, v62, s8
	s_delay_alu instid0(VALU_DEP_2) | instskip(NEXT) | instid1(VALU_DEP_1)
	v_cmp_nlt_f64_e64 s9, v[64:65], v[52:53]
	v_dual_cndmask_b32 v67, v65, v53, s9 :: v_dual_cndmask_b32 v66, v64, v52, s9
	v_dual_cndmask_b32 v41, v53, v65, s9 :: v_dual_cndmask_b32 v40, v52, v64, s9
	s_and_b32 s8, s8, s9
	s_delay_alu instid0(VALU_DEP_2) | instskip(NEXT) | instid1(VALU_DEP_1)
	v_cmp_nlt_f64_e64 s10, v[66:67], v[38:39]
	v_dual_cndmask_b32 v71, v67, v39, s10 :: v_dual_cndmask_b32 v70, v66, v38, s10
	v_dual_cndmask_b32 v53, v39, v67, s10 :: v_dual_cndmask_b32 v52, v38, v66, s10
	s_delay_alu instid0(VALU_DEP_2) | instskip(NEXT) | instid1(VALU_DEP_1)
	v_cmp_nlt_f64_e64 s11, v[70:71], v[50:51]
	v_dual_cndmask_b32 v73, v71, v51, s11 :: v_dual_cndmask_b32 v72, v70, v50, s11
	s_and_b32 s9, s10, s11
	v_dual_cndmask_b32 v39, v51, v71, s11 :: v_dual_cndmask_b32 v38, v50, v70, s11
	s_delay_alu instid0(VALU_DEP_2) | instskip(NEXT) | instid1(VALU_DEP_1)
	v_cmp_nlt_f64_e64 s12, v[72:73], v[48:49]
	v_dual_cndmask_b32 v75, v73, v49, s12 :: v_dual_cndmask_b32 v74, v72, v48, s12
	s_and_b32 s9, s9, s12
	;; [unrolled: 5-line block ×6, first 2 shown]
	v_dual_cndmask_b32 v57, v59, v81, s16 :: v_dual_cndmask_b32 v56, v58, v80, s16
	s_and_b32 s8, s9, s8
	s_delay_alu instid0(VALU_DEP_2) | instskip(SKIP_1) | instid1(SALU_CYCLE_1)
	v_mov_b64_e32 v[58:59], v[60:61]
	s_and_b32 s7, s8, s7
	s_and_b32 s7, exec_lo, s7
	s_delay_alu instid0(SALU_CYCLE_1) | instskip(NEXT) | instid1(SALU_CYCLE_1)
	s_or_b32 s60, s7, s60
	s_and_not1_b32 exec_lo, exec_lo, s60
	s_cbranch_execnz .LBB185_23
; %bb.24:                               ;   in Loop: Header=BB185_4 Depth=1
	s_or_b32 exec_lo, exec_lo, s60
	v_add_f64_e32 v[36:37], -1.0, v[36:37]
	v_cmp_eq_f64_e64 s7, 0, v[16:17]
	v_cmp_class_f64_e64 s11, v[14:15], 0x204
	v_cmp_class_f64_e64 s10, v[16:17], 0x204
	s_delay_alu instid0(VALU_DEP_4) | instskip(NEXT) | instid1(VALU_DEP_1)
	v_add_f64_e32 v[36:37], v[36:37], v[42:43]
	v_add_f64_e32 v[36:37], v[36:37], v[54:55]
	s_delay_alu instid0(VALU_DEP_1) | instskip(NEXT) | instid1(VALU_DEP_1)
	v_add_f64_e32 v[36:37], v[36:37], v[40:41]
	v_add_f64_e32 v[36:37], v[36:37], v[52:53]
	s_delay_alu instid0(VALU_DEP_1) | instskip(NEXT) | instid1(VALU_DEP_1)
	v_add_f64_e32 v[36:37], v[36:37], v[38:39]
	v_add_f64_e32 v[36:37], v[36:37], v[50:51]
	s_delay_alu instid0(VALU_DEP_1) | instskip(NEXT) | instid1(VALU_DEP_1)
	v_add_f64_e32 v[36:37], v[36:37], v[48:49]
	v_add_f64_e32 v[36:37], v[36:37], v[46:47]
	s_delay_alu instid0(VALU_DEP_1) | instskip(NEXT) | instid1(VALU_DEP_1)
	v_add_f64_e32 v[36:37], v[36:37], v[44:45]
	v_add_f64_e32 v[36:37], v[36:37], v[56:57]
	s_delay_alu instid0(VALU_DEP_1) | instskip(NEXT) | instid1(VALU_DEP_1)
	v_add_f64_e32 v[40:41], v[60:61], v[36:37]
	v_add_f64_e32 v[36:37], 1.0, v[40:41]
	v_cmp_nge_f64_e64 s8, -1.0, v[40:41]
	v_cmp_neq_f64_e64 s9, 0x7ff00000, v[40:41]
	s_delay_alu instid0(VALU_DEP_3) | instskip(SKIP_2) | instid1(VALU_DEP_3)
	v_frexp_mant_f64_e32 v[38:39], v[36:37]
	v_frexp_exp_i32_f64_e32 v21, v[36:37]
	v_add_f64_e32 v[42:43], -1.0, v[36:37]
	v_cmp_gt_f64_e32 vcc_lo, s[30:31], v[38:39]
	s_delay_alu instid0(VALU_DEP_2) | instskip(SKIP_2) | instid1(VALU_DEP_1)
	v_add_f64_e64 v[38:39], v[42:43], -v[36:37]
	v_add_f64_e64 v[42:43], v[40:41], -v[42:43]
	v_subrev_co_ci_u32_e64 v21, null, 0, v21, vcc_lo
	v_dual_add_f64 v[38:39], 1.0, v[38:39] :: v_dual_sub_nc_u32 v46, 0, v21
	s_delay_alu instid0(VALU_DEP_1) | instskip(NEXT) | instid1(VALU_DEP_2)
	v_ldexp_f64 v[36:37], v[36:37], v46
	v_add_f64_e32 v[38:39], v[42:43], v[38:39]
	s_delay_alu instid0(VALU_DEP_2) | instskip(SKIP_1) | instid1(VALU_DEP_3)
	v_add_f64_e32 v[44:45], 1.0, v[36:37]
	v_add_f64_e32 v[50:51], -1.0, v[36:37]
	v_ldexp_f64 v[38:39], v[38:39], v46
	s_delay_alu instid0(VALU_DEP_3) | instskip(NEXT) | instid1(VALU_DEP_3)
	v_add_f64_e32 v[42:43], -1.0, v[44:45]
	v_add_f64_e32 v[52:53], 1.0, v[50:51]
	s_delay_alu instid0(VALU_DEP_2) | instskip(NEXT) | instid1(VALU_DEP_2)
	v_add_f64_e64 v[42:43], v[36:37], -v[42:43]
	v_add_f64_e64 v[36:37], v[36:37], -v[52:53]
	s_delay_alu instid0(VALU_DEP_2) | instskip(NEXT) | instid1(VALU_DEP_2)
	v_add_f64_e32 v[42:43], v[38:39], v[42:43]
	v_add_f64_e32 v[36:37], v[38:39], v[36:37]
	s_delay_alu instid0(VALU_DEP_2) | instskip(NEXT) | instid1(VALU_DEP_2)
	v_add_f64_e32 v[46:47], v[44:45], v[42:43]
	v_add_f64_e32 v[52:53], v[50:51], v[36:37]
	s_delay_alu instid0(VALU_DEP_2) | instskip(SKIP_1) | instid1(VALU_DEP_2)
	v_rcp_f64_e32 v[48:49], v[46:47]
	v_add_f64_e64 v[44:45], v[46:47], -v[44:45]
	v_add_f64_e64 v[50:51], v[52:53], -v[50:51]
	s_delay_alu instid0(VALU_DEP_2) | instskip(NEXT) | instid1(VALU_DEP_2)
	v_add_f64_e64 v[42:43], v[42:43], -v[44:45]
	v_add_f64_e64 v[36:37], v[36:37], -v[50:51]
	s_delay_alu instid0(TRANS32_DEP_1) | instskip(NEXT) | instid1(VALU_DEP_1)
	v_fma_f64 v[54:55], -v[46:47], v[48:49], 1.0
	v_fmac_f64_e32 v[48:49], v[54:55], v[48:49]
	s_delay_alu instid0(VALU_DEP_1) | instskip(NEXT) | instid1(VALU_DEP_1)
	v_fma_f64 v[38:39], -v[46:47], v[48:49], 1.0
	v_fmac_f64_e32 v[48:49], v[38:39], v[48:49]
	s_delay_alu instid0(VALU_DEP_1) | instskip(NEXT) | instid1(VALU_DEP_1)
	v_mul_f64_e32 v[38:39], v[52:53], v[48:49]
	v_mul_f64_e32 v[54:55], v[46:47], v[38:39]
	s_delay_alu instid0(VALU_DEP_1) | instskip(NEXT) | instid1(VALU_DEP_1)
	v_fma_f64 v[44:45], v[38:39], v[46:47], -v[54:55]
	v_fmac_f64_e32 v[44:45], v[38:39], v[42:43]
	s_delay_alu instid0(VALU_DEP_1) | instskip(NEXT) | instid1(VALU_DEP_1)
	v_add_f64_e32 v[56:57], v[54:55], v[44:45]
	v_add_f64_e64 v[58:59], v[52:53], -v[56:57]
	v_add_f64_e64 v[50:51], v[56:57], -v[54:55]
	s_delay_alu instid0(VALU_DEP_2) | instskip(NEXT) | instid1(VALU_DEP_2)
	v_add_f64_e64 v[52:53], v[52:53], -v[58:59]
	v_add_f64_e64 v[44:45], v[50:51], -v[44:45]
	s_delay_alu instid0(VALU_DEP_2) | instskip(NEXT) | instid1(VALU_DEP_1)
	v_add_f64_e64 v[52:53], v[52:53], -v[56:57]
	v_add_f64_e32 v[36:37], v[36:37], v[52:53]
	s_delay_alu instid0(VALU_DEP_1) | instskip(NEXT) | instid1(VALU_DEP_1)
	v_add_f64_e32 v[36:37], v[44:45], v[36:37]
	v_add_f64_e32 v[44:45], v[58:59], v[36:37]
	s_delay_alu instid0(VALU_DEP_1) | instskip(SKIP_1) | instid1(VALU_DEP_2)
	v_mul_f64_e32 v[50:51], v[48:49], v[44:45]
	v_add_f64_e64 v[56:57], v[58:59], -v[44:45]
	v_mul_f64_e32 v[52:53], v[46:47], v[50:51]
	s_delay_alu instid0(VALU_DEP_2) | instskip(NEXT) | instid1(VALU_DEP_2)
	v_add_f64_e32 v[36:37], v[36:37], v[56:57]
	v_fma_f64 v[46:47], v[50:51], v[46:47], -v[52:53]
	s_delay_alu instid0(VALU_DEP_1) | instskip(NEXT) | instid1(VALU_DEP_1)
	v_fmac_f64_e32 v[46:47], v[50:51], v[42:43]
	v_add_f64_e32 v[42:43], v[52:53], v[46:47]
	s_delay_alu instid0(VALU_DEP_1) | instskip(SKIP_1) | instid1(VALU_DEP_2)
	v_add_f64_e64 v[54:55], v[44:45], -v[42:43]
	v_add_f64_e64 v[52:53], v[42:43], -v[52:53]
	v_add_f64_e64 v[44:45], v[44:45], -v[54:55]
	s_delay_alu instid0(VALU_DEP_1) | instskip(NEXT) | instid1(VALU_DEP_3)
	v_add_f64_e64 v[42:43], v[44:45], -v[42:43]
	v_add_f64_e64 v[44:45], v[52:53], -v[46:47]
	v_max_num_f64_e64 v[46:47], |v[14:15]|, |v[14:15]|
	s_delay_alu instid0(VALU_DEP_3) | instskip(SKIP_1) | instid1(VALU_DEP_2)
	v_add_f64_e32 v[36:37], v[36:37], v[42:43]
	v_add_f64_e32 v[42:43], v[38:39], v[50:51]
	;; [unrolled: 1-line block ×3, first 2 shown]
	s_delay_alu instid0(VALU_DEP_2) | instskip(SKIP_1) | instid1(VALU_DEP_3)
	v_add_f64_e64 v[38:39], v[42:43], -v[38:39]
	v_max_num_f64_e64 v[44:45], |v[16:17]|, |v[16:17]|
	v_add_f64_e32 v[36:37], v[54:55], v[36:37]
	s_delay_alu instid0(VALU_DEP_3) | instskip(NEXT) | instid1(VALU_DEP_2)
	v_add_f64_e64 v[38:39], v[50:51], -v[38:39]
	v_mul_f64_e32 v[36:37], v[48:49], v[36:37]
	s_delay_alu instid0(VALU_DEP_1) | instskip(SKIP_2) | instid1(VALU_DEP_3)
	v_add_f64_e32 v[36:37], v[38:39], v[36:37]
	v_max_num_f64_e32 v[38:39], v[46:47], v[44:45]
	v_min_num_f64_e32 v[44:45], v[46:47], v[44:45]
	v_add_f64_e32 v[46:47], v[42:43], v[36:37]
	s_delay_alu instid0(VALU_DEP_2) | instskip(NEXT) | instid1(VALU_DEP_2)
	v_div_scale_f64 v[48:49], null, v[38:39], v[38:39], v[44:45]
	v_mul_f64_e32 v[50:51], v[46:47], v[46:47]
	v_add_f64_e64 v[42:43], v[46:47], -v[42:43]
	s_delay_alu instid0(VALU_DEP_3) | instskip(NEXT) | instid1(VALU_DEP_2)
	v_rcp_f64_e32 v[52:53], v[48:49]
	v_fmamk_f64 v[54:55], v[50:51], 0x3fc3ab76bf559e2b, v[24:25]
	v_mul_f64_e32 v[56:57], v[46:47], v[50:51]
	s_delay_alu instid0(VALU_DEP_3) | instskip(NEXT) | instid1(VALU_DEP_3)
	v_add_f64_e64 v[36:37], v[36:37], -v[42:43]
	v_fmaak_f64 v[54:55], v[50:51], v[54:55], 0x3fc7474dd7f4df2e
	s_delay_alu instid0(TRANS32_DEP_1) | instskip(NEXT) | instid1(VALU_DEP_2)
	v_fma_f64 v[58:59], -v[48:49], v[52:53], 1.0
	v_fmaak_f64 v[54:55], v[50:51], v[54:55], 0x3fcc71c016291751
	s_delay_alu instid0(VALU_DEP_1) | instskip(NEXT) | instid1(VALU_DEP_1)
	v_fmaak_f64 v[54:55], v[50:51], v[54:55], 0x3fd249249b27acf1
	v_fmaak_f64 v[54:55], v[50:51], v[54:55], 0x3fd99999998ef7b6
	v_ldexp_f64 v[36:37], v[36:37], 1
	s_delay_alu instid0(VALU_DEP_2) | instskip(SKIP_2) | instid1(VALU_DEP_3)
	v_fmaak_f64 v[50:51], v[50:51], v[54:55], 0x3fe5555555555780
	v_ldexp_f64 v[54:55], v[46:47], 1
	v_fmac_f64_e32 v[52:53], v[52:53], v[58:59]
	v_mul_f64_e32 v[50:51], v[56:57], v[50:51]
	v_cvt_f64_i32_e32 v[56:57], v21
	v_ashrrev_i32_e32 v21, 31, v15
	s_delay_alu instid0(VALU_DEP_4) | instskip(NEXT) | instid1(VALU_DEP_4)
	v_fma_f64 v[58:59], -v[48:49], v[52:53], 1.0
	v_add_f64_e32 v[46:47], v[54:55], v[50:51]
	s_delay_alu instid0(VALU_DEP_4) | instskip(NEXT) | instid1(VALU_DEP_3)
	v_mul_f64_e32 v[60:61], 0x3fe62e42fefa39ef, v[56:57]
	v_fmac_f64_e32 v[52:53], v[52:53], v[58:59]
	s_delay_alu instid0(VALU_DEP_3) | instskip(SKIP_1) | instid1(VALU_DEP_4)
	v_add_f64_e64 v[42:43], v[46:47], -v[54:55]
	v_div_scale_f64 v[54:55], vcc_lo, v[44:45], v[38:39], v[44:45]
	v_fma_f64 v[58:59], v[56:57], s[34:35], -v[60:61]
	s_delay_alu instid0(VALU_DEP_3) | instskip(NEXT) | instid1(VALU_DEP_3)
	v_add_f64_e64 v[42:43], v[50:51], -v[42:43]
	v_mul_f64_e32 v[50:51], v[54:55], v[52:53]
	s_delay_alu instid0(VALU_DEP_3) | instskip(NEXT) | instid1(VALU_DEP_3)
	v_fmac_f64_e32 v[58:59], 0x3c7abc9e3b39803f, v[56:57]
	v_add_f64_e32 v[36:37], v[36:37], v[42:43]
	s_delay_alu instid0(VALU_DEP_3) | instskip(NEXT) | instid1(VALU_DEP_3)
	v_fma_f64 v[42:43], -v[48:49], v[50:51], v[54:55]
	v_add_f64_e32 v[48:49], v[60:61], v[58:59]
	s_delay_alu instid0(VALU_DEP_3) | instskip(NEXT) | instid1(VALU_DEP_3)
	v_add_f64_e32 v[54:55], v[46:47], v[36:37]
	v_div_fmas_f64 v[42:43], v[42:43], v[52:53], v[50:51]
	v_cmp_gt_i32_e32 vcc_lo, 0, v15
	s_delay_alu instid0(VALU_DEP_4) | instskip(SKIP_2) | instid1(VALU_DEP_1)
	v_add_f64_e64 v[52:53], v[48:49], -v[60:61]
	v_and_b32_e32 v15, 0x400921fb, v21
	v_cndmask_b32_e32 v14, 0x3fe921fb, v69, vcc_lo
	v_bfi_b32 v14, 0x7fffffff, v14, v17
	v_add_f64_e32 v[50:51], v[48:49], v[54:55]
	v_div_fixup_f64 v[38:39], v[42:43], v[38:39], v[44:45]
	v_add_f64_e64 v[46:47], v[54:55], -v[46:47]
	v_add_f64_e64 v[52:53], v[58:59], -v[52:53]
	s_delay_alu instid0(VALU_DEP_4) | instskip(NEXT) | instid1(VALU_DEP_4)
	v_add_f64_e64 v[42:43], v[50:51], -v[48:49]
	v_mul_f64_e32 v[44:45], v[38:39], v[38:39]
	s_delay_alu instid0(VALU_DEP_4) | instskip(NEXT) | instid1(VALU_DEP_3)
	v_add_f64_e64 v[36:37], v[36:37], -v[46:47]
	v_add_f64_e64 v[56:57], v[50:51], -v[42:43]
	s_delay_alu instid0(VALU_DEP_3) | instskip(SKIP_1) | instid1(VALU_DEP_4)
	v_fmamk_f64 v[60:61], v[44:45], 0x3eeba404b5e68a13, v[26:27]
	v_add_f64_e64 v[42:43], v[54:55], -v[42:43]
	v_add_f64_e32 v[54:55], v[52:53], v[36:37]
	s_delay_alu instid0(VALU_DEP_3) | instskip(SKIP_1) | instid1(VALU_DEP_2)
	v_fmaak_f64 v[60:61], v[44:45], v[60:61], 0x3f4b2bb069efb384
	v_add_f64_e64 v[46:47], v[48:49], -v[56:57]
	v_fmaak_f64 v[48:49], v[44:45], v[60:61], 0xbf67952daf56de9b
	s_delay_alu instid0(VALU_DEP_1) | instskip(NEXT) | instid1(VALU_DEP_1)
	v_fmaak_f64 v[48:49], v[44:45], v[48:49], 0x3f7d6d43a595c56f
	v_fmaak_f64 v[48:49], v[44:45], v[48:49], 0xbf8c6ea4a57d9582
	s_delay_alu instid0(VALU_DEP_1) | instskip(NEXT) | instid1(VALU_DEP_1)
	v_fmaak_f64 v[48:49], v[44:45], v[48:49], 0x3f967e295f08b19f
	v_fmaak_f64 v[48:49], v[44:45], v[48:49], 0xbf9e9ae6fc27006a
	v_add_f64_e32 v[42:43], v[42:43], v[46:47]
	s_delay_alu instid0(VALU_DEP_2) | instskip(SKIP_1) | instid1(VALU_DEP_2)
	v_fmaak_f64 v[46:47], v[44:45], v[48:49], 0x3fa2c15b5711927a
	v_add_f64_e64 v[48:49], v[54:55], -v[52:53]
	v_fmaak_f64 v[46:47], v[44:45], v[46:47], 0xbfa59976e82d3ff0
	s_delay_alu instid0(VALU_DEP_1) | instskip(NEXT) | instid1(VALU_DEP_1)
	v_fmaak_f64 v[46:47], v[44:45], v[46:47], 0x3fa82d5d6ef28734
	v_fmaak_f64 v[46:47], v[44:45], v[46:47], 0xbfaae5ce6a214619
	s_delay_alu instid0(VALU_DEP_1) | instskip(SKIP_3) | instid1(VALU_DEP_4)
	v_fmaak_f64 v[46:47], v[44:45], v[46:47], 0x3fae1bb48427b883
	v_add_f64_e32 v[42:43], v[54:55], v[42:43]
	v_add_f64_e64 v[54:55], v[54:55], -v[48:49]
	v_add_f64_e64 v[36:37], v[36:37], -v[48:49]
	v_fmaak_f64 v[46:47], v[44:45], v[46:47], 0xbfb110e48b207f05
	s_delay_alu instid0(VALU_DEP_1) | instskip(NEXT) | instid1(VALU_DEP_1)
	v_fmaak_f64 v[46:47], v[44:45], v[46:47], 0x3fb3b13657b87036
	v_fmaak_f64 v[46:47], v[44:45], v[46:47], 0xbfb745d119378e4f
	s_delay_alu instid0(VALU_DEP_1) | instskip(SKIP_1) | instid1(VALU_DEP_2)
	v_fmaak_f64 v[46:47], v[44:45], v[46:47], 0x3fbc71c717e1913c
	v_add_f64_e32 v[56:57], v[50:51], v[42:43]
	v_fmaak_f64 v[46:47], v[44:45], v[46:47], 0xbfc2492492376b7d
	s_delay_alu instid0(VALU_DEP_1) | instskip(NEXT) | instid1(VALU_DEP_1)
	v_fmaak_f64 v[46:47], v[44:45], v[46:47], 0x3fc99999999952cc
	v_fmaak_f64 v[46:47], v[44:45], v[46:47], 0xbfd5555555555523
	s_delay_alu instid0(VALU_DEP_1) | instskip(SKIP_2) | instid1(VALU_DEP_3)
	v_mul_f64_e32 v[44:45], v[44:45], v[46:47]
	v_add_f64_e64 v[46:47], v[52:53], -v[54:55]
	v_add_f64_e64 v[48:49], v[56:57], -v[50:51]
	v_fmac_f64_e32 v[38:39], v[38:39], v[44:45]
	s_delay_alu instid0(VALU_DEP_3) | instskip(NEXT) | instid1(VALU_DEP_3)
	v_add_f64_e32 v[36:37], v[36:37], v[46:47]
	v_add_f64_e64 v[42:43], v[42:43], -v[48:49]
	s_delay_alu instid0(VALU_DEP_3) | instskip(NEXT) | instid1(VALU_DEP_1)
	v_add_f64_e64 v[44:45], -v[38:39], s[40:41]
	v_dual_add_f64 v[36:37], v[36:37], v[42:43] :: v_dual_cndmask_b32 v39, v39, v45, s6
	s_delay_alu instid0(VALU_DEP_2) | instskip(SKIP_2) | instid1(VALU_DEP_3)
	v_cndmask_b32_e64 v38, v38, v44, s6
	v_and_b32_e32 v45, 0x54442d18, v21
	v_cndmask_b32_e32 v44, 0x54442d18, v68, vcc_lo
	v_add_f64_e64 v[42:43], -v[38:39], s[42:43]
	s_delay_alu instid0(VALU_DEP_1) | instskip(NEXT) | instid1(VALU_DEP_2)
	v_dual_add_f64 v[36:37], v[56:57], v[36:37] :: v_dual_cndmask_b32 v38, v38, v42, vcc_lo
	v_cndmask_b32_e32 v21, v39, v43, vcc_lo
	v_cmp_ngt_f64_e32 vcc_lo, -1.0, v[40:41]
	s_delay_alu instid0(VALU_DEP_3) | instskip(NEXT) | instid1(VALU_DEP_3)
	v_mul_f64_e32 v[36:37], 0.5, v[36:37]
	v_dual_cndmask_b32 v38, v38, v45, s7 :: v_dual_cndmask_b32 v15, v21, v15, s7
	s_and_b32 s7, s8, s9
	s_delay_alu instid0(VALU_DEP_2) | instid1(SALU_CYCLE_1)
	v_cndmask_b32_e64 v36, 0, v36, s7
	v_cmp_neq_f64_e64 s7, -1.0, v[40:41]
	s_delay_alu instid0(VALU_DEP_4) | instskip(NEXT) | instid1(VALU_DEP_1)
	v_cndmask_b32_e64 v37, 0x7ff00000, v37, s9
	v_cndmask_b32_e32 v21, 0x7ff80000, v37, vcc_lo
	s_and_b32 vcc_lo, s10, s11
	v_dual_cndmask_b32 v39, v15, v14 :: v_dual_cndmask_b32 v38, v38, v44
	s_delay_alu instid0(VALU_DEP_2)
	v_cndmask_b32_e64 v37, 0xfff00000, v21, s7
.LBB185_25:                             ;   in Loop: Header=BB185_4 Depth=1
	s_or_b32 exec_lo, exec_lo, s59
.LBB185_26:                             ;   in Loop: Header=BB185_4 Depth=1
	s_delay_alu instid0(SALU_CYCLE_1)
	s_or_b32 exec_lo, exec_lo, s58
.LBB185_27:                             ;   in Loop: Header=BB185_4 Depth=1
	s_and_not1_saveexec_b32 s9, s57
	s_cbranch_execz .LBB185_29
; %bb.28:                               ;   in Loop: Header=BB185_4 Depth=1
	v_max_num_f64_e64 v[36:37], |v[16:17]|, |v[16:17]|
	v_max_num_f64_e64 v[38:39], |v[14:15]|, |v[14:15]|
	v_cmp_class_f64_e64 s10, v[14:15], 0x204
	v_cmp_class_f64_e64 s11, v[16:17], 0x204
	v_cmp_eq_f64_e64 s8, 0, v[16:17]
	s_delay_alu instid0(VALU_DEP_4) | instskip(SKIP_2) | instid1(VALU_DEP_2)
	v_max_num_f64_e32 v[40:41], v[38:39], v[36:37]
	v_min_num_f64_e32 v[36:37], v[38:39], v[36:37]
	s_or_b32 s7, s11, s10
	v_frexp_exp_i32_f64_e32 v21, v[40:41]
	s_delay_alu instid0(VALU_DEP_1) | instskip(NEXT) | instid1(VALU_DEP_1)
	v_sub_nc_u32_e32 v44, 0, v21
	v_ldexp_f64 v[42:43], |v[16:17]|, v44
	s_delay_alu instid0(VALU_DEP_1) | instskip(SKIP_1) | instid1(VALU_DEP_1)
	v_mul_f64_e32 v[42:43], v[42:43], v[42:43]
	v_ldexp_f64 v[44:45], |v[14:15]|, v44
	v_fmac_f64_e32 v[42:43], v[44:45], v[44:45]
	s_delay_alu instid0(VALU_DEP_1) | instskip(SKIP_1) | instid1(TRANS32_DEP_1)
	v_rsq_f64_e32 v[44:45], v[42:43]
	v_cmp_eq_f64_e32 vcc_lo, 0, v[42:43]
	v_mul_f64_e32 v[46:47], v[42:43], v[44:45]
	v_mul_f64_e32 v[44:45], 0.5, v[44:45]
	s_delay_alu instid0(VALU_DEP_1) | instskip(NEXT) | instid1(VALU_DEP_1)
	v_fma_f64 v[48:49], -v[44:45], v[46:47], 0.5
	v_fmac_f64_e32 v[46:47], v[46:47], v[48:49]
	v_fmac_f64_e32 v[44:45], v[44:45], v[48:49]
	s_delay_alu instid0(VALU_DEP_2) | instskip(NEXT) | instid1(VALU_DEP_1)
	v_fma_f64 v[48:49], -v[46:47], v[46:47], v[42:43]
	v_fmac_f64_e32 v[46:47], v[48:49], v[44:45]
	s_delay_alu instid0(VALU_DEP_1) | instskip(NEXT) | instid1(VALU_DEP_1)
	v_dual_cndmask_b32 v43, v47, v43 :: v_dual_cndmask_b32 v42, v46, v42
	v_ldexp_f64 v[42:43], v[42:43], v21
	v_ashrrev_i32_e32 v21, 31, v15
	s_delay_alu instid0(VALU_DEP_2) | instskip(NEXT) | instid1(VALU_DEP_3)
	v_cndmask_b32_e64 v43, v43, 0x7ff00000, s7
	v_cndmask_b32_e64 v42, v42, 0, s7
	s_delay_alu instid0(VALU_DEP_1) | instskip(SKIP_1) | instid1(VALU_DEP_2)
	v_frexp_mant_f64_e32 v[44:45], v[42:43]
	v_cmp_class_f64_e64 s7, v[42:43], 0x204
	v_cmp_gt_f64_e32 vcc_lo, s[30:31], v[44:45]
	v_cndmask_b32_e64 v14, 0, 1, vcc_lo
	s_delay_alu instid0(VALU_DEP_1) | instskip(SKIP_1) | instid1(VALU_DEP_2)
	v_ldexp_f64 v[44:45], v[44:45], v14
	v_frexp_exp_i32_f64_e32 v14, v[42:43]
	v_add_f64_e32 v[46:47], 1.0, v[44:45]
	v_add_f64_e32 v[52:53], -1.0, v[44:45]
	s_delay_alu instid0(VALU_DEP_3) | instskip(SKIP_1) | instid1(VALU_DEP_4)
	v_subrev_co_ci_u32_e64 v14, null, 0, v14, vcc_lo
	v_div_scale_f64 v[60:61], vcc_lo, v[36:37], v[40:41], v[36:37]
	v_rcp_f64_e32 v[48:49], v[46:47]
	v_add_f64_e32 v[54:55], -1.0, v[46:47]
	s_delay_alu instid0(VALU_DEP_1) | instskip(NEXT) | instid1(TRANS32_DEP_1)
	v_add_f64_e64 v[44:45], v[44:45], -v[54:55]
	v_fma_f64 v[50:51], -v[46:47], v[48:49], 1.0
	s_delay_alu instid0(VALU_DEP_1) | instskip(NEXT) | instid1(VALU_DEP_1)
	v_fmac_f64_e32 v[48:49], v[50:51], v[48:49]
	v_fma_f64 v[50:51], -v[46:47], v[48:49], 1.0
	s_delay_alu instid0(VALU_DEP_1) | instskip(NEXT) | instid1(VALU_DEP_1)
	v_fmac_f64_e32 v[48:49], v[50:51], v[48:49]
	v_mul_f64_e32 v[50:51], v[52:53], v[48:49]
	s_delay_alu instid0(VALU_DEP_1) | instskip(NEXT) | instid1(VALU_DEP_1)
	v_mul_f64_e32 v[56:57], v[46:47], v[50:51]
	v_fma_f64 v[46:47], v[50:51], v[46:47], -v[56:57]
	s_delay_alu instid0(VALU_DEP_1) | instskip(NEXT) | instid1(VALU_DEP_1)
	v_fmac_f64_e32 v[46:47], v[50:51], v[44:45]
	v_add_f64_e32 v[44:45], v[56:57], v[46:47]
	s_delay_alu instid0(VALU_DEP_1) | instskip(SKIP_1) | instid1(VALU_DEP_2)
	v_add_f64_e64 v[54:55], v[52:53], -v[44:45]
	v_add_f64_e64 v[56:57], v[44:45], -v[56:57]
	v_add_f64_e64 v[52:53], v[52:53], -v[54:55]
	s_delay_alu instid0(VALU_DEP_2) | instskip(NEXT) | instid1(VALU_DEP_2)
	v_add_f64_e64 v[46:47], v[56:57], -v[46:47]
	v_add_f64_e64 v[44:45], v[52:53], -v[44:45]
	s_delay_alu instid0(VALU_DEP_1) | instskip(NEXT) | instid1(VALU_DEP_1)
	v_add_f64_e32 v[44:45], v[46:47], v[44:45]
	v_add_f64_e32 v[44:45], v[54:55], v[44:45]
	s_delay_alu instid0(VALU_DEP_1) | instskip(SKIP_1) | instid1(VALU_DEP_2)
	v_mul_f64_e32 v[38:39], v[48:49], v[44:45]
	v_div_scale_f64 v[44:45], null, v[40:41], v[40:41], v[36:37]
	v_add_f64_e32 v[46:47], v[50:51], v[38:39]
	s_delay_alu instid0(VALU_DEP_2) | instskip(NEXT) | instid1(VALU_DEP_1)
	v_rcp_f64_e32 v[48:49], v[44:45]
	v_mul_f64_e32 v[52:53], v[46:47], v[46:47]
	s_delay_alu instid0(TRANS32_DEP_1) | instskip(NEXT) | instid1(VALU_DEP_2)
	v_fma_f64 v[56:57], -v[44:45], v[48:49], 1.0
	v_fmamk_f64 v[54:55], v[52:53], 0x3fc3ab76bf559e2b, v[24:25]
	v_mul_f64_e32 v[58:59], v[46:47], v[52:53]
	s_delay_alu instid0(VALU_DEP_2) | instskip(NEXT) | instid1(VALU_DEP_4)
	v_fmaak_f64 v[54:55], v[52:53], v[54:55], 0x3fc7474dd7f4df2e
	v_fmac_f64_e32 v[48:49], v[48:49], v[56:57]
	s_delay_alu instid0(VALU_DEP_2) | instskip(NEXT) | instid1(VALU_DEP_1)
	v_fmaak_f64 v[54:55], v[52:53], v[54:55], 0x3fcc71c016291751
	v_fmaak_f64 v[54:55], v[52:53], v[54:55], 0x3fd249249b27acf1
	s_delay_alu instid0(VALU_DEP_1) | instskip(NEXT) | instid1(VALU_DEP_1)
	v_fmaak_f64 v[54:55], v[52:53], v[54:55], 0x3fd99999998ef7b6
	v_fmaak_f64 v[52:53], v[52:53], v[54:55], 0x3fe5555555555780
	v_ldexp_f64 v[54:55], v[46:47], 1
	v_add_f64_e64 v[46:47], v[46:47], -v[50:51]
	v_fma_f64 v[56:57], -v[44:45], v[48:49], 1.0
	s_delay_alu instid0(VALU_DEP_4) | instskip(SKIP_1) | instid1(VALU_DEP_4)
	v_mul_f64_e32 v[52:53], v[58:59], v[52:53]
	v_cvt_f64_i32_e32 v[58:59], v14
	v_add_f64_e64 v[38:39], v[38:39], -v[46:47]
	s_delay_alu instid0(VALU_DEP_4) | instskip(NEXT) | instid1(VALU_DEP_4)
	v_fmac_f64_e32 v[48:49], v[48:49], v[56:57]
	v_add_f64_e32 v[50:51], v[54:55], v[52:53]
	s_delay_alu instid0(VALU_DEP_4) | instskip(NEXT) | instid1(VALU_DEP_4)
	v_mul_f64_e32 v[56:57], 0x3fe62e42fefa39ef, v[58:59]
	v_ldexp_f64 v[38:39], v[38:39], 1
	s_delay_alu instid0(VALU_DEP_3) | instskip(SKIP_1) | instid1(VALU_DEP_4)
	v_add_f64_e64 v[46:47], v[50:51], -v[54:55]
	v_mul_f64_e32 v[54:55], v[60:61], v[48:49]
	v_fma_f64 v[62:63], v[58:59], s[34:35], -v[56:57]
	s_delay_alu instid0(VALU_DEP_3) | instskip(NEXT) | instid1(VALU_DEP_3)
	v_add_f64_e64 v[46:47], v[52:53], -v[46:47]
	v_fma_f64 v[44:45], -v[44:45], v[54:55], v[60:61]
	s_delay_alu instid0(VALU_DEP_3) | instskip(NEXT) | instid1(VALU_DEP_3)
	v_fmac_f64_e32 v[62:63], 0x3c7abc9e3b39803f, v[58:59]
	v_add_f64_e32 v[38:39], v[38:39], v[46:47]
	s_delay_alu instid0(VALU_DEP_3) | instskip(NEXT) | instid1(VALU_DEP_3)
	v_div_fmas_f64 v[44:45], v[44:45], v[48:49], v[54:55]
	v_add_f64_e32 v[46:47], v[56:57], v[62:63]
	v_cmp_gt_i32_e32 vcc_lo, 0, v15
	s_delay_alu instid0(VALU_DEP_4) | instskip(NEXT) | instid1(VALU_DEP_4)
	v_add_f64_e32 v[48:49], v[50:51], v[38:39]
	v_div_fixup_f64 v[36:37], v[44:45], v[40:41], v[36:37]
	s_delay_alu instid0(VALU_DEP_4) | instskip(NEXT) | instid1(VALU_DEP_3)
	v_add_f64_e64 v[56:57], v[46:47], -v[56:57]
	v_add_f64_e32 v[40:41], v[46:47], v[48:49]
	s_delay_alu instid0(VALU_DEP_3) | instskip(SKIP_1) | instid1(VALU_DEP_4)
	v_mul_f64_e32 v[44:45], v[36:37], v[36:37]
	v_add_f64_e64 v[50:51], v[48:49], -v[50:51]
	v_add_f64_e64 v[56:57], v[62:63], -v[56:57]
	s_delay_alu instid0(VALU_DEP_4) | instskip(NEXT) | instid1(VALU_DEP_4)
	v_add_f64_e64 v[52:53], v[40:41], -v[46:47]
	v_fmamk_f64 v[54:55], v[44:45], 0x3eeba404b5e68a13, v[26:27]
	s_delay_alu instid0(VALU_DEP_4) | instskip(NEXT) | instid1(VALU_DEP_2)
	v_add_f64_e64 v[38:39], v[38:39], -v[50:51]
	v_fmaak_f64 v[54:55], v[44:45], v[54:55], 0x3f4b2bb069efb384
	s_delay_alu instid0(VALU_DEP_1) | instskip(NEXT) | instid1(VALU_DEP_1)
	v_fmaak_f64 v[54:55], v[44:45], v[54:55], 0xbf67952daf56de9b
	v_fmaak_f64 v[54:55], v[44:45], v[54:55], 0x3f7d6d43a595c56f
	s_delay_alu instid0(VALU_DEP_1) | instskip(SKIP_3) | instid1(VALU_DEP_4)
	v_fmaak_f64 v[54:55], v[44:45], v[54:55], 0xbf8c6ea4a57d9582
	v_add_f64_e64 v[58:59], v[40:41], -v[52:53]
	v_add_f64_e64 v[48:49], v[48:49], -v[52:53]
	v_add_f64_e32 v[52:53], v[56:57], v[38:39]
	v_fmaak_f64 v[54:55], v[44:45], v[54:55], 0x3f967e295f08b19f
	s_delay_alu instid0(VALU_DEP_1) | instskip(NEXT) | instid1(VALU_DEP_1)
	v_fmaak_f64 v[50:51], v[44:45], v[54:55], 0xbf9e9ae6fc27006a
	v_fmaak_f64 v[50:51], v[44:45], v[50:51], 0x3fa2c15b5711927a
	s_delay_alu instid0(VALU_DEP_1) | instskip(NEXT) | instid1(VALU_DEP_1)
	v_fmaak_f64 v[50:51], v[44:45], v[50:51], 0xbfa59976e82d3ff0
	v_fmaak_f64 v[50:51], v[44:45], v[50:51], 0x3fa82d5d6ef28734
	v_add_f64_e64 v[46:47], v[46:47], -v[58:59]
	s_delay_alu instid0(VALU_DEP_2) | instskip(NEXT) | instid1(VALU_DEP_2)
	v_fmaak_f64 v[50:51], v[44:45], v[50:51], 0xbfaae5ce6a214619
	v_add_f64_e32 v[46:47], v[48:49], v[46:47]
	s_delay_alu instid0(VALU_DEP_2) | instskip(SKIP_1) | instid1(VALU_DEP_2)
	v_fmaak_f64 v[48:49], v[44:45], v[50:51], 0x3fae1bb48427b883
	v_add_f64_e64 v[50:51], v[52:53], -v[56:57]
	v_fmaak_f64 v[48:49], v[44:45], v[48:49], 0xbfb110e48b207f05
	s_delay_alu instid0(VALU_DEP_1) | instskip(NEXT) | instid1(VALU_DEP_1)
	v_fmaak_f64 v[48:49], v[44:45], v[48:49], 0x3fb3b13657b87036
	v_fmaak_f64 v[48:49], v[44:45], v[48:49], 0xbfb745d119378e4f
	s_delay_alu instid0(VALU_DEP_1) | instskip(SKIP_2) | instid1(VALU_DEP_3)
	v_fmaak_f64 v[48:49], v[44:45], v[48:49], 0x3fbc71c717e1913c
	v_add_f64_e32 v[46:47], v[52:53], v[46:47]
	v_add_f64_e64 v[38:39], v[38:39], -v[50:51]
	v_fmaak_f64 v[48:49], v[44:45], v[48:49], 0xbfc2492492376b7d
	s_delay_alu instid0(VALU_DEP_1) | instskip(NEXT) | instid1(VALU_DEP_1)
	v_fmaak_f64 v[48:49], v[44:45], v[48:49], 0x3fc99999999952cc
	v_fmaak_f64 v[48:49], v[44:45], v[48:49], 0xbfd5555555555523
	s_delay_alu instid0(VALU_DEP_1) | instskip(SKIP_2) | instid1(VALU_DEP_3)
	v_mul_f64_e32 v[44:45], v[44:45], v[48:49]
	v_add_f64_e64 v[48:49], v[52:53], -v[50:51]
	v_add_f64_e32 v[52:53], v[40:41], v[46:47]
	v_fmac_f64_e32 v[36:37], v[36:37], v[44:45]
	s_delay_alu instid0(VALU_DEP_3) | instskip(NEXT) | instid1(VALU_DEP_3)
	v_add_f64_e64 v[44:45], v[56:57], -v[48:49]
	v_add_f64_e64 v[40:41], v[52:53], -v[40:41]
	s_delay_alu instid0(VALU_DEP_3) | instskip(NEXT) | instid1(VALU_DEP_3)
	v_add_f64_e64 v[48:49], -v[36:37], s[40:41]
	v_add_f64_e32 v[38:39], v[38:39], v[44:45]
	v_cndmask_b32_e32 v44, 0x54442d18, v68, vcc_lo
	v_and_b32_e32 v45, 0x54442d18, v21
	v_and_b32_e32 v21, 0x400921fb, v21
	v_add_f64_e64 v[40:41], v[46:47], -v[40:41]
	v_dual_cndmask_b32 v37, v37, v49, s6 :: v_dual_cndmask_b32 v36, v36, v48, s6
	s_delay_alu instid0(VALU_DEP_2) | instskip(NEXT) | instid1(VALU_DEP_2)
	v_add_f64_e32 v[38:39], v[38:39], v[40:41]
	v_add_f64_e64 v[40:41], -v[36:37], s[42:43]
	s_delay_alu instid0(VALU_DEP_2) | instskip(NEXT) | instid1(VALU_DEP_2)
	v_add_f64_e32 v[14:15], v[52:53], v[38:39]
	v_cndmask_b32_e32 v36, v36, v40, vcc_lo
	v_cndmask_b32_e32 v38, 0x3fe921fb, v69, vcc_lo
	s_delay_alu instid0(VALU_DEP_4) | instskip(SKIP_1) | instid1(VALU_DEP_4)
	v_cndmask_b32_e32 v37, v37, v41, vcc_lo
	v_cmp_ngt_f64_e32 vcc_lo, 0, v[42:43]
	v_cndmask_b32_e64 v40, v36, v45, s8
	s_delay_alu instid0(VALU_DEP_4) | instskip(NEXT) | instid1(VALU_DEP_4)
	v_bfi_b32 v38, 0x7fffffff, v38, v17
	v_dual_cndmask_b32 v21, v37, v21, s8 :: v_dual_cndmask_b32 v14, v14, v42, s7
	v_cndmask_b32_e64 v15, v15, v43, s7
	v_cmp_nge_f64_e64 s7, 0, v[42:43]
	s_delay_alu instid0(VALU_DEP_2) | instskip(SKIP_4) | instid1(VALU_DEP_1)
	v_cndmask_b32_e32 v15, 0x7ff80000, v15, vcc_lo
	s_and_b32 vcc_lo, s11, s10
	v_dual_cndmask_b32 v39, v21, v38 :: v_dual_cndmask_b32 v38, v40, v44
	v_cndmask_b32_e64 v36, 0, v14, s7
	v_cmp_neq_f64_e64 s7, 0, v[42:43]
	v_cndmask_b32_e64 v37, 0xfff00000, v15, s7
.LBB185_29:                             ;   in Loop: Header=BB185_4 Depth=1
	s_or_b32 exec_lo, exec_lo, s9
                                        ; implicit-def: $vgpr42_vgpr43
.LBB185_30:                             ;   in Loop: Header=BB185_4 Depth=1
	s_and_not1_saveexec_b32 s9, s56
	s_cbranch_execz .LBB185_36
; %bb.31:                               ;   in Loop: Header=BB185_4 Depth=1
                                        ; implicit-def: $vgpr36_vgpr37
                                        ; implicit-def: $vgpr38_vgpr39
	s_mov_b32 s7, exec_lo
	v_cmpx_ngt_f64_e32 s[46:47], v[42:43]
	s_xor_b32 s10, exec_lo, s7
	s_cbranch_execz .LBB185_33
; %bb.32:                               ;   in Loop: Header=BB185_4 Depth=1
	v_mul_f64_e32 v[36:37], v[42:43], v[42:43]
	v_cmp_eq_f64_e64 s7, 0, v[16:17]
	v_cmp_class_f64_e64 s11, v[16:17], 0x204
	v_cmp_class_f64_e64 s12, v[14:15], 0x204
	s_delay_alu instid0(VALU_DEP_4) | instskip(NEXT) | instid1(VALU_DEP_1)
	v_add_f64_e32 v[38:39], 1.0, v[36:37]
	v_frexp_mant_f64_e32 v[40:41], v[38:39]
	v_frexp_exp_i32_f64_e32 v21, v[38:39]
	v_add_f64_e32 v[42:43], -1.0, v[38:39]
	s_delay_alu instid0(VALU_DEP_3) | instskip(NEXT) | instid1(VALU_DEP_2)
	v_cmp_gt_f64_e32 vcc_lo, s[30:31], v[40:41]
	v_add_f64_e64 v[40:41], v[42:43], -v[38:39]
	s_delay_alu instid0(VALU_DEP_4) | instskip(NEXT) | instid1(VALU_DEP_1)
	v_subrev_co_ci_u32_e64 v21, null, 0, v21, vcc_lo
	v_dual_add_f64 v[42:43], v[36:37], -v[42:43] :: v_dual_sub_nc_u32 v46, 0, v21
	v_cmp_neq_f64_e64 s8, 0x7ff00000, v[36:37]
	s_delay_alu instid0(VALU_DEP_4) | instskip(NEXT) | instid1(VALU_DEP_3)
	v_add_f64_e32 v[40:41], 1.0, v[40:41]
	v_ldexp_f64 v[38:39], v[38:39], v46
	s_delay_alu instid0(VALU_DEP_2) | instskip(NEXT) | instid1(VALU_DEP_2)
	v_add_f64_e32 v[40:41], v[42:43], v[40:41]
	v_add_f64_e32 v[44:45], 1.0, v[38:39]
	v_add_f64_e32 v[50:51], -1.0, v[38:39]
	s_delay_alu instid0(VALU_DEP_3) | instskip(NEXT) | instid1(VALU_DEP_3)
	v_ldexp_f64 v[40:41], v[40:41], v46
	v_add_f64_e32 v[42:43], -1.0, v[44:45]
	s_delay_alu instid0(VALU_DEP_3) | instskip(NEXT) | instid1(VALU_DEP_2)
	v_add_f64_e32 v[52:53], 1.0, v[50:51]
	v_add_f64_e64 v[42:43], v[38:39], -v[42:43]
	s_delay_alu instid0(VALU_DEP_2) | instskip(NEXT) | instid1(VALU_DEP_2)
	v_add_f64_e64 v[38:39], v[38:39], -v[52:53]
	v_add_f64_e32 v[42:43], v[40:41], v[42:43]
	s_delay_alu instid0(VALU_DEP_2) | instskip(NEXT) | instid1(VALU_DEP_2)
	v_add_f64_e32 v[38:39], v[40:41], v[38:39]
	v_add_f64_e32 v[46:47], v[44:45], v[42:43]
	s_delay_alu instid0(VALU_DEP_2) | instskip(NEXT) | instid1(VALU_DEP_2)
	v_add_f64_e32 v[52:53], v[50:51], v[38:39]
	v_rcp_f64_e32 v[48:49], v[46:47]
	v_add_f64_e64 v[44:45], v[44:45], -v[46:47]
	s_delay_alu instid0(VALU_DEP_2) | instskip(NEXT) | instid1(VALU_DEP_2)
	v_add_f64_e64 v[50:51], v[50:51], -v[52:53]
	v_add_f64_e32 v[42:43], v[42:43], v[44:45]
	s_delay_alu instid0(VALU_DEP_2) | instskip(NEXT) | instid1(TRANS32_DEP_1)
	v_add_f64_e32 v[38:39], v[38:39], v[50:51]
	v_fma_f64 v[54:55], -v[46:47], v[48:49], 1.0
	s_delay_alu instid0(VALU_DEP_1) | instskip(NEXT) | instid1(VALU_DEP_1)
	v_fmac_f64_e32 v[48:49], v[54:55], v[48:49]
	v_fma_f64 v[40:41], -v[46:47], v[48:49], 1.0
	s_delay_alu instid0(VALU_DEP_1) | instskip(NEXT) | instid1(VALU_DEP_1)
	v_fmac_f64_e32 v[48:49], v[40:41], v[48:49]
	v_mul_f64_e32 v[40:41], v[52:53], v[48:49]
	s_delay_alu instid0(VALU_DEP_1) | instskip(NEXT) | instid1(VALU_DEP_1)
	v_mul_f64_e32 v[54:55], v[46:47], v[40:41]
	v_fma_f64 v[44:45], v[40:41], v[46:47], -v[54:55]
	s_delay_alu instid0(VALU_DEP_1) | instskip(NEXT) | instid1(VALU_DEP_1)
	v_fmac_f64_e32 v[44:45], v[40:41], v[42:43]
	v_add_f64_e32 v[56:57], v[54:55], v[44:45]
	s_delay_alu instid0(VALU_DEP_1) | instskip(SKIP_1) | instid1(VALU_DEP_2)
	v_add_f64_e64 v[58:59], v[52:53], -v[56:57]
	v_add_f64_e64 v[50:51], v[56:57], -v[54:55]
	;; [unrolled: 1-line block ×3, first 2 shown]
	s_delay_alu instid0(VALU_DEP_2) | instskip(NEXT) | instid1(VALU_DEP_2)
	v_add_f64_e64 v[44:45], v[50:51], -v[44:45]
	v_add_f64_e64 v[52:53], v[52:53], -v[56:57]
	s_delay_alu instid0(VALU_DEP_1) | instskip(NEXT) | instid1(VALU_DEP_1)
	v_add_f64_e32 v[38:39], v[38:39], v[52:53]
	v_add_f64_e32 v[38:39], v[44:45], v[38:39]
	s_delay_alu instid0(VALU_DEP_1) | instskip(NEXT) | instid1(VALU_DEP_1)
	v_add_f64_e32 v[44:45], v[58:59], v[38:39]
	v_mul_f64_e32 v[50:51], v[48:49], v[44:45]
	v_add_f64_e64 v[56:57], v[58:59], -v[44:45]
	s_delay_alu instid0(VALU_DEP_2) | instskip(NEXT) | instid1(VALU_DEP_2)
	v_mul_f64_e32 v[52:53], v[46:47], v[50:51]
	v_add_f64_e32 v[38:39], v[38:39], v[56:57]
	s_delay_alu instid0(VALU_DEP_2) | instskip(NEXT) | instid1(VALU_DEP_1)
	v_fma_f64 v[46:47], v[50:51], v[46:47], -v[52:53]
	v_fmac_f64_e32 v[46:47], v[50:51], v[42:43]
	s_delay_alu instid0(VALU_DEP_1) | instskip(NEXT) | instid1(VALU_DEP_1)
	v_add_f64_e32 v[42:43], v[52:53], v[46:47]
	v_add_f64_e64 v[54:55], v[44:45], -v[42:43]
	v_add_f64_e64 v[52:53], v[42:43], -v[52:53]
	s_delay_alu instid0(VALU_DEP_2) | instskip(NEXT) | instid1(VALU_DEP_1)
	v_add_f64_e64 v[44:45], v[44:45], -v[54:55]
	v_add_f64_e64 v[42:43], v[44:45], -v[42:43]
	s_delay_alu instid0(VALU_DEP_3) | instskip(SKIP_1) | instid1(VALU_DEP_3)
	v_add_f64_e64 v[44:45], v[52:53], -v[46:47]
	v_max_num_f64_e64 v[46:47], |v[14:15]|, |v[14:15]|
	v_add_f64_e32 v[38:39], v[38:39], v[42:43]
	v_add_f64_e32 v[42:43], v[40:41], v[50:51]
	s_delay_alu instid0(VALU_DEP_2) | instskip(NEXT) | instid1(VALU_DEP_2)
	v_add_f64_e32 v[38:39], v[44:45], v[38:39]
	v_add_f64_e64 v[40:41], v[42:43], -v[40:41]
	v_max_num_f64_e64 v[44:45], |v[16:17]|, |v[16:17]|
	s_delay_alu instid0(VALU_DEP_3) | instskip(NEXT) | instid1(VALU_DEP_3)
	v_add_f64_e32 v[38:39], v[54:55], v[38:39]
	v_add_f64_e64 v[40:41], v[50:51], -v[40:41]
	s_delay_alu instid0(VALU_DEP_2) | instskip(NEXT) | instid1(VALU_DEP_1)
	v_mul_f64_e32 v[38:39], v[48:49], v[38:39]
	v_add_f64_e32 v[38:39], v[40:41], v[38:39]
	v_max_num_f64_e32 v[40:41], v[46:47], v[44:45]
	v_min_num_f64_e32 v[44:45], v[46:47], v[44:45]
	s_delay_alu instid0(VALU_DEP_3) | instskip(NEXT) | instid1(VALU_DEP_2)
	v_add_f64_e32 v[46:47], v[42:43], v[38:39]
	v_div_scale_f64 v[48:49], null, v[40:41], v[40:41], v[44:45]
	s_delay_alu instid0(VALU_DEP_2) | instskip(SKIP_1) | instid1(VALU_DEP_3)
	v_mul_f64_e32 v[50:51], v[46:47], v[46:47]
	v_add_f64_e64 v[42:43], v[46:47], -v[42:43]
	v_rcp_f64_e32 v[52:53], v[48:49]
	s_delay_alu instid0(VALU_DEP_2) | instskip(SKIP_1) | instid1(VALU_DEP_3)
	v_fmamk_f64 v[54:55], v[50:51], 0x3fc3ab76bf559e2b, v[24:25]
	v_mul_f64_e32 v[56:57], v[46:47], v[50:51]
	v_add_f64_e64 v[38:39], v[38:39], -v[42:43]
	s_delay_alu instid0(VALU_DEP_3) | instskip(NEXT) | instid1(TRANS32_DEP_1)
	v_fmaak_f64 v[54:55], v[50:51], v[54:55], 0x3fc7474dd7f4df2e
	v_fma_f64 v[58:59], -v[48:49], v[52:53], 1.0
	s_delay_alu instid0(VALU_DEP_2) | instskip(NEXT) | instid1(VALU_DEP_1)
	v_fmaak_f64 v[54:55], v[50:51], v[54:55], 0x3fcc71c016291751
	v_fmaak_f64 v[54:55], v[50:51], v[54:55], 0x3fd249249b27acf1
	s_delay_alu instid0(VALU_DEP_1) | instskip(SKIP_1) | instid1(VALU_DEP_2)
	v_fmaak_f64 v[54:55], v[50:51], v[54:55], 0x3fd99999998ef7b6
	v_ldexp_f64 v[38:39], v[38:39], 1
	v_fmaak_f64 v[50:51], v[50:51], v[54:55], 0x3fe5555555555780
	v_ldexp_f64 v[54:55], v[46:47], 1
	v_fmac_f64_e32 v[52:53], v[52:53], v[58:59]
	s_delay_alu instid0(VALU_DEP_3) | instskip(SKIP_2) | instid1(VALU_DEP_4)
	v_mul_f64_e32 v[50:51], v[56:57], v[50:51]
	v_cvt_f64_i32_e32 v[56:57], v21
	v_ashrrev_i32_e32 v21, 31, v15
	v_fma_f64 v[58:59], -v[48:49], v[52:53], 1.0
	s_delay_alu instid0(VALU_DEP_4) | instskip(NEXT) | instid1(VALU_DEP_4)
	v_add_f64_e32 v[46:47], v[54:55], v[50:51]
	v_mul_f64_e32 v[60:61], 0x3fe62e42fefa39ef, v[56:57]
	s_delay_alu instid0(VALU_DEP_3) | instskip(NEXT) | instid1(VALU_DEP_3)
	v_fmac_f64_e32 v[52:53], v[52:53], v[58:59]
	v_add_f64_e64 v[42:43], v[46:47], -v[54:55]
	v_div_scale_f64 v[54:55], vcc_lo, v[44:45], v[40:41], v[44:45]
	s_delay_alu instid0(VALU_DEP_4) | instskip(NEXT) | instid1(VALU_DEP_3)
	v_fma_f64 v[58:59], v[56:57], s[34:35], -v[60:61]
	v_add_f64_e64 v[42:43], v[50:51], -v[42:43]
	s_delay_alu instid0(VALU_DEP_3) | instskip(NEXT) | instid1(VALU_DEP_3)
	v_mul_f64_e32 v[50:51], v[54:55], v[52:53]
	v_fmac_f64_e32 v[58:59], 0x3c7abc9e3b39803f, v[56:57]
	s_delay_alu instid0(VALU_DEP_3) | instskip(NEXT) | instid1(VALU_DEP_3)
	v_add_f64_e32 v[38:39], v[38:39], v[42:43]
	v_fma_f64 v[42:43], -v[48:49], v[50:51], v[54:55]
	s_delay_alu instid0(VALU_DEP_3) | instskip(NEXT) | instid1(VALU_DEP_3)
	v_add_f64_e32 v[48:49], v[60:61], v[58:59]
	v_add_f64_e32 v[54:55], v[46:47], v[38:39]
	s_delay_alu instid0(VALU_DEP_3) | instskip(SKIP_1) | instid1(VALU_DEP_4)
	v_div_fmas_f64 v[42:43], v[42:43], v[52:53], v[50:51]
	v_cmp_gt_i32_e32 vcc_lo, 0, v15
	v_add_f64_e64 v[52:53], v[48:49], -v[60:61]
	v_cndmask_b32_e32 v36, 0x3fe921fb, v69, vcc_lo
	s_delay_alu instid0(VALU_DEP_1) | instskip(SKIP_4) | instid1(VALU_DEP_4)
	v_bfi_b32 v36, 0x7fffffff, v36, v17
	v_add_f64_e32 v[50:51], v[48:49], v[54:55]
	v_div_fixup_f64 v[40:41], v[42:43], v[40:41], v[44:45]
	v_add_f64_e64 v[46:47], v[54:55], -v[46:47]
	v_add_f64_e64 v[52:53], v[58:59], -v[52:53]
	;; [unrolled: 1-line block ×3, first 2 shown]
	s_delay_alu instid0(VALU_DEP_4) | instskip(NEXT) | instid1(VALU_DEP_4)
	v_mul_f64_e32 v[44:45], v[40:41], v[40:41]
	v_add_f64_e64 v[38:39], v[38:39], -v[46:47]
	s_delay_alu instid0(VALU_DEP_3) | instskip(NEXT) | instid1(VALU_DEP_3)
	v_add_f64_e64 v[56:57], v[50:51], -v[42:43]
	v_fmamk_f64 v[60:61], v[44:45], 0x3eeba404b5e68a13, v[26:27]
	v_add_f64_e64 v[42:43], v[54:55], -v[42:43]
	s_delay_alu instid0(VALU_DEP_4) | instskip(NEXT) | instid1(VALU_DEP_3)
	v_add_f64_e32 v[54:55], v[52:53], v[38:39]
	v_fmaak_f64 v[60:61], v[44:45], v[60:61], 0x3f4b2bb069efb384
	s_delay_alu instid0(VALU_DEP_1) | instskip(SKIP_1) | instid1(VALU_DEP_2)
	v_fmaak_f64 v[60:61], v[44:45], v[60:61], 0xbf67952daf56de9b
	v_add_f64_e64 v[46:47], v[48:49], -v[56:57]
	v_fmaak_f64 v[48:49], v[44:45], v[60:61], 0x3f7d6d43a595c56f
	s_delay_alu instid0(VALU_DEP_1) | instskip(NEXT) | instid1(VALU_DEP_1)
	v_fmaak_f64 v[48:49], v[44:45], v[48:49], 0xbf8c6ea4a57d9582
	v_fmaak_f64 v[48:49], v[44:45], v[48:49], 0x3f967e295f08b19f
	s_delay_alu instid0(VALU_DEP_1) | instskip(NEXT) | instid1(VALU_DEP_1)
	v_fmaak_f64 v[48:49], v[44:45], v[48:49], 0xbf9e9ae6fc27006a
	v_fmaak_f64 v[48:49], v[44:45], v[48:49], 0x3fa2c15b5711927a
	v_add_f64_e32 v[42:43], v[42:43], v[46:47]
	s_delay_alu instid0(VALU_DEP_2) | instskip(SKIP_1) | instid1(VALU_DEP_2)
	v_fmaak_f64 v[46:47], v[44:45], v[48:49], 0xbfa59976e82d3ff0
	v_add_f64_e64 v[48:49], v[54:55], -v[52:53]
	v_fmaak_f64 v[46:47], v[44:45], v[46:47], 0x3fa82d5d6ef28734
	s_delay_alu instid0(VALU_DEP_1) | instskip(NEXT) | instid1(VALU_DEP_1)
	v_fmaak_f64 v[46:47], v[44:45], v[46:47], 0xbfaae5ce6a214619
	v_fmaak_f64 v[46:47], v[44:45], v[46:47], 0x3fae1bb48427b883
	s_delay_alu instid0(VALU_DEP_1) | instskip(SKIP_3) | instid1(VALU_DEP_4)
	v_fmaak_f64 v[46:47], v[44:45], v[46:47], 0xbfb110e48b207f05
	v_add_f64_e32 v[42:43], v[54:55], v[42:43]
	v_add_f64_e64 v[54:55], v[54:55], -v[48:49]
	v_add_f64_e64 v[38:39], v[38:39], -v[48:49]
	v_fmaak_f64 v[46:47], v[44:45], v[46:47], 0x3fb3b13657b87036
	s_delay_alu instid0(VALU_DEP_1) | instskip(NEXT) | instid1(VALU_DEP_1)
	v_fmaak_f64 v[46:47], v[44:45], v[46:47], 0xbfb745d119378e4f
	v_fmaak_f64 v[46:47], v[44:45], v[46:47], 0x3fbc71c717e1913c
	s_delay_alu instid0(VALU_DEP_1) | instskip(SKIP_1) | instid1(VALU_DEP_2)
	v_fmaak_f64 v[46:47], v[44:45], v[46:47], 0xbfc2492492376b7d
	v_add_f64_e32 v[56:57], v[50:51], v[42:43]
	v_fmaak_f64 v[46:47], v[44:45], v[46:47], 0x3fc99999999952cc
	s_delay_alu instid0(VALU_DEP_1) | instskip(NEXT) | instid1(VALU_DEP_1)
	v_fmaak_f64 v[46:47], v[44:45], v[46:47], 0xbfd5555555555523
	v_mul_f64_e32 v[44:45], v[44:45], v[46:47]
	v_add_f64_e64 v[46:47], v[52:53], -v[54:55]
	v_add_f64_e64 v[48:49], v[56:57], -v[50:51]
	s_delay_alu instid0(VALU_DEP_3) | instskip(NEXT) | instid1(VALU_DEP_3)
	v_fmac_f64_e32 v[40:41], v[40:41], v[44:45]
	v_add_f64_e32 v[38:39], v[38:39], v[46:47]
	s_delay_alu instid0(VALU_DEP_3) | instskip(NEXT) | instid1(VALU_DEP_3)
	v_add_f64_e64 v[42:43], v[42:43], -v[48:49]
	v_add_f64_e64 v[44:45], -v[40:41], s[40:41]
	s_delay_alu instid0(VALU_DEP_1) | instskip(NEXT) | instid1(VALU_DEP_2)
	v_dual_add_f64 v[38:39], v[38:39], v[42:43] :: v_dual_cndmask_b32 v41, v41, v45, s6
	v_cndmask_b32_e64 v40, v40, v44, s6
	v_and_b32_e32 v45, 0x54442d18, v21
	v_and_b32_e32 v21, 0x400921fb, v21
	v_cndmask_b32_e32 v44, 0x54442d18, v68, vcc_lo
	s_delay_alu instid0(VALU_DEP_4) | instskip(SKIP_1) | instid1(VALU_DEP_2)
	v_add_f64_e64 v[42:43], -v[40:41], s[42:43]
	v_add_f64_e32 v[38:39], v[56:57], v[38:39]
	v_dual_cndmask_b32 v40, v40, v42 :: v_dual_cndmask_b32 v37, v41, v43
	s_and_b32 vcc_lo, s11, s12
                                        ; implicit-def: $vgpr42_vgpr43
	s_delay_alu instid0(VALU_DEP_1) | instskip(NEXT) | instid1(VALU_DEP_1)
	v_dual_mul_f64 v[14:15], 0.5, v[38:39] :: v_dual_cndmask_b32 v21, v37, v21, s7
	v_dual_cndmask_b32 v38, v40, v45, s7 :: v_dual_cndmask_b32 v39, v21, v36, vcc_lo
	s_delay_alu instid0(VALU_DEP_1) | instskip(NEXT) | instid1(VALU_DEP_3)
	v_cndmask_b32_e32 v38, v38, v44, vcc_lo
	v_cndmask_b32_e64 v37, 0x7ff00000, v15, s8
	s_delay_alu instid0(VALU_DEP_4)
	v_cndmask_b32_e64 v36, 0, v14, s8
.LBB185_33:                             ;   in Loop: Header=BB185_4 Depth=1
	s_and_not1_saveexec_b32 s8, s10
	s_cbranch_execz .LBB185_35
; %bb.34:                               ;   in Loop: Header=BB185_4 Depth=1
	v_max_num_f64_e64 v[36:37], |v[16:17]|, |v[16:17]|
	v_max_num_f64_e64 v[38:39], |v[14:15]|, |v[14:15]|
	v_cmp_eq_f64_e64 s7, 0, v[16:17]
	v_cmp_class_f64_e64 s11, v[14:15], 0x204
	v_cmp_class_f64_e64 s10, v[16:17], 0x204
	s_delay_alu instid0(VALU_DEP_4) | instskip(SKIP_1) | instid1(VALU_DEP_1)
	v_dual_max_num_f64 v[40:41], v[38:39], v[36:37] :: v_dual_ashrrev_i32 v21, 31, v15
	v_min_num_f64_e32 v[36:37], v[38:39], v[36:37]
	v_div_scale_f64 v[38:39], null, v[40:41], v[40:41], v[36:37]
	v_div_scale_f64 v[48:49], vcc_lo, v[36:37], v[40:41], v[36:37]
	s_delay_alu instid0(VALU_DEP_2) | instskip(SKIP_1) | instid1(TRANS32_DEP_1)
	v_rcp_f64_e32 v[44:45], v[38:39]
	v_nop
	v_fma_f64 v[46:47], -v[38:39], v[44:45], 1.0
	s_delay_alu instid0(VALU_DEP_1) | instskip(NEXT) | instid1(VALU_DEP_1)
	v_fmac_f64_e32 v[44:45], v[44:45], v[46:47]
	v_fma_f64 v[46:47], -v[38:39], v[44:45], 1.0
	s_delay_alu instid0(VALU_DEP_1) | instskip(NEXT) | instid1(VALU_DEP_1)
	v_fmac_f64_e32 v[44:45], v[44:45], v[46:47]
	v_mul_f64_e32 v[46:47], v[48:49], v[44:45]
	s_delay_alu instid0(VALU_DEP_1) | instskip(NEXT) | instid1(VALU_DEP_1)
	v_fma_f64 v[38:39], -v[38:39], v[46:47], v[48:49]
	v_div_fmas_f64 v[38:39], v[38:39], v[44:45], v[46:47]
	v_cmp_gt_i32_e32 vcc_lo, 0, v15
	v_and_b32_e32 v15, 0x400921fb, v21
	v_and_b32_e32 v45, 0x54442d18, v21
	v_cndmask_b32_e32 v44, 0x54442d18, v68, vcc_lo
	v_cndmask_b32_e32 v14, 0x3fe921fb, v69, vcc_lo
	s_delay_alu instid0(VALU_DEP_1) | instskip(SKIP_1) | instid1(VALU_DEP_1)
	v_bfi_b32 v14, 0x7fffffff, v14, v17
	v_div_fixup_f64 v[36:37], v[38:39], v[40:41], v[36:37]
	v_mul_f64_e32 v[38:39], v[36:37], v[36:37]
	s_delay_alu instid0(VALU_DEP_1) | instskip(NEXT) | instid1(VALU_DEP_1)
	v_fmamk_f64 v[40:41], v[38:39], 0x3eeba404b5e68a13, v[26:27]
	v_fmaak_f64 v[40:41], v[38:39], v[40:41], 0x3f4b2bb069efb384
	s_delay_alu instid0(VALU_DEP_1) | instskip(NEXT) | instid1(VALU_DEP_1)
	v_fmaak_f64 v[40:41], v[38:39], v[40:41], 0xbf67952daf56de9b
	v_fmaak_f64 v[40:41], v[38:39], v[40:41], 0x3f7d6d43a595c56f
	s_delay_alu instid0(VALU_DEP_1) | instskip(NEXT) | instid1(VALU_DEP_1)
	v_fmaak_f64 v[40:41], v[38:39], v[40:41], 0xbf8c6ea4a57d9582
	;; [unrolled: 3-line block ×9, first 2 shown]
	v_mul_f64_e32 v[38:39], v[38:39], v[40:41]
	s_delay_alu instid0(VALU_DEP_1) | instskip(NEXT) | instid1(VALU_DEP_1)
	v_fmac_f64_e32 v[36:37], v[36:37], v[38:39]
	v_add_f64_e64 v[38:39], -v[36:37], s[40:41]
	s_delay_alu instid0(VALU_DEP_1) | instskip(SKIP_1) | instid1(VALU_DEP_1)
	v_dual_cndmask_b32 v39, v37, v39, s6 :: v_dual_cndmask_b32 v38, v36, v38, s6
	v_mul_f64_e32 v[36:37], 0.5, v[42:43]
	v_mul_f64_e32 v[36:37], v[42:43], v[36:37]
	s_delay_alu instid0(VALU_DEP_3) | instskip(NEXT) | instid1(VALU_DEP_1)
	v_add_f64_e64 v[40:41], -v[38:39], s[42:43]
	v_cndmask_b32_e32 v38, v38, v40, vcc_lo
	s_delay_alu instid0(VALU_DEP_1) | instskip(NEXT) | instid1(VALU_DEP_3)
	v_cndmask_b32_e64 v38, v38, v45, s7
	v_cndmask_b32_e32 v21, v39, v41, vcc_lo
	s_and_b32 vcc_lo, s10, s11
	s_delay_alu instid0(VALU_DEP_1) | instid1(SALU_CYCLE_1)
	v_dual_cndmask_b32 v38, v38, v44, vcc_lo :: v_dual_cndmask_b32 v15, v21, v15, s7
	s_delay_alu instid0(VALU_DEP_1)
	v_cndmask_b32_e32 v39, v15, v14, vcc_lo
.LBB185_35:                             ;   in Loop: Header=BB185_4 Depth=1
	s_or_b32 exec_lo, exec_lo, s8
.LBB185_36:                             ;   in Loop: Header=BB185_4 Depth=1
	s_delay_alu instid0(SALU_CYCLE_1)
	s_or_b32 exec_lo, exec_lo, s9
.LBB185_37:                             ;   in Loop: Header=BB185_4 Depth=1
	s_and_not1_saveexec_b32 s8, s33
	s_cbranch_execz .LBB185_39
; %bb.38:                               ;   in Loop: Header=BB185_4 Depth=1
	v_div_scale_f64 v[36:37], null, s[48:49], s[48:49], v[14:15]
	v_div_scale_f64 v[38:39], null, s[48:49], s[48:49], v[16:17]
	v_div_scale_f64 v[48:49], vcc_lo, v[14:15], s[48:49], v[14:15]
	s_delay_alu instid0(VALU_DEP_3) | instskip(NEXT) | instid1(VALU_DEP_2)
	v_rcp_f64_e32 v[40:41], v[36:37]
	v_rcp_f64_e32 v[42:43], v[38:39]
	s_delay_alu instid0(TRANS32_DEP_2) | instskip(NEXT) | instid1(TRANS32_DEP_1)
	v_fma_f64 v[44:45], -v[36:37], v[40:41], 1.0
	v_fma_f64 v[46:47], -v[38:39], v[42:43], 1.0
	s_delay_alu instid0(VALU_DEP_2) | instskip(NEXT) | instid1(VALU_DEP_2)
	v_fmac_f64_e32 v[40:41], v[40:41], v[44:45]
	v_fmac_f64_e32 v[42:43], v[42:43], v[46:47]
	s_delay_alu instid0(VALU_DEP_2) | instskip(NEXT) | instid1(VALU_DEP_2)
	v_fma_f64 v[44:45], -v[36:37], v[40:41], 1.0
	v_fma_f64 v[46:47], -v[38:39], v[42:43], 1.0
	s_delay_alu instid0(VALU_DEP_2) | instskip(SKIP_1) | instid1(VALU_DEP_3)
	v_fmac_f64_e32 v[40:41], v[40:41], v[44:45]
	v_div_scale_f64 v[44:45], s7, v[16:17], s[48:49], v[16:17]
	v_fmac_f64_e32 v[42:43], v[42:43], v[46:47]
	s_delay_alu instid0(VALU_DEP_3) | instskip(NEXT) | instid1(VALU_DEP_2)
	v_mul_f64_e32 v[46:47], v[48:49], v[40:41]
	v_mul_f64_e32 v[50:51], v[44:45], v[42:43]
	s_delay_alu instid0(VALU_DEP_2) | instskip(NEXT) | instid1(VALU_DEP_2)
	v_fma_f64 v[36:37], -v[36:37], v[46:47], v[48:49]
	v_fma_f64 v[38:39], -v[38:39], v[50:51], v[44:45]
	s_delay_alu instid0(VALU_DEP_2) | instskip(SKIP_1) | instid1(VALU_DEP_2)
	v_div_fmas_f64 v[36:37], v[36:37], v[40:41], v[46:47]
	s_mov_b32 vcc_lo, s7
	v_div_fmas_f64 v[38:39], v[38:39], v[42:43], v[50:51]
	s_delay_alu instid0(VALU_DEP_2) | instskip(NEXT) | instid1(VALU_DEP_2)
	v_div_fixup_f64 v[36:37], v[36:37], s[48:49], v[14:15]
	v_div_fixup_f64 v[38:39], v[38:39], s[48:49], v[16:17]
	s_delay_alu instid0(VALU_DEP_2) | instskip(NEXT) | instid1(VALU_DEP_2)
	v_cmp_class_f64_e64 s7, v[36:37], 0x204
	v_max_num_f64_e64 v[40:41], |v[36:37]|, |v[38:39]|
	v_cmp_class_f64_e64 s9, v[38:39], 0x204
	s_delay_alu instid0(VALU_DEP_2) | instskip(SKIP_2) | instid1(VALU_DEP_2)
	v_frexp_exp_i32_f64_e32 v21, v[40:41]
	s_or_b32 s7, s9, s7
	v_cmp_class_f64_e64 s9, v[14:15], 0x204
	v_sub_nc_u32_e32 v42, 0, v21
	s_delay_alu instid0(VALU_DEP_1) | instskip(SKIP_1) | instid1(VALU_DEP_2)
	v_ldexp_f64 v[40:41], |v[38:39]|, v42
	v_ldexp_f64 v[42:43], |v[36:37]|, v42
	v_mul_f64_e32 v[40:41], v[40:41], v[40:41]
	s_delay_alu instid0(VALU_DEP_1) | instskip(NEXT) | instid1(VALU_DEP_1)
	v_fmac_f64_e32 v[40:41], v[42:43], v[42:43]
	v_rsq_f64_e32 v[42:43], v[40:41]
	v_cmp_eq_f64_e32 vcc_lo, 0, v[40:41]
	s_delay_alu instid0(TRANS32_DEP_1) | instskip(SKIP_1) | instid1(VALU_DEP_1)
	v_mul_f64_e32 v[44:45], v[40:41], v[42:43]
	v_mul_f64_e32 v[42:43], 0.5, v[42:43]
	v_fma_f64 v[46:47], -v[42:43], v[44:45], 0.5
	s_delay_alu instid0(VALU_DEP_1) | instskip(SKIP_1) | instid1(VALU_DEP_2)
	v_fmac_f64_e32 v[44:45], v[44:45], v[46:47]
	v_fmac_f64_e32 v[42:43], v[42:43], v[46:47]
	v_fma_f64 v[46:47], -v[44:45], v[44:45], v[40:41]
	s_delay_alu instid0(VALU_DEP_1) | instskip(NEXT) | instid1(VALU_DEP_1)
	v_fmac_f64_e32 v[44:45], v[46:47], v[42:43]
	v_dual_cndmask_b32 v41, v45, v41 :: v_dual_cndmask_b32 v40, v44, v40
	v_cmp_o_f64_e32 vcc_lo, v[36:37], v[38:39]
	s_delay_alu instid0(VALU_DEP_2) | instskip(NEXT) | instid1(VALU_DEP_1)
	v_ldexp_f64 v[40:41], v[40:41], v21
	v_cndmask_b32_e32 v21, 0, v40, vcc_lo
	s_delay_alu instid0(VALU_DEP_2) | instskip(NEXT) | instid1(VALU_DEP_2)
	v_cndmask_b32_e32 v36, 0x7ff80000, v41, vcc_lo
	v_cndmask_b32_e64 v40, v21, 0, s7
	s_delay_alu instid0(VALU_DEP_2) | instskip(SKIP_1) | instid1(VALU_DEP_2)
	v_cndmask_b32_e64 v41, v36, 0x7ff00000, s7
	v_cmp_class_f64_e64 s7, v[16:17], 0x204
	v_frexp_mant_f64_e32 v[36:37], v[40:41]
	s_delay_alu instid0(VALU_DEP_1) | instskip(SKIP_1) | instid1(VALU_DEP_1)
	v_cmp_gt_f64_e32 vcc_lo, s[30:31], v[36:37]
	v_cndmask_b32_e64 v21, 0, 1, vcc_lo
	v_ldexp_f64 v[36:37], v[36:37], v21
	v_frexp_exp_i32_f64_e32 v21, v[40:41]
	s_delay_alu instid0(VALU_DEP_2) | instskip(SKIP_1) | instid1(VALU_DEP_3)
	v_add_f64_e32 v[38:39], 1.0, v[36:37]
	v_add_f64_e32 v[46:47], -1.0, v[36:37]
	v_subrev_co_ci_u32_e64 v21, null, 0, v21, vcc_lo
	s_delay_alu instid0(VALU_DEP_3) | instskip(SKIP_1) | instid1(VALU_DEP_1)
	v_rcp_f64_e32 v[42:43], v[38:39]
	v_add_f64_e32 v[48:49], -1.0, v[38:39]
	v_add_f64_e64 v[36:37], v[36:37], -v[48:49]
	s_delay_alu instid0(TRANS32_DEP_1) | instskip(NEXT) | instid1(VALU_DEP_1)
	v_fma_f64 v[44:45], -v[38:39], v[42:43], 1.0
	v_fmac_f64_e32 v[42:43], v[44:45], v[42:43]
	s_delay_alu instid0(VALU_DEP_1) | instskip(NEXT) | instid1(VALU_DEP_1)
	v_fma_f64 v[44:45], -v[38:39], v[42:43], 1.0
	v_fmac_f64_e32 v[42:43], v[44:45], v[42:43]
	s_delay_alu instid0(VALU_DEP_1) | instskip(NEXT) | instid1(VALU_DEP_1)
	v_mul_f64_e32 v[44:45], v[46:47], v[42:43]
	v_mul_f64_e32 v[50:51], v[38:39], v[44:45]
	s_delay_alu instid0(VALU_DEP_1) | instskip(NEXT) | instid1(VALU_DEP_1)
	v_fma_f64 v[38:39], v[44:45], v[38:39], -v[50:51]
	v_fmac_f64_e32 v[38:39], v[44:45], v[36:37]
	s_delay_alu instid0(VALU_DEP_1) | instskip(NEXT) | instid1(VALU_DEP_1)
	v_add_f64_e32 v[36:37], v[50:51], v[38:39]
	v_add_f64_e64 v[48:49], v[46:47], -v[36:37]
	v_add_f64_e64 v[50:51], v[36:37], -v[50:51]
	s_delay_alu instid0(VALU_DEP_2) | instskip(NEXT) | instid1(VALU_DEP_2)
	v_add_f64_e64 v[46:47], v[46:47], -v[48:49]
	v_add_f64_e64 v[38:39], v[50:51], -v[38:39]
	s_delay_alu instid0(VALU_DEP_2) | instskip(SKIP_1) | instid1(VALU_DEP_2)
	v_add_f64_e64 v[36:37], v[46:47], -v[36:37]
	v_max_num_f64_e64 v[46:47], |v[14:15]|, |v[14:15]|
	v_add_f64_e32 v[36:37], v[38:39], v[36:37]
	v_max_num_f64_e64 v[38:39], |v[16:17]|, |v[16:17]|
	s_delay_alu instid0(VALU_DEP_2) | instskip(NEXT) | instid1(VALU_DEP_1)
	v_add_f64_e32 v[36:37], v[48:49], v[36:37]
	v_mul_f64_e32 v[36:37], v[42:43], v[36:37]
	s_delay_alu instid0(VALU_DEP_3) | instskip(SKIP_1) | instid1(VALU_DEP_3)
	v_max_num_f64_e32 v[42:43], v[46:47], v[38:39]
	v_min_num_f64_e32 v[38:39], v[46:47], v[38:39]
	v_add_f64_e32 v[46:47], v[44:45], v[36:37]
	s_delay_alu instid0(VALU_DEP_2) | instskip(NEXT) | instid1(VALU_DEP_2)
	v_div_scale_f64 v[48:49], null, v[42:43], v[42:43], v[38:39]
	v_mul_f64_e32 v[50:51], v[46:47], v[46:47]
	v_add_f64_e64 v[44:45], v[46:47], -v[44:45]
	s_delay_alu instid0(VALU_DEP_3) | instskip(NEXT) | instid1(VALU_DEP_2)
	v_rcp_f64_e32 v[52:53], v[48:49]
	v_fmamk_f64 v[54:55], v[50:51], 0x3fc3ab76bf559e2b, v[24:25]
	v_mul_f64_e32 v[56:57], v[46:47], v[50:51]
	s_delay_alu instid0(VALU_DEP_3) | instskip(NEXT) | instid1(VALU_DEP_3)
	v_add_f64_e64 v[36:37], v[36:37], -v[44:45]
	v_fmaak_f64 v[54:55], v[50:51], v[54:55], 0x3fc7474dd7f4df2e
	s_delay_alu instid0(TRANS32_DEP_1) | instskip(NEXT) | instid1(VALU_DEP_2)
	v_fma_f64 v[58:59], -v[48:49], v[52:53], 1.0
	v_fmaak_f64 v[54:55], v[50:51], v[54:55], 0x3fcc71c016291751
	s_delay_alu instid0(VALU_DEP_1) | instskip(NEXT) | instid1(VALU_DEP_1)
	v_fmaak_f64 v[54:55], v[50:51], v[54:55], 0x3fd249249b27acf1
	v_fmaak_f64 v[54:55], v[50:51], v[54:55], 0x3fd99999998ef7b6
	v_ldexp_f64 v[36:37], v[36:37], 1
	s_delay_alu instid0(VALU_DEP_2) | instskip(SKIP_2) | instid1(VALU_DEP_3)
	v_fmaak_f64 v[50:51], v[50:51], v[54:55], 0x3fe5555555555780
	v_ldexp_f64 v[54:55], v[46:47], 1
	v_fmac_f64_e32 v[52:53], v[52:53], v[58:59]
	v_mul_f64_e32 v[50:51], v[56:57], v[50:51]
	v_cvt_f64_i32_e32 v[56:57], v21
	v_ashrrev_i32_e32 v21, 31, v15
	s_delay_alu instid0(VALU_DEP_4) | instskip(NEXT) | instid1(VALU_DEP_4)
	v_fma_f64 v[58:59], -v[48:49], v[52:53], 1.0
	v_add_f64_e32 v[46:47], v[54:55], v[50:51]
	s_delay_alu instid0(VALU_DEP_4) | instskip(NEXT) | instid1(VALU_DEP_3)
	v_mul_f64_e32 v[60:61], 0x3fe62e42fefa39ef, v[56:57]
	v_fmac_f64_e32 v[52:53], v[52:53], v[58:59]
	s_delay_alu instid0(VALU_DEP_3) | instskip(SKIP_1) | instid1(VALU_DEP_4)
	v_add_f64_e64 v[44:45], v[46:47], -v[54:55]
	v_div_scale_f64 v[54:55], vcc_lo, v[38:39], v[42:43], v[38:39]
	v_fma_f64 v[58:59], v[56:57], s[34:35], -v[60:61]
	s_delay_alu instid0(VALU_DEP_3) | instskip(NEXT) | instid1(VALU_DEP_3)
	v_add_f64_e64 v[44:45], v[50:51], -v[44:45]
	v_mul_f64_e32 v[50:51], v[54:55], v[52:53]
	s_delay_alu instid0(VALU_DEP_3) | instskip(NEXT) | instid1(VALU_DEP_3)
	v_fmac_f64_e32 v[58:59], 0x3c7abc9e3b39803f, v[56:57]
	v_add_f64_e32 v[36:37], v[36:37], v[44:45]
	s_delay_alu instid0(VALU_DEP_3) | instskip(NEXT) | instid1(VALU_DEP_3)
	v_fma_f64 v[44:45], -v[48:49], v[50:51], v[54:55]
	v_add_f64_e32 v[48:49], v[60:61], v[58:59]
	s_delay_alu instid0(VALU_DEP_3) | instskip(NEXT) | instid1(VALU_DEP_3)
	v_add_f64_e32 v[54:55], v[46:47], v[36:37]
	v_div_fmas_f64 v[44:45], v[44:45], v[52:53], v[50:51]
	v_cmp_class_f64_e64 vcc_lo, v[40:41], 0x204
	s_delay_alu instid0(VALU_DEP_4) | instskip(NEXT) | instid1(VALU_DEP_4)
	v_add_f64_e64 v[52:53], v[48:49], -v[60:61]
	v_add_f64_e32 v[50:51], v[48:49], v[54:55]
	s_delay_alu instid0(VALU_DEP_4) | instskip(SKIP_1) | instid1(VALU_DEP_4)
	v_div_fixup_f64 v[38:39], v[44:45], v[42:43], v[38:39]
	v_add_f64_e64 v[46:47], v[54:55], -v[46:47]
	v_add_f64_e64 v[52:53], v[58:59], -v[52:53]
	s_delay_alu instid0(VALU_DEP_4) | instskip(NEXT) | instid1(VALU_DEP_4)
	v_add_f64_e64 v[42:43], v[50:51], -v[48:49]
	v_mul_f64_e32 v[44:45], v[38:39], v[38:39]
	s_delay_alu instid0(VALU_DEP_4) | instskip(NEXT) | instid1(VALU_DEP_3)
	v_add_f64_e64 v[36:37], v[36:37], -v[46:47]
	v_add_f64_e64 v[56:57], v[50:51], -v[42:43]
	s_delay_alu instid0(VALU_DEP_3) | instskip(SKIP_1) | instid1(VALU_DEP_4)
	v_fmamk_f64 v[60:61], v[44:45], 0x3eeba404b5e68a13, v[26:27]
	v_add_f64_e64 v[42:43], v[54:55], -v[42:43]
	v_add_f64_e32 v[54:55], v[52:53], v[36:37]
	s_delay_alu instid0(VALU_DEP_3) | instskip(SKIP_1) | instid1(VALU_DEP_2)
	v_fmaak_f64 v[60:61], v[44:45], v[60:61], 0x3f4b2bb069efb384
	v_add_f64_e64 v[46:47], v[48:49], -v[56:57]
	v_fmaak_f64 v[48:49], v[44:45], v[60:61], 0xbf67952daf56de9b
	s_delay_alu instid0(VALU_DEP_1) | instskip(NEXT) | instid1(VALU_DEP_1)
	v_fmaak_f64 v[48:49], v[44:45], v[48:49], 0x3f7d6d43a595c56f
	v_fmaak_f64 v[48:49], v[44:45], v[48:49], 0xbf8c6ea4a57d9582
	s_delay_alu instid0(VALU_DEP_1) | instskip(SKIP_1) | instid1(VALU_DEP_2)
	v_fmaak_f64 v[48:49], v[44:45], v[48:49], 0x3f967e295f08b19f
	v_add_f64_e32 v[42:43], v[42:43], v[46:47]
	v_fmaak_f64 v[46:47], v[44:45], v[48:49], 0xbf9e9ae6fc27006a
	v_add_f64_e64 v[48:49], v[54:55], -v[52:53]
	s_delay_alu instid0(VALU_DEP_2) | instskip(NEXT) | instid1(VALU_DEP_1)
	v_fmaak_f64 v[46:47], v[44:45], v[46:47], 0x3fa2c15b5711927a
	v_fmaak_f64 v[46:47], v[44:45], v[46:47], 0xbfa59976e82d3ff0
	s_delay_alu instid0(VALU_DEP_1) | instskip(NEXT) | instid1(VALU_DEP_1)
	v_fmaak_f64 v[46:47], v[44:45], v[46:47], 0x3fa82d5d6ef28734
	v_fmaak_f64 v[46:47], v[44:45], v[46:47], 0xbfaae5ce6a214619
	v_add_f64_e32 v[42:43], v[54:55], v[42:43]
	v_add_f64_e64 v[54:55], v[54:55], -v[48:49]
	v_add_f64_e64 v[36:37], v[36:37], -v[48:49]
	s_delay_alu instid0(VALU_DEP_4) | instskip(NEXT) | instid1(VALU_DEP_1)
	v_fmaak_f64 v[46:47], v[44:45], v[46:47], 0x3fae1bb48427b883
	v_fmaak_f64 v[46:47], v[44:45], v[46:47], 0xbfb110e48b207f05
	s_delay_alu instid0(VALU_DEP_1) | instskip(NEXT) | instid1(VALU_DEP_1)
	v_fmaak_f64 v[46:47], v[44:45], v[46:47], 0x3fb3b13657b87036
	v_fmaak_f64 v[46:47], v[44:45], v[46:47], 0xbfb745d119378e4f
	s_delay_alu instid0(VALU_DEP_1) | instskip(SKIP_1) | instid1(VALU_DEP_2)
	v_fmaak_f64 v[46:47], v[44:45], v[46:47], 0x3fbc71c717e1913c
	v_add_f64_e32 v[56:57], v[50:51], v[42:43]
	v_fmaak_f64 v[46:47], v[44:45], v[46:47], 0xbfc2492492376b7d
	s_delay_alu instid0(VALU_DEP_1) | instskip(NEXT) | instid1(VALU_DEP_1)
	v_fmaak_f64 v[46:47], v[44:45], v[46:47], 0x3fc99999999952cc
	v_fmaak_f64 v[46:47], v[44:45], v[46:47], 0xbfd5555555555523
	s_delay_alu instid0(VALU_DEP_1) | instskip(SKIP_2) | instid1(VALU_DEP_3)
	v_mul_f64_e32 v[44:45], v[44:45], v[46:47]
	v_add_f64_e64 v[46:47], v[52:53], -v[54:55]
	v_add_f64_e64 v[48:49], v[56:57], -v[50:51]
	v_fmac_f64_e32 v[38:39], v[38:39], v[44:45]
	s_delay_alu instid0(VALU_DEP_3) | instskip(NEXT) | instid1(VALU_DEP_3)
	v_add_f64_e32 v[36:37], v[36:37], v[46:47]
	v_add_f64_e64 v[42:43], v[42:43], -v[48:49]
	s_delay_alu instid0(VALU_DEP_3) | instskip(NEXT) | instid1(VALU_DEP_1)
	v_add_f64_e64 v[44:45], -v[38:39], s[40:41]
	v_dual_add_f64 v[36:37], v[36:37], v[42:43] :: v_dual_cndmask_b32 v39, v39, v45, s6
	s_delay_alu instid0(VALU_DEP_2)
	v_cndmask_b32_e64 v38, v38, v44, s6
	v_cmp_gt_i32_e64 s6, 0, v15
	v_and_b32_e32 v45, 0x54442d18, v21
	v_and_b32_e32 v15, 0x400921fb, v21
	v_add_f64_e32 v[36:37], v[56:57], v[36:37]
	v_add_f64_e64 v[42:43], -v[38:39], s[42:43]
	v_cndmask_b32_e64 v44, 0x54442d18, v68, s6
	v_cndmask_b32_e64 v14, 0x3fe921fb, v69, s6
	s_delay_alu instid0(VALU_DEP_1) | instskip(SKIP_4) | instid1(VALU_DEP_4)
	v_bfi_b32 v14, 0x7fffffff, v14, v17
	v_dual_cndmask_b32 v37, v37, v41 :: v_dual_cndmask_b32 v36, v36, v40
	v_cmp_eq_f64_e32 vcc_lo, 0, v[16:17]
	v_dual_cndmask_b32 v38, v38, v42, s6 :: v_dual_cndmask_b32 v21, v39, v43, s6
	v_cmp_nge_f64_e64 s6, 0, v[40:41]
	v_add_f64_e32 v[36:37], 1.0, v[36:37]
	s_delay_alu instid0(VALU_DEP_3) | instskip(SKIP_1) | instid1(VALU_DEP_3)
	v_dual_cndmask_b32 v38, v38, v45 :: v_dual_cndmask_b32 v15, v21, v15
	v_cmp_ngt_f64_e32 vcc_lo, 0, v[40:41]
	v_cndmask_b32_e64 v36, 0, v36, s6
	v_cmp_neq_f64_e64 s6, 0, v[40:41]
	v_cndmask_b32_e32 v21, 0x7ff80000, v37, vcc_lo
	s_and_b32 vcc_lo, s7, s9
	v_dual_cndmask_b32 v39, v15, v14 :: v_dual_cndmask_b32 v38, v38, v44
	s_delay_alu instid0(VALU_DEP_2)
	v_cndmask_b32_e64 v37, 0xfff00000, v21, s6
.LBB185_39:                             ;   in Loop: Header=BB185_4 Depth=1
	s_or_b32 exec_lo, exec_lo, s8
.LBB185_40:                             ;   in Loop: Header=BB185_4 Depth=1
	s_and_not1_saveexec_b32 s6, s17
	s_cbranch_execz .LBB185_46
; %bb.41:                               ;   in Loop: Header=BB185_4 Depth=1
	v_cmp_ngt_f64_e64 s7, 0x20000000, |v[14:15]|
	v_cmp_ngt_f64_e64 s8, 0x20000000, |v[16:17]|
                                        ; implicit-def: $vgpr40_vgpr41
	s_or_b32 s7, s8, s7
	s_delay_alu instid0(SALU_CYCLE_1) | instskip(NEXT) | instid1(SALU_CYCLE_1)
	s_and_saveexec_b32 s8, s7
	s_xor_b32 s7, exec_lo, s8
	s_cbranch_execz .LBB185_43
; %bb.42:                               ;   in Loop: Header=BB185_4 Depth=1
	v_mul_f64_e32 v[40:41], v[14:15], v[14:15]
	s_delay_alu instid0(VALU_DEP_1)
	v_fmac_f64_e32 v[40:41], v[16:17], v[16:17]
.LBB185_43:                             ;   in Loop: Header=BB185_4 Depth=1
	s_and_not1_saveexec_b32 s7, s7
	s_cbranch_execz .LBB185_45
; %bb.44:                               ;   in Loop: Header=BB185_4 Depth=1
	v_mul_f64_e32 v[14:15], 4.0, v[14:15]
	v_mul_f64_e32 v[36:37], 4.0, v[16:17]
	s_delay_alu instid0(VALU_DEP_2) | instskip(NEXT) | instid1(VALU_DEP_1)
	v_mul_f64_e32 v[14:15], v[14:15], v[14:15]
	v_fmac_f64_e32 v[14:15], v[36:37], v[36:37]
	s_delay_alu instid0(VALU_DEP_1)
	v_ldexp_f64 v[40:41], v[14:15], -4
.LBB185_45:                             ;   in Loop: Header=BB185_4 Depth=1
	s_or_b32 exec_lo, exec_lo, s7
	s_delay_alu instid0(VALU_DEP_1) | instskip(NEXT) | instid1(VALU_DEP_1)
	v_frexp_mant_f64_e32 v[14:15], v[40:41]
	v_cmp_gt_f64_e32 vcc_lo, s[30:31], v[14:15]
	v_cndmask_b32_e64 v16, 0, 1, vcc_lo
	s_delay_alu instid0(VALU_DEP_1) | instskip(SKIP_1) | instid1(VALU_DEP_1)
	v_ldexp_f64 v[14:15], v[14:15], v16
	v_frexp_exp_i32_f64_e32 v16, v[40:41]
	v_subrev_co_ci_u32_e64 v16, null, 0, v16, vcc_lo
	v_cmp_class_f64_e64 vcc_lo, v[40:41], 0x204
	s_delay_alu instid0(VALU_DEP_4) | instskip(SKIP_1) | instid1(VALU_DEP_2)
	v_add_f64_e32 v[36:37], 1.0, v[14:15]
	v_add_f64_e32 v[44:45], -1.0, v[14:15]
	v_rcp_f64_e32 v[38:39], v[36:37]
	v_add_f64_e32 v[46:47], -1.0, v[36:37]
	s_delay_alu instid0(VALU_DEP_1) | instskip(NEXT) | instid1(TRANS32_DEP_1)
	v_add_f64_e64 v[14:15], v[14:15], -v[46:47]
	v_fma_f64 v[42:43], -v[36:37], v[38:39], 1.0
	s_delay_alu instid0(VALU_DEP_1) | instskip(NEXT) | instid1(VALU_DEP_1)
	v_fmac_f64_e32 v[38:39], v[42:43], v[38:39]
	v_fma_f64 v[42:43], -v[36:37], v[38:39], 1.0
	s_delay_alu instid0(VALU_DEP_1) | instskip(NEXT) | instid1(VALU_DEP_1)
	v_fmac_f64_e32 v[38:39], v[42:43], v[38:39]
	v_mul_f64_e32 v[42:43], v[44:45], v[38:39]
	s_delay_alu instid0(VALU_DEP_1) | instskip(NEXT) | instid1(VALU_DEP_1)
	v_mul_f64_e32 v[48:49], v[36:37], v[42:43]
	v_fma_f64 v[36:37], v[42:43], v[36:37], -v[48:49]
	s_delay_alu instid0(VALU_DEP_1) | instskip(NEXT) | instid1(VALU_DEP_1)
	v_fmac_f64_e32 v[36:37], v[42:43], v[14:15]
	v_add_f64_e32 v[14:15], v[48:49], v[36:37]
	s_delay_alu instid0(VALU_DEP_1) | instskip(SKIP_1) | instid1(VALU_DEP_2)
	v_add_f64_e64 v[46:47], v[44:45], -v[14:15]
	v_add_f64_e64 v[48:49], v[14:15], -v[48:49]
	;; [unrolled: 1-line block ×3, first 2 shown]
	s_delay_alu instid0(VALU_DEP_2) | instskip(NEXT) | instid1(VALU_DEP_2)
	v_add_f64_e64 v[36:37], v[48:49], -v[36:37]
	v_add_f64_e64 v[14:15], v[44:45], -v[14:15]
	s_delay_alu instid0(VALU_DEP_1) | instskip(NEXT) | instid1(VALU_DEP_1)
	v_add_f64_e32 v[14:15], v[36:37], v[14:15]
	v_add_f64_e32 v[14:15], v[46:47], v[14:15]
	s_delay_alu instid0(VALU_DEP_1) | instskip(NEXT) | instid1(VALU_DEP_1)
	v_mul_f64_e32 v[14:15], v[38:39], v[14:15]
	v_add_f64_e32 v[36:37], v[42:43], v[14:15]
	s_delay_alu instid0(VALU_DEP_1) | instskip(NEXT) | instid1(VALU_DEP_1)
	v_mul_f64_e32 v[38:39], v[36:37], v[36:37]
	v_fmamk_f64 v[44:45], v[38:39], 0x3fc3ab76bf559e2b, v[24:25]
	v_mul_f64_e32 v[46:47], v[36:37], v[38:39]
	s_delay_alu instid0(VALU_DEP_2) | instskip(NEXT) | instid1(VALU_DEP_1)
	v_fmaak_f64 v[44:45], v[38:39], v[44:45], 0x3fc7474dd7f4df2e
	v_fmaak_f64 v[44:45], v[38:39], v[44:45], 0x3fcc71c016291751
	s_delay_alu instid0(VALU_DEP_1) | instskip(NEXT) | instid1(VALU_DEP_1)
	v_fmaak_f64 v[44:45], v[38:39], v[44:45], 0x3fd249249b27acf1
	v_fmaak_f64 v[44:45], v[38:39], v[44:45], 0x3fd99999998ef7b6
	s_delay_alu instid0(VALU_DEP_1) | instskip(SKIP_2) | instid1(VALU_DEP_3)
	v_fmaak_f64 v[38:39], v[38:39], v[44:45], 0x3fe5555555555780
	v_ldexp_f64 v[44:45], v[36:37], 1
	v_add_f64_e64 v[36:37], v[36:37], -v[42:43]
	v_mul_f64_e32 v[38:39], v[46:47], v[38:39]
	v_cvt_f64_i32_e32 v[46:47], v16
	s_delay_alu instid0(VALU_DEP_3) | instskip(NEXT) | instid1(VALU_DEP_3)
	v_add_f64_e64 v[14:15], v[14:15], -v[36:37]
	v_add_f64_e32 v[42:43], v[44:45], v[38:39]
	s_delay_alu instid0(VALU_DEP_3) | instskip(NEXT) | instid1(VALU_DEP_3)
	v_mul_f64_e32 v[48:49], 0x3fe62e42fefa39ef, v[46:47]
	v_ldexp_f64 v[14:15], v[14:15], 1
	s_delay_alu instid0(VALU_DEP_3) | instskip(NEXT) | instid1(VALU_DEP_3)
	v_add_f64_e64 v[36:37], v[42:43], -v[44:45]
	v_fma_f64 v[44:45], v[46:47], s[34:35], -v[48:49]
	s_delay_alu instid0(VALU_DEP_2) | instskip(NEXT) | instid1(VALU_DEP_2)
	v_add_f64_e64 v[36:37], v[38:39], -v[36:37]
	v_fmac_f64_e32 v[44:45], 0x3c7abc9e3b39803f, v[46:47]
	s_delay_alu instid0(VALU_DEP_2) | instskip(NEXT) | instid1(VALU_DEP_2)
	v_add_f64_e32 v[14:15], v[14:15], v[36:37]
	v_add_f64_e32 v[36:37], v[48:49], v[44:45]
	s_delay_alu instid0(VALU_DEP_2) | instskip(NEXT) | instid1(VALU_DEP_2)
	v_add_f64_e32 v[38:39], v[42:43], v[14:15]
	v_add_f64_e64 v[48:49], v[36:37], -v[48:49]
	s_delay_alu instid0(VALU_DEP_2) | instskip(SKIP_1) | instid1(VALU_DEP_3)
	v_add_f64_e32 v[46:47], v[36:37], v[38:39]
	v_add_f64_e64 v[42:43], v[38:39], -v[42:43]
	v_add_f64_e64 v[44:45], v[44:45], -v[48:49]
	s_delay_alu instid0(VALU_DEP_3) | instskip(NEXT) | instid1(VALU_DEP_3)
	v_add_f64_e64 v[50:51], v[46:47], -v[36:37]
	v_add_f64_e64 v[14:15], v[14:15], -v[42:43]
	s_delay_alu instid0(VALU_DEP_2) | instskip(SKIP_1) | instid1(VALU_DEP_3)
	v_add_f64_e64 v[52:53], v[46:47], -v[50:51]
	v_add_f64_e64 v[38:39], v[38:39], -v[50:51]
	v_add_f64_e32 v[42:43], v[44:45], v[14:15]
	s_delay_alu instid0(VALU_DEP_3) | instskip(NEXT) | instid1(VALU_DEP_1)
	v_add_f64_e64 v[36:37], v[36:37], -v[52:53]
	v_add_f64_e32 v[36:37], v[38:39], v[36:37]
	s_delay_alu instid0(VALU_DEP_3) | instskip(NEXT) | instid1(VALU_DEP_2)
	v_add_f64_e64 v[38:39], v[42:43], -v[44:45]
	v_add_f64_e32 v[36:37], v[42:43], v[36:37]
	s_delay_alu instid0(VALU_DEP_2) | instskip(SKIP_1) | instid1(VALU_DEP_3)
	v_add_f64_e64 v[42:43], v[42:43], -v[38:39]
	v_add_f64_e64 v[14:15], v[14:15], -v[38:39]
	v_add_f64_e32 v[48:49], v[46:47], v[36:37]
	s_delay_alu instid0(VALU_DEP_3) | instskip(NEXT) | instid1(VALU_DEP_2)
	v_add_f64_e64 v[38:39], v[44:45], -v[42:43]
	v_add_f64_e64 v[42:43], v[48:49], -v[46:47]
	s_delay_alu instid0(VALU_DEP_2) | instskip(SKIP_1) | instid1(VALU_DEP_3)
	v_add_f64_e32 v[14:15], v[14:15], v[38:39]
	v_mov_b64_e32 v[38:39], 0x7ff8000000000000
	v_add_f64_e64 v[36:37], v[36:37], -v[42:43]
	s_delay_alu instid0(VALU_DEP_1) | instskip(NEXT) | instid1(VALU_DEP_1)
	v_add_f64_e32 v[14:15], v[14:15], v[36:37]
	v_add_f64_e32 v[14:15], v[48:49], v[14:15]
	s_delay_alu instid0(VALU_DEP_1) | instskip(SKIP_1) | instid1(VALU_DEP_2)
	v_dual_cndmask_b32 v14, v14, v40 :: v_dual_cndmask_b32 v15, v15, v41
	v_cmp_ngt_f64_e32 vcc_lo, 0, v[40:41]
	v_cndmask_b32_e32 v15, 0x7ff80000, v15, vcc_lo
	v_cmp_nge_f64_e32 vcc_lo, 0, v[40:41]
	s_delay_alu instid0(VALU_DEP_4) | instskip(SKIP_1) | instid1(VALU_DEP_4)
	v_cndmask_b32_e32 v36, 0, v14, vcc_lo
	v_cmp_neq_f64_e32 vcc_lo, 0, v[40:41]
	v_cndmask_b32_e32 v37, 0xfff00000, v15, vcc_lo
.LBB185_46:                             ;   in Loop: Header=BB185_4 Depth=1
	s_or_b32 exec_lo, exec_lo, s6
                                        ; implicit-def: $vgpr14_vgpr15
                                        ; implicit-def: $vgpr40_vgpr41
	s_delay_alu instid0(SALU_CYCLE_1)
	s_mov_b32 s6, exec_lo
	v_cmpx_o_f64_e32 v[10:11], v[12:13]
	s_xor_b32 s17, exec_lo, s6
	s_cbranch_execz .LBB185_74
; %bb.47:                               ;   in Loop: Header=BB185_4 Depth=1
	v_cmp_lt_f64_e64 s6, |v[10:11]|, |v[12:13]|
	v_and_b32_e32 v42, 0x7fffffff, v11
	v_and_b32_e32 v21, 0x7fffffff, v13
                                        ; implicit-def: $vgpr14_vgpr15
                                        ; implicit-def: $vgpr40_vgpr41
	s_mov_b32 s7, exec_lo
	s_delay_alu instid0(VALU_DEP_1) | instskip(SKIP_1) | instid1(VALU_DEP_1)
	v_dual_mov_b32 v16, v12 :: v_dual_cndmask_b32 v45, v21, v42, s6
	v_cndmask_b32_e64 v44, v12, v10, s6
	v_cmpx_nlt_f64_e32 s[24:25], v[44:45]
	s_xor_b32 s33, exec_lo, s7
	s_cbranch_execz .LBB185_71
; %bb.48:                               ;   in Loop: Header=BB185_4 Depth=1
	v_cndmask_b32_e64 v47, v42, v21, s6
	v_cndmask_b32_e64 v46, v10, v16, s6
                                        ; implicit-def: $vgpr14_vgpr15
                                        ; implicit-def: $vgpr40_vgpr41
	s_mov_b32 s7, exec_lo
	s_delay_alu instid0(VALU_DEP_1)
	v_cmpx_neq_f64_e32 1.0, v[46:47]
	s_xor_b32 s56, exec_lo, s7
	s_cbranch_execz .LBB185_64
; %bb.49:                               ;   in Loop: Header=BB185_4 Depth=1
	v_max_num_f64_e32 v[14:15], v[44:45], v[44:45]
	v_max_num_f64_e32 v[40:41], v[46:47], v[46:47]
	s_delay_alu instid0(VALU_DEP_1) | instskip(SKIP_1) | instid1(VALU_DEP_2)
	v_min_num_f64_e32 v[42:43], v[40:41], v[14:15]
	v_max_num_f64_e32 v[14:15], v[40:41], v[14:15]
                                        ; implicit-def: $vgpr40_vgpr41
	v_cmp_ngt_f64_e32 vcc_lo, s[26:27], v[42:43]
	s_delay_alu instid0(VALU_DEP_2) | instskip(SKIP_1) | instid1(SALU_CYCLE_1)
	v_cmp_nlt_f64_e64 s7, s[28:29], v[14:15]
                                        ; implicit-def: $vgpr14_vgpr15
	s_and_b32 s7, s7, vcc_lo
	s_and_saveexec_b32 s8, s7
	s_delay_alu instid0(SALU_CYCLE_1)
	s_xor_b32 s57, exec_lo, s8
	s_cbranch_execz .LBB185_61
; %bb.50:                               ;   in Loop: Header=BB185_4 Depth=1
                                        ; implicit-def: $vgpr14_vgpr15
                                        ; implicit-def: $vgpr40_vgpr41
	s_mov_b32 s7, exec_lo
	v_cmpx_le_f64_e32 1.0, v[46:47]
	s_xor_b32 s10, exec_lo, s7
	s_cbranch_execz .LBB185_52
; %bb.51:                               ;   in Loop: Header=BB185_4 Depth=1
	v_add_f64_e32 v[14:15], -1.0, v[46:47]
	v_add_f64_e32 v[40:41], 1.0, v[46:47]
	v_cmp_eq_f64_e64 s7, 0, v[12:13]
	v_cmp_class_f64_e64 s12, v[10:11], 0x204
	v_cmp_class_f64_e64 s11, v[12:13], 0x204
	s_delay_alu instid0(VALU_DEP_4) | instskip(NEXT) | instid1(VALU_DEP_1)
	v_mul_f64_e32 v[42:43], v[14:15], v[40:41]
	v_fmac_f64_e32 v[42:43], v[44:45], v[44:45]
	s_delay_alu instid0(VALU_DEP_1) | instskip(SKIP_2) | instid1(VALU_DEP_3)
	v_add_f64_e32 v[14:15], 1.0, v[42:43]
	v_cmp_nge_f64_e64 s8, -1.0, v[42:43]
	v_cmp_neq_f64_e64 s9, 0x7ff00000, v[42:43]
	v_frexp_mant_f64_e32 v[40:41], v[14:15]
	v_frexp_exp_i32_f64_e32 v16, v[14:15]
	v_add_f64_e32 v[44:45], -1.0, v[14:15]
	s_delay_alu instid0(VALU_DEP_3) | instskip(NEXT) | instid1(VALU_DEP_2)
	v_cmp_gt_f64_e32 vcc_lo, s[30:31], v[40:41]
	v_add_f64_e64 v[40:41], v[44:45], -v[14:15]
	v_add_f64_e64 v[44:45], v[42:43], -v[44:45]
	v_subrev_co_ci_u32_e64 v16, null, 0, v16, vcc_lo
	s_delay_alu instid0(VALU_DEP_3) | instskip(NEXT) | instid1(VALU_DEP_2)
	v_add_f64_e32 v[40:41], 1.0, v[40:41]
	v_sub_nc_u32_e32 v21, 0, v16
	s_delay_alu instid0(VALU_DEP_1) | instskip(NEXT) | instid1(VALU_DEP_3)
	v_ldexp_f64 v[14:15], v[14:15], v21
	v_add_f64_e32 v[40:41], v[44:45], v[40:41]
	s_delay_alu instid0(VALU_DEP_2) | instskip(SKIP_1) | instid1(VALU_DEP_3)
	v_add_f64_e32 v[46:47], 1.0, v[14:15]
	v_add_f64_e32 v[52:53], -1.0, v[14:15]
	v_ldexp_f64 v[40:41], v[40:41], v21
	s_delay_alu instid0(VALU_DEP_3) | instskip(NEXT) | instid1(VALU_DEP_3)
	v_add_f64_e32 v[44:45], -1.0, v[46:47]
	v_add_f64_e32 v[54:55], 1.0, v[52:53]
	s_delay_alu instid0(VALU_DEP_2) | instskip(NEXT) | instid1(VALU_DEP_2)
	v_add_f64_e64 v[44:45], v[14:15], -v[44:45]
	v_add_f64_e64 v[14:15], v[14:15], -v[54:55]
	s_delay_alu instid0(VALU_DEP_2) | instskip(NEXT) | instid1(VALU_DEP_2)
	v_add_f64_e32 v[44:45], v[40:41], v[44:45]
	v_add_f64_e32 v[14:15], v[40:41], v[14:15]
	s_delay_alu instid0(VALU_DEP_2) | instskip(NEXT) | instid1(VALU_DEP_2)
	v_add_f64_e32 v[48:49], v[46:47], v[44:45]
	v_add_f64_e32 v[54:55], v[52:53], v[14:15]
	s_delay_alu instid0(VALU_DEP_2) | instskip(SKIP_1) | instid1(VALU_DEP_2)
	v_rcp_f64_e32 v[50:51], v[48:49]
	v_add_f64_e64 v[46:47], v[48:49], -v[46:47]
	v_add_f64_e64 v[52:53], v[54:55], -v[52:53]
	s_delay_alu instid0(VALU_DEP_2) | instskip(NEXT) | instid1(VALU_DEP_2)
	v_add_f64_e64 v[44:45], v[44:45], -v[46:47]
	v_add_f64_e64 v[14:15], v[14:15], -v[52:53]
	s_delay_alu instid0(TRANS32_DEP_1) | instskip(NEXT) | instid1(VALU_DEP_1)
	v_fma_f64 v[56:57], -v[48:49], v[50:51], 1.0
	v_fmac_f64_e32 v[50:51], v[56:57], v[50:51]
	s_delay_alu instid0(VALU_DEP_1) | instskip(NEXT) | instid1(VALU_DEP_1)
	v_fma_f64 v[40:41], -v[48:49], v[50:51], 1.0
	v_fmac_f64_e32 v[50:51], v[40:41], v[50:51]
	s_delay_alu instid0(VALU_DEP_1) | instskip(NEXT) | instid1(VALU_DEP_1)
	v_mul_f64_e32 v[40:41], v[54:55], v[50:51]
	v_mul_f64_e32 v[56:57], v[48:49], v[40:41]
	s_delay_alu instid0(VALU_DEP_1) | instskip(NEXT) | instid1(VALU_DEP_1)
	v_fma_f64 v[46:47], v[40:41], v[48:49], -v[56:57]
	v_fmac_f64_e32 v[46:47], v[40:41], v[44:45]
	s_delay_alu instid0(VALU_DEP_1) | instskip(NEXT) | instid1(VALU_DEP_1)
	v_add_f64_e32 v[58:59], v[56:57], v[46:47]
	v_add_f64_e64 v[60:61], v[54:55], -v[58:59]
	v_add_f64_e64 v[52:53], v[58:59], -v[56:57]
	s_delay_alu instid0(VALU_DEP_2) | instskip(NEXT) | instid1(VALU_DEP_2)
	v_add_f64_e64 v[54:55], v[54:55], -v[60:61]
	v_add_f64_e64 v[46:47], v[52:53], -v[46:47]
	s_delay_alu instid0(VALU_DEP_2) | instskip(NEXT) | instid1(VALU_DEP_1)
	v_add_f64_e64 v[54:55], v[54:55], -v[58:59]
	v_add_f64_e32 v[14:15], v[14:15], v[54:55]
	s_delay_alu instid0(VALU_DEP_1) | instskip(NEXT) | instid1(VALU_DEP_1)
	v_add_f64_e32 v[14:15], v[46:47], v[14:15]
	v_add_f64_e32 v[46:47], v[60:61], v[14:15]
	s_delay_alu instid0(VALU_DEP_1) | instskip(SKIP_1) | instid1(VALU_DEP_2)
	v_mul_f64_e32 v[52:53], v[50:51], v[46:47]
	v_add_f64_e64 v[58:59], v[60:61], -v[46:47]
	v_mul_f64_e32 v[54:55], v[48:49], v[52:53]
	s_delay_alu instid0(VALU_DEP_2) | instskip(NEXT) | instid1(VALU_DEP_2)
	v_add_f64_e32 v[14:15], v[14:15], v[58:59]
	v_fma_f64 v[48:49], v[52:53], v[48:49], -v[54:55]
	s_delay_alu instid0(VALU_DEP_1) | instskip(NEXT) | instid1(VALU_DEP_1)
	v_fmac_f64_e32 v[48:49], v[52:53], v[44:45]
	v_add_f64_e32 v[44:45], v[54:55], v[48:49]
	s_delay_alu instid0(VALU_DEP_1) | instskip(SKIP_1) | instid1(VALU_DEP_2)
	v_add_f64_e64 v[56:57], v[46:47], -v[44:45]
	v_add_f64_e64 v[54:55], v[44:45], -v[54:55]
	;; [unrolled: 1-line block ×3, first 2 shown]
	s_delay_alu instid0(VALU_DEP_1) | instskip(NEXT) | instid1(VALU_DEP_3)
	v_add_f64_e64 v[44:45], v[46:47], -v[44:45]
	v_add_f64_e64 v[46:47], v[54:55], -v[48:49]
	v_max_num_f64_e64 v[48:49], |v[10:11]|, |v[10:11]|
	s_delay_alu instid0(VALU_DEP_3) | instskip(SKIP_1) | instid1(VALU_DEP_2)
	v_add_f64_e32 v[14:15], v[14:15], v[44:45]
	v_add_f64_e32 v[44:45], v[40:41], v[52:53]
	;; [unrolled: 1-line block ×3, first 2 shown]
	s_delay_alu instid0(VALU_DEP_2) | instskip(SKIP_1) | instid1(VALU_DEP_3)
	v_add_f64_e64 v[40:41], v[44:45], -v[40:41]
	v_max_num_f64_e64 v[46:47], |v[12:13]|, |v[12:13]|
	v_add_f64_e32 v[14:15], v[56:57], v[14:15]
	s_delay_alu instid0(VALU_DEP_3) | instskip(NEXT) | instid1(VALU_DEP_2)
	v_add_f64_e64 v[40:41], v[52:53], -v[40:41]
	v_mul_f64_e32 v[14:15], v[50:51], v[14:15]
	s_delay_alu instid0(VALU_DEP_1) | instskip(SKIP_2) | instid1(VALU_DEP_3)
	v_add_f64_e32 v[14:15], v[40:41], v[14:15]
	v_max_num_f64_e32 v[40:41], v[48:49], v[46:47]
	v_min_num_f64_e32 v[46:47], v[48:49], v[46:47]
	v_add_f64_e32 v[48:49], v[44:45], v[14:15]
	s_delay_alu instid0(VALU_DEP_2) | instskip(NEXT) | instid1(VALU_DEP_2)
	v_div_scale_f64 v[50:51], null, v[40:41], v[40:41], v[46:47]
	v_mul_f64_e32 v[52:53], v[48:49], v[48:49]
	v_add_f64_e64 v[44:45], v[48:49], -v[44:45]
	s_delay_alu instid0(VALU_DEP_3) | instskip(NEXT) | instid1(VALU_DEP_2)
	v_rcp_f64_e32 v[54:55], v[50:51]
	v_fmamk_f64 v[56:57], v[52:53], 0x3fc3ab76bf559e2b, v[24:25]
	v_mul_f64_e32 v[58:59], v[48:49], v[52:53]
	s_delay_alu instid0(VALU_DEP_3) | instskip(NEXT) | instid1(VALU_DEP_3)
	v_add_f64_e64 v[14:15], v[14:15], -v[44:45]
	v_fmaak_f64 v[56:57], v[52:53], v[56:57], 0x3fc7474dd7f4df2e
	s_delay_alu instid0(TRANS32_DEP_1) | instskip(NEXT) | instid1(VALU_DEP_2)
	v_fma_f64 v[60:61], -v[50:51], v[54:55], 1.0
	v_fmaak_f64 v[56:57], v[52:53], v[56:57], 0x3fcc71c016291751
	s_delay_alu instid0(VALU_DEP_1) | instskip(NEXT) | instid1(VALU_DEP_1)
	v_fmaak_f64 v[56:57], v[52:53], v[56:57], 0x3fd249249b27acf1
	v_fmaak_f64 v[56:57], v[52:53], v[56:57], 0x3fd99999998ef7b6
	v_ldexp_f64 v[14:15], v[14:15], 1
	s_delay_alu instid0(VALU_DEP_2) | instskip(SKIP_2) | instid1(VALU_DEP_3)
	v_fmaak_f64 v[52:53], v[52:53], v[56:57], 0x3fe5555555555780
	v_ldexp_f64 v[56:57], v[48:49], 1
	v_fmac_f64_e32 v[54:55], v[54:55], v[60:61]
	v_mul_f64_e32 v[52:53], v[58:59], v[52:53]
	v_cvt_f64_i32_e32 v[58:59], v16
	v_ashrrev_i32_e32 v16, 31, v11
	s_delay_alu instid0(VALU_DEP_4) | instskip(NEXT) | instid1(VALU_DEP_4)
	v_fma_f64 v[60:61], -v[50:51], v[54:55], 1.0
	v_add_f64_e32 v[48:49], v[56:57], v[52:53]
	s_delay_alu instid0(VALU_DEP_4) | instskip(NEXT) | instid1(VALU_DEP_3)
	v_mul_f64_e32 v[62:63], 0x3fe62e42fefa39ef, v[58:59]
	v_fmac_f64_e32 v[54:55], v[54:55], v[60:61]
	s_delay_alu instid0(VALU_DEP_3) | instskip(SKIP_1) | instid1(VALU_DEP_4)
	v_add_f64_e64 v[44:45], v[48:49], -v[56:57]
	v_div_scale_f64 v[56:57], vcc_lo, v[46:47], v[40:41], v[46:47]
	v_fma_f64 v[60:61], v[58:59], s[34:35], -v[62:63]
	s_delay_alu instid0(VALU_DEP_3) | instskip(NEXT) | instid1(VALU_DEP_3)
	v_add_f64_e64 v[44:45], v[52:53], -v[44:45]
	v_mul_f64_e32 v[52:53], v[56:57], v[54:55]
	s_delay_alu instid0(VALU_DEP_3) | instskip(NEXT) | instid1(VALU_DEP_3)
	v_fmac_f64_e32 v[60:61], 0x3c7abc9e3b39803f, v[58:59]
	v_add_f64_e32 v[14:15], v[14:15], v[44:45]
	s_delay_alu instid0(VALU_DEP_3) | instskip(NEXT) | instid1(VALU_DEP_3)
	v_fma_f64 v[44:45], -v[50:51], v[52:53], v[56:57]
	v_add_f64_e32 v[50:51], v[62:63], v[60:61]
	s_delay_alu instid0(VALU_DEP_3) | instskip(NEXT) | instid1(VALU_DEP_3)
	v_add_f64_e32 v[56:57], v[48:49], v[14:15]
	v_div_fmas_f64 v[44:45], v[44:45], v[54:55], v[52:53]
	v_cmp_gt_i32_e32 vcc_lo, 0, v11
	s_delay_alu instid0(VALU_DEP_4) | instskip(SKIP_3) | instid1(VALU_DEP_1)
	v_add_f64_e64 v[54:55], v[50:51], -v[62:63]
	v_and_b32_e32 v11, 0x400921fb, v16
	v_cndmask_b32_e32 v21, 0x54442d18, v68, vcc_lo
	v_cndmask_b32_e32 v10, 0x3fe921fb, v69, vcc_lo
	v_bfi_b32 v10, 0x7fffffff, v10, v13
	v_add_f64_e32 v[52:53], v[50:51], v[56:57]
	v_div_fixup_f64 v[40:41], v[44:45], v[40:41], v[46:47]
	v_add_f64_e64 v[48:49], v[56:57], -v[48:49]
	v_add_f64_e64 v[54:55], v[60:61], -v[54:55]
	s_delay_alu instid0(VALU_DEP_4) | instskip(NEXT) | instid1(VALU_DEP_4)
	v_add_f64_e64 v[44:45], v[52:53], -v[50:51]
	v_mul_f64_e32 v[46:47], v[40:41], v[40:41]
	s_delay_alu instid0(VALU_DEP_4) | instskip(NEXT) | instid1(VALU_DEP_3)
	v_add_f64_e64 v[14:15], v[14:15], -v[48:49]
	v_add_f64_e64 v[58:59], v[52:53], -v[44:45]
	s_delay_alu instid0(VALU_DEP_3) | instskip(SKIP_1) | instid1(VALU_DEP_4)
	v_fmamk_f64 v[62:63], v[46:47], 0x3eeba404b5e68a13, v[26:27]
	v_add_f64_e64 v[44:45], v[56:57], -v[44:45]
	v_add_f64_e32 v[56:57], v[54:55], v[14:15]
	s_delay_alu instid0(VALU_DEP_3) | instskip(SKIP_1) | instid1(VALU_DEP_2)
	v_fmaak_f64 v[62:63], v[46:47], v[62:63], 0x3f4b2bb069efb384
	v_add_f64_e64 v[48:49], v[50:51], -v[58:59]
	v_fmaak_f64 v[50:51], v[46:47], v[62:63], 0xbf67952daf56de9b
	s_delay_alu instid0(VALU_DEP_1) | instskip(NEXT) | instid1(VALU_DEP_1)
	v_fmaak_f64 v[50:51], v[46:47], v[50:51], 0x3f7d6d43a595c56f
	v_fmaak_f64 v[50:51], v[46:47], v[50:51], 0xbf8c6ea4a57d9582
	s_delay_alu instid0(VALU_DEP_1) | instskip(NEXT) | instid1(VALU_DEP_1)
	v_fmaak_f64 v[50:51], v[46:47], v[50:51], 0x3f967e295f08b19f
	v_fmaak_f64 v[50:51], v[46:47], v[50:51], 0xbf9e9ae6fc27006a
	v_add_f64_e32 v[44:45], v[44:45], v[48:49]
	s_delay_alu instid0(VALU_DEP_2) | instskip(SKIP_1) | instid1(VALU_DEP_2)
	v_fmaak_f64 v[48:49], v[46:47], v[50:51], 0x3fa2c15b5711927a
	v_add_f64_e64 v[50:51], v[56:57], -v[54:55]
	v_fmaak_f64 v[48:49], v[46:47], v[48:49], 0xbfa59976e82d3ff0
	s_delay_alu instid0(VALU_DEP_1) | instskip(NEXT) | instid1(VALU_DEP_1)
	v_fmaak_f64 v[48:49], v[46:47], v[48:49], 0x3fa82d5d6ef28734
	v_fmaak_f64 v[48:49], v[46:47], v[48:49], 0xbfaae5ce6a214619
	s_delay_alu instid0(VALU_DEP_1) | instskip(SKIP_3) | instid1(VALU_DEP_4)
	v_fmaak_f64 v[48:49], v[46:47], v[48:49], 0x3fae1bb48427b883
	v_add_f64_e32 v[44:45], v[56:57], v[44:45]
	v_add_f64_e64 v[56:57], v[56:57], -v[50:51]
	v_add_f64_e64 v[14:15], v[14:15], -v[50:51]
	v_fmaak_f64 v[48:49], v[46:47], v[48:49], 0xbfb110e48b207f05
	s_delay_alu instid0(VALU_DEP_1) | instskip(NEXT) | instid1(VALU_DEP_1)
	v_fmaak_f64 v[48:49], v[46:47], v[48:49], 0x3fb3b13657b87036
	v_fmaak_f64 v[48:49], v[46:47], v[48:49], 0xbfb745d119378e4f
	s_delay_alu instid0(VALU_DEP_1) | instskip(SKIP_1) | instid1(VALU_DEP_2)
	v_fmaak_f64 v[48:49], v[46:47], v[48:49], 0x3fbc71c717e1913c
	v_add_f64_e32 v[58:59], v[52:53], v[44:45]
	v_fmaak_f64 v[48:49], v[46:47], v[48:49], 0xbfc2492492376b7d
	s_delay_alu instid0(VALU_DEP_1) | instskip(NEXT) | instid1(VALU_DEP_1)
	v_fmaak_f64 v[48:49], v[46:47], v[48:49], 0x3fc99999999952cc
	v_fmaak_f64 v[48:49], v[46:47], v[48:49], 0xbfd5555555555523
	s_delay_alu instid0(VALU_DEP_1) | instskip(SKIP_2) | instid1(VALU_DEP_3)
	v_mul_f64_e32 v[46:47], v[46:47], v[48:49]
	v_add_f64_e64 v[48:49], v[54:55], -v[56:57]
	v_add_f64_e64 v[50:51], v[58:59], -v[52:53]
	v_fmac_f64_e32 v[40:41], v[40:41], v[46:47]
	s_delay_alu instid0(VALU_DEP_3) | instskip(NEXT) | instid1(VALU_DEP_3)
	v_add_f64_e32 v[14:15], v[14:15], v[48:49]
	v_add_f64_e64 v[44:45], v[44:45], -v[50:51]
	s_delay_alu instid0(VALU_DEP_3) | instskip(NEXT) | instid1(VALU_DEP_1)
	v_add_f64_e64 v[46:47], -v[40:41], s[40:41]
	v_dual_add_f64 v[14:15], v[14:15], v[44:45] :: v_dual_cndmask_b32 v41, v41, v47, s6
	s_delay_alu instid0(VALU_DEP_2) | instskip(SKIP_1) | instid1(VALU_DEP_2)
	v_cndmask_b32_e64 v40, v40, v46, s6
	v_and_b32_e32 v46, 0x54442d18, v16
	v_add_f64_e64 v[44:45], -v[40:41], s[42:43]
	s_delay_alu instid0(VALU_DEP_1) | instskip(NEXT) | instid1(VALU_DEP_2)
	v_dual_add_f64 v[14:15], v[58:59], v[14:15] :: v_dual_cndmask_b32 v40, v40, v44, vcc_lo
	v_cndmask_b32_e32 v16, v41, v45, vcc_lo
	v_cmp_ngt_f64_e32 vcc_lo, -1.0, v[42:43]
	s_delay_alu instid0(VALU_DEP_3) | instskip(NEXT) | instid1(VALU_DEP_4)
	v_mul_f64_e32 v[14:15], 0.5, v[14:15]
                                        ; implicit-def: $vgpr44_vgpr45
	v_cndmask_b32_e64 v40, v40, v46, s7
	s_delay_alu instid0(VALU_DEP_4)
	v_cndmask_b32_e64 v11, v16, v11, s7
	s_and_b32 s7, s8, s9
                                        ; implicit-def: $vgpr46_vgpr47
	s_delay_alu instid0(VALU_DEP_3) | instid1(SALU_CYCLE_1)
	v_cndmask_b32_e64 v14, 0, v14, s7
	v_cmp_neq_f64_e64 s7, -1.0, v[42:43]
	v_cndmask_b32_e64 v15, 0x7ff00000, v15, s9
	s_delay_alu instid0(VALU_DEP_1) | instskip(SKIP_2) | instid1(VALU_DEP_2)
	v_cndmask_b32_e32 v15, 0x7ff80000, v15, vcc_lo
	s_and_b32 vcc_lo, s11, s12
	v_dual_cndmask_b32 v41, v11, v10 :: v_dual_cndmask_b32 v40, v40, v21
	v_cndmask_b32_e64 v15, 0xfff00000, v15, s7
.LBB185_52:                             ;   in Loop: Header=BB185_4 Depth=1
	s_and_not1_saveexec_b32 s58, s10
	s_cbranch_execz .LBB185_60
; %bb.53:                               ;   in Loop: Header=BB185_4 Depth=1
	v_mul_f64_e32 v[42:43], v[44:45], v[44:45]
                                        ; implicit-def: $vgpr14_vgpr15
                                        ; implicit-def: $vgpr40_vgpr41
	s_mov_b32 s7, exec_lo
	s_delay_alu instid0(VALU_DEP_1) | instskip(NEXT) | instid1(VALU_DEP_1)
	v_fmac_f64_e32 v[42:43], v[46:47], v[46:47]
	v_cmpx_ge_f64_e32 s[44:45], v[42:43]
	s_xor_b32 s9, exec_lo, s7
	s_cbranch_execz .LBB185_55
; %bb.54:                               ;   in Loop: Header=BB185_4 Depth=1
	v_frexp_mant_f64_e32 v[14:15], v[42:43]
	v_cmp_eq_f64_e64 s7, 0, v[12:13]
	v_cmp_neq_f64_e64 s8, 0, v[42:43]
	v_cmp_class_f64_e64 s10, v[12:13], 0x204
	v_cmp_class_f64_e64 s11, v[10:11], 0x204
	v_cmp_gt_f64_e32 vcc_lo, s[30:31], v[14:15]
	v_cndmask_b32_e64 v16, 0, 1, vcc_lo
	s_delay_alu instid0(VALU_DEP_1) | instskip(SKIP_1) | instid1(VALU_DEP_2)
	v_ldexp_f64 v[14:15], v[14:15], v16
	v_frexp_exp_i32_f64_e32 v16, v[42:43]
	v_add_f64_e32 v[40:41], 1.0, v[14:15]
	v_add_f64_e32 v[48:49], -1.0, v[14:15]
	s_delay_alu instid0(VALU_DEP_3) | instskip(NEXT) | instid1(VALU_DEP_3)
	v_subrev_co_ci_u32_e64 v16, null, 0, v16, vcc_lo
	v_rcp_f64_e32 v[44:45], v[40:41]
	v_add_f64_e32 v[50:51], -1.0, v[40:41]
	s_delay_alu instid0(VALU_DEP_1) | instskip(NEXT) | instid1(TRANS32_DEP_1)
	v_add_f64_e64 v[14:15], v[14:15], -v[50:51]
	v_fma_f64 v[46:47], -v[40:41], v[44:45], 1.0
	s_delay_alu instid0(VALU_DEP_1) | instskip(NEXT) | instid1(VALU_DEP_1)
	v_fmac_f64_e32 v[44:45], v[46:47], v[44:45]
	v_fma_f64 v[46:47], -v[40:41], v[44:45], 1.0
	s_delay_alu instid0(VALU_DEP_1) | instskip(NEXT) | instid1(VALU_DEP_1)
	v_fmac_f64_e32 v[44:45], v[46:47], v[44:45]
	v_mul_f64_e32 v[46:47], v[48:49], v[44:45]
	s_delay_alu instid0(VALU_DEP_1) | instskip(NEXT) | instid1(VALU_DEP_1)
	v_mul_f64_e32 v[52:53], v[40:41], v[46:47]
	v_fma_f64 v[40:41], v[46:47], v[40:41], -v[52:53]
	s_delay_alu instid0(VALU_DEP_1) | instskip(NEXT) | instid1(VALU_DEP_1)
	v_fmac_f64_e32 v[40:41], v[46:47], v[14:15]
	v_add_f64_e32 v[14:15], v[52:53], v[40:41]
	s_delay_alu instid0(VALU_DEP_1) | instskip(SKIP_1) | instid1(VALU_DEP_2)
	v_add_f64_e64 v[50:51], v[48:49], -v[14:15]
	v_add_f64_e64 v[52:53], v[14:15], -v[52:53]
	v_add_f64_e64 v[48:49], v[48:49], -v[50:51]
	s_delay_alu instid0(VALU_DEP_2) | instskip(NEXT) | instid1(VALU_DEP_2)
	v_add_f64_e64 v[40:41], v[52:53], -v[40:41]
	v_add_f64_e64 v[14:15], v[48:49], -v[14:15]
	v_max_num_f64_e64 v[48:49], |v[10:11]|, |v[10:11]|
	s_delay_alu instid0(VALU_DEP_2) | instskip(SKIP_1) | instid1(VALU_DEP_2)
	v_add_f64_e32 v[14:15], v[40:41], v[14:15]
	v_max_num_f64_e64 v[40:41], |v[12:13]|, |v[12:13]|
	v_add_f64_e32 v[14:15], v[50:51], v[14:15]
	s_delay_alu instid0(VALU_DEP_1) | instskip(NEXT) | instid1(VALU_DEP_3)
	v_mul_f64_e32 v[14:15], v[44:45], v[14:15]
	v_max_num_f64_e32 v[44:45], v[48:49], v[40:41]
	v_min_num_f64_e32 v[40:41], v[48:49], v[40:41]
	s_delay_alu instid0(VALU_DEP_3) | instskip(NEXT) | instid1(VALU_DEP_2)
	v_add_f64_e32 v[48:49], v[46:47], v[14:15]
	v_div_scale_f64 v[50:51], null, v[44:45], v[44:45], v[40:41]
	s_delay_alu instid0(VALU_DEP_2) | instskip(NEXT) | instid1(VALU_DEP_2)
	v_mul_f64_e32 v[52:53], v[48:49], v[48:49]
	v_rcp_f64_e32 v[54:55], v[50:51]
	s_delay_alu instid0(VALU_DEP_1) | instskip(SKIP_1) | instid1(VALU_DEP_2)
	v_fmamk_f64 v[56:57], v[52:53], 0x3fc3ab76bf559e2b, v[24:25]
	v_mul_f64_e32 v[58:59], v[48:49], v[52:53]
	v_fmaak_f64 v[56:57], v[52:53], v[56:57], 0x3fc7474dd7f4df2e
	s_delay_alu instid0(TRANS32_DEP_1) | instskip(NEXT) | instid1(VALU_DEP_2)
	v_fma_f64 v[60:61], -v[50:51], v[54:55], 1.0
	v_fmaak_f64 v[56:57], v[52:53], v[56:57], 0x3fcc71c016291751
	s_delay_alu instid0(VALU_DEP_1) | instskip(NEXT) | instid1(VALU_DEP_1)
	v_fmaak_f64 v[56:57], v[52:53], v[56:57], 0x3fd249249b27acf1
	v_fmaak_f64 v[56:57], v[52:53], v[56:57], 0x3fd99999998ef7b6
	s_delay_alu instid0(VALU_DEP_1) | instskip(SKIP_2) | instid1(VALU_DEP_3)
	v_fmaak_f64 v[52:53], v[52:53], v[56:57], 0x3fe5555555555780
	v_ldexp_f64 v[56:57], v[48:49], 1
	v_fmac_f64_e32 v[54:55], v[54:55], v[60:61]
	v_mul_f64_e32 v[52:53], v[58:59], v[52:53]
	v_cvt_f64_i32_e32 v[58:59], v16
	v_ashrrev_i32_e32 v16, 31, v11
	v_add_f64_e64 v[46:47], v[48:49], -v[46:47]
	v_fma_f64 v[60:61], -v[50:51], v[54:55], 1.0
	v_add_f64_e32 v[48:49], v[56:57], v[52:53]
	v_mul_f64_e32 v[62:63], 0x3fe62e42fefa39ef, v[58:59]
	s_delay_alu instid0(VALU_DEP_4) | instskip(NEXT) | instid1(VALU_DEP_4)
	v_add_f64_e64 v[14:15], v[14:15], -v[46:47]
	v_fmac_f64_e32 v[54:55], v[54:55], v[60:61]
	s_delay_alu instid0(VALU_DEP_4) | instskip(SKIP_3) | instid1(VALU_DEP_4)
	v_add_f64_e64 v[46:47], v[48:49], -v[56:57]
	v_div_scale_f64 v[56:57], vcc_lo, v[40:41], v[44:45], v[40:41]
	v_fma_f64 v[60:61], v[58:59], s[34:35], -v[62:63]
	v_ldexp_f64 v[14:15], v[14:15], 1
	v_add_f64_e64 v[46:47], v[52:53], -v[46:47]
	s_delay_alu instid0(VALU_DEP_4) | instskip(NEXT) | instid1(VALU_DEP_4)
	v_mul_f64_e32 v[52:53], v[56:57], v[54:55]
	v_fmac_f64_e32 v[60:61], 0x3c7abc9e3b39803f, v[58:59]
	s_delay_alu instid0(VALU_DEP_3) | instskip(NEXT) | instid1(VALU_DEP_3)
	v_add_f64_e32 v[14:15], v[14:15], v[46:47]
	v_fma_f64 v[46:47], -v[50:51], v[52:53], v[56:57]
	s_delay_alu instid0(VALU_DEP_3) | instskip(NEXT) | instid1(VALU_DEP_3)
	v_add_f64_e32 v[50:51], v[62:63], v[60:61]
	v_add_f64_e32 v[56:57], v[48:49], v[14:15]
	s_delay_alu instid0(VALU_DEP_3) | instskip(SKIP_1) | instid1(VALU_DEP_4)
	v_div_fmas_f64 v[46:47], v[46:47], v[54:55], v[52:53]
	v_cmp_gt_i32_e32 vcc_lo, 0, v11
	v_add_f64_e64 v[54:55], v[50:51], -v[62:63]
	v_cndmask_b32_e32 v21, 0x54442d18, v68, vcc_lo
	v_add_f64_e32 v[52:53], v[50:51], v[56:57]
	v_div_fixup_f64 v[40:41], v[46:47], v[44:45], v[40:41]
	v_add_f64_e64 v[48:49], v[56:57], -v[48:49]
	v_add_f64_e64 v[54:55], v[60:61], -v[54:55]
	s_delay_alu instid0(VALU_DEP_4) | instskip(NEXT) | instid1(VALU_DEP_4)
	v_add_f64_e64 v[44:45], v[52:53], -v[50:51]
	v_mul_f64_e32 v[46:47], v[40:41], v[40:41]
	s_delay_alu instid0(VALU_DEP_4) | instskip(NEXT) | instid1(VALU_DEP_3)
	v_add_f64_e64 v[14:15], v[14:15], -v[48:49]
	v_add_f64_e64 v[58:59], v[52:53], -v[44:45]
	s_delay_alu instid0(VALU_DEP_3) | instskip(SKIP_1) | instid1(VALU_DEP_4)
	v_fmamk_f64 v[62:63], v[46:47], 0x3eeba404b5e68a13, v[26:27]
	v_add_f64_e64 v[44:45], v[56:57], -v[44:45]
	v_add_f64_e32 v[56:57], v[54:55], v[14:15]
	s_delay_alu instid0(VALU_DEP_3) | instskip(NEXT) | instid1(VALU_DEP_1)
	v_fmaak_f64 v[62:63], v[46:47], v[62:63], 0x3f4b2bb069efb384
	v_fmaak_f64 v[62:63], v[46:47], v[62:63], 0xbf67952daf56de9b
	v_add_f64_e64 v[48:49], v[50:51], -v[58:59]
	s_delay_alu instid0(VALU_DEP_2) | instskip(NEXT) | instid1(VALU_DEP_1)
	v_fmaak_f64 v[50:51], v[46:47], v[62:63], 0x3f7d6d43a595c56f
	v_fmaak_f64 v[50:51], v[46:47], v[50:51], 0xbf8c6ea4a57d9582
	s_delay_alu instid0(VALU_DEP_1) | instskip(NEXT) | instid1(VALU_DEP_1)
	v_fmaak_f64 v[50:51], v[46:47], v[50:51], 0x3f967e295f08b19f
	v_fmaak_f64 v[50:51], v[46:47], v[50:51], 0xbf9e9ae6fc27006a
	s_delay_alu instid0(VALU_DEP_1) | instskip(SKIP_1) | instid1(VALU_DEP_2)
	v_fmaak_f64 v[50:51], v[46:47], v[50:51], 0x3fa2c15b5711927a
	v_add_f64_e32 v[44:45], v[44:45], v[48:49]
	v_fmaak_f64 v[48:49], v[46:47], v[50:51], 0xbfa59976e82d3ff0
	v_add_f64_e64 v[50:51], v[56:57], -v[54:55]
	s_delay_alu instid0(VALU_DEP_2) | instskip(NEXT) | instid1(VALU_DEP_1)
	v_fmaak_f64 v[48:49], v[46:47], v[48:49], 0x3fa82d5d6ef28734
	v_fmaak_f64 v[48:49], v[46:47], v[48:49], 0xbfaae5ce6a214619
	s_delay_alu instid0(VALU_DEP_1) | instskip(NEXT) | instid1(VALU_DEP_1)
	v_fmaak_f64 v[48:49], v[46:47], v[48:49], 0x3fae1bb48427b883
	v_fmaak_f64 v[48:49], v[46:47], v[48:49], 0xbfb110e48b207f05
	v_add_f64_e32 v[44:45], v[56:57], v[44:45]
	v_add_f64_e64 v[56:57], v[56:57], -v[50:51]
	v_add_f64_e64 v[14:15], v[14:15], -v[50:51]
	s_delay_alu instid0(VALU_DEP_4) | instskip(NEXT) | instid1(VALU_DEP_1)
	v_fmaak_f64 v[48:49], v[46:47], v[48:49], 0x3fb3b13657b87036
	v_fmaak_f64 v[48:49], v[46:47], v[48:49], 0xbfb745d119378e4f
	s_delay_alu instid0(VALU_DEP_1) | instskip(NEXT) | instid1(VALU_DEP_1)
	v_fmaak_f64 v[48:49], v[46:47], v[48:49], 0x3fbc71c717e1913c
	v_fmaak_f64 v[48:49], v[46:47], v[48:49], 0xbfc2492492376b7d
	v_add_f64_e32 v[58:59], v[52:53], v[44:45]
	s_delay_alu instid0(VALU_DEP_2) | instskip(NEXT) | instid1(VALU_DEP_1)
	v_fmaak_f64 v[48:49], v[46:47], v[48:49], 0x3fc99999999952cc
	v_fmaak_f64 v[48:49], v[46:47], v[48:49], 0xbfd5555555555523
	s_delay_alu instid0(VALU_DEP_1) | instskip(SKIP_2) | instid1(VALU_DEP_3)
	v_mul_f64_e32 v[46:47], v[46:47], v[48:49]
	v_add_f64_e64 v[48:49], v[54:55], -v[56:57]
	v_add_f64_e64 v[50:51], v[58:59], -v[52:53]
	v_fmac_f64_e32 v[40:41], v[40:41], v[46:47]
	s_delay_alu instid0(VALU_DEP_3) | instskip(NEXT) | instid1(VALU_DEP_3)
	v_add_f64_e32 v[14:15], v[14:15], v[48:49]
	v_add_f64_e64 v[44:45], v[44:45], -v[50:51]
	s_delay_alu instid0(VALU_DEP_3) | instskip(NEXT) | instid1(VALU_DEP_1)
	v_add_f64_e64 v[46:47], -v[40:41], s[40:41]
	v_dual_add_f64 v[14:15], v[14:15], v[44:45] :: v_dual_cndmask_b32 v41, v41, v47, s6
	s_delay_alu instid0(VALU_DEP_2) | instskip(SKIP_1) | instid1(VALU_DEP_2)
	v_cndmask_b32_e64 v40, v40, v46, s6
	v_and_b32_e32 v46, 0x54442d18, v16
	v_add_f64_e64 v[44:45], -v[40:41], s[42:43]
	s_delay_alu instid0(VALU_DEP_1) | instskip(NEXT) | instid1(VALU_DEP_1)
	v_dual_add_f64 v[14:15], v[58:59], v[14:15] :: v_dual_cndmask_b32 v40, v40, v44, vcc_lo
	v_cndmask_b32_e64 v40, v40, v46, s7
                                        ; implicit-def: $vgpr46_vgpr47
	s_delay_alu instid0(VALU_DEP_2) | instskip(SKIP_4) | instid1(VALU_DEP_3)
	v_mul_f64_e32 v[10:11], 0.5, v[14:15]
	v_cndmask_b32_e32 v14, 0x3fe921fb, v69, vcc_lo
	v_and_b32_e32 v15, 0x400921fb, v16
	v_cndmask_b32_e32 v16, v41, v45, vcc_lo
	s_and_b32 vcc_lo, s10, s11
                                        ; implicit-def: $vgpr44_vgpr45
	v_bfi_b32 v14, 0x7fffffff, v14, v13
	v_cndmask_b32_e32 v40, v40, v21, vcc_lo
	s_delay_alu instid0(VALU_DEP_3) | instskip(NEXT) | instid1(VALU_DEP_1)
	v_cndmask_b32_e64 v15, v16, v15, s7
	v_cndmask_b32_e32 v41, v15, v14, vcc_lo
	v_cndmask_b32_e64 v15, 0xfff00000, v11, s8
	v_cndmask_b32_e64 v14, 0, v10, s8
.LBB185_55:                             ;   in Loop: Header=BB185_4 Depth=1
	s_and_not1_saveexec_b32 s59, s9
	s_cbranch_execz .LBB185_59
; %bb.56:                               ;   in Loop: Header=BB185_4 Depth=1
	v_and_b32_e32 v21, 0x7ffffff8, v47
	v_and_b32_e32 v41, 0x7ffffff8, v45
	v_mov_b32_e32 v40, v20
	s_mov_b32 s60, 0
	s_delay_alu instid0(VALU_DEP_3) | instskip(SKIP_1) | instid1(VALU_DEP_3)
	v_dual_add_f64 v[14:15], v[46:47], -v[20:21] :: v_dual_mov_b32 v48, v20
	v_mov_b32_e32 v46, v20
	v_add_f64_e64 v[42:43], v[44:45], -v[40:41]
	v_add_f64_e32 v[58:59], v[40:41], v[40:41]
	s_delay_alu instid0(VALU_DEP_4) | instskip(NEXT) | instid1(VALU_DEP_3)
	v_dual_mul_f64 v[44:45], v[40:41], v[40:41] :: v_dual_bitop2_b32 v47, -8, v15 bitop3:0x40
	v_dual_add_f64 v[50:51], v[20:21], v[20:21] :: v_dual_bitop2_b32 v49, -8, v43 bitop3:0x40
	s_delay_alu instid0(VALU_DEP_2) | instskip(SKIP_1) | instid1(VALU_DEP_3)
	v_add_f64_e64 v[60:61], v[14:15], -v[46:47]
	v_add_f64_e32 v[64:65], v[46:47], v[46:47]
	v_add_f64_e64 v[62:63], v[42:43], -v[48:49]
	v_add_f64_e32 v[66:67], v[48:49], v[48:49]
	v_mul_f64_e32 v[14:15], v[20:21], v[20:21]
	v_mul_f64_e32 v[42:43], v[58:59], v[48:49]
	;; [unrolled: 1-line block ×11, first 2 shown]
.LBB185_57:                             ;   Parent Loop BB185_4 Depth=1
                                        ; =>  This Inner Loop Header: Depth=2
	v_cmp_nlt_f64_e32 vcc_lo, v[14:15], v[44:45]
	v_dual_cndmask_b32 v63, v15, v45 :: v_dual_cndmask_b32 v62, v14, v44
	v_dual_cndmask_b32 v15, v45, v15 :: v_dual_cndmask_b32 v14, v44, v14
	s_delay_alu instid0(VALU_DEP_2) | instskip(NEXT) | instid1(VALU_DEP_1)
	v_cmp_nlt_f64_e64 s7, v[62:63], v[56:57]
	v_dual_cndmask_b32 v65, v63, v57, s7 :: v_dual_cndmask_b32 v64, v62, v56, s7
	v_dual_cndmask_b32 v45, v57, v63, s7 :: v_dual_cndmask_b32 v44, v56, v62, s7
	s_and_b32 s7, vcc_lo, s7
	s_delay_alu instid0(VALU_DEP_2) | instskip(NEXT) | instid1(VALU_DEP_1)
	v_cmp_nlt_f64_e64 s8, v[64:65], v[42:43]
	v_dual_cndmask_b32 v67, v65, v43, s8 :: v_dual_cndmask_b32 v66, v64, v42, s8
	v_dual_cndmask_b32 v57, v43, v65, s8 :: v_dual_cndmask_b32 v56, v42, v64, s8
	s_delay_alu instid0(VALU_DEP_2) | instskip(NEXT) | instid1(VALU_DEP_1)
	v_cmp_nlt_f64_e64 s9, v[66:67], v[54:55]
	v_dual_cndmask_b32 v71, v67, v55, s9 :: v_dual_cndmask_b32 v70, v66, v54, s9
	v_dual_cndmask_b32 v43, v55, v67, s9 :: v_dual_cndmask_b32 v42, v54, v66, s9
	s_and_b32 s8, s8, s9
	s_delay_alu instid0(VALU_DEP_2) | instskip(NEXT) | instid1(VALU_DEP_1)
	v_cmp_nlt_f64_e64 s10, v[70:71], v[40:41]
	v_dual_cndmask_b32 v73, v71, v41, s10 :: v_dual_cndmask_b32 v72, v70, v40, s10
	v_dual_cndmask_b32 v55, v41, v71, s10 :: v_dual_cndmask_b32 v54, v40, v70, s10
	s_delay_alu instid0(VALU_DEP_2) | instskip(NEXT) | instid1(VALU_DEP_1)
	v_cmp_nlt_f64_e64 s11, v[72:73], v[52:53]
	v_dual_cndmask_b32 v75, v73, v53, s11 :: v_dual_cndmask_b32 v74, v72, v52, s11
	s_and_b32 s9, s10, s11
	v_dual_cndmask_b32 v41, v53, v73, s11 :: v_dual_cndmask_b32 v40, v52, v72, s11
	s_delay_alu instid0(VALU_DEP_2) | instskip(NEXT) | instid1(VALU_DEP_1)
	v_cmp_nlt_f64_e64 s12, v[74:75], v[50:51]
	v_dual_cndmask_b32 v77, v75, v51, s12 :: v_dual_cndmask_b32 v76, v74, v50, s12
	s_and_b32 s9, s9, s12
	;; [unrolled: 5-line block ×6, first 2 shown]
	v_dual_cndmask_b32 v59, v61, v83, s16 :: v_dual_cndmask_b32 v58, v60, v82, s16
	s_and_b32 s8, s9, s8
	s_delay_alu instid0(VALU_DEP_2) | instskip(SKIP_1) | instid1(SALU_CYCLE_1)
	v_mov_b64_e32 v[60:61], v[62:63]
	s_and_b32 s7, s8, s7
	s_and_b32 s7, exec_lo, s7
	s_delay_alu instid0(SALU_CYCLE_1) | instskip(NEXT) | instid1(SALU_CYCLE_1)
	s_or_b32 s60, s7, s60
	s_and_not1_b32 exec_lo, exec_lo, s60
	s_cbranch_execnz .LBB185_57
; %bb.58:                               ;   in Loop: Header=BB185_4 Depth=1
	s_or_b32 exec_lo, exec_lo, s60
	v_add_f64_e32 v[14:15], -1.0, v[14:15]
	v_cmp_eq_f64_e64 s7, 0, v[12:13]
	v_cmp_class_f64_e64 s11, v[10:11], 0x204
	v_cmp_class_f64_e64 s10, v[12:13], 0x204
	s_delay_alu instid0(VALU_DEP_4) | instskip(NEXT) | instid1(VALU_DEP_1)
	v_add_f64_e32 v[14:15], v[14:15], v[44:45]
	v_add_f64_e32 v[14:15], v[14:15], v[56:57]
	s_delay_alu instid0(VALU_DEP_1) | instskip(NEXT) | instid1(VALU_DEP_1)
	v_add_f64_e32 v[14:15], v[14:15], v[42:43]
	v_add_f64_e32 v[14:15], v[14:15], v[54:55]
	s_delay_alu instid0(VALU_DEP_1) | instskip(NEXT) | instid1(VALU_DEP_1)
	;; [unrolled: 3-line block ×5, first 2 shown]
	v_add_f64_e32 v[42:43], v[62:63], v[14:15]
	v_add_f64_e32 v[14:15], 1.0, v[42:43]
	v_cmp_nge_f64_e64 s8, -1.0, v[42:43]
	v_cmp_neq_f64_e64 s9, 0x7ff00000, v[42:43]
	s_delay_alu instid0(VALU_DEP_3) | instskip(SKIP_2) | instid1(VALU_DEP_3)
	v_frexp_mant_f64_e32 v[40:41], v[14:15]
	v_frexp_exp_i32_f64_e32 v16, v[14:15]
	v_add_f64_e32 v[44:45], -1.0, v[14:15]
	v_cmp_gt_f64_e32 vcc_lo, s[30:31], v[40:41]
	s_delay_alu instid0(VALU_DEP_2) | instskip(SKIP_2) | instid1(VALU_DEP_3)
	v_add_f64_e64 v[40:41], v[44:45], -v[14:15]
	v_add_f64_e64 v[44:45], v[42:43], -v[44:45]
	v_subrev_co_ci_u32_e64 v16, null, 0, v16, vcc_lo
	v_add_f64_e32 v[40:41], 1.0, v[40:41]
	s_delay_alu instid0(VALU_DEP_2) | instskip(NEXT) | instid1(VALU_DEP_1)
	v_sub_nc_u32_e32 v21, 0, v16
	v_ldexp_f64 v[14:15], v[14:15], v21
	s_delay_alu instid0(VALU_DEP_3) | instskip(NEXT) | instid1(VALU_DEP_2)
	v_add_f64_e32 v[40:41], v[44:45], v[40:41]
	v_add_f64_e32 v[46:47], 1.0, v[14:15]
	v_add_f64_e32 v[52:53], -1.0, v[14:15]
	s_delay_alu instid0(VALU_DEP_3) | instskip(NEXT) | instid1(VALU_DEP_3)
	v_ldexp_f64 v[40:41], v[40:41], v21
	v_add_f64_e32 v[44:45], -1.0, v[46:47]
	s_delay_alu instid0(VALU_DEP_3) | instskip(NEXT) | instid1(VALU_DEP_2)
	v_add_f64_e32 v[54:55], 1.0, v[52:53]
	v_add_f64_e64 v[44:45], v[14:15], -v[44:45]
	s_delay_alu instid0(VALU_DEP_2) | instskip(NEXT) | instid1(VALU_DEP_2)
	v_add_f64_e64 v[14:15], v[14:15], -v[54:55]
	v_add_f64_e32 v[44:45], v[40:41], v[44:45]
	s_delay_alu instid0(VALU_DEP_2) | instskip(NEXT) | instid1(VALU_DEP_2)
	v_add_f64_e32 v[14:15], v[40:41], v[14:15]
	v_add_f64_e32 v[48:49], v[46:47], v[44:45]
	s_delay_alu instid0(VALU_DEP_2) | instskip(NEXT) | instid1(VALU_DEP_2)
	v_add_f64_e32 v[54:55], v[52:53], v[14:15]
	v_rcp_f64_e32 v[50:51], v[48:49]
	v_add_f64_e64 v[46:47], v[48:49], -v[46:47]
	s_delay_alu instid0(VALU_DEP_2) | instskip(NEXT) | instid1(VALU_DEP_2)
	v_add_f64_e64 v[52:53], v[54:55], -v[52:53]
	v_add_f64_e64 v[44:45], v[44:45], -v[46:47]
	s_delay_alu instid0(VALU_DEP_2) | instskip(NEXT) | instid1(TRANS32_DEP_1)
	v_add_f64_e64 v[14:15], v[14:15], -v[52:53]
	v_fma_f64 v[56:57], -v[48:49], v[50:51], 1.0
	s_delay_alu instid0(VALU_DEP_1) | instskip(NEXT) | instid1(VALU_DEP_1)
	v_fmac_f64_e32 v[50:51], v[56:57], v[50:51]
	v_fma_f64 v[40:41], -v[48:49], v[50:51], 1.0
	s_delay_alu instid0(VALU_DEP_1) | instskip(NEXT) | instid1(VALU_DEP_1)
	v_fmac_f64_e32 v[50:51], v[40:41], v[50:51]
	v_mul_f64_e32 v[40:41], v[54:55], v[50:51]
	s_delay_alu instid0(VALU_DEP_1) | instskip(NEXT) | instid1(VALU_DEP_1)
	v_mul_f64_e32 v[56:57], v[48:49], v[40:41]
	v_fma_f64 v[46:47], v[40:41], v[48:49], -v[56:57]
	s_delay_alu instid0(VALU_DEP_1) | instskip(NEXT) | instid1(VALU_DEP_1)
	v_fmac_f64_e32 v[46:47], v[40:41], v[44:45]
	v_add_f64_e32 v[58:59], v[56:57], v[46:47]
	s_delay_alu instid0(VALU_DEP_1) | instskip(SKIP_1) | instid1(VALU_DEP_2)
	v_add_f64_e64 v[60:61], v[54:55], -v[58:59]
	v_add_f64_e64 v[52:53], v[58:59], -v[56:57]
	v_add_f64_e64 v[54:55], v[54:55], -v[60:61]
	s_delay_alu instid0(VALU_DEP_2) | instskip(NEXT) | instid1(VALU_DEP_2)
	v_add_f64_e64 v[46:47], v[52:53], -v[46:47]
	v_add_f64_e64 v[54:55], v[54:55], -v[58:59]
	s_delay_alu instid0(VALU_DEP_1) | instskip(NEXT) | instid1(VALU_DEP_1)
	v_add_f64_e32 v[14:15], v[14:15], v[54:55]
	v_add_f64_e32 v[14:15], v[46:47], v[14:15]
	s_delay_alu instid0(VALU_DEP_1) | instskip(NEXT) | instid1(VALU_DEP_1)
	v_add_f64_e32 v[46:47], v[60:61], v[14:15]
	v_mul_f64_e32 v[52:53], v[50:51], v[46:47]
	v_add_f64_e64 v[58:59], v[60:61], -v[46:47]
	s_delay_alu instid0(VALU_DEP_2) | instskip(NEXT) | instid1(VALU_DEP_2)
	v_mul_f64_e32 v[54:55], v[48:49], v[52:53]
	v_add_f64_e32 v[14:15], v[14:15], v[58:59]
	s_delay_alu instid0(VALU_DEP_2) | instskip(NEXT) | instid1(VALU_DEP_1)
	v_fma_f64 v[48:49], v[52:53], v[48:49], -v[54:55]
	v_fmac_f64_e32 v[48:49], v[52:53], v[44:45]
	s_delay_alu instid0(VALU_DEP_1) | instskip(NEXT) | instid1(VALU_DEP_1)
	v_add_f64_e32 v[44:45], v[54:55], v[48:49]
	v_add_f64_e64 v[56:57], v[46:47], -v[44:45]
	v_add_f64_e64 v[54:55], v[44:45], -v[54:55]
	s_delay_alu instid0(VALU_DEP_2) | instskip(NEXT) | instid1(VALU_DEP_1)
	v_add_f64_e64 v[46:47], v[46:47], -v[56:57]
	v_add_f64_e64 v[44:45], v[46:47], -v[44:45]
	s_delay_alu instid0(VALU_DEP_3) | instskip(SKIP_1) | instid1(VALU_DEP_3)
	v_add_f64_e64 v[46:47], v[54:55], -v[48:49]
	v_max_num_f64_e64 v[48:49], |v[10:11]|, |v[10:11]|
	v_add_f64_e32 v[14:15], v[14:15], v[44:45]
	v_add_f64_e32 v[44:45], v[40:41], v[52:53]
	s_delay_alu instid0(VALU_DEP_2) | instskip(NEXT) | instid1(VALU_DEP_2)
	v_add_f64_e32 v[14:15], v[46:47], v[14:15]
	v_add_f64_e64 v[40:41], v[44:45], -v[40:41]
	v_max_num_f64_e64 v[46:47], |v[12:13]|, |v[12:13]|
	s_delay_alu instid0(VALU_DEP_3) | instskip(NEXT) | instid1(VALU_DEP_3)
	v_add_f64_e32 v[14:15], v[56:57], v[14:15]
	v_add_f64_e64 v[40:41], v[52:53], -v[40:41]
	s_delay_alu instid0(VALU_DEP_2) | instskip(NEXT) | instid1(VALU_DEP_1)
	v_mul_f64_e32 v[14:15], v[50:51], v[14:15]
	v_add_f64_e32 v[14:15], v[40:41], v[14:15]
	v_max_num_f64_e32 v[40:41], v[48:49], v[46:47]
	v_min_num_f64_e32 v[46:47], v[48:49], v[46:47]
	s_delay_alu instid0(VALU_DEP_3) | instskip(NEXT) | instid1(VALU_DEP_2)
	v_add_f64_e32 v[48:49], v[44:45], v[14:15]
	v_div_scale_f64 v[50:51], null, v[40:41], v[40:41], v[46:47]
	s_delay_alu instid0(VALU_DEP_2) | instskip(SKIP_1) | instid1(VALU_DEP_3)
	v_mul_f64_e32 v[52:53], v[48:49], v[48:49]
	v_add_f64_e64 v[44:45], v[48:49], -v[44:45]
	v_rcp_f64_e32 v[54:55], v[50:51]
	s_delay_alu instid0(VALU_DEP_2) | instskip(SKIP_1) | instid1(VALU_DEP_3)
	v_fmamk_f64 v[56:57], v[52:53], 0x3fc3ab76bf559e2b, v[24:25]
	v_mul_f64_e32 v[58:59], v[48:49], v[52:53]
	v_add_f64_e64 v[14:15], v[14:15], -v[44:45]
	s_delay_alu instid0(VALU_DEP_3) | instskip(NEXT) | instid1(TRANS32_DEP_1)
	v_fmaak_f64 v[56:57], v[52:53], v[56:57], 0x3fc7474dd7f4df2e
	v_fma_f64 v[60:61], -v[50:51], v[54:55], 1.0
	s_delay_alu instid0(VALU_DEP_2) | instskip(NEXT) | instid1(VALU_DEP_1)
	v_fmaak_f64 v[56:57], v[52:53], v[56:57], 0x3fcc71c016291751
	v_fmaak_f64 v[56:57], v[52:53], v[56:57], 0x3fd249249b27acf1
	s_delay_alu instid0(VALU_DEP_1) | instskip(SKIP_1) | instid1(VALU_DEP_2)
	v_fmaak_f64 v[56:57], v[52:53], v[56:57], 0x3fd99999998ef7b6
	v_ldexp_f64 v[14:15], v[14:15], 1
	v_fmaak_f64 v[52:53], v[52:53], v[56:57], 0x3fe5555555555780
	v_ldexp_f64 v[56:57], v[48:49], 1
	v_fmac_f64_e32 v[54:55], v[54:55], v[60:61]
	s_delay_alu instid0(VALU_DEP_3) | instskip(SKIP_2) | instid1(VALU_DEP_4)
	v_mul_f64_e32 v[52:53], v[58:59], v[52:53]
	v_cvt_f64_i32_e32 v[58:59], v16
	v_ashrrev_i32_e32 v16, 31, v11
	v_fma_f64 v[60:61], -v[50:51], v[54:55], 1.0
	s_delay_alu instid0(VALU_DEP_4) | instskip(NEXT) | instid1(VALU_DEP_4)
	v_add_f64_e32 v[48:49], v[56:57], v[52:53]
	v_mul_f64_e32 v[62:63], 0x3fe62e42fefa39ef, v[58:59]
	s_delay_alu instid0(VALU_DEP_3) | instskip(NEXT) | instid1(VALU_DEP_3)
	v_fmac_f64_e32 v[54:55], v[54:55], v[60:61]
	v_add_f64_e64 v[44:45], v[48:49], -v[56:57]
	v_div_scale_f64 v[56:57], vcc_lo, v[46:47], v[40:41], v[46:47]
	s_delay_alu instid0(VALU_DEP_4) | instskip(NEXT) | instid1(VALU_DEP_3)
	v_fma_f64 v[60:61], v[58:59], s[34:35], -v[62:63]
	v_add_f64_e64 v[44:45], v[52:53], -v[44:45]
	s_delay_alu instid0(VALU_DEP_3) | instskip(NEXT) | instid1(VALU_DEP_3)
	v_mul_f64_e32 v[52:53], v[56:57], v[54:55]
	v_fmac_f64_e32 v[60:61], 0x3c7abc9e3b39803f, v[58:59]
	s_delay_alu instid0(VALU_DEP_3) | instskip(NEXT) | instid1(VALU_DEP_3)
	v_add_f64_e32 v[14:15], v[14:15], v[44:45]
	v_fma_f64 v[44:45], -v[50:51], v[52:53], v[56:57]
	s_delay_alu instid0(VALU_DEP_3) | instskip(NEXT) | instid1(VALU_DEP_3)
	v_add_f64_e32 v[50:51], v[62:63], v[60:61]
	v_add_f64_e32 v[56:57], v[48:49], v[14:15]
	s_delay_alu instid0(VALU_DEP_3) | instskip(SKIP_1) | instid1(VALU_DEP_4)
	v_div_fmas_f64 v[44:45], v[44:45], v[54:55], v[52:53]
	v_cmp_gt_i32_e32 vcc_lo, 0, v11
	v_add_f64_e64 v[54:55], v[50:51], -v[62:63]
	v_and_b32_e32 v11, 0x400921fb, v16
	v_cndmask_b32_e32 v21, 0x54442d18, v68, vcc_lo
	v_cndmask_b32_e32 v10, 0x3fe921fb, v69, vcc_lo
	s_delay_alu instid0(VALU_DEP_1) | instskip(SKIP_4) | instid1(VALU_DEP_4)
	v_bfi_b32 v10, 0x7fffffff, v10, v13
	v_add_f64_e32 v[52:53], v[50:51], v[56:57]
	v_div_fixup_f64 v[40:41], v[44:45], v[40:41], v[46:47]
	v_add_f64_e64 v[48:49], v[56:57], -v[48:49]
	v_add_f64_e64 v[54:55], v[60:61], -v[54:55]
	;; [unrolled: 1-line block ×3, first 2 shown]
	s_delay_alu instid0(VALU_DEP_4) | instskip(NEXT) | instid1(VALU_DEP_4)
	v_mul_f64_e32 v[46:47], v[40:41], v[40:41]
	v_add_f64_e64 v[14:15], v[14:15], -v[48:49]
	s_delay_alu instid0(VALU_DEP_3) | instskip(NEXT) | instid1(VALU_DEP_3)
	v_add_f64_e64 v[58:59], v[52:53], -v[44:45]
	v_fmamk_f64 v[62:63], v[46:47], 0x3eeba404b5e68a13, v[26:27]
	v_add_f64_e64 v[44:45], v[56:57], -v[44:45]
	s_delay_alu instid0(VALU_DEP_4) | instskip(NEXT) | instid1(VALU_DEP_3)
	v_add_f64_e32 v[56:57], v[54:55], v[14:15]
	v_fmaak_f64 v[62:63], v[46:47], v[62:63], 0x3f4b2bb069efb384
	v_add_f64_e64 v[48:49], v[50:51], -v[58:59]
	s_delay_alu instid0(VALU_DEP_2) | instskip(NEXT) | instid1(VALU_DEP_1)
	v_fmaak_f64 v[50:51], v[46:47], v[62:63], 0xbf67952daf56de9b
	v_fmaak_f64 v[50:51], v[46:47], v[50:51], 0x3f7d6d43a595c56f
	s_delay_alu instid0(VALU_DEP_1) | instskip(NEXT) | instid1(VALU_DEP_1)
	v_fmaak_f64 v[50:51], v[46:47], v[50:51], 0xbf8c6ea4a57d9582
	v_fmaak_f64 v[50:51], v[46:47], v[50:51], 0x3f967e295f08b19f
	s_delay_alu instid0(VALU_DEP_1) | instskip(SKIP_1) | instid1(VALU_DEP_2)
	v_fmaak_f64 v[50:51], v[46:47], v[50:51], 0xbf9e9ae6fc27006a
	v_add_f64_e32 v[44:45], v[44:45], v[48:49]
	v_fmaak_f64 v[48:49], v[46:47], v[50:51], 0x3fa2c15b5711927a
	v_add_f64_e64 v[50:51], v[56:57], -v[54:55]
	s_delay_alu instid0(VALU_DEP_2) | instskip(NEXT) | instid1(VALU_DEP_1)
	v_fmaak_f64 v[48:49], v[46:47], v[48:49], 0xbfa59976e82d3ff0
	v_fmaak_f64 v[48:49], v[46:47], v[48:49], 0x3fa82d5d6ef28734
	s_delay_alu instid0(VALU_DEP_1) | instskip(NEXT) | instid1(VALU_DEP_1)
	v_fmaak_f64 v[48:49], v[46:47], v[48:49], 0xbfaae5ce6a214619
	v_fmaak_f64 v[48:49], v[46:47], v[48:49], 0x3fae1bb48427b883
	v_add_f64_e32 v[44:45], v[56:57], v[44:45]
	v_add_f64_e64 v[56:57], v[56:57], -v[50:51]
	v_add_f64_e64 v[14:15], v[14:15], -v[50:51]
	s_delay_alu instid0(VALU_DEP_4) | instskip(NEXT) | instid1(VALU_DEP_1)
	v_fmaak_f64 v[48:49], v[46:47], v[48:49], 0xbfb110e48b207f05
	v_fmaak_f64 v[48:49], v[46:47], v[48:49], 0x3fb3b13657b87036
	s_delay_alu instid0(VALU_DEP_1) | instskip(NEXT) | instid1(VALU_DEP_1)
	v_fmaak_f64 v[48:49], v[46:47], v[48:49], 0xbfb745d119378e4f
	v_fmaak_f64 v[48:49], v[46:47], v[48:49], 0x3fbc71c717e1913c
	v_add_f64_e32 v[58:59], v[52:53], v[44:45]
	s_delay_alu instid0(VALU_DEP_2) | instskip(NEXT) | instid1(VALU_DEP_1)
	v_fmaak_f64 v[48:49], v[46:47], v[48:49], 0xbfc2492492376b7d
	v_fmaak_f64 v[48:49], v[46:47], v[48:49], 0x3fc99999999952cc
	s_delay_alu instid0(VALU_DEP_1) | instskip(NEXT) | instid1(VALU_DEP_1)
	v_fmaak_f64 v[48:49], v[46:47], v[48:49], 0xbfd5555555555523
	v_mul_f64_e32 v[46:47], v[46:47], v[48:49]
	v_add_f64_e64 v[48:49], v[54:55], -v[56:57]
	v_add_f64_e64 v[50:51], v[58:59], -v[52:53]
	s_delay_alu instid0(VALU_DEP_3) | instskip(NEXT) | instid1(VALU_DEP_3)
	v_fmac_f64_e32 v[40:41], v[40:41], v[46:47]
	v_add_f64_e32 v[14:15], v[14:15], v[48:49]
	s_delay_alu instid0(VALU_DEP_3) | instskip(NEXT) | instid1(VALU_DEP_3)
	v_add_f64_e64 v[44:45], v[44:45], -v[50:51]
	v_add_f64_e64 v[46:47], -v[40:41], s[40:41]
	s_delay_alu instid0(VALU_DEP_1) | instskip(NEXT) | instid1(VALU_DEP_2)
	v_dual_add_f64 v[14:15], v[14:15], v[44:45] :: v_dual_cndmask_b32 v41, v41, v47, s6
	v_cndmask_b32_e64 v40, v40, v46, s6
	v_and_b32_e32 v46, 0x54442d18, v16
	s_delay_alu instid0(VALU_DEP_2) | instskip(NEXT) | instid1(VALU_DEP_1)
	v_add_f64_e64 v[44:45], -v[40:41], s[42:43]
	v_dual_add_f64 v[14:15], v[58:59], v[14:15] :: v_dual_cndmask_b32 v40, v40, v44, vcc_lo
	s_delay_alu instid0(VALU_DEP_2) | instskip(SKIP_1) | instid1(VALU_DEP_3)
	v_cndmask_b32_e32 v16, v41, v45, vcc_lo
	v_cmp_ngt_f64_e32 vcc_lo, -1.0, v[42:43]
	v_mul_f64_e32 v[14:15], 0.5, v[14:15]
	s_delay_alu instid0(VALU_DEP_4) | instskip(NEXT) | instid1(VALU_DEP_4)
	v_cndmask_b32_e64 v40, v40, v46, s7
	v_cndmask_b32_e64 v11, v16, v11, s7
	s_and_b32 s7, s8, s9
	s_delay_alu instid0(VALU_DEP_3) | instid1(SALU_CYCLE_1)
	v_cndmask_b32_e64 v14, 0, v14, s7
	v_cmp_neq_f64_e64 s7, -1.0, v[42:43]
	v_cndmask_b32_e64 v15, 0x7ff00000, v15, s9
	s_delay_alu instid0(VALU_DEP_1) | instskip(SKIP_2) | instid1(VALU_DEP_2)
	v_cndmask_b32_e32 v15, 0x7ff80000, v15, vcc_lo
	s_and_b32 vcc_lo, s10, s11
	v_dual_cndmask_b32 v41, v11, v10 :: v_dual_cndmask_b32 v40, v40, v21
	v_cndmask_b32_e64 v15, 0xfff00000, v15, s7
.LBB185_59:                             ;   in Loop: Header=BB185_4 Depth=1
	s_or_b32 exec_lo, exec_lo, s59
.LBB185_60:                             ;   in Loop: Header=BB185_4 Depth=1
	s_delay_alu instid0(SALU_CYCLE_1)
	s_or_b32 exec_lo, exec_lo, s58
.LBB185_61:                             ;   in Loop: Header=BB185_4 Depth=1
	s_and_not1_saveexec_b32 s9, s57
	s_cbranch_execz .LBB185_63
; %bb.62:                               ;   in Loop: Header=BB185_4 Depth=1
	v_max_num_f64_e64 v[14:15], |v[12:13]|, |v[12:13]|
	v_max_num_f64_e64 v[40:41], |v[10:11]|, |v[10:11]|
	v_cmp_class_f64_e64 s10, v[10:11], 0x204
	v_cmp_class_f64_e64 s11, v[12:13], 0x204
	v_cmp_eq_f64_e64 s8, 0, v[12:13]
	s_delay_alu instid0(VALU_DEP_4) | instskip(SKIP_2) | instid1(VALU_DEP_2)
	v_max_num_f64_e32 v[42:43], v[40:41], v[14:15]
	v_min_num_f64_e32 v[14:15], v[40:41], v[14:15]
	s_or_b32 s7, s11, s10
	v_frexp_exp_i32_f64_e32 v16, v[42:43]
	s_delay_alu instid0(VALU_DEP_1) | instskip(NEXT) | instid1(VALU_DEP_1)
	v_sub_nc_u32_e32 v21, 0, v16
	v_ldexp_f64 v[44:45], |v[12:13]|, v21
	v_ldexp_f64 v[46:47], |v[10:11]|, v21
	s_delay_alu instid0(VALU_DEP_2) | instskip(NEXT) | instid1(VALU_DEP_1)
	v_mul_f64_e32 v[44:45], v[44:45], v[44:45]
	v_fmac_f64_e32 v[44:45], v[46:47], v[46:47]
	s_delay_alu instid0(VALU_DEP_1) | instskip(SKIP_1) | instid1(TRANS32_DEP_1)
	v_rsq_f64_e32 v[46:47], v[44:45]
	v_cmp_eq_f64_e32 vcc_lo, 0, v[44:45]
	v_mul_f64_e32 v[48:49], v[44:45], v[46:47]
	v_mul_f64_e32 v[46:47], 0.5, v[46:47]
	s_delay_alu instid0(VALU_DEP_1) | instskip(NEXT) | instid1(VALU_DEP_1)
	v_fma_f64 v[50:51], -v[46:47], v[48:49], 0.5
	v_fmac_f64_e32 v[48:49], v[48:49], v[50:51]
	v_fmac_f64_e32 v[46:47], v[46:47], v[50:51]
	s_delay_alu instid0(VALU_DEP_2) | instskip(NEXT) | instid1(VALU_DEP_1)
	v_fma_f64 v[50:51], -v[48:49], v[48:49], v[44:45]
	v_fmac_f64_e32 v[48:49], v[50:51], v[46:47]
	s_delay_alu instid0(VALU_DEP_1) | instskip(NEXT) | instid1(VALU_DEP_1)
	v_dual_cndmask_b32 v45, v49, v45 :: v_dual_cndmask_b32 v44, v48, v44
	v_ldexp_f64 v[44:45], v[44:45], v16
	v_ashrrev_i32_e32 v16, 31, v11
	s_delay_alu instid0(VALU_DEP_2) | instskip(NEXT) | instid1(VALU_DEP_3)
	v_cndmask_b32_e64 v45, v45, 0x7ff00000, s7
	v_cndmask_b32_e64 v44, v44, 0, s7
	s_delay_alu instid0(VALU_DEP_1) | instskip(SKIP_1) | instid1(VALU_DEP_2)
	v_frexp_mant_f64_e32 v[46:47], v[44:45]
	v_cmp_class_f64_e64 s7, v[44:45], 0x204
	v_cmp_gt_f64_e32 vcc_lo, s[30:31], v[46:47]
	v_cndmask_b32_e64 v10, 0, 1, vcc_lo
	s_delay_alu instid0(VALU_DEP_1) | instskip(SKIP_1) | instid1(VALU_DEP_2)
	v_ldexp_f64 v[46:47], v[46:47], v10
	v_frexp_exp_i32_f64_e32 v10, v[44:45]
	v_add_f64_e32 v[48:49], 1.0, v[46:47]
	v_add_f64_e32 v[54:55], -1.0, v[46:47]
	s_delay_alu instid0(VALU_DEP_3) | instskip(SKIP_1) | instid1(VALU_DEP_4)
	v_subrev_co_ci_u32_e64 v10, null, 0, v10, vcc_lo
	v_div_scale_f64 v[62:63], vcc_lo, v[14:15], v[42:43], v[14:15]
	v_rcp_f64_e32 v[50:51], v[48:49]
	v_add_f64_e32 v[56:57], -1.0, v[48:49]
	s_delay_alu instid0(VALU_DEP_1) | instskip(NEXT) | instid1(TRANS32_DEP_1)
	v_add_f64_e64 v[46:47], v[46:47], -v[56:57]
	v_fma_f64 v[52:53], -v[48:49], v[50:51], 1.0
	s_delay_alu instid0(VALU_DEP_1) | instskip(NEXT) | instid1(VALU_DEP_1)
	v_fmac_f64_e32 v[50:51], v[52:53], v[50:51]
	v_fma_f64 v[52:53], -v[48:49], v[50:51], 1.0
	s_delay_alu instid0(VALU_DEP_1) | instskip(NEXT) | instid1(VALU_DEP_1)
	v_fmac_f64_e32 v[50:51], v[52:53], v[50:51]
	v_mul_f64_e32 v[52:53], v[54:55], v[50:51]
	s_delay_alu instid0(VALU_DEP_1) | instskip(NEXT) | instid1(VALU_DEP_1)
	v_mul_f64_e32 v[58:59], v[48:49], v[52:53]
	v_fma_f64 v[48:49], v[52:53], v[48:49], -v[58:59]
	s_delay_alu instid0(VALU_DEP_1) | instskip(NEXT) | instid1(VALU_DEP_1)
	v_fmac_f64_e32 v[48:49], v[52:53], v[46:47]
	v_add_f64_e32 v[46:47], v[58:59], v[48:49]
	s_delay_alu instid0(VALU_DEP_1) | instskip(SKIP_1) | instid1(VALU_DEP_2)
	v_add_f64_e64 v[56:57], v[54:55], -v[46:47]
	v_add_f64_e64 v[58:59], v[46:47], -v[58:59]
	;; [unrolled: 1-line block ×3, first 2 shown]
	s_delay_alu instid0(VALU_DEP_2) | instskip(NEXT) | instid1(VALU_DEP_2)
	v_add_f64_e64 v[48:49], v[58:59], -v[48:49]
	v_add_f64_e64 v[46:47], v[54:55], -v[46:47]
	s_delay_alu instid0(VALU_DEP_1) | instskip(NEXT) | instid1(VALU_DEP_1)
	v_add_f64_e32 v[46:47], v[48:49], v[46:47]
	v_add_f64_e32 v[46:47], v[56:57], v[46:47]
	s_delay_alu instid0(VALU_DEP_1) | instskip(SKIP_1) | instid1(VALU_DEP_2)
	v_mul_f64_e32 v[40:41], v[50:51], v[46:47]
	v_div_scale_f64 v[46:47], null, v[42:43], v[42:43], v[14:15]
	v_add_f64_e32 v[48:49], v[52:53], v[40:41]
	s_delay_alu instid0(VALU_DEP_2) | instskip(NEXT) | instid1(VALU_DEP_1)
	v_rcp_f64_e32 v[50:51], v[46:47]
	v_mul_f64_e32 v[54:55], v[48:49], v[48:49]
	s_delay_alu instid0(TRANS32_DEP_1) | instskip(NEXT) | instid1(VALU_DEP_2)
	v_fma_f64 v[58:59], -v[46:47], v[50:51], 1.0
	v_fmamk_f64 v[56:57], v[54:55], 0x3fc3ab76bf559e2b, v[24:25]
	v_mul_f64_e32 v[60:61], v[48:49], v[54:55]
	s_delay_alu instid0(VALU_DEP_3) | instskip(NEXT) | instid1(VALU_DEP_3)
	v_fmac_f64_e32 v[50:51], v[50:51], v[58:59]
	v_fmaak_f64 v[56:57], v[54:55], v[56:57], 0x3fc7474dd7f4df2e
	s_delay_alu instid0(VALU_DEP_1) | instskip(NEXT) | instid1(VALU_DEP_1)
	v_fmaak_f64 v[56:57], v[54:55], v[56:57], 0x3fcc71c016291751
	v_fmaak_f64 v[56:57], v[54:55], v[56:57], 0x3fd249249b27acf1
	s_delay_alu instid0(VALU_DEP_1) | instskip(NEXT) | instid1(VALU_DEP_1)
	v_fmaak_f64 v[56:57], v[54:55], v[56:57], 0x3fd99999998ef7b6
	v_fmaak_f64 v[54:55], v[54:55], v[56:57], 0x3fe5555555555780
	v_ldexp_f64 v[56:57], v[48:49], 1
	v_add_f64_e64 v[48:49], v[48:49], -v[52:53]
	v_fma_f64 v[58:59], -v[46:47], v[50:51], 1.0
	s_delay_alu instid0(VALU_DEP_4) | instskip(SKIP_1) | instid1(VALU_DEP_4)
	v_mul_f64_e32 v[54:55], v[60:61], v[54:55]
	v_cvt_f64_i32_e32 v[60:61], v10
	v_add_f64_e64 v[40:41], v[40:41], -v[48:49]
	s_delay_alu instid0(VALU_DEP_4) | instskip(NEXT) | instid1(VALU_DEP_4)
	v_fmac_f64_e32 v[50:51], v[50:51], v[58:59]
	v_add_f64_e32 v[52:53], v[56:57], v[54:55]
	s_delay_alu instid0(VALU_DEP_4) | instskip(NEXT) | instid1(VALU_DEP_4)
	v_mul_f64_e32 v[58:59], 0x3fe62e42fefa39ef, v[60:61]
	v_ldexp_f64 v[40:41], v[40:41], 1
	s_delay_alu instid0(VALU_DEP_3) | instskip(SKIP_1) | instid1(VALU_DEP_4)
	v_add_f64_e64 v[48:49], v[52:53], -v[56:57]
	v_mul_f64_e32 v[56:57], v[62:63], v[50:51]
	v_fma_f64 v[64:65], v[60:61], s[34:35], -v[58:59]
	s_delay_alu instid0(VALU_DEP_3) | instskip(NEXT) | instid1(VALU_DEP_3)
	v_add_f64_e64 v[48:49], v[54:55], -v[48:49]
	v_fma_f64 v[46:47], -v[46:47], v[56:57], v[62:63]
	s_delay_alu instid0(VALU_DEP_3) | instskip(NEXT) | instid1(VALU_DEP_3)
	v_fmac_f64_e32 v[64:65], 0x3c7abc9e3b39803f, v[60:61]
	v_add_f64_e32 v[40:41], v[40:41], v[48:49]
	s_delay_alu instid0(VALU_DEP_3) | instskip(NEXT) | instid1(VALU_DEP_3)
	v_div_fmas_f64 v[46:47], v[46:47], v[50:51], v[56:57]
	v_add_f64_e32 v[48:49], v[58:59], v[64:65]
	v_cmp_gt_i32_e32 vcc_lo, 0, v11
	v_cndmask_b32_e32 v21, 0x54442d18, v68, vcc_lo
	v_add_f64_e32 v[50:51], v[52:53], v[40:41]
	v_div_fixup_f64 v[14:15], v[46:47], v[42:43], v[14:15]
	v_add_f64_e64 v[58:59], v[48:49], -v[58:59]
	s_delay_alu instid0(VALU_DEP_3) | instskip(NEXT) | instid1(VALU_DEP_3)
	v_add_f64_e32 v[42:43], v[48:49], v[50:51]
	v_mul_f64_e32 v[46:47], v[14:15], v[14:15]
	v_add_f64_e64 v[52:53], v[50:51], -v[52:53]
	s_delay_alu instid0(VALU_DEP_4) | instskip(NEXT) | instid1(VALU_DEP_4)
	v_add_f64_e64 v[58:59], v[64:65], -v[58:59]
	v_add_f64_e64 v[54:55], v[42:43], -v[48:49]
	s_delay_alu instid0(VALU_DEP_4) | instskip(NEXT) | instid1(VALU_DEP_4)
	v_fmamk_f64 v[56:57], v[46:47], 0x3eeba404b5e68a13, v[26:27]
	v_add_f64_e64 v[40:41], v[40:41], -v[52:53]
	s_delay_alu instid0(VALU_DEP_2) | instskip(NEXT) | instid1(VALU_DEP_1)
	v_fmaak_f64 v[56:57], v[46:47], v[56:57], 0x3f4b2bb069efb384
	v_fmaak_f64 v[56:57], v[46:47], v[56:57], 0xbf67952daf56de9b
	s_delay_alu instid0(VALU_DEP_1) | instskip(NEXT) | instid1(VALU_DEP_1)
	v_fmaak_f64 v[56:57], v[46:47], v[56:57], 0x3f7d6d43a595c56f
	v_fmaak_f64 v[56:57], v[46:47], v[56:57], 0xbf8c6ea4a57d9582
	v_add_f64_e64 v[60:61], v[42:43], -v[54:55]
	v_add_f64_e64 v[50:51], v[50:51], -v[54:55]
	v_add_f64_e32 v[54:55], v[58:59], v[40:41]
	s_delay_alu instid0(VALU_DEP_4) | instskip(NEXT) | instid1(VALU_DEP_1)
	v_fmaak_f64 v[56:57], v[46:47], v[56:57], 0x3f967e295f08b19f
	v_fmaak_f64 v[52:53], v[46:47], v[56:57], 0xbf9e9ae6fc27006a
	s_delay_alu instid0(VALU_DEP_1) | instskip(NEXT) | instid1(VALU_DEP_1)
	v_fmaak_f64 v[52:53], v[46:47], v[52:53], 0x3fa2c15b5711927a
	v_fmaak_f64 v[52:53], v[46:47], v[52:53], 0xbfa59976e82d3ff0
	s_delay_alu instid0(VALU_DEP_1) | instskip(SKIP_1) | instid1(VALU_DEP_2)
	v_fmaak_f64 v[52:53], v[46:47], v[52:53], 0x3fa82d5d6ef28734
	v_add_f64_e64 v[48:49], v[48:49], -v[60:61]
	v_fmaak_f64 v[52:53], v[46:47], v[52:53], 0xbfaae5ce6a214619
	s_delay_alu instid0(VALU_DEP_2) | instskip(NEXT) | instid1(VALU_DEP_2)
	v_add_f64_e32 v[48:49], v[50:51], v[48:49]
	v_fmaak_f64 v[50:51], v[46:47], v[52:53], 0x3fae1bb48427b883
	v_add_f64_e64 v[52:53], v[54:55], -v[58:59]
	s_delay_alu instid0(VALU_DEP_2) | instskip(NEXT) | instid1(VALU_DEP_1)
	v_fmaak_f64 v[50:51], v[46:47], v[50:51], 0xbfb110e48b207f05
	v_fmaak_f64 v[50:51], v[46:47], v[50:51], 0x3fb3b13657b87036
	s_delay_alu instid0(VALU_DEP_1) | instskip(NEXT) | instid1(VALU_DEP_1)
	v_fmaak_f64 v[50:51], v[46:47], v[50:51], 0xbfb745d119378e4f
	v_fmaak_f64 v[50:51], v[46:47], v[50:51], 0x3fbc71c717e1913c
	v_add_f64_e32 v[48:49], v[54:55], v[48:49]
	v_add_f64_e64 v[40:41], v[40:41], -v[52:53]
	s_delay_alu instid0(VALU_DEP_3) | instskip(NEXT) | instid1(VALU_DEP_1)
	v_fmaak_f64 v[50:51], v[46:47], v[50:51], 0xbfc2492492376b7d
	v_fmaak_f64 v[50:51], v[46:47], v[50:51], 0x3fc99999999952cc
	s_delay_alu instid0(VALU_DEP_1) | instskip(NEXT) | instid1(VALU_DEP_1)
	v_fmaak_f64 v[50:51], v[46:47], v[50:51], 0xbfd5555555555523
	v_mul_f64_e32 v[46:47], v[46:47], v[50:51]
	v_add_f64_e64 v[50:51], v[54:55], -v[52:53]
	v_add_f64_e32 v[54:55], v[42:43], v[48:49]
	s_delay_alu instid0(VALU_DEP_3) | instskip(NEXT) | instid1(VALU_DEP_3)
	v_fmac_f64_e32 v[14:15], v[14:15], v[46:47]
	v_add_f64_e64 v[46:47], v[58:59], -v[50:51]
	s_delay_alu instid0(VALU_DEP_3) | instskip(NEXT) | instid1(VALU_DEP_3)
	v_add_f64_e64 v[42:43], v[54:55], -v[42:43]
	v_add_f64_e64 v[50:51], -v[14:15], s[40:41]
	s_delay_alu instid0(VALU_DEP_3) | instskip(SKIP_4) | instid1(VALU_DEP_2)
	v_add_f64_e32 v[40:41], v[40:41], v[46:47]
	v_and_b32_e32 v46, 0x54442d18, v16
	v_and_b32_e32 v16, 0x400921fb, v16
	v_add_f64_e64 v[42:43], v[48:49], -v[42:43]
	v_dual_cndmask_b32 v15, v15, v51, s6 :: v_dual_cndmask_b32 v14, v14, v50, s6
	v_add_f64_e32 v[40:41], v[40:41], v[42:43]
	s_delay_alu instid0(VALU_DEP_2) | instskip(NEXT) | instid1(VALU_DEP_2)
	v_add_f64_e64 v[42:43], -v[14:15], s[42:43]
	v_add_f64_e32 v[10:11], v[54:55], v[40:41]
	s_delay_alu instid0(VALU_DEP_2) | instskip(SKIP_1) | instid1(VALU_DEP_4)
	v_cndmask_b32_e32 v14, v14, v42, vcc_lo
	v_cndmask_b32_e32 v40, 0x3fe921fb, v69, vcc_lo
	v_cndmask_b32_e32 v15, v15, v43, vcc_lo
	v_cmp_ngt_f64_e32 vcc_lo, 0, v[44:45]
	s_delay_alu instid0(VALU_DEP_4) | instskip(NEXT) | instid1(VALU_DEP_4)
	v_cndmask_b32_e64 v42, v14, v46, s8
	v_bfi_b32 v40, 0x7fffffff, v40, v13
	s_delay_alu instid0(VALU_DEP_4) | instskip(SKIP_2) | instid1(VALU_DEP_2)
	v_cndmask_b32_e64 v14, v15, v16, s8
	v_dual_cndmask_b32 v10, v10, v44, s7 :: v_dual_cndmask_b32 v11, v11, v45, s7
	v_cmp_nge_f64_e64 s7, 0, v[44:45]
	v_cndmask_b32_e32 v11, 0x7ff80000, v11, vcc_lo
	s_and_b32 vcc_lo, s11, s10
	v_cndmask_b32_e32 v41, v14, v40, vcc_lo
	v_dual_cndmask_b32 v40, v42, v21, vcc_lo :: v_dual_cndmask_b32 v14, 0, v10, s7
	v_cmp_neq_f64_e64 s7, 0, v[44:45]
	s_delay_alu instid0(VALU_DEP_1)
	v_cndmask_b32_e64 v15, 0xfff00000, v11, s7
.LBB185_63:                             ;   in Loop: Header=BB185_4 Depth=1
	s_or_b32 exec_lo, exec_lo, s9
                                        ; implicit-def: $vgpr44_vgpr45
.LBB185_64:                             ;   in Loop: Header=BB185_4 Depth=1
	s_and_not1_saveexec_b32 s9, s56
	s_cbranch_execz .LBB185_70
; %bb.65:                               ;   in Loop: Header=BB185_4 Depth=1
                                        ; implicit-def: $vgpr14_vgpr15
                                        ; implicit-def: $vgpr40_vgpr41
	s_mov_b32 s7, exec_lo
	v_cmpx_ngt_f64_e32 s[46:47], v[44:45]
	s_xor_b32 s10, exec_lo, s7
	s_cbranch_execz .LBB185_67
; %bb.66:                               ;   in Loop: Header=BB185_4 Depth=1
	v_mul_f64_e32 v[14:15], v[44:45], v[44:45]
	v_cmp_eq_f64_e64 s7, 0, v[12:13]
	v_cmp_class_f64_e64 s11, v[12:13], 0x204
	v_cmp_class_f64_e64 s12, v[10:11], 0x204
	s_delay_alu instid0(VALU_DEP_4) | instskip(NEXT) | instid1(VALU_DEP_1)
	v_add_f64_e32 v[40:41], 1.0, v[14:15]
	v_frexp_mant_f64_e32 v[42:43], v[40:41]
	v_frexp_exp_i32_f64_e32 v16, v[40:41]
	s_delay_alu instid0(VALU_DEP_2) | instskip(NEXT) | instid1(VALU_DEP_2)
	v_cmp_gt_f64_e32 vcc_lo, s[30:31], v[42:43]
	v_subrev_co_ci_u32_e64 v16, null, 0, v16, vcc_lo
	s_delay_alu instid0(VALU_DEP_1) | instskip(SKIP_1) | instid1(VALU_DEP_1)
	v_sub_nc_u32_e32 v21, 0, v16
	v_add_f64_e32 v[44:45], -1.0, v[40:41]
	v_add_f64_e64 v[42:43], v[44:45], -v[40:41]
	s_delay_alu instid0(VALU_DEP_3) | instskip(SKIP_1) | instid1(VALU_DEP_3)
	v_ldexp_f64 v[40:41], v[40:41], v21
	v_add_f64_e64 v[44:45], v[14:15], -v[44:45]
	v_add_f64_e32 v[42:43], 1.0, v[42:43]
	s_delay_alu instid0(VALU_DEP_3) | instskip(SKIP_1) | instid1(VALU_DEP_3)
	v_add_f64_e32 v[46:47], 1.0, v[40:41]
	v_add_f64_e32 v[52:53], -1.0, v[40:41]
	v_add_f64_e32 v[42:43], v[44:45], v[42:43]
	s_delay_alu instid0(VALU_DEP_3) | instskip(NEXT) | instid1(VALU_DEP_3)
	v_add_f64_e32 v[44:45], -1.0, v[46:47]
	v_add_f64_e32 v[54:55], 1.0, v[52:53]
	s_delay_alu instid0(VALU_DEP_3) | instskip(NEXT) | instid1(VALU_DEP_3)
	v_ldexp_f64 v[42:43], v[42:43], v21
	v_add_f64_e64 v[44:45], v[40:41], -v[44:45]
	s_delay_alu instid0(VALU_DEP_3) | instskip(NEXT) | instid1(VALU_DEP_2)
	v_add_f64_e64 v[40:41], v[40:41], -v[54:55]
	v_add_f64_e32 v[44:45], v[42:43], v[44:45]
	s_delay_alu instid0(VALU_DEP_2) | instskip(NEXT) | instid1(VALU_DEP_2)
	v_add_f64_e32 v[40:41], v[42:43], v[40:41]
	v_add_f64_e32 v[48:49], v[46:47], v[44:45]
	s_delay_alu instid0(VALU_DEP_2) | instskip(NEXT) | instid1(VALU_DEP_2)
	v_add_f64_e32 v[54:55], v[52:53], v[40:41]
	v_rcp_f64_e32 v[50:51], v[48:49]
	v_add_f64_e64 v[46:47], v[46:47], -v[48:49]
	s_delay_alu instid0(VALU_DEP_2) | instskip(NEXT) | instid1(VALU_DEP_2)
	v_add_f64_e64 v[52:53], v[52:53], -v[54:55]
	v_add_f64_e32 v[44:45], v[44:45], v[46:47]
	s_delay_alu instid0(VALU_DEP_2) | instskip(NEXT) | instid1(TRANS32_DEP_1)
	v_add_f64_e32 v[40:41], v[40:41], v[52:53]
	v_fma_f64 v[56:57], -v[48:49], v[50:51], 1.0
	s_delay_alu instid0(VALU_DEP_1) | instskip(NEXT) | instid1(VALU_DEP_1)
	v_fmac_f64_e32 v[50:51], v[56:57], v[50:51]
	v_fma_f64 v[42:43], -v[48:49], v[50:51], 1.0
	s_delay_alu instid0(VALU_DEP_1) | instskip(NEXT) | instid1(VALU_DEP_1)
	v_fmac_f64_e32 v[50:51], v[42:43], v[50:51]
	v_mul_f64_e32 v[42:43], v[54:55], v[50:51]
	s_delay_alu instid0(VALU_DEP_1) | instskip(NEXT) | instid1(VALU_DEP_1)
	v_mul_f64_e32 v[56:57], v[48:49], v[42:43]
	v_fma_f64 v[46:47], v[42:43], v[48:49], -v[56:57]
	s_delay_alu instid0(VALU_DEP_1) | instskip(NEXT) | instid1(VALU_DEP_1)
	v_fmac_f64_e32 v[46:47], v[42:43], v[44:45]
	v_add_f64_e32 v[58:59], v[56:57], v[46:47]
	s_delay_alu instid0(VALU_DEP_1) | instskip(SKIP_1) | instid1(VALU_DEP_2)
	v_add_f64_e64 v[60:61], v[54:55], -v[58:59]
	v_add_f64_e64 v[52:53], v[58:59], -v[56:57]
	;; [unrolled: 1-line block ×3, first 2 shown]
	s_delay_alu instid0(VALU_DEP_2) | instskip(NEXT) | instid1(VALU_DEP_2)
	v_add_f64_e64 v[46:47], v[52:53], -v[46:47]
	v_add_f64_e64 v[54:55], v[54:55], -v[58:59]
	s_delay_alu instid0(VALU_DEP_1) | instskip(NEXT) | instid1(VALU_DEP_1)
	v_add_f64_e32 v[40:41], v[40:41], v[54:55]
	v_add_f64_e32 v[40:41], v[46:47], v[40:41]
	s_delay_alu instid0(VALU_DEP_1) | instskip(NEXT) | instid1(VALU_DEP_1)
	v_add_f64_e32 v[46:47], v[60:61], v[40:41]
	v_mul_f64_e32 v[52:53], v[50:51], v[46:47]
	v_add_f64_e64 v[58:59], v[60:61], -v[46:47]
	s_delay_alu instid0(VALU_DEP_2) | instskip(NEXT) | instid1(VALU_DEP_2)
	v_mul_f64_e32 v[54:55], v[48:49], v[52:53]
	v_add_f64_e32 v[40:41], v[40:41], v[58:59]
	s_delay_alu instid0(VALU_DEP_2) | instskip(NEXT) | instid1(VALU_DEP_1)
	v_fma_f64 v[48:49], v[52:53], v[48:49], -v[54:55]
	v_fmac_f64_e32 v[48:49], v[52:53], v[44:45]
	s_delay_alu instid0(VALU_DEP_1) | instskip(NEXT) | instid1(VALU_DEP_1)
	v_add_f64_e32 v[44:45], v[54:55], v[48:49]
	v_add_f64_e64 v[56:57], v[46:47], -v[44:45]
	v_add_f64_e64 v[54:55], v[44:45], -v[54:55]
	s_delay_alu instid0(VALU_DEP_2) | instskip(NEXT) | instid1(VALU_DEP_1)
	v_add_f64_e64 v[46:47], v[46:47], -v[56:57]
	v_add_f64_e64 v[44:45], v[46:47], -v[44:45]
	s_delay_alu instid0(VALU_DEP_3) | instskip(SKIP_1) | instid1(VALU_DEP_3)
	v_add_f64_e64 v[46:47], v[54:55], -v[48:49]
	v_max_num_f64_e64 v[48:49], |v[10:11]|, |v[10:11]|
	v_add_f64_e32 v[40:41], v[40:41], v[44:45]
	v_add_f64_e32 v[44:45], v[42:43], v[52:53]
	s_delay_alu instid0(VALU_DEP_2) | instskip(NEXT) | instid1(VALU_DEP_2)
	v_add_f64_e32 v[40:41], v[46:47], v[40:41]
	v_add_f64_e64 v[42:43], v[44:45], -v[42:43]
	v_max_num_f64_e64 v[46:47], |v[12:13]|, |v[12:13]|
	s_delay_alu instid0(VALU_DEP_3) | instskip(NEXT) | instid1(VALU_DEP_3)
	v_add_f64_e32 v[40:41], v[56:57], v[40:41]
	v_add_f64_e64 v[42:43], v[52:53], -v[42:43]
	s_delay_alu instid0(VALU_DEP_2) | instskip(NEXT) | instid1(VALU_DEP_1)
	v_mul_f64_e32 v[40:41], v[50:51], v[40:41]
	v_add_f64_e32 v[40:41], v[42:43], v[40:41]
	v_max_num_f64_e32 v[42:43], v[48:49], v[46:47]
	v_min_num_f64_e32 v[46:47], v[48:49], v[46:47]
	s_delay_alu instid0(VALU_DEP_3) | instskip(NEXT) | instid1(VALU_DEP_2)
	v_add_f64_e32 v[48:49], v[44:45], v[40:41]
	v_div_scale_f64 v[50:51], null, v[42:43], v[42:43], v[46:47]
	s_delay_alu instid0(VALU_DEP_2) | instskip(SKIP_1) | instid1(VALU_DEP_3)
	v_mul_f64_e32 v[52:53], v[48:49], v[48:49]
	v_add_f64_e64 v[44:45], v[48:49], -v[44:45]
	v_rcp_f64_e32 v[54:55], v[50:51]
	s_delay_alu instid0(VALU_DEP_2) | instskip(SKIP_1) | instid1(VALU_DEP_3)
	v_fmamk_f64 v[56:57], v[52:53], 0x3fc3ab76bf559e2b, v[24:25]
	v_mul_f64_e32 v[58:59], v[48:49], v[52:53]
	v_add_f64_e64 v[40:41], v[40:41], -v[44:45]
	s_delay_alu instid0(VALU_DEP_3) | instskip(NEXT) | instid1(TRANS32_DEP_1)
	v_fmaak_f64 v[56:57], v[52:53], v[56:57], 0x3fc7474dd7f4df2e
	v_fma_f64 v[60:61], -v[50:51], v[54:55], 1.0
	s_delay_alu instid0(VALU_DEP_2) | instskip(NEXT) | instid1(VALU_DEP_1)
	v_fmaak_f64 v[56:57], v[52:53], v[56:57], 0x3fcc71c016291751
	v_fmaak_f64 v[56:57], v[52:53], v[56:57], 0x3fd249249b27acf1
	s_delay_alu instid0(VALU_DEP_1) | instskip(SKIP_1) | instid1(VALU_DEP_2)
	v_fmaak_f64 v[56:57], v[52:53], v[56:57], 0x3fd99999998ef7b6
	v_ldexp_f64 v[40:41], v[40:41], 1
	v_fmaak_f64 v[52:53], v[52:53], v[56:57], 0x3fe5555555555780
	v_ldexp_f64 v[56:57], v[48:49], 1
	v_fmac_f64_e32 v[54:55], v[54:55], v[60:61]
	s_delay_alu instid0(VALU_DEP_3) | instskip(SKIP_2) | instid1(VALU_DEP_4)
	v_mul_f64_e32 v[52:53], v[58:59], v[52:53]
	v_cvt_f64_i32_e32 v[58:59], v16
	v_ashrrev_i32_e32 v16, 31, v11
	v_fma_f64 v[60:61], -v[50:51], v[54:55], 1.0
	s_delay_alu instid0(VALU_DEP_4) | instskip(NEXT) | instid1(VALU_DEP_4)
	v_add_f64_e32 v[48:49], v[56:57], v[52:53]
	v_mul_f64_e32 v[62:63], 0x3fe62e42fefa39ef, v[58:59]
	s_delay_alu instid0(VALU_DEP_3) | instskip(NEXT) | instid1(VALU_DEP_3)
	v_fmac_f64_e32 v[54:55], v[54:55], v[60:61]
	v_add_f64_e64 v[44:45], v[48:49], -v[56:57]
	v_div_scale_f64 v[56:57], vcc_lo, v[46:47], v[42:43], v[46:47]
	s_delay_alu instid0(VALU_DEP_4) | instskip(NEXT) | instid1(VALU_DEP_3)
	v_fma_f64 v[60:61], v[58:59], s[34:35], -v[62:63]
	v_add_f64_e64 v[44:45], v[52:53], -v[44:45]
	s_delay_alu instid0(VALU_DEP_3) | instskip(NEXT) | instid1(VALU_DEP_3)
	v_mul_f64_e32 v[52:53], v[56:57], v[54:55]
	v_fmac_f64_e32 v[60:61], 0x3c7abc9e3b39803f, v[58:59]
	s_delay_alu instid0(VALU_DEP_3) | instskip(NEXT) | instid1(VALU_DEP_3)
	v_add_f64_e32 v[40:41], v[40:41], v[44:45]
	v_fma_f64 v[44:45], -v[50:51], v[52:53], v[56:57]
	s_delay_alu instid0(VALU_DEP_3) | instskip(NEXT) | instid1(VALU_DEP_3)
	v_add_f64_e32 v[50:51], v[62:63], v[60:61]
	v_add_f64_e32 v[56:57], v[48:49], v[40:41]
	s_delay_alu instid0(VALU_DEP_3) | instskip(SKIP_1) | instid1(VALU_DEP_4)
	v_div_fmas_f64 v[44:45], v[44:45], v[54:55], v[52:53]
	v_cmp_gt_i32_e32 vcc_lo, 0, v11
	v_add_f64_e64 v[54:55], v[50:51], -v[62:63]
	v_cndmask_b32_e32 v21, 0x54442d18, v68, vcc_lo
	v_add_f64_e32 v[52:53], v[50:51], v[56:57]
	v_div_fixup_f64 v[42:43], v[44:45], v[42:43], v[46:47]
	v_add_f64_e64 v[48:49], v[56:57], -v[48:49]
	v_add_f64_e64 v[54:55], v[60:61], -v[54:55]
	s_delay_alu instid0(VALU_DEP_4) | instskip(NEXT) | instid1(VALU_DEP_4)
	v_add_f64_e64 v[44:45], v[52:53], -v[50:51]
	v_mul_f64_e32 v[46:47], v[42:43], v[42:43]
	s_delay_alu instid0(VALU_DEP_4) | instskip(NEXT) | instid1(VALU_DEP_3)
	v_add_f64_e64 v[40:41], v[40:41], -v[48:49]
	v_add_f64_e64 v[58:59], v[52:53], -v[44:45]
	s_delay_alu instid0(VALU_DEP_3) | instskip(SKIP_1) | instid1(VALU_DEP_4)
	v_fmamk_f64 v[62:63], v[46:47], 0x3eeba404b5e68a13, v[26:27]
	v_add_f64_e64 v[44:45], v[56:57], -v[44:45]
	v_add_f64_e32 v[56:57], v[54:55], v[40:41]
	s_delay_alu instid0(VALU_DEP_3) | instskip(NEXT) | instid1(VALU_DEP_1)
	v_fmaak_f64 v[62:63], v[46:47], v[62:63], 0x3f4b2bb069efb384
	v_fmaak_f64 v[62:63], v[46:47], v[62:63], 0xbf67952daf56de9b
	v_add_f64_e64 v[48:49], v[50:51], -v[58:59]
	s_delay_alu instid0(VALU_DEP_2) | instskip(NEXT) | instid1(VALU_DEP_1)
	v_fmaak_f64 v[50:51], v[46:47], v[62:63], 0x3f7d6d43a595c56f
	v_fmaak_f64 v[50:51], v[46:47], v[50:51], 0xbf8c6ea4a57d9582
	s_delay_alu instid0(VALU_DEP_1) | instskip(NEXT) | instid1(VALU_DEP_1)
	v_fmaak_f64 v[50:51], v[46:47], v[50:51], 0x3f967e295f08b19f
	v_fmaak_f64 v[50:51], v[46:47], v[50:51], 0xbf9e9ae6fc27006a
	s_delay_alu instid0(VALU_DEP_1) | instskip(SKIP_1) | instid1(VALU_DEP_2)
	v_fmaak_f64 v[50:51], v[46:47], v[50:51], 0x3fa2c15b5711927a
	v_add_f64_e32 v[44:45], v[44:45], v[48:49]
	v_fmaak_f64 v[48:49], v[46:47], v[50:51], 0xbfa59976e82d3ff0
	v_add_f64_e64 v[50:51], v[56:57], -v[54:55]
	s_delay_alu instid0(VALU_DEP_2) | instskip(NEXT) | instid1(VALU_DEP_1)
	v_fmaak_f64 v[48:49], v[46:47], v[48:49], 0x3fa82d5d6ef28734
	v_fmaak_f64 v[48:49], v[46:47], v[48:49], 0xbfaae5ce6a214619
	s_delay_alu instid0(VALU_DEP_1) | instskip(NEXT) | instid1(VALU_DEP_1)
	v_fmaak_f64 v[48:49], v[46:47], v[48:49], 0x3fae1bb48427b883
	v_fmaak_f64 v[48:49], v[46:47], v[48:49], 0xbfb110e48b207f05
	v_add_f64_e32 v[44:45], v[56:57], v[44:45]
	v_add_f64_e64 v[56:57], v[56:57], -v[50:51]
	v_add_f64_e64 v[40:41], v[40:41], -v[50:51]
	s_delay_alu instid0(VALU_DEP_4) | instskip(NEXT) | instid1(VALU_DEP_1)
	v_fmaak_f64 v[48:49], v[46:47], v[48:49], 0x3fb3b13657b87036
	v_fmaak_f64 v[48:49], v[46:47], v[48:49], 0xbfb745d119378e4f
	s_delay_alu instid0(VALU_DEP_1) | instskip(NEXT) | instid1(VALU_DEP_1)
	v_fmaak_f64 v[48:49], v[46:47], v[48:49], 0x3fbc71c717e1913c
	v_fmaak_f64 v[48:49], v[46:47], v[48:49], 0xbfc2492492376b7d
	v_add_f64_e32 v[58:59], v[52:53], v[44:45]
	s_delay_alu instid0(VALU_DEP_2) | instskip(NEXT) | instid1(VALU_DEP_1)
	v_fmaak_f64 v[48:49], v[46:47], v[48:49], 0x3fc99999999952cc
	v_fmaak_f64 v[48:49], v[46:47], v[48:49], 0xbfd5555555555523
	s_delay_alu instid0(VALU_DEP_1) | instskip(SKIP_2) | instid1(VALU_DEP_3)
	v_mul_f64_e32 v[46:47], v[46:47], v[48:49]
	v_add_f64_e64 v[48:49], v[54:55], -v[56:57]
	v_add_f64_e64 v[50:51], v[58:59], -v[52:53]
	v_fmac_f64_e32 v[42:43], v[42:43], v[46:47]
	s_delay_alu instid0(VALU_DEP_3) | instskip(NEXT) | instid1(VALU_DEP_3)
	v_add_f64_e32 v[40:41], v[40:41], v[48:49]
	v_add_f64_e64 v[44:45], v[44:45], -v[50:51]
	s_delay_alu instid0(VALU_DEP_3) | instskip(NEXT) | instid1(VALU_DEP_1)
	v_add_f64_e64 v[46:47], -v[42:43], s[40:41]
	v_dual_add_f64 v[40:41], v[40:41], v[44:45] :: v_dual_cndmask_b32 v43, v43, v47, s6
	s_delay_alu instid0(VALU_DEP_2)
	v_cndmask_b32_e64 v42, v42, v46, s6
	v_cmp_neq_f64_e64 s8, 0x7ff00000, v[14:15]
	v_and_b32_e32 v46, 0x54442d18, v16
	v_cndmask_b32_e32 v14, 0x3fe921fb, v69, vcc_lo
	v_and_b32_e32 v15, 0x400921fb, v16
	v_add_f64_e64 v[44:45], -v[42:43], s[42:43]
	s_delay_alu instid0(VALU_DEP_3) | instskip(SKIP_1) | instid1(VALU_DEP_3)
	v_bfi_b32 v14, 0x7fffffff, v14, v13
	v_add_f64_e32 v[40:41], v[58:59], v[40:41]
	v_dual_cndmask_b32 v42, v42, v44, vcc_lo :: v_dual_cndmask_b32 v16, v43, v45, vcc_lo
	s_and_b32 vcc_lo, s11, s12
                                        ; implicit-def: $vgpr44_vgpr45
	s_delay_alu instid0(VALU_DEP_1) | instskip(NEXT) | instid1(VALU_DEP_2)
	v_dual_mul_f64 v[10:11], 0.5, v[40:41] :: v_dual_cndmask_b32 v15, v16, v15, s7
	v_cndmask_b32_e64 v40, v42, v46, s7
	s_delay_alu instid0(VALU_DEP_1) | instskip(NEXT) | instid1(VALU_DEP_3)
	v_dual_cndmask_b32 v41, v15, v14 :: v_dual_cndmask_b32 v40, v40, v21
	v_cndmask_b32_e64 v15, 0x7ff00000, v11, s8
	s_delay_alu instid0(VALU_DEP_4)
	v_cndmask_b32_e64 v14, 0, v10, s8
.LBB185_67:                             ;   in Loop: Header=BB185_4 Depth=1
	s_and_not1_saveexec_b32 s8, s10
	s_cbranch_execz .LBB185_69
; %bb.68:                               ;   in Loop: Header=BB185_4 Depth=1
	v_max_num_f64_e64 v[14:15], |v[12:13]|, |v[12:13]|
	v_max_num_f64_e64 v[40:41], |v[10:11]|, |v[10:11]|
	v_cmp_eq_f64_e64 s7, 0, v[12:13]
	v_cmp_class_f64_e64 s10, v[12:13], 0x204
	v_cmp_class_f64_e64 s11, v[10:11], 0x204
	v_ashrrev_i32_e32 v16, 31, v11
	v_max_num_f64_e32 v[42:43], v[40:41], v[14:15]
	v_min_num_f64_e32 v[14:15], v[40:41], v[14:15]
	s_delay_alu instid0(VALU_DEP_1) | instskip(SKIP_1) | instid1(VALU_DEP_2)
	v_div_scale_f64 v[40:41], null, v[42:43], v[42:43], v[14:15]
	v_div_scale_f64 v[50:51], vcc_lo, v[14:15], v[42:43], v[14:15]
	v_rcp_f64_e32 v[46:47], v[40:41]
	v_nop
	s_delay_alu instid0(TRANS32_DEP_1) | instskip(NEXT) | instid1(VALU_DEP_1)
	v_fma_f64 v[48:49], -v[40:41], v[46:47], 1.0
	v_fmac_f64_e32 v[46:47], v[46:47], v[48:49]
	s_delay_alu instid0(VALU_DEP_1) | instskip(NEXT) | instid1(VALU_DEP_1)
	v_fma_f64 v[48:49], -v[40:41], v[46:47], 1.0
	v_fmac_f64_e32 v[46:47], v[46:47], v[48:49]
	s_delay_alu instid0(VALU_DEP_1) | instskip(NEXT) | instid1(VALU_DEP_1)
	v_mul_f64_e32 v[48:49], v[50:51], v[46:47]
	v_fma_f64 v[40:41], -v[40:41], v[48:49], v[50:51]
	s_delay_alu instid0(VALU_DEP_1)
	v_div_fmas_f64 v[40:41], v[40:41], v[46:47], v[48:49]
	v_cmp_gt_i32_e32 vcc_lo, 0, v11
	v_and_b32_e32 v46, 0x54442d18, v16
	v_and_b32_e32 v11, 0x400921fb, v16
	v_cndmask_b32_e32 v10, 0x3fe921fb, v69, vcc_lo
	v_cndmask_b32_e32 v21, 0x54442d18, v68, vcc_lo
	s_delay_alu instid0(VALU_DEP_2) | instskip(SKIP_1) | instid1(VALU_DEP_1)
	v_bfi_b32 v10, 0x7fffffff, v10, v13
	v_div_fixup_f64 v[14:15], v[40:41], v[42:43], v[14:15]
	v_mul_f64_e32 v[40:41], v[14:15], v[14:15]
	s_delay_alu instid0(VALU_DEP_1) | instskip(NEXT) | instid1(VALU_DEP_1)
	v_fmamk_f64 v[42:43], v[40:41], 0x3eeba404b5e68a13, v[26:27]
	v_fmaak_f64 v[42:43], v[40:41], v[42:43], 0x3f4b2bb069efb384
	s_delay_alu instid0(VALU_DEP_1) | instskip(NEXT) | instid1(VALU_DEP_1)
	v_fmaak_f64 v[42:43], v[40:41], v[42:43], 0xbf67952daf56de9b
	v_fmaak_f64 v[42:43], v[40:41], v[42:43], 0x3f7d6d43a595c56f
	s_delay_alu instid0(VALU_DEP_1) | instskip(NEXT) | instid1(VALU_DEP_1)
	v_fmaak_f64 v[42:43], v[40:41], v[42:43], 0xbf8c6ea4a57d9582
	;; [unrolled: 3-line block ×9, first 2 shown]
	v_mul_f64_e32 v[40:41], v[40:41], v[42:43]
	s_delay_alu instid0(VALU_DEP_1) | instskip(NEXT) | instid1(VALU_DEP_1)
	v_fmac_f64_e32 v[14:15], v[14:15], v[40:41]
	v_add_f64_e64 v[40:41], -v[14:15], s[40:41]
	s_delay_alu instid0(VALU_DEP_1) | instskip(SKIP_1) | instid1(VALU_DEP_1)
	v_dual_cndmask_b32 v41, v15, v41, s6 :: v_dual_cndmask_b32 v40, v14, v40, s6
	v_mul_f64_e32 v[14:15], 0.5, v[44:45]
	v_mul_f64_e32 v[14:15], v[44:45], v[14:15]
	s_delay_alu instid0(VALU_DEP_3) | instskip(NEXT) | instid1(VALU_DEP_1)
	v_add_f64_e64 v[42:43], -v[40:41], s[42:43]
	v_dual_cndmask_b32 v40, v40, v42, vcc_lo :: v_dual_cndmask_b32 v16, v41, v43, vcc_lo
	s_and_b32 vcc_lo, s10, s11
	s_delay_alu instid0(VALU_DEP_1) | instskip(NEXT) | instid1(VALU_DEP_2)
	v_cndmask_b32_e64 v40, v40, v46, s7
	v_cndmask_b32_e64 v11, v16, v11, s7
	s_delay_alu instid0(VALU_DEP_1)
	v_dual_cndmask_b32 v40, v40, v21 :: v_dual_cndmask_b32 v41, v11, v10
.LBB185_69:                             ;   in Loop: Header=BB185_4 Depth=1
	s_or_b32 exec_lo, exec_lo, s8
.LBB185_70:                             ;   in Loop: Header=BB185_4 Depth=1
	s_delay_alu instid0(SALU_CYCLE_1)
	s_or_b32 exec_lo, exec_lo, s9
.LBB185_71:                             ;   in Loop: Header=BB185_4 Depth=1
	s_and_not1_saveexec_b32 s8, s33
	s_cbranch_execz .LBB185_73
; %bb.72:                               ;   in Loop: Header=BB185_4 Depth=1
	v_div_scale_f64 v[14:15], null, s[48:49], s[48:49], v[10:11]
	v_div_scale_f64 v[40:41], null, s[48:49], s[48:49], v[12:13]
	v_div_scale_f64 v[50:51], vcc_lo, v[10:11], s[48:49], v[10:11]
	s_delay_alu instid0(VALU_DEP_3) | instskip(NEXT) | instid1(VALU_DEP_2)
	v_rcp_f64_e32 v[42:43], v[14:15]
	v_rcp_f64_e32 v[44:45], v[40:41]
	s_delay_alu instid0(TRANS32_DEP_2) | instskip(NEXT) | instid1(TRANS32_DEP_1)
	v_fma_f64 v[46:47], -v[14:15], v[42:43], 1.0
	v_fma_f64 v[48:49], -v[40:41], v[44:45], 1.0
	s_delay_alu instid0(VALU_DEP_2) | instskip(NEXT) | instid1(VALU_DEP_2)
	v_fmac_f64_e32 v[42:43], v[42:43], v[46:47]
	v_fmac_f64_e32 v[44:45], v[44:45], v[48:49]
	s_delay_alu instid0(VALU_DEP_2) | instskip(NEXT) | instid1(VALU_DEP_2)
	v_fma_f64 v[46:47], -v[14:15], v[42:43], 1.0
	v_fma_f64 v[48:49], -v[40:41], v[44:45], 1.0
	s_delay_alu instid0(VALU_DEP_2) | instskip(SKIP_1) | instid1(VALU_DEP_3)
	v_fmac_f64_e32 v[42:43], v[42:43], v[46:47]
	v_div_scale_f64 v[46:47], s7, v[12:13], s[48:49], v[12:13]
	v_fmac_f64_e32 v[44:45], v[44:45], v[48:49]
	s_delay_alu instid0(VALU_DEP_3) | instskip(NEXT) | instid1(VALU_DEP_2)
	v_mul_f64_e32 v[48:49], v[50:51], v[42:43]
	v_mul_f64_e32 v[52:53], v[46:47], v[44:45]
	s_delay_alu instid0(VALU_DEP_2) | instskip(NEXT) | instid1(VALU_DEP_2)
	v_fma_f64 v[14:15], -v[14:15], v[48:49], v[50:51]
	v_fma_f64 v[40:41], -v[40:41], v[52:53], v[46:47]
	s_delay_alu instid0(VALU_DEP_2) | instskip(SKIP_1) | instid1(VALU_DEP_2)
	v_div_fmas_f64 v[14:15], v[14:15], v[42:43], v[48:49]
	s_mov_b32 vcc_lo, s7
	v_div_fmas_f64 v[40:41], v[40:41], v[44:45], v[52:53]
	s_delay_alu instid0(VALU_DEP_2) | instskip(NEXT) | instid1(VALU_DEP_2)
	v_div_fixup_f64 v[14:15], v[14:15], s[48:49], v[10:11]
	v_div_fixup_f64 v[40:41], v[40:41], s[48:49], v[12:13]
	s_delay_alu instid0(VALU_DEP_2) | instskip(NEXT) | instid1(VALU_DEP_2)
	v_cmp_class_f64_e64 s7, v[14:15], 0x204
	v_max_num_f64_e64 v[42:43], |v[14:15]|, |v[40:41]|
	v_cmp_class_f64_e64 s9, v[40:41], 0x204
	s_delay_alu instid0(VALU_DEP_2) | instskip(SKIP_2) | instid1(VALU_DEP_2)
	v_frexp_exp_i32_f64_e32 v16, v[42:43]
	s_or_b32 s7, s9, s7
	v_cmp_class_f64_e64 s9, v[10:11], 0x204
	v_sub_nc_u32_e32 v21, 0, v16
	s_delay_alu instid0(VALU_DEP_1) | instskip(SKIP_1) | instid1(VALU_DEP_2)
	v_ldexp_f64 v[42:43], |v[40:41]|, v21
	v_ldexp_f64 v[44:45], |v[14:15]|, v21
	v_mul_f64_e32 v[42:43], v[42:43], v[42:43]
	s_delay_alu instid0(VALU_DEP_1) | instskip(NEXT) | instid1(VALU_DEP_1)
	v_fmac_f64_e32 v[42:43], v[44:45], v[44:45]
	v_rsq_f64_e32 v[44:45], v[42:43]
	v_cmp_eq_f64_e32 vcc_lo, 0, v[42:43]
	s_delay_alu instid0(TRANS32_DEP_1) | instskip(SKIP_1) | instid1(VALU_DEP_1)
	v_mul_f64_e32 v[46:47], v[42:43], v[44:45]
	v_mul_f64_e32 v[44:45], 0.5, v[44:45]
	v_fma_f64 v[48:49], -v[44:45], v[46:47], 0.5
	s_delay_alu instid0(VALU_DEP_1) | instskip(SKIP_1) | instid1(VALU_DEP_2)
	v_fmac_f64_e32 v[46:47], v[46:47], v[48:49]
	v_fmac_f64_e32 v[44:45], v[44:45], v[48:49]
	v_fma_f64 v[48:49], -v[46:47], v[46:47], v[42:43]
	s_delay_alu instid0(VALU_DEP_1) | instskip(NEXT) | instid1(VALU_DEP_1)
	v_fmac_f64_e32 v[46:47], v[48:49], v[44:45]
	v_dual_cndmask_b32 v43, v47, v43 :: v_dual_cndmask_b32 v42, v46, v42
	v_cmp_o_f64_e32 vcc_lo, v[14:15], v[40:41]
	s_delay_alu instid0(VALU_DEP_2) | instskip(NEXT) | instid1(VALU_DEP_1)
	v_ldexp_f64 v[42:43], v[42:43], v16
	v_cndmask_b32_e32 v14, 0, v42, vcc_lo
	s_delay_alu instid0(VALU_DEP_2) | instskip(NEXT) | instid1(VALU_DEP_2)
	v_cndmask_b32_e32 v15, 0x7ff80000, v43, vcc_lo
	v_cndmask_b32_e64 v42, v14, 0, s7
	s_delay_alu instid0(VALU_DEP_2) | instskip(SKIP_1) | instid1(VALU_DEP_2)
	v_cndmask_b32_e64 v43, v15, 0x7ff00000, s7
	v_cmp_class_f64_e64 s7, v[12:13], 0x204
	v_frexp_mant_f64_e32 v[14:15], v[42:43]
	s_delay_alu instid0(VALU_DEP_1) | instskip(SKIP_1) | instid1(VALU_DEP_1)
	v_cmp_gt_f64_e32 vcc_lo, s[30:31], v[14:15]
	v_cndmask_b32_e64 v16, 0, 1, vcc_lo
	v_ldexp_f64 v[14:15], v[14:15], v16
	v_frexp_exp_i32_f64_e32 v16, v[42:43]
	s_delay_alu instid0(VALU_DEP_2) | instskip(SKIP_1) | instid1(VALU_DEP_3)
	v_add_f64_e32 v[40:41], 1.0, v[14:15]
	v_add_f64_e32 v[48:49], -1.0, v[14:15]
	v_subrev_co_ci_u32_e64 v16, null, 0, v16, vcc_lo
	s_delay_alu instid0(VALU_DEP_3) | instskip(SKIP_1) | instid1(VALU_DEP_1)
	v_rcp_f64_e32 v[44:45], v[40:41]
	v_add_f64_e32 v[50:51], -1.0, v[40:41]
	v_add_f64_e64 v[14:15], v[14:15], -v[50:51]
	s_delay_alu instid0(TRANS32_DEP_1) | instskip(NEXT) | instid1(VALU_DEP_1)
	v_fma_f64 v[46:47], -v[40:41], v[44:45], 1.0
	v_fmac_f64_e32 v[44:45], v[46:47], v[44:45]
	s_delay_alu instid0(VALU_DEP_1) | instskip(NEXT) | instid1(VALU_DEP_1)
	v_fma_f64 v[46:47], -v[40:41], v[44:45], 1.0
	v_fmac_f64_e32 v[44:45], v[46:47], v[44:45]
	s_delay_alu instid0(VALU_DEP_1) | instskip(NEXT) | instid1(VALU_DEP_1)
	v_mul_f64_e32 v[46:47], v[48:49], v[44:45]
	v_mul_f64_e32 v[52:53], v[40:41], v[46:47]
	s_delay_alu instid0(VALU_DEP_1) | instskip(NEXT) | instid1(VALU_DEP_1)
	v_fma_f64 v[40:41], v[46:47], v[40:41], -v[52:53]
	v_fmac_f64_e32 v[40:41], v[46:47], v[14:15]
	s_delay_alu instid0(VALU_DEP_1) | instskip(NEXT) | instid1(VALU_DEP_1)
	v_add_f64_e32 v[14:15], v[52:53], v[40:41]
	v_add_f64_e64 v[50:51], v[48:49], -v[14:15]
	v_add_f64_e64 v[52:53], v[14:15], -v[52:53]
	s_delay_alu instid0(VALU_DEP_2) | instskip(NEXT) | instid1(VALU_DEP_2)
	v_add_f64_e64 v[48:49], v[48:49], -v[50:51]
	v_add_f64_e64 v[40:41], v[52:53], -v[40:41]
	s_delay_alu instid0(VALU_DEP_2) | instskip(SKIP_1) | instid1(VALU_DEP_2)
	v_add_f64_e64 v[14:15], v[48:49], -v[14:15]
	v_max_num_f64_e64 v[48:49], |v[10:11]|, |v[10:11]|
	v_add_f64_e32 v[14:15], v[40:41], v[14:15]
	v_max_num_f64_e64 v[40:41], |v[12:13]|, |v[12:13]|
	s_delay_alu instid0(VALU_DEP_2) | instskip(NEXT) | instid1(VALU_DEP_1)
	v_add_f64_e32 v[14:15], v[50:51], v[14:15]
	v_mul_f64_e32 v[14:15], v[44:45], v[14:15]
	s_delay_alu instid0(VALU_DEP_3) | instskip(SKIP_1) | instid1(VALU_DEP_3)
	v_max_num_f64_e32 v[44:45], v[48:49], v[40:41]
	v_min_num_f64_e32 v[40:41], v[48:49], v[40:41]
	v_add_f64_e32 v[48:49], v[46:47], v[14:15]
	s_delay_alu instid0(VALU_DEP_2) | instskip(NEXT) | instid1(VALU_DEP_2)
	v_div_scale_f64 v[50:51], null, v[44:45], v[44:45], v[40:41]
	v_mul_f64_e32 v[52:53], v[48:49], v[48:49]
	v_add_f64_e64 v[46:47], v[48:49], -v[46:47]
	s_delay_alu instid0(VALU_DEP_3) | instskip(NEXT) | instid1(VALU_DEP_2)
	v_rcp_f64_e32 v[54:55], v[50:51]
	v_fmamk_f64 v[56:57], v[52:53], 0x3fc3ab76bf559e2b, v[24:25]
	v_mul_f64_e32 v[58:59], v[48:49], v[52:53]
	s_delay_alu instid0(VALU_DEP_3) | instskip(NEXT) | instid1(VALU_DEP_3)
	v_add_f64_e64 v[14:15], v[14:15], -v[46:47]
	v_fmaak_f64 v[56:57], v[52:53], v[56:57], 0x3fc7474dd7f4df2e
	s_delay_alu instid0(TRANS32_DEP_1) | instskip(NEXT) | instid1(VALU_DEP_2)
	v_fma_f64 v[60:61], -v[50:51], v[54:55], 1.0
	v_fmaak_f64 v[56:57], v[52:53], v[56:57], 0x3fcc71c016291751
	s_delay_alu instid0(VALU_DEP_1) | instskip(NEXT) | instid1(VALU_DEP_1)
	v_fmaak_f64 v[56:57], v[52:53], v[56:57], 0x3fd249249b27acf1
	v_fmaak_f64 v[56:57], v[52:53], v[56:57], 0x3fd99999998ef7b6
	v_ldexp_f64 v[14:15], v[14:15], 1
	s_delay_alu instid0(VALU_DEP_2) | instskip(SKIP_2) | instid1(VALU_DEP_3)
	v_fmaak_f64 v[52:53], v[52:53], v[56:57], 0x3fe5555555555780
	v_ldexp_f64 v[56:57], v[48:49], 1
	v_fmac_f64_e32 v[54:55], v[54:55], v[60:61]
	v_mul_f64_e32 v[52:53], v[58:59], v[52:53]
	v_cvt_f64_i32_e32 v[58:59], v16
	v_ashrrev_i32_e32 v16, 31, v11
	s_delay_alu instid0(VALU_DEP_4) | instskip(NEXT) | instid1(VALU_DEP_4)
	v_fma_f64 v[60:61], -v[50:51], v[54:55], 1.0
	v_add_f64_e32 v[48:49], v[56:57], v[52:53]
	s_delay_alu instid0(VALU_DEP_4) | instskip(NEXT) | instid1(VALU_DEP_3)
	v_mul_f64_e32 v[62:63], 0x3fe62e42fefa39ef, v[58:59]
	v_fmac_f64_e32 v[54:55], v[54:55], v[60:61]
	s_delay_alu instid0(VALU_DEP_3) | instskip(SKIP_1) | instid1(VALU_DEP_4)
	v_add_f64_e64 v[46:47], v[48:49], -v[56:57]
	v_div_scale_f64 v[56:57], vcc_lo, v[40:41], v[44:45], v[40:41]
	v_fma_f64 v[60:61], v[58:59], s[34:35], -v[62:63]
	s_delay_alu instid0(VALU_DEP_3) | instskip(NEXT) | instid1(VALU_DEP_3)
	v_add_f64_e64 v[46:47], v[52:53], -v[46:47]
	v_mul_f64_e32 v[52:53], v[56:57], v[54:55]
	s_delay_alu instid0(VALU_DEP_3) | instskip(NEXT) | instid1(VALU_DEP_3)
	v_fmac_f64_e32 v[60:61], 0x3c7abc9e3b39803f, v[58:59]
	v_add_f64_e32 v[14:15], v[14:15], v[46:47]
	s_delay_alu instid0(VALU_DEP_3) | instskip(NEXT) | instid1(VALU_DEP_3)
	v_fma_f64 v[46:47], -v[50:51], v[52:53], v[56:57]
	v_add_f64_e32 v[50:51], v[62:63], v[60:61]
	s_delay_alu instid0(VALU_DEP_3) | instskip(NEXT) | instid1(VALU_DEP_3)
	v_add_f64_e32 v[56:57], v[48:49], v[14:15]
	v_div_fmas_f64 v[46:47], v[46:47], v[54:55], v[52:53]
	v_cmp_class_f64_e64 vcc_lo, v[42:43], 0x204
	s_delay_alu instid0(VALU_DEP_4) | instskip(NEXT) | instid1(VALU_DEP_4)
	v_add_f64_e64 v[54:55], v[50:51], -v[62:63]
	v_add_f64_e32 v[52:53], v[50:51], v[56:57]
	s_delay_alu instid0(VALU_DEP_4) | instskip(SKIP_1) | instid1(VALU_DEP_4)
	v_div_fixup_f64 v[40:41], v[46:47], v[44:45], v[40:41]
	v_add_f64_e64 v[48:49], v[56:57], -v[48:49]
	v_add_f64_e64 v[54:55], v[60:61], -v[54:55]
	s_delay_alu instid0(VALU_DEP_4) | instskip(NEXT) | instid1(VALU_DEP_4)
	v_add_f64_e64 v[44:45], v[52:53], -v[50:51]
	v_mul_f64_e32 v[46:47], v[40:41], v[40:41]
	s_delay_alu instid0(VALU_DEP_4) | instskip(NEXT) | instid1(VALU_DEP_3)
	v_add_f64_e64 v[14:15], v[14:15], -v[48:49]
	v_add_f64_e64 v[58:59], v[52:53], -v[44:45]
	s_delay_alu instid0(VALU_DEP_3) | instskip(SKIP_1) | instid1(VALU_DEP_4)
	v_fmamk_f64 v[62:63], v[46:47], 0x3eeba404b5e68a13, v[26:27]
	v_add_f64_e64 v[44:45], v[56:57], -v[44:45]
	v_add_f64_e32 v[56:57], v[54:55], v[14:15]
	s_delay_alu instid0(VALU_DEP_3) | instskip(SKIP_1) | instid1(VALU_DEP_2)
	v_fmaak_f64 v[62:63], v[46:47], v[62:63], 0x3f4b2bb069efb384
	v_add_f64_e64 v[48:49], v[50:51], -v[58:59]
	v_fmaak_f64 v[50:51], v[46:47], v[62:63], 0xbf67952daf56de9b
	s_delay_alu instid0(VALU_DEP_1) | instskip(NEXT) | instid1(VALU_DEP_1)
	v_fmaak_f64 v[50:51], v[46:47], v[50:51], 0x3f7d6d43a595c56f
	v_fmaak_f64 v[50:51], v[46:47], v[50:51], 0xbf8c6ea4a57d9582
	s_delay_alu instid0(VALU_DEP_1) | instskip(SKIP_1) | instid1(VALU_DEP_2)
	v_fmaak_f64 v[50:51], v[46:47], v[50:51], 0x3f967e295f08b19f
	v_add_f64_e32 v[44:45], v[44:45], v[48:49]
	v_fmaak_f64 v[48:49], v[46:47], v[50:51], 0xbf9e9ae6fc27006a
	v_add_f64_e64 v[50:51], v[56:57], -v[54:55]
	s_delay_alu instid0(VALU_DEP_2) | instskip(NEXT) | instid1(VALU_DEP_1)
	v_fmaak_f64 v[48:49], v[46:47], v[48:49], 0x3fa2c15b5711927a
	v_fmaak_f64 v[48:49], v[46:47], v[48:49], 0xbfa59976e82d3ff0
	s_delay_alu instid0(VALU_DEP_1) | instskip(NEXT) | instid1(VALU_DEP_1)
	v_fmaak_f64 v[48:49], v[46:47], v[48:49], 0x3fa82d5d6ef28734
	v_fmaak_f64 v[48:49], v[46:47], v[48:49], 0xbfaae5ce6a214619
	v_add_f64_e32 v[44:45], v[56:57], v[44:45]
	v_add_f64_e64 v[56:57], v[56:57], -v[50:51]
	v_add_f64_e64 v[14:15], v[14:15], -v[50:51]
	s_delay_alu instid0(VALU_DEP_4) | instskip(NEXT) | instid1(VALU_DEP_1)
	v_fmaak_f64 v[48:49], v[46:47], v[48:49], 0x3fae1bb48427b883
	v_fmaak_f64 v[48:49], v[46:47], v[48:49], 0xbfb110e48b207f05
	s_delay_alu instid0(VALU_DEP_1) | instskip(NEXT) | instid1(VALU_DEP_1)
	v_fmaak_f64 v[48:49], v[46:47], v[48:49], 0x3fb3b13657b87036
	v_fmaak_f64 v[48:49], v[46:47], v[48:49], 0xbfb745d119378e4f
	s_delay_alu instid0(VALU_DEP_1) | instskip(SKIP_1) | instid1(VALU_DEP_2)
	v_fmaak_f64 v[48:49], v[46:47], v[48:49], 0x3fbc71c717e1913c
	v_add_f64_e32 v[58:59], v[52:53], v[44:45]
	v_fmaak_f64 v[48:49], v[46:47], v[48:49], 0xbfc2492492376b7d
	s_delay_alu instid0(VALU_DEP_1) | instskip(NEXT) | instid1(VALU_DEP_1)
	v_fmaak_f64 v[48:49], v[46:47], v[48:49], 0x3fc99999999952cc
	v_fmaak_f64 v[48:49], v[46:47], v[48:49], 0xbfd5555555555523
	s_delay_alu instid0(VALU_DEP_1) | instskip(SKIP_2) | instid1(VALU_DEP_3)
	v_mul_f64_e32 v[46:47], v[46:47], v[48:49]
	v_add_f64_e64 v[48:49], v[54:55], -v[56:57]
	v_add_f64_e64 v[50:51], v[58:59], -v[52:53]
	v_fmac_f64_e32 v[40:41], v[40:41], v[46:47]
	s_delay_alu instid0(VALU_DEP_3) | instskip(NEXT) | instid1(VALU_DEP_3)
	v_add_f64_e32 v[14:15], v[14:15], v[48:49]
	v_add_f64_e64 v[44:45], v[44:45], -v[50:51]
	s_delay_alu instid0(VALU_DEP_3) | instskip(NEXT) | instid1(VALU_DEP_1)
	v_add_f64_e64 v[46:47], -v[40:41], s[40:41]
	v_dual_add_f64 v[14:15], v[14:15], v[44:45] :: v_dual_cndmask_b32 v41, v41, v47, s6
	s_delay_alu instid0(VALU_DEP_2)
	v_cndmask_b32_e64 v40, v40, v46, s6
	v_cmp_gt_i32_e64 s6, 0, v11
	v_and_b32_e32 v46, 0x54442d18, v16
	v_and_b32_e32 v11, 0x400921fb, v16
	v_add_f64_e32 v[14:15], v[58:59], v[14:15]
	v_add_f64_e64 v[44:45], -v[40:41], s[42:43]
	v_cndmask_b32_e64 v21, 0x54442d18, v68, s6
	v_cndmask_b32_e64 v10, 0x3fe921fb, v69, s6
	s_delay_alu instid0(VALU_DEP_1) | instskip(SKIP_4) | instid1(VALU_DEP_4)
	v_bfi_b32 v10, 0x7fffffff, v10, v13
	v_dual_cndmask_b32 v15, v15, v43 :: v_dual_cndmask_b32 v14, v14, v42
	v_cmp_eq_f64_e32 vcc_lo, 0, v[12:13]
	v_dual_cndmask_b32 v40, v40, v44, s6 :: v_dual_cndmask_b32 v16, v41, v45, s6
	v_cmp_nge_f64_e64 s6, 0, v[42:43]
	v_add_f64_e32 v[14:15], 1.0, v[14:15]
	s_delay_alu instid0(VALU_DEP_3) | instskip(NEXT) | instid1(VALU_DEP_4)
	v_cndmask_b32_e32 v40, v40, v46, vcc_lo
	v_cndmask_b32_e32 v11, v16, v11, vcc_lo
	v_cmp_ngt_f64_e32 vcc_lo, 0, v[42:43]
	s_delay_alu instid0(VALU_DEP_4) | instskip(SKIP_4) | instid1(VALU_DEP_2)
	v_cndmask_b32_e64 v14, 0, v14, s6
	v_cmp_neq_f64_e64 s6, 0, v[42:43]
	v_cndmask_b32_e32 v15, 0x7ff80000, v15, vcc_lo
	s_and_b32 vcc_lo, s7, s9
	v_dual_cndmask_b32 v41, v11, v10 :: v_dual_cndmask_b32 v40, v40, v21
	v_cndmask_b32_e64 v15, 0xfff00000, v15, s6
.LBB185_73:                             ;   in Loop: Header=BB185_4 Depth=1
	s_or_b32 exec_lo, exec_lo, s8
.LBB185_74:                             ;   in Loop: Header=BB185_4 Depth=1
	s_and_not1_saveexec_b32 s6, s17
	s_cbranch_execz .LBB185_80
; %bb.75:                               ;   in Loop: Header=BB185_4 Depth=1
	v_cmp_ngt_f64_e64 s7, 0x20000000, |v[10:11]|
	v_cmp_ngt_f64_e64 s8, 0x20000000, |v[12:13]|
                                        ; implicit-def: $vgpr42_vgpr43
	s_or_b32 s7, s8, s7
	s_delay_alu instid0(SALU_CYCLE_1) | instskip(NEXT) | instid1(SALU_CYCLE_1)
	s_and_saveexec_b32 s8, s7
	s_xor_b32 s7, exec_lo, s8
	s_cbranch_execz .LBB185_77
; %bb.76:                               ;   in Loop: Header=BB185_4 Depth=1
	v_mul_f64_e32 v[42:43], v[10:11], v[10:11]
	s_delay_alu instid0(VALU_DEP_1)
	v_fmac_f64_e32 v[42:43], v[12:13], v[12:13]
.LBB185_77:                             ;   in Loop: Header=BB185_4 Depth=1
	s_and_not1_saveexec_b32 s7, s7
	s_cbranch_execz .LBB185_79
; %bb.78:                               ;   in Loop: Header=BB185_4 Depth=1
	v_mul_f64_e32 v[10:11], 4.0, v[10:11]
	v_mul_f64_e32 v[14:15], 4.0, v[12:13]
	s_delay_alu instid0(VALU_DEP_2) | instskip(NEXT) | instid1(VALU_DEP_1)
	v_mul_f64_e32 v[10:11], v[10:11], v[10:11]
	v_fmac_f64_e32 v[10:11], v[14:15], v[14:15]
	s_delay_alu instid0(VALU_DEP_1)
	v_ldexp_f64 v[42:43], v[10:11], -4
.LBB185_79:                             ;   in Loop: Header=BB185_4 Depth=1
	s_or_b32 exec_lo, exec_lo, s7
	s_delay_alu instid0(VALU_DEP_1) | instskip(NEXT) | instid1(VALU_DEP_1)
	v_frexp_mant_f64_e32 v[10:11], v[42:43]
	v_cmp_gt_f64_e32 vcc_lo, s[30:31], v[10:11]
	v_cndmask_b32_e64 v12, 0, 1, vcc_lo
	s_delay_alu instid0(VALU_DEP_1) | instskip(SKIP_1) | instid1(VALU_DEP_2)
	v_ldexp_f64 v[10:11], v[10:11], v12
	v_frexp_exp_i32_f64_e32 v12, v[42:43]
	v_add_f64_e32 v[14:15], 1.0, v[10:11]
	v_add_f64_e32 v[46:47], -1.0, v[10:11]
	s_delay_alu instid0(VALU_DEP_3) | instskip(SKIP_1) | instid1(VALU_DEP_4)
	v_subrev_co_ci_u32_e64 v12, null, 0, v12, vcc_lo
	v_cmp_class_f64_e64 vcc_lo, v[42:43], 0x204
	v_rcp_f64_e32 v[40:41], v[14:15]
	v_add_f64_e32 v[48:49], -1.0, v[14:15]
	s_delay_alu instid0(VALU_DEP_1) | instskip(NEXT) | instid1(TRANS32_DEP_1)
	v_add_f64_e64 v[10:11], v[10:11], -v[48:49]
	v_fma_f64 v[44:45], -v[14:15], v[40:41], 1.0
	s_delay_alu instid0(VALU_DEP_1) | instskip(NEXT) | instid1(VALU_DEP_1)
	v_fmac_f64_e32 v[40:41], v[44:45], v[40:41]
	v_fma_f64 v[44:45], -v[14:15], v[40:41], 1.0
	s_delay_alu instid0(VALU_DEP_1) | instskip(NEXT) | instid1(VALU_DEP_1)
	v_fmac_f64_e32 v[40:41], v[44:45], v[40:41]
	v_mul_f64_e32 v[44:45], v[46:47], v[40:41]
	s_delay_alu instid0(VALU_DEP_1) | instskip(NEXT) | instid1(VALU_DEP_1)
	v_mul_f64_e32 v[50:51], v[14:15], v[44:45]
	v_fma_f64 v[14:15], v[44:45], v[14:15], -v[50:51]
	s_delay_alu instid0(VALU_DEP_1) | instskip(NEXT) | instid1(VALU_DEP_1)
	v_fmac_f64_e32 v[14:15], v[44:45], v[10:11]
	v_add_f64_e32 v[10:11], v[50:51], v[14:15]
	s_delay_alu instid0(VALU_DEP_1) | instskip(SKIP_1) | instid1(VALU_DEP_2)
	v_add_f64_e64 v[48:49], v[46:47], -v[10:11]
	v_add_f64_e64 v[50:51], v[10:11], -v[50:51]
	;; [unrolled: 1-line block ×3, first 2 shown]
	s_delay_alu instid0(VALU_DEP_2) | instskip(NEXT) | instid1(VALU_DEP_2)
	v_add_f64_e64 v[14:15], v[50:51], -v[14:15]
	v_add_f64_e64 v[10:11], v[46:47], -v[10:11]
	s_delay_alu instid0(VALU_DEP_1) | instskip(NEXT) | instid1(VALU_DEP_1)
	v_add_f64_e32 v[10:11], v[14:15], v[10:11]
	v_add_f64_e32 v[10:11], v[48:49], v[10:11]
	s_delay_alu instid0(VALU_DEP_1) | instskip(NEXT) | instid1(VALU_DEP_1)
	v_mul_f64_e32 v[10:11], v[40:41], v[10:11]
	v_add_f64_e32 v[14:15], v[44:45], v[10:11]
	s_delay_alu instid0(VALU_DEP_1) | instskip(NEXT) | instid1(VALU_DEP_1)
	v_mul_f64_e32 v[40:41], v[14:15], v[14:15]
	v_fmamk_f64 v[46:47], v[40:41], 0x3fc3ab76bf559e2b, v[24:25]
	v_mul_f64_e32 v[48:49], v[14:15], v[40:41]
	s_delay_alu instid0(VALU_DEP_2) | instskip(NEXT) | instid1(VALU_DEP_1)
	v_fmaak_f64 v[46:47], v[40:41], v[46:47], 0x3fc7474dd7f4df2e
	v_fmaak_f64 v[46:47], v[40:41], v[46:47], 0x3fcc71c016291751
	s_delay_alu instid0(VALU_DEP_1) | instskip(NEXT) | instid1(VALU_DEP_1)
	v_fmaak_f64 v[46:47], v[40:41], v[46:47], 0x3fd249249b27acf1
	v_fmaak_f64 v[46:47], v[40:41], v[46:47], 0x3fd99999998ef7b6
	s_delay_alu instid0(VALU_DEP_1) | instskip(SKIP_2) | instid1(VALU_DEP_3)
	v_fmaak_f64 v[40:41], v[40:41], v[46:47], 0x3fe5555555555780
	v_ldexp_f64 v[46:47], v[14:15], 1
	v_add_f64_e64 v[14:15], v[14:15], -v[44:45]
	v_mul_f64_e32 v[40:41], v[48:49], v[40:41]
	v_cvt_f64_i32_e32 v[48:49], v12
	s_delay_alu instid0(VALU_DEP_3) | instskip(NEXT) | instid1(VALU_DEP_3)
	v_add_f64_e64 v[10:11], v[10:11], -v[14:15]
	v_add_f64_e32 v[44:45], v[46:47], v[40:41]
	s_delay_alu instid0(VALU_DEP_3) | instskip(NEXT) | instid1(VALU_DEP_3)
	v_mul_f64_e32 v[50:51], 0x3fe62e42fefa39ef, v[48:49]
	v_ldexp_f64 v[10:11], v[10:11], 1
	s_delay_alu instid0(VALU_DEP_3) | instskip(NEXT) | instid1(VALU_DEP_3)
	v_add_f64_e64 v[14:15], v[44:45], -v[46:47]
	v_fma_f64 v[46:47], v[48:49], s[34:35], -v[50:51]
	s_delay_alu instid0(VALU_DEP_2) | instskip(NEXT) | instid1(VALU_DEP_2)
	v_add_f64_e64 v[14:15], v[40:41], -v[14:15]
	v_fmac_f64_e32 v[46:47], 0x3c7abc9e3b39803f, v[48:49]
	s_delay_alu instid0(VALU_DEP_2) | instskip(NEXT) | instid1(VALU_DEP_2)
	v_add_f64_e32 v[10:11], v[10:11], v[14:15]
	v_add_f64_e32 v[14:15], v[50:51], v[46:47]
	s_delay_alu instid0(VALU_DEP_2) | instskip(NEXT) | instid1(VALU_DEP_2)
	v_add_f64_e32 v[40:41], v[44:45], v[10:11]
	v_add_f64_e64 v[50:51], v[14:15], -v[50:51]
	s_delay_alu instid0(VALU_DEP_2) | instskip(SKIP_1) | instid1(VALU_DEP_3)
	v_add_f64_e32 v[48:49], v[14:15], v[40:41]
	v_add_f64_e64 v[44:45], v[40:41], -v[44:45]
	v_add_f64_e64 v[46:47], v[46:47], -v[50:51]
	s_delay_alu instid0(VALU_DEP_3) | instskip(NEXT) | instid1(VALU_DEP_3)
	v_add_f64_e64 v[52:53], v[48:49], -v[14:15]
	v_add_f64_e64 v[10:11], v[10:11], -v[44:45]
	s_delay_alu instid0(VALU_DEP_2) | instskip(SKIP_1) | instid1(VALU_DEP_3)
	v_add_f64_e64 v[54:55], v[48:49], -v[52:53]
	v_add_f64_e64 v[40:41], v[40:41], -v[52:53]
	v_add_f64_e32 v[44:45], v[46:47], v[10:11]
	s_delay_alu instid0(VALU_DEP_3) | instskip(NEXT) | instid1(VALU_DEP_1)
	v_add_f64_e64 v[14:15], v[14:15], -v[54:55]
	v_add_f64_e32 v[14:15], v[40:41], v[14:15]
	s_delay_alu instid0(VALU_DEP_3) | instskip(NEXT) | instid1(VALU_DEP_2)
	v_add_f64_e64 v[40:41], v[44:45], -v[46:47]
	v_add_f64_e32 v[14:15], v[44:45], v[14:15]
	s_delay_alu instid0(VALU_DEP_2) | instskip(SKIP_1) | instid1(VALU_DEP_3)
	v_add_f64_e64 v[44:45], v[44:45], -v[40:41]
	v_add_f64_e64 v[10:11], v[10:11], -v[40:41]
	v_add_f64_e32 v[50:51], v[48:49], v[14:15]
	s_delay_alu instid0(VALU_DEP_3) | instskip(NEXT) | instid1(VALU_DEP_2)
	v_add_f64_e64 v[40:41], v[46:47], -v[44:45]
	v_add_f64_e64 v[44:45], v[50:51], -v[48:49]
	s_delay_alu instid0(VALU_DEP_2) | instskip(SKIP_1) | instid1(VALU_DEP_3)
	v_add_f64_e32 v[10:11], v[10:11], v[40:41]
	v_mov_b64_e32 v[40:41], 0x7ff8000000000000
	v_add_f64_e64 v[14:15], v[14:15], -v[44:45]
	s_delay_alu instid0(VALU_DEP_1) | instskip(NEXT) | instid1(VALU_DEP_1)
	v_add_f64_e32 v[10:11], v[10:11], v[14:15]
	v_add_f64_e32 v[10:11], v[50:51], v[10:11]
	s_delay_alu instid0(VALU_DEP_1) | instskip(SKIP_1) | instid1(VALU_DEP_2)
	v_dual_cndmask_b32 v10, v10, v42 :: v_dual_cndmask_b32 v11, v11, v43
	v_cmp_ngt_f64_e32 vcc_lo, 0, v[42:43]
	v_cndmask_b32_e32 v11, 0x7ff80000, v11, vcc_lo
	v_cmp_nge_f64_e32 vcc_lo, 0, v[42:43]
	s_delay_alu instid0(VALU_DEP_4) | instskip(SKIP_1) | instid1(VALU_DEP_4)
	v_cndmask_b32_e32 v14, 0, v10, vcc_lo
	v_cmp_neq_f64_e32 vcc_lo, 0, v[42:43]
	v_cndmask_b32_e32 v15, 0xfff00000, v11, vcc_lo
.LBB185_80:                             ;   in Loop: Header=BB185_4 Depth=1
	s_or_b32 exec_lo, exec_lo, s6
                                        ; implicit-def: $vgpr10_vgpr11
                                        ; implicit-def: $vgpr42_vgpr43
	s_delay_alu instid0(SALU_CYCLE_1)
	s_mov_b32 s6, exec_lo
	v_cmpx_o_f64_e32 v[6:7], v[8:9]
	s_xor_b32 s17, exec_lo, s6
	s_cbranch_execz .LBB185_108
; %bb.81:                               ;   in Loop: Header=BB185_4 Depth=1
	v_cmp_lt_f64_e64 s6, |v[6:7]|, |v[8:9]|
	v_and_b32_e32 v16, 0x7fffffff, v7
	v_and_b32_e32 v21, 0x7fffffff, v9
	v_mov_b32_e32 v12, v8
                                        ; implicit-def: $vgpr10_vgpr11
                                        ; implicit-def: $vgpr42_vgpr43
	s_mov_b32 s7, exec_lo
	s_delay_alu instid0(VALU_DEP_2) | instskip(NEXT) | instid1(VALU_DEP_1)
	v_dual_cndmask_b32 v47, v21, v16, s6 :: v_dual_cndmask_b32 v46, v8, v6, s6
	v_cmpx_nlt_f64_e32 s[24:25], v[46:47]
	s_xor_b32 s33, exec_lo, s7
	s_cbranch_execz .LBB185_105
; %bb.82:                               ;   in Loop: Header=BB185_4 Depth=1
	v_dual_cndmask_b32 v49, v16, v21, s6 :: v_dual_cndmask_b32 v48, v6, v12, s6
                                        ; implicit-def: $vgpr10_vgpr11
                                        ; implicit-def: $vgpr42_vgpr43
	s_mov_b32 s7, exec_lo
	s_delay_alu instid0(VALU_DEP_1)
	v_cmpx_neq_f64_e32 1.0, v[48:49]
	s_xor_b32 s56, exec_lo, s7
	s_cbranch_execz .LBB185_98
; %bb.83:                               ;   in Loop: Header=BB185_4 Depth=1
	v_max_num_f64_e32 v[10:11], v[46:47], v[46:47]
	v_max_num_f64_e32 v[42:43], v[48:49], v[48:49]
	s_delay_alu instid0(VALU_DEP_1) | instskip(SKIP_1) | instid1(VALU_DEP_2)
	v_min_num_f64_e32 v[44:45], v[42:43], v[10:11]
	v_max_num_f64_e32 v[10:11], v[42:43], v[10:11]
                                        ; implicit-def: $vgpr42_vgpr43
	v_cmp_ngt_f64_e32 vcc_lo, s[26:27], v[44:45]
	s_delay_alu instid0(VALU_DEP_2) | instskip(SKIP_1) | instid1(SALU_CYCLE_1)
	v_cmp_nlt_f64_e64 s7, s[28:29], v[10:11]
                                        ; implicit-def: $vgpr10_vgpr11
	s_and_b32 s7, s7, vcc_lo
	s_and_saveexec_b32 s8, s7
	s_delay_alu instid0(SALU_CYCLE_1)
	s_xor_b32 s57, exec_lo, s8
	s_cbranch_execz .LBB185_95
; %bb.84:                               ;   in Loop: Header=BB185_4 Depth=1
                                        ; implicit-def: $vgpr10_vgpr11
                                        ; implicit-def: $vgpr42_vgpr43
	s_mov_b32 s7, exec_lo
	v_cmpx_le_f64_e32 1.0, v[48:49]
	s_xor_b32 s10, exec_lo, s7
	s_cbranch_execz .LBB185_86
; %bb.85:                               ;   in Loop: Header=BB185_4 Depth=1
	v_add_f64_e32 v[10:11], -1.0, v[48:49]
	v_cmp_eq_f64_e64 s7, 0, v[8:9]
	v_add_f64_e32 v[42:43], 1.0, v[48:49]
	v_cmp_class_f64_e64 s12, v[6:7], 0x204
	v_cmp_class_f64_e64 s11, v[8:9], 0x204
	s_delay_alu instid0(VALU_DEP_3) | instskip(NEXT) | instid1(VALU_DEP_1)
	v_mul_f64_e32 v[44:45], v[10:11], v[42:43]
	v_fmac_f64_e32 v[44:45], v[46:47], v[46:47]
	s_delay_alu instid0(VALU_DEP_1) | instskip(SKIP_2) | instid1(VALU_DEP_3)
	v_add_f64_e32 v[10:11], 1.0, v[44:45]
	v_cmp_nge_f64_e64 s8, -1.0, v[44:45]
	v_cmp_neq_f64_e64 s9, 0x7ff00000, v[44:45]
	v_frexp_mant_f64_e32 v[42:43], v[10:11]
	v_frexp_exp_i32_f64_e32 v12, v[10:11]
	v_add_f64_e32 v[46:47], -1.0, v[10:11]
	s_delay_alu instid0(VALU_DEP_3) | instskip(NEXT) | instid1(VALU_DEP_2)
	v_cmp_gt_f64_e32 vcc_lo, s[30:31], v[42:43]
	v_add_f64_e64 v[42:43], v[46:47], -v[10:11]
	v_add_f64_e64 v[46:47], v[44:45], -v[46:47]
	v_subrev_co_ci_u32_e64 v12, null, 0, v12, vcc_lo
	s_delay_alu instid0(VALU_DEP_1) | instskip(NEXT) | instid1(VALU_DEP_1)
	v_dual_add_f64 v[42:43], 1.0, v[42:43] :: v_dual_sub_nc_u32 v16, 0, v12
	v_ldexp_f64 v[10:11], v[10:11], v16
	s_delay_alu instid0(VALU_DEP_2) | instskip(NEXT) | instid1(VALU_DEP_2)
	v_add_f64_e32 v[42:43], v[46:47], v[42:43]
	v_add_f64_e32 v[48:49], 1.0, v[10:11]
	v_add_f64_e32 v[54:55], -1.0, v[10:11]
	s_delay_alu instid0(VALU_DEP_3) | instskip(NEXT) | instid1(VALU_DEP_3)
	v_ldexp_f64 v[42:43], v[42:43], v16
	v_add_f64_e32 v[46:47], -1.0, v[48:49]
	s_delay_alu instid0(VALU_DEP_3) | instskip(NEXT) | instid1(VALU_DEP_2)
	v_add_f64_e32 v[56:57], 1.0, v[54:55]
	v_add_f64_e64 v[46:47], v[10:11], -v[46:47]
	s_delay_alu instid0(VALU_DEP_2) | instskip(NEXT) | instid1(VALU_DEP_2)
	v_add_f64_e64 v[10:11], v[10:11], -v[56:57]
	v_add_f64_e32 v[46:47], v[42:43], v[46:47]
	s_delay_alu instid0(VALU_DEP_2) | instskip(NEXT) | instid1(VALU_DEP_2)
	v_add_f64_e32 v[10:11], v[42:43], v[10:11]
	v_add_f64_e32 v[50:51], v[48:49], v[46:47]
	s_delay_alu instid0(VALU_DEP_2) | instskip(NEXT) | instid1(VALU_DEP_2)
	v_add_f64_e32 v[56:57], v[54:55], v[10:11]
	v_rcp_f64_e32 v[52:53], v[50:51]
	v_add_f64_e64 v[48:49], v[50:51], -v[48:49]
	s_delay_alu instid0(VALU_DEP_2) | instskip(NEXT) | instid1(VALU_DEP_2)
	v_add_f64_e64 v[54:55], v[56:57], -v[54:55]
	v_add_f64_e64 v[46:47], v[46:47], -v[48:49]
	s_delay_alu instid0(VALU_DEP_2) | instskip(NEXT) | instid1(TRANS32_DEP_1)
	v_add_f64_e64 v[10:11], v[10:11], -v[54:55]
	v_fma_f64 v[58:59], -v[50:51], v[52:53], 1.0
	s_delay_alu instid0(VALU_DEP_1) | instskip(NEXT) | instid1(VALU_DEP_1)
	v_fmac_f64_e32 v[52:53], v[58:59], v[52:53]
	v_fma_f64 v[42:43], -v[50:51], v[52:53], 1.0
	s_delay_alu instid0(VALU_DEP_1) | instskip(NEXT) | instid1(VALU_DEP_1)
	v_fmac_f64_e32 v[52:53], v[42:43], v[52:53]
	v_mul_f64_e32 v[42:43], v[56:57], v[52:53]
	s_delay_alu instid0(VALU_DEP_1) | instskip(NEXT) | instid1(VALU_DEP_1)
	v_mul_f64_e32 v[58:59], v[50:51], v[42:43]
	v_fma_f64 v[48:49], v[42:43], v[50:51], -v[58:59]
	s_delay_alu instid0(VALU_DEP_1) | instskip(NEXT) | instid1(VALU_DEP_1)
	v_fmac_f64_e32 v[48:49], v[42:43], v[46:47]
	v_add_f64_e32 v[60:61], v[58:59], v[48:49]
	s_delay_alu instid0(VALU_DEP_1) | instskip(SKIP_1) | instid1(VALU_DEP_2)
	v_add_f64_e64 v[62:63], v[56:57], -v[60:61]
	v_add_f64_e64 v[54:55], v[60:61], -v[58:59]
	;; [unrolled: 1-line block ×3, first 2 shown]
	s_delay_alu instid0(VALU_DEP_2) | instskip(NEXT) | instid1(VALU_DEP_2)
	v_add_f64_e64 v[48:49], v[54:55], -v[48:49]
	v_add_f64_e64 v[56:57], v[56:57], -v[60:61]
	s_delay_alu instid0(VALU_DEP_1) | instskip(NEXT) | instid1(VALU_DEP_1)
	v_add_f64_e32 v[10:11], v[10:11], v[56:57]
	v_add_f64_e32 v[10:11], v[48:49], v[10:11]
	s_delay_alu instid0(VALU_DEP_1) | instskip(NEXT) | instid1(VALU_DEP_1)
	v_add_f64_e32 v[48:49], v[62:63], v[10:11]
	v_mul_f64_e32 v[54:55], v[52:53], v[48:49]
	v_add_f64_e64 v[60:61], v[62:63], -v[48:49]
	s_delay_alu instid0(VALU_DEP_2) | instskip(NEXT) | instid1(VALU_DEP_2)
	v_mul_f64_e32 v[56:57], v[50:51], v[54:55]
	v_add_f64_e32 v[10:11], v[10:11], v[60:61]
	s_delay_alu instid0(VALU_DEP_2) | instskip(NEXT) | instid1(VALU_DEP_1)
	v_fma_f64 v[50:51], v[54:55], v[50:51], -v[56:57]
	v_fmac_f64_e32 v[50:51], v[54:55], v[46:47]
	s_delay_alu instid0(VALU_DEP_1) | instskip(NEXT) | instid1(VALU_DEP_1)
	v_add_f64_e32 v[46:47], v[56:57], v[50:51]
	v_add_f64_e64 v[58:59], v[48:49], -v[46:47]
	v_add_f64_e64 v[56:57], v[46:47], -v[56:57]
	s_delay_alu instid0(VALU_DEP_2) | instskip(NEXT) | instid1(VALU_DEP_1)
	v_add_f64_e64 v[48:49], v[48:49], -v[58:59]
	v_add_f64_e64 v[46:47], v[48:49], -v[46:47]
	s_delay_alu instid0(VALU_DEP_3) | instskip(SKIP_1) | instid1(VALU_DEP_3)
	v_add_f64_e64 v[48:49], v[56:57], -v[50:51]
	v_max_num_f64_e64 v[50:51], |v[6:7]|, |v[6:7]|
	v_add_f64_e32 v[10:11], v[10:11], v[46:47]
	v_add_f64_e32 v[46:47], v[42:43], v[54:55]
	s_delay_alu instid0(VALU_DEP_2) | instskip(NEXT) | instid1(VALU_DEP_2)
	v_add_f64_e32 v[10:11], v[48:49], v[10:11]
	v_add_f64_e64 v[42:43], v[46:47], -v[42:43]
	v_max_num_f64_e64 v[48:49], |v[8:9]|, |v[8:9]|
	s_delay_alu instid0(VALU_DEP_3) | instskip(NEXT) | instid1(VALU_DEP_3)
	v_add_f64_e32 v[10:11], v[58:59], v[10:11]
	v_add_f64_e64 v[42:43], v[54:55], -v[42:43]
	s_delay_alu instid0(VALU_DEP_2) | instskip(NEXT) | instid1(VALU_DEP_1)
	v_mul_f64_e32 v[10:11], v[52:53], v[10:11]
	v_add_f64_e32 v[10:11], v[42:43], v[10:11]
	v_max_num_f64_e32 v[42:43], v[50:51], v[48:49]
	v_min_num_f64_e32 v[48:49], v[50:51], v[48:49]
	s_delay_alu instid0(VALU_DEP_3) | instskip(NEXT) | instid1(VALU_DEP_2)
	v_add_f64_e32 v[50:51], v[46:47], v[10:11]
	v_div_scale_f64 v[52:53], null, v[42:43], v[42:43], v[48:49]
	s_delay_alu instid0(VALU_DEP_2) | instskip(SKIP_1) | instid1(VALU_DEP_3)
	v_mul_f64_e32 v[54:55], v[50:51], v[50:51]
	v_add_f64_e64 v[46:47], v[50:51], -v[46:47]
	v_rcp_f64_e32 v[56:57], v[52:53]
	s_delay_alu instid0(VALU_DEP_2) | instskip(SKIP_1) | instid1(VALU_DEP_3)
	v_fmamk_f64 v[58:59], v[54:55], 0x3fc3ab76bf559e2b, v[24:25]
	v_mul_f64_e32 v[60:61], v[50:51], v[54:55]
	v_add_f64_e64 v[10:11], v[10:11], -v[46:47]
	s_delay_alu instid0(VALU_DEP_3) | instskip(NEXT) | instid1(TRANS32_DEP_1)
	v_fmaak_f64 v[58:59], v[54:55], v[58:59], 0x3fc7474dd7f4df2e
	v_fma_f64 v[62:63], -v[52:53], v[56:57], 1.0
	s_delay_alu instid0(VALU_DEP_2) | instskip(NEXT) | instid1(VALU_DEP_1)
	v_fmaak_f64 v[58:59], v[54:55], v[58:59], 0x3fcc71c016291751
	v_fmaak_f64 v[58:59], v[54:55], v[58:59], 0x3fd249249b27acf1
	s_delay_alu instid0(VALU_DEP_1) | instskip(SKIP_1) | instid1(VALU_DEP_2)
	v_fmaak_f64 v[58:59], v[54:55], v[58:59], 0x3fd99999998ef7b6
	v_ldexp_f64 v[10:11], v[10:11], 1
	v_fmaak_f64 v[54:55], v[54:55], v[58:59], 0x3fe5555555555780
	v_ldexp_f64 v[58:59], v[50:51], 1
	v_fmac_f64_e32 v[56:57], v[56:57], v[62:63]
	s_delay_alu instid0(VALU_DEP_3) | instskip(SKIP_2) | instid1(VALU_DEP_1)
	v_mul_f64_e32 v[54:55], v[60:61], v[54:55]
	v_cvt_f64_i32_e32 v[60:61], v12
	v_ashrrev_i32_e32 v12, 31, v7
	v_and_b32_e32 v21, 0x54442d18, v12
	v_fma_f64 v[62:63], -v[52:53], v[56:57], 1.0
	v_add_f64_e32 v[50:51], v[58:59], v[54:55]
	v_mul_f64_e32 v[64:65], 0x3fe62e42fefa39ef, v[60:61]
	s_delay_alu instid0(VALU_DEP_3) | instskip(NEXT) | instid1(VALU_DEP_3)
	v_fmac_f64_e32 v[56:57], v[56:57], v[62:63]
	v_add_f64_e64 v[46:47], v[50:51], -v[58:59]
	v_div_scale_f64 v[58:59], vcc_lo, v[48:49], v[42:43], v[48:49]
	s_delay_alu instid0(VALU_DEP_4) | instskip(NEXT) | instid1(VALU_DEP_3)
	v_fma_f64 v[62:63], v[60:61], s[34:35], -v[64:65]
	v_add_f64_e64 v[46:47], v[54:55], -v[46:47]
	s_delay_alu instid0(VALU_DEP_3) | instskip(NEXT) | instid1(VALU_DEP_3)
	v_mul_f64_e32 v[54:55], v[58:59], v[56:57]
	v_fmac_f64_e32 v[62:63], 0x3c7abc9e3b39803f, v[60:61]
	s_delay_alu instid0(VALU_DEP_3) | instskip(NEXT) | instid1(VALU_DEP_3)
	v_add_f64_e32 v[10:11], v[10:11], v[46:47]
	v_fma_f64 v[46:47], -v[52:53], v[54:55], v[58:59]
	s_delay_alu instid0(VALU_DEP_3) | instskip(NEXT) | instid1(VALU_DEP_3)
	v_add_f64_e32 v[52:53], v[64:65], v[62:63]
	v_add_f64_e32 v[58:59], v[50:51], v[10:11]
	s_delay_alu instid0(VALU_DEP_3) | instskip(SKIP_1) | instid1(VALU_DEP_4)
	v_div_fmas_f64 v[46:47], v[46:47], v[56:57], v[54:55]
	v_cmp_gt_i32_e32 vcc_lo, 0, v7
	v_add_f64_e64 v[56:57], v[52:53], -v[64:65]
	v_and_b32_e32 v7, 0x400921fb, v12
	v_cndmask_b32_e32 v16, 0x54442d18, v68, vcc_lo
	v_cndmask_b32_e32 v6, 0x3fe921fb, v69, vcc_lo
	s_delay_alu instid0(VALU_DEP_1) | instskip(SKIP_4) | instid1(VALU_DEP_4)
	v_bfi_b32 v6, 0x7fffffff, v6, v9
	v_add_f64_e32 v[54:55], v[52:53], v[58:59]
	v_div_fixup_f64 v[42:43], v[46:47], v[42:43], v[48:49]
	v_add_f64_e64 v[50:51], v[58:59], -v[50:51]
	v_add_f64_e64 v[56:57], v[62:63], -v[56:57]
	;; [unrolled: 1-line block ×3, first 2 shown]
	s_delay_alu instid0(VALU_DEP_4) | instskip(NEXT) | instid1(VALU_DEP_4)
	v_mul_f64_e32 v[48:49], v[42:43], v[42:43]
	v_add_f64_e64 v[10:11], v[10:11], -v[50:51]
	s_delay_alu instid0(VALU_DEP_3) | instskip(NEXT) | instid1(VALU_DEP_3)
	v_add_f64_e64 v[60:61], v[54:55], -v[46:47]
	v_fmamk_f64 v[64:65], v[48:49], 0x3eeba404b5e68a13, v[26:27]
	v_add_f64_e64 v[46:47], v[58:59], -v[46:47]
	s_delay_alu instid0(VALU_DEP_4) | instskip(NEXT) | instid1(VALU_DEP_3)
	v_add_f64_e32 v[58:59], v[56:57], v[10:11]
	v_fmaak_f64 v[64:65], v[48:49], v[64:65], 0x3f4b2bb069efb384
	v_add_f64_e64 v[50:51], v[52:53], -v[60:61]
	s_delay_alu instid0(VALU_DEP_2) | instskip(NEXT) | instid1(VALU_DEP_1)
	v_fmaak_f64 v[52:53], v[48:49], v[64:65], 0xbf67952daf56de9b
	v_fmaak_f64 v[52:53], v[48:49], v[52:53], 0x3f7d6d43a595c56f
	s_delay_alu instid0(VALU_DEP_1) | instskip(NEXT) | instid1(VALU_DEP_1)
	v_fmaak_f64 v[52:53], v[48:49], v[52:53], 0xbf8c6ea4a57d9582
	v_fmaak_f64 v[52:53], v[48:49], v[52:53], 0x3f967e295f08b19f
	s_delay_alu instid0(VALU_DEP_1) | instskip(SKIP_1) | instid1(VALU_DEP_2)
	v_fmaak_f64 v[52:53], v[48:49], v[52:53], 0xbf9e9ae6fc27006a
	v_add_f64_e32 v[46:47], v[46:47], v[50:51]
	v_fmaak_f64 v[50:51], v[48:49], v[52:53], 0x3fa2c15b5711927a
	v_add_f64_e64 v[52:53], v[58:59], -v[56:57]
	s_delay_alu instid0(VALU_DEP_2) | instskip(NEXT) | instid1(VALU_DEP_1)
	v_fmaak_f64 v[50:51], v[48:49], v[50:51], 0xbfa59976e82d3ff0
	v_fmaak_f64 v[50:51], v[48:49], v[50:51], 0x3fa82d5d6ef28734
	s_delay_alu instid0(VALU_DEP_1) | instskip(NEXT) | instid1(VALU_DEP_1)
	v_fmaak_f64 v[50:51], v[48:49], v[50:51], 0xbfaae5ce6a214619
	v_fmaak_f64 v[50:51], v[48:49], v[50:51], 0x3fae1bb48427b883
	v_add_f64_e32 v[46:47], v[58:59], v[46:47]
	v_add_f64_e64 v[58:59], v[58:59], -v[52:53]
	v_add_f64_e64 v[10:11], v[10:11], -v[52:53]
	s_delay_alu instid0(VALU_DEP_4) | instskip(NEXT) | instid1(VALU_DEP_1)
	v_fmaak_f64 v[50:51], v[48:49], v[50:51], 0xbfb110e48b207f05
	v_fmaak_f64 v[50:51], v[48:49], v[50:51], 0x3fb3b13657b87036
	s_delay_alu instid0(VALU_DEP_1) | instskip(NEXT) | instid1(VALU_DEP_1)
	v_fmaak_f64 v[50:51], v[48:49], v[50:51], 0xbfb745d119378e4f
	v_fmaak_f64 v[50:51], v[48:49], v[50:51], 0x3fbc71c717e1913c
	v_add_f64_e32 v[60:61], v[54:55], v[46:47]
	s_delay_alu instid0(VALU_DEP_2) | instskip(NEXT) | instid1(VALU_DEP_1)
	v_fmaak_f64 v[50:51], v[48:49], v[50:51], 0xbfc2492492376b7d
	v_fmaak_f64 v[50:51], v[48:49], v[50:51], 0x3fc99999999952cc
	s_delay_alu instid0(VALU_DEP_1) | instskip(NEXT) | instid1(VALU_DEP_1)
	v_fmaak_f64 v[50:51], v[48:49], v[50:51], 0xbfd5555555555523
	v_mul_f64_e32 v[48:49], v[48:49], v[50:51]
	v_add_f64_e64 v[50:51], v[56:57], -v[58:59]
	v_add_f64_e64 v[52:53], v[60:61], -v[54:55]
	s_delay_alu instid0(VALU_DEP_3) | instskip(NEXT) | instid1(VALU_DEP_3)
	v_fmac_f64_e32 v[42:43], v[42:43], v[48:49]
	v_add_f64_e32 v[10:11], v[10:11], v[50:51]
	s_delay_alu instid0(VALU_DEP_3) | instskip(NEXT) | instid1(VALU_DEP_3)
	v_add_f64_e64 v[46:47], v[46:47], -v[52:53]
	v_add_f64_e64 v[48:49], -v[42:43], s[40:41]
	s_delay_alu instid0(VALU_DEP_2) | instskip(NEXT) | instid1(VALU_DEP_2)
	v_add_f64_e32 v[10:11], v[10:11], v[46:47]
	v_dual_cndmask_b32 v43, v43, v49, s6 :: v_dual_cndmask_b32 v42, v42, v48, s6
                                        ; implicit-def: $vgpr48_vgpr49
	s_delay_alu instid0(VALU_DEP_1) | instskip(NEXT) | instid1(VALU_DEP_3)
	v_add_f64_e64 v[46:47], -v[42:43], s[42:43]
	v_add_f64_e32 v[10:11], v[60:61], v[10:11]
	s_delay_alu instid0(VALU_DEP_2) | instskip(SKIP_1) | instid1(VALU_DEP_3)
	v_dual_cndmask_b32 v42, v42, v46, vcc_lo :: v_dual_cndmask_b32 v12, v43, v47, vcc_lo
	v_cmp_ngt_f64_e32 vcc_lo, -1.0, v[44:45]
	v_mul_f64_e32 v[10:11], 0.5, v[10:11]
                                        ; implicit-def: $vgpr46_vgpr47
	s_delay_alu instid0(VALU_DEP_3)
	v_dual_cndmask_b32 v21, v42, v21, s7 :: v_dual_cndmask_b32 v7, v12, v7, s7
	s_and_b32 s7, s8, s9
	s_delay_alu instid0(VALU_DEP_2) | instid1(SALU_CYCLE_1)
	v_cndmask_b32_e64 v10, 0, v10, s7
	v_cmp_neq_f64_e64 s7, -1.0, v[44:45]
	s_delay_alu instid0(VALU_DEP_4) | instskip(NEXT) | instid1(VALU_DEP_1)
	v_cndmask_b32_e64 v11, 0x7ff00000, v11, s9
	v_cndmask_b32_e32 v11, 0x7ff80000, v11, vcc_lo
	s_and_b32 vcc_lo, s11, s12
	v_dual_cndmask_b32 v43, v7, v6 :: v_dual_cndmask_b32 v42, v21, v16
	s_delay_alu instid0(VALU_DEP_2)
	v_cndmask_b32_e64 v11, 0xfff00000, v11, s7
.LBB185_86:                             ;   in Loop: Header=BB185_4 Depth=1
	s_and_not1_saveexec_b32 s58, s10
	s_cbranch_execz .LBB185_94
; %bb.87:                               ;   in Loop: Header=BB185_4 Depth=1
	v_mul_f64_e32 v[44:45], v[46:47], v[46:47]
                                        ; implicit-def: $vgpr10_vgpr11
                                        ; implicit-def: $vgpr42_vgpr43
	s_mov_b32 s7, exec_lo
	s_delay_alu instid0(VALU_DEP_1) | instskip(NEXT) | instid1(VALU_DEP_1)
	v_fmac_f64_e32 v[44:45], v[48:49], v[48:49]
	v_cmpx_ge_f64_e32 s[44:45], v[44:45]
	s_xor_b32 s9, exec_lo, s7
	s_cbranch_execz .LBB185_89
; %bb.88:                               ;   in Loop: Header=BB185_4 Depth=1
	v_frexp_mant_f64_e32 v[10:11], v[44:45]
	v_cmp_eq_f64_e64 s7, 0, v[8:9]
	v_cmp_neq_f64_e64 s8, 0, v[44:45]
	v_cmp_class_f64_e64 s10, v[8:9], 0x204
	v_cmp_class_f64_e64 s11, v[6:7], 0x204
	v_cmp_gt_f64_e32 vcc_lo, s[30:31], v[10:11]
	v_cndmask_b32_e64 v12, 0, 1, vcc_lo
	s_delay_alu instid0(VALU_DEP_1) | instskip(SKIP_1) | instid1(VALU_DEP_2)
	v_ldexp_f64 v[10:11], v[10:11], v12
	v_frexp_exp_i32_f64_e32 v12, v[44:45]
	v_add_f64_e32 v[42:43], 1.0, v[10:11]
	v_add_f64_e32 v[50:51], -1.0, v[10:11]
	s_delay_alu instid0(VALU_DEP_3) | instskip(NEXT) | instid1(VALU_DEP_3)
	v_subrev_co_ci_u32_e64 v12, null, 0, v12, vcc_lo
	v_rcp_f64_e32 v[46:47], v[42:43]
	v_add_f64_e32 v[52:53], -1.0, v[42:43]
	s_delay_alu instid0(VALU_DEP_1) | instskip(NEXT) | instid1(TRANS32_DEP_1)
	v_add_f64_e64 v[10:11], v[10:11], -v[52:53]
	v_fma_f64 v[48:49], -v[42:43], v[46:47], 1.0
	s_delay_alu instid0(VALU_DEP_1) | instskip(NEXT) | instid1(VALU_DEP_1)
	v_fmac_f64_e32 v[46:47], v[48:49], v[46:47]
	v_fma_f64 v[48:49], -v[42:43], v[46:47], 1.0
	s_delay_alu instid0(VALU_DEP_1) | instskip(NEXT) | instid1(VALU_DEP_1)
	v_fmac_f64_e32 v[46:47], v[48:49], v[46:47]
	v_mul_f64_e32 v[48:49], v[50:51], v[46:47]
	s_delay_alu instid0(VALU_DEP_1) | instskip(NEXT) | instid1(VALU_DEP_1)
	v_mul_f64_e32 v[54:55], v[42:43], v[48:49]
	v_fma_f64 v[42:43], v[48:49], v[42:43], -v[54:55]
	s_delay_alu instid0(VALU_DEP_1) | instskip(NEXT) | instid1(VALU_DEP_1)
	v_fmac_f64_e32 v[42:43], v[48:49], v[10:11]
	v_add_f64_e32 v[10:11], v[54:55], v[42:43]
	s_delay_alu instid0(VALU_DEP_1) | instskip(SKIP_1) | instid1(VALU_DEP_2)
	v_add_f64_e64 v[52:53], v[50:51], -v[10:11]
	v_add_f64_e64 v[54:55], v[10:11], -v[54:55]
	;; [unrolled: 1-line block ×3, first 2 shown]
	s_delay_alu instid0(VALU_DEP_2) | instskip(NEXT) | instid1(VALU_DEP_2)
	v_add_f64_e64 v[42:43], v[54:55], -v[42:43]
	v_add_f64_e64 v[10:11], v[50:51], -v[10:11]
	v_max_num_f64_e64 v[50:51], |v[6:7]|, |v[6:7]|
	s_delay_alu instid0(VALU_DEP_2) | instskip(SKIP_1) | instid1(VALU_DEP_2)
	v_add_f64_e32 v[10:11], v[42:43], v[10:11]
	v_max_num_f64_e64 v[42:43], |v[8:9]|, |v[8:9]|
	v_add_f64_e32 v[10:11], v[52:53], v[10:11]
	s_delay_alu instid0(VALU_DEP_1) | instskip(NEXT) | instid1(VALU_DEP_3)
	v_mul_f64_e32 v[10:11], v[46:47], v[10:11]
	v_max_num_f64_e32 v[46:47], v[50:51], v[42:43]
	v_min_num_f64_e32 v[42:43], v[50:51], v[42:43]
	s_delay_alu instid0(VALU_DEP_3) | instskip(NEXT) | instid1(VALU_DEP_2)
	v_add_f64_e32 v[50:51], v[48:49], v[10:11]
	v_div_scale_f64 v[52:53], null, v[46:47], v[46:47], v[42:43]
	s_delay_alu instid0(VALU_DEP_2) | instskip(SKIP_1) | instid1(VALU_DEP_3)
	v_mul_f64_e32 v[54:55], v[50:51], v[50:51]
	v_add_f64_e64 v[48:49], v[50:51], -v[48:49]
	v_rcp_f64_e32 v[56:57], v[52:53]
	s_delay_alu instid0(VALU_DEP_2) | instskip(SKIP_1) | instid1(VALU_DEP_3)
	v_fmamk_f64 v[58:59], v[54:55], 0x3fc3ab76bf559e2b, v[24:25]
	v_mul_f64_e32 v[60:61], v[50:51], v[54:55]
	v_add_f64_e64 v[10:11], v[10:11], -v[48:49]
	s_delay_alu instid0(VALU_DEP_3) | instskip(NEXT) | instid1(TRANS32_DEP_1)
	v_fmaak_f64 v[58:59], v[54:55], v[58:59], 0x3fc7474dd7f4df2e
	v_fma_f64 v[62:63], -v[52:53], v[56:57], 1.0
	s_delay_alu instid0(VALU_DEP_2) | instskip(NEXT) | instid1(VALU_DEP_1)
	v_fmaak_f64 v[58:59], v[54:55], v[58:59], 0x3fcc71c016291751
	v_fmaak_f64 v[58:59], v[54:55], v[58:59], 0x3fd249249b27acf1
	s_delay_alu instid0(VALU_DEP_1) | instskip(SKIP_1) | instid1(VALU_DEP_2)
	v_fmaak_f64 v[58:59], v[54:55], v[58:59], 0x3fd99999998ef7b6
	v_ldexp_f64 v[10:11], v[10:11], 1
	v_fmaak_f64 v[54:55], v[54:55], v[58:59], 0x3fe5555555555780
	v_ldexp_f64 v[58:59], v[50:51], 1
	v_fmac_f64_e32 v[56:57], v[56:57], v[62:63]
	s_delay_alu instid0(VALU_DEP_3) | instskip(SKIP_2) | instid1(VALU_DEP_1)
	v_mul_f64_e32 v[54:55], v[60:61], v[54:55]
	v_cvt_f64_i32_e32 v[60:61], v12
	v_ashrrev_i32_e32 v12, 31, v7
	v_and_b32_e32 v21, 0x54442d18, v12
	v_fma_f64 v[62:63], -v[52:53], v[56:57], 1.0
	v_add_f64_e32 v[50:51], v[58:59], v[54:55]
	v_mul_f64_e32 v[64:65], 0x3fe62e42fefa39ef, v[60:61]
	s_delay_alu instid0(VALU_DEP_3) | instskip(NEXT) | instid1(VALU_DEP_3)
	v_fmac_f64_e32 v[56:57], v[56:57], v[62:63]
	v_add_f64_e64 v[48:49], v[50:51], -v[58:59]
	v_div_scale_f64 v[58:59], vcc_lo, v[42:43], v[46:47], v[42:43]
	s_delay_alu instid0(VALU_DEP_4) | instskip(NEXT) | instid1(VALU_DEP_3)
	v_fma_f64 v[62:63], v[60:61], s[34:35], -v[64:65]
	v_add_f64_e64 v[48:49], v[54:55], -v[48:49]
	s_delay_alu instid0(VALU_DEP_3) | instskip(NEXT) | instid1(VALU_DEP_3)
	v_mul_f64_e32 v[54:55], v[58:59], v[56:57]
	v_fmac_f64_e32 v[62:63], 0x3c7abc9e3b39803f, v[60:61]
	s_delay_alu instid0(VALU_DEP_3) | instskip(NEXT) | instid1(VALU_DEP_3)
	v_add_f64_e32 v[10:11], v[10:11], v[48:49]
	v_fma_f64 v[48:49], -v[52:53], v[54:55], v[58:59]
	s_delay_alu instid0(VALU_DEP_3) | instskip(NEXT) | instid1(VALU_DEP_3)
	v_add_f64_e32 v[52:53], v[64:65], v[62:63]
	v_add_f64_e32 v[58:59], v[50:51], v[10:11]
	s_delay_alu instid0(VALU_DEP_3) | instskip(SKIP_1) | instid1(VALU_DEP_4)
	v_div_fmas_f64 v[48:49], v[48:49], v[56:57], v[54:55]
	v_cmp_gt_i32_e32 vcc_lo, 0, v7
	v_add_f64_e64 v[56:57], v[52:53], -v[64:65]
	v_cndmask_b32_e32 v16, 0x54442d18, v68, vcc_lo
	v_add_f64_e32 v[54:55], v[52:53], v[58:59]
	v_div_fixup_f64 v[42:43], v[48:49], v[46:47], v[42:43]
	v_add_f64_e64 v[50:51], v[58:59], -v[50:51]
	v_add_f64_e64 v[56:57], v[62:63], -v[56:57]
	s_delay_alu instid0(VALU_DEP_4) | instskip(NEXT) | instid1(VALU_DEP_4)
	v_add_f64_e64 v[46:47], v[54:55], -v[52:53]
	v_mul_f64_e32 v[48:49], v[42:43], v[42:43]
	s_delay_alu instid0(VALU_DEP_4) | instskip(NEXT) | instid1(VALU_DEP_3)
	v_add_f64_e64 v[10:11], v[10:11], -v[50:51]
	v_add_f64_e64 v[60:61], v[54:55], -v[46:47]
	s_delay_alu instid0(VALU_DEP_3) | instskip(SKIP_1) | instid1(VALU_DEP_4)
	v_fmamk_f64 v[64:65], v[48:49], 0x3eeba404b5e68a13, v[26:27]
	v_add_f64_e64 v[46:47], v[58:59], -v[46:47]
	v_add_f64_e32 v[58:59], v[56:57], v[10:11]
	s_delay_alu instid0(VALU_DEP_3) | instskip(NEXT) | instid1(VALU_DEP_1)
	v_fmaak_f64 v[64:65], v[48:49], v[64:65], 0x3f4b2bb069efb384
	v_fmaak_f64 v[64:65], v[48:49], v[64:65], 0xbf67952daf56de9b
	v_add_f64_e64 v[50:51], v[52:53], -v[60:61]
	s_delay_alu instid0(VALU_DEP_2) | instskip(NEXT) | instid1(VALU_DEP_1)
	v_fmaak_f64 v[52:53], v[48:49], v[64:65], 0x3f7d6d43a595c56f
	v_fmaak_f64 v[52:53], v[48:49], v[52:53], 0xbf8c6ea4a57d9582
	s_delay_alu instid0(VALU_DEP_1) | instskip(NEXT) | instid1(VALU_DEP_1)
	v_fmaak_f64 v[52:53], v[48:49], v[52:53], 0x3f967e295f08b19f
	v_fmaak_f64 v[52:53], v[48:49], v[52:53], 0xbf9e9ae6fc27006a
	s_delay_alu instid0(VALU_DEP_1) | instskip(SKIP_1) | instid1(VALU_DEP_2)
	v_fmaak_f64 v[52:53], v[48:49], v[52:53], 0x3fa2c15b5711927a
	v_add_f64_e32 v[46:47], v[46:47], v[50:51]
	v_fmaak_f64 v[50:51], v[48:49], v[52:53], 0xbfa59976e82d3ff0
	v_add_f64_e64 v[52:53], v[58:59], -v[56:57]
	s_delay_alu instid0(VALU_DEP_2) | instskip(NEXT) | instid1(VALU_DEP_1)
	v_fmaak_f64 v[50:51], v[48:49], v[50:51], 0x3fa82d5d6ef28734
	v_fmaak_f64 v[50:51], v[48:49], v[50:51], 0xbfaae5ce6a214619
	s_delay_alu instid0(VALU_DEP_1) | instskip(NEXT) | instid1(VALU_DEP_1)
	v_fmaak_f64 v[50:51], v[48:49], v[50:51], 0x3fae1bb48427b883
	v_fmaak_f64 v[50:51], v[48:49], v[50:51], 0xbfb110e48b207f05
	v_add_f64_e32 v[46:47], v[58:59], v[46:47]
	v_add_f64_e64 v[58:59], v[58:59], -v[52:53]
	v_add_f64_e64 v[10:11], v[10:11], -v[52:53]
	s_delay_alu instid0(VALU_DEP_4) | instskip(NEXT) | instid1(VALU_DEP_1)
	v_fmaak_f64 v[50:51], v[48:49], v[50:51], 0x3fb3b13657b87036
	v_fmaak_f64 v[50:51], v[48:49], v[50:51], 0xbfb745d119378e4f
	s_delay_alu instid0(VALU_DEP_1) | instskip(NEXT) | instid1(VALU_DEP_1)
	v_fmaak_f64 v[50:51], v[48:49], v[50:51], 0x3fbc71c717e1913c
	v_fmaak_f64 v[50:51], v[48:49], v[50:51], 0xbfc2492492376b7d
	v_add_f64_e32 v[60:61], v[54:55], v[46:47]
	s_delay_alu instid0(VALU_DEP_2) | instskip(NEXT) | instid1(VALU_DEP_1)
	v_fmaak_f64 v[50:51], v[48:49], v[50:51], 0x3fc99999999952cc
	v_fmaak_f64 v[50:51], v[48:49], v[50:51], 0xbfd5555555555523
	s_delay_alu instid0(VALU_DEP_1) | instskip(SKIP_2) | instid1(VALU_DEP_3)
	v_mul_f64_e32 v[48:49], v[48:49], v[50:51]
	v_add_f64_e64 v[50:51], v[56:57], -v[58:59]
	v_add_f64_e64 v[52:53], v[60:61], -v[54:55]
	v_fmac_f64_e32 v[42:43], v[42:43], v[48:49]
	s_delay_alu instid0(VALU_DEP_3) | instskip(NEXT) | instid1(VALU_DEP_3)
	v_add_f64_e32 v[10:11], v[10:11], v[50:51]
	v_add_f64_e64 v[46:47], v[46:47], -v[52:53]
	s_delay_alu instid0(VALU_DEP_3) | instskip(NEXT) | instid1(VALU_DEP_2)
	v_add_f64_e64 v[48:49], -v[42:43], s[40:41]
	v_add_f64_e32 v[10:11], v[10:11], v[46:47]
	s_delay_alu instid0(VALU_DEP_2) | instskip(NEXT) | instid1(VALU_DEP_1)
	v_dual_cndmask_b32 v43, v43, v49, s6 :: v_dual_cndmask_b32 v42, v42, v48, s6
                                        ; implicit-def: $vgpr48_vgpr49
	v_add_f64_e64 v[46:47], -v[42:43], s[42:43]
	s_delay_alu instid0(VALU_DEP_3) | instskip(NEXT) | instid1(VALU_DEP_2)
	v_add_f64_e32 v[10:11], v[60:61], v[10:11]
	v_cndmask_b32_e32 v42, v42, v46, vcc_lo
	s_delay_alu instid0(VALU_DEP_1) | instskip(SKIP_4) | instid1(VALU_DEP_3)
	v_dual_mul_f64 v[6:7], 0.5, v[10:11] :: v_dual_cndmask_b32 v21, v42, v21, s7
	v_cndmask_b32_e32 v10, 0x3fe921fb, v69, vcc_lo
	v_and_b32_e32 v11, 0x400921fb, v12
	v_cndmask_b32_e32 v12, v43, v47, vcc_lo
	s_and_b32 vcc_lo, s10, s11
                                        ; implicit-def: $vgpr46_vgpr47
	v_bfi_b32 v10, 0x7fffffff, v10, v9
	s_delay_alu instid0(VALU_DEP_2) | instskip(NEXT) | instid1(VALU_DEP_1)
	v_dual_cndmask_b32 v42, v21, v16, vcc_lo :: v_dual_cndmask_b32 v11, v12, v11, s7
	v_cndmask_b32_e32 v43, v11, v10, vcc_lo
	v_cndmask_b32_e64 v11, 0xfff00000, v7, s8
	v_cndmask_b32_e64 v10, 0, v6, s8
.LBB185_89:                             ;   in Loop: Header=BB185_4 Depth=1
	s_and_not1_saveexec_b32 s59, s9
	s_cbranch_execz .LBB185_93
; %bb.90:                               ;   in Loop: Header=BB185_4 Depth=1
	v_and_b32_e32 v21, 0x7ffffff8, v49
	v_and_b32_e32 v43, 0x7ffffff8, v47
	v_mov_b32_e32 v42, v20
	s_mov_b32 s60, 0
	v_mov_b32_e32 v50, v20
	v_add_f64_e64 v[10:11], v[48:49], -v[20:21]
	s_delay_alu instid0(VALU_DEP_3)
	v_dual_add_f64 v[44:45], v[46:47], -v[42:43] :: v_dual_mov_b32 v48, v20
	v_add_f64_e32 v[52:53], v[20:21], v[20:21]
	v_mul_f64_e32 v[46:47], v[42:43], v[42:43]
	v_add_f64_e32 v[60:61], v[42:43], v[42:43]
	v_and_b32_e32 v49, -8, v11
	v_and_b32_e32 v51, -8, v45
	s_delay_alu instid0(VALU_DEP_2) | instskip(SKIP_1) | instid1(VALU_DEP_3)
	v_add_f64_e64 v[62:63], v[10:11], -v[48:49]
	v_add_f64_e32 v[66:67], v[48:49], v[48:49]
	v_add_f64_e64 v[64:65], v[44:45], -v[50:51]
	v_add_f64_e32 v[70:71], v[50:51], v[50:51]
	v_mul_f64_e32 v[10:11], v[20:21], v[20:21]
	v_mul_f64_e32 v[58:59], v[52:53], v[48:49]
	v_mul_f64_e32 v[56:57], v[48:49], v[48:49]
	v_mul_f64_e32 v[42:43], v[50:51], v[50:51]
	v_mul_f64_e32 v[44:45], v[60:61], v[50:51]
	v_mul_f64_e32 v[54:55], v[52:53], v[62:63]
	v_mul_f64_e32 v[50:51], v[66:67], v[62:63]
	v_mul_f64_e32 v[52:53], v[60:61], v[64:65]
	v_mul_f64_e32 v[48:49], v[70:71], v[64:65]
	v_mul_f64_e32 v[60:61], v[62:63], v[62:63]
	v_mul_f64_e32 v[62:63], v[64:65], v[64:65]
.LBB185_91:                             ;   Parent Loop BB185_4 Depth=1
                                        ; =>  This Inner Loop Header: Depth=2
	v_cmp_nlt_f64_e32 vcc_lo, v[10:11], v[46:47]
	v_dual_cndmask_b32 v65, v11, v47 :: v_dual_cndmask_b32 v64, v10, v46
	v_dual_cndmask_b32 v11, v47, v11 :: v_dual_cndmask_b32 v10, v46, v10
	s_delay_alu instid0(VALU_DEP_2) | instskip(NEXT) | instid1(VALU_DEP_1)
	v_cmp_nlt_f64_e64 s7, v[64:65], v[58:59]
	v_dual_cndmask_b32 v67, v65, v59, s7 :: v_dual_cndmask_b32 v66, v64, v58, s7
	v_dual_cndmask_b32 v47, v59, v65, s7 :: v_dual_cndmask_b32 v46, v58, v64, s7
	s_and_b32 s7, vcc_lo, s7
	s_delay_alu instid0(VALU_DEP_2) | instskip(NEXT) | instid1(VALU_DEP_1)
	v_cmp_nlt_f64_e64 s8, v[66:67], v[44:45]
	v_dual_cndmask_b32 v71, v67, v45, s8 :: v_dual_cndmask_b32 v70, v66, v44, s8
	v_dual_cndmask_b32 v59, v45, v67, s8 :: v_dual_cndmask_b32 v58, v44, v66, s8
	s_delay_alu instid0(VALU_DEP_2) | instskip(NEXT) | instid1(VALU_DEP_1)
	v_cmp_nlt_f64_e64 s9, v[70:71], v[56:57]
	v_dual_cndmask_b32 v73, v71, v57, s9 :: v_dual_cndmask_b32 v72, v70, v56, s9
	v_dual_cndmask_b32 v45, v57, v71, s9 :: v_dual_cndmask_b32 v44, v56, v70, s9
	s_and_b32 s8, s8, s9
	s_delay_alu instid0(VALU_DEP_2) | instskip(NEXT) | instid1(VALU_DEP_1)
	v_cmp_nlt_f64_e64 s10, v[72:73], v[42:43]
	v_dual_cndmask_b32 v75, v73, v43, s10 :: v_dual_cndmask_b32 v74, v72, v42, s10
	v_dual_cndmask_b32 v57, v43, v73, s10 :: v_dual_cndmask_b32 v56, v42, v72, s10
	s_delay_alu instid0(VALU_DEP_2) | instskip(NEXT) | instid1(VALU_DEP_1)
	v_cmp_nlt_f64_e64 s11, v[74:75], v[54:55]
	v_dual_cndmask_b32 v77, v75, v55, s11 :: v_dual_cndmask_b32 v76, v74, v54, s11
	s_and_b32 s9, s10, s11
	v_dual_cndmask_b32 v43, v55, v75, s11 :: v_dual_cndmask_b32 v42, v54, v74, s11
	s_delay_alu instid0(VALU_DEP_2) | instskip(NEXT) | instid1(VALU_DEP_1)
	v_cmp_nlt_f64_e64 s12, v[76:77], v[52:53]
	v_dual_cndmask_b32 v79, v77, v53, s12 :: v_dual_cndmask_b32 v78, v76, v52, s12
	s_and_b32 s9, s9, s12
	;; [unrolled: 5-line block ×6, first 2 shown]
	v_dual_cndmask_b32 v61, v63, v85, s16 :: v_dual_cndmask_b32 v60, v62, v84, s16
	s_and_b32 s8, s9, s8
	s_delay_alu instid0(VALU_DEP_2) | instskip(SKIP_1) | instid1(SALU_CYCLE_1)
	v_mov_b64_e32 v[62:63], v[64:65]
	s_and_b32 s7, s8, s7
	s_and_b32 s7, exec_lo, s7
	s_delay_alu instid0(SALU_CYCLE_1) | instskip(NEXT) | instid1(SALU_CYCLE_1)
	s_or_b32 s60, s7, s60
	s_and_not1_b32 exec_lo, exec_lo, s60
	s_cbranch_execnz .LBB185_91
; %bb.92:                               ;   in Loop: Header=BB185_4 Depth=1
	s_or_b32 exec_lo, exec_lo, s60
	v_add_f64_e32 v[10:11], -1.0, v[10:11]
	v_cmp_eq_f64_e64 s7, 0, v[8:9]
	v_cmp_class_f64_e64 s11, v[6:7], 0x204
	v_cmp_class_f64_e64 s10, v[8:9], 0x204
	s_delay_alu instid0(VALU_DEP_4) | instskip(NEXT) | instid1(VALU_DEP_1)
	v_add_f64_e32 v[10:11], v[10:11], v[46:47]
	v_add_f64_e32 v[10:11], v[10:11], v[58:59]
	s_delay_alu instid0(VALU_DEP_1) | instskip(NEXT) | instid1(VALU_DEP_1)
	v_add_f64_e32 v[10:11], v[10:11], v[44:45]
	v_add_f64_e32 v[10:11], v[10:11], v[56:57]
	s_delay_alu instid0(VALU_DEP_1) | instskip(NEXT) | instid1(VALU_DEP_1)
	;; [unrolled: 3-line block ×5, first 2 shown]
	v_add_f64_e32 v[44:45], v[64:65], v[10:11]
	v_add_f64_e32 v[10:11], 1.0, v[44:45]
	s_delay_alu instid0(VALU_DEP_1) | instskip(SKIP_2) | instid1(VALU_DEP_3)
	v_frexp_mant_f64_e32 v[42:43], v[10:11]
	v_frexp_exp_i32_f64_e32 v12, v[10:11]
	v_add_f64_e32 v[46:47], -1.0, v[10:11]
	v_cmp_gt_f64_e32 vcc_lo, s[30:31], v[42:43]
	s_delay_alu instid0(VALU_DEP_2) | instskip(SKIP_2) | instid1(VALU_DEP_1)
	v_add_f64_e64 v[42:43], v[46:47], -v[10:11]
	v_add_f64_e64 v[46:47], v[44:45], -v[46:47]
	v_subrev_co_ci_u32_e64 v12, null, 0, v12, vcc_lo
	v_dual_add_f64 v[42:43], 1.0, v[42:43] :: v_dual_sub_nc_u32 v16, 0, v12
	s_delay_alu instid0(VALU_DEP_1) | instskip(NEXT) | instid1(VALU_DEP_2)
	v_ldexp_f64 v[10:11], v[10:11], v16
	v_add_f64_e32 v[42:43], v[46:47], v[42:43]
	s_delay_alu instid0(VALU_DEP_2) | instskip(SKIP_1) | instid1(VALU_DEP_3)
	v_add_f64_e32 v[48:49], 1.0, v[10:11]
	v_add_f64_e32 v[54:55], -1.0, v[10:11]
	v_ldexp_f64 v[42:43], v[42:43], v16
	s_delay_alu instid0(VALU_DEP_3) | instskip(NEXT) | instid1(VALU_DEP_3)
	v_add_f64_e32 v[46:47], -1.0, v[48:49]
	v_add_f64_e32 v[56:57], 1.0, v[54:55]
	s_delay_alu instid0(VALU_DEP_2) | instskip(NEXT) | instid1(VALU_DEP_2)
	v_add_f64_e64 v[46:47], v[10:11], -v[46:47]
	v_add_f64_e64 v[10:11], v[10:11], -v[56:57]
	s_delay_alu instid0(VALU_DEP_2) | instskip(NEXT) | instid1(VALU_DEP_2)
	v_add_f64_e32 v[46:47], v[42:43], v[46:47]
	v_add_f64_e32 v[10:11], v[42:43], v[10:11]
	s_delay_alu instid0(VALU_DEP_2) | instskip(NEXT) | instid1(VALU_DEP_2)
	v_add_f64_e32 v[50:51], v[48:49], v[46:47]
	v_add_f64_e32 v[56:57], v[54:55], v[10:11]
	s_delay_alu instid0(VALU_DEP_2) | instskip(SKIP_1) | instid1(VALU_DEP_2)
	v_rcp_f64_e32 v[52:53], v[50:51]
	v_add_f64_e64 v[48:49], v[50:51], -v[48:49]
	v_add_f64_e64 v[54:55], v[56:57], -v[54:55]
	s_delay_alu instid0(VALU_DEP_2) | instskip(NEXT) | instid1(VALU_DEP_2)
	v_add_f64_e64 v[46:47], v[46:47], -v[48:49]
	v_add_f64_e64 v[10:11], v[10:11], -v[54:55]
	s_delay_alu instid0(TRANS32_DEP_1) | instskip(NEXT) | instid1(VALU_DEP_1)
	v_fma_f64 v[58:59], -v[50:51], v[52:53], 1.0
	v_fmac_f64_e32 v[52:53], v[58:59], v[52:53]
	s_delay_alu instid0(VALU_DEP_1) | instskip(NEXT) | instid1(VALU_DEP_1)
	v_fma_f64 v[42:43], -v[50:51], v[52:53], 1.0
	v_fmac_f64_e32 v[52:53], v[42:43], v[52:53]
	s_delay_alu instid0(VALU_DEP_1) | instskip(NEXT) | instid1(VALU_DEP_1)
	v_mul_f64_e32 v[42:43], v[56:57], v[52:53]
	v_mul_f64_e32 v[58:59], v[50:51], v[42:43]
	s_delay_alu instid0(VALU_DEP_1) | instskip(NEXT) | instid1(VALU_DEP_1)
	v_fma_f64 v[48:49], v[42:43], v[50:51], -v[58:59]
	v_fmac_f64_e32 v[48:49], v[42:43], v[46:47]
	s_delay_alu instid0(VALU_DEP_1) | instskip(NEXT) | instid1(VALU_DEP_1)
	v_add_f64_e32 v[60:61], v[58:59], v[48:49]
	v_add_f64_e64 v[62:63], v[56:57], -v[60:61]
	v_add_f64_e64 v[54:55], v[60:61], -v[58:59]
	s_delay_alu instid0(VALU_DEP_2) | instskip(NEXT) | instid1(VALU_DEP_2)
	v_add_f64_e64 v[56:57], v[56:57], -v[62:63]
	v_add_f64_e64 v[48:49], v[54:55], -v[48:49]
	s_delay_alu instid0(VALU_DEP_2) | instskip(NEXT) | instid1(VALU_DEP_1)
	v_add_f64_e64 v[56:57], v[56:57], -v[60:61]
	v_add_f64_e32 v[10:11], v[10:11], v[56:57]
	s_delay_alu instid0(VALU_DEP_1) | instskip(NEXT) | instid1(VALU_DEP_1)
	v_add_f64_e32 v[10:11], v[48:49], v[10:11]
	v_add_f64_e32 v[48:49], v[62:63], v[10:11]
	s_delay_alu instid0(VALU_DEP_1) | instskip(SKIP_1) | instid1(VALU_DEP_2)
	v_mul_f64_e32 v[54:55], v[52:53], v[48:49]
	v_add_f64_e64 v[60:61], v[62:63], -v[48:49]
	v_mul_f64_e32 v[56:57], v[50:51], v[54:55]
	s_delay_alu instid0(VALU_DEP_2) | instskip(NEXT) | instid1(VALU_DEP_2)
	v_add_f64_e32 v[10:11], v[10:11], v[60:61]
	v_fma_f64 v[50:51], v[54:55], v[50:51], -v[56:57]
	s_delay_alu instid0(VALU_DEP_1) | instskip(NEXT) | instid1(VALU_DEP_1)
	v_fmac_f64_e32 v[50:51], v[54:55], v[46:47]
	v_add_f64_e32 v[46:47], v[56:57], v[50:51]
	s_delay_alu instid0(VALU_DEP_1) | instskip(SKIP_1) | instid1(VALU_DEP_2)
	v_add_f64_e64 v[58:59], v[48:49], -v[46:47]
	v_add_f64_e64 v[56:57], v[46:47], -v[56:57]
	;; [unrolled: 1-line block ×3, first 2 shown]
	s_delay_alu instid0(VALU_DEP_1) | instskip(NEXT) | instid1(VALU_DEP_3)
	v_add_f64_e64 v[46:47], v[48:49], -v[46:47]
	v_add_f64_e64 v[48:49], v[56:57], -v[50:51]
	v_max_num_f64_e64 v[50:51], |v[6:7]|, |v[6:7]|
	s_delay_alu instid0(VALU_DEP_3) | instskip(SKIP_1) | instid1(VALU_DEP_2)
	v_add_f64_e32 v[10:11], v[10:11], v[46:47]
	v_add_f64_e32 v[46:47], v[42:43], v[54:55]
	;; [unrolled: 1-line block ×3, first 2 shown]
	s_delay_alu instid0(VALU_DEP_2) | instskip(SKIP_1) | instid1(VALU_DEP_3)
	v_add_f64_e64 v[42:43], v[46:47], -v[42:43]
	v_max_num_f64_e64 v[48:49], |v[8:9]|, |v[8:9]|
	v_add_f64_e32 v[10:11], v[58:59], v[10:11]
	s_delay_alu instid0(VALU_DEP_3) | instskip(NEXT) | instid1(VALU_DEP_2)
	v_add_f64_e64 v[42:43], v[54:55], -v[42:43]
	v_mul_f64_e32 v[10:11], v[52:53], v[10:11]
	s_delay_alu instid0(VALU_DEP_1) | instskip(SKIP_2) | instid1(VALU_DEP_3)
	v_add_f64_e32 v[10:11], v[42:43], v[10:11]
	v_max_num_f64_e32 v[42:43], v[50:51], v[48:49]
	v_min_num_f64_e32 v[48:49], v[50:51], v[48:49]
	v_add_f64_e32 v[50:51], v[46:47], v[10:11]
	s_delay_alu instid0(VALU_DEP_2) | instskip(NEXT) | instid1(VALU_DEP_2)
	v_div_scale_f64 v[52:53], null, v[42:43], v[42:43], v[48:49]
	v_mul_f64_e32 v[54:55], v[50:51], v[50:51]
	v_add_f64_e64 v[46:47], v[50:51], -v[46:47]
	s_delay_alu instid0(VALU_DEP_3) | instskip(NEXT) | instid1(VALU_DEP_2)
	v_rcp_f64_e32 v[56:57], v[52:53]
	v_fmamk_f64 v[58:59], v[54:55], 0x3fc3ab76bf559e2b, v[24:25]
	v_mul_f64_e32 v[60:61], v[50:51], v[54:55]
	s_delay_alu instid0(VALU_DEP_3) | instskip(NEXT) | instid1(VALU_DEP_3)
	v_add_f64_e64 v[10:11], v[10:11], -v[46:47]
	v_fmaak_f64 v[58:59], v[54:55], v[58:59], 0x3fc7474dd7f4df2e
	s_delay_alu instid0(TRANS32_DEP_1) | instskip(NEXT) | instid1(VALU_DEP_2)
	v_fma_f64 v[62:63], -v[52:53], v[56:57], 1.0
	v_fmaak_f64 v[58:59], v[54:55], v[58:59], 0x3fcc71c016291751
	s_delay_alu instid0(VALU_DEP_1) | instskip(NEXT) | instid1(VALU_DEP_1)
	v_fmaak_f64 v[58:59], v[54:55], v[58:59], 0x3fd249249b27acf1
	v_fmaak_f64 v[58:59], v[54:55], v[58:59], 0x3fd99999998ef7b6
	v_ldexp_f64 v[10:11], v[10:11], 1
	s_delay_alu instid0(VALU_DEP_2) | instskip(SKIP_2) | instid1(VALU_DEP_3)
	v_fmaak_f64 v[54:55], v[54:55], v[58:59], 0x3fe5555555555780
	v_ldexp_f64 v[58:59], v[50:51], 1
	v_fmac_f64_e32 v[56:57], v[56:57], v[62:63]
	v_mul_f64_e32 v[54:55], v[60:61], v[54:55]
	v_cvt_f64_i32_e32 v[60:61], v12
	v_ashrrev_i32_e32 v12, 31, v7
	s_delay_alu instid0(VALU_DEP_1) | instskip(SKIP_3) | instid1(VALU_DEP_3)
	v_and_b32_e32 v21, 0x54442d18, v12
	v_fma_f64 v[62:63], -v[52:53], v[56:57], 1.0
	v_add_f64_e32 v[50:51], v[58:59], v[54:55]
	v_mul_f64_e32 v[64:65], 0x3fe62e42fefa39ef, v[60:61]
	v_fmac_f64_e32 v[56:57], v[56:57], v[62:63]
	s_delay_alu instid0(VALU_DEP_3) | instskip(SKIP_1) | instid1(VALU_DEP_4)
	v_add_f64_e64 v[46:47], v[50:51], -v[58:59]
	v_div_scale_f64 v[58:59], vcc_lo, v[48:49], v[42:43], v[48:49]
	v_fma_f64 v[62:63], v[60:61], s[34:35], -v[64:65]
	s_delay_alu instid0(VALU_DEP_3) | instskip(NEXT) | instid1(VALU_DEP_3)
	v_add_f64_e64 v[46:47], v[54:55], -v[46:47]
	v_mul_f64_e32 v[54:55], v[58:59], v[56:57]
	s_delay_alu instid0(VALU_DEP_3) | instskip(NEXT) | instid1(VALU_DEP_3)
	v_fmac_f64_e32 v[62:63], 0x3c7abc9e3b39803f, v[60:61]
	v_add_f64_e32 v[10:11], v[10:11], v[46:47]
	s_delay_alu instid0(VALU_DEP_3) | instskip(NEXT) | instid1(VALU_DEP_3)
	v_fma_f64 v[46:47], -v[52:53], v[54:55], v[58:59]
	v_add_f64_e32 v[52:53], v[64:65], v[62:63]
	s_delay_alu instid0(VALU_DEP_3) | instskip(NEXT) | instid1(VALU_DEP_3)
	v_add_f64_e32 v[58:59], v[50:51], v[10:11]
	v_div_fmas_f64 v[46:47], v[46:47], v[56:57], v[54:55]
	v_cmp_gt_i32_e32 vcc_lo, 0, v7
	s_delay_alu instid0(VALU_DEP_4) | instskip(SKIP_3) | instid1(VALU_DEP_1)
	v_add_f64_e64 v[56:57], v[52:53], -v[64:65]
	v_and_b32_e32 v7, 0x400921fb, v12
	v_cndmask_b32_e32 v16, 0x54442d18, v68, vcc_lo
	v_cndmask_b32_e32 v6, 0x3fe921fb, v69, vcc_lo
	v_bfi_b32 v6, 0x7fffffff, v6, v9
	v_add_f64_e32 v[54:55], v[52:53], v[58:59]
	v_div_fixup_f64 v[42:43], v[46:47], v[42:43], v[48:49]
	v_add_f64_e64 v[50:51], v[58:59], -v[50:51]
	v_add_f64_e64 v[56:57], v[62:63], -v[56:57]
	s_delay_alu instid0(VALU_DEP_4) | instskip(NEXT) | instid1(VALU_DEP_4)
	v_add_f64_e64 v[46:47], v[54:55], -v[52:53]
	v_mul_f64_e32 v[48:49], v[42:43], v[42:43]
	s_delay_alu instid0(VALU_DEP_4) | instskip(NEXT) | instid1(VALU_DEP_3)
	v_add_f64_e64 v[10:11], v[10:11], -v[50:51]
	v_add_f64_e64 v[60:61], v[54:55], -v[46:47]
	s_delay_alu instid0(VALU_DEP_3) | instskip(SKIP_1) | instid1(VALU_DEP_4)
	v_fmamk_f64 v[64:65], v[48:49], 0x3eeba404b5e68a13, v[26:27]
	v_add_f64_e64 v[46:47], v[58:59], -v[46:47]
	v_add_f64_e32 v[58:59], v[56:57], v[10:11]
	s_delay_alu instid0(VALU_DEP_3) | instskip(SKIP_1) | instid1(VALU_DEP_2)
	v_fmaak_f64 v[64:65], v[48:49], v[64:65], 0x3f4b2bb069efb384
	v_add_f64_e64 v[50:51], v[52:53], -v[60:61]
	v_fmaak_f64 v[52:53], v[48:49], v[64:65], 0xbf67952daf56de9b
	s_delay_alu instid0(VALU_DEP_1) | instskip(NEXT) | instid1(VALU_DEP_1)
	v_fmaak_f64 v[52:53], v[48:49], v[52:53], 0x3f7d6d43a595c56f
	v_fmaak_f64 v[52:53], v[48:49], v[52:53], 0xbf8c6ea4a57d9582
	s_delay_alu instid0(VALU_DEP_1) | instskip(NEXT) | instid1(VALU_DEP_1)
	v_fmaak_f64 v[52:53], v[48:49], v[52:53], 0x3f967e295f08b19f
	v_fmaak_f64 v[52:53], v[48:49], v[52:53], 0xbf9e9ae6fc27006a
	v_add_f64_e32 v[46:47], v[46:47], v[50:51]
	s_delay_alu instid0(VALU_DEP_2) | instskip(SKIP_1) | instid1(VALU_DEP_2)
	v_fmaak_f64 v[50:51], v[48:49], v[52:53], 0x3fa2c15b5711927a
	v_add_f64_e64 v[52:53], v[58:59], -v[56:57]
	v_fmaak_f64 v[50:51], v[48:49], v[50:51], 0xbfa59976e82d3ff0
	s_delay_alu instid0(VALU_DEP_1) | instskip(NEXT) | instid1(VALU_DEP_1)
	v_fmaak_f64 v[50:51], v[48:49], v[50:51], 0x3fa82d5d6ef28734
	v_fmaak_f64 v[50:51], v[48:49], v[50:51], 0xbfaae5ce6a214619
	s_delay_alu instid0(VALU_DEP_1) | instskip(SKIP_3) | instid1(VALU_DEP_4)
	v_fmaak_f64 v[50:51], v[48:49], v[50:51], 0x3fae1bb48427b883
	v_add_f64_e32 v[46:47], v[58:59], v[46:47]
	v_add_f64_e64 v[58:59], v[58:59], -v[52:53]
	v_add_f64_e64 v[10:11], v[10:11], -v[52:53]
	v_fmaak_f64 v[50:51], v[48:49], v[50:51], 0xbfb110e48b207f05
	s_delay_alu instid0(VALU_DEP_1) | instskip(NEXT) | instid1(VALU_DEP_1)
	v_fmaak_f64 v[50:51], v[48:49], v[50:51], 0x3fb3b13657b87036
	v_fmaak_f64 v[50:51], v[48:49], v[50:51], 0xbfb745d119378e4f
	s_delay_alu instid0(VALU_DEP_1) | instskip(SKIP_1) | instid1(VALU_DEP_2)
	v_fmaak_f64 v[50:51], v[48:49], v[50:51], 0x3fbc71c717e1913c
	v_add_f64_e32 v[60:61], v[54:55], v[46:47]
	v_fmaak_f64 v[50:51], v[48:49], v[50:51], 0xbfc2492492376b7d
	s_delay_alu instid0(VALU_DEP_1) | instskip(NEXT) | instid1(VALU_DEP_1)
	v_fmaak_f64 v[50:51], v[48:49], v[50:51], 0x3fc99999999952cc
	v_fmaak_f64 v[50:51], v[48:49], v[50:51], 0xbfd5555555555523
	s_delay_alu instid0(VALU_DEP_1) | instskip(SKIP_2) | instid1(VALU_DEP_3)
	v_mul_f64_e32 v[48:49], v[48:49], v[50:51]
	v_add_f64_e64 v[50:51], v[56:57], -v[58:59]
	v_add_f64_e64 v[52:53], v[60:61], -v[54:55]
	v_fmac_f64_e32 v[42:43], v[42:43], v[48:49]
	s_delay_alu instid0(VALU_DEP_3) | instskip(NEXT) | instid1(VALU_DEP_3)
	v_add_f64_e32 v[10:11], v[10:11], v[50:51]
	v_add_f64_e64 v[46:47], v[46:47], -v[52:53]
	s_delay_alu instid0(VALU_DEP_3) | instskip(NEXT) | instid1(VALU_DEP_2)
	v_add_f64_e64 v[48:49], -v[42:43], s[40:41]
	v_add_f64_e32 v[10:11], v[10:11], v[46:47]
	s_delay_alu instid0(VALU_DEP_2) | instskip(SKIP_2) | instid1(VALU_DEP_3)
	v_dual_cndmask_b32 v43, v43, v49, s6 :: v_dual_cndmask_b32 v42, v42, v48, s6
	v_cmp_nge_f64_e64 s8, -1.0, v[44:45]
	v_cmp_neq_f64_e64 s9, 0x7ff00000, v[44:45]
	v_add_f64_e64 v[46:47], -v[42:43], s[42:43]
	v_add_f64_e32 v[10:11], v[60:61], v[10:11]
	s_delay_alu instid0(VALU_DEP_2) | instskip(SKIP_1) | instid1(VALU_DEP_2)
	v_dual_cndmask_b32 v42, v42, v46, vcc_lo :: v_dual_cndmask_b32 v12, v43, v47, vcc_lo
	v_cmp_ngt_f64_e32 vcc_lo, -1.0, v[44:45]
	v_dual_mul_f64 v[10:11], 0.5, v[10:11] :: v_dual_cndmask_b32 v21, v42, v21, s7
	s_delay_alu instid0(VALU_DEP_3)
	v_cndmask_b32_e64 v7, v12, v7, s7
	s_and_b32 s7, s8, s9
	s_delay_alu instid0(VALU_DEP_2) | instid1(SALU_CYCLE_1)
	v_cndmask_b32_e64 v10, 0, v10, s7
	v_cmp_neq_f64_e64 s7, -1.0, v[44:45]
	s_delay_alu instid0(VALU_DEP_4) | instskip(NEXT) | instid1(VALU_DEP_1)
	v_cndmask_b32_e64 v11, 0x7ff00000, v11, s9
	v_cndmask_b32_e32 v11, 0x7ff80000, v11, vcc_lo
	s_and_b32 vcc_lo, s10, s11
	v_dual_cndmask_b32 v43, v7, v6 :: v_dual_cndmask_b32 v42, v21, v16
	s_delay_alu instid0(VALU_DEP_2)
	v_cndmask_b32_e64 v11, 0xfff00000, v11, s7
.LBB185_93:                             ;   in Loop: Header=BB185_4 Depth=1
	s_or_b32 exec_lo, exec_lo, s59
.LBB185_94:                             ;   in Loop: Header=BB185_4 Depth=1
	s_delay_alu instid0(SALU_CYCLE_1)
	s_or_b32 exec_lo, exec_lo, s58
.LBB185_95:                             ;   in Loop: Header=BB185_4 Depth=1
	s_and_not1_saveexec_b32 s9, s57
	s_cbranch_execz .LBB185_97
; %bb.96:                               ;   in Loop: Header=BB185_4 Depth=1
	v_max_num_f64_e64 v[10:11], |v[8:9]|, |v[8:9]|
	v_max_num_f64_e64 v[42:43], |v[6:7]|, |v[6:7]|
	v_cmp_class_f64_e64 s10, v[6:7], 0x204
	v_cmp_class_f64_e64 s11, v[8:9], 0x204
	v_cmp_eq_f64_e64 s8, 0, v[8:9]
	s_delay_alu instid0(VALU_DEP_4) | instskip(SKIP_2) | instid1(VALU_DEP_2)
	v_max_num_f64_e32 v[44:45], v[42:43], v[10:11]
	v_min_num_f64_e32 v[10:11], v[42:43], v[10:11]
	s_or_b32 s7, s11, s10
	v_frexp_exp_i32_f64_e32 v12, v[44:45]
	s_delay_alu instid0(VALU_DEP_1) | instskip(NEXT) | instid1(VALU_DEP_1)
	v_sub_nc_u32_e32 v16, 0, v12
	v_ldexp_f64 v[46:47], |v[8:9]|, v16
	v_ldexp_f64 v[48:49], |v[6:7]|, v16
	s_delay_alu instid0(VALU_DEP_2) | instskip(NEXT) | instid1(VALU_DEP_1)
	v_mul_f64_e32 v[46:47], v[46:47], v[46:47]
	v_fmac_f64_e32 v[46:47], v[48:49], v[48:49]
	s_delay_alu instid0(VALU_DEP_1) | instskip(SKIP_1) | instid1(TRANS32_DEP_1)
	v_rsq_f64_e32 v[48:49], v[46:47]
	v_cmp_eq_f64_e32 vcc_lo, 0, v[46:47]
	v_mul_f64_e32 v[50:51], v[46:47], v[48:49]
	v_mul_f64_e32 v[48:49], 0.5, v[48:49]
	s_delay_alu instid0(VALU_DEP_1) | instskip(NEXT) | instid1(VALU_DEP_1)
	v_fma_f64 v[52:53], -v[48:49], v[50:51], 0.5
	v_fmac_f64_e32 v[50:51], v[50:51], v[52:53]
	v_fmac_f64_e32 v[48:49], v[48:49], v[52:53]
	s_delay_alu instid0(VALU_DEP_2) | instskip(NEXT) | instid1(VALU_DEP_1)
	v_fma_f64 v[52:53], -v[50:51], v[50:51], v[46:47]
	v_fmac_f64_e32 v[50:51], v[52:53], v[48:49]
	s_delay_alu instid0(VALU_DEP_1) | instskip(NEXT) | instid1(VALU_DEP_1)
	v_dual_cndmask_b32 v47, v51, v47 :: v_dual_cndmask_b32 v46, v50, v46
	v_ldexp_f64 v[46:47], v[46:47], v12
	v_ashrrev_i32_e32 v12, 31, v7
	s_delay_alu instid0(VALU_DEP_1) | instskip(SKIP_1) | instid1(VALU_DEP_4)
	v_and_b32_e32 v21, 0x54442d18, v12
	v_and_b32_e32 v12, 0x400921fb, v12
	v_cndmask_b32_e64 v47, v47, 0x7ff00000, s7
	v_cndmask_b32_e64 v46, v46, 0, s7
	s_delay_alu instid0(VALU_DEP_1) | instskip(SKIP_1) | instid1(VALU_DEP_2)
	v_frexp_mant_f64_e32 v[48:49], v[46:47]
	v_cmp_class_f64_e64 s7, v[46:47], 0x204
	v_cmp_gt_f64_e32 vcc_lo, s[30:31], v[48:49]
	v_cndmask_b32_e64 v6, 0, 1, vcc_lo
	s_delay_alu instid0(VALU_DEP_1) | instskip(SKIP_1) | instid1(VALU_DEP_2)
	v_ldexp_f64 v[48:49], v[48:49], v6
	v_frexp_exp_i32_f64_e32 v6, v[46:47]
	v_add_f64_e32 v[50:51], 1.0, v[48:49]
	v_add_f64_e32 v[56:57], -1.0, v[48:49]
	s_delay_alu instid0(VALU_DEP_3) | instskip(SKIP_1) | instid1(VALU_DEP_4)
	v_subrev_co_ci_u32_e64 v6, null, 0, v6, vcc_lo
	v_div_scale_f64 v[64:65], vcc_lo, v[10:11], v[44:45], v[10:11]
	v_rcp_f64_e32 v[52:53], v[50:51]
	v_add_f64_e32 v[58:59], -1.0, v[50:51]
	s_delay_alu instid0(VALU_DEP_1) | instskip(NEXT) | instid1(TRANS32_DEP_1)
	v_add_f64_e64 v[48:49], v[48:49], -v[58:59]
	v_fma_f64 v[54:55], -v[50:51], v[52:53], 1.0
	s_delay_alu instid0(VALU_DEP_1) | instskip(NEXT) | instid1(VALU_DEP_1)
	v_fmac_f64_e32 v[52:53], v[54:55], v[52:53]
	v_fma_f64 v[54:55], -v[50:51], v[52:53], 1.0
	s_delay_alu instid0(VALU_DEP_1) | instskip(NEXT) | instid1(VALU_DEP_1)
	v_fmac_f64_e32 v[52:53], v[54:55], v[52:53]
	v_mul_f64_e32 v[54:55], v[56:57], v[52:53]
	s_delay_alu instid0(VALU_DEP_1) | instskip(NEXT) | instid1(VALU_DEP_1)
	v_mul_f64_e32 v[60:61], v[50:51], v[54:55]
	v_fma_f64 v[50:51], v[54:55], v[50:51], -v[60:61]
	s_delay_alu instid0(VALU_DEP_1) | instskip(NEXT) | instid1(VALU_DEP_1)
	v_fmac_f64_e32 v[50:51], v[54:55], v[48:49]
	v_add_f64_e32 v[48:49], v[60:61], v[50:51]
	s_delay_alu instid0(VALU_DEP_1) | instskip(SKIP_1) | instid1(VALU_DEP_2)
	v_add_f64_e64 v[58:59], v[56:57], -v[48:49]
	v_add_f64_e64 v[60:61], v[48:49], -v[60:61]
	;; [unrolled: 1-line block ×3, first 2 shown]
	s_delay_alu instid0(VALU_DEP_2) | instskip(NEXT) | instid1(VALU_DEP_2)
	v_add_f64_e64 v[50:51], v[60:61], -v[50:51]
	v_add_f64_e64 v[48:49], v[56:57], -v[48:49]
	s_delay_alu instid0(VALU_DEP_1) | instskip(NEXT) | instid1(VALU_DEP_1)
	v_add_f64_e32 v[48:49], v[50:51], v[48:49]
	v_add_f64_e32 v[48:49], v[58:59], v[48:49]
	s_delay_alu instid0(VALU_DEP_1) | instskip(SKIP_1) | instid1(VALU_DEP_2)
	v_mul_f64_e32 v[42:43], v[52:53], v[48:49]
	v_div_scale_f64 v[48:49], null, v[44:45], v[44:45], v[10:11]
	v_add_f64_e32 v[50:51], v[54:55], v[42:43]
	s_delay_alu instid0(VALU_DEP_2) | instskip(NEXT) | instid1(VALU_DEP_1)
	v_rcp_f64_e32 v[52:53], v[48:49]
	v_mul_f64_e32 v[56:57], v[50:51], v[50:51]
	s_delay_alu instid0(TRANS32_DEP_1) | instskip(NEXT) | instid1(VALU_DEP_2)
	v_fma_f64 v[60:61], -v[48:49], v[52:53], 1.0
	v_fmamk_f64 v[58:59], v[56:57], 0x3fc3ab76bf559e2b, v[24:25]
	v_mul_f64_e32 v[62:63], v[50:51], v[56:57]
	s_delay_alu instid0(VALU_DEP_3) | instskip(NEXT) | instid1(VALU_DEP_3)
	v_fmac_f64_e32 v[52:53], v[52:53], v[60:61]
	v_fmaak_f64 v[58:59], v[56:57], v[58:59], 0x3fc7474dd7f4df2e
	s_delay_alu instid0(VALU_DEP_1) | instskip(NEXT) | instid1(VALU_DEP_1)
	v_fmaak_f64 v[58:59], v[56:57], v[58:59], 0x3fcc71c016291751
	v_fmaak_f64 v[58:59], v[56:57], v[58:59], 0x3fd249249b27acf1
	s_delay_alu instid0(VALU_DEP_1) | instskip(NEXT) | instid1(VALU_DEP_1)
	v_fmaak_f64 v[58:59], v[56:57], v[58:59], 0x3fd99999998ef7b6
	v_fmaak_f64 v[56:57], v[56:57], v[58:59], 0x3fe5555555555780
	v_ldexp_f64 v[58:59], v[50:51], 1
	v_add_f64_e64 v[50:51], v[50:51], -v[54:55]
	v_fma_f64 v[60:61], -v[48:49], v[52:53], 1.0
	s_delay_alu instid0(VALU_DEP_4) | instskip(SKIP_1) | instid1(VALU_DEP_4)
	v_mul_f64_e32 v[56:57], v[62:63], v[56:57]
	v_cvt_f64_i32_e32 v[62:63], v6
	v_add_f64_e64 v[42:43], v[42:43], -v[50:51]
	s_delay_alu instid0(VALU_DEP_4) | instskip(NEXT) | instid1(VALU_DEP_4)
	v_fmac_f64_e32 v[52:53], v[52:53], v[60:61]
	v_add_f64_e32 v[54:55], v[58:59], v[56:57]
	s_delay_alu instid0(VALU_DEP_4) | instskip(NEXT) | instid1(VALU_DEP_4)
	v_mul_f64_e32 v[60:61], 0x3fe62e42fefa39ef, v[62:63]
	v_ldexp_f64 v[42:43], v[42:43], 1
	s_delay_alu instid0(VALU_DEP_3) | instskip(SKIP_1) | instid1(VALU_DEP_4)
	v_add_f64_e64 v[50:51], v[54:55], -v[58:59]
	v_mul_f64_e32 v[58:59], v[64:65], v[52:53]
	v_fma_f64 v[66:67], v[62:63], s[34:35], -v[60:61]
	s_delay_alu instid0(VALU_DEP_3) | instskip(NEXT) | instid1(VALU_DEP_3)
	v_add_f64_e64 v[50:51], v[56:57], -v[50:51]
	v_fma_f64 v[48:49], -v[48:49], v[58:59], v[64:65]
	s_delay_alu instid0(VALU_DEP_3) | instskip(NEXT) | instid1(VALU_DEP_3)
	v_fmac_f64_e32 v[66:67], 0x3c7abc9e3b39803f, v[62:63]
	v_add_f64_e32 v[42:43], v[42:43], v[50:51]
	s_delay_alu instid0(VALU_DEP_3) | instskip(NEXT) | instid1(VALU_DEP_3)
	v_div_fmas_f64 v[48:49], v[48:49], v[52:53], v[58:59]
	v_add_f64_e32 v[50:51], v[60:61], v[66:67]
	v_cmp_gt_i32_e32 vcc_lo, 0, v7
	v_cndmask_b32_e32 v16, 0x54442d18, v68, vcc_lo
	v_add_f64_e32 v[52:53], v[54:55], v[42:43]
	v_div_fixup_f64 v[10:11], v[48:49], v[44:45], v[10:11]
	v_add_f64_e64 v[60:61], v[50:51], -v[60:61]
	s_delay_alu instid0(VALU_DEP_3) | instskip(NEXT) | instid1(VALU_DEP_3)
	v_add_f64_e32 v[44:45], v[50:51], v[52:53]
	v_mul_f64_e32 v[48:49], v[10:11], v[10:11]
	v_add_f64_e64 v[54:55], v[52:53], -v[54:55]
	s_delay_alu instid0(VALU_DEP_4) | instskip(NEXT) | instid1(VALU_DEP_4)
	v_add_f64_e64 v[60:61], v[66:67], -v[60:61]
	v_add_f64_e64 v[56:57], v[44:45], -v[50:51]
	s_delay_alu instid0(VALU_DEP_4) | instskip(NEXT) | instid1(VALU_DEP_4)
	v_fmamk_f64 v[58:59], v[48:49], 0x3eeba404b5e68a13, v[26:27]
	v_add_f64_e64 v[42:43], v[42:43], -v[54:55]
	s_delay_alu instid0(VALU_DEP_2) | instskip(NEXT) | instid1(VALU_DEP_1)
	v_fmaak_f64 v[58:59], v[48:49], v[58:59], 0x3f4b2bb069efb384
	v_fmaak_f64 v[58:59], v[48:49], v[58:59], 0xbf67952daf56de9b
	s_delay_alu instid0(VALU_DEP_1) | instskip(NEXT) | instid1(VALU_DEP_1)
	v_fmaak_f64 v[58:59], v[48:49], v[58:59], 0x3f7d6d43a595c56f
	v_fmaak_f64 v[58:59], v[48:49], v[58:59], 0xbf8c6ea4a57d9582
	v_add_f64_e64 v[62:63], v[44:45], -v[56:57]
	v_add_f64_e64 v[52:53], v[52:53], -v[56:57]
	v_add_f64_e32 v[56:57], v[60:61], v[42:43]
	s_delay_alu instid0(VALU_DEP_4) | instskip(NEXT) | instid1(VALU_DEP_1)
	v_fmaak_f64 v[58:59], v[48:49], v[58:59], 0x3f967e295f08b19f
	v_fmaak_f64 v[54:55], v[48:49], v[58:59], 0xbf9e9ae6fc27006a
	s_delay_alu instid0(VALU_DEP_1) | instskip(NEXT) | instid1(VALU_DEP_1)
	v_fmaak_f64 v[54:55], v[48:49], v[54:55], 0x3fa2c15b5711927a
	v_fmaak_f64 v[54:55], v[48:49], v[54:55], 0xbfa59976e82d3ff0
	s_delay_alu instid0(VALU_DEP_1) | instskip(SKIP_1) | instid1(VALU_DEP_2)
	v_fmaak_f64 v[54:55], v[48:49], v[54:55], 0x3fa82d5d6ef28734
	v_add_f64_e64 v[50:51], v[50:51], -v[62:63]
	v_fmaak_f64 v[54:55], v[48:49], v[54:55], 0xbfaae5ce6a214619
	s_delay_alu instid0(VALU_DEP_2) | instskip(NEXT) | instid1(VALU_DEP_2)
	v_add_f64_e32 v[50:51], v[52:53], v[50:51]
	v_fmaak_f64 v[52:53], v[48:49], v[54:55], 0x3fae1bb48427b883
	v_add_f64_e64 v[54:55], v[56:57], -v[60:61]
	s_delay_alu instid0(VALU_DEP_2) | instskip(NEXT) | instid1(VALU_DEP_1)
	v_fmaak_f64 v[52:53], v[48:49], v[52:53], 0xbfb110e48b207f05
	v_fmaak_f64 v[52:53], v[48:49], v[52:53], 0x3fb3b13657b87036
	s_delay_alu instid0(VALU_DEP_1) | instskip(NEXT) | instid1(VALU_DEP_1)
	v_fmaak_f64 v[52:53], v[48:49], v[52:53], 0xbfb745d119378e4f
	v_fmaak_f64 v[52:53], v[48:49], v[52:53], 0x3fbc71c717e1913c
	v_add_f64_e32 v[50:51], v[56:57], v[50:51]
	v_add_f64_e64 v[42:43], v[42:43], -v[54:55]
	s_delay_alu instid0(VALU_DEP_3) | instskip(NEXT) | instid1(VALU_DEP_1)
	v_fmaak_f64 v[52:53], v[48:49], v[52:53], 0xbfc2492492376b7d
	v_fmaak_f64 v[52:53], v[48:49], v[52:53], 0x3fc99999999952cc
	s_delay_alu instid0(VALU_DEP_1) | instskip(NEXT) | instid1(VALU_DEP_1)
	v_fmaak_f64 v[52:53], v[48:49], v[52:53], 0xbfd5555555555523
	v_mul_f64_e32 v[48:49], v[48:49], v[52:53]
	v_add_f64_e64 v[52:53], v[56:57], -v[54:55]
	v_add_f64_e32 v[56:57], v[44:45], v[50:51]
	s_delay_alu instid0(VALU_DEP_3) | instskip(NEXT) | instid1(VALU_DEP_3)
	v_fmac_f64_e32 v[10:11], v[10:11], v[48:49]
	v_add_f64_e64 v[48:49], v[60:61], -v[52:53]
	s_delay_alu instid0(VALU_DEP_3) | instskip(NEXT) | instid1(VALU_DEP_3)
	v_add_f64_e64 v[44:45], v[56:57], -v[44:45]
	v_add_f64_e64 v[52:53], -v[10:11], s[40:41]
	s_delay_alu instid0(VALU_DEP_3) | instskip(NEXT) | instid1(VALU_DEP_3)
	v_add_f64_e32 v[42:43], v[42:43], v[48:49]
	v_add_f64_e64 v[44:45], v[50:51], -v[44:45]
	s_delay_alu instid0(VALU_DEP_3) | instskip(NEXT) | instid1(VALU_DEP_2)
	v_dual_cndmask_b32 v11, v11, v53, s6 :: v_dual_cndmask_b32 v10, v10, v52, s6
	v_add_f64_e32 v[42:43], v[42:43], v[44:45]
	s_delay_alu instid0(VALU_DEP_2) | instskip(NEXT) | instid1(VALU_DEP_1)
	v_add_f64_e64 v[44:45], -v[10:11], s[42:43]
	v_dual_add_f64 v[6:7], v[56:57], v[42:43] :: v_dual_cndmask_b32 v10, v10, v44, vcc_lo
	v_cndmask_b32_e32 v42, 0x3fe921fb, v69, vcc_lo
	s_delay_alu instid0(VALU_DEP_3) | instskip(SKIP_1) | instid1(VALU_DEP_4)
	v_cndmask_b32_e32 v11, v11, v45, vcc_lo
	v_cmp_ngt_f64_e32 vcc_lo, 0, v[46:47]
	v_cndmask_b32_e64 v21, v10, v21, s8
	s_delay_alu instid0(VALU_DEP_4) | instskip(NEXT) | instid1(VALU_DEP_4)
	v_bfi_b32 v42, 0x7fffffff, v42, v9
	v_dual_cndmask_b32 v10, v11, v12, s8 :: v_dual_cndmask_b32 v6, v6, v46, s7
	v_cndmask_b32_e64 v7, v7, v47, s7
	v_cmp_nge_f64_e64 s7, 0, v[46:47]
	s_delay_alu instid0(VALU_DEP_2) | instskip(SKIP_4) | instid1(VALU_DEP_1)
	v_cndmask_b32_e32 v7, 0x7ff80000, v7, vcc_lo
	s_and_b32 vcc_lo, s11, s10
	v_dual_cndmask_b32 v43, v10, v42 :: v_dual_cndmask_b32 v42, v21, v16
	v_cndmask_b32_e64 v10, 0, v6, s7
	v_cmp_neq_f64_e64 s7, 0, v[46:47]
	v_cndmask_b32_e64 v11, 0xfff00000, v7, s7
.LBB185_97:                             ;   in Loop: Header=BB185_4 Depth=1
	s_or_b32 exec_lo, exec_lo, s9
                                        ; implicit-def: $vgpr46_vgpr47
.LBB185_98:                             ;   in Loop: Header=BB185_4 Depth=1
	s_and_not1_saveexec_b32 s9, s56
	s_cbranch_execz .LBB185_104
; %bb.99:                               ;   in Loop: Header=BB185_4 Depth=1
                                        ; implicit-def: $vgpr10_vgpr11
                                        ; implicit-def: $vgpr42_vgpr43
	s_mov_b32 s7, exec_lo
	v_cmpx_ngt_f64_e32 s[46:47], v[46:47]
	s_xor_b32 s10, exec_lo, s7
	s_cbranch_execz .LBB185_101
; %bb.100:                              ;   in Loop: Header=BB185_4 Depth=1
	v_mul_f64_e32 v[10:11], v[46:47], v[46:47]
	v_cmp_eq_f64_e64 s7, 0, v[8:9]
	v_cmp_class_f64_e64 s11, v[8:9], 0x204
	v_cmp_class_f64_e64 s12, v[6:7], 0x204
	s_delay_alu instid0(VALU_DEP_4) | instskip(NEXT) | instid1(VALU_DEP_1)
	v_add_f64_e32 v[42:43], 1.0, v[10:11]
	v_frexp_mant_f64_e32 v[44:45], v[42:43]
	v_frexp_exp_i32_f64_e32 v12, v[42:43]
	v_add_f64_e32 v[46:47], -1.0, v[42:43]
	s_delay_alu instid0(VALU_DEP_3) | instskip(NEXT) | instid1(VALU_DEP_2)
	v_cmp_gt_f64_e32 vcc_lo, s[30:31], v[44:45]
	v_add_f64_e64 v[44:45], v[46:47], -v[42:43]
	s_delay_alu instid0(VALU_DEP_4) | instskip(NEXT) | instid1(VALU_DEP_2)
	v_subrev_co_ci_u32_e64 v12, null, 0, v12, vcc_lo
	v_add_f64_e32 v[44:45], 1.0, v[44:45]
	s_delay_alu instid0(VALU_DEP_2) | instskip(SKIP_1) | instid1(VALU_DEP_2)
	v_dual_add_f64 v[46:47], v[10:11], -v[46:47] :: v_dual_sub_nc_u32 v16, 0, v12
	v_cmp_neq_f64_e64 s8, 0x7ff00000, v[10:11]
	v_ldexp_f64 v[42:43], v[42:43], v16
	s_delay_alu instid0(VALU_DEP_3) | instskip(NEXT) | instid1(VALU_DEP_2)
	v_add_f64_e32 v[44:45], v[46:47], v[44:45]
	v_add_f64_e32 v[48:49], 1.0, v[42:43]
	v_add_f64_e32 v[54:55], -1.0, v[42:43]
	s_delay_alu instid0(VALU_DEP_3) | instskip(NEXT) | instid1(VALU_DEP_3)
	v_ldexp_f64 v[44:45], v[44:45], v16
	v_add_f64_e32 v[46:47], -1.0, v[48:49]
	s_delay_alu instid0(VALU_DEP_3) | instskip(NEXT) | instid1(VALU_DEP_2)
	v_add_f64_e32 v[56:57], 1.0, v[54:55]
	v_add_f64_e64 v[46:47], v[42:43], -v[46:47]
	s_delay_alu instid0(VALU_DEP_2) | instskip(NEXT) | instid1(VALU_DEP_2)
	v_add_f64_e64 v[42:43], v[42:43], -v[56:57]
	v_add_f64_e32 v[46:47], v[44:45], v[46:47]
	s_delay_alu instid0(VALU_DEP_2) | instskip(NEXT) | instid1(VALU_DEP_2)
	v_add_f64_e32 v[42:43], v[44:45], v[42:43]
	v_add_f64_e32 v[50:51], v[48:49], v[46:47]
	s_delay_alu instid0(VALU_DEP_2) | instskip(NEXT) | instid1(VALU_DEP_2)
	v_add_f64_e32 v[56:57], v[54:55], v[42:43]
	v_rcp_f64_e32 v[52:53], v[50:51]
	v_add_f64_e64 v[48:49], v[48:49], -v[50:51]
	s_delay_alu instid0(VALU_DEP_2) | instskip(NEXT) | instid1(VALU_DEP_2)
	v_add_f64_e64 v[54:55], v[54:55], -v[56:57]
	v_add_f64_e32 v[46:47], v[46:47], v[48:49]
	s_delay_alu instid0(VALU_DEP_2) | instskip(NEXT) | instid1(TRANS32_DEP_1)
	v_add_f64_e32 v[42:43], v[42:43], v[54:55]
	v_fma_f64 v[58:59], -v[50:51], v[52:53], 1.0
	s_delay_alu instid0(VALU_DEP_1) | instskip(NEXT) | instid1(VALU_DEP_1)
	v_fmac_f64_e32 v[52:53], v[58:59], v[52:53]
	v_fma_f64 v[44:45], -v[50:51], v[52:53], 1.0
	s_delay_alu instid0(VALU_DEP_1) | instskip(NEXT) | instid1(VALU_DEP_1)
	v_fmac_f64_e32 v[52:53], v[44:45], v[52:53]
	v_mul_f64_e32 v[44:45], v[56:57], v[52:53]
	s_delay_alu instid0(VALU_DEP_1) | instskip(NEXT) | instid1(VALU_DEP_1)
	v_mul_f64_e32 v[58:59], v[50:51], v[44:45]
	v_fma_f64 v[48:49], v[44:45], v[50:51], -v[58:59]
	s_delay_alu instid0(VALU_DEP_1) | instskip(NEXT) | instid1(VALU_DEP_1)
	v_fmac_f64_e32 v[48:49], v[44:45], v[46:47]
	v_add_f64_e32 v[60:61], v[58:59], v[48:49]
	s_delay_alu instid0(VALU_DEP_1) | instskip(SKIP_1) | instid1(VALU_DEP_2)
	v_add_f64_e64 v[62:63], v[56:57], -v[60:61]
	v_add_f64_e64 v[54:55], v[60:61], -v[58:59]
	;; [unrolled: 1-line block ×3, first 2 shown]
	s_delay_alu instid0(VALU_DEP_2) | instskip(NEXT) | instid1(VALU_DEP_2)
	v_add_f64_e64 v[48:49], v[54:55], -v[48:49]
	v_add_f64_e64 v[56:57], v[56:57], -v[60:61]
	s_delay_alu instid0(VALU_DEP_1) | instskip(NEXT) | instid1(VALU_DEP_1)
	v_add_f64_e32 v[42:43], v[42:43], v[56:57]
	v_add_f64_e32 v[42:43], v[48:49], v[42:43]
	s_delay_alu instid0(VALU_DEP_1) | instskip(NEXT) | instid1(VALU_DEP_1)
	v_add_f64_e32 v[48:49], v[62:63], v[42:43]
	v_mul_f64_e32 v[54:55], v[52:53], v[48:49]
	v_add_f64_e64 v[60:61], v[62:63], -v[48:49]
	s_delay_alu instid0(VALU_DEP_2) | instskip(NEXT) | instid1(VALU_DEP_2)
	v_mul_f64_e32 v[56:57], v[50:51], v[54:55]
	v_add_f64_e32 v[42:43], v[42:43], v[60:61]
	s_delay_alu instid0(VALU_DEP_2) | instskip(NEXT) | instid1(VALU_DEP_1)
	v_fma_f64 v[50:51], v[54:55], v[50:51], -v[56:57]
	v_fmac_f64_e32 v[50:51], v[54:55], v[46:47]
	s_delay_alu instid0(VALU_DEP_1) | instskip(NEXT) | instid1(VALU_DEP_1)
	v_add_f64_e32 v[46:47], v[56:57], v[50:51]
	v_add_f64_e64 v[58:59], v[48:49], -v[46:47]
	v_add_f64_e64 v[56:57], v[46:47], -v[56:57]
	s_delay_alu instid0(VALU_DEP_2) | instskip(NEXT) | instid1(VALU_DEP_1)
	v_add_f64_e64 v[48:49], v[48:49], -v[58:59]
	v_add_f64_e64 v[46:47], v[48:49], -v[46:47]
	s_delay_alu instid0(VALU_DEP_3) | instskip(SKIP_1) | instid1(VALU_DEP_3)
	v_add_f64_e64 v[48:49], v[56:57], -v[50:51]
	v_max_num_f64_e64 v[50:51], |v[6:7]|, |v[6:7]|
	v_add_f64_e32 v[42:43], v[42:43], v[46:47]
	v_add_f64_e32 v[46:47], v[44:45], v[54:55]
	s_delay_alu instid0(VALU_DEP_2) | instskip(NEXT) | instid1(VALU_DEP_2)
	v_add_f64_e32 v[42:43], v[48:49], v[42:43]
	v_add_f64_e64 v[44:45], v[46:47], -v[44:45]
	v_max_num_f64_e64 v[48:49], |v[8:9]|, |v[8:9]|
	s_delay_alu instid0(VALU_DEP_3) | instskip(NEXT) | instid1(VALU_DEP_3)
	v_add_f64_e32 v[42:43], v[58:59], v[42:43]
	v_add_f64_e64 v[44:45], v[54:55], -v[44:45]
	s_delay_alu instid0(VALU_DEP_2) | instskip(NEXT) | instid1(VALU_DEP_1)
	v_mul_f64_e32 v[42:43], v[52:53], v[42:43]
	v_add_f64_e32 v[42:43], v[44:45], v[42:43]
	v_max_num_f64_e32 v[44:45], v[50:51], v[48:49]
	v_min_num_f64_e32 v[48:49], v[50:51], v[48:49]
	s_delay_alu instid0(VALU_DEP_3) | instskip(NEXT) | instid1(VALU_DEP_2)
	v_add_f64_e32 v[50:51], v[46:47], v[42:43]
	v_div_scale_f64 v[52:53], null, v[44:45], v[44:45], v[48:49]
	s_delay_alu instid0(VALU_DEP_2) | instskip(SKIP_1) | instid1(VALU_DEP_3)
	v_mul_f64_e32 v[54:55], v[50:51], v[50:51]
	v_add_f64_e64 v[46:47], v[50:51], -v[46:47]
	v_rcp_f64_e32 v[56:57], v[52:53]
	s_delay_alu instid0(VALU_DEP_2) | instskip(SKIP_1) | instid1(VALU_DEP_3)
	v_fmamk_f64 v[58:59], v[54:55], 0x3fc3ab76bf559e2b, v[24:25]
	v_mul_f64_e32 v[60:61], v[50:51], v[54:55]
	v_add_f64_e64 v[42:43], v[42:43], -v[46:47]
	s_delay_alu instid0(VALU_DEP_3) | instskip(NEXT) | instid1(TRANS32_DEP_1)
	v_fmaak_f64 v[58:59], v[54:55], v[58:59], 0x3fc7474dd7f4df2e
	v_fma_f64 v[62:63], -v[52:53], v[56:57], 1.0
	s_delay_alu instid0(VALU_DEP_2) | instskip(NEXT) | instid1(VALU_DEP_1)
	v_fmaak_f64 v[58:59], v[54:55], v[58:59], 0x3fcc71c016291751
	v_fmaak_f64 v[58:59], v[54:55], v[58:59], 0x3fd249249b27acf1
	s_delay_alu instid0(VALU_DEP_1) | instskip(SKIP_1) | instid1(VALU_DEP_2)
	v_fmaak_f64 v[58:59], v[54:55], v[58:59], 0x3fd99999998ef7b6
	v_ldexp_f64 v[42:43], v[42:43], 1
	v_fmaak_f64 v[54:55], v[54:55], v[58:59], 0x3fe5555555555780
	v_ldexp_f64 v[58:59], v[50:51], 1
	v_fmac_f64_e32 v[56:57], v[56:57], v[62:63]
	s_delay_alu instid0(VALU_DEP_3) | instskip(SKIP_2) | instid1(VALU_DEP_1)
	v_mul_f64_e32 v[54:55], v[60:61], v[54:55]
	v_cvt_f64_i32_e32 v[60:61], v12
	v_ashrrev_i32_e32 v12, 31, v7
	v_and_b32_e32 v21, 0x54442d18, v12
	v_and_b32_e32 v11, 0x400921fb, v12
	v_fma_f64 v[62:63], -v[52:53], v[56:57], 1.0
	v_add_f64_e32 v[50:51], v[58:59], v[54:55]
	v_mul_f64_e32 v[64:65], 0x3fe62e42fefa39ef, v[60:61]
	s_delay_alu instid0(VALU_DEP_3) | instskip(NEXT) | instid1(VALU_DEP_3)
	v_fmac_f64_e32 v[56:57], v[56:57], v[62:63]
	v_add_f64_e64 v[46:47], v[50:51], -v[58:59]
	v_div_scale_f64 v[58:59], vcc_lo, v[48:49], v[44:45], v[48:49]
	s_delay_alu instid0(VALU_DEP_4) | instskip(NEXT) | instid1(VALU_DEP_3)
	v_fma_f64 v[62:63], v[60:61], s[34:35], -v[64:65]
	v_add_f64_e64 v[46:47], v[54:55], -v[46:47]
	s_delay_alu instid0(VALU_DEP_3) | instskip(NEXT) | instid1(VALU_DEP_3)
	v_mul_f64_e32 v[54:55], v[58:59], v[56:57]
	v_fmac_f64_e32 v[62:63], 0x3c7abc9e3b39803f, v[60:61]
	s_delay_alu instid0(VALU_DEP_3) | instskip(NEXT) | instid1(VALU_DEP_3)
	v_add_f64_e32 v[42:43], v[42:43], v[46:47]
	v_fma_f64 v[46:47], -v[52:53], v[54:55], v[58:59]
	s_delay_alu instid0(VALU_DEP_3) | instskip(NEXT) | instid1(VALU_DEP_3)
	v_add_f64_e32 v[52:53], v[64:65], v[62:63]
	v_add_f64_e32 v[58:59], v[50:51], v[42:43]
	s_delay_alu instid0(VALU_DEP_3) | instskip(SKIP_1) | instid1(VALU_DEP_4)
	v_div_fmas_f64 v[46:47], v[46:47], v[56:57], v[54:55]
	v_cmp_gt_i32_e32 vcc_lo, 0, v7
	v_add_f64_e64 v[56:57], v[52:53], -v[64:65]
	v_cndmask_b32_e32 v10, 0x3fe921fb, v69, vcc_lo
	v_cndmask_b32_e32 v16, 0x54442d18, v68, vcc_lo
	s_delay_alu instid0(VALU_DEP_2) | instskip(SKIP_4) | instid1(VALU_DEP_4)
	v_bfi_b32 v10, 0x7fffffff, v10, v9
	v_add_f64_e32 v[54:55], v[52:53], v[58:59]
	v_div_fixup_f64 v[44:45], v[46:47], v[44:45], v[48:49]
	v_add_f64_e64 v[50:51], v[58:59], -v[50:51]
	v_add_f64_e64 v[56:57], v[62:63], -v[56:57]
	;; [unrolled: 1-line block ×3, first 2 shown]
	s_delay_alu instid0(VALU_DEP_4) | instskip(NEXT) | instid1(VALU_DEP_4)
	v_mul_f64_e32 v[48:49], v[44:45], v[44:45]
	v_add_f64_e64 v[42:43], v[42:43], -v[50:51]
	s_delay_alu instid0(VALU_DEP_3) | instskip(NEXT) | instid1(VALU_DEP_3)
	v_add_f64_e64 v[60:61], v[54:55], -v[46:47]
	v_fmamk_f64 v[64:65], v[48:49], 0x3eeba404b5e68a13, v[26:27]
	v_add_f64_e64 v[46:47], v[58:59], -v[46:47]
	s_delay_alu instid0(VALU_DEP_4) | instskip(NEXT) | instid1(VALU_DEP_3)
	v_add_f64_e32 v[58:59], v[56:57], v[42:43]
	v_fmaak_f64 v[64:65], v[48:49], v[64:65], 0x3f4b2bb069efb384
	s_delay_alu instid0(VALU_DEP_1) | instskip(SKIP_1) | instid1(VALU_DEP_2)
	v_fmaak_f64 v[64:65], v[48:49], v[64:65], 0xbf67952daf56de9b
	v_add_f64_e64 v[50:51], v[52:53], -v[60:61]
	v_fmaak_f64 v[52:53], v[48:49], v[64:65], 0x3f7d6d43a595c56f
	s_delay_alu instid0(VALU_DEP_1) | instskip(NEXT) | instid1(VALU_DEP_1)
	v_fmaak_f64 v[52:53], v[48:49], v[52:53], 0xbf8c6ea4a57d9582
	v_fmaak_f64 v[52:53], v[48:49], v[52:53], 0x3f967e295f08b19f
	s_delay_alu instid0(VALU_DEP_1) | instskip(NEXT) | instid1(VALU_DEP_1)
	v_fmaak_f64 v[52:53], v[48:49], v[52:53], 0xbf9e9ae6fc27006a
	v_fmaak_f64 v[52:53], v[48:49], v[52:53], 0x3fa2c15b5711927a
	v_add_f64_e32 v[46:47], v[46:47], v[50:51]
	s_delay_alu instid0(VALU_DEP_2) | instskip(SKIP_1) | instid1(VALU_DEP_2)
	v_fmaak_f64 v[50:51], v[48:49], v[52:53], 0xbfa59976e82d3ff0
	v_add_f64_e64 v[52:53], v[58:59], -v[56:57]
	v_fmaak_f64 v[50:51], v[48:49], v[50:51], 0x3fa82d5d6ef28734
	s_delay_alu instid0(VALU_DEP_1) | instskip(NEXT) | instid1(VALU_DEP_1)
	v_fmaak_f64 v[50:51], v[48:49], v[50:51], 0xbfaae5ce6a214619
	v_fmaak_f64 v[50:51], v[48:49], v[50:51], 0x3fae1bb48427b883
	s_delay_alu instid0(VALU_DEP_1) | instskip(SKIP_3) | instid1(VALU_DEP_4)
	v_fmaak_f64 v[50:51], v[48:49], v[50:51], 0xbfb110e48b207f05
	v_add_f64_e32 v[46:47], v[58:59], v[46:47]
	v_add_f64_e64 v[58:59], v[58:59], -v[52:53]
	v_add_f64_e64 v[42:43], v[42:43], -v[52:53]
	v_fmaak_f64 v[50:51], v[48:49], v[50:51], 0x3fb3b13657b87036
	s_delay_alu instid0(VALU_DEP_1) | instskip(NEXT) | instid1(VALU_DEP_1)
	v_fmaak_f64 v[50:51], v[48:49], v[50:51], 0xbfb745d119378e4f
	v_fmaak_f64 v[50:51], v[48:49], v[50:51], 0x3fbc71c717e1913c
	s_delay_alu instid0(VALU_DEP_1) | instskip(SKIP_1) | instid1(VALU_DEP_2)
	v_fmaak_f64 v[50:51], v[48:49], v[50:51], 0xbfc2492492376b7d
	v_add_f64_e32 v[60:61], v[54:55], v[46:47]
	v_fmaak_f64 v[50:51], v[48:49], v[50:51], 0x3fc99999999952cc
	s_delay_alu instid0(VALU_DEP_1) | instskip(NEXT) | instid1(VALU_DEP_1)
	v_fmaak_f64 v[50:51], v[48:49], v[50:51], 0xbfd5555555555523
	v_mul_f64_e32 v[48:49], v[48:49], v[50:51]
	v_add_f64_e64 v[50:51], v[56:57], -v[58:59]
	v_add_f64_e64 v[52:53], v[60:61], -v[54:55]
	s_delay_alu instid0(VALU_DEP_3) | instskip(NEXT) | instid1(VALU_DEP_3)
	v_fmac_f64_e32 v[44:45], v[44:45], v[48:49]
	v_add_f64_e32 v[42:43], v[42:43], v[50:51]
	s_delay_alu instid0(VALU_DEP_3) | instskip(NEXT) | instid1(VALU_DEP_3)
	v_add_f64_e64 v[46:47], v[46:47], -v[52:53]
	v_add_f64_e64 v[48:49], -v[44:45], s[40:41]
	s_delay_alu instid0(VALU_DEP_1) | instskip(NEXT) | instid1(VALU_DEP_2)
	v_dual_add_f64 v[42:43], v[42:43], v[46:47] :: v_dual_cndmask_b32 v45, v45, v49, s6
	v_cndmask_b32_e64 v44, v44, v48, s6
	s_delay_alu instid0(VALU_DEP_1) | instskip(NEXT) | instid1(VALU_DEP_3)
	v_add_f64_e64 v[46:47], -v[44:45], s[42:43]
	v_add_f64_e32 v[42:43], v[60:61], v[42:43]
	s_delay_alu instid0(VALU_DEP_2) | instskip(SKIP_1) | instid1(VALU_DEP_1)
	v_dual_cndmask_b32 v44, v44, v46, vcc_lo :: v_dual_cndmask_b32 v12, v45, v47, vcc_lo
	s_and_b32 vcc_lo, s11, s12
                                        ; implicit-def: $vgpr46_vgpr47
	v_cndmask_b32_e64 v21, v44, v21, s7
	s_delay_alu instid0(VALU_DEP_2) | instskip(NEXT) | instid1(VALU_DEP_4)
	v_cndmask_b32_e64 v11, v12, v11, s7
	v_mul_f64_e32 v[6:7], 0.5, v[42:43]
	s_delay_alu instid0(VALU_DEP_2) | instskip(NEXT) | instid1(VALU_DEP_2)
	v_dual_cndmask_b32 v43, v11, v10 :: v_dual_cndmask_b32 v42, v21, v16
	v_cndmask_b32_e64 v11, 0x7ff00000, v7, s8
	s_delay_alu instid0(VALU_DEP_3)
	v_cndmask_b32_e64 v10, 0, v6, s8
.LBB185_101:                            ;   in Loop: Header=BB185_4 Depth=1
	s_and_not1_saveexec_b32 s8, s10
	s_cbranch_execz .LBB185_103
; %bb.102:                              ;   in Loop: Header=BB185_4 Depth=1
	v_max_num_f64_e64 v[10:11], |v[8:9]|, |v[8:9]|
	v_max_num_f64_e64 v[42:43], |v[6:7]|, |v[6:7]|
	v_cmp_class_f64_e64 s11, v[6:7], 0x204
	v_cmp_eq_f64_e64 s7, 0, v[8:9]
	v_cmp_class_f64_e64 s10, v[8:9], 0x204
	v_ashrrev_i32_e32 v12, 31, v7
	s_delay_alu instid0(VALU_DEP_1) | instskip(SKIP_2) | instid1(VALU_DEP_1)
	v_and_b32_e32 v21, 0x54442d18, v12
	v_max_num_f64_e32 v[44:45], v[42:43], v[10:11]
	v_min_num_f64_e32 v[10:11], v[42:43], v[10:11]
	v_div_scale_f64 v[42:43], null, v[44:45], v[44:45], v[10:11]
	v_div_scale_f64 v[52:53], vcc_lo, v[10:11], v[44:45], v[10:11]
	s_delay_alu instid0(VALU_DEP_2) | instskip(SKIP_1) | instid1(TRANS32_DEP_1)
	v_rcp_f64_e32 v[48:49], v[42:43]
	v_nop
	v_fma_f64 v[50:51], -v[42:43], v[48:49], 1.0
	s_delay_alu instid0(VALU_DEP_1) | instskip(NEXT) | instid1(VALU_DEP_1)
	v_fmac_f64_e32 v[48:49], v[48:49], v[50:51]
	v_fma_f64 v[50:51], -v[42:43], v[48:49], 1.0
	s_delay_alu instid0(VALU_DEP_1) | instskip(NEXT) | instid1(VALU_DEP_1)
	v_fmac_f64_e32 v[48:49], v[48:49], v[50:51]
	v_mul_f64_e32 v[50:51], v[52:53], v[48:49]
	s_delay_alu instid0(VALU_DEP_1) | instskip(NEXT) | instid1(VALU_DEP_1)
	v_fma_f64 v[42:43], -v[42:43], v[50:51], v[52:53]
	v_div_fmas_f64 v[42:43], v[42:43], v[48:49], v[50:51]
	v_cmp_gt_i32_e32 vcc_lo, 0, v7
	v_and_b32_e32 v7, 0x400921fb, v12
	v_cndmask_b32_e32 v6, 0x3fe921fb, v69, vcc_lo
	v_cndmask_b32_e32 v16, 0x54442d18, v68, vcc_lo
	s_delay_alu instid0(VALU_DEP_2) | instskip(SKIP_1) | instid1(VALU_DEP_1)
	v_bfi_b32 v6, 0x7fffffff, v6, v9
	v_div_fixup_f64 v[10:11], v[42:43], v[44:45], v[10:11]
	v_mul_f64_e32 v[42:43], v[10:11], v[10:11]
	s_delay_alu instid0(VALU_DEP_1) | instskip(NEXT) | instid1(VALU_DEP_1)
	v_fmamk_f64 v[44:45], v[42:43], 0x3eeba404b5e68a13, v[26:27]
	v_fmaak_f64 v[44:45], v[42:43], v[44:45], 0x3f4b2bb069efb384
	s_delay_alu instid0(VALU_DEP_1) | instskip(NEXT) | instid1(VALU_DEP_1)
	v_fmaak_f64 v[44:45], v[42:43], v[44:45], 0xbf67952daf56de9b
	v_fmaak_f64 v[44:45], v[42:43], v[44:45], 0x3f7d6d43a595c56f
	s_delay_alu instid0(VALU_DEP_1) | instskip(NEXT) | instid1(VALU_DEP_1)
	v_fmaak_f64 v[44:45], v[42:43], v[44:45], 0xbf8c6ea4a57d9582
	;; [unrolled: 3-line block ×9, first 2 shown]
	v_mul_f64_e32 v[42:43], v[42:43], v[44:45]
	s_delay_alu instid0(VALU_DEP_1) | instskip(NEXT) | instid1(VALU_DEP_1)
	v_fmac_f64_e32 v[10:11], v[10:11], v[42:43]
	v_add_f64_e64 v[42:43], -v[10:11], s[40:41]
	s_delay_alu instid0(VALU_DEP_1) | instskip(NEXT) | instid1(VALU_DEP_1)
	v_dual_cndmask_b32 v43, v11, v43, s6 :: v_dual_cndmask_b32 v42, v10, v42, s6
	v_add_f64_e64 v[44:45], -v[42:43], s[42:43]
	s_delay_alu instid0(VALU_DEP_1) | instskip(NEXT) | instid1(VALU_DEP_2)
	v_dual_mul_f64 v[10:11], 0.5, v[46:47] :: v_dual_cndmask_b32 v12, v43, v45, vcc_lo
	v_cndmask_b32_e32 v42, v42, v44, vcc_lo
	s_and_b32 vcc_lo, s10, s11
	s_delay_alu instid0(VALU_DEP_1) | instskip(NEXT) | instid1(VALU_DEP_1)
	v_dual_cndmask_b32 v7, v12, v7, s7 :: v_dual_cndmask_b32 v21, v42, v21, s7
	v_dual_cndmask_b32 v43, v7, v6 :: v_dual_cndmask_b32 v42, v21, v16
	s_delay_alu instid0(VALU_DEP_4)
	v_mul_f64_e32 v[10:11], v[46:47], v[10:11]
.LBB185_103:                            ;   in Loop: Header=BB185_4 Depth=1
	s_or_b32 exec_lo, exec_lo, s8
.LBB185_104:                            ;   in Loop: Header=BB185_4 Depth=1
	s_delay_alu instid0(SALU_CYCLE_1)
	s_or_b32 exec_lo, exec_lo, s9
.LBB185_105:                            ;   in Loop: Header=BB185_4 Depth=1
	s_and_not1_saveexec_b32 s8, s33
	s_cbranch_execz .LBB185_107
; %bb.106:                              ;   in Loop: Header=BB185_4 Depth=1
	v_div_scale_f64 v[10:11], null, s[48:49], s[48:49], v[6:7]
	v_div_scale_f64 v[42:43], null, s[48:49], s[48:49], v[8:9]
	v_div_scale_f64 v[52:53], vcc_lo, v[6:7], s[48:49], v[6:7]
	s_delay_alu instid0(VALU_DEP_3) | instskip(NEXT) | instid1(VALU_DEP_2)
	v_rcp_f64_e32 v[44:45], v[10:11]
	v_rcp_f64_e32 v[46:47], v[42:43]
	s_delay_alu instid0(TRANS32_DEP_2) | instskip(NEXT) | instid1(TRANS32_DEP_1)
	v_fma_f64 v[48:49], -v[10:11], v[44:45], 1.0
	v_fma_f64 v[50:51], -v[42:43], v[46:47], 1.0
	s_delay_alu instid0(VALU_DEP_2) | instskip(NEXT) | instid1(VALU_DEP_2)
	v_fmac_f64_e32 v[44:45], v[44:45], v[48:49]
	v_fmac_f64_e32 v[46:47], v[46:47], v[50:51]
	s_delay_alu instid0(VALU_DEP_2) | instskip(NEXT) | instid1(VALU_DEP_2)
	v_fma_f64 v[48:49], -v[10:11], v[44:45], 1.0
	v_fma_f64 v[50:51], -v[42:43], v[46:47], 1.0
	s_delay_alu instid0(VALU_DEP_2) | instskip(SKIP_1) | instid1(VALU_DEP_3)
	v_fmac_f64_e32 v[44:45], v[44:45], v[48:49]
	v_div_scale_f64 v[48:49], s7, v[8:9], s[48:49], v[8:9]
	v_fmac_f64_e32 v[46:47], v[46:47], v[50:51]
	s_delay_alu instid0(VALU_DEP_3) | instskip(NEXT) | instid1(VALU_DEP_2)
	v_mul_f64_e32 v[50:51], v[52:53], v[44:45]
	v_mul_f64_e32 v[54:55], v[48:49], v[46:47]
	s_delay_alu instid0(VALU_DEP_2) | instskip(NEXT) | instid1(VALU_DEP_2)
	v_fma_f64 v[10:11], -v[10:11], v[50:51], v[52:53]
	v_fma_f64 v[42:43], -v[42:43], v[54:55], v[48:49]
	s_delay_alu instid0(VALU_DEP_2) | instskip(SKIP_1) | instid1(VALU_DEP_2)
	v_div_fmas_f64 v[10:11], v[10:11], v[44:45], v[50:51]
	s_mov_b32 vcc_lo, s7
	v_div_fmas_f64 v[42:43], v[42:43], v[46:47], v[54:55]
	s_delay_alu instid0(VALU_DEP_2) | instskip(NEXT) | instid1(VALU_DEP_2)
	v_div_fixup_f64 v[10:11], v[10:11], s[48:49], v[6:7]
	v_div_fixup_f64 v[42:43], v[42:43], s[48:49], v[8:9]
	s_delay_alu instid0(VALU_DEP_2) | instskip(NEXT) | instid1(VALU_DEP_2)
	v_cmp_class_f64_e64 s7, v[10:11], 0x204
	v_max_num_f64_e64 v[44:45], |v[10:11]|, |v[42:43]|
	v_cmp_class_f64_e64 s9, v[42:43], 0x204
	s_delay_alu instid0(VALU_DEP_2) | instskip(SKIP_2) | instid1(VALU_DEP_2)
	v_frexp_exp_i32_f64_e32 v12, v[44:45]
	s_or_b32 s7, s9, s7
	v_cmp_class_f64_e64 s9, v[6:7], 0x204
	v_sub_nc_u32_e32 v16, 0, v12
	s_delay_alu instid0(VALU_DEP_1) | instskip(SKIP_1) | instid1(VALU_DEP_2)
	v_ldexp_f64 v[44:45], |v[42:43]|, v16
	v_ldexp_f64 v[46:47], |v[10:11]|, v16
	v_mul_f64_e32 v[44:45], v[44:45], v[44:45]
	s_delay_alu instid0(VALU_DEP_1) | instskip(NEXT) | instid1(VALU_DEP_1)
	v_fmac_f64_e32 v[44:45], v[46:47], v[46:47]
	v_rsq_f64_e32 v[46:47], v[44:45]
	v_cmp_eq_f64_e32 vcc_lo, 0, v[44:45]
	s_delay_alu instid0(TRANS32_DEP_1) | instskip(SKIP_1) | instid1(VALU_DEP_1)
	v_mul_f64_e32 v[48:49], v[44:45], v[46:47]
	v_mul_f64_e32 v[46:47], 0.5, v[46:47]
	v_fma_f64 v[50:51], -v[46:47], v[48:49], 0.5
	s_delay_alu instid0(VALU_DEP_1) | instskip(SKIP_1) | instid1(VALU_DEP_2)
	v_fmac_f64_e32 v[48:49], v[48:49], v[50:51]
	v_fmac_f64_e32 v[46:47], v[46:47], v[50:51]
	v_fma_f64 v[50:51], -v[48:49], v[48:49], v[44:45]
	s_delay_alu instid0(VALU_DEP_1) | instskip(NEXT) | instid1(VALU_DEP_1)
	v_fmac_f64_e32 v[48:49], v[50:51], v[46:47]
	v_dual_cndmask_b32 v45, v49, v45 :: v_dual_cndmask_b32 v44, v48, v44
	v_cmp_o_f64_e32 vcc_lo, v[10:11], v[42:43]
	s_delay_alu instid0(VALU_DEP_2) | instskip(NEXT) | instid1(VALU_DEP_1)
	v_ldexp_f64 v[44:45], v[44:45], v12
	v_cndmask_b32_e32 v10, 0, v44, vcc_lo
	s_delay_alu instid0(VALU_DEP_2) | instskip(NEXT) | instid1(VALU_DEP_2)
	v_cndmask_b32_e32 v11, 0x7ff80000, v45, vcc_lo
	v_cndmask_b32_e64 v44, v10, 0, s7
	s_delay_alu instid0(VALU_DEP_2) | instskip(SKIP_1) | instid1(VALU_DEP_2)
	v_cndmask_b32_e64 v45, v11, 0x7ff00000, s7
	v_cmp_class_f64_e64 s7, v[8:9], 0x204
	v_frexp_mant_f64_e32 v[10:11], v[44:45]
	s_delay_alu instid0(VALU_DEP_1) | instskip(SKIP_1) | instid1(VALU_DEP_1)
	v_cmp_gt_f64_e32 vcc_lo, s[30:31], v[10:11]
	v_cndmask_b32_e64 v12, 0, 1, vcc_lo
	v_ldexp_f64 v[10:11], v[10:11], v12
	v_frexp_exp_i32_f64_e32 v12, v[44:45]
	s_delay_alu instid0(VALU_DEP_2) | instskip(SKIP_1) | instid1(VALU_DEP_3)
	v_add_f64_e32 v[42:43], 1.0, v[10:11]
	v_add_f64_e32 v[50:51], -1.0, v[10:11]
	v_subrev_co_ci_u32_e64 v12, null, 0, v12, vcc_lo
	s_delay_alu instid0(VALU_DEP_3) | instskip(SKIP_1) | instid1(VALU_DEP_1)
	v_rcp_f64_e32 v[46:47], v[42:43]
	v_add_f64_e32 v[52:53], -1.0, v[42:43]
	v_add_f64_e64 v[10:11], v[10:11], -v[52:53]
	s_delay_alu instid0(TRANS32_DEP_1) | instskip(NEXT) | instid1(VALU_DEP_1)
	v_fma_f64 v[48:49], -v[42:43], v[46:47], 1.0
	v_fmac_f64_e32 v[46:47], v[48:49], v[46:47]
	s_delay_alu instid0(VALU_DEP_1) | instskip(NEXT) | instid1(VALU_DEP_1)
	v_fma_f64 v[48:49], -v[42:43], v[46:47], 1.0
	v_fmac_f64_e32 v[46:47], v[48:49], v[46:47]
	s_delay_alu instid0(VALU_DEP_1) | instskip(NEXT) | instid1(VALU_DEP_1)
	v_mul_f64_e32 v[48:49], v[50:51], v[46:47]
	v_mul_f64_e32 v[54:55], v[42:43], v[48:49]
	s_delay_alu instid0(VALU_DEP_1) | instskip(NEXT) | instid1(VALU_DEP_1)
	v_fma_f64 v[42:43], v[48:49], v[42:43], -v[54:55]
	v_fmac_f64_e32 v[42:43], v[48:49], v[10:11]
	s_delay_alu instid0(VALU_DEP_1) | instskip(NEXT) | instid1(VALU_DEP_1)
	v_add_f64_e32 v[10:11], v[54:55], v[42:43]
	v_add_f64_e64 v[52:53], v[50:51], -v[10:11]
	v_add_f64_e64 v[54:55], v[10:11], -v[54:55]
	s_delay_alu instid0(VALU_DEP_2) | instskip(NEXT) | instid1(VALU_DEP_2)
	v_add_f64_e64 v[50:51], v[50:51], -v[52:53]
	v_add_f64_e64 v[42:43], v[54:55], -v[42:43]
	s_delay_alu instid0(VALU_DEP_2) | instskip(SKIP_1) | instid1(VALU_DEP_2)
	v_add_f64_e64 v[10:11], v[50:51], -v[10:11]
	v_max_num_f64_e64 v[50:51], |v[6:7]|, |v[6:7]|
	v_add_f64_e32 v[10:11], v[42:43], v[10:11]
	v_max_num_f64_e64 v[42:43], |v[8:9]|, |v[8:9]|
	s_delay_alu instid0(VALU_DEP_2) | instskip(NEXT) | instid1(VALU_DEP_1)
	v_add_f64_e32 v[10:11], v[52:53], v[10:11]
	v_mul_f64_e32 v[10:11], v[46:47], v[10:11]
	s_delay_alu instid0(VALU_DEP_3) | instskip(SKIP_1) | instid1(VALU_DEP_3)
	v_max_num_f64_e32 v[46:47], v[50:51], v[42:43]
	v_min_num_f64_e32 v[42:43], v[50:51], v[42:43]
	v_add_f64_e32 v[50:51], v[48:49], v[10:11]
	s_delay_alu instid0(VALU_DEP_2) | instskip(NEXT) | instid1(VALU_DEP_2)
	v_div_scale_f64 v[52:53], null, v[46:47], v[46:47], v[42:43]
	v_mul_f64_e32 v[54:55], v[50:51], v[50:51]
	v_add_f64_e64 v[48:49], v[50:51], -v[48:49]
	s_delay_alu instid0(VALU_DEP_3) | instskip(NEXT) | instid1(VALU_DEP_2)
	v_rcp_f64_e32 v[56:57], v[52:53]
	v_fmamk_f64 v[58:59], v[54:55], 0x3fc3ab76bf559e2b, v[24:25]
	v_mul_f64_e32 v[60:61], v[50:51], v[54:55]
	s_delay_alu instid0(VALU_DEP_3) | instskip(NEXT) | instid1(VALU_DEP_3)
	v_add_f64_e64 v[10:11], v[10:11], -v[48:49]
	v_fmaak_f64 v[58:59], v[54:55], v[58:59], 0x3fc7474dd7f4df2e
	s_delay_alu instid0(TRANS32_DEP_1) | instskip(NEXT) | instid1(VALU_DEP_2)
	v_fma_f64 v[62:63], -v[52:53], v[56:57], 1.0
	v_fmaak_f64 v[58:59], v[54:55], v[58:59], 0x3fcc71c016291751
	s_delay_alu instid0(VALU_DEP_1) | instskip(NEXT) | instid1(VALU_DEP_1)
	v_fmaak_f64 v[58:59], v[54:55], v[58:59], 0x3fd249249b27acf1
	v_fmaak_f64 v[58:59], v[54:55], v[58:59], 0x3fd99999998ef7b6
	v_ldexp_f64 v[10:11], v[10:11], 1
	s_delay_alu instid0(VALU_DEP_2) | instskip(SKIP_2) | instid1(VALU_DEP_3)
	v_fmaak_f64 v[54:55], v[54:55], v[58:59], 0x3fe5555555555780
	v_ldexp_f64 v[58:59], v[50:51], 1
	v_fmac_f64_e32 v[56:57], v[56:57], v[62:63]
	v_mul_f64_e32 v[54:55], v[60:61], v[54:55]
	v_cvt_f64_i32_e32 v[60:61], v12
	v_ashrrev_i32_e32 v12, 31, v7
	s_delay_alu instid0(VALU_DEP_1) | instskip(SKIP_3) | instid1(VALU_DEP_3)
	v_and_b32_e32 v21, 0x54442d18, v12
	v_fma_f64 v[62:63], -v[52:53], v[56:57], 1.0
	v_add_f64_e32 v[50:51], v[58:59], v[54:55]
	v_mul_f64_e32 v[64:65], 0x3fe62e42fefa39ef, v[60:61]
	v_fmac_f64_e32 v[56:57], v[56:57], v[62:63]
	s_delay_alu instid0(VALU_DEP_3) | instskip(SKIP_1) | instid1(VALU_DEP_4)
	v_add_f64_e64 v[48:49], v[50:51], -v[58:59]
	v_div_scale_f64 v[58:59], vcc_lo, v[42:43], v[46:47], v[42:43]
	v_fma_f64 v[62:63], v[60:61], s[34:35], -v[64:65]
	s_delay_alu instid0(VALU_DEP_3) | instskip(NEXT) | instid1(VALU_DEP_3)
	v_add_f64_e64 v[48:49], v[54:55], -v[48:49]
	v_mul_f64_e32 v[54:55], v[58:59], v[56:57]
	s_delay_alu instid0(VALU_DEP_3) | instskip(NEXT) | instid1(VALU_DEP_3)
	v_fmac_f64_e32 v[62:63], 0x3c7abc9e3b39803f, v[60:61]
	v_add_f64_e32 v[10:11], v[10:11], v[48:49]
	s_delay_alu instid0(VALU_DEP_3) | instskip(NEXT) | instid1(VALU_DEP_3)
	v_fma_f64 v[48:49], -v[52:53], v[54:55], v[58:59]
	v_add_f64_e32 v[52:53], v[64:65], v[62:63]
	s_delay_alu instid0(VALU_DEP_3) | instskip(NEXT) | instid1(VALU_DEP_3)
	v_add_f64_e32 v[58:59], v[50:51], v[10:11]
	v_div_fmas_f64 v[48:49], v[48:49], v[56:57], v[54:55]
	v_cmp_class_f64_e64 vcc_lo, v[44:45], 0x204
	s_delay_alu instid0(VALU_DEP_4) | instskip(NEXT) | instid1(VALU_DEP_4)
	v_add_f64_e64 v[56:57], v[52:53], -v[64:65]
	v_add_f64_e32 v[54:55], v[52:53], v[58:59]
	s_delay_alu instid0(VALU_DEP_4) | instskip(SKIP_1) | instid1(VALU_DEP_4)
	v_div_fixup_f64 v[42:43], v[48:49], v[46:47], v[42:43]
	v_add_f64_e64 v[50:51], v[58:59], -v[50:51]
	v_add_f64_e64 v[56:57], v[62:63], -v[56:57]
	s_delay_alu instid0(VALU_DEP_4) | instskip(NEXT) | instid1(VALU_DEP_4)
	v_add_f64_e64 v[46:47], v[54:55], -v[52:53]
	v_mul_f64_e32 v[48:49], v[42:43], v[42:43]
	s_delay_alu instid0(VALU_DEP_4) | instskip(NEXT) | instid1(VALU_DEP_3)
	v_add_f64_e64 v[10:11], v[10:11], -v[50:51]
	v_add_f64_e64 v[60:61], v[54:55], -v[46:47]
	s_delay_alu instid0(VALU_DEP_3) | instskip(SKIP_1) | instid1(VALU_DEP_4)
	v_fmamk_f64 v[64:65], v[48:49], 0x3eeba404b5e68a13, v[26:27]
	v_add_f64_e64 v[46:47], v[58:59], -v[46:47]
	v_add_f64_e32 v[58:59], v[56:57], v[10:11]
	s_delay_alu instid0(VALU_DEP_3) | instskip(SKIP_1) | instid1(VALU_DEP_2)
	v_fmaak_f64 v[64:65], v[48:49], v[64:65], 0x3f4b2bb069efb384
	v_add_f64_e64 v[50:51], v[52:53], -v[60:61]
	v_fmaak_f64 v[52:53], v[48:49], v[64:65], 0xbf67952daf56de9b
	s_delay_alu instid0(VALU_DEP_1) | instskip(NEXT) | instid1(VALU_DEP_1)
	v_fmaak_f64 v[52:53], v[48:49], v[52:53], 0x3f7d6d43a595c56f
	v_fmaak_f64 v[52:53], v[48:49], v[52:53], 0xbf8c6ea4a57d9582
	s_delay_alu instid0(VALU_DEP_1) | instskip(SKIP_1) | instid1(VALU_DEP_2)
	v_fmaak_f64 v[52:53], v[48:49], v[52:53], 0x3f967e295f08b19f
	v_add_f64_e32 v[46:47], v[46:47], v[50:51]
	v_fmaak_f64 v[50:51], v[48:49], v[52:53], 0xbf9e9ae6fc27006a
	v_add_f64_e64 v[52:53], v[58:59], -v[56:57]
	s_delay_alu instid0(VALU_DEP_2) | instskip(NEXT) | instid1(VALU_DEP_1)
	v_fmaak_f64 v[50:51], v[48:49], v[50:51], 0x3fa2c15b5711927a
	v_fmaak_f64 v[50:51], v[48:49], v[50:51], 0xbfa59976e82d3ff0
	s_delay_alu instid0(VALU_DEP_1) | instskip(NEXT) | instid1(VALU_DEP_1)
	v_fmaak_f64 v[50:51], v[48:49], v[50:51], 0x3fa82d5d6ef28734
	v_fmaak_f64 v[50:51], v[48:49], v[50:51], 0xbfaae5ce6a214619
	v_add_f64_e32 v[46:47], v[58:59], v[46:47]
	v_add_f64_e64 v[58:59], v[58:59], -v[52:53]
	v_add_f64_e64 v[10:11], v[10:11], -v[52:53]
	s_delay_alu instid0(VALU_DEP_4) | instskip(NEXT) | instid1(VALU_DEP_1)
	v_fmaak_f64 v[50:51], v[48:49], v[50:51], 0x3fae1bb48427b883
	v_fmaak_f64 v[50:51], v[48:49], v[50:51], 0xbfb110e48b207f05
	s_delay_alu instid0(VALU_DEP_1) | instskip(NEXT) | instid1(VALU_DEP_1)
	v_fmaak_f64 v[50:51], v[48:49], v[50:51], 0x3fb3b13657b87036
	v_fmaak_f64 v[50:51], v[48:49], v[50:51], 0xbfb745d119378e4f
	s_delay_alu instid0(VALU_DEP_1) | instskip(SKIP_1) | instid1(VALU_DEP_2)
	v_fmaak_f64 v[50:51], v[48:49], v[50:51], 0x3fbc71c717e1913c
	v_add_f64_e32 v[60:61], v[54:55], v[46:47]
	v_fmaak_f64 v[50:51], v[48:49], v[50:51], 0xbfc2492492376b7d
	s_delay_alu instid0(VALU_DEP_1) | instskip(NEXT) | instid1(VALU_DEP_1)
	v_fmaak_f64 v[50:51], v[48:49], v[50:51], 0x3fc99999999952cc
	v_fmaak_f64 v[50:51], v[48:49], v[50:51], 0xbfd5555555555523
	s_delay_alu instid0(VALU_DEP_1) | instskip(SKIP_2) | instid1(VALU_DEP_3)
	v_mul_f64_e32 v[48:49], v[48:49], v[50:51]
	v_add_f64_e64 v[50:51], v[56:57], -v[58:59]
	v_add_f64_e64 v[52:53], v[60:61], -v[54:55]
	v_fmac_f64_e32 v[42:43], v[42:43], v[48:49]
	s_delay_alu instid0(VALU_DEP_3) | instskip(NEXT) | instid1(VALU_DEP_3)
	v_add_f64_e32 v[10:11], v[10:11], v[50:51]
	v_add_f64_e64 v[46:47], v[46:47], -v[52:53]
	s_delay_alu instid0(VALU_DEP_3) | instskip(NEXT) | instid1(VALU_DEP_2)
	v_add_f64_e64 v[48:49], -v[42:43], s[40:41]
	v_add_f64_e32 v[10:11], v[10:11], v[46:47]
	s_delay_alu instid0(VALU_DEP_2) | instskip(SKIP_2) | instid1(VALU_DEP_4)
	v_dual_cndmask_b32 v43, v43, v49, s6 :: v_dual_cndmask_b32 v42, v42, v48, s6
	v_cmp_gt_i32_e64 s6, 0, v7
	v_and_b32_e32 v7, 0x400921fb, v12
	v_add_f64_e32 v[10:11], v[60:61], v[10:11]
	s_delay_alu instid0(VALU_DEP_4) | instskip(NEXT) | instid1(VALU_DEP_4)
	v_add_f64_e64 v[46:47], -v[42:43], s[42:43]
	v_cndmask_b32_e64 v16, 0x54442d18, v68, s6
	v_cndmask_b32_e64 v6, 0x3fe921fb, v69, s6
	s_delay_alu instid0(VALU_DEP_1) | instskip(SKIP_4) | instid1(VALU_DEP_2)
	v_bfi_b32 v6, 0x7fffffff, v6, v9
	v_dual_cndmask_b32 v11, v11, v45 :: v_dual_cndmask_b32 v10, v10, v44
	v_cmp_eq_f64_e32 vcc_lo, 0, v[8:9]
	v_dual_cndmask_b32 v42, v42, v46, s6 :: v_dual_cndmask_b32 v12, v43, v47, s6
	v_cmp_nge_f64_e64 s6, 0, v[44:45]
	v_dual_add_f64 v[10:11], 1.0, v[10:11] :: v_dual_cndmask_b32 v21, v42, v21, vcc_lo
	s_delay_alu instid0(VALU_DEP_3) | instskip(SKIP_1) | instid1(VALU_DEP_3)
	v_cndmask_b32_e32 v7, v12, v7, vcc_lo
	v_cmp_ngt_f64_e32 vcc_lo, 0, v[44:45]
	v_cndmask_b32_e64 v10, 0, v10, s6
	v_cmp_neq_f64_e64 s6, 0, v[44:45]
	v_cndmask_b32_e32 v11, 0x7ff80000, v11, vcc_lo
	s_and_b32 vcc_lo, s7, s9
	v_dual_cndmask_b32 v43, v7, v6 :: v_dual_cndmask_b32 v42, v21, v16
	s_delay_alu instid0(VALU_DEP_2)
	v_cndmask_b32_e64 v11, 0xfff00000, v11, s6
.LBB185_107:                            ;   in Loop: Header=BB185_4 Depth=1
	s_or_b32 exec_lo, exec_lo, s8
.LBB185_108:                            ;   in Loop: Header=BB185_4 Depth=1
	s_and_not1_saveexec_b32 s6, s17
	s_cbranch_execz .LBB185_114
; %bb.109:                              ;   in Loop: Header=BB185_4 Depth=1
	v_cmp_ngt_f64_e64 s7, 0x20000000, |v[6:7]|
	v_cmp_ngt_f64_e64 s8, 0x20000000, |v[8:9]|
                                        ; implicit-def: $vgpr44_vgpr45
	s_or_b32 s7, s8, s7
	s_delay_alu instid0(SALU_CYCLE_1) | instskip(NEXT) | instid1(SALU_CYCLE_1)
	s_and_saveexec_b32 s8, s7
	s_xor_b32 s7, exec_lo, s8
	s_cbranch_execz .LBB185_111
; %bb.110:                              ;   in Loop: Header=BB185_4 Depth=1
	v_mul_f64_e32 v[44:45], v[6:7], v[6:7]
	s_delay_alu instid0(VALU_DEP_1)
	v_fmac_f64_e32 v[44:45], v[8:9], v[8:9]
.LBB185_111:                            ;   in Loop: Header=BB185_4 Depth=1
	s_and_not1_saveexec_b32 s7, s7
	s_cbranch_execz .LBB185_113
; %bb.112:                              ;   in Loop: Header=BB185_4 Depth=1
	v_mul_f64_e32 v[6:7], 4.0, v[6:7]
	v_mul_f64_e32 v[10:11], 4.0, v[8:9]
	s_delay_alu instid0(VALU_DEP_2) | instskip(NEXT) | instid1(VALU_DEP_1)
	v_mul_f64_e32 v[6:7], v[6:7], v[6:7]
	v_fmac_f64_e32 v[6:7], v[10:11], v[10:11]
	s_delay_alu instid0(VALU_DEP_1)
	v_ldexp_f64 v[44:45], v[6:7], -4
.LBB185_113:                            ;   in Loop: Header=BB185_4 Depth=1
	s_or_b32 exec_lo, exec_lo, s7
	s_delay_alu instid0(VALU_DEP_1) | instskip(NEXT) | instid1(VALU_DEP_1)
	v_frexp_mant_f64_e32 v[6:7], v[44:45]
	v_cmp_gt_f64_e32 vcc_lo, s[30:31], v[6:7]
	v_cndmask_b32_e64 v8, 0, 1, vcc_lo
	s_delay_alu instid0(VALU_DEP_1) | instskip(SKIP_1) | instid1(VALU_DEP_1)
	v_ldexp_f64 v[6:7], v[6:7], v8
	v_frexp_exp_i32_f64_e32 v8, v[44:45]
	v_subrev_co_ci_u32_e64 v8, null, 0, v8, vcc_lo
	v_cmp_class_f64_e64 vcc_lo, v[44:45], 0x204
	s_delay_alu instid0(VALU_DEP_4) | instskip(SKIP_1) | instid1(VALU_DEP_2)
	v_add_f64_e32 v[10:11], 1.0, v[6:7]
	v_add_f64_e32 v[48:49], -1.0, v[6:7]
	v_rcp_f64_e32 v[42:43], v[10:11]
	v_add_f64_e32 v[50:51], -1.0, v[10:11]
	s_delay_alu instid0(VALU_DEP_1) | instskip(NEXT) | instid1(TRANS32_DEP_1)
	v_add_f64_e64 v[6:7], v[6:7], -v[50:51]
	v_fma_f64 v[46:47], -v[10:11], v[42:43], 1.0
	s_delay_alu instid0(VALU_DEP_1) | instskip(NEXT) | instid1(VALU_DEP_1)
	v_fmac_f64_e32 v[42:43], v[46:47], v[42:43]
	v_fma_f64 v[46:47], -v[10:11], v[42:43], 1.0
	s_delay_alu instid0(VALU_DEP_1) | instskip(NEXT) | instid1(VALU_DEP_1)
	v_fmac_f64_e32 v[42:43], v[46:47], v[42:43]
	v_mul_f64_e32 v[46:47], v[48:49], v[42:43]
	s_delay_alu instid0(VALU_DEP_1) | instskip(NEXT) | instid1(VALU_DEP_1)
	v_mul_f64_e32 v[52:53], v[10:11], v[46:47]
	v_fma_f64 v[10:11], v[46:47], v[10:11], -v[52:53]
	s_delay_alu instid0(VALU_DEP_1) | instskip(NEXT) | instid1(VALU_DEP_1)
	v_fmac_f64_e32 v[10:11], v[46:47], v[6:7]
	v_add_f64_e32 v[6:7], v[52:53], v[10:11]
	s_delay_alu instid0(VALU_DEP_1) | instskip(SKIP_1) | instid1(VALU_DEP_2)
	v_add_f64_e64 v[50:51], v[48:49], -v[6:7]
	v_add_f64_e64 v[52:53], v[6:7], -v[52:53]
	;; [unrolled: 1-line block ×3, first 2 shown]
	s_delay_alu instid0(VALU_DEP_2) | instskip(NEXT) | instid1(VALU_DEP_2)
	v_add_f64_e64 v[10:11], v[52:53], -v[10:11]
	v_add_f64_e64 v[6:7], v[48:49], -v[6:7]
	s_delay_alu instid0(VALU_DEP_1) | instskip(NEXT) | instid1(VALU_DEP_1)
	v_add_f64_e32 v[6:7], v[10:11], v[6:7]
	v_add_f64_e32 v[6:7], v[50:51], v[6:7]
	s_delay_alu instid0(VALU_DEP_1) | instskip(NEXT) | instid1(VALU_DEP_1)
	v_mul_f64_e32 v[6:7], v[42:43], v[6:7]
	v_add_f64_e32 v[10:11], v[46:47], v[6:7]
	s_delay_alu instid0(VALU_DEP_1) | instskip(NEXT) | instid1(VALU_DEP_1)
	v_mul_f64_e32 v[42:43], v[10:11], v[10:11]
	v_fmamk_f64 v[48:49], v[42:43], 0x3fc3ab76bf559e2b, v[24:25]
	v_mul_f64_e32 v[50:51], v[10:11], v[42:43]
	s_delay_alu instid0(VALU_DEP_2) | instskip(NEXT) | instid1(VALU_DEP_1)
	v_fmaak_f64 v[48:49], v[42:43], v[48:49], 0x3fc7474dd7f4df2e
	v_fmaak_f64 v[48:49], v[42:43], v[48:49], 0x3fcc71c016291751
	s_delay_alu instid0(VALU_DEP_1) | instskip(NEXT) | instid1(VALU_DEP_1)
	v_fmaak_f64 v[48:49], v[42:43], v[48:49], 0x3fd249249b27acf1
	v_fmaak_f64 v[48:49], v[42:43], v[48:49], 0x3fd99999998ef7b6
	s_delay_alu instid0(VALU_DEP_1) | instskip(SKIP_2) | instid1(VALU_DEP_3)
	v_fmaak_f64 v[42:43], v[42:43], v[48:49], 0x3fe5555555555780
	v_ldexp_f64 v[48:49], v[10:11], 1
	v_add_f64_e64 v[10:11], v[10:11], -v[46:47]
	v_mul_f64_e32 v[42:43], v[50:51], v[42:43]
	v_cvt_f64_i32_e32 v[50:51], v8
	s_delay_alu instid0(VALU_DEP_3) | instskip(NEXT) | instid1(VALU_DEP_3)
	v_add_f64_e64 v[6:7], v[6:7], -v[10:11]
	v_add_f64_e32 v[46:47], v[48:49], v[42:43]
	s_delay_alu instid0(VALU_DEP_3) | instskip(NEXT) | instid1(VALU_DEP_3)
	v_mul_f64_e32 v[52:53], 0x3fe62e42fefa39ef, v[50:51]
	v_ldexp_f64 v[6:7], v[6:7], 1
	s_delay_alu instid0(VALU_DEP_3) | instskip(NEXT) | instid1(VALU_DEP_3)
	v_add_f64_e64 v[10:11], v[46:47], -v[48:49]
	v_fma_f64 v[48:49], v[50:51], s[34:35], -v[52:53]
	s_delay_alu instid0(VALU_DEP_2) | instskip(NEXT) | instid1(VALU_DEP_2)
	v_add_f64_e64 v[10:11], v[42:43], -v[10:11]
	v_fmac_f64_e32 v[48:49], 0x3c7abc9e3b39803f, v[50:51]
	s_delay_alu instid0(VALU_DEP_2) | instskip(NEXT) | instid1(VALU_DEP_2)
	v_add_f64_e32 v[6:7], v[6:7], v[10:11]
	v_add_f64_e32 v[10:11], v[52:53], v[48:49]
	s_delay_alu instid0(VALU_DEP_2) | instskip(NEXT) | instid1(VALU_DEP_2)
	v_add_f64_e32 v[42:43], v[46:47], v[6:7]
	v_add_f64_e64 v[52:53], v[10:11], -v[52:53]
	s_delay_alu instid0(VALU_DEP_2) | instskip(SKIP_1) | instid1(VALU_DEP_3)
	v_add_f64_e32 v[50:51], v[10:11], v[42:43]
	v_add_f64_e64 v[46:47], v[42:43], -v[46:47]
	v_add_f64_e64 v[48:49], v[48:49], -v[52:53]
	s_delay_alu instid0(VALU_DEP_3) | instskip(NEXT) | instid1(VALU_DEP_3)
	v_add_f64_e64 v[54:55], v[50:51], -v[10:11]
	v_add_f64_e64 v[6:7], v[6:7], -v[46:47]
	s_delay_alu instid0(VALU_DEP_2) | instskip(SKIP_1) | instid1(VALU_DEP_3)
	v_add_f64_e64 v[56:57], v[50:51], -v[54:55]
	v_add_f64_e64 v[42:43], v[42:43], -v[54:55]
	v_add_f64_e32 v[46:47], v[48:49], v[6:7]
	s_delay_alu instid0(VALU_DEP_3) | instskip(NEXT) | instid1(VALU_DEP_1)
	v_add_f64_e64 v[10:11], v[10:11], -v[56:57]
	v_add_f64_e32 v[10:11], v[42:43], v[10:11]
	s_delay_alu instid0(VALU_DEP_3) | instskip(NEXT) | instid1(VALU_DEP_2)
	v_add_f64_e64 v[42:43], v[46:47], -v[48:49]
	v_add_f64_e32 v[10:11], v[46:47], v[10:11]
	s_delay_alu instid0(VALU_DEP_2) | instskip(SKIP_1) | instid1(VALU_DEP_3)
	v_add_f64_e64 v[46:47], v[46:47], -v[42:43]
	v_add_f64_e64 v[6:7], v[6:7], -v[42:43]
	v_add_f64_e32 v[52:53], v[50:51], v[10:11]
	s_delay_alu instid0(VALU_DEP_3) | instskip(NEXT) | instid1(VALU_DEP_2)
	v_add_f64_e64 v[42:43], v[48:49], -v[46:47]
	v_add_f64_e64 v[46:47], v[52:53], -v[50:51]
	s_delay_alu instid0(VALU_DEP_2) | instskip(SKIP_1) | instid1(VALU_DEP_3)
	v_add_f64_e32 v[6:7], v[6:7], v[42:43]
	v_mov_b64_e32 v[42:43], 0x7ff8000000000000
	v_add_f64_e64 v[10:11], v[10:11], -v[46:47]
	s_delay_alu instid0(VALU_DEP_1) | instskip(NEXT) | instid1(VALU_DEP_1)
	v_add_f64_e32 v[6:7], v[6:7], v[10:11]
	v_add_f64_e32 v[6:7], v[52:53], v[6:7]
	s_delay_alu instid0(VALU_DEP_1) | instskip(SKIP_1) | instid1(VALU_DEP_2)
	v_dual_cndmask_b32 v6, v6, v44 :: v_dual_cndmask_b32 v7, v7, v45
	v_cmp_ngt_f64_e32 vcc_lo, 0, v[44:45]
	v_cndmask_b32_e32 v7, 0x7ff80000, v7, vcc_lo
	v_cmp_nge_f64_e32 vcc_lo, 0, v[44:45]
	s_delay_alu instid0(VALU_DEP_4) | instskip(SKIP_1) | instid1(VALU_DEP_4)
	v_cndmask_b32_e32 v10, 0, v6, vcc_lo
	v_cmp_neq_f64_e32 vcc_lo, 0, v[44:45]
	v_cndmask_b32_e32 v11, 0xfff00000, v7, vcc_lo
.LBB185_114:                            ;   in Loop: Header=BB185_4 Depth=1
	s_or_b32 exec_lo, exec_lo, s6
                                        ; implicit-def: $vgpr6_vgpr7
                                        ; implicit-def: $vgpr44_vgpr45
	s_delay_alu instid0(SALU_CYCLE_1)
	s_mov_b32 s6, exec_lo
	v_cmpx_o_f64_e32 v[2:3], v[4:5]
	s_xor_b32 s17, exec_lo, s6
	s_cbranch_execnz .LBB185_120
; %bb.115:                              ;   in Loop: Header=BB185_4 Depth=1
	s_and_not1_saveexec_b32 s6, s17
	s_cbranch_execnz .LBB185_147
.LBB185_116:                            ;   in Loop: Header=BB185_4 Depth=1
	s_or_b32 exec_lo, exec_lo, s6
	s_and_saveexec_b32 s6, s5
	s_delay_alu instid0(SALU_CYCLE_1)
	s_xor_b32 s6, exec_lo, s6
	s_cbranch_execnz .LBB185_152
.LBB185_117:                            ;   in Loop: Header=BB185_4 Depth=1
	s_or_b32 exec_lo, exec_lo, s6
	s_and_saveexec_b32 s5, s4
	s_cbranch_execnz .LBB185_153
.LBB185_118:                            ;   in Loop: Header=BB185_4 Depth=1
	s_or_b32 exec_lo, exec_lo, s5
	s_and_saveexec_b32 s4, s3
	s_cbranch_execnz .LBB185_154
.LBB185_119:                            ;   in Loop: Header=BB185_4 Depth=1
	s_or_b32 exec_lo, exec_lo, s4
	s_and_saveexec_b32 s3, s2
	s_cbranch_execz .LBB185_3
	s_branch .LBB185_155
.LBB185_120:                            ;   in Loop: Header=BB185_4 Depth=1
	v_cmp_lt_f64_e64 s6, |v[2:3]|, |v[4:5]|
	v_and_b32_e32 v12, 0x7fffffff, v3
	v_and_b32_e32 v21, 0x7fffffff, v5
	v_mov_b32_e32 v8, v4
                                        ; implicit-def: $vgpr6_vgpr7
                                        ; implicit-def: $vgpr44_vgpr45
	s_mov_b32 s7, exec_lo
	s_delay_alu instid0(VALU_DEP_2) | instskip(NEXT) | instid1(VALU_DEP_1)
	v_dual_cndmask_b32 v49, v21, v12, s6 :: v_dual_cndmask_b32 v48, v4, v2, s6
	v_cmpx_nlt_f64_e32 s[24:25], v[48:49]
	s_xor_b32 s33, exec_lo, s7
	s_cbranch_execz .LBB185_144
; %bb.121:                              ;   in Loop: Header=BB185_4 Depth=1
	v_dual_cndmask_b32 v51, v12, v21, s6 :: v_dual_cndmask_b32 v50, v2, v8, s6
                                        ; implicit-def: $vgpr6_vgpr7
                                        ; implicit-def: $vgpr44_vgpr45
	s_mov_b32 s7, exec_lo
	s_delay_alu instid0(VALU_DEP_1)
	v_cmpx_neq_f64_e32 1.0, v[50:51]
	s_xor_b32 s56, exec_lo, s7
	s_cbranch_execz .LBB185_137
; %bb.122:                              ;   in Loop: Header=BB185_4 Depth=1
	v_max_num_f64_e32 v[6:7], v[48:49], v[48:49]
	v_max_num_f64_e32 v[44:45], v[50:51], v[50:51]
	s_delay_alu instid0(VALU_DEP_1) | instskip(SKIP_1) | instid1(VALU_DEP_2)
	v_min_num_f64_e32 v[46:47], v[44:45], v[6:7]
	v_max_num_f64_e32 v[6:7], v[44:45], v[6:7]
                                        ; implicit-def: $vgpr44_vgpr45
	v_cmp_ngt_f64_e32 vcc_lo, s[26:27], v[46:47]
	s_delay_alu instid0(VALU_DEP_2) | instskip(SKIP_1) | instid1(SALU_CYCLE_1)
	v_cmp_nlt_f64_e64 s7, s[28:29], v[6:7]
                                        ; implicit-def: $vgpr6_vgpr7
	s_and_b32 s7, s7, vcc_lo
	s_and_saveexec_b32 s8, s7
	s_delay_alu instid0(SALU_CYCLE_1)
	s_xor_b32 s57, exec_lo, s8
	s_cbranch_execz .LBB185_134
; %bb.123:                              ;   in Loop: Header=BB185_4 Depth=1
                                        ; implicit-def: $vgpr6_vgpr7
                                        ; implicit-def: $vgpr44_vgpr45
	s_mov_b32 s7, exec_lo
	v_cmpx_le_f64_e32 1.0, v[50:51]
	s_xor_b32 s10, exec_lo, s7
	s_cbranch_execz .LBB185_125
; %bb.124:                              ;   in Loop: Header=BB185_4 Depth=1
	v_add_f64_e32 v[6:7], -1.0, v[50:51]
	v_cmp_eq_f64_e64 s7, 0, v[4:5]
	v_add_f64_e32 v[44:45], 1.0, v[50:51]
	v_cmp_class_f64_e64 s12, v[2:3], 0x204
	v_cmp_class_f64_e64 s11, v[4:5], 0x204
	s_delay_alu instid0(VALU_DEP_3) | instskip(NEXT) | instid1(VALU_DEP_1)
	v_mul_f64_e32 v[46:47], v[6:7], v[44:45]
	v_fmac_f64_e32 v[46:47], v[48:49], v[48:49]
	s_delay_alu instid0(VALU_DEP_1) | instskip(SKIP_2) | instid1(VALU_DEP_3)
	v_add_f64_e32 v[6:7], 1.0, v[46:47]
	v_cmp_nge_f64_e64 s8, -1.0, v[46:47]
	v_cmp_neq_f64_e64 s9, 0x7ff00000, v[46:47]
	v_frexp_mant_f64_e32 v[44:45], v[6:7]
	v_frexp_exp_i32_f64_e32 v8, v[6:7]
	v_add_f64_e32 v[48:49], -1.0, v[6:7]
	s_delay_alu instid0(VALU_DEP_3) | instskip(NEXT) | instid1(VALU_DEP_2)
	v_cmp_gt_f64_e32 vcc_lo, s[30:31], v[44:45]
	v_add_f64_e64 v[44:45], v[48:49], -v[6:7]
	v_add_f64_e64 v[48:49], v[46:47], -v[48:49]
	v_subrev_co_ci_u32_e64 v8, null, 0, v8, vcc_lo
	s_delay_alu instid0(VALU_DEP_3) | instskip(NEXT) | instid1(VALU_DEP_2)
	v_add_f64_e32 v[44:45], 1.0, v[44:45]
	v_sub_nc_u32_e32 v12, 0, v8
	s_delay_alu instid0(VALU_DEP_1) | instskip(NEXT) | instid1(VALU_DEP_3)
	v_ldexp_f64 v[6:7], v[6:7], v12
	v_add_f64_e32 v[44:45], v[48:49], v[44:45]
	s_delay_alu instid0(VALU_DEP_2) | instskip(SKIP_1) | instid1(VALU_DEP_3)
	v_add_f64_e32 v[50:51], 1.0, v[6:7]
	v_add_f64_e32 v[56:57], -1.0, v[6:7]
	v_ldexp_f64 v[44:45], v[44:45], v12
	s_delay_alu instid0(VALU_DEP_3) | instskip(NEXT) | instid1(VALU_DEP_3)
	v_add_f64_e32 v[48:49], -1.0, v[50:51]
	v_add_f64_e32 v[58:59], 1.0, v[56:57]
	s_delay_alu instid0(VALU_DEP_2) | instskip(NEXT) | instid1(VALU_DEP_2)
	v_add_f64_e64 v[48:49], v[6:7], -v[48:49]
	v_add_f64_e64 v[6:7], v[6:7], -v[58:59]
	s_delay_alu instid0(VALU_DEP_2) | instskip(NEXT) | instid1(VALU_DEP_2)
	v_add_f64_e32 v[48:49], v[44:45], v[48:49]
	v_add_f64_e32 v[6:7], v[44:45], v[6:7]
	s_delay_alu instid0(VALU_DEP_2) | instskip(NEXT) | instid1(VALU_DEP_2)
	v_add_f64_e32 v[52:53], v[50:51], v[48:49]
	v_add_f64_e32 v[58:59], v[56:57], v[6:7]
	s_delay_alu instid0(VALU_DEP_2) | instskip(SKIP_1) | instid1(VALU_DEP_2)
	v_rcp_f64_e32 v[54:55], v[52:53]
	v_add_f64_e64 v[50:51], v[52:53], -v[50:51]
	v_add_f64_e64 v[56:57], v[58:59], -v[56:57]
	s_delay_alu instid0(VALU_DEP_2) | instskip(NEXT) | instid1(VALU_DEP_2)
	v_add_f64_e64 v[48:49], v[48:49], -v[50:51]
	v_add_f64_e64 v[6:7], v[6:7], -v[56:57]
	s_delay_alu instid0(TRANS32_DEP_1) | instskip(NEXT) | instid1(VALU_DEP_1)
	v_fma_f64 v[60:61], -v[52:53], v[54:55], 1.0
	v_fmac_f64_e32 v[54:55], v[60:61], v[54:55]
	s_delay_alu instid0(VALU_DEP_1) | instskip(NEXT) | instid1(VALU_DEP_1)
	v_fma_f64 v[44:45], -v[52:53], v[54:55], 1.0
	v_fmac_f64_e32 v[54:55], v[44:45], v[54:55]
	s_delay_alu instid0(VALU_DEP_1) | instskip(NEXT) | instid1(VALU_DEP_1)
	v_mul_f64_e32 v[44:45], v[58:59], v[54:55]
	v_mul_f64_e32 v[60:61], v[52:53], v[44:45]
	s_delay_alu instid0(VALU_DEP_1) | instskip(NEXT) | instid1(VALU_DEP_1)
	v_fma_f64 v[50:51], v[44:45], v[52:53], -v[60:61]
	v_fmac_f64_e32 v[50:51], v[44:45], v[48:49]
	s_delay_alu instid0(VALU_DEP_1) | instskip(NEXT) | instid1(VALU_DEP_1)
	v_add_f64_e32 v[62:63], v[60:61], v[50:51]
	v_add_f64_e64 v[64:65], v[58:59], -v[62:63]
	v_add_f64_e64 v[56:57], v[62:63], -v[60:61]
	s_delay_alu instid0(VALU_DEP_2) | instskip(NEXT) | instid1(VALU_DEP_2)
	v_add_f64_e64 v[58:59], v[58:59], -v[64:65]
	v_add_f64_e64 v[50:51], v[56:57], -v[50:51]
	s_delay_alu instid0(VALU_DEP_2) | instskip(NEXT) | instid1(VALU_DEP_1)
	v_add_f64_e64 v[58:59], v[58:59], -v[62:63]
	v_add_f64_e32 v[6:7], v[6:7], v[58:59]
	s_delay_alu instid0(VALU_DEP_1) | instskip(NEXT) | instid1(VALU_DEP_1)
	v_add_f64_e32 v[6:7], v[50:51], v[6:7]
	v_add_f64_e32 v[50:51], v[64:65], v[6:7]
	s_delay_alu instid0(VALU_DEP_1) | instskip(SKIP_1) | instid1(VALU_DEP_2)
	v_mul_f64_e32 v[56:57], v[54:55], v[50:51]
	v_add_f64_e64 v[62:63], v[64:65], -v[50:51]
	v_mul_f64_e32 v[58:59], v[52:53], v[56:57]
	s_delay_alu instid0(VALU_DEP_2) | instskip(NEXT) | instid1(VALU_DEP_2)
	v_add_f64_e32 v[6:7], v[6:7], v[62:63]
	v_fma_f64 v[52:53], v[56:57], v[52:53], -v[58:59]
	s_delay_alu instid0(VALU_DEP_1) | instskip(NEXT) | instid1(VALU_DEP_1)
	v_fmac_f64_e32 v[52:53], v[56:57], v[48:49]
	v_add_f64_e32 v[48:49], v[58:59], v[52:53]
	s_delay_alu instid0(VALU_DEP_1) | instskip(SKIP_1) | instid1(VALU_DEP_2)
	v_add_f64_e64 v[60:61], v[50:51], -v[48:49]
	v_add_f64_e64 v[58:59], v[48:49], -v[58:59]
	;; [unrolled: 1-line block ×3, first 2 shown]
	s_delay_alu instid0(VALU_DEP_1) | instskip(NEXT) | instid1(VALU_DEP_3)
	v_add_f64_e64 v[48:49], v[50:51], -v[48:49]
	v_add_f64_e64 v[50:51], v[58:59], -v[52:53]
	v_max_num_f64_e64 v[52:53], |v[2:3]|, |v[2:3]|
	s_delay_alu instid0(VALU_DEP_3) | instskip(SKIP_1) | instid1(VALU_DEP_2)
	v_add_f64_e32 v[6:7], v[6:7], v[48:49]
	v_add_f64_e32 v[48:49], v[44:45], v[56:57]
	;; [unrolled: 1-line block ×3, first 2 shown]
	s_delay_alu instid0(VALU_DEP_2) | instskip(SKIP_1) | instid1(VALU_DEP_3)
	v_add_f64_e64 v[44:45], v[48:49], -v[44:45]
	v_max_num_f64_e64 v[50:51], |v[4:5]|, |v[4:5]|
	v_add_f64_e32 v[6:7], v[60:61], v[6:7]
	s_delay_alu instid0(VALU_DEP_3) | instskip(NEXT) | instid1(VALU_DEP_2)
	v_add_f64_e64 v[44:45], v[56:57], -v[44:45]
	v_mul_f64_e32 v[6:7], v[54:55], v[6:7]
	s_delay_alu instid0(VALU_DEP_1) | instskip(SKIP_2) | instid1(VALU_DEP_3)
	v_add_f64_e32 v[6:7], v[44:45], v[6:7]
	v_max_num_f64_e32 v[44:45], v[52:53], v[50:51]
	v_min_num_f64_e32 v[50:51], v[52:53], v[50:51]
	v_add_f64_e32 v[52:53], v[48:49], v[6:7]
	s_delay_alu instid0(VALU_DEP_2) | instskip(NEXT) | instid1(VALU_DEP_2)
	v_div_scale_f64 v[54:55], null, v[44:45], v[44:45], v[50:51]
	v_mul_f64_e32 v[56:57], v[52:53], v[52:53]
	v_add_f64_e64 v[48:49], v[52:53], -v[48:49]
	s_delay_alu instid0(VALU_DEP_3) | instskip(NEXT) | instid1(VALU_DEP_2)
	v_rcp_f64_e32 v[58:59], v[54:55]
	v_fmamk_f64 v[60:61], v[56:57], 0x3fc3ab76bf559e2b, v[24:25]
	v_mul_f64_e32 v[62:63], v[52:53], v[56:57]
	s_delay_alu instid0(VALU_DEP_3) | instskip(NEXT) | instid1(VALU_DEP_3)
	v_add_f64_e64 v[6:7], v[6:7], -v[48:49]
	v_fmaak_f64 v[60:61], v[56:57], v[60:61], 0x3fc7474dd7f4df2e
	s_delay_alu instid0(TRANS32_DEP_1) | instskip(NEXT) | instid1(VALU_DEP_2)
	v_fma_f64 v[64:65], -v[54:55], v[58:59], 1.0
	v_fmaak_f64 v[60:61], v[56:57], v[60:61], 0x3fcc71c016291751
	s_delay_alu instid0(VALU_DEP_1) | instskip(NEXT) | instid1(VALU_DEP_1)
	v_fmaak_f64 v[60:61], v[56:57], v[60:61], 0x3fd249249b27acf1
	v_fmaak_f64 v[60:61], v[56:57], v[60:61], 0x3fd99999998ef7b6
	v_ldexp_f64 v[6:7], v[6:7], 1
	s_delay_alu instid0(VALU_DEP_2) | instskip(SKIP_2) | instid1(VALU_DEP_3)
	v_fmaak_f64 v[56:57], v[56:57], v[60:61], 0x3fe5555555555780
	v_ldexp_f64 v[60:61], v[52:53], 1
	v_fmac_f64_e32 v[58:59], v[58:59], v[64:65]
	v_mul_f64_e32 v[56:57], v[62:63], v[56:57]
	v_cvt_f64_i32_e32 v[62:63], v8
	v_ashrrev_i32_e32 v8, 31, v3
	s_delay_alu instid0(VALU_DEP_1) | instskip(SKIP_3) | instid1(VALU_DEP_3)
	v_and_b32_e32 v16, 0x54442d18, v8
	v_fma_f64 v[64:65], -v[54:55], v[58:59], 1.0
	v_add_f64_e32 v[52:53], v[60:61], v[56:57]
	v_mul_f64_e32 v[66:67], 0x3fe62e42fefa39ef, v[62:63]
	v_fmac_f64_e32 v[58:59], v[58:59], v[64:65]
	s_delay_alu instid0(VALU_DEP_3) | instskip(SKIP_1) | instid1(VALU_DEP_4)
	v_add_f64_e64 v[48:49], v[52:53], -v[60:61]
	v_div_scale_f64 v[60:61], vcc_lo, v[50:51], v[44:45], v[50:51]
	v_fma_f64 v[64:65], v[62:63], s[34:35], -v[66:67]
	s_delay_alu instid0(VALU_DEP_3) | instskip(NEXT) | instid1(VALU_DEP_3)
	v_add_f64_e64 v[48:49], v[56:57], -v[48:49]
	v_mul_f64_e32 v[56:57], v[60:61], v[58:59]
	s_delay_alu instid0(VALU_DEP_3) | instskip(NEXT) | instid1(VALU_DEP_3)
	v_fmac_f64_e32 v[64:65], 0x3c7abc9e3b39803f, v[62:63]
	v_add_f64_e32 v[6:7], v[6:7], v[48:49]
	s_delay_alu instid0(VALU_DEP_3) | instskip(NEXT) | instid1(VALU_DEP_3)
	v_fma_f64 v[48:49], -v[54:55], v[56:57], v[60:61]
	v_add_f64_e32 v[54:55], v[66:67], v[64:65]
	s_delay_alu instid0(VALU_DEP_3) | instskip(NEXT) | instid1(VALU_DEP_3)
	v_add_f64_e32 v[60:61], v[52:53], v[6:7]
	v_div_fmas_f64 v[48:49], v[48:49], v[58:59], v[56:57]
	v_cmp_gt_i32_e32 vcc_lo, 0, v3
	s_delay_alu instid0(VALU_DEP_4) | instskip(SKIP_3) | instid1(VALU_DEP_1)
	v_add_f64_e64 v[58:59], v[54:55], -v[66:67]
	v_and_b32_e32 v3, 0x400921fb, v8
	v_cndmask_b32_e32 v12, 0x54442d18, v68, vcc_lo
	v_cndmask_b32_e32 v2, 0x3fe921fb, v69, vcc_lo
	v_bfi_b32 v2, 0x7fffffff, v2, v5
	v_add_f64_e32 v[56:57], v[54:55], v[60:61]
	v_div_fixup_f64 v[44:45], v[48:49], v[44:45], v[50:51]
	v_add_f64_e64 v[52:53], v[60:61], -v[52:53]
	v_add_f64_e64 v[58:59], v[64:65], -v[58:59]
	s_delay_alu instid0(VALU_DEP_4) | instskip(NEXT) | instid1(VALU_DEP_4)
	v_add_f64_e64 v[48:49], v[56:57], -v[54:55]
	v_mul_f64_e32 v[50:51], v[44:45], v[44:45]
	s_delay_alu instid0(VALU_DEP_4) | instskip(NEXT) | instid1(VALU_DEP_3)
	v_add_f64_e64 v[6:7], v[6:7], -v[52:53]
	v_add_f64_e64 v[62:63], v[56:57], -v[48:49]
	s_delay_alu instid0(VALU_DEP_3) | instskip(SKIP_1) | instid1(VALU_DEP_4)
	v_fmamk_f64 v[66:67], v[50:51], 0x3eeba404b5e68a13, v[26:27]
	v_add_f64_e64 v[48:49], v[60:61], -v[48:49]
	v_add_f64_e32 v[60:61], v[58:59], v[6:7]
	s_delay_alu instid0(VALU_DEP_3) | instskip(SKIP_1) | instid1(VALU_DEP_2)
	v_fmaak_f64 v[66:67], v[50:51], v[66:67], 0x3f4b2bb069efb384
	v_add_f64_e64 v[52:53], v[54:55], -v[62:63]
	v_fmaak_f64 v[54:55], v[50:51], v[66:67], 0xbf67952daf56de9b
	s_delay_alu instid0(VALU_DEP_1) | instskip(NEXT) | instid1(VALU_DEP_1)
	v_fmaak_f64 v[54:55], v[50:51], v[54:55], 0x3f7d6d43a595c56f
	v_fmaak_f64 v[54:55], v[50:51], v[54:55], 0xbf8c6ea4a57d9582
	s_delay_alu instid0(VALU_DEP_1) | instskip(NEXT) | instid1(VALU_DEP_1)
	v_fmaak_f64 v[54:55], v[50:51], v[54:55], 0x3f967e295f08b19f
	v_fmaak_f64 v[54:55], v[50:51], v[54:55], 0xbf9e9ae6fc27006a
	v_add_f64_e32 v[48:49], v[48:49], v[52:53]
	s_delay_alu instid0(VALU_DEP_2) | instskip(SKIP_1) | instid1(VALU_DEP_2)
	v_fmaak_f64 v[52:53], v[50:51], v[54:55], 0x3fa2c15b5711927a
	v_add_f64_e64 v[54:55], v[60:61], -v[58:59]
	v_fmaak_f64 v[52:53], v[50:51], v[52:53], 0xbfa59976e82d3ff0
	s_delay_alu instid0(VALU_DEP_1) | instskip(NEXT) | instid1(VALU_DEP_1)
	v_fmaak_f64 v[52:53], v[50:51], v[52:53], 0x3fa82d5d6ef28734
	v_fmaak_f64 v[52:53], v[50:51], v[52:53], 0xbfaae5ce6a214619
	s_delay_alu instid0(VALU_DEP_1) | instskip(SKIP_3) | instid1(VALU_DEP_4)
	v_fmaak_f64 v[52:53], v[50:51], v[52:53], 0x3fae1bb48427b883
	v_add_f64_e32 v[48:49], v[60:61], v[48:49]
	v_add_f64_e64 v[60:61], v[60:61], -v[54:55]
	v_add_f64_e64 v[6:7], v[6:7], -v[54:55]
	v_fmaak_f64 v[52:53], v[50:51], v[52:53], 0xbfb110e48b207f05
	s_delay_alu instid0(VALU_DEP_1) | instskip(NEXT) | instid1(VALU_DEP_1)
	v_fmaak_f64 v[52:53], v[50:51], v[52:53], 0x3fb3b13657b87036
	v_fmaak_f64 v[52:53], v[50:51], v[52:53], 0xbfb745d119378e4f
	s_delay_alu instid0(VALU_DEP_1) | instskip(SKIP_1) | instid1(VALU_DEP_2)
	v_fmaak_f64 v[52:53], v[50:51], v[52:53], 0x3fbc71c717e1913c
	v_add_f64_e32 v[62:63], v[56:57], v[48:49]
	v_fmaak_f64 v[52:53], v[50:51], v[52:53], 0xbfc2492492376b7d
	s_delay_alu instid0(VALU_DEP_1) | instskip(NEXT) | instid1(VALU_DEP_1)
	v_fmaak_f64 v[52:53], v[50:51], v[52:53], 0x3fc99999999952cc
	v_fmaak_f64 v[52:53], v[50:51], v[52:53], 0xbfd5555555555523
	s_delay_alu instid0(VALU_DEP_1) | instskip(SKIP_2) | instid1(VALU_DEP_3)
	v_mul_f64_e32 v[50:51], v[50:51], v[52:53]
	v_add_f64_e64 v[52:53], v[58:59], -v[60:61]
	v_add_f64_e64 v[54:55], v[62:63], -v[56:57]
	v_fmac_f64_e32 v[44:45], v[44:45], v[50:51]
	s_delay_alu instid0(VALU_DEP_3) | instskip(NEXT) | instid1(VALU_DEP_3)
	v_add_f64_e32 v[6:7], v[6:7], v[52:53]
	v_add_f64_e64 v[48:49], v[48:49], -v[54:55]
	s_delay_alu instid0(VALU_DEP_3) | instskip(NEXT) | instid1(VALU_DEP_1)
	v_add_f64_e64 v[50:51], -v[44:45], s[40:41]
	v_dual_add_f64 v[6:7], v[6:7], v[48:49] :: v_dual_cndmask_b32 v45, v45, v51, s6
	s_delay_alu instid0(VALU_DEP_2) | instskip(NEXT) | instid1(VALU_DEP_1)
	v_cndmask_b32_e64 v44, v44, v50, s6
                                        ; implicit-def: $vgpr50_vgpr51
	v_add_f64_e64 v[48:49], -v[44:45], s[42:43]
	s_delay_alu instid0(VALU_DEP_1) | instskip(NEXT) | instid1(VALU_DEP_2)
	v_dual_add_f64 v[6:7], v[62:63], v[6:7] :: v_dual_cndmask_b32 v21, v44, v48, vcc_lo
	v_cndmask_b32_e32 v8, v45, v49, vcc_lo
	v_cmp_ngt_f64_e32 vcc_lo, -1.0, v[46:47]
	s_delay_alu instid0(VALU_DEP_3) | instskip(NEXT) | instid1(VALU_DEP_3)
	v_mul_f64_e32 v[6:7], 0.5, v[6:7]
                                        ; implicit-def: $vgpr48_vgpr49
	v_dual_cndmask_b32 v16, v21, v16, s7 :: v_dual_cndmask_b32 v3, v8, v3, s7
	s_and_b32 s7, s8, s9
	s_delay_alu instid0(VALU_DEP_2) | instid1(SALU_CYCLE_1)
	v_cndmask_b32_e64 v6, 0, v6, s7
	v_cmp_neq_f64_e64 s7, -1.0, v[46:47]
	s_delay_alu instid0(VALU_DEP_4) | instskip(NEXT) | instid1(VALU_DEP_1)
	v_cndmask_b32_e64 v7, 0x7ff00000, v7, s9
	v_cndmask_b32_e32 v7, 0x7ff80000, v7, vcc_lo
	s_and_b32 vcc_lo, s11, s12
	v_dual_cndmask_b32 v45, v3, v2 :: v_dual_cndmask_b32 v44, v16, v12
	s_delay_alu instid0(VALU_DEP_2)
	v_cndmask_b32_e64 v7, 0xfff00000, v7, s7
.LBB185_125:                            ;   in Loop: Header=BB185_4 Depth=1
	s_and_not1_saveexec_b32 s58, s10
	s_cbranch_execz .LBB185_133
; %bb.126:                              ;   in Loop: Header=BB185_4 Depth=1
	v_mul_f64_e32 v[46:47], v[48:49], v[48:49]
                                        ; implicit-def: $vgpr6_vgpr7
                                        ; implicit-def: $vgpr44_vgpr45
	s_mov_b32 s7, exec_lo
	s_delay_alu instid0(VALU_DEP_1) | instskip(NEXT) | instid1(VALU_DEP_1)
	v_fmac_f64_e32 v[46:47], v[50:51], v[50:51]
	v_cmpx_ge_f64_e32 s[44:45], v[46:47]
	s_xor_b32 s9, exec_lo, s7
	s_cbranch_execz .LBB185_128
; %bb.127:                              ;   in Loop: Header=BB185_4 Depth=1
	v_frexp_mant_f64_e32 v[6:7], v[46:47]
	v_cmp_eq_f64_e64 s7, 0, v[4:5]
	v_cmp_neq_f64_e64 s8, 0, v[46:47]
	v_cmp_class_f64_e64 s10, v[4:5], 0x204
	v_cmp_class_f64_e64 s11, v[2:3], 0x204
	v_cmp_gt_f64_e32 vcc_lo, s[30:31], v[6:7]
	v_cndmask_b32_e64 v8, 0, 1, vcc_lo
	s_delay_alu instid0(VALU_DEP_1) | instskip(SKIP_1) | instid1(VALU_DEP_2)
	v_ldexp_f64 v[6:7], v[6:7], v8
	v_frexp_exp_i32_f64_e32 v8, v[46:47]
	v_add_f64_e32 v[44:45], 1.0, v[6:7]
	v_add_f64_e32 v[52:53], -1.0, v[6:7]
	s_delay_alu instid0(VALU_DEP_3) | instskip(NEXT) | instid1(VALU_DEP_3)
	v_subrev_co_ci_u32_e64 v8, null, 0, v8, vcc_lo
	v_rcp_f64_e32 v[48:49], v[44:45]
	v_add_f64_e32 v[54:55], -1.0, v[44:45]
	s_delay_alu instid0(VALU_DEP_1) | instskip(NEXT) | instid1(TRANS32_DEP_1)
	v_add_f64_e64 v[6:7], v[6:7], -v[54:55]
	v_fma_f64 v[50:51], -v[44:45], v[48:49], 1.0
	s_delay_alu instid0(VALU_DEP_1) | instskip(NEXT) | instid1(VALU_DEP_1)
	v_fmac_f64_e32 v[48:49], v[50:51], v[48:49]
	v_fma_f64 v[50:51], -v[44:45], v[48:49], 1.0
	s_delay_alu instid0(VALU_DEP_1) | instskip(NEXT) | instid1(VALU_DEP_1)
	v_fmac_f64_e32 v[48:49], v[50:51], v[48:49]
	v_mul_f64_e32 v[50:51], v[52:53], v[48:49]
	s_delay_alu instid0(VALU_DEP_1) | instskip(NEXT) | instid1(VALU_DEP_1)
	v_mul_f64_e32 v[56:57], v[44:45], v[50:51]
	v_fma_f64 v[44:45], v[50:51], v[44:45], -v[56:57]
	s_delay_alu instid0(VALU_DEP_1) | instskip(NEXT) | instid1(VALU_DEP_1)
	v_fmac_f64_e32 v[44:45], v[50:51], v[6:7]
	v_add_f64_e32 v[6:7], v[56:57], v[44:45]
	s_delay_alu instid0(VALU_DEP_1) | instskip(SKIP_1) | instid1(VALU_DEP_2)
	v_add_f64_e64 v[54:55], v[52:53], -v[6:7]
	v_add_f64_e64 v[56:57], v[6:7], -v[56:57]
	;; [unrolled: 1-line block ×3, first 2 shown]
	s_delay_alu instid0(VALU_DEP_2) | instskip(NEXT) | instid1(VALU_DEP_2)
	v_add_f64_e64 v[44:45], v[56:57], -v[44:45]
	v_add_f64_e64 v[6:7], v[52:53], -v[6:7]
	v_max_num_f64_e64 v[52:53], |v[2:3]|, |v[2:3]|
	s_delay_alu instid0(VALU_DEP_2) | instskip(SKIP_1) | instid1(VALU_DEP_2)
	v_add_f64_e32 v[6:7], v[44:45], v[6:7]
	v_max_num_f64_e64 v[44:45], |v[4:5]|, |v[4:5]|
	v_add_f64_e32 v[6:7], v[54:55], v[6:7]
	s_delay_alu instid0(VALU_DEP_1) | instskip(NEXT) | instid1(VALU_DEP_3)
	v_mul_f64_e32 v[6:7], v[48:49], v[6:7]
	v_max_num_f64_e32 v[48:49], v[52:53], v[44:45]
	v_min_num_f64_e32 v[44:45], v[52:53], v[44:45]
	s_delay_alu instid0(VALU_DEP_3) | instskip(NEXT) | instid1(VALU_DEP_2)
	v_add_f64_e32 v[52:53], v[50:51], v[6:7]
	v_div_scale_f64 v[54:55], null, v[48:49], v[48:49], v[44:45]
	s_delay_alu instid0(VALU_DEP_2) | instskip(NEXT) | instid1(VALU_DEP_2)
	v_mul_f64_e32 v[56:57], v[52:53], v[52:53]
	v_rcp_f64_e32 v[58:59], v[54:55]
	s_delay_alu instid0(VALU_DEP_1) | instskip(SKIP_1) | instid1(VALU_DEP_2)
	v_fmamk_f64 v[60:61], v[56:57], 0x3fc3ab76bf559e2b, v[24:25]
	v_mul_f64_e32 v[62:63], v[52:53], v[56:57]
	v_fmaak_f64 v[60:61], v[56:57], v[60:61], 0x3fc7474dd7f4df2e
	s_delay_alu instid0(TRANS32_DEP_1) | instskip(NEXT) | instid1(VALU_DEP_2)
	v_fma_f64 v[64:65], -v[54:55], v[58:59], 1.0
	v_fmaak_f64 v[60:61], v[56:57], v[60:61], 0x3fcc71c016291751
	s_delay_alu instid0(VALU_DEP_1) | instskip(NEXT) | instid1(VALU_DEP_1)
	v_fmaak_f64 v[60:61], v[56:57], v[60:61], 0x3fd249249b27acf1
	v_fmaak_f64 v[60:61], v[56:57], v[60:61], 0x3fd99999998ef7b6
	s_delay_alu instid0(VALU_DEP_1) | instskip(SKIP_2) | instid1(VALU_DEP_3)
	v_fmaak_f64 v[56:57], v[56:57], v[60:61], 0x3fe5555555555780
	v_ldexp_f64 v[60:61], v[52:53], 1
	v_fmac_f64_e32 v[58:59], v[58:59], v[64:65]
	v_mul_f64_e32 v[56:57], v[62:63], v[56:57]
	v_cvt_f64_i32_e32 v[62:63], v8
	v_ashrrev_i32_e32 v8, 31, v3
	v_add_f64_e64 v[50:51], v[52:53], -v[50:51]
	s_delay_alu instid0(VALU_DEP_2) | instskip(SKIP_4) | instid1(VALU_DEP_4)
	v_and_b32_e32 v16, 0x54442d18, v8
	v_fma_f64 v[64:65], -v[54:55], v[58:59], 1.0
	v_add_f64_e32 v[52:53], v[60:61], v[56:57]
	v_mul_f64_e32 v[66:67], 0x3fe62e42fefa39ef, v[62:63]
	v_add_f64_e64 v[6:7], v[6:7], -v[50:51]
	v_fmac_f64_e32 v[58:59], v[58:59], v[64:65]
	s_delay_alu instid0(VALU_DEP_4) | instskip(SKIP_3) | instid1(VALU_DEP_4)
	v_add_f64_e64 v[50:51], v[52:53], -v[60:61]
	v_div_scale_f64 v[60:61], vcc_lo, v[44:45], v[48:49], v[44:45]
	v_fma_f64 v[64:65], v[62:63], s[34:35], -v[66:67]
	v_ldexp_f64 v[6:7], v[6:7], 1
	v_add_f64_e64 v[50:51], v[56:57], -v[50:51]
	s_delay_alu instid0(VALU_DEP_4) | instskip(NEXT) | instid1(VALU_DEP_4)
	v_mul_f64_e32 v[56:57], v[60:61], v[58:59]
	v_fmac_f64_e32 v[64:65], 0x3c7abc9e3b39803f, v[62:63]
	s_delay_alu instid0(VALU_DEP_3) | instskip(NEXT) | instid1(VALU_DEP_3)
	v_add_f64_e32 v[6:7], v[6:7], v[50:51]
	v_fma_f64 v[50:51], -v[54:55], v[56:57], v[60:61]
	s_delay_alu instid0(VALU_DEP_3) | instskip(NEXT) | instid1(VALU_DEP_3)
	v_add_f64_e32 v[54:55], v[66:67], v[64:65]
	v_add_f64_e32 v[60:61], v[52:53], v[6:7]
	s_delay_alu instid0(VALU_DEP_3) | instskip(SKIP_1) | instid1(VALU_DEP_4)
	v_div_fmas_f64 v[50:51], v[50:51], v[58:59], v[56:57]
	v_cmp_gt_i32_e32 vcc_lo, 0, v3
	v_add_f64_e64 v[58:59], v[54:55], -v[66:67]
	v_cndmask_b32_e32 v12, 0x54442d18, v68, vcc_lo
	v_add_f64_e32 v[56:57], v[54:55], v[60:61]
	v_div_fixup_f64 v[44:45], v[50:51], v[48:49], v[44:45]
	v_add_f64_e64 v[52:53], v[60:61], -v[52:53]
	v_add_f64_e64 v[58:59], v[64:65], -v[58:59]
	s_delay_alu instid0(VALU_DEP_4) | instskip(NEXT) | instid1(VALU_DEP_4)
	v_add_f64_e64 v[48:49], v[56:57], -v[54:55]
	v_mul_f64_e32 v[50:51], v[44:45], v[44:45]
	s_delay_alu instid0(VALU_DEP_4) | instskip(NEXT) | instid1(VALU_DEP_3)
	v_add_f64_e64 v[6:7], v[6:7], -v[52:53]
	v_add_f64_e64 v[62:63], v[56:57], -v[48:49]
	s_delay_alu instid0(VALU_DEP_3) | instskip(SKIP_1) | instid1(VALU_DEP_4)
	v_fmamk_f64 v[66:67], v[50:51], 0x3eeba404b5e68a13, v[26:27]
	v_add_f64_e64 v[48:49], v[60:61], -v[48:49]
	v_add_f64_e32 v[60:61], v[58:59], v[6:7]
	s_delay_alu instid0(VALU_DEP_3) | instskip(NEXT) | instid1(VALU_DEP_1)
	v_fmaak_f64 v[66:67], v[50:51], v[66:67], 0x3f4b2bb069efb384
	v_fmaak_f64 v[66:67], v[50:51], v[66:67], 0xbf67952daf56de9b
	v_add_f64_e64 v[52:53], v[54:55], -v[62:63]
	s_delay_alu instid0(VALU_DEP_2) | instskip(NEXT) | instid1(VALU_DEP_1)
	v_fmaak_f64 v[54:55], v[50:51], v[66:67], 0x3f7d6d43a595c56f
	v_fmaak_f64 v[54:55], v[50:51], v[54:55], 0xbf8c6ea4a57d9582
	s_delay_alu instid0(VALU_DEP_1) | instskip(NEXT) | instid1(VALU_DEP_1)
	v_fmaak_f64 v[54:55], v[50:51], v[54:55], 0x3f967e295f08b19f
	v_fmaak_f64 v[54:55], v[50:51], v[54:55], 0xbf9e9ae6fc27006a
	s_delay_alu instid0(VALU_DEP_1) | instskip(SKIP_1) | instid1(VALU_DEP_2)
	v_fmaak_f64 v[54:55], v[50:51], v[54:55], 0x3fa2c15b5711927a
	v_add_f64_e32 v[48:49], v[48:49], v[52:53]
	v_fmaak_f64 v[52:53], v[50:51], v[54:55], 0xbfa59976e82d3ff0
	v_add_f64_e64 v[54:55], v[60:61], -v[58:59]
	s_delay_alu instid0(VALU_DEP_2) | instskip(NEXT) | instid1(VALU_DEP_1)
	v_fmaak_f64 v[52:53], v[50:51], v[52:53], 0x3fa82d5d6ef28734
	v_fmaak_f64 v[52:53], v[50:51], v[52:53], 0xbfaae5ce6a214619
	s_delay_alu instid0(VALU_DEP_1) | instskip(NEXT) | instid1(VALU_DEP_1)
	v_fmaak_f64 v[52:53], v[50:51], v[52:53], 0x3fae1bb48427b883
	v_fmaak_f64 v[52:53], v[50:51], v[52:53], 0xbfb110e48b207f05
	v_add_f64_e32 v[48:49], v[60:61], v[48:49]
	v_add_f64_e64 v[60:61], v[60:61], -v[54:55]
	v_add_f64_e64 v[6:7], v[6:7], -v[54:55]
	s_delay_alu instid0(VALU_DEP_4) | instskip(NEXT) | instid1(VALU_DEP_1)
	v_fmaak_f64 v[52:53], v[50:51], v[52:53], 0x3fb3b13657b87036
	v_fmaak_f64 v[52:53], v[50:51], v[52:53], 0xbfb745d119378e4f
	s_delay_alu instid0(VALU_DEP_1) | instskip(NEXT) | instid1(VALU_DEP_1)
	v_fmaak_f64 v[52:53], v[50:51], v[52:53], 0x3fbc71c717e1913c
	v_fmaak_f64 v[52:53], v[50:51], v[52:53], 0xbfc2492492376b7d
	v_add_f64_e32 v[62:63], v[56:57], v[48:49]
	s_delay_alu instid0(VALU_DEP_2) | instskip(NEXT) | instid1(VALU_DEP_1)
	v_fmaak_f64 v[52:53], v[50:51], v[52:53], 0x3fc99999999952cc
	v_fmaak_f64 v[52:53], v[50:51], v[52:53], 0xbfd5555555555523
	s_delay_alu instid0(VALU_DEP_1) | instskip(SKIP_2) | instid1(VALU_DEP_3)
	v_mul_f64_e32 v[50:51], v[50:51], v[52:53]
	v_add_f64_e64 v[52:53], v[58:59], -v[60:61]
	v_add_f64_e64 v[54:55], v[62:63], -v[56:57]
	v_fmac_f64_e32 v[44:45], v[44:45], v[50:51]
	s_delay_alu instid0(VALU_DEP_3) | instskip(NEXT) | instid1(VALU_DEP_3)
	v_add_f64_e32 v[6:7], v[6:7], v[52:53]
	v_add_f64_e64 v[48:49], v[48:49], -v[54:55]
	s_delay_alu instid0(VALU_DEP_3) | instskip(NEXT) | instid1(VALU_DEP_1)
	v_add_f64_e64 v[50:51], -v[44:45], s[40:41]
	v_dual_add_f64 v[6:7], v[6:7], v[48:49] :: v_dual_cndmask_b32 v45, v45, v51, s6
	s_delay_alu instid0(VALU_DEP_2) | instskip(NEXT) | instid1(VALU_DEP_1)
	v_cndmask_b32_e64 v44, v44, v50, s6
                                        ; implicit-def: $vgpr50_vgpr51
	v_add_f64_e64 v[48:49], -v[44:45], s[42:43]
	s_delay_alu instid0(VALU_DEP_1) | instskip(NEXT) | instid1(VALU_DEP_1)
	v_dual_add_f64 v[6:7], v[62:63], v[6:7] :: v_dual_cndmask_b32 v21, v44, v48, vcc_lo
	v_dual_mul_f64 v[2:3], 0.5, v[6:7] :: v_dual_cndmask_b32 v16, v21, v16, s7
	v_cndmask_b32_e32 v6, 0x3fe921fb, v69, vcc_lo
	v_and_b32_e32 v7, 0x400921fb, v8
	v_cndmask_b32_e32 v8, v45, v49, vcc_lo
	s_and_b32 vcc_lo, s10, s11
                                        ; implicit-def: $vgpr48_vgpr49
	s_delay_alu instid0(VALU_DEP_3) | instskip(SKIP_1) | instid1(VALU_DEP_3)
	v_bfi_b32 v6, 0x7fffffff, v6, v5
	v_cndmask_b32_e32 v44, v16, v12, vcc_lo
	v_cndmask_b32_e64 v7, v8, v7, s7
	s_delay_alu instid0(VALU_DEP_1)
	v_cndmask_b32_e32 v45, v7, v6, vcc_lo
	v_cndmask_b32_e64 v7, 0xfff00000, v3, s8
	v_cndmask_b32_e64 v6, 0, v2, s8
.LBB185_128:                            ;   in Loop: Header=BB185_4 Depth=1
	s_and_not1_saveexec_b32 s59, s9
	s_cbranch_execz .LBB185_132
; %bb.129:                              ;   in Loop: Header=BB185_4 Depth=1
	v_and_b32_e32 v21, 0x7ffffff8, v51
	v_and_b32_e32 v45, 0x7ffffff8, v49
	v_mov_b32_e32 v44, v20
	s_mov_b32 s60, 0
	s_delay_alu instid0(VALU_DEP_3) | instskip(SKIP_1) | instid1(VALU_DEP_3)
	v_dual_add_f64 v[6:7], v[50:51], -v[20:21] :: v_dual_mov_b32 v52, v20
	v_mov_b32_e32 v50, v20
	v_add_f64_e64 v[46:47], v[48:49], -v[44:45]
	v_add_f64_e32 v[62:63], v[44:45], v[44:45]
	s_delay_alu instid0(VALU_DEP_4) | instskip(NEXT) | instid1(VALU_DEP_3)
	v_dual_mul_f64 v[48:49], v[44:45], v[44:45] :: v_dual_bitop2_b32 v51, -8, v7 bitop3:0x40
	v_dual_add_f64 v[54:55], v[20:21], v[20:21] :: v_dual_bitop2_b32 v53, -8, v47 bitop3:0x40
	s_delay_alu instid0(VALU_DEP_2) | instskip(SKIP_1) | instid1(VALU_DEP_3)
	v_add_f64_e64 v[64:65], v[6:7], -v[50:51]
	v_add_f64_e32 v[70:71], v[50:51], v[50:51]
	v_add_f64_e64 v[66:67], v[46:47], -v[52:53]
	v_add_f64_e32 v[72:73], v[52:53], v[52:53]
	v_mul_f64_e32 v[6:7], v[20:21], v[20:21]
	v_mul_f64_e32 v[46:47], v[62:63], v[52:53]
	v_mul_f64_e32 v[58:59], v[50:51], v[50:51]
	v_mul_f64_e32 v[44:45], v[52:53], v[52:53]
	v_mul_f64_e32 v[60:61], v[54:55], v[50:51]
	v_mul_f64_e32 v[56:57], v[54:55], v[64:65]
	v_mul_f64_e32 v[52:53], v[70:71], v[64:65]
	v_mul_f64_e32 v[54:55], v[62:63], v[66:67]
	v_mul_f64_e32 v[50:51], v[72:73], v[66:67]
	v_mul_f64_e32 v[62:63], v[64:65], v[64:65]
	v_mul_f64_e32 v[64:65], v[66:67], v[66:67]
.LBB185_130:                            ;   Parent Loop BB185_4 Depth=1
                                        ; =>  This Inner Loop Header: Depth=2
	v_cmp_nlt_f64_e32 vcc_lo, v[6:7], v[48:49]
	v_dual_cndmask_b32 v67, v7, v49 :: v_dual_cndmask_b32 v66, v6, v48
	v_dual_cndmask_b32 v7, v49, v7 :: v_dual_cndmask_b32 v6, v48, v6
	s_delay_alu instid0(VALU_DEP_2) | instskip(NEXT) | instid1(VALU_DEP_1)
	v_cmp_nlt_f64_e64 s7, v[66:67], v[60:61]
	v_dual_cndmask_b32 v71, v67, v61, s7 :: v_dual_cndmask_b32 v70, v66, v60, s7
	v_dual_cndmask_b32 v49, v61, v67, s7 :: v_dual_cndmask_b32 v48, v60, v66, s7
	s_and_b32 s7, vcc_lo, s7
	s_delay_alu instid0(VALU_DEP_2) | instskip(NEXT) | instid1(VALU_DEP_1)
	v_cmp_nlt_f64_e64 s8, v[70:71], v[46:47]
	v_dual_cndmask_b32 v73, v71, v47, s8 :: v_dual_cndmask_b32 v72, v70, v46, s8
	v_dual_cndmask_b32 v61, v47, v71, s8 :: v_dual_cndmask_b32 v60, v46, v70, s8
	s_delay_alu instid0(VALU_DEP_2) | instskip(NEXT) | instid1(VALU_DEP_1)
	v_cmp_nlt_f64_e64 s9, v[72:73], v[58:59]
	v_dual_cndmask_b32 v75, v73, v59, s9 :: v_dual_cndmask_b32 v74, v72, v58, s9
	v_dual_cndmask_b32 v47, v59, v73, s9 :: v_dual_cndmask_b32 v46, v58, v72, s9
	s_and_b32 s8, s8, s9
	s_delay_alu instid0(VALU_DEP_2) | instskip(NEXT) | instid1(VALU_DEP_1)
	v_cmp_nlt_f64_e64 s10, v[74:75], v[44:45]
	v_dual_cndmask_b32 v77, v75, v45, s10 :: v_dual_cndmask_b32 v76, v74, v44, s10
	v_dual_cndmask_b32 v59, v45, v75, s10 :: v_dual_cndmask_b32 v58, v44, v74, s10
	s_delay_alu instid0(VALU_DEP_2) | instskip(NEXT) | instid1(VALU_DEP_1)
	v_cmp_nlt_f64_e64 s11, v[76:77], v[56:57]
	v_dual_cndmask_b32 v79, v77, v57, s11 :: v_dual_cndmask_b32 v78, v76, v56, s11
	s_and_b32 s9, s10, s11
	v_dual_cndmask_b32 v45, v57, v77, s11 :: v_dual_cndmask_b32 v44, v56, v76, s11
	s_delay_alu instid0(VALU_DEP_2) | instskip(NEXT) | instid1(VALU_DEP_1)
	v_cmp_nlt_f64_e64 s12, v[78:79], v[54:55]
	v_dual_cndmask_b32 v81, v79, v55, s12 :: v_dual_cndmask_b32 v80, v78, v54, s12
	s_and_b32 s9, s9, s12
	;; [unrolled: 5-line block ×6, first 2 shown]
	v_dual_cndmask_b32 v63, v65, v87, s16 :: v_dual_cndmask_b32 v62, v64, v86, s16
	s_and_b32 s8, s9, s8
	s_delay_alu instid0(VALU_DEP_2) | instskip(SKIP_1) | instid1(SALU_CYCLE_1)
	v_mov_b64_e32 v[64:65], v[66:67]
	s_and_b32 s7, s8, s7
	s_and_b32 s7, exec_lo, s7
	s_delay_alu instid0(SALU_CYCLE_1) | instskip(NEXT) | instid1(SALU_CYCLE_1)
	s_or_b32 s60, s7, s60
	s_and_not1_b32 exec_lo, exec_lo, s60
	s_cbranch_execnz .LBB185_130
; %bb.131:                              ;   in Loop: Header=BB185_4 Depth=1
	s_or_b32 exec_lo, exec_lo, s60
	v_add_f64_e32 v[6:7], -1.0, v[6:7]
	v_cmp_eq_f64_e64 s7, 0, v[4:5]
	v_cmp_class_f64_e64 s11, v[2:3], 0x204
	v_cmp_class_f64_e64 s10, v[4:5], 0x204
	s_delay_alu instid0(VALU_DEP_4) | instskip(NEXT) | instid1(VALU_DEP_1)
	v_add_f64_e32 v[6:7], v[6:7], v[48:49]
	v_add_f64_e32 v[6:7], v[6:7], v[60:61]
	s_delay_alu instid0(VALU_DEP_1) | instskip(NEXT) | instid1(VALU_DEP_1)
	v_add_f64_e32 v[6:7], v[6:7], v[46:47]
	v_add_f64_e32 v[6:7], v[6:7], v[58:59]
	s_delay_alu instid0(VALU_DEP_1) | instskip(NEXT) | instid1(VALU_DEP_1)
	;; [unrolled: 3-line block ×5, first 2 shown]
	v_add_f64_e32 v[46:47], v[66:67], v[6:7]
	v_add_f64_e32 v[6:7], 1.0, v[46:47]
	v_cmp_nge_f64_e64 s8, -1.0, v[46:47]
	v_cmp_neq_f64_e64 s9, 0x7ff00000, v[46:47]
	s_delay_alu instid0(VALU_DEP_3) | instskip(SKIP_2) | instid1(VALU_DEP_3)
	v_frexp_mant_f64_e32 v[44:45], v[6:7]
	v_frexp_exp_i32_f64_e32 v8, v[6:7]
	v_add_f64_e32 v[48:49], -1.0, v[6:7]
	v_cmp_gt_f64_e32 vcc_lo, s[30:31], v[44:45]
	s_delay_alu instid0(VALU_DEP_2) | instskip(SKIP_2) | instid1(VALU_DEP_3)
	v_add_f64_e64 v[44:45], v[48:49], -v[6:7]
	v_add_f64_e64 v[48:49], v[46:47], -v[48:49]
	v_subrev_co_ci_u32_e64 v8, null, 0, v8, vcc_lo
	v_add_f64_e32 v[44:45], 1.0, v[44:45]
	s_delay_alu instid0(VALU_DEP_2) | instskip(NEXT) | instid1(VALU_DEP_1)
	v_sub_nc_u32_e32 v12, 0, v8
	v_ldexp_f64 v[6:7], v[6:7], v12
	s_delay_alu instid0(VALU_DEP_3) | instskip(NEXT) | instid1(VALU_DEP_2)
	v_add_f64_e32 v[44:45], v[48:49], v[44:45]
	v_add_f64_e32 v[50:51], 1.0, v[6:7]
	v_add_f64_e32 v[56:57], -1.0, v[6:7]
	s_delay_alu instid0(VALU_DEP_3) | instskip(NEXT) | instid1(VALU_DEP_3)
	v_ldexp_f64 v[44:45], v[44:45], v12
	v_add_f64_e32 v[48:49], -1.0, v[50:51]
	s_delay_alu instid0(VALU_DEP_3) | instskip(NEXT) | instid1(VALU_DEP_2)
	v_add_f64_e32 v[58:59], 1.0, v[56:57]
	v_add_f64_e64 v[48:49], v[6:7], -v[48:49]
	s_delay_alu instid0(VALU_DEP_2) | instskip(NEXT) | instid1(VALU_DEP_2)
	v_add_f64_e64 v[6:7], v[6:7], -v[58:59]
	v_add_f64_e32 v[48:49], v[44:45], v[48:49]
	s_delay_alu instid0(VALU_DEP_2) | instskip(NEXT) | instid1(VALU_DEP_2)
	v_add_f64_e32 v[6:7], v[44:45], v[6:7]
	v_add_f64_e32 v[52:53], v[50:51], v[48:49]
	s_delay_alu instid0(VALU_DEP_2) | instskip(NEXT) | instid1(VALU_DEP_2)
	v_add_f64_e32 v[58:59], v[56:57], v[6:7]
	v_rcp_f64_e32 v[54:55], v[52:53]
	v_add_f64_e64 v[50:51], v[52:53], -v[50:51]
	s_delay_alu instid0(VALU_DEP_2) | instskip(NEXT) | instid1(VALU_DEP_2)
	v_add_f64_e64 v[56:57], v[58:59], -v[56:57]
	v_add_f64_e64 v[48:49], v[48:49], -v[50:51]
	s_delay_alu instid0(VALU_DEP_2) | instskip(NEXT) | instid1(TRANS32_DEP_1)
	v_add_f64_e64 v[6:7], v[6:7], -v[56:57]
	v_fma_f64 v[60:61], -v[52:53], v[54:55], 1.0
	s_delay_alu instid0(VALU_DEP_1) | instskip(NEXT) | instid1(VALU_DEP_1)
	v_fmac_f64_e32 v[54:55], v[60:61], v[54:55]
	v_fma_f64 v[44:45], -v[52:53], v[54:55], 1.0
	s_delay_alu instid0(VALU_DEP_1) | instskip(NEXT) | instid1(VALU_DEP_1)
	v_fmac_f64_e32 v[54:55], v[44:45], v[54:55]
	v_mul_f64_e32 v[44:45], v[58:59], v[54:55]
	s_delay_alu instid0(VALU_DEP_1) | instskip(NEXT) | instid1(VALU_DEP_1)
	v_mul_f64_e32 v[60:61], v[52:53], v[44:45]
	v_fma_f64 v[50:51], v[44:45], v[52:53], -v[60:61]
	s_delay_alu instid0(VALU_DEP_1) | instskip(NEXT) | instid1(VALU_DEP_1)
	v_fmac_f64_e32 v[50:51], v[44:45], v[48:49]
	v_add_f64_e32 v[62:63], v[60:61], v[50:51]
	s_delay_alu instid0(VALU_DEP_1) | instskip(SKIP_1) | instid1(VALU_DEP_2)
	v_add_f64_e64 v[64:65], v[58:59], -v[62:63]
	v_add_f64_e64 v[56:57], v[62:63], -v[60:61]
	;; [unrolled: 1-line block ×3, first 2 shown]
	s_delay_alu instid0(VALU_DEP_2) | instskip(NEXT) | instid1(VALU_DEP_2)
	v_add_f64_e64 v[50:51], v[56:57], -v[50:51]
	v_add_f64_e64 v[58:59], v[58:59], -v[62:63]
	s_delay_alu instid0(VALU_DEP_1) | instskip(NEXT) | instid1(VALU_DEP_1)
	v_add_f64_e32 v[6:7], v[6:7], v[58:59]
	v_add_f64_e32 v[6:7], v[50:51], v[6:7]
	s_delay_alu instid0(VALU_DEP_1) | instskip(NEXT) | instid1(VALU_DEP_1)
	v_add_f64_e32 v[50:51], v[64:65], v[6:7]
	v_mul_f64_e32 v[56:57], v[54:55], v[50:51]
	v_add_f64_e64 v[62:63], v[64:65], -v[50:51]
	s_delay_alu instid0(VALU_DEP_2) | instskip(NEXT) | instid1(VALU_DEP_2)
	v_mul_f64_e32 v[58:59], v[52:53], v[56:57]
	v_add_f64_e32 v[6:7], v[6:7], v[62:63]
	s_delay_alu instid0(VALU_DEP_2) | instskip(NEXT) | instid1(VALU_DEP_1)
	v_fma_f64 v[52:53], v[56:57], v[52:53], -v[58:59]
	v_fmac_f64_e32 v[52:53], v[56:57], v[48:49]
	s_delay_alu instid0(VALU_DEP_1) | instskip(NEXT) | instid1(VALU_DEP_1)
	v_add_f64_e32 v[48:49], v[58:59], v[52:53]
	v_add_f64_e64 v[60:61], v[50:51], -v[48:49]
	v_add_f64_e64 v[58:59], v[48:49], -v[58:59]
	s_delay_alu instid0(VALU_DEP_2) | instskip(NEXT) | instid1(VALU_DEP_1)
	v_add_f64_e64 v[50:51], v[50:51], -v[60:61]
	v_add_f64_e64 v[48:49], v[50:51], -v[48:49]
	s_delay_alu instid0(VALU_DEP_3) | instskip(SKIP_1) | instid1(VALU_DEP_3)
	v_add_f64_e64 v[50:51], v[58:59], -v[52:53]
	v_max_num_f64_e64 v[52:53], |v[2:3]|, |v[2:3]|
	v_add_f64_e32 v[6:7], v[6:7], v[48:49]
	v_add_f64_e32 v[48:49], v[44:45], v[56:57]
	s_delay_alu instid0(VALU_DEP_2) | instskip(NEXT) | instid1(VALU_DEP_2)
	v_add_f64_e32 v[6:7], v[50:51], v[6:7]
	v_add_f64_e64 v[44:45], v[48:49], -v[44:45]
	v_max_num_f64_e64 v[50:51], |v[4:5]|, |v[4:5]|
	s_delay_alu instid0(VALU_DEP_3) | instskip(NEXT) | instid1(VALU_DEP_3)
	v_add_f64_e32 v[6:7], v[60:61], v[6:7]
	v_add_f64_e64 v[44:45], v[56:57], -v[44:45]
	s_delay_alu instid0(VALU_DEP_2) | instskip(NEXT) | instid1(VALU_DEP_1)
	v_mul_f64_e32 v[6:7], v[54:55], v[6:7]
	v_add_f64_e32 v[6:7], v[44:45], v[6:7]
	v_max_num_f64_e32 v[44:45], v[52:53], v[50:51]
	v_min_num_f64_e32 v[50:51], v[52:53], v[50:51]
	s_delay_alu instid0(VALU_DEP_3) | instskip(NEXT) | instid1(VALU_DEP_2)
	v_add_f64_e32 v[52:53], v[48:49], v[6:7]
	v_div_scale_f64 v[54:55], null, v[44:45], v[44:45], v[50:51]
	s_delay_alu instid0(VALU_DEP_2) | instskip(SKIP_1) | instid1(VALU_DEP_3)
	v_mul_f64_e32 v[56:57], v[52:53], v[52:53]
	v_add_f64_e64 v[48:49], v[52:53], -v[48:49]
	v_rcp_f64_e32 v[58:59], v[54:55]
	s_delay_alu instid0(VALU_DEP_2) | instskip(SKIP_1) | instid1(VALU_DEP_3)
	v_fmamk_f64 v[60:61], v[56:57], 0x3fc3ab76bf559e2b, v[24:25]
	v_mul_f64_e32 v[62:63], v[52:53], v[56:57]
	v_add_f64_e64 v[6:7], v[6:7], -v[48:49]
	s_delay_alu instid0(VALU_DEP_3) | instskip(NEXT) | instid1(TRANS32_DEP_1)
	v_fmaak_f64 v[60:61], v[56:57], v[60:61], 0x3fc7474dd7f4df2e
	v_fma_f64 v[64:65], -v[54:55], v[58:59], 1.0
	s_delay_alu instid0(VALU_DEP_2) | instskip(NEXT) | instid1(VALU_DEP_1)
	v_fmaak_f64 v[60:61], v[56:57], v[60:61], 0x3fcc71c016291751
	v_fmaak_f64 v[60:61], v[56:57], v[60:61], 0x3fd249249b27acf1
	s_delay_alu instid0(VALU_DEP_1) | instskip(SKIP_1) | instid1(VALU_DEP_2)
	v_fmaak_f64 v[60:61], v[56:57], v[60:61], 0x3fd99999998ef7b6
	v_ldexp_f64 v[6:7], v[6:7], 1
	v_fmaak_f64 v[56:57], v[56:57], v[60:61], 0x3fe5555555555780
	v_ldexp_f64 v[60:61], v[52:53], 1
	v_fmac_f64_e32 v[58:59], v[58:59], v[64:65]
	s_delay_alu instid0(VALU_DEP_3) | instskip(SKIP_2) | instid1(VALU_DEP_1)
	v_mul_f64_e32 v[56:57], v[62:63], v[56:57]
	v_cvt_f64_i32_e32 v[62:63], v8
	v_ashrrev_i32_e32 v8, 31, v3
	v_and_b32_e32 v16, 0x54442d18, v8
	v_fma_f64 v[64:65], -v[54:55], v[58:59], 1.0
	v_add_f64_e32 v[52:53], v[60:61], v[56:57]
	v_mul_f64_e32 v[66:67], 0x3fe62e42fefa39ef, v[62:63]
	s_delay_alu instid0(VALU_DEP_3) | instskip(NEXT) | instid1(VALU_DEP_3)
	v_fmac_f64_e32 v[58:59], v[58:59], v[64:65]
	v_add_f64_e64 v[48:49], v[52:53], -v[60:61]
	v_div_scale_f64 v[60:61], vcc_lo, v[50:51], v[44:45], v[50:51]
	s_delay_alu instid0(VALU_DEP_4) | instskip(NEXT) | instid1(VALU_DEP_3)
	v_fma_f64 v[64:65], v[62:63], s[34:35], -v[66:67]
	v_add_f64_e64 v[48:49], v[56:57], -v[48:49]
	s_delay_alu instid0(VALU_DEP_3) | instskip(NEXT) | instid1(VALU_DEP_3)
	v_mul_f64_e32 v[56:57], v[60:61], v[58:59]
	v_fmac_f64_e32 v[64:65], 0x3c7abc9e3b39803f, v[62:63]
	s_delay_alu instid0(VALU_DEP_3) | instskip(NEXT) | instid1(VALU_DEP_3)
	v_add_f64_e32 v[6:7], v[6:7], v[48:49]
	v_fma_f64 v[48:49], -v[54:55], v[56:57], v[60:61]
	s_delay_alu instid0(VALU_DEP_3) | instskip(NEXT) | instid1(VALU_DEP_3)
	v_add_f64_e32 v[54:55], v[66:67], v[64:65]
	v_add_f64_e32 v[60:61], v[52:53], v[6:7]
	s_delay_alu instid0(VALU_DEP_3) | instskip(SKIP_1) | instid1(VALU_DEP_4)
	v_div_fmas_f64 v[48:49], v[48:49], v[58:59], v[56:57]
	v_cmp_gt_i32_e32 vcc_lo, 0, v3
	v_add_f64_e64 v[58:59], v[54:55], -v[66:67]
	v_and_b32_e32 v3, 0x400921fb, v8
	v_cndmask_b32_e32 v12, 0x54442d18, v68, vcc_lo
	v_cndmask_b32_e32 v2, 0x3fe921fb, v69, vcc_lo
	s_delay_alu instid0(VALU_DEP_1) | instskip(SKIP_4) | instid1(VALU_DEP_4)
	v_bfi_b32 v2, 0x7fffffff, v2, v5
	v_add_f64_e32 v[56:57], v[54:55], v[60:61]
	v_div_fixup_f64 v[44:45], v[48:49], v[44:45], v[50:51]
	v_add_f64_e64 v[52:53], v[60:61], -v[52:53]
	v_add_f64_e64 v[58:59], v[64:65], -v[58:59]
	;; [unrolled: 1-line block ×3, first 2 shown]
	s_delay_alu instid0(VALU_DEP_4) | instskip(NEXT) | instid1(VALU_DEP_4)
	v_mul_f64_e32 v[50:51], v[44:45], v[44:45]
	v_add_f64_e64 v[6:7], v[6:7], -v[52:53]
	s_delay_alu instid0(VALU_DEP_3) | instskip(NEXT) | instid1(VALU_DEP_3)
	v_add_f64_e64 v[62:63], v[56:57], -v[48:49]
	v_fmamk_f64 v[66:67], v[50:51], 0x3eeba404b5e68a13, v[26:27]
	v_add_f64_e64 v[48:49], v[60:61], -v[48:49]
	s_delay_alu instid0(VALU_DEP_4) | instskip(NEXT) | instid1(VALU_DEP_3)
	v_add_f64_e32 v[60:61], v[58:59], v[6:7]
	v_fmaak_f64 v[66:67], v[50:51], v[66:67], 0x3f4b2bb069efb384
	v_add_f64_e64 v[52:53], v[54:55], -v[62:63]
	s_delay_alu instid0(VALU_DEP_2) | instskip(NEXT) | instid1(VALU_DEP_1)
	v_fmaak_f64 v[54:55], v[50:51], v[66:67], 0xbf67952daf56de9b
	v_fmaak_f64 v[54:55], v[50:51], v[54:55], 0x3f7d6d43a595c56f
	s_delay_alu instid0(VALU_DEP_1) | instskip(NEXT) | instid1(VALU_DEP_1)
	v_fmaak_f64 v[54:55], v[50:51], v[54:55], 0xbf8c6ea4a57d9582
	v_fmaak_f64 v[54:55], v[50:51], v[54:55], 0x3f967e295f08b19f
	s_delay_alu instid0(VALU_DEP_1) | instskip(SKIP_1) | instid1(VALU_DEP_2)
	v_fmaak_f64 v[54:55], v[50:51], v[54:55], 0xbf9e9ae6fc27006a
	v_add_f64_e32 v[48:49], v[48:49], v[52:53]
	v_fmaak_f64 v[52:53], v[50:51], v[54:55], 0x3fa2c15b5711927a
	v_add_f64_e64 v[54:55], v[60:61], -v[58:59]
	s_delay_alu instid0(VALU_DEP_2) | instskip(NEXT) | instid1(VALU_DEP_1)
	v_fmaak_f64 v[52:53], v[50:51], v[52:53], 0xbfa59976e82d3ff0
	v_fmaak_f64 v[52:53], v[50:51], v[52:53], 0x3fa82d5d6ef28734
	s_delay_alu instid0(VALU_DEP_1) | instskip(NEXT) | instid1(VALU_DEP_1)
	v_fmaak_f64 v[52:53], v[50:51], v[52:53], 0xbfaae5ce6a214619
	v_fmaak_f64 v[52:53], v[50:51], v[52:53], 0x3fae1bb48427b883
	v_add_f64_e32 v[48:49], v[60:61], v[48:49]
	v_add_f64_e64 v[60:61], v[60:61], -v[54:55]
	v_add_f64_e64 v[6:7], v[6:7], -v[54:55]
	s_delay_alu instid0(VALU_DEP_4) | instskip(NEXT) | instid1(VALU_DEP_1)
	v_fmaak_f64 v[52:53], v[50:51], v[52:53], 0xbfb110e48b207f05
	v_fmaak_f64 v[52:53], v[50:51], v[52:53], 0x3fb3b13657b87036
	s_delay_alu instid0(VALU_DEP_1) | instskip(NEXT) | instid1(VALU_DEP_1)
	v_fmaak_f64 v[52:53], v[50:51], v[52:53], 0xbfb745d119378e4f
	v_fmaak_f64 v[52:53], v[50:51], v[52:53], 0x3fbc71c717e1913c
	v_add_f64_e32 v[62:63], v[56:57], v[48:49]
	s_delay_alu instid0(VALU_DEP_2) | instskip(NEXT) | instid1(VALU_DEP_1)
	v_fmaak_f64 v[52:53], v[50:51], v[52:53], 0xbfc2492492376b7d
	v_fmaak_f64 v[52:53], v[50:51], v[52:53], 0x3fc99999999952cc
	s_delay_alu instid0(VALU_DEP_1) | instskip(NEXT) | instid1(VALU_DEP_1)
	v_fmaak_f64 v[52:53], v[50:51], v[52:53], 0xbfd5555555555523
	v_mul_f64_e32 v[50:51], v[50:51], v[52:53]
	v_add_f64_e64 v[52:53], v[58:59], -v[60:61]
	v_add_f64_e64 v[54:55], v[62:63], -v[56:57]
	s_delay_alu instid0(VALU_DEP_3) | instskip(NEXT) | instid1(VALU_DEP_3)
	v_fmac_f64_e32 v[44:45], v[44:45], v[50:51]
	v_add_f64_e32 v[6:7], v[6:7], v[52:53]
	s_delay_alu instid0(VALU_DEP_3) | instskip(NEXT) | instid1(VALU_DEP_3)
	v_add_f64_e64 v[48:49], v[48:49], -v[54:55]
	v_add_f64_e64 v[50:51], -v[44:45], s[40:41]
	s_delay_alu instid0(VALU_DEP_1) | instskip(NEXT) | instid1(VALU_DEP_2)
	v_dual_add_f64 v[6:7], v[6:7], v[48:49] :: v_dual_cndmask_b32 v45, v45, v51, s6
	v_cndmask_b32_e64 v44, v44, v50, s6
	s_delay_alu instid0(VALU_DEP_1) | instskip(NEXT) | instid1(VALU_DEP_1)
	v_add_f64_e64 v[48:49], -v[44:45], s[42:43]
	v_dual_add_f64 v[6:7], v[62:63], v[6:7] :: v_dual_cndmask_b32 v21, v44, v48, vcc_lo
	s_delay_alu instid0(VALU_DEP_2) | instskip(SKIP_1) | instid1(VALU_DEP_3)
	v_cndmask_b32_e32 v8, v45, v49, vcc_lo
	v_cmp_ngt_f64_e32 vcc_lo, -1.0, v[46:47]
	v_dual_mul_f64 v[6:7], 0.5, v[6:7] :: v_dual_cndmask_b32 v16, v21, v16, s7
	s_delay_alu instid0(VALU_DEP_3)
	v_cndmask_b32_e64 v3, v8, v3, s7
	s_and_b32 s7, s8, s9
	s_delay_alu instid0(VALU_DEP_2) | instid1(SALU_CYCLE_1)
	v_cndmask_b32_e64 v6, 0, v6, s7
	v_cmp_neq_f64_e64 s7, -1.0, v[46:47]
	s_delay_alu instid0(VALU_DEP_4) | instskip(NEXT) | instid1(VALU_DEP_1)
	v_cndmask_b32_e64 v7, 0x7ff00000, v7, s9
	v_cndmask_b32_e32 v7, 0x7ff80000, v7, vcc_lo
	s_and_b32 vcc_lo, s10, s11
	v_dual_cndmask_b32 v45, v3, v2 :: v_dual_cndmask_b32 v44, v16, v12
	s_delay_alu instid0(VALU_DEP_2)
	v_cndmask_b32_e64 v7, 0xfff00000, v7, s7
.LBB185_132:                            ;   in Loop: Header=BB185_4 Depth=1
	s_or_b32 exec_lo, exec_lo, s59
.LBB185_133:                            ;   in Loop: Header=BB185_4 Depth=1
	s_delay_alu instid0(SALU_CYCLE_1)
	s_or_b32 exec_lo, exec_lo, s58
.LBB185_134:                            ;   in Loop: Header=BB185_4 Depth=1
	s_and_not1_saveexec_b32 s9, s57
	s_cbranch_execz .LBB185_136
; %bb.135:                              ;   in Loop: Header=BB185_4 Depth=1
	v_max_num_f64_e64 v[6:7], |v[4:5]|, |v[4:5]|
	v_max_num_f64_e64 v[44:45], |v[2:3]|, |v[2:3]|
	v_cmp_class_f64_e64 s10, v[2:3], 0x204
	v_cmp_class_f64_e64 s11, v[4:5], 0x204
	v_cmp_eq_f64_e64 s8, 0, v[4:5]
	s_delay_alu instid0(VALU_DEP_4) | instskip(SKIP_2) | instid1(VALU_DEP_2)
	v_max_num_f64_e32 v[46:47], v[44:45], v[6:7]
	v_min_num_f64_e32 v[6:7], v[44:45], v[6:7]
	s_or_b32 s7, s11, s10
	v_frexp_exp_i32_f64_e32 v8, v[46:47]
	s_delay_alu instid0(VALU_DEP_1) | instskip(NEXT) | instid1(VALU_DEP_1)
	v_sub_nc_u32_e32 v12, 0, v8
	v_ldexp_f64 v[48:49], |v[4:5]|, v12
	v_ldexp_f64 v[50:51], |v[2:3]|, v12
	s_delay_alu instid0(VALU_DEP_2) | instskip(NEXT) | instid1(VALU_DEP_1)
	v_mul_f64_e32 v[48:49], v[48:49], v[48:49]
	v_fmac_f64_e32 v[48:49], v[50:51], v[50:51]
	s_delay_alu instid0(VALU_DEP_1) | instskip(SKIP_1) | instid1(TRANS32_DEP_1)
	v_rsq_f64_e32 v[50:51], v[48:49]
	v_cmp_eq_f64_e32 vcc_lo, 0, v[48:49]
	v_mul_f64_e32 v[52:53], v[48:49], v[50:51]
	v_mul_f64_e32 v[50:51], 0.5, v[50:51]
	s_delay_alu instid0(VALU_DEP_1) | instskip(NEXT) | instid1(VALU_DEP_1)
	v_fma_f64 v[54:55], -v[50:51], v[52:53], 0.5
	v_fmac_f64_e32 v[52:53], v[52:53], v[54:55]
	v_fmac_f64_e32 v[50:51], v[50:51], v[54:55]
	s_delay_alu instid0(VALU_DEP_2) | instskip(NEXT) | instid1(VALU_DEP_1)
	v_fma_f64 v[54:55], -v[52:53], v[52:53], v[48:49]
	v_fmac_f64_e32 v[52:53], v[54:55], v[50:51]
	s_delay_alu instid0(VALU_DEP_1) | instskip(NEXT) | instid1(VALU_DEP_1)
	v_dual_cndmask_b32 v49, v53, v49 :: v_dual_cndmask_b32 v48, v52, v48
	v_ldexp_f64 v[48:49], v[48:49], v8
	v_ashrrev_i32_e32 v8, 31, v3
	s_delay_alu instid0(VALU_DEP_1) | instskip(SKIP_1) | instid1(VALU_DEP_4)
	v_and_b32_e32 v16, 0x54442d18, v8
	v_and_b32_e32 v8, 0x400921fb, v8
	v_cndmask_b32_e64 v49, v49, 0x7ff00000, s7
	v_cndmask_b32_e64 v48, v48, 0, s7
	s_delay_alu instid0(VALU_DEP_1) | instskip(SKIP_1) | instid1(VALU_DEP_2)
	v_frexp_mant_f64_e32 v[50:51], v[48:49]
	v_cmp_class_f64_e64 s7, v[48:49], 0x204
	v_cmp_gt_f64_e32 vcc_lo, s[30:31], v[50:51]
	v_cndmask_b32_e64 v2, 0, 1, vcc_lo
	s_delay_alu instid0(VALU_DEP_1) | instskip(SKIP_1) | instid1(VALU_DEP_2)
	v_ldexp_f64 v[50:51], v[50:51], v2
	v_frexp_exp_i32_f64_e32 v2, v[48:49]
	v_add_f64_e32 v[52:53], 1.0, v[50:51]
	v_add_f64_e32 v[58:59], -1.0, v[50:51]
	s_delay_alu instid0(VALU_DEP_3) | instskip(SKIP_1) | instid1(VALU_DEP_4)
	v_subrev_co_ci_u32_e64 v2, null, 0, v2, vcc_lo
	v_div_scale_f64 v[66:67], vcc_lo, v[6:7], v[46:47], v[6:7]
	v_rcp_f64_e32 v[54:55], v[52:53]
	v_add_f64_e32 v[60:61], -1.0, v[52:53]
	s_delay_alu instid0(VALU_DEP_1) | instskip(NEXT) | instid1(TRANS32_DEP_1)
	v_add_f64_e64 v[50:51], v[50:51], -v[60:61]
	v_fma_f64 v[56:57], -v[52:53], v[54:55], 1.0
	s_delay_alu instid0(VALU_DEP_1) | instskip(NEXT) | instid1(VALU_DEP_1)
	v_fmac_f64_e32 v[54:55], v[56:57], v[54:55]
	v_fma_f64 v[56:57], -v[52:53], v[54:55], 1.0
	s_delay_alu instid0(VALU_DEP_1) | instskip(NEXT) | instid1(VALU_DEP_1)
	v_fmac_f64_e32 v[54:55], v[56:57], v[54:55]
	v_mul_f64_e32 v[56:57], v[58:59], v[54:55]
	s_delay_alu instid0(VALU_DEP_1) | instskip(NEXT) | instid1(VALU_DEP_1)
	v_mul_f64_e32 v[62:63], v[52:53], v[56:57]
	v_fma_f64 v[52:53], v[56:57], v[52:53], -v[62:63]
	s_delay_alu instid0(VALU_DEP_1) | instskip(NEXT) | instid1(VALU_DEP_1)
	v_fmac_f64_e32 v[52:53], v[56:57], v[50:51]
	v_add_f64_e32 v[50:51], v[62:63], v[52:53]
	s_delay_alu instid0(VALU_DEP_1) | instskip(SKIP_1) | instid1(VALU_DEP_2)
	v_add_f64_e64 v[60:61], v[58:59], -v[50:51]
	v_add_f64_e64 v[62:63], v[50:51], -v[62:63]
	v_add_f64_e64 v[58:59], v[58:59], -v[60:61]
	s_delay_alu instid0(VALU_DEP_2) | instskip(NEXT) | instid1(VALU_DEP_2)
	v_add_f64_e64 v[52:53], v[62:63], -v[52:53]
	v_add_f64_e64 v[50:51], v[58:59], -v[50:51]
	s_delay_alu instid0(VALU_DEP_1) | instskip(NEXT) | instid1(VALU_DEP_1)
	v_add_f64_e32 v[50:51], v[52:53], v[50:51]
	v_add_f64_e32 v[50:51], v[60:61], v[50:51]
	s_delay_alu instid0(VALU_DEP_1) | instskip(SKIP_1) | instid1(VALU_DEP_2)
	v_mul_f64_e32 v[44:45], v[54:55], v[50:51]
	v_div_scale_f64 v[50:51], null, v[46:47], v[46:47], v[6:7]
	v_add_f64_e32 v[52:53], v[56:57], v[44:45]
	s_delay_alu instid0(VALU_DEP_2) | instskip(NEXT) | instid1(VALU_DEP_1)
	v_rcp_f64_e32 v[54:55], v[50:51]
	v_mul_f64_e32 v[58:59], v[52:53], v[52:53]
	s_delay_alu instid0(TRANS32_DEP_1) | instskip(NEXT) | instid1(VALU_DEP_2)
	v_fma_f64 v[62:63], -v[50:51], v[54:55], 1.0
	v_fmamk_f64 v[60:61], v[58:59], 0x3fc3ab76bf559e2b, v[24:25]
	v_mul_f64_e32 v[64:65], v[52:53], v[58:59]
	s_delay_alu instid0(VALU_DEP_3) | instskip(NEXT) | instid1(VALU_DEP_3)
	v_fmac_f64_e32 v[54:55], v[54:55], v[62:63]
	v_fmaak_f64 v[60:61], v[58:59], v[60:61], 0x3fc7474dd7f4df2e
	s_delay_alu instid0(VALU_DEP_1) | instskip(NEXT) | instid1(VALU_DEP_1)
	v_fmaak_f64 v[60:61], v[58:59], v[60:61], 0x3fcc71c016291751
	v_fmaak_f64 v[60:61], v[58:59], v[60:61], 0x3fd249249b27acf1
	s_delay_alu instid0(VALU_DEP_1) | instskip(NEXT) | instid1(VALU_DEP_1)
	v_fmaak_f64 v[60:61], v[58:59], v[60:61], 0x3fd99999998ef7b6
	v_fmaak_f64 v[58:59], v[58:59], v[60:61], 0x3fe5555555555780
	v_ldexp_f64 v[60:61], v[52:53], 1
	v_add_f64_e64 v[52:53], v[52:53], -v[56:57]
	v_fma_f64 v[62:63], -v[50:51], v[54:55], 1.0
	s_delay_alu instid0(VALU_DEP_4) | instskip(SKIP_1) | instid1(VALU_DEP_4)
	v_mul_f64_e32 v[58:59], v[64:65], v[58:59]
	v_cvt_f64_i32_e32 v[64:65], v2
	v_add_f64_e64 v[44:45], v[44:45], -v[52:53]
	s_delay_alu instid0(VALU_DEP_4) | instskip(NEXT) | instid1(VALU_DEP_4)
	v_fmac_f64_e32 v[54:55], v[54:55], v[62:63]
	v_add_f64_e32 v[56:57], v[60:61], v[58:59]
	s_delay_alu instid0(VALU_DEP_4) | instskip(NEXT) | instid1(VALU_DEP_4)
	v_mul_f64_e32 v[62:63], 0x3fe62e42fefa39ef, v[64:65]
	v_ldexp_f64 v[44:45], v[44:45], 1
	s_delay_alu instid0(VALU_DEP_3) | instskip(SKIP_1) | instid1(VALU_DEP_4)
	v_add_f64_e64 v[52:53], v[56:57], -v[60:61]
	v_mul_f64_e32 v[60:61], v[66:67], v[54:55]
	v_fma_f64 v[70:71], v[64:65], s[34:35], -v[62:63]
	s_delay_alu instid0(VALU_DEP_3) | instskip(NEXT) | instid1(VALU_DEP_3)
	v_add_f64_e64 v[52:53], v[58:59], -v[52:53]
	v_fma_f64 v[50:51], -v[50:51], v[60:61], v[66:67]
	s_delay_alu instid0(VALU_DEP_3) | instskip(NEXT) | instid1(VALU_DEP_3)
	v_fmac_f64_e32 v[70:71], 0x3c7abc9e3b39803f, v[64:65]
	v_add_f64_e32 v[44:45], v[44:45], v[52:53]
	s_delay_alu instid0(VALU_DEP_3) | instskip(NEXT) | instid1(VALU_DEP_3)
	v_div_fmas_f64 v[50:51], v[50:51], v[54:55], v[60:61]
	v_add_f64_e32 v[52:53], v[62:63], v[70:71]
	v_cmp_gt_i32_e32 vcc_lo, 0, v3
	v_cndmask_b32_e32 v12, 0x54442d18, v68, vcc_lo
	v_cndmask_b32_e32 v21, 0x3fe921fb, v69, vcc_lo
	s_delay_alu instid0(VALU_DEP_1) | instskip(SKIP_3) | instid1(VALU_DEP_3)
	v_bfi_b32 v21, 0x7fffffff, v21, v5
	v_add_f64_e32 v[54:55], v[56:57], v[44:45]
	v_div_fixup_f64 v[6:7], v[50:51], v[46:47], v[6:7]
	v_add_f64_e64 v[62:63], v[52:53], -v[62:63]
	v_add_f64_e32 v[46:47], v[52:53], v[54:55]
	s_delay_alu instid0(VALU_DEP_3) | instskip(SKIP_1) | instid1(VALU_DEP_4)
	v_mul_f64_e32 v[50:51], v[6:7], v[6:7]
	v_add_f64_e64 v[56:57], v[54:55], -v[56:57]
	v_add_f64_e64 v[62:63], v[70:71], -v[62:63]
	s_delay_alu instid0(VALU_DEP_4) | instskip(NEXT) | instid1(VALU_DEP_4)
	v_add_f64_e64 v[58:59], v[46:47], -v[52:53]
	v_fmamk_f64 v[60:61], v[50:51], 0x3eeba404b5e68a13, v[26:27]
	s_delay_alu instid0(VALU_DEP_4) | instskip(NEXT) | instid1(VALU_DEP_2)
	v_add_f64_e64 v[44:45], v[44:45], -v[56:57]
	v_fmaak_f64 v[60:61], v[50:51], v[60:61], 0x3f4b2bb069efb384
	s_delay_alu instid0(VALU_DEP_1) | instskip(NEXT) | instid1(VALU_DEP_1)
	v_fmaak_f64 v[60:61], v[50:51], v[60:61], 0xbf67952daf56de9b
	v_fmaak_f64 v[60:61], v[50:51], v[60:61], 0x3f7d6d43a595c56f
	s_delay_alu instid0(VALU_DEP_1) | instskip(SKIP_3) | instid1(VALU_DEP_4)
	v_fmaak_f64 v[60:61], v[50:51], v[60:61], 0xbf8c6ea4a57d9582
	v_add_f64_e64 v[64:65], v[46:47], -v[58:59]
	v_add_f64_e64 v[54:55], v[54:55], -v[58:59]
	v_add_f64_e32 v[58:59], v[62:63], v[44:45]
	v_fmaak_f64 v[60:61], v[50:51], v[60:61], 0x3f967e295f08b19f
	s_delay_alu instid0(VALU_DEP_1) | instskip(NEXT) | instid1(VALU_DEP_1)
	v_fmaak_f64 v[56:57], v[50:51], v[60:61], 0xbf9e9ae6fc27006a
	v_fmaak_f64 v[56:57], v[50:51], v[56:57], 0x3fa2c15b5711927a
	s_delay_alu instid0(VALU_DEP_1) | instskip(NEXT) | instid1(VALU_DEP_1)
	v_fmaak_f64 v[56:57], v[50:51], v[56:57], 0xbfa59976e82d3ff0
	v_fmaak_f64 v[56:57], v[50:51], v[56:57], 0x3fa82d5d6ef28734
	v_add_f64_e64 v[52:53], v[52:53], -v[64:65]
	s_delay_alu instid0(VALU_DEP_2) | instskip(NEXT) | instid1(VALU_DEP_2)
	v_fmaak_f64 v[56:57], v[50:51], v[56:57], 0xbfaae5ce6a214619
	v_add_f64_e32 v[52:53], v[54:55], v[52:53]
	s_delay_alu instid0(VALU_DEP_2) | instskip(SKIP_1) | instid1(VALU_DEP_2)
	v_fmaak_f64 v[54:55], v[50:51], v[56:57], 0x3fae1bb48427b883
	v_add_f64_e64 v[56:57], v[58:59], -v[62:63]
	v_fmaak_f64 v[54:55], v[50:51], v[54:55], 0xbfb110e48b207f05
	s_delay_alu instid0(VALU_DEP_1) | instskip(NEXT) | instid1(VALU_DEP_1)
	v_fmaak_f64 v[54:55], v[50:51], v[54:55], 0x3fb3b13657b87036
	v_fmaak_f64 v[54:55], v[50:51], v[54:55], 0xbfb745d119378e4f
	s_delay_alu instid0(VALU_DEP_1) | instskip(SKIP_2) | instid1(VALU_DEP_3)
	v_fmaak_f64 v[54:55], v[50:51], v[54:55], 0x3fbc71c717e1913c
	v_add_f64_e32 v[52:53], v[58:59], v[52:53]
	v_add_f64_e64 v[44:45], v[44:45], -v[56:57]
	v_fmaak_f64 v[54:55], v[50:51], v[54:55], 0xbfc2492492376b7d
	s_delay_alu instid0(VALU_DEP_1) | instskip(NEXT) | instid1(VALU_DEP_1)
	v_fmaak_f64 v[54:55], v[50:51], v[54:55], 0x3fc99999999952cc
	v_fmaak_f64 v[54:55], v[50:51], v[54:55], 0xbfd5555555555523
	s_delay_alu instid0(VALU_DEP_1) | instskip(SKIP_2) | instid1(VALU_DEP_3)
	v_mul_f64_e32 v[50:51], v[50:51], v[54:55]
	v_add_f64_e64 v[54:55], v[58:59], -v[56:57]
	v_add_f64_e32 v[58:59], v[46:47], v[52:53]
	v_fmac_f64_e32 v[6:7], v[6:7], v[50:51]
	s_delay_alu instid0(VALU_DEP_3) | instskip(NEXT) | instid1(VALU_DEP_3)
	v_add_f64_e64 v[50:51], v[62:63], -v[54:55]
	v_add_f64_e64 v[46:47], v[58:59], -v[46:47]
	s_delay_alu instid0(VALU_DEP_3) | instskip(NEXT) | instid1(VALU_DEP_3)
	v_add_f64_e64 v[54:55], -v[6:7], s[40:41]
	v_add_f64_e32 v[44:45], v[44:45], v[50:51]
	s_delay_alu instid0(VALU_DEP_3) | instskip(NEXT) | instid1(VALU_DEP_3)
	v_add_f64_e64 v[46:47], v[52:53], -v[46:47]
	v_dual_cndmask_b32 v7, v7, v55, s6 :: v_dual_cndmask_b32 v6, v6, v54, s6
	s_delay_alu instid0(VALU_DEP_2) | instskip(NEXT) | instid1(VALU_DEP_2)
	v_add_f64_e32 v[44:45], v[44:45], v[46:47]
	v_add_f64_e64 v[46:47], -v[6:7], s[42:43]
	s_delay_alu instid0(VALU_DEP_2) | instskip(NEXT) | instid1(VALU_DEP_2)
	v_add_f64_e32 v[2:3], v[58:59], v[44:45]
	v_dual_cndmask_b32 v6, v6, v46 :: v_dual_cndmask_b32 v7, v7, v47
	v_cmp_ngt_f64_e32 vcc_lo, 0, v[48:49]
	s_delay_alu instid0(VALU_DEP_2) | instskip(NEXT) | instid1(VALU_DEP_3)
	v_cndmask_b32_e64 v16, v6, v16, s8
	v_cndmask_b32_e64 v6, v7, v8, s8
	v_dual_cndmask_b32 v2, v2, v48, s7 :: v_dual_cndmask_b32 v3, v3, v49, s7
	v_cmp_nge_f64_e64 s7, 0, v[48:49]
	s_delay_alu instid0(VALU_DEP_2) | instskip(SKIP_4) | instid1(VALU_DEP_1)
	v_cndmask_b32_e32 v3, 0x7ff80000, v3, vcc_lo
	s_and_b32 vcc_lo, s11, s10
	v_dual_cndmask_b32 v45, v6, v21 :: v_dual_cndmask_b32 v44, v16, v12
	v_cndmask_b32_e64 v6, 0, v2, s7
	v_cmp_neq_f64_e64 s7, 0, v[48:49]
	v_cndmask_b32_e64 v7, 0xfff00000, v3, s7
.LBB185_136:                            ;   in Loop: Header=BB185_4 Depth=1
	s_or_b32 exec_lo, exec_lo, s9
                                        ; implicit-def: $vgpr48_vgpr49
.LBB185_137:                            ;   in Loop: Header=BB185_4 Depth=1
	s_and_not1_saveexec_b32 s9, s56
	s_cbranch_execz .LBB185_143
; %bb.138:                              ;   in Loop: Header=BB185_4 Depth=1
                                        ; implicit-def: $vgpr6_vgpr7
                                        ; implicit-def: $vgpr44_vgpr45
	s_mov_b32 s7, exec_lo
	v_cmpx_ngt_f64_e32 s[46:47], v[48:49]
	s_xor_b32 s10, exec_lo, s7
	s_cbranch_execz .LBB185_140
; %bb.139:                              ;   in Loop: Header=BB185_4 Depth=1
	v_mul_f64_e32 v[6:7], v[48:49], v[48:49]
	v_cmp_eq_f64_e64 s7, 0, v[4:5]
	v_cmp_class_f64_e64 s11, v[4:5], 0x204
	v_cmp_class_f64_e64 s12, v[2:3], 0x204
	s_delay_alu instid0(VALU_DEP_4) | instskip(NEXT) | instid1(VALU_DEP_1)
	v_add_f64_e32 v[44:45], 1.0, v[6:7]
	v_frexp_mant_f64_e32 v[46:47], v[44:45]
	v_frexp_exp_i32_f64_e32 v8, v[44:45]
	s_delay_alu instid0(VALU_DEP_2) | instskip(NEXT) | instid1(VALU_DEP_2)
	v_cmp_gt_f64_e32 vcc_lo, s[30:31], v[46:47]
	v_subrev_co_ci_u32_e64 v8, null, 0, v8, vcc_lo
	s_delay_alu instid0(VALU_DEP_1) | instskip(SKIP_1) | instid1(VALU_DEP_1)
	v_sub_nc_u32_e32 v12, 0, v8
	v_add_f64_e32 v[48:49], -1.0, v[44:45]
	v_add_f64_e64 v[46:47], v[48:49], -v[44:45]
	s_delay_alu instid0(VALU_DEP_3) | instskip(SKIP_1) | instid1(VALU_DEP_3)
	v_ldexp_f64 v[44:45], v[44:45], v12
	v_add_f64_e64 v[48:49], v[6:7], -v[48:49]
	v_add_f64_e32 v[46:47], 1.0, v[46:47]
	s_delay_alu instid0(VALU_DEP_3) | instskip(SKIP_1) | instid1(VALU_DEP_3)
	v_add_f64_e32 v[50:51], 1.0, v[44:45]
	v_add_f64_e32 v[56:57], -1.0, v[44:45]
	v_add_f64_e32 v[46:47], v[48:49], v[46:47]
	s_delay_alu instid0(VALU_DEP_3) | instskip(NEXT) | instid1(VALU_DEP_3)
	v_add_f64_e32 v[48:49], -1.0, v[50:51]
	v_add_f64_e32 v[58:59], 1.0, v[56:57]
	s_delay_alu instid0(VALU_DEP_3) | instskip(NEXT) | instid1(VALU_DEP_3)
	v_ldexp_f64 v[46:47], v[46:47], v12
	v_add_f64_e64 v[48:49], v[44:45], -v[48:49]
	s_delay_alu instid0(VALU_DEP_3) | instskip(NEXT) | instid1(VALU_DEP_2)
	v_add_f64_e64 v[44:45], v[44:45], -v[58:59]
	v_add_f64_e32 v[48:49], v[46:47], v[48:49]
	s_delay_alu instid0(VALU_DEP_2) | instskip(NEXT) | instid1(VALU_DEP_2)
	v_add_f64_e32 v[44:45], v[46:47], v[44:45]
	v_add_f64_e32 v[52:53], v[50:51], v[48:49]
	s_delay_alu instid0(VALU_DEP_2) | instskip(NEXT) | instid1(VALU_DEP_2)
	v_add_f64_e32 v[58:59], v[56:57], v[44:45]
	v_rcp_f64_e32 v[54:55], v[52:53]
	v_add_f64_e64 v[50:51], v[50:51], -v[52:53]
	s_delay_alu instid0(VALU_DEP_2) | instskip(NEXT) | instid1(VALU_DEP_2)
	v_add_f64_e64 v[56:57], v[56:57], -v[58:59]
	v_add_f64_e32 v[48:49], v[48:49], v[50:51]
	s_delay_alu instid0(VALU_DEP_2) | instskip(NEXT) | instid1(TRANS32_DEP_1)
	v_add_f64_e32 v[44:45], v[44:45], v[56:57]
	v_fma_f64 v[60:61], -v[52:53], v[54:55], 1.0
	s_delay_alu instid0(VALU_DEP_1) | instskip(NEXT) | instid1(VALU_DEP_1)
	v_fmac_f64_e32 v[54:55], v[60:61], v[54:55]
	v_fma_f64 v[46:47], -v[52:53], v[54:55], 1.0
	s_delay_alu instid0(VALU_DEP_1) | instskip(NEXT) | instid1(VALU_DEP_1)
	v_fmac_f64_e32 v[54:55], v[46:47], v[54:55]
	v_mul_f64_e32 v[46:47], v[58:59], v[54:55]
	s_delay_alu instid0(VALU_DEP_1) | instskip(NEXT) | instid1(VALU_DEP_1)
	v_mul_f64_e32 v[60:61], v[52:53], v[46:47]
	v_fma_f64 v[50:51], v[46:47], v[52:53], -v[60:61]
	s_delay_alu instid0(VALU_DEP_1) | instskip(NEXT) | instid1(VALU_DEP_1)
	v_fmac_f64_e32 v[50:51], v[46:47], v[48:49]
	v_add_f64_e32 v[62:63], v[60:61], v[50:51]
	s_delay_alu instid0(VALU_DEP_1) | instskip(SKIP_1) | instid1(VALU_DEP_2)
	v_add_f64_e64 v[64:65], v[58:59], -v[62:63]
	v_add_f64_e64 v[56:57], v[62:63], -v[60:61]
	;; [unrolled: 1-line block ×3, first 2 shown]
	s_delay_alu instid0(VALU_DEP_2) | instskip(NEXT) | instid1(VALU_DEP_2)
	v_add_f64_e64 v[50:51], v[56:57], -v[50:51]
	v_add_f64_e64 v[58:59], v[58:59], -v[62:63]
	s_delay_alu instid0(VALU_DEP_1) | instskip(NEXT) | instid1(VALU_DEP_1)
	v_add_f64_e32 v[44:45], v[44:45], v[58:59]
	v_add_f64_e32 v[44:45], v[50:51], v[44:45]
	s_delay_alu instid0(VALU_DEP_1) | instskip(NEXT) | instid1(VALU_DEP_1)
	v_add_f64_e32 v[50:51], v[64:65], v[44:45]
	v_mul_f64_e32 v[56:57], v[54:55], v[50:51]
	v_add_f64_e64 v[62:63], v[64:65], -v[50:51]
	s_delay_alu instid0(VALU_DEP_2) | instskip(NEXT) | instid1(VALU_DEP_2)
	v_mul_f64_e32 v[58:59], v[52:53], v[56:57]
	v_add_f64_e32 v[44:45], v[44:45], v[62:63]
	s_delay_alu instid0(VALU_DEP_2) | instskip(NEXT) | instid1(VALU_DEP_1)
	v_fma_f64 v[52:53], v[56:57], v[52:53], -v[58:59]
	v_fmac_f64_e32 v[52:53], v[56:57], v[48:49]
	s_delay_alu instid0(VALU_DEP_1) | instskip(NEXT) | instid1(VALU_DEP_1)
	v_add_f64_e32 v[48:49], v[58:59], v[52:53]
	v_add_f64_e64 v[60:61], v[50:51], -v[48:49]
	v_add_f64_e64 v[58:59], v[48:49], -v[58:59]
	s_delay_alu instid0(VALU_DEP_2) | instskip(NEXT) | instid1(VALU_DEP_1)
	v_add_f64_e64 v[50:51], v[50:51], -v[60:61]
	v_add_f64_e64 v[48:49], v[50:51], -v[48:49]
	s_delay_alu instid0(VALU_DEP_3) | instskip(SKIP_1) | instid1(VALU_DEP_3)
	v_add_f64_e64 v[50:51], v[58:59], -v[52:53]
	v_max_num_f64_e64 v[52:53], |v[2:3]|, |v[2:3]|
	v_add_f64_e32 v[44:45], v[44:45], v[48:49]
	v_add_f64_e32 v[48:49], v[46:47], v[56:57]
	s_delay_alu instid0(VALU_DEP_2) | instskip(NEXT) | instid1(VALU_DEP_2)
	v_add_f64_e32 v[44:45], v[50:51], v[44:45]
	v_add_f64_e64 v[46:47], v[48:49], -v[46:47]
	v_max_num_f64_e64 v[50:51], |v[4:5]|, |v[4:5]|
	s_delay_alu instid0(VALU_DEP_3) | instskip(NEXT) | instid1(VALU_DEP_3)
	v_add_f64_e32 v[44:45], v[60:61], v[44:45]
	v_add_f64_e64 v[46:47], v[56:57], -v[46:47]
	s_delay_alu instid0(VALU_DEP_2) | instskip(NEXT) | instid1(VALU_DEP_1)
	v_mul_f64_e32 v[44:45], v[54:55], v[44:45]
	v_add_f64_e32 v[44:45], v[46:47], v[44:45]
	v_max_num_f64_e32 v[46:47], v[52:53], v[50:51]
	v_min_num_f64_e32 v[50:51], v[52:53], v[50:51]
	s_delay_alu instid0(VALU_DEP_3) | instskip(NEXT) | instid1(VALU_DEP_2)
	v_add_f64_e32 v[52:53], v[48:49], v[44:45]
	v_div_scale_f64 v[54:55], null, v[46:47], v[46:47], v[50:51]
	s_delay_alu instid0(VALU_DEP_2) | instskip(SKIP_1) | instid1(VALU_DEP_3)
	v_mul_f64_e32 v[56:57], v[52:53], v[52:53]
	v_add_f64_e64 v[48:49], v[52:53], -v[48:49]
	v_rcp_f64_e32 v[58:59], v[54:55]
	s_delay_alu instid0(VALU_DEP_2) | instskip(SKIP_1) | instid1(VALU_DEP_3)
	v_fmamk_f64 v[60:61], v[56:57], 0x3fc3ab76bf559e2b, v[24:25]
	v_mul_f64_e32 v[62:63], v[52:53], v[56:57]
	v_add_f64_e64 v[44:45], v[44:45], -v[48:49]
	s_delay_alu instid0(VALU_DEP_3) | instskip(NEXT) | instid1(TRANS32_DEP_1)
	v_fmaak_f64 v[60:61], v[56:57], v[60:61], 0x3fc7474dd7f4df2e
	v_fma_f64 v[64:65], -v[54:55], v[58:59], 1.0
	s_delay_alu instid0(VALU_DEP_2) | instskip(NEXT) | instid1(VALU_DEP_1)
	v_fmaak_f64 v[60:61], v[56:57], v[60:61], 0x3fcc71c016291751
	v_fmaak_f64 v[60:61], v[56:57], v[60:61], 0x3fd249249b27acf1
	s_delay_alu instid0(VALU_DEP_1) | instskip(SKIP_1) | instid1(VALU_DEP_2)
	v_fmaak_f64 v[60:61], v[56:57], v[60:61], 0x3fd99999998ef7b6
	v_ldexp_f64 v[44:45], v[44:45], 1
	v_fmaak_f64 v[56:57], v[56:57], v[60:61], 0x3fe5555555555780
	v_ldexp_f64 v[60:61], v[52:53], 1
	v_fmac_f64_e32 v[58:59], v[58:59], v[64:65]
	s_delay_alu instid0(VALU_DEP_3) | instskip(SKIP_2) | instid1(VALU_DEP_1)
	v_mul_f64_e32 v[56:57], v[62:63], v[56:57]
	v_cvt_f64_i32_e32 v[62:63], v8
	v_ashrrev_i32_e32 v8, 31, v3
	v_and_b32_e32 v16, 0x54442d18, v8
	v_fma_f64 v[64:65], -v[54:55], v[58:59], 1.0
	v_add_f64_e32 v[52:53], v[60:61], v[56:57]
	v_mul_f64_e32 v[66:67], 0x3fe62e42fefa39ef, v[62:63]
	s_delay_alu instid0(VALU_DEP_3) | instskip(NEXT) | instid1(VALU_DEP_3)
	v_fmac_f64_e32 v[58:59], v[58:59], v[64:65]
	v_add_f64_e64 v[48:49], v[52:53], -v[60:61]
	v_div_scale_f64 v[60:61], vcc_lo, v[50:51], v[46:47], v[50:51]
	s_delay_alu instid0(VALU_DEP_4) | instskip(NEXT) | instid1(VALU_DEP_3)
	v_fma_f64 v[64:65], v[62:63], s[34:35], -v[66:67]
	v_add_f64_e64 v[48:49], v[56:57], -v[48:49]
	s_delay_alu instid0(VALU_DEP_3) | instskip(NEXT) | instid1(VALU_DEP_3)
	v_mul_f64_e32 v[56:57], v[60:61], v[58:59]
	v_fmac_f64_e32 v[64:65], 0x3c7abc9e3b39803f, v[62:63]
	s_delay_alu instid0(VALU_DEP_3) | instskip(NEXT) | instid1(VALU_DEP_3)
	v_add_f64_e32 v[44:45], v[44:45], v[48:49]
	v_fma_f64 v[48:49], -v[54:55], v[56:57], v[60:61]
	s_delay_alu instid0(VALU_DEP_3) | instskip(NEXT) | instid1(VALU_DEP_3)
	v_add_f64_e32 v[54:55], v[66:67], v[64:65]
	v_add_f64_e32 v[60:61], v[52:53], v[44:45]
	s_delay_alu instid0(VALU_DEP_3) | instskip(SKIP_1) | instid1(VALU_DEP_4)
	v_div_fmas_f64 v[48:49], v[48:49], v[58:59], v[56:57]
	v_cmp_gt_i32_e32 vcc_lo, 0, v3
	v_add_f64_e64 v[58:59], v[54:55], -v[66:67]
	v_cndmask_b32_e32 v12, 0x54442d18, v68, vcc_lo
	v_add_f64_e32 v[56:57], v[54:55], v[60:61]
	v_div_fixup_f64 v[46:47], v[48:49], v[46:47], v[50:51]
	v_add_f64_e64 v[52:53], v[60:61], -v[52:53]
	v_add_f64_e64 v[58:59], v[64:65], -v[58:59]
	s_delay_alu instid0(VALU_DEP_4) | instskip(NEXT) | instid1(VALU_DEP_4)
	v_add_f64_e64 v[48:49], v[56:57], -v[54:55]
	v_mul_f64_e32 v[50:51], v[46:47], v[46:47]
	s_delay_alu instid0(VALU_DEP_4) | instskip(NEXT) | instid1(VALU_DEP_3)
	v_add_f64_e64 v[44:45], v[44:45], -v[52:53]
	v_add_f64_e64 v[62:63], v[56:57], -v[48:49]
	s_delay_alu instid0(VALU_DEP_3) | instskip(SKIP_1) | instid1(VALU_DEP_4)
	v_fmamk_f64 v[66:67], v[50:51], 0x3eeba404b5e68a13, v[26:27]
	v_add_f64_e64 v[48:49], v[60:61], -v[48:49]
	v_add_f64_e32 v[60:61], v[58:59], v[44:45]
	s_delay_alu instid0(VALU_DEP_3) | instskip(NEXT) | instid1(VALU_DEP_1)
	v_fmaak_f64 v[66:67], v[50:51], v[66:67], 0x3f4b2bb069efb384
	v_fmaak_f64 v[66:67], v[50:51], v[66:67], 0xbf67952daf56de9b
	v_add_f64_e64 v[52:53], v[54:55], -v[62:63]
	s_delay_alu instid0(VALU_DEP_2) | instskip(NEXT) | instid1(VALU_DEP_1)
	v_fmaak_f64 v[54:55], v[50:51], v[66:67], 0x3f7d6d43a595c56f
	v_fmaak_f64 v[54:55], v[50:51], v[54:55], 0xbf8c6ea4a57d9582
	s_delay_alu instid0(VALU_DEP_1) | instskip(NEXT) | instid1(VALU_DEP_1)
	v_fmaak_f64 v[54:55], v[50:51], v[54:55], 0x3f967e295f08b19f
	v_fmaak_f64 v[54:55], v[50:51], v[54:55], 0xbf9e9ae6fc27006a
	s_delay_alu instid0(VALU_DEP_1) | instskip(SKIP_1) | instid1(VALU_DEP_2)
	v_fmaak_f64 v[54:55], v[50:51], v[54:55], 0x3fa2c15b5711927a
	v_add_f64_e32 v[48:49], v[48:49], v[52:53]
	v_fmaak_f64 v[52:53], v[50:51], v[54:55], 0xbfa59976e82d3ff0
	v_add_f64_e64 v[54:55], v[60:61], -v[58:59]
	s_delay_alu instid0(VALU_DEP_2) | instskip(NEXT) | instid1(VALU_DEP_1)
	v_fmaak_f64 v[52:53], v[50:51], v[52:53], 0x3fa82d5d6ef28734
	v_fmaak_f64 v[52:53], v[50:51], v[52:53], 0xbfaae5ce6a214619
	s_delay_alu instid0(VALU_DEP_1) | instskip(NEXT) | instid1(VALU_DEP_1)
	v_fmaak_f64 v[52:53], v[50:51], v[52:53], 0x3fae1bb48427b883
	v_fmaak_f64 v[52:53], v[50:51], v[52:53], 0xbfb110e48b207f05
	v_add_f64_e32 v[48:49], v[60:61], v[48:49]
	v_add_f64_e64 v[60:61], v[60:61], -v[54:55]
	v_add_f64_e64 v[44:45], v[44:45], -v[54:55]
	s_delay_alu instid0(VALU_DEP_4) | instskip(NEXT) | instid1(VALU_DEP_1)
	v_fmaak_f64 v[52:53], v[50:51], v[52:53], 0x3fb3b13657b87036
	v_fmaak_f64 v[52:53], v[50:51], v[52:53], 0xbfb745d119378e4f
	s_delay_alu instid0(VALU_DEP_1) | instskip(NEXT) | instid1(VALU_DEP_1)
	v_fmaak_f64 v[52:53], v[50:51], v[52:53], 0x3fbc71c717e1913c
	v_fmaak_f64 v[52:53], v[50:51], v[52:53], 0xbfc2492492376b7d
	v_add_f64_e32 v[62:63], v[56:57], v[48:49]
	s_delay_alu instid0(VALU_DEP_2) | instskip(NEXT) | instid1(VALU_DEP_1)
	v_fmaak_f64 v[52:53], v[50:51], v[52:53], 0x3fc99999999952cc
	v_fmaak_f64 v[52:53], v[50:51], v[52:53], 0xbfd5555555555523
	s_delay_alu instid0(VALU_DEP_1) | instskip(SKIP_2) | instid1(VALU_DEP_3)
	v_mul_f64_e32 v[50:51], v[50:51], v[52:53]
	v_add_f64_e64 v[52:53], v[58:59], -v[60:61]
	v_add_f64_e64 v[54:55], v[62:63], -v[56:57]
	v_fmac_f64_e32 v[46:47], v[46:47], v[50:51]
	s_delay_alu instid0(VALU_DEP_3) | instskip(NEXT) | instid1(VALU_DEP_3)
	v_add_f64_e32 v[44:45], v[44:45], v[52:53]
	v_add_f64_e64 v[48:49], v[48:49], -v[54:55]
	s_delay_alu instid0(VALU_DEP_3) | instskip(NEXT) | instid1(VALU_DEP_1)
	v_add_f64_e64 v[50:51], -v[46:47], s[40:41]
	v_dual_add_f64 v[44:45], v[44:45], v[48:49] :: v_dual_cndmask_b32 v47, v47, v51, s6
	s_delay_alu instid0(VALU_DEP_2) | instskip(SKIP_3) | instid1(VALU_DEP_4)
	v_cndmask_b32_e64 v46, v46, v50, s6
	v_cmp_neq_f64_e64 s8, 0x7ff00000, v[6:7]
	v_cndmask_b32_e32 v6, 0x3fe921fb, v69, vcc_lo
	v_and_b32_e32 v7, 0x400921fb, v8
	v_add_f64_e64 v[48:49], -v[46:47], s[42:43]
	s_delay_alu instid0(VALU_DEP_3) | instskip(SKIP_1) | instid1(VALU_DEP_3)
	v_bfi_b32 v6, 0x7fffffff, v6, v5
	v_add_f64_e32 v[44:45], v[62:63], v[44:45]
	v_dual_cndmask_b32 v21, v46, v48 :: v_dual_cndmask_b32 v8, v47, v49
	s_and_b32 vcc_lo, s11, s12
                                        ; implicit-def: $vgpr48_vgpr49
	s_delay_alu instid0(VALU_DEP_1) | instskip(NEXT) | instid1(VALU_DEP_1)
	v_dual_cndmask_b32 v16, v21, v16, s7 :: v_dual_cndmask_b32 v7, v8, v7, s7
	v_dual_mul_f64 v[2:3], 0.5, v[44:45] :: v_dual_cndmask_b32 v45, v7, v6, vcc_lo
	s_delay_alu instid0(VALU_DEP_2) | instskip(NEXT) | instid1(VALU_DEP_2)
	v_cndmask_b32_e32 v44, v16, v12, vcc_lo
	v_cndmask_b32_e64 v7, 0x7ff00000, v3, s8
	s_delay_alu instid0(VALU_DEP_3)
	v_cndmask_b32_e64 v6, 0, v2, s8
.LBB185_140:                            ;   in Loop: Header=BB185_4 Depth=1
	s_and_not1_saveexec_b32 s8, s10
	s_cbranch_execz .LBB185_142
; %bb.141:                              ;   in Loop: Header=BB185_4 Depth=1
	v_max_num_f64_e64 v[6:7], |v[4:5]|, |v[4:5]|
	v_max_num_f64_e64 v[44:45], |v[2:3]|, |v[2:3]|
	v_ashrrev_i32_e32 v8, 31, v3
	v_cmp_eq_f64_e64 s7, 0, v[4:5]
	v_cmp_class_f64_e64 s10, v[4:5], 0x204
	v_cmp_class_f64_e64 s11, v[2:3], 0x204
	s_delay_alu instid0(VALU_DEP_4) | instskip(SKIP_2) | instid1(VALU_DEP_1)
	v_and_b32_e32 v16, 0x54442d18, v8
	v_max_num_f64_e32 v[46:47], v[44:45], v[6:7]
	v_min_num_f64_e32 v[6:7], v[44:45], v[6:7]
	v_div_scale_f64 v[44:45], null, v[46:47], v[46:47], v[6:7]
	v_div_scale_f64 v[54:55], vcc_lo, v[6:7], v[46:47], v[6:7]
	s_delay_alu instid0(VALU_DEP_2) | instskip(SKIP_1) | instid1(TRANS32_DEP_1)
	v_rcp_f64_e32 v[50:51], v[44:45]
	v_nop
	v_fma_f64 v[52:53], -v[44:45], v[50:51], 1.0
	s_delay_alu instid0(VALU_DEP_1) | instskip(NEXT) | instid1(VALU_DEP_1)
	v_fmac_f64_e32 v[50:51], v[50:51], v[52:53]
	v_fma_f64 v[52:53], -v[44:45], v[50:51], 1.0
	s_delay_alu instid0(VALU_DEP_1) | instskip(NEXT) | instid1(VALU_DEP_1)
	v_fmac_f64_e32 v[50:51], v[50:51], v[52:53]
	v_mul_f64_e32 v[52:53], v[54:55], v[50:51]
	s_delay_alu instid0(VALU_DEP_1) | instskip(NEXT) | instid1(VALU_DEP_1)
	v_fma_f64 v[44:45], -v[44:45], v[52:53], v[54:55]
	v_div_fmas_f64 v[44:45], v[44:45], v[50:51], v[52:53]
	v_cmp_gt_i32_e32 vcc_lo, 0, v3
	v_and_b32_e32 v3, 0x400921fb, v8
	v_cndmask_b32_e32 v12, 0x54442d18, v68, vcc_lo
	v_cndmask_b32_e32 v2, 0x3fe921fb, v69, vcc_lo
	s_delay_alu instid0(VALU_DEP_1) | instskip(SKIP_1) | instid1(VALU_DEP_1)
	v_bfi_b32 v2, 0x7fffffff, v2, v5
	v_div_fixup_f64 v[6:7], v[44:45], v[46:47], v[6:7]
	v_mul_f64_e32 v[44:45], v[6:7], v[6:7]
	s_delay_alu instid0(VALU_DEP_1) | instskip(NEXT) | instid1(VALU_DEP_1)
	v_fmamk_f64 v[46:47], v[44:45], 0x3eeba404b5e68a13, v[26:27]
	v_fmaak_f64 v[46:47], v[44:45], v[46:47], 0x3f4b2bb069efb384
	s_delay_alu instid0(VALU_DEP_1) | instskip(NEXT) | instid1(VALU_DEP_1)
	v_fmaak_f64 v[46:47], v[44:45], v[46:47], 0xbf67952daf56de9b
	v_fmaak_f64 v[46:47], v[44:45], v[46:47], 0x3f7d6d43a595c56f
	s_delay_alu instid0(VALU_DEP_1) | instskip(NEXT) | instid1(VALU_DEP_1)
	v_fmaak_f64 v[46:47], v[44:45], v[46:47], 0xbf8c6ea4a57d9582
	;; [unrolled: 3-line block ×9, first 2 shown]
	v_mul_f64_e32 v[44:45], v[44:45], v[46:47]
	s_delay_alu instid0(VALU_DEP_1) | instskip(NEXT) | instid1(VALU_DEP_1)
	v_fmac_f64_e32 v[6:7], v[6:7], v[44:45]
	v_add_f64_e64 v[44:45], -v[6:7], s[40:41]
	s_delay_alu instid0(VALU_DEP_1) | instskip(SKIP_1) | instid1(VALU_DEP_1)
	v_dual_cndmask_b32 v45, v7, v45, s6 :: v_dual_cndmask_b32 v44, v6, v44, s6
	v_mul_f64_e32 v[6:7], 0.5, v[48:49]
	v_mul_f64_e32 v[6:7], v[48:49], v[6:7]
	s_delay_alu instid0(VALU_DEP_3) | instskip(NEXT) | instid1(VALU_DEP_1)
	v_add_f64_e64 v[46:47], -v[44:45], s[42:43]
	v_cndmask_b32_e32 v21, v44, v46, vcc_lo
	s_delay_alu instid0(VALU_DEP_1) | instskip(NEXT) | instid1(VALU_DEP_3)
	v_cndmask_b32_e64 v16, v21, v16, s7
	v_cndmask_b32_e32 v8, v45, v47, vcc_lo
	s_and_b32 vcc_lo, s10, s11
	s_delay_alu instid0(VALU_DEP_2) | instskip(NEXT) | instid1(VALU_DEP_2)
	v_cndmask_b32_e32 v44, v16, v12, vcc_lo
	v_cndmask_b32_e64 v3, v8, v3, s7
	s_delay_alu instid0(VALU_DEP_1)
	v_cndmask_b32_e32 v45, v3, v2, vcc_lo
.LBB185_142:                            ;   in Loop: Header=BB185_4 Depth=1
	s_or_b32 exec_lo, exec_lo, s8
.LBB185_143:                            ;   in Loop: Header=BB185_4 Depth=1
	s_delay_alu instid0(SALU_CYCLE_1)
	s_or_b32 exec_lo, exec_lo, s9
.LBB185_144:                            ;   in Loop: Header=BB185_4 Depth=1
	s_and_not1_saveexec_b32 s8, s33
	s_cbranch_execz .LBB185_146
; %bb.145:                              ;   in Loop: Header=BB185_4 Depth=1
	v_div_scale_f64 v[6:7], null, s[48:49], s[48:49], v[2:3]
	v_div_scale_f64 v[44:45], null, s[48:49], s[48:49], v[4:5]
	v_div_scale_f64 v[54:55], vcc_lo, v[2:3], s[48:49], v[2:3]
	s_delay_alu instid0(VALU_DEP_3) | instskip(NEXT) | instid1(VALU_DEP_2)
	v_rcp_f64_e32 v[46:47], v[6:7]
	v_rcp_f64_e32 v[48:49], v[44:45]
	s_delay_alu instid0(TRANS32_DEP_2) | instskip(NEXT) | instid1(TRANS32_DEP_1)
	v_fma_f64 v[50:51], -v[6:7], v[46:47], 1.0
	v_fma_f64 v[52:53], -v[44:45], v[48:49], 1.0
	s_delay_alu instid0(VALU_DEP_2) | instskip(NEXT) | instid1(VALU_DEP_2)
	v_fmac_f64_e32 v[46:47], v[46:47], v[50:51]
	v_fmac_f64_e32 v[48:49], v[48:49], v[52:53]
	s_delay_alu instid0(VALU_DEP_2) | instskip(NEXT) | instid1(VALU_DEP_2)
	v_fma_f64 v[50:51], -v[6:7], v[46:47], 1.0
	v_fma_f64 v[52:53], -v[44:45], v[48:49], 1.0
	s_delay_alu instid0(VALU_DEP_2) | instskip(SKIP_1) | instid1(VALU_DEP_3)
	v_fmac_f64_e32 v[46:47], v[46:47], v[50:51]
	v_div_scale_f64 v[50:51], s7, v[4:5], s[48:49], v[4:5]
	v_fmac_f64_e32 v[48:49], v[48:49], v[52:53]
	s_delay_alu instid0(VALU_DEP_3) | instskip(NEXT) | instid1(VALU_DEP_2)
	v_mul_f64_e32 v[52:53], v[54:55], v[46:47]
	v_mul_f64_e32 v[56:57], v[50:51], v[48:49]
	s_delay_alu instid0(VALU_DEP_2) | instskip(NEXT) | instid1(VALU_DEP_2)
	v_fma_f64 v[6:7], -v[6:7], v[52:53], v[54:55]
	v_fma_f64 v[44:45], -v[44:45], v[56:57], v[50:51]
	s_delay_alu instid0(VALU_DEP_2) | instskip(SKIP_1) | instid1(VALU_DEP_2)
	v_div_fmas_f64 v[6:7], v[6:7], v[46:47], v[52:53]
	s_mov_b32 vcc_lo, s7
	v_div_fmas_f64 v[44:45], v[44:45], v[48:49], v[56:57]
	s_delay_alu instid0(VALU_DEP_2) | instskip(NEXT) | instid1(VALU_DEP_2)
	v_div_fixup_f64 v[6:7], v[6:7], s[48:49], v[2:3]
	v_div_fixup_f64 v[44:45], v[44:45], s[48:49], v[4:5]
	s_delay_alu instid0(VALU_DEP_2) | instskip(NEXT) | instid1(VALU_DEP_2)
	v_cmp_class_f64_e64 s7, v[6:7], 0x204
	v_max_num_f64_e64 v[46:47], |v[6:7]|, |v[44:45]|
	v_cmp_class_f64_e64 s9, v[44:45], 0x204
	s_delay_alu instid0(VALU_DEP_2) | instskip(SKIP_2) | instid1(VALU_DEP_2)
	v_frexp_exp_i32_f64_e32 v8, v[46:47]
	s_or_b32 s7, s9, s7
	v_cmp_class_f64_e64 s9, v[2:3], 0x204
	v_sub_nc_u32_e32 v12, 0, v8
	s_delay_alu instid0(VALU_DEP_1) | instskip(SKIP_1) | instid1(VALU_DEP_2)
	v_ldexp_f64 v[46:47], |v[44:45]|, v12
	v_ldexp_f64 v[48:49], |v[6:7]|, v12
	v_mul_f64_e32 v[46:47], v[46:47], v[46:47]
	s_delay_alu instid0(VALU_DEP_1) | instskip(NEXT) | instid1(VALU_DEP_1)
	v_fmac_f64_e32 v[46:47], v[48:49], v[48:49]
	v_rsq_f64_e32 v[48:49], v[46:47]
	v_cmp_eq_f64_e32 vcc_lo, 0, v[46:47]
	s_delay_alu instid0(TRANS32_DEP_1) | instskip(SKIP_1) | instid1(VALU_DEP_1)
	v_mul_f64_e32 v[50:51], v[46:47], v[48:49]
	v_mul_f64_e32 v[48:49], 0.5, v[48:49]
	v_fma_f64 v[52:53], -v[48:49], v[50:51], 0.5
	s_delay_alu instid0(VALU_DEP_1) | instskip(SKIP_1) | instid1(VALU_DEP_2)
	v_fmac_f64_e32 v[50:51], v[50:51], v[52:53]
	v_fmac_f64_e32 v[48:49], v[48:49], v[52:53]
	v_fma_f64 v[52:53], -v[50:51], v[50:51], v[46:47]
	s_delay_alu instid0(VALU_DEP_1) | instskip(NEXT) | instid1(VALU_DEP_1)
	v_fmac_f64_e32 v[50:51], v[52:53], v[48:49]
	v_dual_cndmask_b32 v47, v51, v47 :: v_dual_cndmask_b32 v46, v50, v46
	v_cmp_o_f64_e32 vcc_lo, v[6:7], v[44:45]
	s_delay_alu instid0(VALU_DEP_2) | instskip(NEXT) | instid1(VALU_DEP_1)
	v_ldexp_f64 v[46:47], v[46:47], v8
	v_cndmask_b32_e32 v6, 0, v46, vcc_lo
	s_delay_alu instid0(VALU_DEP_2) | instskip(NEXT) | instid1(VALU_DEP_2)
	v_cndmask_b32_e32 v7, 0x7ff80000, v47, vcc_lo
	v_cndmask_b32_e64 v46, v6, 0, s7
	s_delay_alu instid0(VALU_DEP_2) | instskip(SKIP_1) | instid1(VALU_DEP_2)
	v_cndmask_b32_e64 v47, v7, 0x7ff00000, s7
	v_cmp_class_f64_e64 s7, v[4:5], 0x204
	v_frexp_mant_f64_e32 v[6:7], v[46:47]
	s_delay_alu instid0(VALU_DEP_1) | instskip(SKIP_1) | instid1(VALU_DEP_1)
	v_cmp_gt_f64_e32 vcc_lo, s[30:31], v[6:7]
	v_cndmask_b32_e64 v8, 0, 1, vcc_lo
	v_ldexp_f64 v[6:7], v[6:7], v8
	v_frexp_exp_i32_f64_e32 v8, v[46:47]
	s_delay_alu instid0(VALU_DEP_2) | instskip(SKIP_1) | instid1(VALU_DEP_3)
	v_add_f64_e32 v[44:45], 1.0, v[6:7]
	v_add_f64_e32 v[52:53], -1.0, v[6:7]
	v_subrev_co_ci_u32_e64 v8, null, 0, v8, vcc_lo
	s_delay_alu instid0(VALU_DEP_3) | instskip(SKIP_1) | instid1(VALU_DEP_1)
	v_rcp_f64_e32 v[48:49], v[44:45]
	v_add_f64_e32 v[54:55], -1.0, v[44:45]
	v_add_f64_e64 v[6:7], v[6:7], -v[54:55]
	s_delay_alu instid0(TRANS32_DEP_1) | instskip(NEXT) | instid1(VALU_DEP_1)
	v_fma_f64 v[50:51], -v[44:45], v[48:49], 1.0
	v_fmac_f64_e32 v[48:49], v[50:51], v[48:49]
	s_delay_alu instid0(VALU_DEP_1) | instskip(NEXT) | instid1(VALU_DEP_1)
	v_fma_f64 v[50:51], -v[44:45], v[48:49], 1.0
	v_fmac_f64_e32 v[48:49], v[50:51], v[48:49]
	s_delay_alu instid0(VALU_DEP_1) | instskip(NEXT) | instid1(VALU_DEP_1)
	v_mul_f64_e32 v[50:51], v[52:53], v[48:49]
	v_mul_f64_e32 v[56:57], v[44:45], v[50:51]
	s_delay_alu instid0(VALU_DEP_1) | instskip(NEXT) | instid1(VALU_DEP_1)
	v_fma_f64 v[44:45], v[50:51], v[44:45], -v[56:57]
	v_fmac_f64_e32 v[44:45], v[50:51], v[6:7]
	s_delay_alu instid0(VALU_DEP_1) | instskip(NEXT) | instid1(VALU_DEP_1)
	v_add_f64_e32 v[6:7], v[56:57], v[44:45]
	v_add_f64_e64 v[54:55], v[52:53], -v[6:7]
	v_add_f64_e64 v[56:57], v[6:7], -v[56:57]
	s_delay_alu instid0(VALU_DEP_2) | instskip(NEXT) | instid1(VALU_DEP_2)
	v_add_f64_e64 v[52:53], v[52:53], -v[54:55]
	v_add_f64_e64 v[44:45], v[56:57], -v[44:45]
	s_delay_alu instid0(VALU_DEP_2) | instskip(SKIP_1) | instid1(VALU_DEP_2)
	v_add_f64_e64 v[6:7], v[52:53], -v[6:7]
	v_max_num_f64_e64 v[52:53], |v[2:3]|, |v[2:3]|
	v_add_f64_e32 v[6:7], v[44:45], v[6:7]
	v_max_num_f64_e64 v[44:45], |v[4:5]|, |v[4:5]|
	s_delay_alu instid0(VALU_DEP_2) | instskip(NEXT) | instid1(VALU_DEP_1)
	v_add_f64_e32 v[6:7], v[54:55], v[6:7]
	v_mul_f64_e32 v[6:7], v[48:49], v[6:7]
	s_delay_alu instid0(VALU_DEP_3) | instskip(SKIP_1) | instid1(VALU_DEP_3)
	v_max_num_f64_e32 v[48:49], v[52:53], v[44:45]
	v_min_num_f64_e32 v[44:45], v[52:53], v[44:45]
	v_add_f64_e32 v[52:53], v[50:51], v[6:7]
	s_delay_alu instid0(VALU_DEP_2) | instskip(NEXT) | instid1(VALU_DEP_2)
	v_div_scale_f64 v[54:55], null, v[48:49], v[48:49], v[44:45]
	v_mul_f64_e32 v[56:57], v[52:53], v[52:53]
	v_add_f64_e64 v[50:51], v[52:53], -v[50:51]
	s_delay_alu instid0(VALU_DEP_3) | instskip(NEXT) | instid1(VALU_DEP_2)
	v_rcp_f64_e32 v[58:59], v[54:55]
	v_fmamk_f64 v[60:61], v[56:57], 0x3fc3ab76bf559e2b, v[24:25]
	v_mul_f64_e32 v[62:63], v[52:53], v[56:57]
	s_delay_alu instid0(VALU_DEP_3) | instskip(NEXT) | instid1(VALU_DEP_3)
	v_add_f64_e64 v[6:7], v[6:7], -v[50:51]
	v_fmaak_f64 v[60:61], v[56:57], v[60:61], 0x3fc7474dd7f4df2e
	s_delay_alu instid0(TRANS32_DEP_1) | instskip(NEXT) | instid1(VALU_DEP_2)
	v_fma_f64 v[64:65], -v[54:55], v[58:59], 1.0
	v_fmaak_f64 v[60:61], v[56:57], v[60:61], 0x3fcc71c016291751
	s_delay_alu instid0(VALU_DEP_1) | instskip(NEXT) | instid1(VALU_DEP_1)
	v_fmaak_f64 v[60:61], v[56:57], v[60:61], 0x3fd249249b27acf1
	v_fmaak_f64 v[60:61], v[56:57], v[60:61], 0x3fd99999998ef7b6
	v_ldexp_f64 v[6:7], v[6:7], 1
	s_delay_alu instid0(VALU_DEP_2) | instskip(SKIP_2) | instid1(VALU_DEP_3)
	v_fmaak_f64 v[56:57], v[56:57], v[60:61], 0x3fe5555555555780
	v_ldexp_f64 v[60:61], v[52:53], 1
	v_fmac_f64_e32 v[58:59], v[58:59], v[64:65]
	v_mul_f64_e32 v[56:57], v[62:63], v[56:57]
	v_cvt_f64_i32_e32 v[62:63], v8
	v_ashrrev_i32_e32 v8, 31, v3
	s_delay_alu instid0(VALU_DEP_1) | instskip(SKIP_3) | instid1(VALU_DEP_3)
	v_and_b32_e32 v16, 0x54442d18, v8
	v_fma_f64 v[64:65], -v[54:55], v[58:59], 1.0
	v_add_f64_e32 v[52:53], v[60:61], v[56:57]
	v_mul_f64_e32 v[66:67], 0x3fe62e42fefa39ef, v[62:63]
	v_fmac_f64_e32 v[58:59], v[58:59], v[64:65]
	s_delay_alu instid0(VALU_DEP_3) | instskip(SKIP_1) | instid1(VALU_DEP_4)
	v_add_f64_e64 v[50:51], v[52:53], -v[60:61]
	v_div_scale_f64 v[60:61], vcc_lo, v[44:45], v[48:49], v[44:45]
	v_fma_f64 v[64:65], v[62:63], s[34:35], -v[66:67]
	s_delay_alu instid0(VALU_DEP_3) | instskip(NEXT) | instid1(VALU_DEP_3)
	v_add_f64_e64 v[50:51], v[56:57], -v[50:51]
	v_mul_f64_e32 v[56:57], v[60:61], v[58:59]
	s_delay_alu instid0(VALU_DEP_3) | instskip(NEXT) | instid1(VALU_DEP_3)
	v_fmac_f64_e32 v[64:65], 0x3c7abc9e3b39803f, v[62:63]
	v_add_f64_e32 v[6:7], v[6:7], v[50:51]
	s_delay_alu instid0(VALU_DEP_3) | instskip(NEXT) | instid1(VALU_DEP_3)
	v_fma_f64 v[50:51], -v[54:55], v[56:57], v[60:61]
	v_add_f64_e32 v[54:55], v[66:67], v[64:65]
	s_delay_alu instid0(VALU_DEP_3) | instskip(NEXT) | instid1(VALU_DEP_3)
	v_add_f64_e32 v[60:61], v[52:53], v[6:7]
	v_div_fmas_f64 v[50:51], v[50:51], v[58:59], v[56:57]
	v_cmp_class_f64_e64 vcc_lo, v[46:47], 0x204
	s_delay_alu instid0(VALU_DEP_4) | instskip(NEXT) | instid1(VALU_DEP_4)
	v_add_f64_e64 v[58:59], v[54:55], -v[66:67]
	v_add_f64_e32 v[56:57], v[54:55], v[60:61]
	s_delay_alu instid0(VALU_DEP_4) | instskip(SKIP_1) | instid1(VALU_DEP_4)
	v_div_fixup_f64 v[44:45], v[50:51], v[48:49], v[44:45]
	v_add_f64_e64 v[52:53], v[60:61], -v[52:53]
	v_add_f64_e64 v[58:59], v[64:65], -v[58:59]
	s_delay_alu instid0(VALU_DEP_4) | instskip(NEXT) | instid1(VALU_DEP_4)
	v_add_f64_e64 v[48:49], v[56:57], -v[54:55]
	v_mul_f64_e32 v[50:51], v[44:45], v[44:45]
	s_delay_alu instid0(VALU_DEP_4) | instskip(NEXT) | instid1(VALU_DEP_3)
	v_add_f64_e64 v[6:7], v[6:7], -v[52:53]
	v_add_f64_e64 v[62:63], v[56:57], -v[48:49]
	s_delay_alu instid0(VALU_DEP_3) | instskip(SKIP_1) | instid1(VALU_DEP_4)
	v_fmamk_f64 v[66:67], v[50:51], 0x3eeba404b5e68a13, v[26:27]
	v_add_f64_e64 v[48:49], v[60:61], -v[48:49]
	v_add_f64_e32 v[60:61], v[58:59], v[6:7]
	s_delay_alu instid0(VALU_DEP_3) | instskip(SKIP_1) | instid1(VALU_DEP_2)
	v_fmaak_f64 v[66:67], v[50:51], v[66:67], 0x3f4b2bb069efb384
	v_add_f64_e64 v[52:53], v[54:55], -v[62:63]
	v_fmaak_f64 v[54:55], v[50:51], v[66:67], 0xbf67952daf56de9b
	s_delay_alu instid0(VALU_DEP_1) | instskip(NEXT) | instid1(VALU_DEP_1)
	v_fmaak_f64 v[54:55], v[50:51], v[54:55], 0x3f7d6d43a595c56f
	v_fmaak_f64 v[54:55], v[50:51], v[54:55], 0xbf8c6ea4a57d9582
	s_delay_alu instid0(VALU_DEP_1) | instskip(SKIP_1) | instid1(VALU_DEP_2)
	v_fmaak_f64 v[54:55], v[50:51], v[54:55], 0x3f967e295f08b19f
	v_add_f64_e32 v[48:49], v[48:49], v[52:53]
	v_fmaak_f64 v[52:53], v[50:51], v[54:55], 0xbf9e9ae6fc27006a
	v_add_f64_e64 v[54:55], v[60:61], -v[58:59]
	s_delay_alu instid0(VALU_DEP_2) | instskip(NEXT) | instid1(VALU_DEP_1)
	v_fmaak_f64 v[52:53], v[50:51], v[52:53], 0x3fa2c15b5711927a
	v_fmaak_f64 v[52:53], v[50:51], v[52:53], 0xbfa59976e82d3ff0
	s_delay_alu instid0(VALU_DEP_1) | instskip(NEXT) | instid1(VALU_DEP_1)
	v_fmaak_f64 v[52:53], v[50:51], v[52:53], 0x3fa82d5d6ef28734
	v_fmaak_f64 v[52:53], v[50:51], v[52:53], 0xbfaae5ce6a214619
	v_add_f64_e32 v[48:49], v[60:61], v[48:49]
	v_add_f64_e64 v[60:61], v[60:61], -v[54:55]
	v_add_f64_e64 v[6:7], v[6:7], -v[54:55]
	s_delay_alu instid0(VALU_DEP_4) | instskip(NEXT) | instid1(VALU_DEP_1)
	v_fmaak_f64 v[52:53], v[50:51], v[52:53], 0x3fae1bb48427b883
	v_fmaak_f64 v[52:53], v[50:51], v[52:53], 0xbfb110e48b207f05
	s_delay_alu instid0(VALU_DEP_1) | instskip(NEXT) | instid1(VALU_DEP_1)
	v_fmaak_f64 v[52:53], v[50:51], v[52:53], 0x3fb3b13657b87036
	v_fmaak_f64 v[52:53], v[50:51], v[52:53], 0xbfb745d119378e4f
	s_delay_alu instid0(VALU_DEP_1) | instskip(SKIP_1) | instid1(VALU_DEP_2)
	v_fmaak_f64 v[52:53], v[50:51], v[52:53], 0x3fbc71c717e1913c
	v_add_f64_e32 v[62:63], v[56:57], v[48:49]
	v_fmaak_f64 v[52:53], v[50:51], v[52:53], 0xbfc2492492376b7d
	s_delay_alu instid0(VALU_DEP_1) | instskip(NEXT) | instid1(VALU_DEP_1)
	v_fmaak_f64 v[52:53], v[50:51], v[52:53], 0x3fc99999999952cc
	v_fmaak_f64 v[52:53], v[50:51], v[52:53], 0xbfd5555555555523
	s_delay_alu instid0(VALU_DEP_1) | instskip(SKIP_2) | instid1(VALU_DEP_3)
	v_mul_f64_e32 v[50:51], v[50:51], v[52:53]
	v_add_f64_e64 v[52:53], v[58:59], -v[60:61]
	v_add_f64_e64 v[54:55], v[62:63], -v[56:57]
	v_fmac_f64_e32 v[44:45], v[44:45], v[50:51]
	s_delay_alu instid0(VALU_DEP_3) | instskip(NEXT) | instid1(VALU_DEP_3)
	v_add_f64_e32 v[6:7], v[6:7], v[52:53]
	v_add_f64_e64 v[48:49], v[48:49], -v[54:55]
	s_delay_alu instid0(VALU_DEP_3) | instskip(NEXT) | instid1(VALU_DEP_1)
	v_add_f64_e64 v[50:51], -v[44:45], s[40:41]
	v_dual_add_f64 v[6:7], v[6:7], v[48:49] :: v_dual_cndmask_b32 v45, v45, v51, s6
	s_delay_alu instid0(VALU_DEP_2) | instskip(SKIP_2) | instid1(VALU_DEP_4)
	v_cndmask_b32_e64 v44, v44, v50, s6
	v_cmp_gt_i32_e64 s6, 0, v3
	v_and_b32_e32 v3, 0x400921fb, v8
	v_add_f64_e32 v[6:7], v[62:63], v[6:7]
	s_delay_alu instid0(VALU_DEP_4) | instskip(NEXT) | instid1(VALU_DEP_4)
	v_add_f64_e64 v[48:49], -v[44:45], s[42:43]
	v_cndmask_b32_e64 v12, 0x54442d18, v68, s6
	v_cndmask_b32_e64 v2, 0x3fe921fb, v69, s6
	s_delay_alu instid0(VALU_DEP_1) | instskip(SKIP_4) | instid1(VALU_DEP_2)
	v_bfi_b32 v2, 0x7fffffff, v2, v5
	v_dual_cndmask_b32 v7, v7, v47 :: v_dual_cndmask_b32 v6, v6, v46
	v_cmp_eq_f64_e32 vcc_lo, 0, v[4:5]
	v_dual_cndmask_b32 v21, v44, v48, s6 :: v_dual_cndmask_b32 v8, v45, v49, s6
	v_cmp_nge_f64_e64 s6, 0, v[46:47]
	v_dual_add_f64 v[6:7], 1.0, v[6:7] :: v_dual_cndmask_b32 v16, v21, v16, vcc_lo
	s_delay_alu instid0(VALU_DEP_3) | instskip(SKIP_1) | instid1(VALU_DEP_3)
	v_cndmask_b32_e32 v3, v8, v3, vcc_lo
	v_cmp_ngt_f64_e32 vcc_lo, 0, v[46:47]
	v_cndmask_b32_e64 v6, 0, v6, s6
	v_cmp_neq_f64_e64 s6, 0, v[46:47]
	v_cndmask_b32_e32 v7, 0x7ff80000, v7, vcc_lo
	s_and_b32 vcc_lo, s7, s9
	v_dual_cndmask_b32 v45, v3, v2 :: v_dual_cndmask_b32 v44, v16, v12
	s_delay_alu instid0(VALU_DEP_2)
	v_cndmask_b32_e64 v7, 0xfff00000, v7, s6
.LBB185_146:                            ;   in Loop: Header=BB185_4 Depth=1
	s_or_b32 exec_lo, exec_lo, s8
	s_and_not1_saveexec_b32 s6, s17
	s_cbranch_execz .LBB185_116
.LBB185_147:                            ;   in Loop: Header=BB185_4 Depth=1
	v_cmp_ngt_f64_e64 s7, 0x20000000, |v[2:3]|
	v_cmp_ngt_f64_e64 s8, 0x20000000, |v[4:5]|
                                        ; implicit-def: $vgpr46_vgpr47
	s_or_b32 s7, s8, s7
	s_delay_alu instid0(SALU_CYCLE_1) | instskip(NEXT) | instid1(SALU_CYCLE_1)
	s_and_saveexec_b32 s8, s7
	s_xor_b32 s7, exec_lo, s8
	s_cbranch_execz .LBB185_149
; %bb.148:                              ;   in Loop: Header=BB185_4 Depth=1
	v_mul_f64_e32 v[46:47], v[2:3], v[2:3]
	s_delay_alu instid0(VALU_DEP_1)
	v_fmac_f64_e32 v[46:47], v[4:5], v[4:5]
.LBB185_149:                            ;   in Loop: Header=BB185_4 Depth=1
	s_and_not1_saveexec_b32 s7, s7
	s_cbranch_execz .LBB185_151
; %bb.150:                              ;   in Loop: Header=BB185_4 Depth=1
	v_mul_f64_e32 v[2:3], 4.0, v[2:3]
	v_mul_f64_e32 v[6:7], 4.0, v[4:5]
	s_delay_alu instid0(VALU_DEP_2) | instskip(NEXT) | instid1(VALU_DEP_1)
	v_mul_f64_e32 v[2:3], v[2:3], v[2:3]
	v_fmac_f64_e32 v[2:3], v[6:7], v[6:7]
	s_delay_alu instid0(VALU_DEP_1)
	v_ldexp_f64 v[46:47], v[2:3], -4
.LBB185_151:                            ;   in Loop: Header=BB185_4 Depth=1
	s_or_b32 exec_lo, exec_lo, s7
	s_delay_alu instid0(VALU_DEP_1) | instskip(NEXT) | instid1(VALU_DEP_1)
	v_frexp_mant_f64_e32 v[2:3], v[46:47]
	v_cmp_gt_f64_e32 vcc_lo, s[30:31], v[2:3]
	v_cndmask_b32_e64 v4, 0, 1, vcc_lo
	s_delay_alu instid0(VALU_DEP_1) | instskip(SKIP_1) | instid1(VALU_DEP_2)
	v_ldexp_f64 v[2:3], v[2:3], v4
	v_frexp_exp_i32_f64_e32 v4, v[46:47]
	v_add_f64_e32 v[6:7], 1.0, v[2:3]
	v_add_f64_e32 v[50:51], -1.0, v[2:3]
	s_delay_alu instid0(VALU_DEP_3) | instskip(SKIP_1) | instid1(VALU_DEP_4)
	v_subrev_co_ci_u32_e64 v4, null, 0, v4, vcc_lo
	v_cmp_class_f64_e64 vcc_lo, v[46:47], 0x204
	v_rcp_f64_e32 v[44:45], v[6:7]
	v_add_f64_e32 v[52:53], -1.0, v[6:7]
	s_delay_alu instid0(VALU_DEP_1) | instskip(NEXT) | instid1(TRANS32_DEP_1)
	v_add_f64_e64 v[2:3], v[2:3], -v[52:53]
	v_fma_f64 v[48:49], -v[6:7], v[44:45], 1.0
	s_delay_alu instid0(VALU_DEP_1) | instskip(NEXT) | instid1(VALU_DEP_1)
	v_fmac_f64_e32 v[44:45], v[48:49], v[44:45]
	v_fma_f64 v[48:49], -v[6:7], v[44:45], 1.0
	s_delay_alu instid0(VALU_DEP_1) | instskip(NEXT) | instid1(VALU_DEP_1)
	v_fmac_f64_e32 v[44:45], v[48:49], v[44:45]
	v_mul_f64_e32 v[48:49], v[50:51], v[44:45]
	s_delay_alu instid0(VALU_DEP_1) | instskip(NEXT) | instid1(VALU_DEP_1)
	v_mul_f64_e32 v[54:55], v[6:7], v[48:49]
	v_fma_f64 v[6:7], v[48:49], v[6:7], -v[54:55]
	s_delay_alu instid0(VALU_DEP_1) | instskip(NEXT) | instid1(VALU_DEP_1)
	v_fmac_f64_e32 v[6:7], v[48:49], v[2:3]
	v_add_f64_e32 v[2:3], v[54:55], v[6:7]
	s_delay_alu instid0(VALU_DEP_1) | instskip(SKIP_1) | instid1(VALU_DEP_2)
	v_add_f64_e64 v[52:53], v[50:51], -v[2:3]
	v_add_f64_e64 v[54:55], v[2:3], -v[54:55]
	;; [unrolled: 1-line block ×3, first 2 shown]
	s_delay_alu instid0(VALU_DEP_2) | instskip(NEXT) | instid1(VALU_DEP_2)
	v_add_f64_e64 v[6:7], v[54:55], -v[6:7]
	v_add_f64_e64 v[2:3], v[50:51], -v[2:3]
	s_delay_alu instid0(VALU_DEP_1) | instskip(NEXT) | instid1(VALU_DEP_1)
	v_add_f64_e32 v[2:3], v[6:7], v[2:3]
	v_add_f64_e32 v[2:3], v[52:53], v[2:3]
	s_delay_alu instid0(VALU_DEP_1) | instskip(NEXT) | instid1(VALU_DEP_1)
	v_mul_f64_e32 v[2:3], v[44:45], v[2:3]
	v_add_f64_e32 v[6:7], v[48:49], v[2:3]
	s_delay_alu instid0(VALU_DEP_1) | instskip(NEXT) | instid1(VALU_DEP_1)
	v_mul_f64_e32 v[44:45], v[6:7], v[6:7]
	v_fmamk_f64 v[50:51], v[44:45], 0x3fc3ab76bf559e2b, v[24:25]
	v_mul_f64_e32 v[52:53], v[6:7], v[44:45]
	s_delay_alu instid0(VALU_DEP_2) | instskip(NEXT) | instid1(VALU_DEP_1)
	v_fmaak_f64 v[50:51], v[44:45], v[50:51], 0x3fc7474dd7f4df2e
	v_fmaak_f64 v[50:51], v[44:45], v[50:51], 0x3fcc71c016291751
	s_delay_alu instid0(VALU_DEP_1) | instskip(NEXT) | instid1(VALU_DEP_1)
	v_fmaak_f64 v[50:51], v[44:45], v[50:51], 0x3fd249249b27acf1
	v_fmaak_f64 v[50:51], v[44:45], v[50:51], 0x3fd99999998ef7b6
	s_delay_alu instid0(VALU_DEP_1) | instskip(SKIP_2) | instid1(VALU_DEP_3)
	v_fmaak_f64 v[44:45], v[44:45], v[50:51], 0x3fe5555555555780
	v_ldexp_f64 v[50:51], v[6:7], 1
	v_add_f64_e64 v[6:7], v[6:7], -v[48:49]
	v_mul_f64_e32 v[44:45], v[52:53], v[44:45]
	v_cvt_f64_i32_e32 v[52:53], v4
	s_delay_alu instid0(VALU_DEP_3) | instskip(NEXT) | instid1(VALU_DEP_3)
	v_add_f64_e64 v[2:3], v[2:3], -v[6:7]
	v_add_f64_e32 v[48:49], v[50:51], v[44:45]
	s_delay_alu instid0(VALU_DEP_3) | instskip(NEXT) | instid1(VALU_DEP_3)
	v_mul_f64_e32 v[54:55], 0x3fe62e42fefa39ef, v[52:53]
	v_ldexp_f64 v[2:3], v[2:3], 1
	s_delay_alu instid0(VALU_DEP_3) | instskip(NEXT) | instid1(VALU_DEP_3)
	v_add_f64_e64 v[6:7], v[48:49], -v[50:51]
	v_fma_f64 v[50:51], v[52:53], s[34:35], -v[54:55]
	s_delay_alu instid0(VALU_DEP_2) | instskip(NEXT) | instid1(VALU_DEP_2)
	v_add_f64_e64 v[6:7], v[44:45], -v[6:7]
	v_fmac_f64_e32 v[50:51], 0x3c7abc9e3b39803f, v[52:53]
	s_delay_alu instid0(VALU_DEP_2) | instskip(NEXT) | instid1(VALU_DEP_2)
	v_add_f64_e32 v[2:3], v[2:3], v[6:7]
	v_add_f64_e32 v[6:7], v[54:55], v[50:51]
	s_delay_alu instid0(VALU_DEP_2) | instskip(NEXT) | instid1(VALU_DEP_2)
	v_add_f64_e32 v[44:45], v[48:49], v[2:3]
	v_add_f64_e64 v[54:55], v[6:7], -v[54:55]
	s_delay_alu instid0(VALU_DEP_2) | instskip(SKIP_1) | instid1(VALU_DEP_3)
	v_add_f64_e32 v[52:53], v[6:7], v[44:45]
	v_add_f64_e64 v[48:49], v[44:45], -v[48:49]
	v_add_f64_e64 v[50:51], v[50:51], -v[54:55]
	s_delay_alu instid0(VALU_DEP_3) | instskip(NEXT) | instid1(VALU_DEP_3)
	v_add_f64_e64 v[56:57], v[52:53], -v[6:7]
	v_add_f64_e64 v[2:3], v[2:3], -v[48:49]
	s_delay_alu instid0(VALU_DEP_2) | instskip(SKIP_1) | instid1(VALU_DEP_3)
	v_add_f64_e64 v[58:59], v[52:53], -v[56:57]
	v_add_f64_e64 v[44:45], v[44:45], -v[56:57]
	v_add_f64_e32 v[48:49], v[50:51], v[2:3]
	s_delay_alu instid0(VALU_DEP_3) | instskip(NEXT) | instid1(VALU_DEP_1)
	v_add_f64_e64 v[6:7], v[6:7], -v[58:59]
	v_add_f64_e32 v[6:7], v[44:45], v[6:7]
	s_delay_alu instid0(VALU_DEP_3) | instskip(NEXT) | instid1(VALU_DEP_2)
	v_add_f64_e64 v[44:45], v[48:49], -v[50:51]
	v_add_f64_e32 v[6:7], v[48:49], v[6:7]
	s_delay_alu instid0(VALU_DEP_2) | instskip(SKIP_1) | instid1(VALU_DEP_3)
	v_add_f64_e64 v[48:49], v[48:49], -v[44:45]
	v_add_f64_e64 v[2:3], v[2:3], -v[44:45]
	v_add_f64_e32 v[54:55], v[52:53], v[6:7]
	s_delay_alu instid0(VALU_DEP_3) | instskip(NEXT) | instid1(VALU_DEP_2)
	v_add_f64_e64 v[44:45], v[50:51], -v[48:49]
	v_add_f64_e64 v[48:49], v[54:55], -v[52:53]
	s_delay_alu instid0(VALU_DEP_2) | instskip(SKIP_1) | instid1(VALU_DEP_3)
	v_add_f64_e32 v[2:3], v[2:3], v[44:45]
	v_mov_b64_e32 v[44:45], 0x7ff8000000000000
	v_add_f64_e64 v[6:7], v[6:7], -v[48:49]
	s_delay_alu instid0(VALU_DEP_1) | instskip(NEXT) | instid1(VALU_DEP_1)
	v_add_f64_e32 v[2:3], v[2:3], v[6:7]
	v_add_f64_e32 v[2:3], v[54:55], v[2:3]
	s_delay_alu instid0(VALU_DEP_1) | instskip(SKIP_1) | instid1(VALU_DEP_2)
	v_dual_cndmask_b32 v2, v2, v46 :: v_dual_cndmask_b32 v3, v3, v47
	v_cmp_ngt_f64_e32 vcc_lo, 0, v[46:47]
	v_cndmask_b32_e32 v3, 0x7ff80000, v3, vcc_lo
	v_cmp_nge_f64_e32 vcc_lo, 0, v[46:47]
	s_delay_alu instid0(VALU_DEP_4) | instskip(SKIP_1) | instid1(VALU_DEP_4)
	v_cndmask_b32_e32 v6, 0, v2, vcc_lo
	v_cmp_neq_f64_e32 vcc_lo, 0, v[46:47]
	v_cndmask_b32_e32 v7, 0xfff00000, v3, vcc_lo
	s_or_b32 exec_lo, exec_lo, s6
	s_and_saveexec_b32 s6, s5
	s_delay_alu instid0(SALU_CYCLE_1)
	s_xor_b32 s6, exec_lo, s6
	s_cbranch_execz .LBB185_117
.LBB185_152:                            ;   in Loop: Header=BB185_4 Depth=1
	v_bfi_b32 v39, 0x7fffffff, v39, v17
	v_div_scale_f64 v[2:3], null, s[50:51], s[50:51], v[36:37]
	v_div_scale_f64 v[54:55], vcc_lo, v[36:37], s[50:51], v[36:37]
	s_delay_alu instid0(VALU_DEP_3) | instskip(NEXT) | instid1(VALU_DEP_3)
	v_div_scale_f64 v[16:17], null, s[50:51], s[50:51], v[38:39]
	v_rcp_f64_e32 v[46:47], v[2:3]
	s_delay_alu instid0(VALU_DEP_1) | instskip(NEXT) | instid1(TRANS32_DEP_2)
	v_rcp_f64_e32 v[48:49], v[16:17]
	v_fma_f64 v[50:51], -v[2:3], v[46:47], 1.0
	s_delay_alu instid0(TRANS32_DEP_1) | instskip(NEXT) | instid1(VALU_DEP_2)
	v_fma_f64 v[52:53], -v[16:17], v[48:49], 1.0
	v_fmac_f64_e32 v[46:47], v[46:47], v[50:51]
	s_delay_alu instid0(VALU_DEP_2) | instskip(NEXT) | instid1(VALU_DEP_2)
	v_fmac_f64_e32 v[48:49], v[48:49], v[52:53]
	v_fma_f64 v[50:51], -v[2:3], v[46:47], 1.0
	s_delay_alu instid0(VALU_DEP_2) | instskip(NEXT) | instid1(VALU_DEP_2)
	v_fma_f64 v[52:53], -v[16:17], v[48:49], 1.0
	v_fmac_f64_e32 v[46:47], v[46:47], v[50:51]
	v_div_scale_f64 v[50:51], s5, v[38:39], s[50:51], v[38:39]
	s_delay_alu instid0(VALU_DEP_3) | instskip(NEXT) | instid1(VALU_DEP_3)
	v_fmac_f64_e32 v[48:49], v[48:49], v[52:53]
	v_mul_f64_e32 v[52:53], v[54:55], v[46:47]
	s_delay_alu instid0(VALU_DEP_2) | instskip(NEXT) | instid1(VALU_DEP_2)
	v_mul_f64_e32 v[56:57], v[50:51], v[48:49]
	v_fma_f64 v[2:3], -v[2:3], v[52:53], v[54:55]
	s_delay_alu instid0(VALU_DEP_2) | instskip(NEXT) | instid1(VALU_DEP_2)
	v_fma_f64 v[16:17], -v[16:17], v[56:57], v[50:51]
	v_div_fmas_f64 v[2:3], v[2:3], v[46:47], v[52:53]
	s_mov_b32 vcc_lo, s5
	s_delay_alu instid0(VALU_DEP_2) | instskip(NEXT) | instid1(VALU_DEP_2)
	v_div_fmas_f64 v[16:17], v[16:17], v[48:49], v[56:57]
	v_div_fixup_f64 v[36:37], v[2:3], s[50:51], v[36:37]
	s_delay_alu instid0(VALU_DEP_2)
	v_div_fixup_f64 v[38:39], v[16:17], s[50:51], v[38:39]
	global_store_b128 v[34:35], v[36:39], off
	s_wait_xcnt 0x0
	s_or_b32 exec_lo, exec_lo, s6
	s_and_saveexec_b32 s5, s4
	s_cbranch_execz .LBB185_118
.LBB185_153:                            ;   in Loop: Header=BB185_4 Depth=1
	v_bfi_b32 v41, 0x7fffffff, v41, v13
	v_div_scale_f64 v[2:3], null, s[50:51], s[50:51], v[14:15]
	v_div_scale_f64 v[46:47], vcc_lo, v[14:15], s[50:51], v[14:15]
	s_delay_alu instid0(VALU_DEP_3) | instskip(NEXT) | instid1(VALU_DEP_3)
	v_div_scale_f64 v[12:13], null, s[50:51], s[50:51], v[40:41]
	v_rcp_f64_e32 v[16:17], v[2:3]
	s_delay_alu instid0(VALU_DEP_1) | instskip(NEXT) | instid1(TRANS32_DEP_2)
	v_rcp_f64_e32 v[34:35], v[12:13]
	v_fma_f64 v[36:37], -v[2:3], v[16:17], 1.0
	s_delay_alu instid0(TRANS32_DEP_1) | instskip(NEXT) | instid1(VALU_DEP_2)
	v_fma_f64 v[38:39], -v[12:13], v[34:35], 1.0
	v_fmac_f64_e32 v[16:17], v[16:17], v[36:37]
	s_delay_alu instid0(VALU_DEP_2) | instskip(NEXT) | instid1(VALU_DEP_2)
	v_fmac_f64_e32 v[34:35], v[34:35], v[38:39]
	v_fma_f64 v[36:37], -v[2:3], v[16:17], 1.0
	s_delay_alu instid0(VALU_DEP_2) | instskip(NEXT) | instid1(VALU_DEP_2)
	v_fma_f64 v[38:39], -v[12:13], v[34:35], 1.0
	v_fmac_f64_e32 v[16:17], v[16:17], v[36:37]
	v_div_scale_f64 v[36:37], s4, v[40:41], s[50:51], v[40:41]
	s_delay_alu instid0(VALU_DEP_3) | instskip(NEXT) | instid1(VALU_DEP_3)
	v_fmac_f64_e32 v[34:35], v[34:35], v[38:39]
	v_mul_f64_e32 v[38:39], v[46:47], v[16:17]
	s_delay_alu instid0(VALU_DEP_2) | instskip(NEXT) | instid1(VALU_DEP_2)
	v_mul_f64_e32 v[48:49], v[36:37], v[34:35]
	v_fma_f64 v[2:3], -v[2:3], v[38:39], v[46:47]
	s_delay_alu instid0(VALU_DEP_2) | instskip(NEXT) | instid1(VALU_DEP_2)
	v_fma_f64 v[12:13], -v[12:13], v[48:49], v[36:37]
	v_div_fmas_f64 v[2:3], v[2:3], v[16:17], v[38:39]
	s_mov_b32 vcc_lo, s4
	s_delay_alu instid0(VALU_DEP_2) | instskip(NEXT) | instid1(VALU_DEP_2)
	v_div_fmas_f64 v[16:17], v[12:13], v[34:35], v[48:49]
	v_div_fixup_f64 v[12:13], v[2:3], s[50:51], v[14:15]
	s_delay_alu instid0(VALU_DEP_2)
	v_div_fixup_f64 v[14:15], v[16:17], s[50:51], v[40:41]
	global_store_b128 v[32:33], v[12:15], off
	s_wait_xcnt 0x0
	s_or_b32 exec_lo, exec_lo, s5
	s_and_saveexec_b32 s4, s3
	s_cbranch_execz .LBB185_119
.LBB185_154:                            ;   in Loop: Header=BB185_4 Depth=1
	v_bfi_b32 v43, 0x7fffffff, v43, v9
	s_delay_alu instid0(VALU_DEP_3) | instskip(SKIP_1) | instid1(VALU_DEP_3)
	v_div_scale_f64 v[2:3], null, s[50:51], s[50:51], v[10:11]
	v_div_scale_f64 v[34:35], vcc_lo, v[10:11], s[50:51], v[10:11]
	v_div_scale_f64 v[8:9], null, s[50:51], s[50:51], v[42:43]
	s_delay_alu instid0(VALU_DEP_3) | instskip(NEXT) | instid1(VALU_DEP_1)
	v_rcp_f64_e32 v[12:13], v[2:3]
	v_rcp_f64_e32 v[14:15], v[8:9]
	s_delay_alu instid0(TRANS32_DEP_2) | instskip(NEXT) | instid1(TRANS32_DEP_1)
	v_fma_f64 v[16:17], -v[2:3], v[12:13], 1.0
	v_fma_f64 v[32:33], -v[8:9], v[14:15], 1.0
	s_delay_alu instid0(VALU_DEP_2) | instskip(NEXT) | instid1(VALU_DEP_2)
	v_fmac_f64_e32 v[12:13], v[12:13], v[16:17]
	v_fmac_f64_e32 v[14:15], v[14:15], v[32:33]
	s_delay_alu instid0(VALU_DEP_2) | instskip(NEXT) | instid1(VALU_DEP_2)
	v_fma_f64 v[16:17], -v[2:3], v[12:13], 1.0
	v_fma_f64 v[32:33], -v[8:9], v[14:15], 1.0
	s_delay_alu instid0(VALU_DEP_2) | instskip(SKIP_1) | instid1(VALU_DEP_3)
	v_fmac_f64_e32 v[12:13], v[12:13], v[16:17]
	v_div_scale_f64 v[16:17], s3, v[42:43], s[50:51], v[42:43]
	v_fmac_f64_e32 v[14:15], v[14:15], v[32:33]
	s_delay_alu instid0(VALU_DEP_3) | instskip(NEXT) | instid1(VALU_DEP_2)
	v_mul_f64_e32 v[32:33], v[34:35], v[12:13]
	v_mul_f64_e32 v[36:37], v[16:17], v[14:15]
	s_delay_alu instid0(VALU_DEP_2) | instskip(NEXT) | instid1(VALU_DEP_2)
	v_fma_f64 v[2:3], -v[2:3], v[32:33], v[34:35]
	v_fma_f64 v[8:9], -v[8:9], v[36:37], v[16:17]
	s_delay_alu instid0(VALU_DEP_2) | instskip(SKIP_1) | instid1(VALU_DEP_2)
	v_div_fmas_f64 v[2:3], v[2:3], v[12:13], v[32:33]
	s_mov_b32 vcc_lo, s3
	v_div_fmas_f64 v[12:13], v[8:9], v[14:15], v[36:37]
	s_delay_alu instid0(VALU_DEP_2) | instskip(NEXT) | instid1(VALU_DEP_2)
	v_div_fixup_f64 v[8:9], v[2:3], s[50:51], v[10:11]
	v_div_fixup_f64 v[10:11], v[12:13], s[50:51], v[42:43]
	global_store_b128 v[30:31], v[8:11], off
	s_wait_xcnt 0x0
	s_or_b32 exec_lo, exec_lo, s4
	s_and_saveexec_b32 s3, s2
	s_cbranch_execz .LBB185_3
.LBB185_155:                            ;   in Loop: Header=BB185_4 Depth=1
	v_bfi_b32 v45, 0x7fffffff, v45, v5
	v_div_scale_f64 v[2:3], null, s[50:51], s[50:51], v[6:7]
	v_div_scale_f64 v[16:17], vcc_lo, v[6:7], s[50:51], v[6:7]
	s_delay_alu instid0(VALU_DEP_3) | instskip(NEXT) | instid1(VALU_DEP_3)
	v_div_scale_f64 v[4:5], null, s[50:51], s[50:51], v[44:45]
	v_rcp_f64_e32 v[8:9], v[2:3]
	s_delay_alu instid0(VALU_DEP_1) | instskip(NEXT) | instid1(TRANS32_DEP_2)
	v_rcp_f64_e32 v[10:11], v[4:5]
	v_fma_f64 v[12:13], -v[2:3], v[8:9], 1.0
	s_delay_alu instid0(TRANS32_DEP_1) | instskip(NEXT) | instid1(VALU_DEP_2)
	v_fma_f64 v[14:15], -v[4:5], v[10:11], 1.0
	v_fmac_f64_e32 v[8:9], v[8:9], v[12:13]
	s_delay_alu instid0(VALU_DEP_2) | instskip(NEXT) | instid1(VALU_DEP_2)
	v_fmac_f64_e32 v[10:11], v[10:11], v[14:15]
	v_fma_f64 v[12:13], -v[2:3], v[8:9], 1.0
	s_delay_alu instid0(VALU_DEP_2) | instskip(NEXT) | instid1(VALU_DEP_2)
	v_fma_f64 v[14:15], -v[4:5], v[10:11], 1.0
	v_fmac_f64_e32 v[8:9], v[8:9], v[12:13]
	v_div_scale_f64 v[12:13], s2, v[44:45], s[50:51], v[44:45]
	s_delay_alu instid0(VALU_DEP_3) | instskip(NEXT) | instid1(VALU_DEP_3)
	v_fmac_f64_e32 v[10:11], v[10:11], v[14:15]
	v_mul_f64_e32 v[14:15], v[16:17], v[8:9]
	s_delay_alu instid0(VALU_DEP_2) | instskip(NEXT) | instid1(VALU_DEP_2)
	v_mul_f64_e32 v[30:31], v[12:13], v[10:11]
	v_fma_f64 v[2:3], -v[2:3], v[14:15], v[16:17]
	s_delay_alu instid0(VALU_DEP_2) | instskip(NEXT) | instid1(VALU_DEP_2)
	v_fma_f64 v[4:5], -v[4:5], v[30:31], v[12:13]
	v_div_fmas_f64 v[2:3], v[2:3], v[8:9], v[14:15]
	s_mov_b32 vcc_lo, s2
	s_delay_alu instid0(VALU_DEP_2) | instskip(NEXT) | instid1(VALU_DEP_2)
	v_div_fmas_f64 v[4:5], v[4:5], v[10:11], v[30:31]
	v_div_fixup_f64 v[2:3], v[2:3], s[50:51], v[6:7]
	s_delay_alu instid0(VALU_DEP_2)
	v_div_fixup_f64 v[4:5], v[4:5], s[50:51], v[44:45]
	global_store_b128 v[28:29], v[2:5], off
	s_branch .LBB185_3
.LBB185_156:
	s_cbranch_execz .LBB185_158
	s_branch .LBB185_297
.LBB185_157:
.LBB185_158:
	v_min_i64 v[18:19], 0x10000, s[20:21]
	v_dual_mov_b32 v20, 0 :: v_dual_lshlrev_b32 v2, 2, v0
	s_mov_b32 s2, exec_lo
	s_delay_alu instid0(VALU_DEP_1) | instskip(NEXT) | instid1(VALU_DEP_1)
	v_mov_b32_e32 v3, v20
	v_cmpx_lt_i64_e64 v[2:3], v[18:19]
	s_cbranch_execz .LBB185_297
; %bb.159:
	s_load_b32 s0, s[0:1], 0xd3c
	v_mov_b64_e32 v[22:23], 0x3fc385386b47b09a
	v_mov_b64_e32 v[24:25], 0xbf23e260bd3237f4
	v_dual_mov_b32 v1, v20 :: v_dual_mov_b32 v60, 0x7f3321d2
	v_mov_b32_e32 v61, 0x4002d97c
	s_mov_b32 s39, 0
	s_mov_b64 s[12:13], 0x7fd1ccf385ebc8a0
	s_mov_b64 s[14:15], 0x358dee7a4ad4b81f
	;; [unrolled: 1-line block ×11, first 2 shown]
	s_mov_b32 s11, s39
                                        ; implicit-def: $vgpr2_vgpr3
                                        ; implicit-def: $vgpr2_vgpr3
	;; [unrolled: 1-line block ×23, first 2 shown]
	s_wait_kmcnt 0x0
	s_and_b32 s38, s0, 0xffff
	s_branch .LBB185_162
.LBB185_160:                            ;   in Loop: Header=BB185_162 Depth=1
	s_or_b32 exec_lo, exec_lo, s1
	s_delay_alu instid0(VALU_DEP_1) | instskip(NEXT) | instid1(VALU_DEP_1)
	v_frexp_mant_f64_e32 v[2:3], v[38:39]
	v_cmp_gt_f64_e32 vcc_lo, s[20:21], v[2:3]
	v_cndmask_b32_e64 v4, 0, 1, vcc_lo
	s_delay_alu instid0(VALU_DEP_1) | instskip(SKIP_1) | instid1(VALU_DEP_2)
	v_ldexp_f64 v[2:3], v[2:3], v4
	v_frexp_exp_i32_f64_e32 v4, v[38:39]
	v_add_f64_e32 v[14:15], 1.0, v[2:3]
	v_add_f64_e32 v[42:43], -1.0, v[2:3]
	s_delay_alu instid0(VALU_DEP_3) | instskip(SKIP_1) | instid1(VALU_DEP_4)
	v_subrev_co_ci_u32_e64 v4, null, 0, v4, vcc_lo
	v_cmp_class_f64_e64 vcc_lo, v[38:39], 0x204
	v_rcp_f64_e32 v[36:37], v[14:15]
	v_add_f64_e32 v[44:45], -1.0, v[14:15]
	s_delay_alu instid0(VALU_DEP_1) | instskip(NEXT) | instid1(TRANS32_DEP_1)
	v_add_f64_e64 v[2:3], v[2:3], -v[44:45]
	v_fma_f64 v[40:41], -v[14:15], v[36:37], 1.0
	s_delay_alu instid0(VALU_DEP_1) | instskip(NEXT) | instid1(VALU_DEP_1)
	v_fmac_f64_e32 v[36:37], v[40:41], v[36:37]
	v_fma_f64 v[40:41], -v[14:15], v[36:37], 1.0
	s_delay_alu instid0(VALU_DEP_1) | instskip(NEXT) | instid1(VALU_DEP_1)
	v_fmac_f64_e32 v[36:37], v[40:41], v[36:37]
	v_mul_f64_e32 v[40:41], v[42:43], v[36:37]
	s_delay_alu instid0(VALU_DEP_1) | instskip(NEXT) | instid1(VALU_DEP_1)
	v_mul_f64_e32 v[46:47], v[14:15], v[40:41]
	v_fma_f64 v[14:15], v[40:41], v[14:15], -v[46:47]
	s_delay_alu instid0(VALU_DEP_1) | instskip(NEXT) | instid1(VALU_DEP_1)
	v_fmac_f64_e32 v[14:15], v[40:41], v[2:3]
	v_add_f64_e32 v[2:3], v[46:47], v[14:15]
	s_delay_alu instid0(VALU_DEP_1) | instskip(SKIP_1) | instid1(VALU_DEP_2)
	v_add_f64_e64 v[44:45], v[42:43], -v[2:3]
	v_add_f64_e64 v[46:47], v[2:3], -v[46:47]
	;; [unrolled: 1-line block ×3, first 2 shown]
	s_delay_alu instid0(VALU_DEP_2) | instskip(NEXT) | instid1(VALU_DEP_2)
	v_add_f64_e64 v[14:15], v[46:47], -v[14:15]
	v_add_f64_e64 v[2:3], v[42:43], -v[2:3]
	s_delay_alu instid0(VALU_DEP_1) | instskip(NEXT) | instid1(VALU_DEP_1)
	v_add_f64_e32 v[2:3], v[14:15], v[2:3]
	v_add_f64_e32 v[2:3], v[44:45], v[2:3]
	s_delay_alu instid0(VALU_DEP_1) | instskip(NEXT) | instid1(VALU_DEP_1)
	v_mul_f64_e32 v[2:3], v[36:37], v[2:3]
	v_add_f64_e32 v[14:15], v[40:41], v[2:3]
	s_delay_alu instid0(VALU_DEP_1) | instskip(NEXT) | instid1(VALU_DEP_1)
	v_mul_f64_e32 v[36:37], v[14:15], v[14:15]
	v_fmamk_f64 v[42:43], v[36:37], 0x3fc3ab76bf559e2b, v[22:23]
	v_mul_f64_e32 v[44:45], v[14:15], v[36:37]
	s_delay_alu instid0(VALU_DEP_2) | instskip(NEXT) | instid1(VALU_DEP_1)
	v_fmaak_f64 v[42:43], v[36:37], v[42:43], 0x3fc7474dd7f4df2e
	v_fmaak_f64 v[42:43], v[36:37], v[42:43], 0x3fcc71c016291751
	s_delay_alu instid0(VALU_DEP_1) | instskip(NEXT) | instid1(VALU_DEP_1)
	v_fmaak_f64 v[42:43], v[36:37], v[42:43], 0x3fd249249b27acf1
	v_fmaak_f64 v[42:43], v[36:37], v[42:43], 0x3fd99999998ef7b6
	s_delay_alu instid0(VALU_DEP_1) | instskip(SKIP_2) | instid1(VALU_DEP_3)
	v_fmaak_f64 v[36:37], v[36:37], v[42:43], 0x3fe5555555555780
	v_ldexp_f64 v[42:43], v[14:15], 1
	v_add_f64_e64 v[14:15], v[14:15], -v[40:41]
	v_mul_f64_e32 v[36:37], v[44:45], v[36:37]
	v_cvt_f64_i32_e32 v[44:45], v4
	s_delay_alu instid0(VALU_DEP_3) | instskip(NEXT) | instid1(VALU_DEP_3)
	v_add_f64_e64 v[2:3], v[2:3], -v[14:15]
	v_add_f64_e32 v[40:41], v[42:43], v[36:37]
	s_delay_alu instid0(VALU_DEP_3) | instskip(NEXT) | instid1(VALU_DEP_3)
	v_mul_f64_e32 v[46:47], 0x3fe62e42fefa39ef, v[44:45]
	v_ldexp_f64 v[2:3], v[2:3], 1
	s_delay_alu instid0(VALU_DEP_3) | instskip(NEXT) | instid1(VALU_DEP_3)
	v_add_f64_e64 v[14:15], v[40:41], -v[42:43]
	v_fma_f64 v[42:43], v[44:45], s[22:23], -v[46:47]
	s_delay_alu instid0(VALU_DEP_2) | instskip(NEXT) | instid1(VALU_DEP_2)
	v_add_f64_e64 v[14:15], v[36:37], -v[14:15]
	v_fmac_f64_e32 v[42:43], 0x3c7abc9e3b39803f, v[44:45]
	s_delay_alu instid0(VALU_DEP_2) | instskip(NEXT) | instid1(VALU_DEP_2)
	v_add_f64_e32 v[2:3], v[2:3], v[14:15]
	v_add_f64_e32 v[14:15], v[46:47], v[42:43]
	s_delay_alu instid0(VALU_DEP_2) | instskip(NEXT) | instid1(VALU_DEP_2)
	v_add_f64_e32 v[36:37], v[40:41], v[2:3]
	v_add_f64_e64 v[46:47], v[14:15], -v[46:47]
	s_delay_alu instid0(VALU_DEP_2) | instskip(SKIP_1) | instid1(VALU_DEP_3)
	v_add_f64_e32 v[44:45], v[14:15], v[36:37]
	v_add_f64_e64 v[40:41], v[36:37], -v[40:41]
	v_add_f64_e64 v[42:43], v[42:43], -v[46:47]
	s_delay_alu instid0(VALU_DEP_3) | instskip(NEXT) | instid1(VALU_DEP_3)
	v_add_f64_e64 v[48:49], v[44:45], -v[14:15]
	v_add_f64_e64 v[2:3], v[2:3], -v[40:41]
	s_delay_alu instid0(VALU_DEP_2) | instskip(SKIP_1) | instid1(VALU_DEP_3)
	v_add_f64_e64 v[50:51], v[44:45], -v[48:49]
	v_add_f64_e64 v[36:37], v[36:37], -v[48:49]
	v_add_f64_e32 v[40:41], v[42:43], v[2:3]
	s_delay_alu instid0(VALU_DEP_3) | instskip(NEXT) | instid1(VALU_DEP_1)
	v_add_f64_e64 v[14:15], v[14:15], -v[50:51]
	v_add_f64_e32 v[14:15], v[36:37], v[14:15]
	s_delay_alu instid0(VALU_DEP_3) | instskip(NEXT) | instid1(VALU_DEP_2)
	v_add_f64_e64 v[36:37], v[40:41], -v[42:43]
	v_add_f64_e32 v[14:15], v[40:41], v[14:15]
	s_delay_alu instid0(VALU_DEP_2) | instskip(SKIP_1) | instid1(VALU_DEP_3)
	v_add_f64_e64 v[40:41], v[40:41], -v[36:37]
	v_add_f64_e64 v[2:3], v[2:3], -v[36:37]
	v_add_f64_e32 v[46:47], v[44:45], v[14:15]
	s_delay_alu instid0(VALU_DEP_3) | instskip(NEXT) | instid1(VALU_DEP_2)
	v_add_f64_e64 v[36:37], v[42:43], -v[40:41]
	v_add_f64_e64 v[40:41], v[46:47], -v[44:45]
	s_delay_alu instid0(VALU_DEP_2) | instskip(SKIP_1) | instid1(VALU_DEP_3)
	v_add_f64_e32 v[2:3], v[2:3], v[36:37]
	v_mov_b64_e32 v[36:37], 0x7ff8000000000000
	v_add_f64_e64 v[14:15], v[14:15], -v[40:41]
	s_delay_alu instid0(VALU_DEP_1) | instskip(NEXT) | instid1(VALU_DEP_1)
	v_add_f64_e32 v[2:3], v[2:3], v[14:15]
	v_add_f64_e32 v[2:3], v[46:47], v[2:3]
	s_delay_alu instid0(VALU_DEP_1) | instskip(SKIP_1) | instid1(VALU_DEP_2)
	v_dual_cndmask_b32 v2, v2, v38 :: v_dual_cndmask_b32 v3, v3, v39
	v_cmp_ngt_f64_e32 vcc_lo, 0, v[38:39]
	v_cndmask_b32_e32 v3, 0x7ff80000, v3, vcc_lo
	v_cmp_nge_f64_e32 vcc_lo, 0, v[38:39]
	s_delay_alu instid0(VALU_DEP_4) | instskip(SKIP_1) | instid1(VALU_DEP_4)
	v_cndmask_b32_e32 v14, 0, v2, vcc_lo
	v_cmp_neq_f64_e32 vcc_lo, 0, v[38:39]
	v_cndmask_b32_e32 v15, 0xfff00000, v3, vcc_lo
.LBB185_161:                            ;   in Loop: Header=BB185_162 Depth=1
	s_or_b32 exec_lo, exec_lo, s0
	v_bfi_b32 v35, 0x7fffffff, v35, v17
	s_delay_alu instid0(VALU_DEP_3) | instskip(SKIP_2) | instid1(VALU_DEP_4)
	v_div_scale_f64 v[2:3], null, s[36:37], s[36:37], v[10:11]
	v_bfi_b32 v33, 0x7fffffff, v33, v13
	v_div_scale_f64 v[12:13], null, s[36:37], s[36:37], v[6:7]
	v_div_scale_f64 v[16:17], null, s[36:37], s[36:37], v[34:35]
	v_bfi_b32 v31, 0x7fffffff, v31, v9
	s_delay_alu instid0(VALU_DEP_4) | instskip(SKIP_2) | instid1(VALU_DEP_4)
	v_div_scale_f64 v[38:39], null, s[36:37], s[36:37], v[32:33]
	v_div_scale_f64 v[8:9], null, s[36:37], s[36:37], v[28:29]
	v_bfi_b32 v37, 0x7fffffff, v37, v5
	v_div_scale_f64 v[40:41], null, s[36:37], s[36:37], v[30:31]
	v_div_scale_f64 v[4:5], null, s[36:37], s[36:37], v[14:15]
	s_delay_alu instid0(VALU_DEP_3)
	v_div_scale_f64 v[42:43], null, s[36:37], s[36:37], v[36:37]
	v_div_scale_f64 v[78:79], vcc_lo, v[10:11], s[36:37], v[10:11]
	v_add_nc_u64_e32 v[0:1], s[38:39], v[0:1]
	v_rcp_f64_e32 v[44:45], v[2:3]
	v_rcp_f64_e32 v[48:49], v[12:13]
	;; [unrolled: 1-line block ×6, first 2 shown]
	s_delay_alu instid0(VALU_DEP_4) | instskip(NEXT) | instid1(VALU_DEP_3)
	v_rcp_f64_e32 v[56:57], v[4:5]
	v_rcp_f64_e32 v[58:59], v[42:43]
	v_fma_f64 v[62:63], -v[2:3], v[44:45], 1.0
	v_fma_f64 v[66:67], -v[12:13], v[48:49], 1.0
	;; [unrolled: 1-line block ×5, first 2 shown]
	s_delay_alu instid0(TRANS32_DEP_3) | instskip(NEXT) | instid1(TRANS32_DEP_2)
	v_fma_f64 v[72:73], -v[40:41], v[54:55], 1.0
	v_fma_f64 v[74:75], -v[4:5], v[56:57], 1.0
	s_delay_alu instid0(TRANS32_DEP_1)
	v_fma_f64 v[76:77], -v[42:43], v[58:59], 1.0
	v_fmac_f64_e32 v[44:45], v[44:45], v[62:63]
	v_fmac_f64_e32 v[48:49], v[48:49], v[66:67]
	;; [unrolled: 1-line block ×8, first 2 shown]
	v_fma_f64 v[62:63], -v[2:3], v[44:45], 1.0
	v_fma_f64 v[66:67], -v[12:13], v[48:49], 1.0
	;; [unrolled: 1-line block ×8, first 2 shown]
	v_fmac_f64_e32 v[44:45], v[44:45], v[62:63]
	v_div_scale_f64 v[62:63], s0, v[34:35], s[36:37], v[34:35]
	v_fmac_f64_e32 v[48:49], v[48:49], v[66:67]
	v_div_scale_f64 v[66:67], s2, v[32:33], s[36:37], v[32:33]
	;; [unrolled: 2-line block ×7, first 2 shown]
	v_fmac_f64_e32 v[58:59], v[58:59], v[76:77]
	v_mul_f64_e32 v[76:77], v[78:79], v[44:45]
	v_mul_f64_e32 v[80:81], v[62:63], v[46:47]
	;; [unrolled: 1-line block ×8, first 2 shown]
	v_fma_f64 v[2:3], -v[2:3], v[76:77], v[78:79]
	v_fma_f64 v[16:17], -v[16:17], v[80:81], v[62:63]
	;; [unrolled: 1-line block ×8, first 2 shown]
	v_div_fmas_f64 v[2:3], v[2:3], v[44:45], v[76:77]
	s_mov_b32 vcc_lo, s0
	v_div_fmas_f64 v[16:17], v[16:17], v[46:47], v[80:81]
	s_mov_b32 vcc_lo, s1
	;; [unrolled: 2-line block ×7, first 2 shown]
	v_div_fmas_f64 v[42:43], v[42:43], v[58:59], v[92:93]
	v_div_fixup_f64 v[2:3], v[2:3], s[36:37], v[10:11]
	v_div_fixup_f64 v[4:5], v[16:17], s[36:37], v[34:35]
	;; [unrolled: 1-line block ×5, first 2 shown]
	v_lshlrev_b64_e32 v[28:29], 2, v[0:1]
	v_div_fixup_f64 v[12:13], v[40:41], s[36:37], v[30:31]
	s_clause 0x1
	global_store_b128 v[26:27], v[10:13], off
	global_store_b128 v[26:27], v[6:9], off offset:16
	v_div_fixup_f64 v[14:15], v[44:45], s[36:37], v[14:15]
	v_div_fixup_f64 v[16:17], v[42:43], s[36:37], v[36:37]
	v_cmp_ge_i64_e32 vcc_lo, v[28:29], v[18:19]
	s_clause 0x1
	global_store_b128 v[26:27], v[2:5], off offset:32
	global_store_b128 v[26:27], v[14:17], off offset:48
	s_or_b32 s11, vcc_lo, s11
	s_wait_xcnt 0x0
	s_and_not1_b32 exec_lo, exec_lo, s11
	s_cbranch_execz .LBB185_297
.LBB185_162:                            ; =>This Loop Header: Depth=1
                                        ;     Child Loop BB185_173 Depth 2
                                        ;     Child Loop BB185_207 Depth 2
	;; [unrolled: 1-line block ×4, first 2 shown]
	v_lshlrev_b64_e32 v[2:3], 6, v[0:1]
                                        ; implicit-def: $vgpr28_vgpr29
                                        ; implicit-def: $vgpr30_vgpr31
	s_mov_b32 s0, exec_lo
	s_delay_alu instid0(VALU_DEP_1)
	v_add_nc_u64_e32 v[26:27], s[18:19], v[2:3]
	s_clause 0x3
	global_load_b128 v[6:9], v[26:27], off
	global_load_b128 v[10:13], v[26:27], off offset:16
	global_load_b128 v[2:5], v[26:27], off offset:48
	;; [unrolled: 1-line block ×3, first 2 shown]
	s_wait_loadcnt 0x3
	s_wait_xcnt 0x0
	v_cmpx_o_f64_e32 v[6:7], v[8:9]
	s_xor_b32 s33, exec_lo, s0
	s_cbranch_execz .LBB185_190
; %bb.163:                              ;   in Loop: Header=BB185_162 Depth=1
	v_cmp_lt_f64_e64 s0, |v[6:7]|, |v[8:9]|
	v_and_b32_e32 v33, 0x7fffffff, v7
	v_and_b32_e32 v21, 0x7fffffff, v9
	v_mov_b32_e32 v32, v8
                                        ; implicit-def: $vgpr28_vgpr29
                                        ; implicit-def: $vgpr30_vgpr31
	s_mov_b32 s1, exec_lo
	s_delay_alu instid0(VALU_DEP_2) | instskip(NEXT) | instid1(VALU_DEP_1)
	v_dual_cndmask_b32 v35, v21, v33, s0 :: v_dual_cndmask_b32 v34, v8, v6, s0
	v_cmpx_nlt_f64_e32 s[12:13], v[34:35]
	s_xor_b32 s40, exec_lo, s1
	s_cbranch_execz .LBB185_187
; %bb.164:                              ;   in Loop: Header=BB185_162 Depth=1
	v_dual_cndmask_b32 v37, v33, v21, s0 :: v_dual_cndmask_b32 v36, v6, v32, s0
                                        ; implicit-def: $vgpr28_vgpr29
                                        ; implicit-def: $vgpr30_vgpr31
	s_mov_b32 s1, exec_lo
	s_delay_alu instid0(VALU_DEP_1)
	v_cmpx_neq_f64_e32 1.0, v[36:37]
	s_xor_b32 s41, exec_lo, s1
	s_cbranch_execz .LBB185_180
; %bb.165:                              ;   in Loop: Header=BB185_162 Depth=1
	v_max_num_f64_e32 v[28:29], v[34:35], v[34:35]
	v_max_num_f64_e32 v[30:31], v[36:37], v[36:37]
	s_delay_alu instid0(VALU_DEP_1) | instskip(SKIP_1) | instid1(VALU_DEP_2)
	v_min_num_f64_e32 v[32:33], v[30:31], v[28:29]
	v_max_num_f64_e32 v[28:29], v[30:31], v[28:29]
                                        ; implicit-def: $vgpr30_vgpr31
	v_cmp_ngt_f64_e32 vcc_lo, s[14:15], v[32:33]
	s_delay_alu instid0(VALU_DEP_2) | instskip(SKIP_1) | instid1(SALU_CYCLE_1)
	v_cmp_nlt_f64_e64 s1, s[16:17], v[28:29]
                                        ; implicit-def: $vgpr28_vgpr29
	s_and_b32 s1, s1, vcc_lo
	s_and_saveexec_b32 s2, s1
	s_delay_alu instid0(SALU_CYCLE_1)
	s_xor_b32 s42, exec_lo, s2
	s_cbranch_execz .LBB185_177
; %bb.166:                              ;   in Loop: Header=BB185_162 Depth=1
                                        ; implicit-def: $vgpr28_vgpr29
                                        ; implicit-def: $vgpr30_vgpr31
	s_mov_b32 s1, exec_lo
	v_cmpx_le_f64_e32 1.0, v[36:37]
	s_xor_b32 s4, exec_lo, s1
	s_cbranch_execz .LBB185_168
; %bb.167:                              ;   in Loop: Header=BB185_162 Depth=1
	v_add_f64_e32 v[28:29], -1.0, v[36:37]
	v_cmp_eq_f64_e64 s1, 0, v[8:9]
	v_add_f64_e32 v[30:31], 1.0, v[36:37]
	v_cmp_class_f64_e64 s6, v[6:7], 0x204
	v_cmp_class_f64_e64 s5, v[8:9], 0x204
	s_delay_alu instid0(VALU_DEP_3) | instskip(NEXT) | instid1(VALU_DEP_1)
	v_mul_f64_e32 v[32:33], v[28:29], v[30:31]
	v_fmac_f64_e32 v[32:33], v[34:35], v[34:35]
	s_delay_alu instid0(VALU_DEP_1) | instskip(SKIP_2) | instid1(VALU_DEP_3)
	v_add_f64_e32 v[28:29], 1.0, v[32:33]
	v_cmp_nge_f64_e64 s2, -1.0, v[32:33]
	v_cmp_neq_f64_e64 s3, 0x7ff00000, v[32:33]
	v_frexp_mant_f64_e32 v[30:31], v[28:29]
	v_frexp_exp_i32_f64_e32 v21, v[28:29]
	v_add_f64_e32 v[34:35], -1.0, v[28:29]
	s_delay_alu instid0(VALU_DEP_3) | instskip(NEXT) | instid1(VALU_DEP_2)
	v_cmp_gt_f64_e32 vcc_lo, s[20:21], v[30:31]
	v_add_f64_e64 v[30:31], v[34:35], -v[28:29]
	v_add_f64_e64 v[34:35], v[32:33], -v[34:35]
	v_subrev_co_ci_u32_e64 v21, null, 0, v21, vcc_lo
	s_delay_alu instid0(VALU_DEP_1) | instskip(NEXT) | instid1(VALU_DEP_1)
	v_dual_add_f64 v[30:31], 1.0, v[30:31] :: v_dual_sub_nc_u32 v38, 0, v21
	v_ldexp_f64 v[28:29], v[28:29], v38
	s_delay_alu instid0(VALU_DEP_2) | instskip(NEXT) | instid1(VALU_DEP_2)
	v_add_f64_e32 v[30:31], v[34:35], v[30:31]
	v_add_f64_e32 v[36:37], 1.0, v[28:29]
	v_add_f64_e32 v[42:43], -1.0, v[28:29]
	s_delay_alu instid0(VALU_DEP_3) | instskip(NEXT) | instid1(VALU_DEP_3)
	v_ldexp_f64 v[30:31], v[30:31], v38
	v_add_f64_e32 v[34:35], -1.0, v[36:37]
	s_delay_alu instid0(VALU_DEP_3) | instskip(NEXT) | instid1(VALU_DEP_2)
	v_add_f64_e32 v[44:45], 1.0, v[42:43]
	v_add_f64_e64 v[34:35], v[28:29], -v[34:35]
	s_delay_alu instid0(VALU_DEP_2) | instskip(NEXT) | instid1(VALU_DEP_2)
	v_add_f64_e64 v[28:29], v[28:29], -v[44:45]
	v_add_f64_e32 v[34:35], v[30:31], v[34:35]
	s_delay_alu instid0(VALU_DEP_2) | instskip(NEXT) | instid1(VALU_DEP_2)
	v_add_f64_e32 v[28:29], v[30:31], v[28:29]
	v_add_f64_e32 v[38:39], v[36:37], v[34:35]
	s_delay_alu instid0(VALU_DEP_2) | instskip(NEXT) | instid1(VALU_DEP_2)
	v_add_f64_e32 v[44:45], v[42:43], v[28:29]
	v_rcp_f64_e32 v[40:41], v[38:39]
	v_add_f64_e64 v[36:37], v[38:39], -v[36:37]
	s_delay_alu instid0(VALU_DEP_2) | instskip(NEXT) | instid1(VALU_DEP_2)
	v_add_f64_e64 v[42:43], v[44:45], -v[42:43]
	v_add_f64_e64 v[34:35], v[34:35], -v[36:37]
	s_delay_alu instid0(VALU_DEP_2) | instskip(NEXT) | instid1(TRANS32_DEP_1)
	v_add_f64_e64 v[28:29], v[28:29], -v[42:43]
	v_fma_f64 v[46:47], -v[38:39], v[40:41], 1.0
	s_delay_alu instid0(VALU_DEP_1) | instskip(NEXT) | instid1(VALU_DEP_1)
	v_fmac_f64_e32 v[40:41], v[46:47], v[40:41]
	v_fma_f64 v[30:31], -v[38:39], v[40:41], 1.0
	s_delay_alu instid0(VALU_DEP_1) | instskip(NEXT) | instid1(VALU_DEP_1)
	v_fmac_f64_e32 v[40:41], v[30:31], v[40:41]
	v_mul_f64_e32 v[30:31], v[44:45], v[40:41]
	s_delay_alu instid0(VALU_DEP_1) | instskip(NEXT) | instid1(VALU_DEP_1)
	v_mul_f64_e32 v[46:47], v[38:39], v[30:31]
	v_fma_f64 v[36:37], v[30:31], v[38:39], -v[46:47]
	s_delay_alu instid0(VALU_DEP_1) | instskip(NEXT) | instid1(VALU_DEP_1)
	v_fmac_f64_e32 v[36:37], v[30:31], v[34:35]
	v_add_f64_e32 v[48:49], v[46:47], v[36:37]
	s_delay_alu instid0(VALU_DEP_1) | instskip(SKIP_1) | instid1(VALU_DEP_2)
	v_add_f64_e64 v[50:51], v[44:45], -v[48:49]
	v_add_f64_e64 v[42:43], v[48:49], -v[46:47]
	;; [unrolled: 1-line block ×3, first 2 shown]
	s_delay_alu instid0(VALU_DEP_2) | instskip(NEXT) | instid1(VALU_DEP_2)
	v_add_f64_e64 v[36:37], v[42:43], -v[36:37]
	v_add_f64_e64 v[44:45], v[44:45], -v[48:49]
	s_delay_alu instid0(VALU_DEP_1) | instskip(NEXT) | instid1(VALU_DEP_1)
	v_add_f64_e32 v[28:29], v[28:29], v[44:45]
	v_add_f64_e32 v[28:29], v[36:37], v[28:29]
	s_delay_alu instid0(VALU_DEP_1) | instskip(NEXT) | instid1(VALU_DEP_1)
	v_add_f64_e32 v[36:37], v[50:51], v[28:29]
	v_mul_f64_e32 v[42:43], v[40:41], v[36:37]
	v_add_f64_e64 v[48:49], v[50:51], -v[36:37]
	s_delay_alu instid0(VALU_DEP_2) | instskip(NEXT) | instid1(VALU_DEP_2)
	v_mul_f64_e32 v[44:45], v[38:39], v[42:43]
	v_add_f64_e32 v[28:29], v[28:29], v[48:49]
	s_delay_alu instid0(VALU_DEP_2) | instskip(NEXT) | instid1(VALU_DEP_1)
	v_fma_f64 v[38:39], v[42:43], v[38:39], -v[44:45]
	v_fmac_f64_e32 v[38:39], v[42:43], v[34:35]
	s_delay_alu instid0(VALU_DEP_1) | instskip(NEXT) | instid1(VALU_DEP_1)
	v_add_f64_e32 v[34:35], v[44:45], v[38:39]
	v_add_f64_e64 v[46:47], v[36:37], -v[34:35]
	v_add_f64_e64 v[44:45], v[34:35], -v[44:45]
	s_delay_alu instid0(VALU_DEP_2) | instskip(NEXT) | instid1(VALU_DEP_1)
	v_add_f64_e64 v[36:37], v[36:37], -v[46:47]
	v_add_f64_e64 v[34:35], v[36:37], -v[34:35]
	s_delay_alu instid0(VALU_DEP_3) | instskip(SKIP_1) | instid1(VALU_DEP_3)
	v_add_f64_e64 v[36:37], v[44:45], -v[38:39]
	v_max_num_f64_e64 v[38:39], |v[6:7]|, |v[6:7]|
	v_add_f64_e32 v[28:29], v[28:29], v[34:35]
	v_add_f64_e32 v[34:35], v[30:31], v[42:43]
	s_delay_alu instid0(VALU_DEP_2) | instskip(NEXT) | instid1(VALU_DEP_2)
	v_add_f64_e32 v[28:29], v[36:37], v[28:29]
	v_add_f64_e64 v[30:31], v[34:35], -v[30:31]
	v_max_num_f64_e64 v[36:37], |v[8:9]|, |v[8:9]|
	s_delay_alu instid0(VALU_DEP_3) | instskip(NEXT) | instid1(VALU_DEP_3)
	v_add_f64_e32 v[28:29], v[46:47], v[28:29]
	v_add_f64_e64 v[30:31], v[42:43], -v[30:31]
	s_delay_alu instid0(VALU_DEP_2) | instskip(NEXT) | instid1(VALU_DEP_1)
	v_mul_f64_e32 v[28:29], v[40:41], v[28:29]
	v_add_f64_e32 v[28:29], v[30:31], v[28:29]
	v_max_num_f64_e32 v[30:31], v[38:39], v[36:37]
	v_min_num_f64_e32 v[36:37], v[38:39], v[36:37]
	s_delay_alu instid0(VALU_DEP_3) | instskip(NEXT) | instid1(VALU_DEP_2)
	v_add_f64_e32 v[38:39], v[34:35], v[28:29]
	v_div_scale_f64 v[40:41], null, v[30:31], v[30:31], v[36:37]
	s_delay_alu instid0(VALU_DEP_2) | instskip(SKIP_1) | instid1(VALU_DEP_3)
	v_mul_f64_e32 v[42:43], v[38:39], v[38:39]
	v_add_f64_e64 v[34:35], v[38:39], -v[34:35]
	v_rcp_f64_e32 v[44:45], v[40:41]
	s_delay_alu instid0(VALU_DEP_2) | instskip(SKIP_1) | instid1(VALU_DEP_3)
	v_fmamk_f64 v[46:47], v[42:43], 0x3fc3ab76bf559e2b, v[22:23]
	v_mul_f64_e32 v[48:49], v[38:39], v[42:43]
	v_add_f64_e64 v[28:29], v[28:29], -v[34:35]
	s_delay_alu instid0(VALU_DEP_3) | instskip(NEXT) | instid1(TRANS32_DEP_1)
	v_fmaak_f64 v[46:47], v[42:43], v[46:47], 0x3fc7474dd7f4df2e
	v_fma_f64 v[50:51], -v[40:41], v[44:45], 1.0
	s_delay_alu instid0(VALU_DEP_2) | instskip(NEXT) | instid1(VALU_DEP_1)
	v_fmaak_f64 v[46:47], v[42:43], v[46:47], 0x3fcc71c016291751
	v_fmaak_f64 v[46:47], v[42:43], v[46:47], 0x3fd249249b27acf1
	s_delay_alu instid0(VALU_DEP_1) | instskip(SKIP_1) | instid1(VALU_DEP_2)
	v_fmaak_f64 v[46:47], v[42:43], v[46:47], 0x3fd99999998ef7b6
	v_ldexp_f64 v[28:29], v[28:29], 1
	v_fmaak_f64 v[42:43], v[42:43], v[46:47], 0x3fe5555555555780
	v_ldexp_f64 v[46:47], v[38:39], 1
	v_fmac_f64_e32 v[44:45], v[44:45], v[50:51]
	s_delay_alu instid0(VALU_DEP_3) | instskip(SKIP_2) | instid1(VALU_DEP_4)
	v_mul_f64_e32 v[42:43], v[48:49], v[42:43]
	v_cvt_f64_i32_e32 v[48:49], v21
	v_ashrrev_i32_e32 v21, 31, v7
	v_fma_f64 v[50:51], -v[40:41], v[44:45], 1.0
	s_delay_alu instid0(VALU_DEP_4) | instskip(NEXT) | instid1(VALU_DEP_4)
	v_add_f64_e32 v[38:39], v[46:47], v[42:43]
	v_mul_f64_e32 v[52:53], 0x3fe62e42fefa39ef, v[48:49]
	s_delay_alu instid0(VALU_DEP_3) | instskip(NEXT) | instid1(VALU_DEP_3)
	v_fmac_f64_e32 v[44:45], v[44:45], v[50:51]
	v_add_f64_e64 v[34:35], v[38:39], -v[46:47]
	v_div_scale_f64 v[46:47], vcc_lo, v[36:37], v[30:31], v[36:37]
	s_delay_alu instid0(VALU_DEP_4) | instskip(NEXT) | instid1(VALU_DEP_3)
	v_fma_f64 v[50:51], v[48:49], s[22:23], -v[52:53]
	v_add_f64_e64 v[34:35], v[42:43], -v[34:35]
	s_delay_alu instid0(VALU_DEP_3) | instskip(NEXT) | instid1(VALU_DEP_3)
	v_mul_f64_e32 v[42:43], v[46:47], v[44:45]
	v_fmac_f64_e32 v[50:51], 0x3c7abc9e3b39803f, v[48:49]
	s_delay_alu instid0(VALU_DEP_3) | instskip(NEXT) | instid1(VALU_DEP_3)
	v_add_f64_e32 v[28:29], v[28:29], v[34:35]
	v_fma_f64 v[34:35], -v[40:41], v[42:43], v[46:47]
	s_delay_alu instid0(VALU_DEP_3) | instskip(NEXT) | instid1(VALU_DEP_3)
	v_add_f64_e32 v[40:41], v[52:53], v[50:51]
	v_add_f64_e32 v[46:47], v[38:39], v[28:29]
	s_delay_alu instid0(VALU_DEP_3) | instskip(SKIP_1) | instid1(VALU_DEP_4)
	v_div_fmas_f64 v[34:35], v[34:35], v[44:45], v[42:43]
	v_cmp_gt_i32_e32 vcc_lo, 0, v7
	v_add_f64_e64 v[44:45], v[40:41], -v[52:53]
	v_and_b32_e32 v7, 0x400921fb, v21
	v_cndmask_b32_e32 v6, 0x3fe921fb, v61, vcc_lo
	s_delay_alu instid0(VALU_DEP_1) | instskip(SKIP_4) | instid1(VALU_DEP_4)
	v_bfi_b32 v6, 0x7fffffff, v6, v9
	v_add_f64_e32 v[42:43], v[40:41], v[46:47]
	v_div_fixup_f64 v[30:31], v[34:35], v[30:31], v[36:37]
	v_add_f64_e64 v[38:39], v[46:47], -v[38:39]
	v_add_f64_e64 v[44:45], v[50:51], -v[44:45]
	;; [unrolled: 1-line block ×3, first 2 shown]
	s_delay_alu instid0(VALU_DEP_4) | instskip(NEXT) | instid1(VALU_DEP_4)
	v_mul_f64_e32 v[36:37], v[30:31], v[30:31]
	v_add_f64_e64 v[28:29], v[28:29], -v[38:39]
	s_delay_alu instid0(VALU_DEP_3) | instskip(NEXT) | instid1(VALU_DEP_3)
	v_add_f64_e64 v[48:49], v[42:43], -v[34:35]
	v_fmamk_f64 v[52:53], v[36:37], 0x3eeba404b5e68a13, v[24:25]
	v_add_f64_e64 v[34:35], v[46:47], -v[34:35]
	s_delay_alu instid0(VALU_DEP_4) | instskip(NEXT) | instid1(VALU_DEP_3)
	v_add_f64_e32 v[46:47], v[44:45], v[28:29]
	v_fmaak_f64 v[52:53], v[36:37], v[52:53], 0x3f4b2bb069efb384
	v_add_f64_e64 v[38:39], v[40:41], -v[48:49]
	s_delay_alu instid0(VALU_DEP_2) | instskip(NEXT) | instid1(VALU_DEP_1)
	v_fmaak_f64 v[40:41], v[36:37], v[52:53], 0xbf67952daf56de9b
	v_fmaak_f64 v[40:41], v[36:37], v[40:41], 0x3f7d6d43a595c56f
	s_delay_alu instid0(VALU_DEP_1) | instskip(NEXT) | instid1(VALU_DEP_1)
	v_fmaak_f64 v[40:41], v[36:37], v[40:41], 0xbf8c6ea4a57d9582
	v_fmaak_f64 v[40:41], v[36:37], v[40:41], 0x3f967e295f08b19f
	s_delay_alu instid0(VALU_DEP_1) | instskip(SKIP_1) | instid1(VALU_DEP_2)
	v_fmaak_f64 v[40:41], v[36:37], v[40:41], 0xbf9e9ae6fc27006a
	v_add_f64_e32 v[34:35], v[34:35], v[38:39]
	v_fmaak_f64 v[38:39], v[36:37], v[40:41], 0x3fa2c15b5711927a
	v_add_f64_e64 v[40:41], v[46:47], -v[44:45]
	s_delay_alu instid0(VALU_DEP_2) | instskip(NEXT) | instid1(VALU_DEP_1)
	v_fmaak_f64 v[38:39], v[36:37], v[38:39], 0xbfa59976e82d3ff0
	v_fmaak_f64 v[38:39], v[36:37], v[38:39], 0x3fa82d5d6ef28734
	s_delay_alu instid0(VALU_DEP_1) | instskip(NEXT) | instid1(VALU_DEP_1)
	v_fmaak_f64 v[38:39], v[36:37], v[38:39], 0xbfaae5ce6a214619
	v_fmaak_f64 v[38:39], v[36:37], v[38:39], 0x3fae1bb48427b883
	v_add_f64_e32 v[34:35], v[46:47], v[34:35]
	v_add_f64_e64 v[46:47], v[46:47], -v[40:41]
	v_add_f64_e64 v[28:29], v[28:29], -v[40:41]
	s_delay_alu instid0(VALU_DEP_4) | instskip(NEXT) | instid1(VALU_DEP_1)
	v_fmaak_f64 v[38:39], v[36:37], v[38:39], 0xbfb110e48b207f05
	v_fmaak_f64 v[38:39], v[36:37], v[38:39], 0x3fb3b13657b87036
	s_delay_alu instid0(VALU_DEP_1) | instskip(NEXT) | instid1(VALU_DEP_1)
	v_fmaak_f64 v[38:39], v[36:37], v[38:39], 0xbfb745d119378e4f
	v_fmaak_f64 v[38:39], v[36:37], v[38:39], 0x3fbc71c717e1913c
	v_add_f64_e32 v[48:49], v[42:43], v[34:35]
	s_delay_alu instid0(VALU_DEP_2) | instskip(NEXT) | instid1(VALU_DEP_1)
	v_fmaak_f64 v[38:39], v[36:37], v[38:39], 0xbfc2492492376b7d
	v_fmaak_f64 v[38:39], v[36:37], v[38:39], 0x3fc99999999952cc
	s_delay_alu instid0(VALU_DEP_1) | instskip(NEXT) | instid1(VALU_DEP_1)
	v_fmaak_f64 v[38:39], v[36:37], v[38:39], 0xbfd5555555555523
	v_mul_f64_e32 v[36:37], v[36:37], v[38:39]
	v_add_f64_e64 v[38:39], v[44:45], -v[46:47]
	v_add_f64_e64 v[40:41], v[48:49], -v[42:43]
	s_delay_alu instid0(VALU_DEP_3) | instskip(NEXT) | instid1(VALU_DEP_3)
	v_fmac_f64_e32 v[30:31], v[30:31], v[36:37]
	v_add_f64_e32 v[28:29], v[28:29], v[38:39]
	s_delay_alu instid0(VALU_DEP_3) | instskip(NEXT) | instid1(VALU_DEP_3)
	v_add_f64_e64 v[34:35], v[34:35], -v[40:41]
	v_add_f64_e64 v[36:37], -v[30:31], s[24:25]
	s_delay_alu instid0(VALU_DEP_1) | instskip(NEXT) | instid1(VALU_DEP_2)
	v_dual_add_f64 v[28:29], v[28:29], v[34:35] :: v_dual_cndmask_b32 v31, v31, v37, s0
	v_cndmask_b32_e64 v30, v30, v36, s0
	v_and_b32_e32 v37, 0x54442d18, v21
	v_cndmask_b32_e32 v36, 0x54442d18, v60, vcc_lo
	s_delay_alu instid0(VALU_DEP_3) | instskip(NEXT) | instid1(VALU_DEP_1)
	v_add_f64_e64 v[34:35], -v[30:31], s[26:27]
	v_dual_add_f64 v[28:29], v[48:49], v[28:29] :: v_dual_cndmask_b32 v30, v30, v34, vcc_lo
	s_delay_alu instid0(VALU_DEP_2) | instskip(SKIP_1) | instid1(VALU_DEP_3)
	v_cndmask_b32_e32 v21, v31, v35, vcc_lo
	v_cmp_ngt_f64_e32 vcc_lo, -1.0, v[32:33]
	v_mul_f64_e32 v[28:29], 0.5, v[28:29]
                                        ; implicit-def: $vgpr34_vgpr35
	s_delay_alu instid0(VALU_DEP_3)
	v_dual_cndmask_b32 v30, v30, v37, s1 :: v_dual_cndmask_b32 v7, v21, v7, s1
	s_and_b32 s1, s2, s3
	s_delay_alu instid0(VALU_DEP_2) | instid1(SALU_CYCLE_1)
	v_cndmask_b32_e64 v28, 0, v28, s1
	v_cmp_neq_f64_e64 s1, -1.0, v[32:33]
	s_delay_alu instid0(VALU_DEP_4) | instskip(NEXT) | instid1(VALU_DEP_1)
	v_cndmask_b32_e64 v29, 0x7ff00000, v29, s3
	v_cndmask_b32_e32 v21, 0x7ff80000, v29, vcc_lo
	s_and_b32 vcc_lo, s6, s5
	v_dual_cndmask_b32 v31, v7, v6 :: v_dual_cndmask_b32 v30, v30, v36
                                        ; implicit-def: $vgpr36_vgpr37
	s_delay_alu instid0(VALU_DEP_2)
	v_cndmask_b32_e64 v29, 0xfff00000, v21, s1
.LBB185_168:                            ;   in Loop: Header=BB185_162 Depth=1
	s_and_not1_saveexec_b32 s43, s4
	s_cbranch_execz .LBB185_176
; %bb.169:                              ;   in Loop: Header=BB185_162 Depth=1
	v_mul_f64_e32 v[32:33], v[34:35], v[34:35]
                                        ; implicit-def: $vgpr28_vgpr29
                                        ; implicit-def: $vgpr30_vgpr31
	s_mov_b32 s1, exec_lo
	s_delay_alu instid0(VALU_DEP_1) | instskip(NEXT) | instid1(VALU_DEP_1)
	v_fmac_f64_e32 v[32:33], v[36:37], v[36:37]
	v_cmpx_ge_f64_e32 s[28:29], v[32:33]
	s_xor_b32 s3, exec_lo, s1
	s_cbranch_execz .LBB185_171
; %bb.170:                              ;   in Loop: Header=BB185_162 Depth=1
	v_frexp_mant_f64_e32 v[28:29], v[32:33]
	v_cmp_eq_f64_e64 s1, 0, v[8:9]
	v_cmp_neq_f64_e64 s2, 0, v[32:33]
	v_cmp_class_f64_e64 s4, v[8:9], 0x204
	v_cmp_class_f64_e64 s5, v[6:7], 0x204
	v_cmp_gt_f64_e32 vcc_lo, s[20:21], v[28:29]
	v_cndmask_b32_e64 v21, 0, 1, vcc_lo
	s_delay_alu instid0(VALU_DEP_1) | instskip(SKIP_1) | instid1(VALU_DEP_2)
	v_ldexp_f64 v[28:29], v[28:29], v21
	v_frexp_exp_i32_f64_e32 v21, v[32:33]
	v_add_f64_e32 v[30:31], 1.0, v[28:29]
	v_add_f64_e32 v[38:39], -1.0, v[28:29]
	s_delay_alu instid0(VALU_DEP_3) | instskip(NEXT) | instid1(VALU_DEP_3)
	v_subrev_co_ci_u32_e64 v21, null, 0, v21, vcc_lo
	v_rcp_f64_e32 v[34:35], v[30:31]
	v_add_f64_e32 v[40:41], -1.0, v[30:31]
	s_delay_alu instid0(VALU_DEP_1) | instskip(NEXT) | instid1(TRANS32_DEP_1)
	v_add_f64_e64 v[28:29], v[28:29], -v[40:41]
	v_fma_f64 v[36:37], -v[30:31], v[34:35], 1.0
	s_delay_alu instid0(VALU_DEP_1) | instskip(NEXT) | instid1(VALU_DEP_1)
	v_fmac_f64_e32 v[34:35], v[36:37], v[34:35]
	v_fma_f64 v[36:37], -v[30:31], v[34:35], 1.0
	s_delay_alu instid0(VALU_DEP_1) | instskip(NEXT) | instid1(VALU_DEP_1)
	v_fmac_f64_e32 v[34:35], v[36:37], v[34:35]
	v_mul_f64_e32 v[36:37], v[38:39], v[34:35]
	s_delay_alu instid0(VALU_DEP_1) | instskip(NEXT) | instid1(VALU_DEP_1)
	v_mul_f64_e32 v[42:43], v[30:31], v[36:37]
	v_fma_f64 v[30:31], v[36:37], v[30:31], -v[42:43]
	s_delay_alu instid0(VALU_DEP_1) | instskip(NEXT) | instid1(VALU_DEP_1)
	v_fmac_f64_e32 v[30:31], v[36:37], v[28:29]
	v_add_f64_e32 v[28:29], v[42:43], v[30:31]
	s_delay_alu instid0(VALU_DEP_1) | instskip(SKIP_1) | instid1(VALU_DEP_2)
	v_add_f64_e64 v[40:41], v[38:39], -v[28:29]
	v_add_f64_e64 v[42:43], v[28:29], -v[42:43]
	;; [unrolled: 1-line block ×3, first 2 shown]
	s_delay_alu instid0(VALU_DEP_2) | instskip(NEXT) | instid1(VALU_DEP_2)
	v_add_f64_e64 v[30:31], v[42:43], -v[30:31]
	v_add_f64_e64 v[28:29], v[38:39], -v[28:29]
	v_max_num_f64_e64 v[38:39], |v[6:7]|, |v[6:7]|
	s_delay_alu instid0(VALU_DEP_2) | instskip(SKIP_1) | instid1(VALU_DEP_2)
	v_add_f64_e32 v[28:29], v[30:31], v[28:29]
	v_max_num_f64_e64 v[30:31], |v[8:9]|, |v[8:9]|
	v_add_f64_e32 v[28:29], v[40:41], v[28:29]
	s_delay_alu instid0(VALU_DEP_1) | instskip(NEXT) | instid1(VALU_DEP_3)
	v_mul_f64_e32 v[28:29], v[34:35], v[28:29]
	v_max_num_f64_e32 v[34:35], v[38:39], v[30:31]
	v_min_num_f64_e32 v[30:31], v[38:39], v[30:31]
	s_delay_alu instid0(VALU_DEP_3) | instskip(NEXT) | instid1(VALU_DEP_2)
	v_add_f64_e32 v[38:39], v[36:37], v[28:29]
	v_div_scale_f64 v[40:41], null, v[34:35], v[34:35], v[30:31]
	s_delay_alu instid0(VALU_DEP_2) | instskip(SKIP_1) | instid1(VALU_DEP_3)
	v_mul_f64_e32 v[42:43], v[38:39], v[38:39]
	v_add_f64_e64 v[36:37], v[38:39], -v[36:37]
	v_rcp_f64_e32 v[44:45], v[40:41]
	s_delay_alu instid0(VALU_DEP_2) | instskip(SKIP_1) | instid1(VALU_DEP_3)
	v_fmamk_f64 v[46:47], v[42:43], 0x3fc3ab76bf559e2b, v[22:23]
	v_mul_f64_e32 v[48:49], v[38:39], v[42:43]
	v_add_f64_e64 v[28:29], v[28:29], -v[36:37]
	s_delay_alu instid0(VALU_DEP_3) | instskip(NEXT) | instid1(TRANS32_DEP_1)
	v_fmaak_f64 v[46:47], v[42:43], v[46:47], 0x3fc7474dd7f4df2e
	v_fma_f64 v[50:51], -v[40:41], v[44:45], 1.0
	s_delay_alu instid0(VALU_DEP_2) | instskip(NEXT) | instid1(VALU_DEP_1)
	v_fmaak_f64 v[46:47], v[42:43], v[46:47], 0x3fcc71c016291751
	v_fmaak_f64 v[46:47], v[42:43], v[46:47], 0x3fd249249b27acf1
	s_delay_alu instid0(VALU_DEP_1) | instskip(SKIP_1) | instid1(VALU_DEP_2)
	v_fmaak_f64 v[46:47], v[42:43], v[46:47], 0x3fd99999998ef7b6
	v_ldexp_f64 v[28:29], v[28:29], 1
	v_fmaak_f64 v[42:43], v[42:43], v[46:47], 0x3fe5555555555780
	v_ldexp_f64 v[46:47], v[38:39], 1
	v_fmac_f64_e32 v[44:45], v[44:45], v[50:51]
	s_delay_alu instid0(VALU_DEP_3) | instskip(SKIP_2) | instid1(VALU_DEP_4)
	v_mul_f64_e32 v[42:43], v[48:49], v[42:43]
	v_cvt_f64_i32_e32 v[48:49], v21
	v_ashrrev_i32_e32 v21, 31, v7
	v_fma_f64 v[50:51], -v[40:41], v[44:45], 1.0
	s_delay_alu instid0(VALU_DEP_4) | instskip(NEXT) | instid1(VALU_DEP_4)
	v_add_f64_e32 v[38:39], v[46:47], v[42:43]
	v_mul_f64_e32 v[52:53], 0x3fe62e42fefa39ef, v[48:49]
	s_delay_alu instid0(VALU_DEP_3) | instskip(NEXT) | instid1(VALU_DEP_3)
	v_fmac_f64_e32 v[44:45], v[44:45], v[50:51]
	v_add_f64_e64 v[36:37], v[38:39], -v[46:47]
	v_div_scale_f64 v[46:47], vcc_lo, v[30:31], v[34:35], v[30:31]
	s_delay_alu instid0(VALU_DEP_4) | instskip(NEXT) | instid1(VALU_DEP_3)
	v_fma_f64 v[50:51], v[48:49], s[22:23], -v[52:53]
	v_add_f64_e64 v[36:37], v[42:43], -v[36:37]
	s_delay_alu instid0(VALU_DEP_3) | instskip(NEXT) | instid1(VALU_DEP_3)
	v_mul_f64_e32 v[42:43], v[46:47], v[44:45]
	v_fmac_f64_e32 v[50:51], 0x3c7abc9e3b39803f, v[48:49]
	s_delay_alu instid0(VALU_DEP_3) | instskip(NEXT) | instid1(VALU_DEP_3)
	v_add_f64_e32 v[28:29], v[28:29], v[36:37]
	v_fma_f64 v[36:37], -v[40:41], v[42:43], v[46:47]
	s_delay_alu instid0(VALU_DEP_3) | instskip(NEXT) | instid1(VALU_DEP_3)
	v_add_f64_e32 v[40:41], v[52:53], v[50:51]
	v_add_f64_e32 v[46:47], v[38:39], v[28:29]
	s_delay_alu instid0(VALU_DEP_3) | instskip(SKIP_1) | instid1(VALU_DEP_4)
	v_div_fmas_f64 v[36:37], v[36:37], v[44:45], v[42:43]
	v_cmp_gt_i32_e32 vcc_lo, 0, v7
	v_add_f64_e64 v[44:45], v[40:41], -v[52:53]
	s_delay_alu instid0(VALU_DEP_4) | instskip(NEXT) | instid1(VALU_DEP_4)
	v_add_f64_e32 v[42:43], v[40:41], v[46:47]
	v_div_fixup_f64 v[30:31], v[36:37], v[34:35], v[30:31]
	v_add_f64_e64 v[38:39], v[46:47], -v[38:39]
	s_delay_alu instid0(VALU_DEP_4) | instskip(NEXT) | instid1(VALU_DEP_4)
	v_add_f64_e64 v[44:45], v[50:51], -v[44:45]
	v_add_f64_e64 v[34:35], v[42:43], -v[40:41]
	s_delay_alu instid0(VALU_DEP_4) | instskip(NEXT) | instid1(VALU_DEP_4)
	v_mul_f64_e32 v[36:37], v[30:31], v[30:31]
	v_add_f64_e64 v[28:29], v[28:29], -v[38:39]
	s_delay_alu instid0(VALU_DEP_3) | instskip(NEXT) | instid1(VALU_DEP_3)
	v_add_f64_e64 v[48:49], v[42:43], -v[34:35]
	v_fmamk_f64 v[52:53], v[36:37], 0x3eeba404b5e68a13, v[24:25]
	v_add_f64_e64 v[34:35], v[46:47], -v[34:35]
	s_delay_alu instid0(VALU_DEP_4) | instskip(NEXT) | instid1(VALU_DEP_3)
	v_add_f64_e32 v[46:47], v[44:45], v[28:29]
	v_fmaak_f64 v[52:53], v[36:37], v[52:53], 0x3f4b2bb069efb384
	s_delay_alu instid0(VALU_DEP_1) | instskip(SKIP_1) | instid1(VALU_DEP_2)
	v_fmaak_f64 v[52:53], v[36:37], v[52:53], 0xbf67952daf56de9b
	v_add_f64_e64 v[38:39], v[40:41], -v[48:49]
	v_fmaak_f64 v[40:41], v[36:37], v[52:53], 0x3f7d6d43a595c56f
	s_delay_alu instid0(VALU_DEP_1) | instskip(NEXT) | instid1(VALU_DEP_1)
	v_fmaak_f64 v[40:41], v[36:37], v[40:41], 0xbf8c6ea4a57d9582
	v_fmaak_f64 v[40:41], v[36:37], v[40:41], 0x3f967e295f08b19f
	s_delay_alu instid0(VALU_DEP_1) | instskip(NEXT) | instid1(VALU_DEP_1)
	v_fmaak_f64 v[40:41], v[36:37], v[40:41], 0xbf9e9ae6fc27006a
	v_fmaak_f64 v[40:41], v[36:37], v[40:41], 0x3fa2c15b5711927a
	v_add_f64_e32 v[34:35], v[34:35], v[38:39]
	s_delay_alu instid0(VALU_DEP_2) | instskip(SKIP_1) | instid1(VALU_DEP_2)
	v_fmaak_f64 v[38:39], v[36:37], v[40:41], 0xbfa59976e82d3ff0
	v_add_f64_e64 v[40:41], v[46:47], -v[44:45]
	v_fmaak_f64 v[38:39], v[36:37], v[38:39], 0x3fa82d5d6ef28734
	s_delay_alu instid0(VALU_DEP_1) | instskip(NEXT) | instid1(VALU_DEP_1)
	v_fmaak_f64 v[38:39], v[36:37], v[38:39], 0xbfaae5ce6a214619
	v_fmaak_f64 v[38:39], v[36:37], v[38:39], 0x3fae1bb48427b883
	s_delay_alu instid0(VALU_DEP_1) | instskip(SKIP_3) | instid1(VALU_DEP_4)
	v_fmaak_f64 v[38:39], v[36:37], v[38:39], 0xbfb110e48b207f05
	v_add_f64_e32 v[34:35], v[46:47], v[34:35]
	v_add_f64_e64 v[46:47], v[46:47], -v[40:41]
	v_add_f64_e64 v[28:29], v[28:29], -v[40:41]
	v_fmaak_f64 v[38:39], v[36:37], v[38:39], 0x3fb3b13657b87036
	s_delay_alu instid0(VALU_DEP_1) | instskip(NEXT) | instid1(VALU_DEP_1)
	v_fmaak_f64 v[38:39], v[36:37], v[38:39], 0xbfb745d119378e4f
	v_fmaak_f64 v[38:39], v[36:37], v[38:39], 0x3fbc71c717e1913c
	s_delay_alu instid0(VALU_DEP_1) | instskip(SKIP_1) | instid1(VALU_DEP_2)
	v_fmaak_f64 v[38:39], v[36:37], v[38:39], 0xbfc2492492376b7d
	v_add_f64_e32 v[48:49], v[42:43], v[34:35]
	v_fmaak_f64 v[38:39], v[36:37], v[38:39], 0x3fc99999999952cc
	s_delay_alu instid0(VALU_DEP_1) | instskip(NEXT) | instid1(VALU_DEP_1)
	v_fmaak_f64 v[38:39], v[36:37], v[38:39], 0xbfd5555555555523
	v_mul_f64_e32 v[36:37], v[36:37], v[38:39]
	v_add_f64_e64 v[38:39], v[44:45], -v[46:47]
	v_add_f64_e64 v[40:41], v[48:49], -v[42:43]
	s_delay_alu instid0(VALU_DEP_3) | instskip(NEXT) | instid1(VALU_DEP_3)
	v_fmac_f64_e32 v[30:31], v[30:31], v[36:37]
	v_add_f64_e32 v[28:29], v[28:29], v[38:39]
	s_delay_alu instid0(VALU_DEP_3) | instskip(NEXT) | instid1(VALU_DEP_3)
	v_add_f64_e64 v[34:35], v[34:35], -v[40:41]
	v_add_f64_e64 v[36:37], -v[30:31], s[24:25]
	s_delay_alu instid0(VALU_DEP_1) | instskip(NEXT) | instid1(VALU_DEP_2)
	v_dual_add_f64 v[28:29], v[28:29], v[34:35] :: v_dual_cndmask_b32 v31, v31, v37, s0
	v_cndmask_b32_e64 v30, v30, v36, s0
	v_and_b32_e32 v37, 0x54442d18, v21
	v_and_b32_e32 v21, 0x400921fb, v21
	v_cndmask_b32_e32 v36, 0x54442d18, v60, vcc_lo
	s_delay_alu instid0(VALU_DEP_4) | instskip(NEXT) | instid1(VALU_DEP_1)
	v_add_f64_e64 v[34:35], -v[30:31], s[26:27]
	v_dual_add_f64 v[28:29], v[48:49], v[28:29] :: v_dual_cndmask_b32 v30, v30, v34, vcc_lo
	s_delay_alu instid0(VALU_DEP_1) | instskip(NEXT) | instid1(VALU_DEP_2)
	v_cndmask_b32_e64 v30, v30, v37, s1
	v_mul_f64_e32 v[6:7], 0.5, v[28:29]
	v_cndmask_b32_e32 v28, 0x3fe921fb, v61, vcc_lo
	v_cndmask_b32_e32 v29, v31, v35, vcc_lo
	s_and_b32 vcc_lo, s5, s4
                                        ; implicit-def: $vgpr34_vgpr35
	v_cndmask_b32_e32 v30, v30, v36, vcc_lo
	s_delay_alu instid0(VALU_DEP_3) | instskip(NEXT) | instid1(VALU_DEP_3)
	v_bfi_b32 v28, 0x7fffffff, v28, v9
	v_cndmask_b32_e64 v21, v29, v21, s1
                                        ; implicit-def: $vgpr36_vgpr37
	s_delay_alu instid0(VALU_DEP_1)
	v_cndmask_b32_e32 v31, v21, v28, vcc_lo
	v_cndmask_b32_e64 v29, 0xfff00000, v7, s2
	v_cndmask_b32_e64 v28, 0, v6, s2
.LBB185_171:                            ;   in Loop: Header=BB185_162 Depth=1
	s_and_not1_saveexec_b32 s44, s3
	s_cbranch_execz .LBB185_175
; %bb.172:                              ;   in Loop: Header=BB185_162 Depth=1
	v_and_b32_e32 v21, 0x7ffffff8, v37
	v_and_b32_e32 v31, 0x7ffffff8, v35
	v_mov_b32_e32 v30, v20
	s_mov_b32 s45, 0
	v_mov_b32_e32 v38, v20
	v_add_f64_e64 v[28:29], v[36:37], -v[20:21]
	s_delay_alu instid0(VALU_DEP_3) | instskip(SKIP_2) | instid1(VALU_DEP_4)
	v_dual_add_f64 v[32:33], v[34:35], -v[30:31] :: v_dual_mov_b32 v36, v20
	v_add_f64_e32 v[40:41], v[20:21], v[20:21]
	v_add_f64_e32 v[48:49], v[30:31], v[30:31]
	v_dual_mul_f64 v[34:35], v[30:31], v[30:31] :: v_dual_bitop2_b32 v37, -8, v29 bitop3:0x40
	s_delay_alu instid0(VALU_DEP_4) | instskip(NEXT) | instid1(VALU_DEP_2)
	v_and_b32_e32 v39, -8, v33
	v_add_f64_e64 v[50:51], v[28:29], -v[36:37]
	v_add_f64_e32 v[54:55], v[36:37], v[36:37]
	s_delay_alu instid0(VALU_DEP_3)
	v_add_f64_e64 v[52:53], v[32:33], -v[38:39]
	v_add_f64_e32 v[56:57], v[38:39], v[38:39]
	v_mul_f64_e32 v[28:29], v[20:21], v[20:21]
	v_mul_f64_e32 v[46:47], v[40:41], v[36:37]
	;; [unrolled: 1-line block ×11, first 2 shown]
.LBB185_173:                            ;   Parent Loop BB185_162 Depth=1
                                        ; =>  This Inner Loop Header: Depth=2
	v_cmp_nlt_f64_e32 vcc_lo, v[28:29], v[34:35]
	v_dual_cndmask_b32 v53, v29, v35 :: v_dual_cndmask_b32 v52, v28, v34
	v_dual_cndmask_b32 v29, v35, v29 :: v_dual_cndmask_b32 v28, v34, v28
	s_delay_alu instid0(VALU_DEP_2) | instskip(NEXT) | instid1(VALU_DEP_1)
	v_cmp_nlt_f64_e64 s1, v[52:53], v[46:47]
	v_dual_cndmask_b32 v55, v53, v47, s1 :: v_dual_cndmask_b32 v54, v52, v46, s1
	v_dual_cndmask_b32 v35, v47, v53, s1 :: v_dual_cndmask_b32 v34, v46, v52, s1
	s_and_b32 s1, vcc_lo, s1
	s_delay_alu instid0(VALU_DEP_2) | instskip(NEXT) | instid1(VALU_DEP_1)
	v_cmp_nlt_f64_e64 s2, v[54:55], v[32:33]
	v_dual_cndmask_b32 v57, v55, v33, s2 :: v_dual_cndmask_b32 v56, v54, v32, s2
	v_dual_cndmask_b32 v47, v33, v55, s2 :: v_dual_cndmask_b32 v46, v32, v54, s2
	s_delay_alu instid0(VALU_DEP_2) | instskip(NEXT) | instid1(VALU_DEP_1)
	v_cmp_nlt_f64_e64 s3, v[56:57], v[44:45]
	v_dual_cndmask_b32 v59, v57, v45, s3 :: v_dual_cndmask_b32 v58, v56, v44, s3
	v_dual_cndmask_b32 v33, v45, v57, s3 :: v_dual_cndmask_b32 v32, v44, v56, s3
	s_and_b32 s2, s2, s3
	s_delay_alu instid0(VALU_DEP_2) | instskip(NEXT) | instid1(VALU_DEP_1)
	v_cmp_nlt_f64_e64 s4, v[58:59], v[30:31]
	v_dual_cndmask_b32 v63, v59, v31, s4 :: v_dual_cndmask_b32 v62, v58, v30, s4
	v_dual_cndmask_b32 v45, v31, v59, s4 :: v_dual_cndmask_b32 v44, v30, v58, s4
	s_delay_alu instid0(VALU_DEP_2) | instskip(NEXT) | instid1(VALU_DEP_1)
	v_cmp_nlt_f64_e64 s5, v[62:63], v[42:43]
	v_dual_cndmask_b32 v65, v63, v43, s5 :: v_dual_cndmask_b32 v64, v62, v42, s5
	s_and_b32 s3, s4, s5
	v_dual_cndmask_b32 v31, v43, v63, s5 :: v_dual_cndmask_b32 v30, v42, v62, s5
	s_delay_alu instid0(VALU_DEP_2) | instskip(NEXT) | instid1(VALU_DEP_1)
	v_cmp_nlt_f64_e64 s6, v[64:65], v[40:41]
	v_dual_cndmask_b32 v67, v65, v41, s6 :: v_dual_cndmask_b32 v66, v64, v40, s6
	s_and_b32 s3, s3, s6
	;; [unrolled: 5-line block ×6, first 2 shown]
	v_dual_cndmask_b32 v49, v51, v73, s10 :: v_dual_cndmask_b32 v48, v50, v72, s10
	s_and_b32 s2, s3, s2
	s_delay_alu instid0(VALU_DEP_2) | instskip(SKIP_1) | instid1(SALU_CYCLE_1)
	v_mov_b64_e32 v[50:51], v[52:53]
	s_and_b32 s1, s2, s1
	s_and_b32 s1, exec_lo, s1
	s_delay_alu instid0(SALU_CYCLE_1) | instskip(NEXT) | instid1(SALU_CYCLE_1)
	s_or_b32 s45, s1, s45
	s_and_not1_b32 exec_lo, exec_lo, s45
	s_cbranch_execnz .LBB185_173
; %bb.174:                              ;   in Loop: Header=BB185_162 Depth=1
	s_or_b32 exec_lo, exec_lo, s45
	v_add_f64_e32 v[28:29], -1.0, v[28:29]
	v_cmp_eq_f64_e64 s1, 0, v[8:9]
	v_cmp_class_f64_e64 s5, v[6:7], 0x204
	v_cmp_class_f64_e64 s4, v[8:9], 0x204
	s_delay_alu instid0(VALU_DEP_4) | instskip(NEXT) | instid1(VALU_DEP_1)
	v_add_f64_e32 v[28:29], v[28:29], v[34:35]
	v_add_f64_e32 v[28:29], v[28:29], v[46:47]
	s_delay_alu instid0(VALU_DEP_1) | instskip(NEXT) | instid1(VALU_DEP_1)
	v_add_f64_e32 v[28:29], v[28:29], v[32:33]
	v_add_f64_e32 v[28:29], v[28:29], v[44:45]
	s_delay_alu instid0(VALU_DEP_1) | instskip(NEXT) | instid1(VALU_DEP_1)
	;; [unrolled: 3-line block ×5, first 2 shown]
	v_add_f64_e32 v[32:33], v[52:53], v[28:29]
	v_add_f64_e32 v[28:29], 1.0, v[32:33]
	v_cmp_nge_f64_e64 s2, -1.0, v[32:33]
	v_cmp_neq_f64_e64 s3, 0x7ff00000, v[32:33]
	s_delay_alu instid0(VALU_DEP_3) | instskip(SKIP_2) | instid1(VALU_DEP_3)
	v_frexp_mant_f64_e32 v[30:31], v[28:29]
	v_frexp_exp_i32_f64_e32 v21, v[28:29]
	v_add_f64_e32 v[34:35], -1.0, v[28:29]
	v_cmp_gt_f64_e32 vcc_lo, s[20:21], v[30:31]
	s_delay_alu instid0(VALU_DEP_2) | instskip(SKIP_2) | instid1(VALU_DEP_1)
	v_add_f64_e64 v[30:31], v[34:35], -v[28:29]
	v_add_f64_e64 v[34:35], v[32:33], -v[34:35]
	v_subrev_co_ci_u32_e64 v21, null, 0, v21, vcc_lo
	v_dual_add_f64 v[30:31], 1.0, v[30:31] :: v_dual_sub_nc_u32 v38, 0, v21
	s_delay_alu instid0(VALU_DEP_1) | instskip(NEXT) | instid1(VALU_DEP_2)
	v_ldexp_f64 v[28:29], v[28:29], v38
	v_add_f64_e32 v[30:31], v[34:35], v[30:31]
	s_delay_alu instid0(VALU_DEP_2) | instskip(SKIP_1) | instid1(VALU_DEP_3)
	v_add_f64_e32 v[36:37], 1.0, v[28:29]
	v_add_f64_e32 v[42:43], -1.0, v[28:29]
	v_ldexp_f64 v[30:31], v[30:31], v38
	s_delay_alu instid0(VALU_DEP_3) | instskip(NEXT) | instid1(VALU_DEP_3)
	v_add_f64_e32 v[34:35], -1.0, v[36:37]
	v_add_f64_e32 v[44:45], 1.0, v[42:43]
	s_delay_alu instid0(VALU_DEP_2) | instskip(NEXT) | instid1(VALU_DEP_2)
	v_add_f64_e64 v[34:35], v[28:29], -v[34:35]
	v_add_f64_e64 v[28:29], v[28:29], -v[44:45]
	s_delay_alu instid0(VALU_DEP_2) | instskip(NEXT) | instid1(VALU_DEP_2)
	v_add_f64_e32 v[34:35], v[30:31], v[34:35]
	v_add_f64_e32 v[28:29], v[30:31], v[28:29]
	s_delay_alu instid0(VALU_DEP_2) | instskip(NEXT) | instid1(VALU_DEP_2)
	v_add_f64_e32 v[38:39], v[36:37], v[34:35]
	v_add_f64_e32 v[44:45], v[42:43], v[28:29]
	s_delay_alu instid0(VALU_DEP_2) | instskip(SKIP_1) | instid1(VALU_DEP_2)
	v_rcp_f64_e32 v[40:41], v[38:39]
	v_add_f64_e64 v[36:37], v[38:39], -v[36:37]
	v_add_f64_e64 v[42:43], v[44:45], -v[42:43]
	s_delay_alu instid0(VALU_DEP_2) | instskip(NEXT) | instid1(VALU_DEP_2)
	v_add_f64_e64 v[34:35], v[34:35], -v[36:37]
	v_add_f64_e64 v[28:29], v[28:29], -v[42:43]
	s_delay_alu instid0(TRANS32_DEP_1) | instskip(NEXT) | instid1(VALU_DEP_1)
	v_fma_f64 v[46:47], -v[38:39], v[40:41], 1.0
	v_fmac_f64_e32 v[40:41], v[46:47], v[40:41]
	s_delay_alu instid0(VALU_DEP_1) | instskip(NEXT) | instid1(VALU_DEP_1)
	v_fma_f64 v[30:31], -v[38:39], v[40:41], 1.0
	v_fmac_f64_e32 v[40:41], v[30:31], v[40:41]
	s_delay_alu instid0(VALU_DEP_1) | instskip(NEXT) | instid1(VALU_DEP_1)
	v_mul_f64_e32 v[30:31], v[44:45], v[40:41]
	v_mul_f64_e32 v[46:47], v[38:39], v[30:31]
	s_delay_alu instid0(VALU_DEP_1) | instskip(NEXT) | instid1(VALU_DEP_1)
	v_fma_f64 v[36:37], v[30:31], v[38:39], -v[46:47]
	v_fmac_f64_e32 v[36:37], v[30:31], v[34:35]
	s_delay_alu instid0(VALU_DEP_1) | instskip(NEXT) | instid1(VALU_DEP_1)
	v_add_f64_e32 v[48:49], v[46:47], v[36:37]
	v_add_f64_e64 v[50:51], v[44:45], -v[48:49]
	v_add_f64_e64 v[42:43], v[48:49], -v[46:47]
	s_delay_alu instid0(VALU_DEP_2) | instskip(NEXT) | instid1(VALU_DEP_2)
	v_add_f64_e64 v[44:45], v[44:45], -v[50:51]
	v_add_f64_e64 v[36:37], v[42:43], -v[36:37]
	s_delay_alu instid0(VALU_DEP_2) | instskip(NEXT) | instid1(VALU_DEP_1)
	v_add_f64_e64 v[44:45], v[44:45], -v[48:49]
	v_add_f64_e32 v[28:29], v[28:29], v[44:45]
	s_delay_alu instid0(VALU_DEP_1) | instskip(NEXT) | instid1(VALU_DEP_1)
	v_add_f64_e32 v[28:29], v[36:37], v[28:29]
	v_add_f64_e32 v[36:37], v[50:51], v[28:29]
	s_delay_alu instid0(VALU_DEP_1) | instskip(SKIP_1) | instid1(VALU_DEP_2)
	v_mul_f64_e32 v[42:43], v[40:41], v[36:37]
	v_add_f64_e64 v[48:49], v[50:51], -v[36:37]
	v_mul_f64_e32 v[44:45], v[38:39], v[42:43]
	s_delay_alu instid0(VALU_DEP_2) | instskip(NEXT) | instid1(VALU_DEP_2)
	v_add_f64_e32 v[28:29], v[28:29], v[48:49]
	v_fma_f64 v[38:39], v[42:43], v[38:39], -v[44:45]
	s_delay_alu instid0(VALU_DEP_1) | instskip(NEXT) | instid1(VALU_DEP_1)
	v_fmac_f64_e32 v[38:39], v[42:43], v[34:35]
	v_add_f64_e32 v[34:35], v[44:45], v[38:39]
	s_delay_alu instid0(VALU_DEP_1) | instskip(SKIP_1) | instid1(VALU_DEP_2)
	v_add_f64_e64 v[46:47], v[36:37], -v[34:35]
	v_add_f64_e64 v[44:45], v[34:35], -v[44:45]
	;; [unrolled: 1-line block ×3, first 2 shown]
	s_delay_alu instid0(VALU_DEP_1) | instskip(NEXT) | instid1(VALU_DEP_3)
	v_add_f64_e64 v[34:35], v[36:37], -v[34:35]
	v_add_f64_e64 v[36:37], v[44:45], -v[38:39]
	v_max_num_f64_e64 v[38:39], |v[6:7]|, |v[6:7]|
	s_delay_alu instid0(VALU_DEP_3) | instskip(SKIP_1) | instid1(VALU_DEP_2)
	v_add_f64_e32 v[28:29], v[28:29], v[34:35]
	v_add_f64_e32 v[34:35], v[30:31], v[42:43]
	;; [unrolled: 1-line block ×3, first 2 shown]
	s_delay_alu instid0(VALU_DEP_2) | instskip(SKIP_1) | instid1(VALU_DEP_3)
	v_add_f64_e64 v[30:31], v[34:35], -v[30:31]
	v_max_num_f64_e64 v[36:37], |v[8:9]|, |v[8:9]|
	v_add_f64_e32 v[28:29], v[46:47], v[28:29]
	s_delay_alu instid0(VALU_DEP_3) | instskip(NEXT) | instid1(VALU_DEP_2)
	v_add_f64_e64 v[30:31], v[42:43], -v[30:31]
	v_mul_f64_e32 v[28:29], v[40:41], v[28:29]
	s_delay_alu instid0(VALU_DEP_1) | instskip(SKIP_2) | instid1(VALU_DEP_3)
	v_add_f64_e32 v[28:29], v[30:31], v[28:29]
	v_max_num_f64_e32 v[30:31], v[38:39], v[36:37]
	v_min_num_f64_e32 v[36:37], v[38:39], v[36:37]
	v_add_f64_e32 v[38:39], v[34:35], v[28:29]
	s_delay_alu instid0(VALU_DEP_2) | instskip(NEXT) | instid1(VALU_DEP_2)
	v_div_scale_f64 v[40:41], null, v[30:31], v[30:31], v[36:37]
	v_mul_f64_e32 v[42:43], v[38:39], v[38:39]
	v_add_f64_e64 v[34:35], v[38:39], -v[34:35]
	s_delay_alu instid0(VALU_DEP_3) | instskip(NEXT) | instid1(VALU_DEP_2)
	v_rcp_f64_e32 v[44:45], v[40:41]
	v_fmamk_f64 v[46:47], v[42:43], 0x3fc3ab76bf559e2b, v[22:23]
	v_mul_f64_e32 v[48:49], v[38:39], v[42:43]
	s_delay_alu instid0(VALU_DEP_3) | instskip(NEXT) | instid1(VALU_DEP_3)
	v_add_f64_e64 v[28:29], v[28:29], -v[34:35]
	v_fmaak_f64 v[46:47], v[42:43], v[46:47], 0x3fc7474dd7f4df2e
	s_delay_alu instid0(TRANS32_DEP_1) | instskip(NEXT) | instid1(VALU_DEP_2)
	v_fma_f64 v[50:51], -v[40:41], v[44:45], 1.0
	v_fmaak_f64 v[46:47], v[42:43], v[46:47], 0x3fcc71c016291751
	s_delay_alu instid0(VALU_DEP_1) | instskip(NEXT) | instid1(VALU_DEP_1)
	v_fmaak_f64 v[46:47], v[42:43], v[46:47], 0x3fd249249b27acf1
	v_fmaak_f64 v[46:47], v[42:43], v[46:47], 0x3fd99999998ef7b6
	v_ldexp_f64 v[28:29], v[28:29], 1
	s_delay_alu instid0(VALU_DEP_2) | instskip(SKIP_2) | instid1(VALU_DEP_3)
	v_fmaak_f64 v[42:43], v[42:43], v[46:47], 0x3fe5555555555780
	v_ldexp_f64 v[46:47], v[38:39], 1
	v_fmac_f64_e32 v[44:45], v[44:45], v[50:51]
	v_mul_f64_e32 v[42:43], v[48:49], v[42:43]
	v_cvt_f64_i32_e32 v[48:49], v21
	v_ashrrev_i32_e32 v21, 31, v7
	s_delay_alu instid0(VALU_DEP_4) | instskip(NEXT) | instid1(VALU_DEP_4)
	v_fma_f64 v[50:51], -v[40:41], v[44:45], 1.0
	v_add_f64_e32 v[38:39], v[46:47], v[42:43]
	s_delay_alu instid0(VALU_DEP_4) | instskip(NEXT) | instid1(VALU_DEP_3)
	v_mul_f64_e32 v[52:53], 0x3fe62e42fefa39ef, v[48:49]
	v_fmac_f64_e32 v[44:45], v[44:45], v[50:51]
	s_delay_alu instid0(VALU_DEP_3) | instskip(SKIP_1) | instid1(VALU_DEP_4)
	v_add_f64_e64 v[34:35], v[38:39], -v[46:47]
	v_div_scale_f64 v[46:47], vcc_lo, v[36:37], v[30:31], v[36:37]
	v_fma_f64 v[50:51], v[48:49], s[22:23], -v[52:53]
	s_delay_alu instid0(VALU_DEP_3) | instskip(NEXT) | instid1(VALU_DEP_3)
	v_add_f64_e64 v[34:35], v[42:43], -v[34:35]
	v_mul_f64_e32 v[42:43], v[46:47], v[44:45]
	s_delay_alu instid0(VALU_DEP_3) | instskip(NEXT) | instid1(VALU_DEP_3)
	v_fmac_f64_e32 v[50:51], 0x3c7abc9e3b39803f, v[48:49]
	v_add_f64_e32 v[28:29], v[28:29], v[34:35]
	s_delay_alu instid0(VALU_DEP_3) | instskip(NEXT) | instid1(VALU_DEP_3)
	v_fma_f64 v[34:35], -v[40:41], v[42:43], v[46:47]
	v_add_f64_e32 v[40:41], v[52:53], v[50:51]
	s_delay_alu instid0(VALU_DEP_3) | instskip(NEXT) | instid1(VALU_DEP_3)
	v_add_f64_e32 v[46:47], v[38:39], v[28:29]
	v_div_fmas_f64 v[34:35], v[34:35], v[44:45], v[42:43]
	v_cmp_gt_i32_e32 vcc_lo, 0, v7
	s_delay_alu instid0(VALU_DEP_4) | instskip(SKIP_2) | instid1(VALU_DEP_1)
	v_add_f64_e64 v[44:45], v[40:41], -v[52:53]
	v_and_b32_e32 v7, 0x400921fb, v21
	v_cndmask_b32_e32 v6, 0x3fe921fb, v61, vcc_lo
	v_bfi_b32 v6, 0x7fffffff, v6, v9
	v_add_f64_e32 v[42:43], v[40:41], v[46:47]
	v_div_fixup_f64 v[30:31], v[34:35], v[30:31], v[36:37]
	v_add_f64_e64 v[38:39], v[46:47], -v[38:39]
	v_add_f64_e64 v[44:45], v[50:51], -v[44:45]
	s_delay_alu instid0(VALU_DEP_4) | instskip(NEXT) | instid1(VALU_DEP_4)
	v_add_f64_e64 v[34:35], v[42:43], -v[40:41]
	v_mul_f64_e32 v[36:37], v[30:31], v[30:31]
	s_delay_alu instid0(VALU_DEP_4) | instskip(NEXT) | instid1(VALU_DEP_3)
	v_add_f64_e64 v[28:29], v[28:29], -v[38:39]
	v_add_f64_e64 v[48:49], v[42:43], -v[34:35]
	s_delay_alu instid0(VALU_DEP_3) | instskip(SKIP_1) | instid1(VALU_DEP_4)
	v_fmamk_f64 v[52:53], v[36:37], 0x3eeba404b5e68a13, v[24:25]
	v_add_f64_e64 v[34:35], v[46:47], -v[34:35]
	v_add_f64_e32 v[46:47], v[44:45], v[28:29]
	s_delay_alu instid0(VALU_DEP_3) | instskip(SKIP_1) | instid1(VALU_DEP_2)
	v_fmaak_f64 v[52:53], v[36:37], v[52:53], 0x3f4b2bb069efb384
	v_add_f64_e64 v[38:39], v[40:41], -v[48:49]
	v_fmaak_f64 v[40:41], v[36:37], v[52:53], 0xbf67952daf56de9b
	s_delay_alu instid0(VALU_DEP_1) | instskip(NEXT) | instid1(VALU_DEP_1)
	v_fmaak_f64 v[40:41], v[36:37], v[40:41], 0x3f7d6d43a595c56f
	v_fmaak_f64 v[40:41], v[36:37], v[40:41], 0xbf8c6ea4a57d9582
	s_delay_alu instid0(VALU_DEP_1) | instskip(NEXT) | instid1(VALU_DEP_1)
	v_fmaak_f64 v[40:41], v[36:37], v[40:41], 0x3f967e295f08b19f
	v_fmaak_f64 v[40:41], v[36:37], v[40:41], 0xbf9e9ae6fc27006a
	v_add_f64_e32 v[34:35], v[34:35], v[38:39]
	s_delay_alu instid0(VALU_DEP_2) | instskip(SKIP_1) | instid1(VALU_DEP_2)
	v_fmaak_f64 v[38:39], v[36:37], v[40:41], 0x3fa2c15b5711927a
	v_add_f64_e64 v[40:41], v[46:47], -v[44:45]
	v_fmaak_f64 v[38:39], v[36:37], v[38:39], 0xbfa59976e82d3ff0
	s_delay_alu instid0(VALU_DEP_1) | instskip(NEXT) | instid1(VALU_DEP_1)
	v_fmaak_f64 v[38:39], v[36:37], v[38:39], 0x3fa82d5d6ef28734
	v_fmaak_f64 v[38:39], v[36:37], v[38:39], 0xbfaae5ce6a214619
	s_delay_alu instid0(VALU_DEP_1) | instskip(SKIP_3) | instid1(VALU_DEP_4)
	v_fmaak_f64 v[38:39], v[36:37], v[38:39], 0x3fae1bb48427b883
	v_add_f64_e32 v[34:35], v[46:47], v[34:35]
	v_add_f64_e64 v[46:47], v[46:47], -v[40:41]
	v_add_f64_e64 v[28:29], v[28:29], -v[40:41]
	v_fmaak_f64 v[38:39], v[36:37], v[38:39], 0xbfb110e48b207f05
	s_delay_alu instid0(VALU_DEP_1) | instskip(NEXT) | instid1(VALU_DEP_1)
	v_fmaak_f64 v[38:39], v[36:37], v[38:39], 0x3fb3b13657b87036
	v_fmaak_f64 v[38:39], v[36:37], v[38:39], 0xbfb745d119378e4f
	s_delay_alu instid0(VALU_DEP_1) | instskip(SKIP_1) | instid1(VALU_DEP_2)
	v_fmaak_f64 v[38:39], v[36:37], v[38:39], 0x3fbc71c717e1913c
	v_add_f64_e32 v[48:49], v[42:43], v[34:35]
	v_fmaak_f64 v[38:39], v[36:37], v[38:39], 0xbfc2492492376b7d
	s_delay_alu instid0(VALU_DEP_1) | instskip(NEXT) | instid1(VALU_DEP_1)
	v_fmaak_f64 v[38:39], v[36:37], v[38:39], 0x3fc99999999952cc
	v_fmaak_f64 v[38:39], v[36:37], v[38:39], 0xbfd5555555555523
	s_delay_alu instid0(VALU_DEP_1) | instskip(SKIP_2) | instid1(VALU_DEP_3)
	v_mul_f64_e32 v[36:37], v[36:37], v[38:39]
	v_add_f64_e64 v[38:39], v[44:45], -v[46:47]
	v_add_f64_e64 v[40:41], v[48:49], -v[42:43]
	v_fmac_f64_e32 v[30:31], v[30:31], v[36:37]
	s_delay_alu instid0(VALU_DEP_3) | instskip(NEXT) | instid1(VALU_DEP_3)
	v_add_f64_e32 v[28:29], v[28:29], v[38:39]
	v_add_f64_e64 v[34:35], v[34:35], -v[40:41]
	s_delay_alu instid0(VALU_DEP_3) | instskip(NEXT) | instid1(VALU_DEP_1)
	v_add_f64_e64 v[36:37], -v[30:31], s[24:25]
	v_dual_add_f64 v[28:29], v[28:29], v[34:35] :: v_dual_cndmask_b32 v31, v31, v37, s0
	s_delay_alu instid0(VALU_DEP_2) | instskip(SKIP_2) | instid1(VALU_DEP_3)
	v_cndmask_b32_e64 v30, v30, v36, s0
	v_and_b32_e32 v37, 0x54442d18, v21
	v_cndmask_b32_e32 v36, 0x54442d18, v60, vcc_lo
	v_add_f64_e64 v[34:35], -v[30:31], s[26:27]
	s_delay_alu instid0(VALU_DEP_1) | instskip(NEXT) | instid1(VALU_DEP_2)
	v_dual_add_f64 v[28:29], v[48:49], v[28:29] :: v_dual_cndmask_b32 v30, v30, v34, vcc_lo
	v_cndmask_b32_e32 v21, v31, v35, vcc_lo
	v_cmp_ngt_f64_e32 vcc_lo, -1.0, v[32:33]
	s_delay_alu instid0(VALU_DEP_3) | instskip(NEXT) | instid1(VALU_DEP_3)
	v_mul_f64_e32 v[28:29], 0.5, v[28:29]
	v_dual_cndmask_b32 v30, v30, v37, s1 :: v_dual_cndmask_b32 v7, v21, v7, s1
	s_and_b32 s1, s2, s3
	s_delay_alu instid0(VALU_DEP_2) | instid1(SALU_CYCLE_1)
	v_cndmask_b32_e64 v28, 0, v28, s1
	v_cmp_neq_f64_e64 s1, -1.0, v[32:33]
	s_delay_alu instid0(VALU_DEP_4) | instskip(NEXT) | instid1(VALU_DEP_1)
	v_cndmask_b32_e64 v29, 0x7ff00000, v29, s3
	v_cndmask_b32_e32 v21, 0x7ff80000, v29, vcc_lo
	s_and_b32 vcc_lo, s5, s4
	v_dual_cndmask_b32 v31, v7, v6 :: v_dual_cndmask_b32 v30, v30, v36
	s_delay_alu instid0(VALU_DEP_2)
	v_cndmask_b32_e64 v29, 0xfff00000, v21, s1
.LBB185_175:                            ;   in Loop: Header=BB185_162 Depth=1
	s_or_b32 exec_lo, exec_lo, s44
.LBB185_176:                            ;   in Loop: Header=BB185_162 Depth=1
	s_delay_alu instid0(SALU_CYCLE_1)
	s_or_b32 exec_lo, exec_lo, s43
.LBB185_177:                            ;   in Loop: Header=BB185_162 Depth=1
	s_and_not1_saveexec_b32 s3, s42
	s_cbranch_execz .LBB185_179
; %bb.178:                              ;   in Loop: Header=BB185_162 Depth=1
	v_max_num_f64_e64 v[28:29], |v[8:9]|, |v[8:9]|
	v_max_num_f64_e64 v[30:31], |v[6:7]|, |v[6:7]|
	v_cmp_class_f64_e64 s4, v[6:7], 0x204
	v_cmp_class_f64_e64 s5, v[8:9], 0x204
	v_cmp_eq_f64_e64 s2, 0, v[8:9]
	s_delay_alu instid0(VALU_DEP_4) | instskip(SKIP_2) | instid1(VALU_DEP_2)
	v_max_num_f64_e32 v[32:33], v[30:31], v[28:29]
	v_min_num_f64_e32 v[28:29], v[30:31], v[28:29]
	s_or_b32 s1, s4, s5
	v_frexp_exp_i32_f64_e32 v21, v[32:33]
	s_delay_alu instid0(VALU_DEP_1) | instskip(NEXT) | instid1(VALU_DEP_1)
	v_sub_nc_u32_e32 v36, 0, v21
	v_ldexp_f64 v[34:35], |v[8:9]|, v36
	s_delay_alu instid0(VALU_DEP_1) | instskip(SKIP_1) | instid1(VALU_DEP_1)
	v_mul_f64_e32 v[34:35], v[34:35], v[34:35]
	v_ldexp_f64 v[36:37], |v[6:7]|, v36
	v_fmac_f64_e32 v[34:35], v[36:37], v[36:37]
	s_delay_alu instid0(VALU_DEP_1) | instskip(SKIP_1) | instid1(TRANS32_DEP_1)
	v_rsq_f64_e32 v[36:37], v[34:35]
	v_cmp_eq_f64_e32 vcc_lo, 0, v[34:35]
	v_mul_f64_e32 v[38:39], v[34:35], v[36:37]
	v_mul_f64_e32 v[36:37], 0.5, v[36:37]
	s_delay_alu instid0(VALU_DEP_1) | instskip(NEXT) | instid1(VALU_DEP_1)
	v_fma_f64 v[40:41], -v[36:37], v[38:39], 0.5
	v_fmac_f64_e32 v[38:39], v[38:39], v[40:41]
	v_fmac_f64_e32 v[36:37], v[36:37], v[40:41]
	s_delay_alu instid0(VALU_DEP_2) | instskip(NEXT) | instid1(VALU_DEP_1)
	v_fma_f64 v[40:41], -v[38:39], v[38:39], v[34:35]
	v_fmac_f64_e32 v[38:39], v[40:41], v[36:37]
	s_delay_alu instid0(VALU_DEP_1) | instskip(NEXT) | instid1(VALU_DEP_1)
	v_dual_cndmask_b32 v35, v39, v35 :: v_dual_cndmask_b32 v34, v38, v34
	v_ldexp_f64 v[34:35], v[34:35], v21
	v_ashrrev_i32_e32 v21, 31, v7
	s_delay_alu instid0(VALU_DEP_2) | instskip(NEXT) | instid1(VALU_DEP_3)
	v_cndmask_b32_e64 v35, v35, 0x7ff00000, s1
	v_cndmask_b32_e64 v34, v34, 0, s1
	s_delay_alu instid0(VALU_DEP_1) | instskip(SKIP_1) | instid1(VALU_DEP_2)
	v_frexp_mant_f64_e32 v[36:37], v[34:35]
	v_cmp_class_f64_e64 s1, v[34:35], 0x204
	v_cmp_gt_f64_e32 vcc_lo, s[20:21], v[36:37]
	v_cndmask_b32_e64 v6, 0, 1, vcc_lo
	s_delay_alu instid0(VALU_DEP_1) | instskip(SKIP_1) | instid1(VALU_DEP_2)
	v_ldexp_f64 v[36:37], v[36:37], v6
	v_frexp_exp_i32_f64_e32 v6, v[34:35]
	v_add_f64_e32 v[38:39], 1.0, v[36:37]
	v_add_f64_e32 v[44:45], -1.0, v[36:37]
	s_delay_alu instid0(VALU_DEP_3) | instskip(SKIP_1) | instid1(VALU_DEP_4)
	v_subrev_co_ci_u32_e64 v6, null, 0, v6, vcc_lo
	v_div_scale_f64 v[52:53], vcc_lo, v[28:29], v[32:33], v[28:29]
	v_rcp_f64_e32 v[40:41], v[38:39]
	v_add_f64_e32 v[46:47], -1.0, v[38:39]
	s_delay_alu instid0(VALU_DEP_1) | instskip(NEXT) | instid1(TRANS32_DEP_1)
	v_add_f64_e64 v[36:37], v[36:37], -v[46:47]
	v_fma_f64 v[42:43], -v[38:39], v[40:41], 1.0
	s_delay_alu instid0(VALU_DEP_1) | instskip(NEXT) | instid1(VALU_DEP_1)
	v_fmac_f64_e32 v[40:41], v[42:43], v[40:41]
	v_fma_f64 v[42:43], -v[38:39], v[40:41], 1.0
	s_delay_alu instid0(VALU_DEP_1) | instskip(NEXT) | instid1(VALU_DEP_1)
	v_fmac_f64_e32 v[40:41], v[42:43], v[40:41]
	v_mul_f64_e32 v[42:43], v[44:45], v[40:41]
	s_delay_alu instid0(VALU_DEP_1) | instskip(NEXT) | instid1(VALU_DEP_1)
	v_mul_f64_e32 v[48:49], v[38:39], v[42:43]
	v_fma_f64 v[38:39], v[42:43], v[38:39], -v[48:49]
	s_delay_alu instid0(VALU_DEP_1) | instskip(NEXT) | instid1(VALU_DEP_1)
	v_fmac_f64_e32 v[38:39], v[42:43], v[36:37]
	v_add_f64_e32 v[36:37], v[48:49], v[38:39]
	s_delay_alu instid0(VALU_DEP_1) | instskip(SKIP_1) | instid1(VALU_DEP_2)
	v_add_f64_e64 v[46:47], v[44:45], -v[36:37]
	v_add_f64_e64 v[48:49], v[36:37], -v[48:49]
	;; [unrolled: 1-line block ×3, first 2 shown]
	s_delay_alu instid0(VALU_DEP_2) | instskip(NEXT) | instid1(VALU_DEP_2)
	v_add_f64_e64 v[38:39], v[48:49], -v[38:39]
	v_add_f64_e64 v[36:37], v[44:45], -v[36:37]
	s_delay_alu instid0(VALU_DEP_1) | instskip(NEXT) | instid1(VALU_DEP_1)
	v_add_f64_e32 v[36:37], v[38:39], v[36:37]
	v_add_f64_e32 v[36:37], v[46:47], v[36:37]
	s_delay_alu instid0(VALU_DEP_1) | instskip(SKIP_1) | instid1(VALU_DEP_2)
	v_mul_f64_e32 v[30:31], v[40:41], v[36:37]
	v_div_scale_f64 v[36:37], null, v[32:33], v[32:33], v[28:29]
	v_add_f64_e32 v[38:39], v[42:43], v[30:31]
	s_delay_alu instid0(VALU_DEP_2) | instskip(NEXT) | instid1(VALU_DEP_1)
	v_rcp_f64_e32 v[40:41], v[36:37]
	v_mul_f64_e32 v[44:45], v[38:39], v[38:39]
	s_delay_alu instid0(TRANS32_DEP_1) | instskip(NEXT) | instid1(VALU_DEP_2)
	v_fma_f64 v[48:49], -v[36:37], v[40:41], 1.0
	v_fmamk_f64 v[46:47], v[44:45], 0x3fc3ab76bf559e2b, v[22:23]
	v_mul_f64_e32 v[50:51], v[38:39], v[44:45]
	s_delay_alu instid0(VALU_DEP_2) | instskip(NEXT) | instid1(VALU_DEP_4)
	v_fmaak_f64 v[46:47], v[44:45], v[46:47], 0x3fc7474dd7f4df2e
	v_fmac_f64_e32 v[40:41], v[40:41], v[48:49]
	s_delay_alu instid0(VALU_DEP_2) | instskip(NEXT) | instid1(VALU_DEP_1)
	v_fmaak_f64 v[46:47], v[44:45], v[46:47], 0x3fcc71c016291751
	v_fmaak_f64 v[46:47], v[44:45], v[46:47], 0x3fd249249b27acf1
	s_delay_alu instid0(VALU_DEP_1) | instskip(NEXT) | instid1(VALU_DEP_1)
	v_fmaak_f64 v[46:47], v[44:45], v[46:47], 0x3fd99999998ef7b6
	v_fmaak_f64 v[44:45], v[44:45], v[46:47], 0x3fe5555555555780
	v_ldexp_f64 v[46:47], v[38:39], 1
	v_add_f64_e64 v[38:39], v[38:39], -v[42:43]
	v_fma_f64 v[48:49], -v[36:37], v[40:41], 1.0
	s_delay_alu instid0(VALU_DEP_4) | instskip(SKIP_1) | instid1(VALU_DEP_4)
	v_mul_f64_e32 v[44:45], v[50:51], v[44:45]
	v_cvt_f64_i32_e32 v[50:51], v6
	v_add_f64_e64 v[30:31], v[30:31], -v[38:39]
	s_delay_alu instid0(VALU_DEP_4) | instskip(NEXT) | instid1(VALU_DEP_4)
	v_fmac_f64_e32 v[40:41], v[40:41], v[48:49]
	v_add_f64_e32 v[42:43], v[46:47], v[44:45]
	s_delay_alu instid0(VALU_DEP_4) | instskip(NEXT) | instid1(VALU_DEP_4)
	v_mul_f64_e32 v[48:49], 0x3fe62e42fefa39ef, v[50:51]
	v_ldexp_f64 v[30:31], v[30:31], 1
	s_delay_alu instid0(VALU_DEP_3) | instskip(SKIP_1) | instid1(VALU_DEP_4)
	v_add_f64_e64 v[38:39], v[42:43], -v[46:47]
	v_mul_f64_e32 v[46:47], v[52:53], v[40:41]
	v_fma_f64 v[54:55], v[50:51], s[22:23], -v[48:49]
	s_delay_alu instid0(VALU_DEP_3) | instskip(NEXT) | instid1(VALU_DEP_3)
	v_add_f64_e64 v[38:39], v[44:45], -v[38:39]
	v_fma_f64 v[36:37], -v[36:37], v[46:47], v[52:53]
	s_delay_alu instid0(VALU_DEP_3) | instskip(NEXT) | instid1(VALU_DEP_3)
	v_fmac_f64_e32 v[54:55], 0x3c7abc9e3b39803f, v[50:51]
	v_add_f64_e32 v[30:31], v[30:31], v[38:39]
	s_delay_alu instid0(VALU_DEP_3) | instskip(NEXT) | instid1(VALU_DEP_3)
	v_div_fmas_f64 v[36:37], v[36:37], v[40:41], v[46:47]
	v_add_f64_e32 v[38:39], v[48:49], v[54:55]
	v_cmp_gt_i32_e32 vcc_lo, 0, v7
	s_delay_alu instid0(VALU_DEP_4) | instskip(NEXT) | instid1(VALU_DEP_4)
	v_add_f64_e32 v[40:41], v[42:43], v[30:31]
	v_div_fixup_f64 v[28:29], v[36:37], v[32:33], v[28:29]
	s_delay_alu instid0(VALU_DEP_4) | instskip(NEXT) | instid1(VALU_DEP_3)
	v_add_f64_e64 v[48:49], v[38:39], -v[48:49]
	v_add_f64_e32 v[32:33], v[38:39], v[40:41]
	s_delay_alu instid0(VALU_DEP_3) | instskip(SKIP_1) | instid1(VALU_DEP_4)
	v_mul_f64_e32 v[36:37], v[28:29], v[28:29]
	v_add_f64_e64 v[42:43], v[40:41], -v[42:43]
	v_add_f64_e64 v[48:49], v[54:55], -v[48:49]
	s_delay_alu instid0(VALU_DEP_4) | instskip(NEXT) | instid1(VALU_DEP_4)
	v_add_f64_e64 v[44:45], v[32:33], -v[38:39]
	v_fmamk_f64 v[46:47], v[36:37], 0x3eeba404b5e68a13, v[24:25]
	s_delay_alu instid0(VALU_DEP_4) | instskip(NEXT) | instid1(VALU_DEP_2)
	v_add_f64_e64 v[30:31], v[30:31], -v[42:43]
	v_fmaak_f64 v[46:47], v[36:37], v[46:47], 0x3f4b2bb069efb384
	s_delay_alu instid0(VALU_DEP_1) | instskip(NEXT) | instid1(VALU_DEP_1)
	v_fmaak_f64 v[46:47], v[36:37], v[46:47], 0xbf67952daf56de9b
	v_fmaak_f64 v[46:47], v[36:37], v[46:47], 0x3f7d6d43a595c56f
	s_delay_alu instid0(VALU_DEP_1) | instskip(SKIP_3) | instid1(VALU_DEP_4)
	v_fmaak_f64 v[46:47], v[36:37], v[46:47], 0xbf8c6ea4a57d9582
	v_add_f64_e64 v[50:51], v[32:33], -v[44:45]
	v_add_f64_e64 v[40:41], v[40:41], -v[44:45]
	v_add_f64_e32 v[44:45], v[48:49], v[30:31]
	v_fmaak_f64 v[46:47], v[36:37], v[46:47], 0x3f967e295f08b19f
	s_delay_alu instid0(VALU_DEP_1) | instskip(NEXT) | instid1(VALU_DEP_1)
	v_fmaak_f64 v[42:43], v[36:37], v[46:47], 0xbf9e9ae6fc27006a
	v_fmaak_f64 v[42:43], v[36:37], v[42:43], 0x3fa2c15b5711927a
	s_delay_alu instid0(VALU_DEP_1) | instskip(NEXT) | instid1(VALU_DEP_1)
	v_fmaak_f64 v[42:43], v[36:37], v[42:43], 0xbfa59976e82d3ff0
	v_fmaak_f64 v[42:43], v[36:37], v[42:43], 0x3fa82d5d6ef28734
	v_add_f64_e64 v[38:39], v[38:39], -v[50:51]
	s_delay_alu instid0(VALU_DEP_2) | instskip(NEXT) | instid1(VALU_DEP_2)
	v_fmaak_f64 v[42:43], v[36:37], v[42:43], 0xbfaae5ce6a214619
	v_add_f64_e32 v[38:39], v[40:41], v[38:39]
	s_delay_alu instid0(VALU_DEP_2) | instskip(SKIP_1) | instid1(VALU_DEP_2)
	v_fmaak_f64 v[40:41], v[36:37], v[42:43], 0x3fae1bb48427b883
	v_add_f64_e64 v[42:43], v[44:45], -v[48:49]
	v_fmaak_f64 v[40:41], v[36:37], v[40:41], 0xbfb110e48b207f05
	s_delay_alu instid0(VALU_DEP_1) | instskip(NEXT) | instid1(VALU_DEP_1)
	v_fmaak_f64 v[40:41], v[36:37], v[40:41], 0x3fb3b13657b87036
	v_fmaak_f64 v[40:41], v[36:37], v[40:41], 0xbfb745d119378e4f
	s_delay_alu instid0(VALU_DEP_1) | instskip(SKIP_2) | instid1(VALU_DEP_3)
	v_fmaak_f64 v[40:41], v[36:37], v[40:41], 0x3fbc71c717e1913c
	v_add_f64_e32 v[38:39], v[44:45], v[38:39]
	v_add_f64_e64 v[30:31], v[30:31], -v[42:43]
	v_fmaak_f64 v[40:41], v[36:37], v[40:41], 0xbfc2492492376b7d
	s_delay_alu instid0(VALU_DEP_1) | instskip(NEXT) | instid1(VALU_DEP_1)
	v_fmaak_f64 v[40:41], v[36:37], v[40:41], 0x3fc99999999952cc
	v_fmaak_f64 v[40:41], v[36:37], v[40:41], 0xbfd5555555555523
	s_delay_alu instid0(VALU_DEP_1) | instskip(SKIP_2) | instid1(VALU_DEP_3)
	v_mul_f64_e32 v[36:37], v[36:37], v[40:41]
	v_add_f64_e64 v[40:41], v[44:45], -v[42:43]
	v_add_f64_e32 v[44:45], v[32:33], v[38:39]
	v_fmac_f64_e32 v[28:29], v[28:29], v[36:37]
	s_delay_alu instid0(VALU_DEP_3) | instskip(NEXT) | instid1(VALU_DEP_3)
	v_add_f64_e64 v[36:37], v[48:49], -v[40:41]
	v_add_f64_e64 v[32:33], v[44:45], -v[32:33]
	s_delay_alu instid0(VALU_DEP_3) | instskip(NEXT) | instid1(VALU_DEP_3)
	v_add_f64_e64 v[40:41], -v[28:29], s[24:25]
	v_add_f64_e32 v[30:31], v[30:31], v[36:37]
	v_cndmask_b32_e32 v36, 0x54442d18, v60, vcc_lo
	v_and_b32_e32 v37, 0x54442d18, v21
	v_and_b32_e32 v21, 0x400921fb, v21
	v_add_f64_e64 v[32:33], v[38:39], -v[32:33]
	v_dual_cndmask_b32 v29, v29, v41, s0 :: v_dual_cndmask_b32 v28, v28, v40, s0
	s_delay_alu instid0(VALU_DEP_2) | instskip(NEXT) | instid1(VALU_DEP_2)
	v_add_f64_e32 v[30:31], v[30:31], v[32:33]
	v_add_f64_e64 v[32:33], -v[28:29], s[26:27]
	s_delay_alu instid0(VALU_DEP_2) | instskip(NEXT) | instid1(VALU_DEP_2)
	v_add_f64_e32 v[6:7], v[44:45], v[30:31]
	v_cndmask_b32_e32 v28, v28, v32, vcc_lo
	v_cndmask_b32_e32 v30, 0x3fe921fb, v61, vcc_lo
	s_delay_alu instid0(VALU_DEP_4) | instskip(SKIP_1) | instid1(VALU_DEP_4)
	v_cndmask_b32_e32 v29, v29, v33, vcc_lo
	v_cmp_ngt_f64_e32 vcc_lo, 0, v[34:35]
	v_cndmask_b32_e64 v32, v28, v37, s2
	s_delay_alu instid0(VALU_DEP_4) | instskip(NEXT) | instid1(VALU_DEP_4)
	v_bfi_b32 v30, 0x7fffffff, v30, v9
	v_dual_cndmask_b32 v21, v29, v21, s2 :: v_dual_cndmask_b32 v6, v6, v34, s1
	v_cndmask_b32_e64 v7, v7, v35, s1
	v_cmp_nge_f64_e64 s1, 0, v[34:35]
	s_delay_alu instid0(VALU_DEP_2) | instskip(SKIP_4) | instid1(VALU_DEP_1)
	v_cndmask_b32_e32 v7, 0x7ff80000, v7, vcc_lo
	s_and_b32 vcc_lo, s4, s5
	v_dual_cndmask_b32 v31, v21, v30 :: v_dual_cndmask_b32 v30, v32, v36
	v_cndmask_b32_e64 v28, 0, v6, s1
	v_cmp_neq_f64_e64 s1, 0, v[34:35]
	v_cndmask_b32_e64 v29, 0xfff00000, v7, s1
.LBB185_179:                            ;   in Loop: Header=BB185_162 Depth=1
	s_or_b32 exec_lo, exec_lo, s3
                                        ; implicit-def: $vgpr34_vgpr35
.LBB185_180:                            ;   in Loop: Header=BB185_162 Depth=1
	s_and_not1_saveexec_b32 s3, s41
	s_cbranch_execz .LBB185_186
; %bb.181:                              ;   in Loop: Header=BB185_162 Depth=1
                                        ; implicit-def: $vgpr28_vgpr29
                                        ; implicit-def: $vgpr30_vgpr31
	s_mov_b32 s1, exec_lo
	v_cmpx_ngt_f64_e32 s[30:31], v[34:35]
	s_xor_b32 s4, exec_lo, s1
	s_cbranch_execz .LBB185_183
; %bb.182:                              ;   in Loop: Header=BB185_162 Depth=1
	v_mul_f64_e32 v[28:29], v[34:35], v[34:35]
	v_cmp_eq_f64_e64 s1, 0, v[8:9]
	v_cmp_class_f64_e64 s5, v[8:9], 0x204
	v_cmp_class_f64_e64 s6, v[6:7], 0x204
	s_delay_alu instid0(VALU_DEP_4) | instskip(NEXT) | instid1(VALU_DEP_1)
	v_add_f64_e32 v[30:31], 1.0, v[28:29]
	v_frexp_mant_f64_e32 v[32:33], v[30:31]
	v_frexp_exp_i32_f64_e32 v21, v[30:31]
	v_add_f64_e32 v[34:35], -1.0, v[30:31]
	s_delay_alu instid0(VALU_DEP_3) | instskip(NEXT) | instid1(VALU_DEP_2)
	v_cmp_gt_f64_e32 vcc_lo, s[20:21], v[32:33]
	v_add_f64_e64 v[32:33], v[34:35], -v[30:31]
	s_delay_alu instid0(VALU_DEP_4) | instskip(NEXT) | instid1(VALU_DEP_1)
	v_subrev_co_ci_u32_e64 v21, null, 0, v21, vcc_lo
	v_dual_add_f64 v[34:35], v[28:29], -v[34:35] :: v_dual_sub_nc_u32 v38, 0, v21
	v_cmp_neq_f64_e64 s2, 0x7ff00000, v[28:29]
	s_delay_alu instid0(VALU_DEP_4) | instskip(NEXT) | instid1(VALU_DEP_3)
	v_add_f64_e32 v[32:33], 1.0, v[32:33]
	v_ldexp_f64 v[30:31], v[30:31], v38
	s_delay_alu instid0(VALU_DEP_2) | instskip(NEXT) | instid1(VALU_DEP_2)
	v_add_f64_e32 v[32:33], v[34:35], v[32:33]
	v_add_f64_e32 v[36:37], 1.0, v[30:31]
	v_add_f64_e32 v[42:43], -1.0, v[30:31]
	s_delay_alu instid0(VALU_DEP_3) | instskip(NEXT) | instid1(VALU_DEP_3)
	v_ldexp_f64 v[32:33], v[32:33], v38
	v_add_f64_e32 v[34:35], -1.0, v[36:37]
	s_delay_alu instid0(VALU_DEP_3) | instskip(NEXT) | instid1(VALU_DEP_2)
	v_add_f64_e32 v[44:45], 1.0, v[42:43]
	v_add_f64_e64 v[34:35], v[30:31], -v[34:35]
	s_delay_alu instid0(VALU_DEP_2) | instskip(NEXT) | instid1(VALU_DEP_2)
	v_add_f64_e64 v[30:31], v[30:31], -v[44:45]
	v_add_f64_e32 v[34:35], v[32:33], v[34:35]
	s_delay_alu instid0(VALU_DEP_2) | instskip(NEXT) | instid1(VALU_DEP_2)
	v_add_f64_e32 v[30:31], v[32:33], v[30:31]
	v_add_f64_e32 v[38:39], v[36:37], v[34:35]
	s_delay_alu instid0(VALU_DEP_2) | instskip(NEXT) | instid1(VALU_DEP_2)
	v_add_f64_e32 v[44:45], v[42:43], v[30:31]
	v_rcp_f64_e32 v[40:41], v[38:39]
	v_add_f64_e64 v[36:37], v[36:37], -v[38:39]
	s_delay_alu instid0(VALU_DEP_2) | instskip(NEXT) | instid1(VALU_DEP_2)
	v_add_f64_e64 v[42:43], v[42:43], -v[44:45]
	v_add_f64_e32 v[34:35], v[34:35], v[36:37]
	s_delay_alu instid0(VALU_DEP_2) | instskip(NEXT) | instid1(TRANS32_DEP_1)
	v_add_f64_e32 v[30:31], v[30:31], v[42:43]
	v_fma_f64 v[46:47], -v[38:39], v[40:41], 1.0
	s_delay_alu instid0(VALU_DEP_1) | instskip(NEXT) | instid1(VALU_DEP_1)
	v_fmac_f64_e32 v[40:41], v[46:47], v[40:41]
	v_fma_f64 v[32:33], -v[38:39], v[40:41], 1.0
	s_delay_alu instid0(VALU_DEP_1) | instskip(NEXT) | instid1(VALU_DEP_1)
	v_fmac_f64_e32 v[40:41], v[32:33], v[40:41]
	v_mul_f64_e32 v[32:33], v[44:45], v[40:41]
	s_delay_alu instid0(VALU_DEP_1) | instskip(NEXT) | instid1(VALU_DEP_1)
	v_mul_f64_e32 v[46:47], v[38:39], v[32:33]
	v_fma_f64 v[36:37], v[32:33], v[38:39], -v[46:47]
	s_delay_alu instid0(VALU_DEP_1) | instskip(NEXT) | instid1(VALU_DEP_1)
	v_fmac_f64_e32 v[36:37], v[32:33], v[34:35]
	v_add_f64_e32 v[48:49], v[46:47], v[36:37]
	s_delay_alu instid0(VALU_DEP_1) | instskip(SKIP_1) | instid1(VALU_DEP_2)
	v_add_f64_e64 v[50:51], v[44:45], -v[48:49]
	v_add_f64_e64 v[42:43], v[48:49], -v[46:47]
	;; [unrolled: 1-line block ×3, first 2 shown]
	s_delay_alu instid0(VALU_DEP_2) | instskip(NEXT) | instid1(VALU_DEP_2)
	v_add_f64_e64 v[36:37], v[42:43], -v[36:37]
	v_add_f64_e64 v[44:45], v[44:45], -v[48:49]
	s_delay_alu instid0(VALU_DEP_1) | instskip(NEXT) | instid1(VALU_DEP_1)
	v_add_f64_e32 v[30:31], v[30:31], v[44:45]
	v_add_f64_e32 v[30:31], v[36:37], v[30:31]
	s_delay_alu instid0(VALU_DEP_1) | instskip(NEXT) | instid1(VALU_DEP_1)
	v_add_f64_e32 v[36:37], v[50:51], v[30:31]
	v_mul_f64_e32 v[42:43], v[40:41], v[36:37]
	v_add_f64_e64 v[48:49], v[50:51], -v[36:37]
	s_delay_alu instid0(VALU_DEP_2) | instskip(NEXT) | instid1(VALU_DEP_2)
	v_mul_f64_e32 v[44:45], v[38:39], v[42:43]
	v_add_f64_e32 v[30:31], v[30:31], v[48:49]
	s_delay_alu instid0(VALU_DEP_2) | instskip(NEXT) | instid1(VALU_DEP_1)
	v_fma_f64 v[38:39], v[42:43], v[38:39], -v[44:45]
	v_fmac_f64_e32 v[38:39], v[42:43], v[34:35]
	s_delay_alu instid0(VALU_DEP_1) | instskip(NEXT) | instid1(VALU_DEP_1)
	v_add_f64_e32 v[34:35], v[44:45], v[38:39]
	v_add_f64_e64 v[46:47], v[36:37], -v[34:35]
	v_add_f64_e64 v[44:45], v[34:35], -v[44:45]
	s_delay_alu instid0(VALU_DEP_2) | instskip(NEXT) | instid1(VALU_DEP_1)
	v_add_f64_e64 v[36:37], v[36:37], -v[46:47]
	v_add_f64_e64 v[34:35], v[36:37], -v[34:35]
	s_delay_alu instid0(VALU_DEP_3) | instskip(SKIP_1) | instid1(VALU_DEP_3)
	v_add_f64_e64 v[36:37], v[44:45], -v[38:39]
	v_max_num_f64_e64 v[38:39], |v[6:7]|, |v[6:7]|
	v_add_f64_e32 v[30:31], v[30:31], v[34:35]
	v_add_f64_e32 v[34:35], v[32:33], v[42:43]
	s_delay_alu instid0(VALU_DEP_2) | instskip(NEXT) | instid1(VALU_DEP_2)
	v_add_f64_e32 v[30:31], v[36:37], v[30:31]
	v_add_f64_e64 v[32:33], v[34:35], -v[32:33]
	v_max_num_f64_e64 v[36:37], |v[8:9]|, |v[8:9]|
	s_delay_alu instid0(VALU_DEP_3) | instskip(NEXT) | instid1(VALU_DEP_3)
	v_add_f64_e32 v[30:31], v[46:47], v[30:31]
	v_add_f64_e64 v[32:33], v[42:43], -v[32:33]
	s_delay_alu instid0(VALU_DEP_2) | instskip(NEXT) | instid1(VALU_DEP_1)
	v_mul_f64_e32 v[30:31], v[40:41], v[30:31]
	v_add_f64_e32 v[30:31], v[32:33], v[30:31]
	v_max_num_f64_e32 v[32:33], v[38:39], v[36:37]
	v_min_num_f64_e32 v[36:37], v[38:39], v[36:37]
	s_delay_alu instid0(VALU_DEP_3) | instskip(NEXT) | instid1(VALU_DEP_2)
	v_add_f64_e32 v[38:39], v[34:35], v[30:31]
	v_div_scale_f64 v[40:41], null, v[32:33], v[32:33], v[36:37]
	s_delay_alu instid0(VALU_DEP_2) | instskip(SKIP_1) | instid1(VALU_DEP_3)
	v_mul_f64_e32 v[42:43], v[38:39], v[38:39]
	v_add_f64_e64 v[34:35], v[38:39], -v[34:35]
	v_rcp_f64_e32 v[44:45], v[40:41]
	s_delay_alu instid0(VALU_DEP_2) | instskip(SKIP_1) | instid1(VALU_DEP_3)
	v_fmamk_f64 v[46:47], v[42:43], 0x3fc3ab76bf559e2b, v[22:23]
	v_mul_f64_e32 v[48:49], v[38:39], v[42:43]
	v_add_f64_e64 v[30:31], v[30:31], -v[34:35]
	s_delay_alu instid0(VALU_DEP_3) | instskip(NEXT) | instid1(TRANS32_DEP_1)
	v_fmaak_f64 v[46:47], v[42:43], v[46:47], 0x3fc7474dd7f4df2e
	v_fma_f64 v[50:51], -v[40:41], v[44:45], 1.0
	s_delay_alu instid0(VALU_DEP_2) | instskip(NEXT) | instid1(VALU_DEP_1)
	v_fmaak_f64 v[46:47], v[42:43], v[46:47], 0x3fcc71c016291751
	v_fmaak_f64 v[46:47], v[42:43], v[46:47], 0x3fd249249b27acf1
	s_delay_alu instid0(VALU_DEP_1) | instskip(SKIP_1) | instid1(VALU_DEP_2)
	v_fmaak_f64 v[46:47], v[42:43], v[46:47], 0x3fd99999998ef7b6
	v_ldexp_f64 v[30:31], v[30:31], 1
	v_fmaak_f64 v[42:43], v[42:43], v[46:47], 0x3fe5555555555780
	v_ldexp_f64 v[46:47], v[38:39], 1
	v_fmac_f64_e32 v[44:45], v[44:45], v[50:51]
	s_delay_alu instid0(VALU_DEP_3) | instskip(SKIP_2) | instid1(VALU_DEP_4)
	v_mul_f64_e32 v[42:43], v[48:49], v[42:43]
	v_cvt_f64_i32_e32 v[48:49], v21
	v_ashrrev_i32_e32 v21, 31, v7
	v_fma_f64 v[50:51], -v[40:41], v[44:45], 1.0
	s_delay_alu instid0(VALU_DEP_4) | instskip(NEXT) | instid1(VALU_DEP_4)
	v_add_f64_e32 v[38:39], v[46:47], v[42:43]
	v_mul_f64_e32 v[52:53], 0x3fe62e42fefa39ef, v[48:49]
	s_delay_alu instid0(VALU_DEP_3) | instskip(NEXT) | instid1(VALU_DEP_3)
	v_fmac_f64_e32 v[44:45], v[44:45], v[50:51]
	v_add_f64_e64 v[34:35], v[38:39], -v[46:47]
	v_div_scale_f64 v[46:47], vcc_lo, v[36:37], v[32:33], v[36:37]
	s_delay_alu instid0(VALU_DEP_4) | instskip(NEXT) | instid1(VALU_DEP_3)
	v_fma_f64 v[50:51], v[48:49], s[22:23], -v[52:53]
	v_add_f64_e64 v[34:35], v[42:43], -v[34:35]
	s_delay_alu instid0(VALU_DEP_3) | instskip(NEXT) | instid1(VALU_DEP_3)
	v_mul_f64_e32 v[42:43], v[46:47], v[44:45]
	v_fmac_f64_e32 v[50:51], 0x3c7abc9e3b39803f, v[48:49]
	s_delay_alu instid0(VALU_DEP_3) | instskip(NEXT) | instid1(VALU_DEP_3)
	v_add_f64_e32 v[30:31], v[30:31], v[34:35]
	v_fma_f64 v[34:35], -v[40:41], v[42:43], v[46:47]
	s_delay_alu instid0(VALU_DEP_3) | instskip(NEXT) | instid1(VALU_DEP_3)
	v_add_f64_e32 v[40:41], v[52:53], v[50:51]
	v_add_f64_e32 v[46:47], v[38:39], v[30:31]
	s_delay_alu instid0(VALU_DEP_3) | instskip(SKIP_1) | instid1(VALU_DEP_4)
	v_div_fmas_f64 v[34:35], v[34:35], v[44:45], v[42:43]
	v_cmp_gt_i32_e32 vcc_lo, 0, v7
	v_add_f64_e64 v[44:45], v[40:41], -v[52:53]
	v_cndmask_b32_e32 v28, 0x3fe921fb, v61, vcc_lo
	s_delay_alu instid0(VALU_DEP_1) | instskip(SKIP_4) | instid1(VALU_DEP_4)
	v_bfi_b32 v28, 0x7fffffff, v28, v9
	v_add_f64_e32 v[42:43], v[40:41], v[46:47]
	v_div_fixup_f64 v[32:33], v[34:35], v[32:33], v[36:37]
	v_add_f64_e64 v[38:39], v[46:47], -v[38:39]
	v_add_f64_e64 v[44:45], v[50:51], -v[44:45]
	;; [unrolled: 1-line block ×3, first 2 shown]
	s_delay_alu instid0(VALU_DEP_4) | instskip(NEXT) | instid1(VALU_DEP_4)
	v_mul_f64_e32 v[36:37], v[32:33], v[32:33]
	v_add_f64_e64 v[30:31], v[30:31], -v[38:39]
	s_delay_alu instid0(VALU_DEP_3) | instskip(NEXT) | instid1(VALU_DEP_3)
	v_add_f64_e64 v[48:49], v[42:43], -v[34:35]
	v_fmamk_f64 v[52:53], v[36:37], 0x3eeba404b5e68a13, v[24:25]
	v_add_f64_e64 v[34:35], v[46:47], -v[34:35]
	s_delay_alu instid0(VALU_DEP_4) | instskip(NEXT) | instid1(VALU_DEP_3)
	v_add_f64_e32 v[46:47], v[44:45], v[30:31]
	v_fmaak_f64 v[52:53], v[36:37], v[52:53], 0x3f4b2bb069efb384
	s_delay_alu instid0(VALU_DEP_1) | instskip(SKIP_1) | instid1(VALU_DEP_2)
	v_fmaak_f64 v[52:53], v[36:37], v[52:53], 0xbf67952daf56de9b
	v_add_f64_e64 v[38:39], v[40:41], -v[48:49]
	v_fmaak_f64 v[40:41], v[36:37], v[52:53], 0x3f7d6d43a595c56f
	s_delay_alu instid0(VALU_DEP_1) | instskip(NEXT) | instid1(VALU_DEP_1)
	v_fmaak_f64 v[40:41], v[36:37], v[40:41], 0xbf8c6ea4a57d9582
	v_fmaak_f64 v[40:41], v[36:37], v[40:41], 0x3f967e295f08b19f
	s_delay_alu instid0(VALU_DEP_1) | instskip(NEXT) | instid1(VALU_DEP_1)
	v_fmaak_f64 v[40:41], v[36:37], v[40:41], 0xbf9e9ae6fc27006a
	v_fmaak_f64 v[40:41], v[36:37], v[40:41], 0x3fa2c15b5711927a
	v_add_f64_e32 v[34:35], v[34:35], v[38:39]
	s_delay_alu instid0(VALU_DEP_2) | instskip(SKIP_1) | instid1(VALU_DEP_2)
	v_fmaak_f64 v[38:39], v[36:37], v[40:41], 0xbfa59976e82d3ff0
	v_add_f64_e64 v[40:41], v[46:47], -v[44:45]
	v_fmaak_f64 v[38:39], v[36:37], v[38:39], 0x3fa82d5d6ef28734
	s_delay_alu instid0(VALU_DEP_1) | instskip(NEXT) | instid1(VALU_DEP_1)
	v_fmaak_f64 v[38:39], v[36:37], v[38:39], 0xbfaae5ce6a214619
	v_fmaak_f64 v[38:39], v[36:37], v[38:39], 0x3fae1bb48427b883
	s_delay_alu instid0(VALU_DEP_1) | instskip(SKIP_3) | instid1(VALU_DEP_4)
	v_fmaak_f64 v[38:39], v[36:37], v[38:39], 0xbfb110e48b207f05
	v_add_f64_e32 v[34:35], v[46:47], v[34:35]
	v_add_f64_e64 v[46:47], v[46:47], -v[40:41]
	v_add_f64_e64 v[30:31], v[30:31], -v[40:41]
	v_fmaak_f64 v[38:39], v[36:37], v[38:39], 0x3fb3b13657b87036
	s_delay_alu instid0(VALU_DEP_1) | instskip(NEXT) | instid1(VALU_DEP_1)
	v_fmaak_f64 v[38:39], v[36:37], v[38:39], 0xbfb745d119378e4f
	v_fmaak_f64 v[38:39], v[36:37], v[38:39], 0x3fbc71c717e1913c
	s_delay_alu instid0(VALU_DEP_1) | instskip(SKIP_1) | instid1(VALU_DEP_2)
	v_fmaak_f64 v[38:39], v[36:37], v[38:39], 0xbfc2492492376b7d
	v_add_f64_e32 v[48:49], v[42:43], v[34:35]
	v_fmaak_f64 v[38:39], v[36:37], v[38:39], 0x3fc99999999952cc
	s_delay_alu instid0(VALU_DEP_1) | instskip(NEXT) | instid1(VALU_DEP_1)
	v_fmaak_f64 v[38:39], v[36:37], v[38:39], 0xbfd5555555555523
	v_mul_f64_e32 v[36:37], v[36:37], v[38:39]
	v_add_f64_e64 v[38:39], v[44:45], -v[46:47]
	v_add_f64_e64 v[40:41], v[48:49], -v[42:43]
	s_delay_alu instid0(VALU_DEP_3) | instskip(NEXT) | instid1(VALU_DEP_3)
	v_fmac_f64_e32 v[32:33], v[32:33], v[36:37]
	v_add_f64_e32 v[30:31], v[30:31], v[38:39]
	s_delay_alu instid0(VALU_DEP_3) | instskip(NEXT) | instid1(VALU_DEP_3)
	v_add_f64_e64 v[34:35], v[34:35], -v[40:41]
	v_add_f64_e64 v[36:37], -v[32:33], s[24:25]
	s_delay_alu instid0(VALU_DEP_1) | instskip(NEXT) | instid1(VALU_DEP_2)
	v_dual_add_f64 v[30:31], v[30:31], v[34:35] :: v_dual_cndmask_b32 v33, v33, v37, s0
	v_cndmask_b32_e64 v32, v32, v36, s0
	v_and_b32_e32 v37, 0x54442d18, v21
	v_and_b32_e32 v21, 0x400921fb, v21
	v_cndmask_b32_e32 v36, 0x54442d18, v60, vcc_lo
	s_delay_alu instid0(VALU_DEP_4) | instskip(SKIP_1) | instid1(VALU_DEP_2)
	v_add_f64_e64 v[34:35], -v[32:33], s[26:27]
	v_add_f64_e32 v[30:31], v[48:49], v[30:31]
	v_dual_cndmask_b32 v32, v32, v34 :: v_dual_cndmask_b32 v29, v33, v35
	s_and_b32 vcc_lo, s6, s5
                                        ; implicit-def: $vgpr34_vgpr35
	s_delay_alu instid0(VALU_DEP_1) | instskip(NEXT) | instid1(VALU_DEP_1)
	v_dual_mul_f64 v[6:7], 0.5, v[30:31] :: v_dual_cndmask_b32 v21, v29, v21, s1
	v_dual_cndmask_b32 v30, v32, v37, s1 :: v_dual_cndmask_b32 v31, v21, v28, vcc_lo
	s_delay_alu instid0(VALU_DEP_1) | instskip(NEXT) | instid1(VALU_DEP_3)
	v_cndmask_b32_e32 v30, v30, v36, vcc_lo
	v_cndmask_b32_e64 v29, 0x7ff00000, v7, s2
	s_delay_alu instid0(VALU_DEP_4)
	v_cndmask_b32_e64 v28, 0, v6, s2
.LBB185_183:                            ;   in Loop: Header=BB185_162 Depth=1
	s_and_not1_saveexec_b32 s2, s4
	s_cbranch_execz .LBB185_185
; %bb.184:                              ;   in Loop: Header=BB185_162 Depth=1
	v_max_num_f64_e64 v[28:29], |v[8:9]|, |v[8:9]|
	v_max_num_f64_e64 v[30:31], |v[6:7]|, |v[6:7]|
	v_cmp_eq_f64_e64 s1, 0, v[8:9]
	v_cmp_class_f64_e64 s5, v[6:7], 0x204
	v_cmp_class_f64_e64 s4, v[8:9], 0x204
	s_delay_alu instid0(VALU_DEP_4) | instskip(SKIP_1) | instid1(VALU_DEP_1)
	v_dual_max_num_f64 v[32:33], v[30:31], v[28:29] :: v_dual_ashrrev_i32 v21, 31, v7
	v_min_num_f64_e32 v[28:29], v[30:31], v[28:29]
	v_div_scale_f64 v[30:31], null, v[32:33], v[32:33], v[28:29]
	v_div_scale_f64 v[40:41], vcc_lo, v[28:29], v[32:33], v[28:29]
	s_delay_alu instid0(VALU_DEP_2) | instskip(SKIP_1) | instid1(TRANS32_DEP_1)
	v_rcp_f64_e32 v[36:37], v[30:31]
	v_nop
	v_fma_f64 v[38:39], -v[30:31], v[36:37], 1.0
	s_delay_alu instid0(VALU_DEP_1) | instskip(NEXT) | instid1(VALU_DEP_1)
	v_fmac_f64_e32 v[36:37], v[36:37], v[38:39]
	v_fma_f64 v[38:39], -v[30:31], v[36:37], 1.0
	s_delay_alu instid0(VALU_DEP_1) | instskip(NEXT) | instid1(VALU_DEP_1)
	v_fmac_f64_e32 v[36:37], v[36:37], v[38:39]
	v_mul_f64_e32 v[38:39], v[40:41], v[36:37]
	s_delay_alu instid0(VALU_DEP_1) | instskip(NEXT) | instid1(VALU_DEP_1)
	v_fma_f64 v[30:31], -v[30:31], v[38:39], v[40:41]
	v_div_fmas_f64 v[30:31], v[30:31], v[36:37], v[38:39]
	v_cmp_gt_i32_e32 vcc_lo, 0, v7
	v_and_b32_e32 v7, 0x400921fb, v21
	v_and_b32_e32 v37, 0x54442d18, v21
	v_cndmask_b32_e32 v36, 0x54442d18, v60, vcc_lo
	v_cndmask_b32_e32 v6, 0x3fe921fb, v61, vcc_lo
	s_delay_alu instid0(VALU_DEP_1) | instskip(SKIP_1) | instid1(VALU_DEP_1)
	v_bfi_b32 v6, 0x7fffffff, v6, v9
	v_div_fixup_f64 v[28:29], v[30:31], v[32:33], v[28:29]
	v_mul_f64_e32 v[30:31], v[28:29], v[28:29]
	s_delay_alu instid0(VALU_DEP_1) | instskip(NEXT) | instid1(VALU_DEP_1)
	v_fmamk_f64 v[32:33], v[30:31], 0x3eeba404b5e68a13, v[24:25]
	v_fmaak_f64 v[32:33], v[30:31], v[32:33], 0x3f4b2bb069efb384
	s_delay_alu instid0(VALU_DEP_1) | instskip(NEXT) | instid1(VALU_DEP_1)
	v_fmaak_f64 v[32:33], v[30:31], v[32:33], 0xbf67952daf56de9b
	v_fmaak_f64 v[32:33], v[30:31], v[32:33], 0x3f7d6d43a595c56f
	s_delay_alu instid0(VALU_DEP_1) | instskip(NEXT) | instid1(VALU_DEP_1)
	v_fmaak_f64 v[32:33], v[30:31], v[32:33], 0xbf8c6ea4a57d9582
	;; [unrolled: 3-line block ×9, first 2 shown]
	v_mul_f64_e32 v[30:31], v[30:31], v[32:33]
	s_delay_alu instid0(VALU_DEP_1) | instskip(NEXT) | instid1(VALU_DEP_1)
	v_fmac_f64_e32 v[28:29], v[28:29], v[30:31]
	v_add_f64_e64 v[30:31], -v[28:29], s[24:25]
	s_delay_alu instid0(VALU_DEP_1) | instskip(SKIP_1) | instid1(VALU_DEP_1)
	v_dual_cndmask_b32 v31, v29, v31, s0 :: v_dual_cndmask_b32 v30, v28, v30, s0
	v_mul_f64_e32 v[28:29], 0.5, v[34:35]
	v_mul_f64_e32 v[28:29], v[34:35], v[28:29]
	s_delay_alu instid0(VALU_DEP_3) | instskip(NEXT) | instid1(VALU_DEP_1)
	v_add_f64_e64 v[32:33], -v[30:31], s[26:27]
	v_cndmask_b32_e32 v30, v30, v32, vcc_lo
	s_delay_alu instid0(VALU_DEP_1) | instskip(NEXT) | instid1(VALU_DEP_3)
	v_cndmask_b32_e64 v30, v30, v37, s1
	v_cndmask_b32_e32 v21, v31, v33, vcc_lo
	s_and_b32 vcc_lo, s5, s4
	s_delay_alu instid0(VALU_DEP_1) | instid1(SALU_CYCLE_1)
	v_dual_cndmask_b32 v30, v30, v36, vcc_lo :: v_dual_cndmask_b32 v7, v21, v7, s1
	s_delay_alu instid0(VALU_DEP_1)
	v_cndmask_b32_e32 v31, v7, v6, vcc_lo
.LBB185_185:                            ;   in Loop: Header=BB185_162 Depth=1
	s_or_b32 exec_lo, exec_lo, s2
.LBB185_186:                            ;   in Loop: Header=BB185_162 Depth=1
	s_delay_alu instid0(SALU_CYCLE_1)
	s_or_b32 exec_lo, exec_lo, s3
.LBB185_187:                            ;   in Loop: Header=BB185_162 Depth=1
	s_and_not1_saveexec_b32 s2, s40
	s_cbranch_execz .LBB185_189
; %bb.188:                              ;   in Loop: Header=BB185_162 Depth=1
	v_div_scale_f64 v[28:29], null, s[34:35], s[34:35], v[6:7]
	v_div_scale_f64 v[30:31], null, s[34:35], s[34:35], v[8:9]
	v_div_scale_f64 v[40:41], vcc_lo, v[6:7], s[34:35], v[6:7]
	s_delay_alu instid0(VALU_DEP_3) | instskip(NEXT) | instid1(VALU_DEP_2)
	v_rcp_f64_e32 v[32:33], v[28:29]
	v_rcp_f64_e32 v[34:35], v[30:31]
	s_delay_alu instid0(TRANS32_DEP_2) | instskip(NEXT) | instid1(TRANS32_DEP_1)
	v_fma_f64 v[36:37], -v[28:29], v[32:33], 1.0
	v_fma_f64 v[38:39], -v[30:31], v[34:35], 1.0
	s_delay_alu instid0(VALU_DEP_2) | instskip(NEXT) | instid1(VALU_DEP_2)
	v_fmac_f64_e32 v[32:33], v[32:33], v[36:37]
	v_fmac_f64_e32 v[34:35], v[34:35], v[38:39]
	s_delay_alu instid0(VALU_DEP_2) | instskip(NEXT) | instid1(VALU_DEP_2)
	v_fma_f64 v[36:37], -v[28:29], v[32:33], 1.0
	v_fma_f64 v[38:39], -v[30:31], v[34:35], 1.0
	s_delay_alu instid0(VALU_DEP_2) | instskip(SKIP_1) | instid1(VALU_DEP_3)
	v_fmac_f64_e32 v[32:33], v[32:33], v[36:37]
	v_div_scale_f64 v[36:37], s1, v[8:9], s[34:35], v[8:9]
	v_fmac_f64_e32 v[34:35], v[34:35], v[38:39]
	s_delay_alu instid0(VALU_DEP_3) | instskip(NEXT) | instid1(VALU_DEP_2)
	v_mul_f64_e32 v[38:39], v[40:41], v[32:33]
	v_mul_f64_e32 v[42:43], v[36:37], v[34:35]
	s_delay_alu instid0(VALU_DEP_2) | instskip(NEXT) | instid1(VALU_DEP_2)
	v_fma_f64 v[28:29], -v[28:29], v[38:39], v[40:41]
	v_fma_f64 v[30:31], -v[30:31], v[42:43], v[36:37]
	s_delay_alu instid0(VALU_DEP_2) | instskip(SKIP_1) | instid1(VALU_DEP_2)
	v_div_fmas_f64 v[28:29], v[28:29], v[32:33], v[38:39]
	s_mov_b32 vcc_lo, s1
	v_div_fmas_f64 v[30:31], v[30:31], v[34:35], v[42:43]
	s_delay_alu instid0(VALU_DEP_2) | instskip(NEXT) | instid1(VALU_DEP_2)
	v_div_fixup_f64 v[28:29], v[28:29], s[34:35], v[6:7]
	v_div_fixup_f64 v[30:31], v[30:31], s[34:35], v[8:9]
	s_delay_alu instid0(VALU_DEP_2) | instskip(NEXT) | instid1(VALU_DEP_2)
	v_cmp_class_f64_e64 s1, v[28:29], 0x204
	v_max_num_f64_e64 v[32:33], |v[28:29]|, |v[30:31]|
	v_cmp_class_f64_e64 s3, v[30:31], 0x204
	s_delay_alu instid0(VALU_DEP_2) | instskip(SKIP_2) | instid1(VALU_DEP_2)
	v_frexp_exp_i32_f64_e32 v21, v[32:33]
	s_or_b32 s1, s1, s3
	v_cmp_class_f64_e64 s3, v[6:7], 0x204
	v_sub_nc_u32_e32 v34, 0, v21
	s_delay_alu instid0(VALU_DEP_1) | instskip(SKIP_1) | instid1(VALU_DEP_2)
	v_ldexp_f64 v[32:33], |v[30:31]|, v34
	v_ldexp_f64 v[34:35], |v[28:29]|, v34
	v_mul_f64_e32 v[32:33], v[32:33], v[32:33]
	s_delay_alu instid0(VALU_DEP_1) | instskip(NEXT) | instid1(VALU_DEP_1)
	v_fmac_f64_e32 v[32:33], v[34:35], v[34:35]
	v_rsq_f64_e32 v[34:35], v[32:33]
	v_cmp_eq_f64_e32 vcc_lo, 0, v[32:33]
	s_delay_alu instid0(TRANS32_DEP_1) | instskip(SKIP_1) | instid1(VALU_DEP_1)
	v_mul_f64_e32 v[36:37], v[32:33], v[34:35]
	v_mul_f64_e32 v[34:35], 0.5, v[34:35]
	v_fma_f64 v[38:39], -v[34:35], v[36:37], 0.5
	s_delay_alu instid0(VALU_DEP_1) | instskip(SKIP_1) | instid1(VALU_DEP_2)
	v_fmac_f64_e32 v[36:37], v[36:37], v[38:39]
	v_fmac_f64_e32 v[34:35], v[34:35], v[38:39]
	v_fma_f64 v[38:39], -v[36:37], v[36:37], v[32:33]
	s_delay_alu instid0(VALU_DEP_1) | instskip(NEXT) | instid1(VALU_DEP_1)
	v_fmac_f64_e32 v[36:37], v[38:39], v[34:35]
	v_dual_cndmask_b32 v33, v37, v33 :: v_dual_cndmask_b32 v32, v36, v32
	v_cmp_o_f64_e32 vcc_lo, v[28:29], v[30:31]
	s_delay_alu instid0(VALU_DEP_2) | instskip(NEXT) | instid1(VALU_DEP_1)
	v_ldexp_f64 v[32:33], v[32:33], v21
	v_cndmask_b32_e32 v21, 0, v32, vcc_lo
	s_delay_alu instid0(VALU_DEP_2) | instskip(NEXT) | instid1(VALU_DEP_2)
	v_cndmask_b32_e32 v28, 0x7ff80000, v33, vcc_lo
	v_cndmask_b32_e64 v32, v21, 0, s1
	s_delay_alu instid0(VALU_DEP_2) | instskip(SKIP_1) | instid1(VALU_DEP_2)
	v_cndmask_b32_e64 v33, v28, 0x7ff00000, s1
	v_cmp_class_f64_e64 s1, v[8:9], 0x204
	v_frexp_mant_f64_e32 v[28:29], v[32:33]
	s_delay_alu instid0(VALU_DEP_1) | instskip(SKIP_1) | instid1(VALU_DEP_1)
	v_cmp_gt_f64_e32 vcc_lo, s[20:21], v[28:29]
	v_cndmask_b32_e64 v21, 0, 1, vcc_lo
	v_ldexp_f64 v[28:29], v[28:29], v21
	v_frexp_exp_i32_f64_e32 v21, v[32:33]
	s_delay_alu instid0(VALU_DEP_2) | instskip(SKIP_1) | instid1(VALU_DEP_3)
	v_add_f64_e32 v[30:31], 1.0, v[28:29]
	v_add_f64_e32 v[38:39], -1.0, v[28:29]
	v_subrev_co_ci_u32_e64 v21, null, 0, v21, vcc_lo
	s_delay_alu instid0(VALU_DEP_3) | instskip(SKIP_1) | instid1(VALU_DEP_1)
	v_rcp_f64_e32 v[34:35], v[30:31]
	v_add_f64_e32 v[40:41], -1.0, v[30:31]
	v_add_f64_e64 v[28:29], v[28:29], -v[40:41]
	s_delay_alu instid0(TRANS32_DEP_1) | instskip(NEXT) | instid1(VALU_DEP_1)
	v_fma_f64 v[36:37], -v[30:31], v[34:35], 1.0
	v_fmac_f64_e32 v[34:35], v[36:37], v[34:35]
	s_delay_alu instid0(VALU_DEP_1) | instskip(NEXT) | instid1(VALU_DEP_1)
	v_fma_f64 v[36:37], -v[30:31], v[34:35], 1.0
	v_fmac_f64_e32 v[34:35], v[36:37], v[34:35]
	s_delay_alu instid0(VALU_DEP_1) | instskip(NEXT) | instid1(VALU_DEP_1)
	v_mul_f64_e32 v[36:37], v[38:39], v[34:35]
	v_mul_f64_e32 v[42:43], v[30:31], v[36:37]
	s_delay_alu instid0(VALU_DEP_1) | instskip(NEXT) | instid1(VALU_DEP_1)
	v_fma_f64 v[30:31], v[36:37], v[30:31], -v[42:43]
	v_fmac_f64_e32 v[30:31], v[36:37], v[28:29]
	s_delay_alu instid0(VALU_DEP_1) | instskip(NEXT) | instid1(VALU_DEP_1)
	v_add_f64_e32 v[28:29], v[42:43], v[30:31]
	v_add_f64_e64 v[40:41], v[38:39], -v[28:29]
	v_add_f64_e64 v[42:43], v[28:29], -v[42:43]
	s_delay_alu instid0(VALU_DEP_2) | instskip(NEXT) | instid1(VALU_DEP_2)
	v_add_f64_e64 v[38:39], v[38:39], -v[40:41]
	v_add_f64_e64 v[30:31], v[42:43], -v[30:31]
	s_delay_alu instid0(VALU_DEP_2) | instskip(SKIP_1) | instid1(VALU_DEP_2)
	v_add_f64_e64 v[28:29], v[38:39], -v[28:29]
	v_max_num_f64_e64 v[38:39], |v[6:7]|, |v[6:7]|
	v_add_f64_e32 v[28:29], v[30:31], v[28:29]
	v_max_num_f64_e64 v[30:31], |v[8:9]|, |v[8:9]|
	s_delay_alu instid0(VALU_DEP_2) | instskip(NEXT) | instid1(VALU_DEP_1)
	v_add_f64_e32 v[28:29], v[40:41], v[28:29]
	v_mul_f64_e32 v[28:29], v[34:35], v[28:29]
	s_delay_alu instid0(VALU_DEP_3) | instskip(SKIP_1) | instid1(VALU_DEP_3)
	v_max_num_f64_e32 v[34:35], v[38:39], v[30:31]
	v_min_num_f64_e32 v[30:31], v[38:39], v[30:31]
	v_add_f64_e32 v[38:39], v[36:37], v[28:29]
	s_delay_alu instid0(VALU_DEP_2) | instskip(NEXT) | instid1(VALU_DEP_2)
	v_div_scale_f64 v[40:41], null, v[34:35], v[34:35], v[30:31]
	v_mul_f64_e32 v[42:43], v[38:39], v[38:39]
	v_add_f64_e64 v[36:37], v[38:39], -v[36:37]
	s_delay_alu instid0(VALU_DEP_3) | instskip(NEXT) | instid1(VALU_DEP_2)
	v_rcp_f64_e32 v[44:45], v[40:41]
	v_fmamk_f64 v[46:47], v[42:43], 0x3fc3ab76bf559e2b, v[22:23]
	v_mul_f64_e32 v[48:49], v[38:39], v[42:43]
	s_delay_alu instid0(VALU_DEP_3) | instskip(NEXT) | instid1(VALU_DEP_3)
	v_add_f64_e64 v[28:29], v[28:29], -v[36:37]
	v_fmaak_f64 v[46:47], v[42:43], v[46:47], 0x3fc7474dd7f4df2e
	s_delay_alu instid0(TRANS32_DEP_1) | instskip(NEXT) | instid1(VALU_DEP_2)
	v_fma_f64 v[50:51], -v[40:41], v[44:45], 1.0
	v_fmaak_f64 v[46:47], v[42:43], v[46:47], 0x3fcc71c016291751
	s_delay_alu instid0(VALU_DEP_1) | instskip(NEXT) | instid1(VALU_DEP_1)
	v_fmaak_f64 v[46:47], v[42:43], v[46:47], 0x3fd249249b27acf1
	v_fmaak_f64 v[46:47], v[42:43], v[46:47], 0x3fd99999998ef7b6
	v_ldexp_f64 v[28:29], v[28:29], 1
	s_delay_alu instid0(VALU_DEP_2) | instskip(SKIP_2) | instid1(VALU_DEP_3)
	v_fmaak_f64 v[42:43], v[42:43], v[46:47], 0x3fe5555555555780
	v_ldexp_f64 v[46:47], v[38:39], 1
	v_fmac_f64_e32 v[44:45], v[44:45], v[50:51]
	v_mul_f64_e32 v[42:43], v[48:49], v[42:43]
	v_cvt_f64_i32_e32 v[48:49], v21
	v_ashrrev_i32_e32 v21, 31, v7
	s_delay_alu instid0(VALU_DEP_4) | instskip(NEXT) | instid1(VALU_DEP_4)
	v_fma_f64 v[50:51], -v[40:41], v[44:45], 1.0
	v_add_f64_e32 v[38:39], v[46:47], v[42:43]
	s_delay_alu instid0(VALU_DEP_4) | instskip(NEXT) | instid1(VALU_DEP_3)
	v_mul_f64_e32 v[52:53], 0x3fe62e42fefa39ef, v[48:49]
	v_fmac_f64_e32 v[44:45], v[44:45], v[50:51]
	s_delay_alu instid0(VALU_DEP_3) | instskip(SKIP_1) | instid1(VALU_DEP_4)
	v_add_f64_e64 v[36:37], v[38:39], -v[46:47]
	v_div_scale_f64 v[46:47], vcc_lo, v[30:31], v[34:35], v[30:31]
	v_fma_f64 v[50:51], v[48:49], s[22:23], -v[52:53]
	s_delay_alu instid0(VALU_DEP_3) | instskip(NEXT) | instid1(VALU_DEP_3)
	v_add_f64_e64 v[36:37], v[42:43], -v[36:37]
	v_mul_f64_e32 v[42:43], v[46:47], v[44:45]
	s_delay_alu instid0(VALU_DEP_3) | instskip(NEXT) | instid1(VALU_DEP_3)
	v_fmac_f64_e32 v[50:51], 0x3c7abc9e3b39803f, v[48:49]
	v_add_f64_e32 v[28:29], v[28:29], v[36:37]
	s_delay_alu instid0(VALU_DEP_3) | instskip(NEXT) | instid1(VALU_DEP_3)
	v_fma_f64 v[36:37], -v[40:41], v[42:43], v[46:47]
	v_add_f64_e32 v[40:41], v[52:53], v[50:51]
	s_delay_alu instid0(VALU_DEP_3) | instskip(NEXT) | instid1(VALU_DEP_3)
	v_add_f64_e32 v[46:47], v[38:39], v[28:29]
	v_div_fmas_f64 v[36:37], v[36:37], v[44:45], v[42:43]
	v_cmp_class_f64_e64 vcc_lo, v[32:33], 0x204
	s_delay_alu instid0(VALU_DEP_4) | instskip(NEXT) | instid1(VALU_DEP_4)
	v_add_f64_e64 v[44:45], v[40:41], -v[52:53]
	v_add_f64_e32 v[42:43], v[40:41], v[46:47]
	s_delay_alu instid0(VALU_DEP_4) | instskip(SKIP_1) | instid1(VALU_DEP_4)
	v_div_fixup_f64 v[30:31], v[36:37], v[34:35], v[30:31]
	v_add_f64_e64 v[38:39], v[46:47], -v[38:39]
	v_add_f64_e64 v[44:45], v[50:51], -v[44:45]
	s_delay_alu instid0(VALU_DEP_4) | instskip(NEXT) | instid1(VALU_DEP_4)
	v_add_f64_e64 v[34:35], v[42:43], -v[40:41]
	v_mul_f64_e32 v[36:37], v[30:31], v[30:31]
	s_delay_alu instid0(VALU_DEP_4) | instskip(NEXT) | instid1(VALU_DEP_3)
	v_add_f64_e64 v[28:29], v[28:29], -v[38:39]
	v_add_f64_e64 v[48:49], v[42:43], -v[34:35]
	s_delay_alu instid0(VALU_DEP_3) | instskip(SKIP_1) | instid1(VALU_DEP_4)
	v_fmamk_f64 v[52:53], v[36:37], 0x3eeba404b5e68a13, v[24:25]
	v_add_f64_e64 v[34:35], v[46:47], -v[34:35]
	v_add_f64_e32 v[46:47], v[44:45], v[28:29]
	s_delay_alu instid0(VALU_DEP_3) | instskip(SKIP_1) | instid1(VALU_DEP_2)
	v_fmaak_f64 v[52:53], v[36:37], v[52:53], 0x3f4b2bb069efb384
	v_add_f64_e64 v[38:39], v[40:41], -v[48:49]
	v_fmaak_f64 v[40:41], v[36:37], v[52:53], 0xbf67952daf56de9b
	s_delay_alu instid0(VALU_DEP_1) | instskip(NEXT) | instid1(VALU_DEP_1)
	v_fmaak_f64 v[40:41], v[36:37], v[40:41], 0x3f7d6d43a595c56f
	v_fmaak_f64 v[40:41], v[36:37], v[40:41], 0xbf8c6ea4a57d9582
	s_delay_alu instid0(VALU_DEP_1) | instskip(SKIP_1) | instid1(VALU_DEP_2)
	v_fmaak_f64 v[40:41], v[36:37], v[40:41], 0x3f967e295f08b19f
	v_add_f64_e32 v[34:35], v[34:35], v[38:39]
	v_fmaak_f64 v[38:39], v[36:37], v[40:41], 0xbf9e9ae6fc27006a
	v_add_f64_e64 v[40:41], v[46:47], -v[44:45]
	s_delay_alu instid0(VALU_DEP_2) | instskip(NEXT) | instid1(VALU_DEP_1)
	v_fmaak_f64 v[38:39], v[36:37], v[38:39], 0x3fa2c15b5711927a
	v_fmaak_f64 v[38:39], v[36:37], v[38:39], 0xbfa59976e82d3ff0
	s_delay_alu instid0(VALU_DEP_1) | instskip(NEXT) | instid1(VALU_DEP_1)
	v_fmaak_f64 v[38:39], v[36:37], v[38:39], 0x3fa82d5d6ef28734
	v_fmaak_f64 v[38:39], v[36:37], v[38:39], 0xbfaae5ce6a214619
	v_add_f64_e32 v[34:35], v[46:47], v[34:35]
	v_add_f64_e64 v[46:47], v[46:47], -v[40:41]
	v_add_f64_e64 v[28:29], v[28:29], -v[40:41]
	s_delay_alu instid0(VALU_DEP_4) | instskip(NEXT) | instid1(VALU_DEP_1)
	v_fmaak_f64 v[38:39], v[36:37], v[38:39], 0x3fae1bb48427b883
	v_fmaak_f64 v[38:39], v[36:37], v[38:39], 0xbfb110e48b207f05
	s_delay_alu instid0(VALU_DEP_1) | instskip(NEXT) | instid1(VALU_DEP_1)
	v_fmaak_f64 v[38:39], v[36:37], v[38:39], 0x3fb3b13657b87036
	v_fmaak_f64 v[38:39], v[36:37], v[38:39], 0xbfb745d119378e4f
	s_delay_alu instid0(VALU_DEP_1) | instskip(SKIP_1) | instid1(VALU_DEP_2)
	v_fmaak_f64 v[38:39], v[36:37], v[38:39], 0x3fbc71c717e1913c
	v_add_f64_e32 v[48:49], v[42:43], v[34:35]
	v_fmaak_f64 v[38:39], v[36:37], v[38:39], 0xbfc2492492376b7d
	s_delay_alu instid0(VALU_DEP_1) | instskip(NEXT) | instid1(VALU_DEP_1)
	v_fmaak_f64 v[38:39], v[36:37], v[38:39], 0x3fc99999999952cc
	v_fmaak_f64 v[38:39], v[36:37], v[38:39], 0xbfd5555555555523
	s_delay_alu instid0(VALU_DEP_1) | instskip(SKIP_2) | instid1(VALU_DEP_3)
	v_mul_f64_e32 v[36:37], v[36:37], v[38:39]
	v_add_f64_e64 v[38:39], v[44:45], -v[46:47]
	v_add_f64_e64 v[40:41], v[48:49], -v[42:43]
	v_fmac_f64_e32 v[30:31], v[30:31], v[36:37]
	s_delay_alu instid0(VALU_DEP_3) | instskip(NEXT) | instid1(VALU_DEP_3)
	v_add_f64_e32 v[28:29], v[28:29], v[38:39]
	v_add_f64_e64 v[34:35], v[34:35], -v[40:41]
	s_delay_alu instid0(VALU_DEP_3) | instskip(NEXT) | instid1(VALU_DEP_1)
	v_add_f64_e64 v[36:37], -v[30:31], s[24:25]
	v_dual_add_f64 v[28:29], v[28:29], v[34:35] :: v_dual_cndmask_b32 v31, v31, v37, s0
	s_delay_alu instid0(VALU_DEP_2)
	v_cndmask_b32_e64 v30, v30, v36, s0
	v_cmp_gt_i32_e64 s0, 0, v7
	v_and_b32_e32 v37, 0x54442d18, v21
	v_and_b32_e32 v7, 0x400921fb, v21
	v_add_f64_e32 v[28:29], v[48:49], v[28:29]
	v_add_f64_e64 v[34:35], -v[30:31], s[26:27]
	v_cndmask_b32_e64 v36, 0x54442d18, v60, s0
	v_cndmask_b32_e64 v6, 0x3fe921fb, v61, s0
	s_delay_alu instid0(VALU_DEP_1) | instskip(SKIP_4) | instid1(VALU_DEP_4)
	v_bfi_b32 v6, 0x7fffffff, v6, v9
	v_dual_cndmask_b32 v29, v29, v33 :: v_dual_cndmask_b32 v28, v28, v32
	v_cmp_eq_f64_e32 vcc_lo, 0, v[8:9]
	v_dual_cndmask_b32 v30, v30, v34, s0 :: v_dual_cndmask_b32 v21, v31, v35, s0
	v_cmp_nge_f64_e64 s0, 0, v[32:33]
	v_add_f64_e32 v[28:29], 1.0, v[28:29]
	s_delay_alu instid0(VALU_DEP_3) | instskip(SKIP_1) | instid1(VALU_DEP_3)
	v_dual_cndmask_b32 v30, v30, v37 :: v_dual_cndmask_b32 v7, v21, v7
	v_cmp_ngt_f64_e32 vcc_lo, 0, v[32:33]
	v_cndmask_b32_e64 v28, 0, v28, s0
	v_cmp_neq_f64_e64 s0, 0, v[32:33]
	v_cndmask_b32_e32 v21, 0x7ff80000, v29, vcc_lo
	s_and_b32 vcc_lo, s3, s1
	v_dual_cndmask_b32 v31, v7, v6 :: v_dual_cndmask_b32 v30, v30, v36
	s_delay_alu instid0(VALU_DEP_2)
	v_cndmask_b32_e64 v29, 0xfff00000, v21, s0
.LBB185_189:                            ;   in Loop: Header=BB185_162 Depth=1
	s_or_b32 exec_lo, exec_lo, s2
.LBB185_190:                            ;   in Loop: Header=BB185_162 Depth=1
	s_and_not1_saveexec_b32 s0, s33
	s_cbranch_execz .LBB185_196
; %bb.191:                              ;   in Loop: Header=BB185_162 Depth=1
	v_cmp_ngt_f64_e64 s1, 0x20000000, |v[6:7]|
	v_cmp_ngt_f64_e64 s2, 0x20000000, |v[8:9]|
                                        ; implicit-def: $vgpr32_vgpr33
	s_or_b32 s1, s1, s2
	s_delay_alu instid0(SALU_CYCLE_1) | instskip(NEXT) | instid1(SALU_CYCLE_1)
	s_and_saveexec_b32 s2, s1
	s_xor_b32 s1, exec_lo, s2
	s_cbranch_execz .LBB185_193
; %bb.192:                              ;   in Loop: Header=BB185_162 Depth=1
	v_mul_f64_e32 v[32:33], v[8:9], v[8:9]
	s_delay_alu instid0(VALU_DEP_1)
	v_fmac_f64_e32 v[32:33], v[6:7], v[6:7]
.LBB185_193:                            ;   in Loop: Header=BB185_162 Depth=1
	s_and_not1_saveexec_b32 s1, s1
	s_cbranch_execz .LBB185_195
; %bb.194:                              ;   in Loop: Header=BB185_162 Depth=1
	v_mul_f64_e32 v[28:29], 4.0, v[8:9]
	v_mul_f64_e32 v[6:7], 4.0, v[6:7]
	s_delay_alu instid0(VALU_DEP_2) | instskip(NEXT) | instid1(VALU_DEP_1)
	v_mul_f64_e32 v[28:29], v[28:29], v[28:29]
	v_fmac_f64_e32 v[28:29], v[6:7], v[6:7]
	s_delay_alu instid0(VALU_DEP_1)
	v_ldexp_f64 v[32:33], v[28:29], -4
.LBB185_195:                            ;   in Loop: Header=BB185_162 Depth=1
	s_or_b32 exec_lo, exec_lo, s1
	s_delay_alu instid0(VALU_DEP_1) | instskip(NEXT) | instid1(VALU_DEP_1)
	v_frexp_mant_f64_e32 v[6:7], v[32:33]
	v_cmp_gt_f64_e32 vcc_lo, s[20:21], v[6:7]
	v_cndmask_b32_e64 v8, 0, 1, vcc_lo
	s_delay_alu instid0(VALU_DEP_1) | instskip(SKIP_1) | instid1(VALU_DEP_1)
	v_ldexp_f64 v[6:7], v[6:7], v8
	v_frexp_exp_i32_f64_e32 v8, v[32:33]
	v_subrev_co_ci_u32_e64 v8, null, 0, v8, vcc_lo
	v_cmp_class_f64_e64 vcc_lo, v[32:33], 0x204
	s_delay_alu instid0(VALU_DEP_4) | instskip(SKIP_1) | instid1(VALU_DEP_2)
	v_add_f64_e32 v[28:29], 1.0, v[6:7]
	v_add_f64_e32 v[36:37], -1.0, v[6:7]
	v_rcp_f64_e32 v[30:31], v[28:29]
	v_add_f64_e32 v[38:39], -1.0, v[28:29]
	s_delay_alu instid0(VALU_DEP_1) | instskip(NEXT) | instid1(TRANS32_DEP_1)
	v_add_f64_e64 v[6:7], v[6:7], -v[38:39]
	v_fma_f64 v[34:35], -v[28:29], v[30:31], 1.0
	s_delay_alu instid0(VALU_DEP_1) | instskip(NEXT) | instid1(VALU_DEP_1)
	v_fmac_f64_e32 v[30:31], v[34:35], v[30:31]
	v_fma_f64 v[34:35], -v[28:29], v[30:31], 1.0
	s_delay_alu instid0(VALU_DEP_1) | instskip(NEXT) | instid1(VALU_DEP_1)
	v_fmac_f64_e32 v[30:31], v[34:35], v[30:31]
	v_mul_f64_e32 v[34:35], v[36:37], v[30:31]
	s_delay_alu instid0(VALU_DEP_1) | instskip(NEXT) | instid1(VALU_DEP_1)
	v_mul_f64_e32 v[40:41], v[28:29], v[34:35]
	v_fma_f64 v[28:29], v[34:35], v[28:29], -v[40:41]
	s_delay_alu instid0(VALU_DEP_1) | instskip(NEXT) | instid1(VALU_DEP_1)
	v_fmac_f64_e32 v[28:29], v[34:35], v[6:7]
	v_add_f64_e32 v[6:7], v[40:41], v[28:29]
	s_delay_alu instid0(VALU_DEP_1) | instskip(SKIP_1) | instid1(VALU_DEP_2)
	v_add_f64_e64 v[38:39], v[36:37], -v[6:7]
	v_add_f64_e64 v[40:41], v[6:7], -v[40:41]
	;; [unrolled: 1-line block ×3, first 2 shown]
	s_delay_alu instid0(VALU_DEP_2) | instskip(NEXT) | instid1(VALU_DEP_2)
	v_add_f64_e64 v[28:29], v[40:41], -v[28:29]
	v_add_f64_e64 v[6:7], v[36:37], -v[6:7]
	s_delay_alu instid0(VALU_DEP_1) | instskip(NEXT) | instid1(VALU_DEP_1)
	v_add_f64_e32 v[6:7], v[28:29], v[6:7]
	v_add_f64_e32 v[6:7], v[38:39], v[6:7]
	s_delay_alu instid0(VALU_DEP_1) | instskip(NEXT) | instid1(VALU_DEP_1)
	v_mul_f64_e32 v[6:7], v[30:31], v[6:7]
	v_add_f64_e32 v[28:29], v[34:35], v[6:7]
	s_delay_alu instid0(VALU_DEP_1) | instskip(NEXT) | instid1(VALU_DEP_1)
	v_mul_f64_e32 v[30:31], v[28:29], v[28:29]
	v_fmamk_f64 v[36:37], v[30:31], 0x3fc3ab76bf559e2b, v[22:23]
	v_mul_f64_e32 v[38:39], v[28:29], v[30:31]
	s_delay_alu instid0(VALU_DEP_2) | instskip(NEXT) | instid1(VALU_DEP_1)
	v_fmaak_f64 v[36:37], v[30:31], v[36:37], 0x3fc7474dd7f4df2e
	v_fmaak_f64 v[36:37], v[30:31], v[36:37], 0x3fcc71c016291751
	s_delay_alu instid0(VALU_DEP_1) | instskip(NEXT) | instid1(VALU_DEP_1)
	v_fmaak_f64 v[36:37], v[30:31], v[36:37], 0x3fd249249b27acf1
	v_fmaak_f64 v[36:37], v[30:31], v[36:37], 0x3fd99999998ef7b6
	s_delay_alu instid0(VALU_DEP_1) | instskip(SKIP_2) | instid1(VALU_DEP_3)
	v_fmaak_f64 v[30:31], v[30:31], v[36:37], 0x3fe5555555555780
	v_ldexp_f64 v[36:37], v[28:29], 1
	v_add_f64_e64 v[28:29], v[28:29], -v[34:35]
	v_mul_f64_e32 v[30:31], v[38:39], v[30:31]
	v_cvt_f64_i32_e32 v[38:39], v8
	s_delay_alu instid0(VALU_DEP_3) | instskip(NEXT) | instid1(VALU_DEP_3)
	v_add_f64_e64 v[6:7], v[6:7], -v[28:29]
	v_add_f64_e32 v[34:35], v[36:37], v[30:31]
	s_delay_alu instid0(VALU_DEP_3) | instskip(NEXT) | instid1(VALU_DEP_3)
	v_mul_f64_e32 v[40:41], 0x3fe62e42fefa39ef, v[38:39]
	v_ldexp_f64 v[6:7], v[6:7], 1
	s_delay_alu instid0(VALU_DEP_3) | instskip(NEXT) | instid1(VALU_DEP_3)
	v_add_f64_e64 v[28:29], v[34:35], -v[36:37]
	v_fma_f64 v[36:37], v[38:39], s[22:23], -v[40:41]
	s_delay_alu instid0(VALU_DEP_2) | instskip(NEXT) | instid1(VALU_DEP_2)
	v_add_f64_e64 v[28:29], v[30:31], -v[28:29]
	v_fmac_f64_e32 v[36:37], 0x3c7abc9e3b39803f, v[38:39]
	s_delay_alu instid0(VALU_DEP_2) | instskip(NEXT) | instid1(VALU_DEP_2)
	v_add_f64_e32 v[6:7], v[6:7], v[28:29]
	v_add_f64_e32 v[28:29], v[40:41], v[36:37]
	s_delay_alu instid0(VALU_DEP_2) | instskip(NEXT) | instid1(VALU_DEP_2)
	v_add_f64_e32 v[30:31], v[34:35], v[6:7]
	v_add_f64_e64 v[40:41], v[28:29], -v[40:41]
	s_delay_alu instid0(VALU_DEP_2) | instskip(SKIP_1) | instid1(VALU_DEP_3)
	v_add_f64_e32 v[38:39], v[28:29], v[30:31]
	v_add_f64_e64 v[34:35], v[30:31], -v[34:35]
	v_add_f64_e64 v[36:37], v[36:37], -v[40:41]
	s_delay_alu instid0(VALU_DEP_3) | instskip(NEXT) | instid1(VALU_DEP_3)
	v_add_f64_e64 v[42:43], v[38:39], -v[28:29]
	v_add_f64_e64 v[6:7], v[6:7], -v[34:35]
	s_delay_alu instid0(VALU_DEP_2) | instskip(SKIP_1) | instid1(VALU_DEP_3)
	v_add_f64_e64 v[44:45], v[38:39], -v[42:43]
	v_add_f64_e64 v[30:31], v[30:31], -v[42:43]
	v_add_f64_e32 v[34:35], v[36:37], v[6:7]
	s_delay_alu instid0(VALU_DEP_3) | instskip(NEXT) | instid1(VALU_DEP_1)
	v_add_f64_e64 v[28:29], v[28:29], -v[44:45]
	v_add_f64_e32 v[28:29], v[30:31], v[28:29]
	s_delay_alu instid0(VALU_DEP_3) | instskip(NEXT) | instid1(VALU_DEP_2)
	v_add_f64_e64 v[30:31], v[34:35], -v[36:37]
	v_add_f64_e32 v[28:29], v[34:35], v[28:29]
	s_delay_alu instid0(VALU_DEP_2) | instskip(SKIP_1) | instid1(VALU_DEP_3)
	v_add_f64_e64 v[34:35], v[34:35], -v[30:31]
	v_add_f64_e64 v[6:7], v[6:7], -v[30:31]
	v_add_f64_e32 v[40:41], v[38:39], v[28:29]
	s_delay_alu instid0(VALU_DEP_3) | instskip(NEXT) | instid1(VALU_DEP_2)
	v_add_f64_e64 v[30:31], v[36:37], -v[34:35]
	v_add_f64_e64 v[34:35], v[40:41], -v[38:39]
	s_delay_alu instid0(VALU_DEP_2) | instskip(SKIP_1) | instid1(VALU_DEP_3)
	v_add_f64_e32 v[6:7], v[6:7], v[30:31]
	v_mov_b64_e32 v[30:31], 0x7ff8000000000000
	v_add_f64_e64 v[28:29], v[28:29], -v[34:35]
	s_delay_alu instid0(VALU_DEP_1) | instskip(NEXT) | instid1(VALU_DEP_1)
	v_add_f64_e32 v[6:7], v[6:7], v[28:29]
	v_add_f64_e32 v[6:7], v[40:41], v[6:7]
	s_delay_alu instid0(VALU_DEP_1) | instskip(SKIP_1) | instid1(VALU_DEP_2)
	v_dual_cndmask_b32 v6, v6, v32 :: v_dual_cndmask_b32 v7, v7, v33
	v_cmp_ngt_f64_e32 vcc_lo, 0, v[32:33]
	v_cndmask_b32_e32 v7, 0x7ff80000, v7, vcc_lo
	v_cmp_nge_f64_e32 vcc_lo, 0, v[32:33]
	s_delay_alu instid0(VALU_DEP_4) | instskip(SKIP_1) | instid1(VALU_DEP_4)
	v_cndmask_b32_e32 v28, 0, v6, vcc_lo
	v_cmp_neq_f64_e32 vcc_lo, 0, v[32:33]
	v_cndmask_b32_e32 v29, 0xfff00000, v7, vcc_lo
.LBB185_196:                            ;   in Loop: Header=BB185_162 Depth=1
	s_or_b32 exec_lo, exec_lo, s0
                                        ; implicit-def: $vgpr6_vgpr7
                                        ; implicit-def: $vgpr32_vgpr33
	s_delay_alu instid0(SALU_CYCLE_1)
	s_mov_b32 s0, exec_lo
	s_wait_loadcnt 0x2
	v_cmpx_o_f64_e32 v[10:11], v[12:13]
	s_xor_b32 s33, exec_lo, s0
	s_cbranch_execz .LBB185_224
; %bb.197:                              ;   in Loop: Header=BB185_162 Depth=1
	v_cmp_lt_f64_e64 s0, |v[10:11]|, |v[12:13]|
	v_and_b32_e32 v34, 0x7fffffff, v11
	v_and_b32_e32 v21, 0x7fffffff, v13
                                        ; implicit-def: $vgpr6_vgpr7
                                        ; implicit-def: $vgpr32_vgpr33
	s_mov_b32 s1, exec_lo
	s_delay_alu instid0(VALU_DEP_1) | instskip(SKIP_1) | instid1(VALU_DEP_1)
	v_dual_mov_b32 v8, v12 :: v_dual_cndmask_b32 v37, v21, v34, s0
	v_cndmask_b32_e64 v36, v12, v10, s0
	v_cmpx_nlt_f64_e32 s[12:13], v[36:37]
	s_xor_b32 s40, exec_lo, s1
	s_cbranch_execz .LBB185_221
; %bb.198:                              ;   in Loop: Header=BB185_162 Depth=1
	v_cndmask_b32_e64 v39, v34, v21, s0
	v_cndmask_b32_e64 v38, v10, v8, s0
                                        ; implicit-def: $vgpr6_vgpr7
                                        ; implicit-def: $vgpr32_vgpr33
	s_mov_b32 s1, exec_lo
	s_delay_alu instid0(VALU_DEP_1)
	v_cmpx_neq_f64_e32 1.0, v[38:39]
	s_xor_b32 s41, exec_lo, s1
	s_cbranch_execz .LBB185_214
; %bb.199:                              ;   in Loop: Header=BB185_162 Depth=1
	v_max_num_f64_e32 v[6:7], v[36:37], v[36:37]
	v_max_num_f64_e32 v[32:33], v[38:39], v[38:39]
	s_delay_alu instid0(VALU_DEP_1) | instskip(SKIP_1) | instid1(VALU_DEP_2)
	v_min_num_f64_e32 v[34:35], v[32:33], v[6:7]
	v_max_num_f64_e32 v[6:7], v[32:33], v[6:7]
                                        ; implicit-def: $vgpr32_vgpr33
	v_cmp_ngt_f64_e32 vcc_lo, s[14:15], v[34:35]
	s_delay_alu instid0(VALU_DEP_2) | instskip(SKIP_1) | instid1(SALU_CYCLE_1)
	v_cmp_nlt_f64_e64 s1, s[16:17], v[6:7]
                                        ; implicit-def: $vgpr6_vgpr7
	s_and_b32 s1, s1, vcc_lo
	s_and_saveexec_b32 s2, s1
	s_delay_alu instid0(SALU_CYCLE_1)
	s_xor_b32 s42, exec_lo, s2
	s_cbranch_execz .LBB185_211
; %bb.200:                              ;   in Loop: Header=BB185_162 Depth=1
                                        ; implicit-def: $vgpr6_vgpr7
                                        ; implicit-def: $vgpr32_vgpr33
	s_mov_b32 s1, exec_lo
	v_cmpx_le_f64_e32 1.0, v[38:39]
	s_xor_b32 s4, exec_lo, s1
	s_cbranch_execz .LBB185_202
; %bb.201:                              ;   in Loop: Header=BB185_162 Depth=1
	v_add_f64_e32 v[6:7], -1.0, v[38:39]
	v_cmp_eq_f64_e64 s1, 0, v[12:13]
	v_add_f64_e32 v[32:33], 1.0, v[38:39]
	v_cmp_class_f64_e64 s6, v[10:11], 0x204
	v_cmp_class_f64_e64 s5, v[12:13], 0x204
	s_delay_alu instid0(VALU_DEP_3) | instskip(NEXT) | instid1(VALU_DEP_1)
	v_mul_f64_e32 v[34:35], v[6:7], v[32:33]
	v_fmac_f64_e32 v[34:35], v[36:37], v[36:37]
	s_delay_alu instid0(VALU_DEP_1) | instskip(SKIP_2) | instid1(VALU_DEP_3)
	v_add_f64_e32 v[6:7], 1.0, v[34:35]
	v_cmp_nge_f64_e64 s2, -1.0, v[34:35]
	v_cmp_neq_f64_e64 s3, 0x7ff00000, v[34:35]
	v_frexp_mant_f64_e32 v[32:33], v[6:7]
	v_frexp_exp_i32_f64_e32 v8, v[6:7]
	v_add_f64_e32 v[36:37], -1.0, v[6:7]
	s_delay_alu instid0(VALU_DEP_3) | instskip(NEXT) | instid1(VALU_DEP_2)
	v_cmp_gt_f64_e32 vcc_lo, s[20:21], v[32:33]
	v_add_f64_e64 v[32:33], v[36:37], -v[6:7]
	v_add_f64_e64 v[36:37], v[34:35], -v[36:37]
	v_subrev_co_ci_u32_e64 v8, null, 0, v8, vcc_lo
	s_delay_alu instid0(VALU_DEP_3) | instskip(NEXT) | instid1(VALU_DEP_2)
	v_add_f64_e32 v[32:33], 1.0, v[32:33]
	v_sub_nc_u32_e32 v21, 0, v8
	s_delay_alu instid0(VALU_DEP_1) | instskip(NEXT) | instid1(VALU_DEP_3)
	v_ldexp_f64 v[6:7], v[6:7], v21
	v_add_f64_e32 v[32:33], v[36:37], v[32:33]
	s_delay_alu instid0(VALU_DEP_2) | instskip(SKIP_1) | instid1(VALU_DEP_3)
	v_add_f64_e32 v[38:39], 1.0, v[6:7]
	v_add_f64_e32 v[44:45], -1.0, v[6:7]
	v_ldexp_f64 v[32:33], v[32:33], v21
	s_delay_alu instid0(VALU_DEP_3) | instskip(NEXT) | instid1(VALU_DEP_3)
	v_add_f64_e32 v[36:37], -1.0, v[38:39]
	v_add_f64_e32 v[46:47], 1.0, v[44:45]
	s_delay_alu instid0(VALU_DEP_2) | instskip(NEXT) | instid1(VALU_DEP_2)
	v_add_f64_e64 v[36:37], v[6:7], -v[36:37]
	v_add_f64_e64 v[6:7], v[6:7], -v[46:47]
	s_delay_alu instid0(VALU_DEP_2) | instskip(NEXT) | instid1(VALU_DEP_2)
	v_add_f64_e32 v[36:37], v[32:33], v[36:37]
	v_add_f64_e32 v[6:7], v[32:33], v[6:7]
	s_delay_alu instid0(VALU_DEP_2) | instskip(NEXT) | instid1(VALU_DEP_2)
	v_add_f64_e32 v[40:41], v[38:39], v[36:37]
	v_add_f64_e32 v[46:47], v[44:45], v[6:7]
	s_delay_alu instid0(VALU_DEP_2) | instskip(SKIP_1) | instid1(VALU_DEP_2)
	v_rcp_f64_e32 v[42:43], v[40:41]
	v_add_f64_e64 v[38:39], v[40:41], -v[38:39]
	v_add_f64_e64 v[44:45], v[46:47], -v[44:45]
	s_delay_alu instid0(VALU_DEP_2) | instskip(NEXT) | instid1(VALU_DEP_2)
	v_add_f64_e64 v[36:37], v[36:37], -v[38:39]
	v_add_f64_e64 v[6:7], v[6:7], -v[44:45]
	s_delay_alu instid0(TRANS32_DEP_1) | instskip(NEXT) | instid1(VALU_DEP_1)
	v_fma_f64 v[48:49], -v[40:41], v[42:43], 1.0
	v_fmac_f64_e32 v[42:43], v[48:49], v[42:43]
	s_delay_alu instid0(VALU_DEP_1) | instskip(NEXT) | instid1(VALU_DEP_1)
	v_fma_f64 v[32:33], -v[40:41], v[42:43], 1.0
	v_fmac_f64_e32 v[42:43], v[32:33], v[42:43]
	s_delay_alu instid0(VALU_DEP_1) | instskip(NEXT) | instid1(VALU_DEP_1)
	v_mul_f64_e32 v[32:33], v[46:47], v[42:43]
	v_mul_f64_e32 v[48:49], v[40:41], v[32:33]
	s_delay_alu instid0(VALU_DEP_1) | instskip(NEXT) | instid1(VALU_DEP_1)
	v_fma_f64 v[38:39], v[32:33], v[40:41], -v[48:49]
	v_fmac_f64_e32 v[38:39], v[32:33], v[36:37]
	s_delay_alu instid0(VALU_DEP_1) | instskip(NEXT) | instid1(VALU_DEP_1)
	v_add_f64_e32 v[50:51], v[48:49], v[38:39]
	v_add_f64_e64 v[52:53], v[46:47], -v[50:51]
	v_add_f64_e64 v[44:45], v[50:51], -v[48:49]
	s_delay_alu instid0(VALU_DEP_2) | instskip(NEXT) | instid1(VALU_DEP_2)
	v_add_f64_e64 v[46:47], v[46:47], -v[52:53]
	v_add_f64_e64 v[38:39], v[44:45], -v[38:39]
	s_delay_alu instid0(VALU_DEP_2) | instskip(NEXT) | instid1(VALU_DEP_1)
	v_add_f64_e64 v[46:47], v[46:47], -v[50:51]
	v_add_f64_e32 v[6:7], v[6:7], v[46:47]
	s_delay_alu instid0(VALU_DEP_1) | instskip(NEXT) | instid1(VALU_DEP_1)
	v_add_f64_e32 v[6:7], v[38:39], v[6:7]
	v_add_f64_e32 v[38:39], v[52:53], v[6:7]
	s_delay_alu instid0(VALU_DEP_1) | instskip(SKIP_1) | instid1(VALU_DEP_2)
	v_mul_f64_e32 v[44:45], v[42:43], v[38:39]
	v_add_f64_e64 v[50:51], v[52:53], -v[38:39]
	v_mul_f64_e32 v[46:47], v[40:41], v[44:45]
	s_delay_alu instid0(VALU_DEP_2) | instskip(NEXT) | instid1(VALU_DEP_2)
	v_add_f64_e32 v[6:7], v[6:7], v[50:51]
	v_fma_f64 v[40:41], v[44:45], v[40:41], -v[46:47]
	s_delay_alu instid0(VALU_DEP_1) | instskip(NEXT) | instid1(VALU_DEP_1)
	v_fmac_f64_e32 v[40:41], v[44:45], v[36:37]
	v_add_f64_e32 v[36:37], v[46:47], v[40:41]
	s_delay_alu instid0(VALU_DEP_1) | instskip(SKIP_1) | instid1(VALU_DEP_2)
	v_add_f64_e64 v[48:49], v[38:39], -v[36:37]
	v_add_f64_e64 v[46:47], v[36:37], -v[46:47]
	;; [unrolled: 1-line block ×3, first 2 shown]
	s_delay_alu instid0(VALU_DEP_1) | instskip(NEXT) | instid1(VALU_DEP_3)
	v_add_f64_e64 v[36:37], v[38:39], -v[36:37]
	v_add_f64_e64 v[38:39], v[46:47], -v[40:41]
	v_max_num_f64_e64 v[40:41], |v[10:11]|, |v[10:11]|
	s_delay_alu instid0(VALU_DEP_3) | instskip(SKIP_1) | instid1(VALU_DEP_2)
	v_add_f64_e32 v[6:7], v[6:7], v[36:37]
	v_add_f64_e32 v[36:37], v[32:33], v[44:45]
	;; [unrolled: 1-line block ×3, first 2 shown]
	s_delay_alu instid0(VALU_DEP_2) | instskip(SKIP_1) | instid1(VALU_DEP_3)
	v_add_f64_e64 v[32:33], v[36:37], -v[32:33]
	v_max_num_f64_e64 v[38:39], |v[12:13]|, |v[12:13]|
	v_add_f64_e32 v[6:7], v[48:49], v[6:7]
	s_delay_alu instid0(VALU_DEP_3) | instskip(NEXT) | instid1(VALU_DEP_2)
	v_add_f64_e64 v[32:33], v[44:45], -v[32:33]
	v_mul_f64_e32 v[6:7], v[42:43], v[6:7]
	s_delay_alu instid0(VALU_DEP_1) | instskip(SKIP_2) | instid1(VALU_DEP_3)
	v_add_f64_e32 v[6:7], v[32:33], v[6:7]
	v_max_num_f64_e32 v[32:33], v[40:41], v[38:39]
	v_min_num_f64_e32 v[38:39], v[40:41], v[38:39]
	v_add_f64_e32 v[40:41], v[36:37], v[6:7]
	s_delay_alu instid0(VALU_DEP_2) | instskip(NEXT) | instid1(VALU_DEP_2)
	v_div_scale_f64 v[42:43], null, v[32:33], v[32:33], v[38:39]
	v_mul_f64_e32 v[44:45], v[40:41], v[40:41]
	v_add_f64_e64 v[36:37], v[40:41], -v[36:37]
	s_delay_alu instid0(VALU_DEP_3) | instskip(NEXT) | instid1(VALU_DEP_2)
	v_rcp_f64_e32 v[46:47], v[42:43]
	v_fmamk_f64 v[48:49], v[44:45], 0x3fc3ab76bf559e2b, v[22:23]
	v_mul_f64_e32 v[50:51], v[40:41], v[44:45]
	s_delay_alu instid0(VALU_DEP_3) | instskip(NEXT) | instid1(VALU_DEP_3)
	v_add_f64_e64 v[6:7], v[6:7], -v[36:37]
	v_fmaak_f64 v[48:49], v[44:45], v[48:49], 0x3fc7474dd7f4df2e
	s_delay_alu instid0(TRANS32_DEP_1) | instskip(NEXT) | instid1(VALU_DEP_2)
	v_fma_f64 v[52:53], -v[42:43], v[46:47], 1.0
	v_fmaak_f64 v[48:49], v[44:45], v[48:49], 0x3fcc71c016291751
	s_delay_alu instid0(VALU_DEP_1) | instskip(NEXT) | instid1(VALU_DEP_1)
	v_fmaak_f64 v[48:49], v[44:45], v[48:49], 0x3fd249249b27acf1
	v_fmaak_f64 v[48:49], v[44:45], v[48:49], 0x3fd99999998ef7b6
	v_ldexp_f64 v[6:7], v[6:7], 1
	s_delay_alu instid0(VALU_DEP_2) | instskip(SKIP_2) | instid1(VALU_DEP_3)
	v_fmaak_f64 v[44:45], v[44:45], v[48:49], 0x3fe5555555555780
	v_ldexp_f64 v[48:49], v[40:41], 1
	v_fmac_f64_e32 v[46:47], v[46:47], v[52:53]
	v_mul_f64_e32 v[44:45], v[50:51], v[44:45]
	v_cvt_f64_i32_e32 v[50:51], v8
	v_ashrrev_i32_e32 v8, 31, v11
	s_delay_alu instid0(VALU_DEP_4) | instskip(NEXT) | instid1(VALU_DEP_4)
	v_fma_f64 v[52:53], -v[42:43], v[46:47], 1.0
	v_add_f64_e32 v[40:41], v[48:49], v[44:45]
	s_delay_alu instid0(VALU_DEP_4) | instskip(NEXT) | instid1(VALU_DEP_3)
	v_mul_f64_e32 v[54:55], 0x3fe62e42fefa39ef, v[50:51]
	v_fmac_f64_e32 v[46:47], v[46:47], v[52:53]
	s_delay_alu instid0(VALU_DEP_3) | instskip(SKIP_1) | instid1(VALU_DEP_4)
	v_add_f64_e64 v[36:37], v[40:41], -v[48:49]
	v_div_scale_f64 v[48:49], vcc_lo, v[38:39], v[32:33], v[38:39]
	v_fma_f64 v[52:53], v[50:51], s[22:23], -v[54:55]
	s_delay_alu instid0(VALU_DEP_3) | instskip(NEXT) | instid1(VALU_DEP_3)
	v_add_f64_e64 v[36:37], v[44:45], -v[36:37]
	v_mul_f64_e32 v[44:45], v[48:49], v[46:47]
	s_delay_alu instid0(VALU_DEP_3) | instskip(NEXT) | instid1(VALU_DEP_3)
	v_fmac_f64_e32 v[52:53], 0x3c7abc9e3b39803f, v[50:51]
	v_add_f64_e32 v[6:7], v[6:7], v[36:37]
	s_delay_alu instid0(VALU_DEP_3) | instskip(NEXT) | instid1(VALU_DEP_3)
	v_fma_f64 v[36:37], -v[42:43], v[44:45], v[48:49]
	v_add_f64_e32 v[42:43], v[54:55], v[52:53]
	s_delay_alu instid0(VALU_DEP_3) | instskip(NEXT) | instid1(VALU_DEP_3)
	v_add_f64_e32 v[48:49], v[40:41], v[6:7]
	v_div_fmas_f64 v[36:37], v[36:37], v[46:47], v[44:45]
	v_cmp_gt_i32_e32 vcc_lo, 0, v11
	s_delay_alu instid0(VALU_DEP_4) | instskip(SKIP_2) | instid1(VALU_DEP_1)
	v_add_f64_e64 v[46:47], v[42:43], -v[54:55]
	v_cndmask_b32_e32 v21, 0x54442d18, v60, vcc_lo
	v_cndmask_b32_e32 v10, 0x3fe921fb, v61, vcc_lo
	v_bfi_b32 v10, 0x7fffffff, v10, v13
	v_add_f64_e32 v[44:45], v[42:43], v[48:49]
	v_div_fixup_f64 v[32:33], v[36:37], v[32:33], v[38:39]
	v_add_f64_e64 v[40:41], v[48:49], -v[40:41]
	v_add_f64_e64 v[46:47], v[52:53], -v[46:47]
	s_delay_alu instid0(VALU_DEP_4) | instskip(NEXT) | instid1(VALU_DEP_4)
	v_add_f64_e64 v[36:37], v[44:45], -v[42:43]
	v_mul_f64_e32 v[38:39], v[32:33], v[32:33]
	s_delay_alu instid0(VALU_DEP_4) | instskip(NEXT) | instid1(VALU_DEP_3)
	v_add_f64_e64 v[6:7], v[6:7], -v[40:41]
	v_add_f64_e64 v[50:51], v[44:45], -v[36:37]
	s_delay_alu instid0(VALU_DEP_3) | instskip(SKIP_1) | instid1(VALU_DEP_4)
	v_fmamk_f64 v[54:55], v[38:39], 0x3eeba404b5e68a13, v[24:25]
	v_add_f64_e64 v[36:37], v[48:49], -v[36:37]
	v_add_f64_e32 v[48:49], v[46:47], v[6:7]
	s_delay_alu instid0(VALU_DEP_3) | instskip(SKIP_1) | instid1(VALU_DEP_2)
	v_fmaak_f64 v[54:55], v[38:39], v[54:55], 0x3f4b2bb069efb384
	v_add_f64_e64 v[40:41], v[42:43], -v[50:51]
	v_fmaak_f64 v[42:43], v[38:39], v[54:55], 0xbf67952daf56de9b
	s_delay_alu instid0(VALU_DEP_1) | instskip(NEXT) | instid1(VALU_DEP_1)
	v_fmaak_f64 v[42:43], v[38:39], v[42:43], 0x3f7d6d43a595c56f
	v_fmaak_f64 v[42:43], v[38:39], v[42:43], 0xbf8c6ea4a57d9582
	s_delay_alu instid0(VALU_DEP_1) | instskip(NEXT) | instid1(VALU_DEP_1)
	v_fmaak_f64 v[42:43], v[38:39], v[42:43], 0x3f967e295f08b19f
	v_fmaak_f64 v[42:43], v[38:39], v[42:43], 0xbf9e9ae6fc27006a
	v_add_f64_e32 v[36:37], v[36:37], v[40:41]
	s_delay_alu instid0(VALU_DEP_2) | instskip(SKIP_1) | instid1(VALU_DEP_2)
	v_fmaak_f64 v[40:41], v[38:39], v[42:43], 0x3fa2c15b5711927a
	v_add_f64_e64 v[42:43], v[48:49], -v[46:47]
	v_fmaak_f64 v[40:41], v[38:39], v[40:41], 0xbfa59976e82d3ff0
	s_delay_alu instid0(VALU_DEP_1) | instskip(NEXT) | instid1(VALU_DEP_1)
	v_fmaak_f64 v[40:41], v[38:39], v[40:41], 0x3fa82d5d6ef28734
	v_fmaak_f64 v[40:41], v[38:39], v[40:41], 0xbfaae5ce6a214619
	s_delay_alu instid0(VALU_DEP_1) | instskip(SKIP_3) | instid1(VALU_DEP_4)
	v_fmaak_f64 v[40:41], v[38:39], v[40:41], 0x3fae1bb48427b883
	v_add_f64_e32 v[36:37], v[48:49], v[36:37]
	v_add_f64_e64 v[48:49], v[48:49], -v[42:43]
	v_add_f64_e64 v[6:7], v[6:7], -v[42:43]
	v_fmaak_f64 v[40:41], v[38:39], v[40:41], 0xbfb110e48b207f05
	s_delay_alu instid0(VALU_DEP_1) | instskip(NEXT) | instid1(VALU_DEP_1)
	v_fmaak_f64 v[40:41], v[38:39], v[40:41], 0x3fb3b13657b87036
	v_fmaak_f64 v[40:41], v[38:39], v[40:41], 0xbfb745d119378e4f
	s_delay_alu instid0(VALU_DEP_1) | instskip(SKIP_1) | instid1(VALU_DEP_2)
	v_fmaak_f64 v[40:41], v[38:39], v[40:41], 0x3fbc71c717e1913c
	v_add_f64_e32 v[50:51], v[44:45], v[36:37]
	v_fmaak_f64 v[40:41], v[38:39], v[40:41], 0xbfc2492492376b7d
	s_delay_alu instid0(VALU_DEP_1) | instskip(NEXT) | instid1(VALU_DEP_1)
	v_fmaak_f64 v[40:41], v[38:39], v[40:41], 0x3fc99999999952cc
	v_fmaak_f64 v[40:41], v[38:39], v[40:41], 0xbfd5555555555523
	s_delay_alu instid0(VALU_DEP_1) | instskip(SKIP_2) | instid1(VALU_DEP_3)
	v_mul_f64_e32 v[38:39], v[38:39], v[40:41]
	v_add_f64_e64 v[40:41], v[46:47], -v[48:49]
	v_add_f64_e64 v[42:43], v[50:51], -v[44:45]
	v_fmac_f64_e32 v[32:33], v[32:33], v[38:39]
	s_delay_alu instid0(VALU_DEP_3) | instskip(NEXT) | instid1(VALU_DEP_3)
	v_add_f64_e32 v[6:7], v[6:7], v[40:41]
	v_add_f64_e64 v[36:37], v[36:37], -v[42:43]
	s_delay_alu instid0(VALU_DEP_3) | instskip(NEXT) | instid1(VALU_DEP_1)
	v_add_f64_e64 v[38:39], -v[32:33], s[24:25]
	v_dual_add_f64 v[6:7], v[6:7], v[36:37] :: v_dual_cndmask_b32 v33, v33, v39, s0
	s_delay_alu instid0(VALU_DEP_2) | instskip(SKIP_2) | instid1(VALU_DEP_3)
	v_cndmask_b32_e64 v32, v32, v38, s0
	v_and_b32_e32 v38, 0x54442d18, v8
	v_and_b32_e32 v8, 0x400921fb, v8
	v_add_f64_e64 v[36:37], -v[32:33], s[26:27]
	s_delay_alu instid0(VALU_DEP_1) | instskip(NEXT) | instid1(VALU_DEP_2)
	v_dual_add_f64 v[6:7], v[50:51], v[6:7] :: v_dual_cndmask_b32 v32, v32, v36, vcc_lo
	v_cndmask_b32_e32 v11, v33, v37, vcc_lo
	v_cmp_ngt_f64_e32 vcc_lo, -1.0, v[34:35]
	s_delay_alu instid0(VALU_DEP_3) | instskip(NEXT) | instid1(VALU_DEP_3)
	v_mul_f64_e32 v[6:7], 0.5, v[6:7]
                                        ; implicit-def: $vgpr36_vgpr37
	v_dual_cndmask_b32 v32, v32, v38, s1 :: v_dual_cndmask_b32 v8, v11, v8, s1
	s_and_b32 s1, s2, s3
                                        ; implicit-def: $vgpr38_vgpr39
	s_delay_alu instid0(VALU_DEP_2) | instid1(SALU_CYCLE_1)
	v_cndmask_b32_e64 v6, 0, v6, s1
	v_cmp_neq_f64_e64 s1, -1.0, v[34:35]
	s_delay_alu instid0(VALU_DEP_4) | instskip(NEXT) | instid1(VALU_DEP_1)
	v_cndmask_b32_e64 v7, 0x7ff00000, v7, s3
	v_cndmask_b32_e32 v7, 0x7ff80000, v7, vcc_lo
	s_and_b32 vcc_lo, s6, s5
	v_cndmask_b32_e32 v33, v8, v10, vcc_lo
	v_cndmask_b32_e32 v32, v32, v21, vcc_lo
	s_delay_alu instid0(VALU_DEP_3)
	v_cndmask_b32_e64 v7, 0xfff00000, v7, s1
.LBB185_202:                            ;   in Loop: Header=BB185_162 Depth=1
	s_and_not1_saveexec_b32 s43, s4
	s_cbranch_execz .LBB185_210
; %bb.203:                              ;   in Loop: Header=BB185_162 Depth=1
	v_mul_f64_e32 v[34:35], v[36:37], v[36:37]
                                        ; implicit-def: $vgpr6_vgpr7
                                        ; implicit-def: $vgpr32_vgpr33
	s_mov_b32 s1, exec_lo
	s_delay_alu instid0(VALU_DEP_1) | instskip(NEXT) | instid1(VALU_DEP_1)
	v_fmac_f64_e32 v[34:35], v[38:39], v[38:39]
	v_cmpx_ge_f64_e32 s[28:29], v[34:35]
	s_xor_b32 s3, exec_lo, s1
	s_cbranch_execz .LBB185_205
; %bb.204:                              ;   in Loop: Header=BB185_162 Depth=1
	v_frexp_mant_f64_e32 v[6:7], v[34:35]
	v_cmp_eq_f64_e64 s1, 0, v[12:13]
	v_cmp_neq_f64_e64 s2, 0, v[34:35]
	v_cmp_class_f64_e64 s4, v[12:13], 0x204
	v_cmp_class_f64_e64 s5, v[10:11], 0x204
	v_cmp_gt_f64_e32 vcc_lo, s[20:21], v[6:7]
	v_cndmask_b32_e64 v8, 0, 1, vcc_lo
	s_delay_alu instid0(VALU_DEP_1) | instskip(SKIP_1) | instid1(VALU_DEP_2)
	v_ldexp_f64 v[6:7], v[6:7], v8
	v_frexp_exp_i32_f64_e32 v8, v[34:35]
	v_add_f64_e32 v[32:33], 1.0, v[6:7]
	v_add_f64_e32 v[40:41], -1.0, v[6:7]
	s_delay_alu instid0(VALU_DEP_3) | instskip(NEXT) | instid1(VALU_DEP_3)
	v_subrev_co_ci_u32_e64 v8, null, 0, v8, vcc_lo
	v_rcp_f64_e32 v[36:37], v[32:33]
	v_add_f64_e32 v[42:43], -1.0, v[32:33]
	s_delay_alu instid0(VALU_DEP_1) | instskip(NEXT) | instid1(TRANS32_DEP_1)
	v_add_f64_e64 v[6:7], v[6:7], -v[42:43]
	v_fma_f64 v[38:39], -v[32:33], v[36:37], 1.0
	s_delay_alu instid0(VALU_DEP_1) | instskip(NEXT) | instid1(VALU_DEP_1)
	v_fmac_f64_e32 v[36:37], v[38:39], v[36:37]
	v_fma_f64 v[38:39], -v[32:33], v[36:37], 1.0
	s_delay_alu instid0(VALU_DEP_1) | instskip(NEXT) | instid1(VALU_DEP_1)
	v_fmac_f64_e32 v[36:37], v[38:39], v[36:37]
	v_mul_f64_e32 v[38:39], v[40:41], v[36:37]
	s_delay_alu instid0(VALU_DEP_1) | instskip(NEXT) | instid1(VALU_DEP_1)
	v_mul_f64_e32 v[44:45], v[32:33], v[38:39]
	v_fma_f64 v[32:33], v[38:39], v[32:33], -v[44:45]
	s_delay_alu instid0(VALU_DEP_1) | instskip(NEXT) | instid1(VALU_DEP_1)
	v_fmac_f64_e32 v[32:33], v[38:39], v[6:7]
	v_add_f64_e32 v[6:7], v[44:45], v[32:33]
	s_delay_alu instid0(VALU_DEP_1) | instskip(SKIP_1) | instid1(VALU_DEP_2)
	v_add_f64_e64 v[42:43], v[40:41], -v[6:7]
	v_add_f64_e64 v[44:45], v[6:7], -v[44:45]
	;; [unrolled: 1-line block ×3, first 2 shown]
	s_delay_alu instid0(VALU_DEP_2) | instskip(NEXT) | instid1(VALU_DEP_2)
	v_add_f64_e64 v[32:33], v[44:45], -v[32:33]
	v_add_f64_e64 v[6:7], v[40:41], -v[6:7]
	v_max_num_f64_e64 v[40:41], |v[10:11]|, |v[10:11]|
	s_delay_alu instid0(VALU_DEP_2) | instskip(SKIP_1) | instid1(VALU_DEP_2)
	v_add_f64_e32 v[6:7], v[32:33], v[6:7]
	v_max_num_f64_e64 v[32:33], |v[12:13]|, |v[12:13]|
	v_add_f64_e32 v[6:7], v[42:43], v[6:7]
	s_delay_alu instid0(VALU_DEP_1) | instskip(NEXT) | instid1(VALU_DEP_3)
	v_mul_f64_e32 v[6:7], v[36:37], v[6:7]
	v_max_num_f64_e32 v[36:37], v[40:41], v[32:33]
	v_min_num_f64_e32 v[32:33], v[40:41], v[32:33]
	s_delay_alu instid0(VALU_DEP_3) | instskip(NEXT) | instid1(VALU_DEP_2)
	v_add_f64_e32 v[40:41], v[38:39], v[6:7]
	v_div_scale_f64 v[42:43], null, v[36:37], v[36:37], v[32:33]
	s_delay_alu instid0(VALU_DEP_2) | instskip(NEXT) | instid1(VALU_DEP_2)
	v_mul_f64_e32 v[44:45], v[40:41], v[40:41]
	v_rcp_f64_e32 v[46:47], v[42:43]
	s_delay_alu instid0(VALU_DEP_1) | instskip(SKIP_1) | instid1(VALU_DEP_2)
	v_fmamk_f64 v[48:49], v[44:45], 0x3fc3ab76bf559e2b, v[22:23]
	v_mul_f64_e32 v[50:51], v[40:41], v[44:45]
	v_fmaak_f64 v[48:49], v[44:45], v[48:49], 0x3fc7474dd7f4df2e
	s_delay_alu instid0(TRANS32_DEP_1) | instskip(NEXT) | instid1(VALU_DEP_2)
	v_fma_f64 v[52:53], -v[42:43], v[46:47], 1.0
	v_fmaak_f64 v[48:49], v[44:45], v[48:49], 0x3fcc71c016291751
	s_delay_alu instid0(VALU_DEP_1) | instskip(NEXT) | instid1(VALU_DEP_1)
	v_fmaak_f64 v[48:49], v[44:45], v[48:49], 0x3fd249249b27acf1
	v_fmaak_f64 v[48:49], v[44:45], v[48:49], 0x3fd99999998ef7b6
	s_delay_alu instid0(VALU_DEP_1) | instskip(SKIP_2) | instid1(VALU_DEP_3)
	v_fmaak_f64 v[44:45], v[44:45], v[48:49], 0x3fe5555555555780
	v_ldexp_f64 v[48:49], v[40:41], 1
	v_fmac_f64_e32 v[46:47], v[46:47], v[52:53]
	v_mul_f64_e32 v[44:45], v[50:51], v[44:45]
	v_cvt_f64_i32_e32 v[50:51], v8
	v_ashrrev_i32_e32 v8, 31, v11
	v_add_f64_e64 v[38:39], v[40:41], -v[38:39]
	v_fma_f64 v[52:53], -v[42:43], v[46:47], 1.0
	v_add_f64_e32 v[40:41], v[48:49], v[44:45]
	v_mul_f64_e32 v[54:55], 0x3fe62e42fefa39ef, v[50:51]
	s_delay_alu instid0(VALU_DEP_4) | instskip(NEXT) | instid1(VALU_DEP_4)
	v_add_f64_e64 v[6:7], v[6:7], -v[38:39]
	v_fmac_f64_e32 v[46:47], v[46:47], v[52:53]
	s_delay_alu instid0(VALU_DEP_4) | instskip(SKIP_3) | instid1(VALU_DEP_4)
	v_add_f64_e64 v[38:39], v[40:41], -v[48:49]
	v_div_scale_f64 v[48:49], vcc_lo, v[32:33], v[36:37], v[32:33]
	v_fma_f64 v[52:53], v[50:51], s[22:23], -v[54:55]
	v_ldexp_f64 v[6:7], v[6:7], 1
	v_add_f64_e64 v[38:39], v[44:45], -v[38:39]
	s_delay_alu instid0(VALU_DEP_4) | instskip(NEXT) | instid1(VALU_DEP_4)
	v_mul_f64_e32 v[44:45], v[48:49], v[46:47]
	v_fmac_f64_e32 v[52:53], 0x3c7abc9e3b39803f, v[50:51]
	s_delay_alu instid0(VALU_DEP_3) | instskip(NEXT) | instid1(VALU_DEP_3)
	v_add_f64_e32 v[6:7], v[6:7], v[38:39]
	v_fma_f64 v[38:39], -v[42:43], v[44:45], v[48:49]
	s_delay_alu instid0(VALU_DEP_3) | instskip(NEXT) | instid1(VALU_DEP_3)
	v_add_f64_e32 v[42:43], v[54:55], v[52:53]
	v_add_f64_e32 v[48:49], v[40:41], v[6:7]
	s_delay_alu instid0(VALU_DEP_3) | instskip(SKIP_1) | instid1(VALU_DEP_4)
	v_div_fmas_f64 v[38:39], v[38:39], v[46:47], v[44:45]
	v_cmp_gt_i32_e32 vcc_lo, 0, v11
	v_add_f64_e64 v[46:47], v[42:43], -v[54:55]
	v_cndmask_b32_e32 v10, 0x3fe921fb, v61, vcc_lo
	v_cndmask_b32_e32 v21, 0x54442d18, v60, vcc_lo
	s_delay_alu instid0(VALU_DEP_2) | instskip(SKIP_4) | instid1(VALU_DEP_4)
	v_bfi_b32 v10, 0x7fffffff, v10, v13
	v_add_f64_e32 v[44:45], v[42:43], v[48:49]
	v_div_fixup_f64 v[32:33], v[38:39], v[36:37], v[32:33]
	v_add_f64_e64 v[40:41], v[48:49], -v[40:41]
	v_add_f64_e64 v[46:47], v[52:53], -v[46:47]
	;; [unrolled: 1-line block ×3, first 2 shown]
	s_delay_alu instid0(VALU_DEP_4) | instskip(NEXT) | instid1(VALU_DEP_4)
	v_mul_f64_e32 v[38:39], v[32:33], v[32:33]
	v_add_f64_e64 v[6:7], v[6:7], -v[40:41]
	s_delay_alu instid0(VALU_DEP_3) | instskip(NEXT) | instid1(VALU_DEP_3)
	v_add_f64_e64 v[50:51], v[44:45], -v[36:37]
	v_fmamk_f64 v[54:55], v[38:39], 0x3eeba404b5e68a13, v[24:25]
	v_add_f64_e64 v[36:37], v[48:49], -v[36:37]
	s_delay_alu instid0(VALU_DEP_4) | instskip(NEXT) | instid1(VALU_DEP_3)
	v_add_f64_e32 v[48:49], v[46:47], v[6:7]
	v_fmaak_f64 v[54:55], v[38:39], v[54:55], 0x3f4b2bb069efb384
	s_delay_alu instid0(VALU_DEP_1) | instskip(SKIP_1) | instid1(VALU_DEP_2)
	v_fmaak_f64 v[54:55], v[38:39], v[54:55], 0xbf67952daf56de9b
	v_add_f64_e64 v[40:41], v[42:43], -v[50:51]
	v_fmaak_f64 v[42:43], v[38:39], v[54:55], 0x3f7d6d43a595c56f
	s_delay_alu instid0(VALU_DEP_1) | instskip(NEXT) | instid1(VALU_DEP_1)
	v_fmaak_f64 v[42:43], v[38:39], v[42:43], 0xbf8c6ea4a57d9582
	v_fmaak_f64 v[42:43], v[38:39], v[42:43], 0x3f967e295f08b19f
	s_delay_alu instid0(VALU_DEP_1) | instskip(NEXT) | instid1(VALU_DEP_1)
	v_fmaak_f64 v[42:43], v[38:39], v[42:43], 0xbf9e9ae6fc27006a
	v_fmaak_f64 v[42:43], v[38:39], v[42:43], 0x3fa2c15b5711927a
	v_add_f64_e32 v[36:37], v[36:37], v[40:41]
	s_delay_alu instid0(VALU_DEP_2) | instskip(SKIP_1) | instid1(VALU_DEP_2)
	v_fmaak_f64 v[40:41], v[38:39], v[42:43], 0xbfa59976e82d3ff0
	v_add_f64_e64 v[42:43], v[48:49], -v[46:47]
	v_fmaak_f64 v[40:41], v[38:39], v[40:41], 0x3fa82d5d6ef28734
	s_delay_alu instid0(VALU_DEP_1) | instskip(NEXT) | instid1(VALU_DEP_1)
	v_fmaak_f64 v[40:41], v[38:39], v[40:41], 0xbfaae5ce6a214619
	v_fmaak_f64 v[40:41], v[38:39], v[40:41], 0x3fae1bb48427b883
	s_delay_alu instid0(VALU_DEP_1) | instskip(SKIP_3) | instid1(VALU_DEP_4)
	v_fmaak_f64 v[40:41], v[38:39], v[40:41], 0xbfb110e48b207f05
	v_add_f64_e32 v[36:37], v[48:49], v[36:37]
	v_add_f64_e64 v[48:49], v[48:49], -v[42:43]
	v_add_f64_e64 v[6:7], v[6:7], -v[42:43]
	v_fmaak_f64 v[40:41], v[38:39], v[40:41], 0x3fb3b13657b87036
	s_delay_alu instid0(VALU_DEP_1) | instskip(NEXT) | instid1(VALU_DEP_1)
	v_fmaak_f64 v[40:41], v[38:39], v[40:41], 0xbfb745d119378e4f
	v_fmaak_f64 v[40:41], v[38:39], v[40:41], 0x3fbc71c717e1913c
	s_delay_alu instid0(VALU_DEP_1) | instskip(SKIP_1) | instid1(VALU_DEP_2)
	v_fmaak_f64 v[40:41], v[38:39], v[40:41], 0xbfc2492492376b7d
	v_add_f64_e32 v[50:51], v[44:45], v[36:37]
	v_fmaak_f64 v[40:41], v[38:39], v[40:41], 0x3fc99999999952cc
	s_delay_alu instid0(VALU_DEP_1) | instskip(NEXT) | instid1(VALU_DEP_1)
	v_fmaak_f64 v[40:41], v[38:39], v[40:41], 0xbfd5555555555523
	v_mul_f64_e32 v[38:39], v[38:39], v[40:41]
	v_add_f64_e64 v[40:41], v[46:47], -v[48:49]
	v_add_f64_e64 v[42:43], v[50:51], -v[44:45]
	s_delay_alu instid0(VALU_DEP_3) | instskip(NEXT) | instid1(VALU_DEP_3)
	v_fmac_f64_e32 v[32:33], v[32:33], v[38:39]
	v_add_f64_e32 v[6:7], v[6:7], v[40:41]
	s_delay_alu instid0(VALU_DEP_3) | instskip(NEXT) | instid1(VALU_DEP_3)
	v_add_f64_e64 v[36:37], v[36:37], -v[42:43]
	v_add_f64_e64 v[38:39], -v[32:33], s[24:25]
	s_delay_alu instid0(VALU_DEP_1) | instskip(NEXT) | instid1(VALU_DEP_2)
	v_dual_add_f64 v[6:7], v[6:7], v[36:37] :: v_dual_cndmask_b32 v33, v33, v39, s0
	v_cndmask_b32_e64 v32, v32, v38, s0
	v_and_b32_e32 v38, 0x54442d18, v8
	v_and_b32_e32 v8, 0x400921fb, v8
	s_delay_alu instid0(VALU_DEP_3) | instskip(NEXT) | instid1(VALU_DEP_1)
	v_add_f64_e64 v[36:37], -v[32:33], s[26:27]
	v_dual_add_f64 v[6:7], v[50:51], v[6:7] :: v_dual_cndmask_b32 v32, v32, v36, vcc_lo
	s_delay_alu instid0(VALU_DEP_2) | instskip(SKIP_1) | instid1(VALU_DEP_1)
	v_cndmask_b32_e32 v11, v33, v37, vcc_lo
	s_and_b32 vcc_lo, s5, s4
                                        ; implicit-def: $vgpr36_vgpr37
	v_dual_cndmask_b32 v32, v32, v38, s1 :: v_dual_cndmask_b32 v8, v11, v8, s1
                                        ; implicit-def: $vgpr38_vgpr39
	s_delay_alu instid0(VALU_DEP_1) | instskip(NEXT) | instid1(VALU_DEP_2)
	v_dual_mul_f64 v[6:7], 0.5, v[6:7] :: v_dual_cndmask_b32 v32, v32, v21, vcc_lo
	v_cndmask_b32_e32 v33, v8, v10, vcc_lo
	s_delay_alu instid0(VALU_DEP_2) | instskip(NEXT) | instid1(VALU_DEP_3)
	v_cndmask_b32_e64 v7, 0xfff00000, v7, s2
	v_cndmask_b32_e64 v6, 0, v6, s2
.LBB185_205:                            ;   in Loop: Header=BB185_162 Depth=1
	s_and_not1_saveexec_b32 s44, s3
	s_cbranch_execz .LBB185_209
; %bb.206:                              ;   in Loop: Header=BB185_162 Depth=1
	v_and_b32_e32 v21, 0x7ffffff8, v39
	v_and_b32_e32 v33, 0x7ffffff8, v37
	v_mov_b32_e32 v32, v20
	s_mov_b32 s45, 0
	s_delay_alu instid0(VALU_DEP_3) | instskip(SKIP_1) | instid1(VALU_DEP_3)
	v_dual_add_f64 v[6:7], v[38:39], -v[20:21] :: v_dual_mov_b32 v40, v20
	v_mov_b32_e32 v38, v20
	v_add_f64_e64 v[34:35], v[36:37], -v[32:33]
	v_add_f64_e32 v[50:51], v[32:33], v[32:33]
	s_delay_alu instid0(VALU_DEP_4) | instskip(NEXT) | instid1(VALU_DEP_3)
	v_dual_mul_f64 v[36:37], v[32:33], v[32:33] :: v_dual_bitop2_b32 v39, -8, v7 bitop3:0x40
	v_dual_add_f64 v[42:43], v[20:21], v[20:21] :: v_dual_bitop2_b32 v41, -8, v35 bitop3:0x40
	s_delay_alu instid0(VALU_DEP_2) | instskip(SKIP_1) | instid1(VALU_DEP_3)
	v_add_f64_e64 v[52:53], v[6:7], -v[38:39]
	v_add_f64_e32 v[56:57], v[38:39], v[38:39]
	v_add_f64_e64 v[54:55], v[34:35], -v[40:41]
	v_add_f64_e32 v[58:59], v[40:41], v[40:41]
	v_mul_f64_e32 v[6:7], v[20:21], v[20:21]
	v_mul_f64_e32 v[34:35], v[50:51], v[40:41]
	;; [unrolled: 1-line block ×11, first 2 shown]
.LBB185_207:                            ;   Parent Loop BB185_162 Depth=1
                                        ; =>  This Inner Loop Header: Depth=2
	v_cmp_nlt_f64_e32 vcc_lo, v[6:7], v[36:37]
	v_dual_cndmask_b32 v55, v7, v37 :: v_dual_cndmask_b32 v54, v6, v36
	v_dual_cndmask_b32 v7, v37, v7 :: v_dual_cndmask_b32 v6, v36, v6
	s_delay_alu instid0(VALU_DEP_2) | instskip(NEXT) | instid1(VALU_DEP_1)
	v_cmp_nlt_f64_e64 s1, v[54:55], v[48:49]
	v_dual_cndmask_b32 v57, v55, v49, s1 :: v_dual_cndmask_b32 v56, v54, v48, s1
	v_dual_cndmask_b32 v37, v49, v55, s1 :: v_dual_cndmask_b32 v36, v48, v54, s1
	s_and_b32 s1, vcc_lo, s1
	s_delay_alu instid0(VALU_DEP_2) | instskip(NEXT) | instid1(VALU_DEP_1)
	v_cmp_nlt_f64_e64 s2, v[56:57], v[34:35]
	v_dual_cndmask_b32 v59, v57, v35, s2 :: v_dual_cndmask_b32 v58, v56, v34, s2
	v_dual_cndmask_b32 v49, v35, v57, s2 :: v_dual_cndmask_b32 v48, v34, v56, s2
	s_delay_alu instid0(VALU_DEP_2) | instskip(NEXT) | instid1(VALU_DEP_1)
	v_cmp_nlt_f64_e64 s3, v[58:59], v[46:47]
	v_dual_cndmask_b32 v63, v59, v47, s3 :: v_dual_cndmask_b32 v62, v58, v46, s3
	v_dual_cndmask_b32 v35, v47, v59, s3 :: v_dual_cndmask_b32 v34, v46, v58, s3
	s_and_b32 s2, s2, s3
	s_delay_alu instid0(VALU_DEP_2) | instskip(NEXT) | instid1(VALU_DEP_1)
	v_cmp_nlt_f64_e64 s4, v[62:63], v[32:33]
	v_dual_cndmask_b32 v65, v63, v33, s4 :: v_dual_cndmask_b32 v64, v62, v32, s4
	v_dual_cndmask_b32 v47, v33, v63, s4 :: v_dual_cndmask_b32 v46, v32, v62, s4
	s_delay_alu instid0(VALU_DEP_2) | instskip(NEXT) | instid1(VALU_DEP_1)
	v_cmp_nlt_f64_e64 s5, v[64:65], v[44:45]
	v_dual_cndmask_b32 v67, v65, v45, s5 :: v_dual_cndmask_b32 v66, v64, v44, s5
	s_and_b32 s3, s4, s5
	v_dual_cndmask_b32 v33, v45, v65, s5 :: v_dual_cndmask_b32 v32, v44, v64, s5
	s_delay_alu instid0(VALU_DEP_2) | instskip(NEXT) | instid1(VALU_DEP_1)
	v_cmp_nlt_f64_e64 s6, v[66:67], v[42:43]
	v_dual_cndmask_b32 v69, v67, v43, s6 :: v_dual_cndmask_b32 v68, v66, v42, s6
	s_and_b32 s3, s3, s6
	;; [unrolled: 5-line block ×6, first 2 shown]
	v_dual_cndmask_b32 v51, v53, v75, s10 :: v_dual_cndmask_b32 v50, v52, v74, s10
	s_and_b32 s2, s3, s2
	s_delay_alu instid0(VALU_DEP_2) | instskip(SKIP_1) | instid1(SALU_CYCLE_1)
	v_mov_b64_e32 v[52:53], v[54:55]
	s_and_b32 s1, s2, s1
	s_and_b32 s1, exec_lo, s1
	s_delay_alu instid0(SALU_CYCLE_1) | instskip(NEXT) | instid1(SALU_CYCLE_1)
	s_or_b32 s45, s1, s45
	s_and_not1_b32 exec_lo, exec_lo, s45
	s_cbranch_execnz .LBB185_207
; %bb.208:                              ;   in Loop: Header=BB185_162 Depth=1
	s_or_b32 exec_lo, exec_lo, s45
	v_add_f64_e32 v[6:7], -1.0, v[6:7]
	v_cmp_eq_f64_e64 s1, 0, v[12:13]
	v_cmp_class_f64_e64 s5, v[10:11], 0x204
	v_cmp_class_f64_e64 s4, v[12:13], 0x204
	s_delay_alu instid0(VALU_DEP_4) | instskip(NEXT) | instid1(VALU_DEP_1)
	v_add_f64_e32 v[6:7], v[6:7], v[36:37]
	v_add_f64_e32 v[6:7], v[6:7], v[48:49]
	s_delay_alu instid0(VALU_DEP_1) | instskip(NEXT) | instid1(VALU_DEP_1)
	v_add_f64_e32 v[6:7], v[6:7], v[34:35]
	v_add_f64_e32 v[6:7], v[6:7], v[46:47]
	s_delay_alu instid0(VALU_DEP_1) | instskip(NEXT) | instid1(VALU_DEP_1)
	;; [unrolled: 3-line block ×5, first 2 shown]
	v_add_f64_e32 v[34:35], v[54:55], v[6:7]
	v_add_f64_e32 v[6:7], 1.0, v[34:35]
	v_cmp_nge_f64_e64 s2, -1.0, v[34:35]
	v_cmp_neq_f64_e64 s3, 0x7ff00000, v[34:35]
	s_delay_alu instid0(VALU_DEP_3) | instskip(SKIP_2) | instid1(VALU_DEP_3)
	v_frexp_mant_f64_e32 v[32:33], v[6:7]
	v_frexp_exp_i32_f64_e32 v8, v[6:7]
	v_add_f64_e32 v[36:37], -1.0, v[6:7]
	v_cmp_gt_f64_e32 vcc_lo, s[20:21], v[32:33]
	s_delay_alu instid0(VALU_DEP_2) | instskip(SKIP_2) | instid1(VALU_DEP_3)
	v_add_f64_e64 v[32:33], v[36:37], -v[6:7]
	v_add_f64_e64 v[36:37], v[34:35], -v[36:37]
	v_subrev_co_ci_u32_e64 v8, null, 0, v8, vcc_lo
	v_add_f64_e32 v[32:33], 1.0, v[32:33]
	s_delay_alu instid0(VALU_DEP_2) | instskip(NEXT) | instid1(VALU_DEP_1)
	v_sub_nc_u32_e32 v21, 0, v8
	v_ldexp_f64 v[6:7], v[6:7], v21
	s_delay_alu instid0(VALU_DEP_3) | instskip(NEXT) | instid1(VALU_DEP_2)
	v_add_f64_e32 v[32:33], v[36:37], v[32:33]
	v_add_f64_e32 v[38:39], 1.0, v[6:7]
	v_add_f64_e32 v[44:45], -1.0, v[6:7]
	s_delay_alu instid0(VALU_DEP_3) | instskip(NEXT) | instid1(VALU_DEP_3)
	v_ldexp_f64 v[32:33], v[32:33], v21
	v_add_f64_e32 v[36:37], -1.0, v[38:39]
	s_delay_alu instid0(VALU_DEP_3) | instskip(NEXT) | instid1(VALU_DEP_2)
	v_add_f64_e32 v[46:47], 1.0, v[44:45]
	v_add_f64_e64 v[36:37], v[6:7], -v[36:37]
	s_delay_alu instid0(VALU_DEP_2) | instskip(NEXT) | instid1(VALU_DEP_2)
	v_add_f64_e64 v[6:7], v[6:7], -v[46:47]
	v_add_f64_e32 v[36:37], v[32:33], v[36:37]
	s_delay_alu instid0(VALU_DEP_2) | instskip(NEXT) | instid1(VALU_DEP_2)
	v_add_f64_e32 v[6:7], v[32:33], v[6:7]
	v_add_f64_e32 v[40:41], v[38:39], v[36:37]
	s_delay_alu instid0(VALU_DEP_2) | instskip(NEXT) | instid1(VALU_DEP_2)
	v_add_f64_e32 v[46:47], v[44:45], v[6:7]
	v_rcp_f64_e32 v[42:43], v[40:41]
	v_add_f64_e64 v[38:39], v[40:41], -v[38:39]
	s_delay_alu instid0(VALU_DEP_2) | instskip(NEXT) | instid1(VALU_DEP_2)
	v_add_f64_e64 v[44:45], v[46:47], -v[44:45]
	v_add_f64_e64 v[36:37], v[36:37], -v[38:39]
	s_delay_alu instid0(VALU_DEP_2) | instskip(NEXT) | instid1(TRANS32_DEP_1)
	v_add_f64_e64 v[6:7], v[6:7], -v[44:45]
	v_fma_f64 v[48:49], -v[40:41], v[42:43], 1.0
	s_delay_alu instid0(VALU_DEP_1) | instskip(NEXT) | instid1(VALU_DEP_1)
	v_fmac_f64_e32 v[42:43], v[48:49], v[42:43]
	v_fma_f64 v[32:33], -v[40:41], v[42:43], 1.0
	s_delay_alu instid0(VALU_DEP_1) | instskip(NEXT) | instid1(VALU_DEP_1)
	v_fmac_f64_e32 v[42:43], v[32:33], v[42:43]
	v_mul_f64_e32 v[32:33], v[46:47], v[42:43]
	s_delay_alu instid0(VALU_DEP_1) | instskip(NEXT) | instid1(VALU_DEP_1)
	v_mul_f64_e32 v[48:49], v[40:41], v[32:33]
	v_fma_f64 v[38:39], v[32:33], v[40:41], -v[48:49]
	s_delay_alu instid0(VALU_DEP_1) | instskip(NEXT) | instid1(VALU_DEP_1)
	v_fmac_f64_e32 v[38:39], v[32:33], v[36:37]
	v_add_f64_e32 v[50:51], v[48:49], v[38:39]
	s_delay_alu instid0(VALU_DEP_1) | instskip(SKIP_1) | instid1(VALU_DEP_2)
	v_add_f64_e64 v[52:53], v[46:47], -v[50:51]
	v_add_f64_e64 v[44:45], v[50:51], -v[48:49]
	;; [unrolled: 1-line block ×3, first 2 shown]
	s_delay_alu instid0(VALU_DEP_2) | instskip(NEXT) | instid1(VALU_DEP_2)
	v_add_f64_e64 v[38:39], v[44:45], -v[38:39]
	v_add_f64_e64 v[46:47], v[46:47], -v[50:51]
	s_delay_alu instid0(VALU_DEP_1) | instskip(NEXT) | instid1(VALU_DEP_1)
	v_add_f64_e32 v[6:7], v[6:7], v[46:47]
	v_add_f64_e32 v[6:7], v[38:39], v[6:7]
	s_delay_alu instid0(VALU_DEP_1) | instskip(NEXT) | instid1(VALU_DEP_1)
	v_add_f64_e32 v[38:39], v[52:53], v[6:7]
	v_mul_f64_e32 v[44:45], v[42:43], v[38:39]
	v_add_f64_e64 v[50:51], v[52:53], -v[38:39]
	s_delay_alu instid0(VALU_DEP_2) | instskip(NEXT) | instid1(VALU_DEP_2)
	v_mul_f64_e32 v[46:47], v[40:41], v[44:45]
	v_add_f64_e32 v[6:7], v[6:7], v[50:51]
	s_delay_alu instid0(VALU_DEP_2) | instskip(NEXT) | instid1(VALU_DEP_1)
	v_fma_f64 v[40:41], v[44:45], v[40:41], -v[46:47]
	v_fmac_f64_e32 v[40:41], v[44:45], v[36:37]
	s_delay_alu instid0(VALU_DEP_1) | instskip(NEXT) | instid1(VALU_DEP_1)
	v_add_f64_e32 v[36:37], v[46:47], v[40:41]
	v_add_f64_e64 v[48:49], v[38:39], -v[36:37]
	v_add_f64_e64 v[46:47], v[36:37], -v[46:47]
	s_delay_alu instid0(VALU_DEP_2) | instskip(NEXT) | instid1(VALU_DEP_1)
	v_add_f64_e64 v[38:39], v[38:39], -v[48:49]
	v_add_f64_e64 v[36:37], v[38:39], -v[36:37]
	s_delay_alu instid0(VALU_DEP_3) | instskip(SKIP_1) | instid1(VALU_DEP_3)
	v_add_f64_e64 v[38:39], v[46:47], -v[40:41]
	v_max_num_f64_e64 v[40:41], |v[10:11]|, |v[10:11]|
	v_add_f64_e32 v[6:7], v[6:7], v[36:37]
	v_add_f64_e32 v[36:37], v[32:33], v[44:45]
	s_delay_alu instid0(VALU_DEP_2) | instskip(NEXT) | instid1(VALU_DEP_2)
	v_add_f64_e32 v[6:7], v[38:39], v[6:7]
	v_add_f64_e64 v[32:33], v[36:37], -v[32:33]
	v_max_num_f64_e64 v[38:39], |v[12:13]|, |v[12:13]|
	s_delay_alu instid0(VALU_DEP_3) | instskip(NEXT) | instid1(VALU_DEP_3)
	v_add_f64_e32 v[6:7], v[48:49], v[6:7]
	v_add_f64_e64 v[32:33], v[44:45], -v[32:33]
	s_delay_alu instid0(VALU_DEP_2) | instskip(NEXT) | instid1(VALU_DEP_1)
	v_mul_f64_e32 v[6:7], v[42:43], v[6:7]
	v_add_f64_e32 v[6:7], v[32:33], v[6:7]
	v_max_num_f64_e32 v[32:33], v[40:41], v[38:39]
	v_min_num_f64_e32 v[38:39], v[40:41], v[38:39]
	s_delay_alu instid0(VALU_DEP_3) | instskip(NEXT) | instid1(VALU_DEP_2)
	v_add_f64_e32 v[40:41], v[36:37], v[6:7]
	v_div_scale_f64 v[42:43], null, v[32:33], v[32:33], v[38:39]
	s_delay_alu instid0(VALU_DEP_2) | instskip(SKIP_1) | instid1(VALU_DEP_3)
	v_mul_f64_e32 v[44:45], v[40:41], v[40:41]
	v_add_f64_e64 v[36:37], v[40:41], -v[36:37]
	v_rcp_f64_e32 v[46:47], v[42:43]
	s_delay_alu instid0(VALU_DEP_2) | instskip(SKIP_1) | instid1(VALU_DEP_3)
	v_fmamk_f64 v[48:49], v[44:45], 0x3fc3ab76bf559e2b, v[22:23]
	v_mul_f64_e32 v[50:51], v[40:41], v[44:45]
	v_add_f64_e64 v[6:7], v[6:7], -v[36:37]
	s_delay_alu instid0(VALU_DEP_3) | instskip(NEXT) | instid1(TRANS32_DEP_1)
	v_fmaak_f64 v[48:49], v[44:45], v[48:49], 0x3fc7474dd7f4df2e
	v_fma_f64 v[52:53], -v[42:43], v[46:47], 1.0
	s_delay_alu instid0(VALU_DEP_2) | instskip(NEXT) | instid1(VALU_DEP_1)
	v_fmaak_f64 v[48:49], v[44:45], v[48:49], 0x3fcc71c016291751
	v_fmaak_f64 v[48:49], v[44:45], v[48:49], 0x3fd249249b27acf1
	s_delay_alu instid0(VALU_DEP_1) | instskip(SKIP_1) | instid1(VALU_DEP_2)
	v_fmaak_f64 v[48:49], v[44:45], v[48:49], 0x3fd99999998ef7b6
	v_ldexp_f64 v[6:7], v[6:7], 1
	v_fmaak_f64 v[44:45], v[44:45], v[48:49], 0x3fe5555555555780
	v_ldexp_f64 v[48:49], v[40:41], 1
	v_fmac_f64_e32 v[46:47], v[46:47], v[52:53]
	s_delay_alu instid0(VALU_DEP_3) | instskip(SKIP_2) | instid1(VALU_DEP_4)
	v_mul_f64_e32 v[44:45], v[50:51], v[44:45]
	v_cvt_f64_i32_e32 v[50:51], v8
	v_ashrrev_i32_e32 v8, 31, v11
	v_fma_f64 v[52:53], -v[42:43], v[46:47], 1.0
	s_delay_alu instid0(VALU_DEP_4) | instskip(NEXT) | instid1(VALU_DEP_4)
	v_add_f64_e32 v[40:41], v[48:49], v[44:45]
	v_mul_f64_e32 v[54:55], 0x3fe62e42fefa39ef, v[50:51]
	s_delay_alu instid0(VALU_DEP_3) | instskip(NEXT) | instid1(VALU_DEP_3)
	v_fmac_f64_e32 v[46:47], v[46:47], v[52:53]
	v_add_f64_e64 v[36:37], v[40:41], -v[48:49]
	v_div_scale_f64 v[48:49], vcc_lo, v[38:39], v[32:33], v[38:39]
	s_delay_alu instid0(VALU_DEP_4) | instskip(NEXT) | instid1(VALU_DEP_3)
	v_fma_f64 v[52:53], v[50:51], s[22:23], -v[54:55]
	v_add_f64_e64 v[36:37], v[44:45], -v[36:37]
	s_delay_alu instid0(VALU_DEP_3) | instskip(NEXT) | instid1(VALU_DEP_3)
	v_mul_f64_e32 v[44:45], v[48:49], v[46:47]
	v_fmac_f64_e32 v[52:53], 0x3c7abc9e3b39803f, v[50:51]
	s_delay_alu instid0(VALU_DEP_3) | instskip(NEXT) | instid1(VALU_DEP_3)
	v_add_f64_e32 v[6:7], v[6:7], v[36:37]
	v_fma_f64 v[36:37], -v[42:43], v[44:45], v[48:49]
	s_delay_alu instid0(VALU_DEP_3) | instskip(NEXT) | instid1(VALU_DEP_3)
	v_add_f64_e32 v[42:43], v[54:55], v[52:53]
	v_add_f64_e32 v[48:49], v[40:41], v[6:7]
	s_delay_alu instid0(VALU_DEP_3) | instskip(SKIP_1) | instid1(VALU_DEP_4)
	v_div_fmas_f64 v[36:37], v[36:37], v[46:47], v[44:45]
	v_cmp_gt_i32_e32 vcc_lo, 0, v11
	v_add_f64_e64 v[46:47], v[42:43], -v[54:55]
	v_cndmask_b32_e32 v21, 0x54442d18, v60, vcc_lo
	v_cndmask_b32_e32 v10, 0x3fe921fb, v61, vcc_lo
	s_delay_alu instid0(VALU_DEP_1) | instskip(SKIP_4) | instid1(VALU_DEP_4)
	v_bfi_b32 v10, 0x7fffffff, v10, v13
	v_add_f64_e32 v[44:45], v[42:43], v[48:49]
	v_div_fixup_f64 v[32:33], v[36:37], v[32:33], v[38:39]
	v_add_f64_e64 v[40:41], v[48:49], -v[40:41]
	v_add_f64_e64 v[46:47], v[52:53], -v[46:47]
	;; [unrolled: 1-line block ×3, first 2 shown]
	s_delay_alu instid0(VALU_DEP_4) | instskip(NEXT) | instid1(VALU_DEP_4)
	v_mul_f64_e32 v[38:39], v[32:33], v[32:33]
	v_add_f64_e64 v[6:7], v[6:7], -v[40:41]
	s_delay_alu instid0(VALU_DEP_3) | instskip(NEXT) | instid1(VALU_DEP_3)
	v_add_f64_e64 v[50:51], v[44:45], -v[36:37]
	v_fmamk_f64 v[54:55], v[38:39], 0x3eeba404b5e68a13, v[24:25]
	v_add_f64_e64 v[36:37], v[48:49], -v[36:37]
	s_delay_alu instid0(VALU_DEP_4) | instskip(NEXT) | instid1(VALU_DEP_3)
	v_add_f64_e32 v[48:49], v[46:47], v[6:7]
	v_fmaak_f64 v[54:55], v[38:39], v[54:55], 0x3f4b2bb069efb384
	v_add_f64_e64 v[40:41], v[42:43], -v[50:51]
	s_delay_alu instid0(VALU_DEP_2) | instskip(NEXT) | instid1(VALU_DEP_1)
	v_fmaak_f64 v[42:43], v[38:39], v[54:55], 0xbf67952daf56de9b
	v_fmaak_f64 v[42:43], v[38:39], v[42:43], 0x3f7d6d43a595c56f
	s_delay_alu instid0(VALU_DEP_1) | instskip(NEXT) | instid1(VALU_DEP_1)
	v_fmaak_f64 v[42:43], v[38:39], v[42:43], 0xbf8c6ea4a57d9582
	v_fmaak_f64 v[42:43], v[38:39], v[42:43], 0x3f967e295f08b19f
	s_delay_alu instid0(VALU_DEP_1) | instskip(SKIP_1) | instid1(VALU_DEP_2)
	v_fmaak_f64 v[42:43], v[38:39], v[42:43], 0xbf9e9ae6fc27006a
	v_add_f64_e32 v[36:37], v[36:37], v[40:41]
	v_fmaak_f64 v[40:41], v[38:39], v[42:43], 0x3fa2c15b5711927a
	v_add_f64_e64 v[42:43], v[48:49], -v[46:47]
	s_delay_alu instid0(VALU_DEP_2) | instskip(NEXT) | instid1(VALU_DEP_1)
	v_fmaak_f64 v[40:41], v[38:39], v[40:41], 0xbfa59976e82d3ff0
	v_fmaak_f64 v[40:41], v[38:39], v[40:41], 0x3fa82d5d6ef28734
	s_delay_alu instid0(VALU_DEP_1) | instskip(NEXT) | instid1(VALU_DEP_1)
	v_fmaak_f64 v[40:41], v[38:39], v[40:41], 0xbfaae5ce6a214619
	v_fmaak_f64 v[40:41], v[38:39], v[40:41], 0x3fae1bb48427b883
	v_add_f64_e32 v[36:37], v[48:49], v[36:37]
	v_add_f64_e64 v[48:49], v[48:49], -v[42:43]
	v_add_f64_e64 v[6:7], v[6:7], -v[42:43]
	s_delay_alu instid0(VALU_DEP_4) | instskip(NEXT) | instid1(VALU_DEP_1)
	v_fmaak_f64 v[40:41], v[38:39], v[40:41], 0xbfb110e48b207f05
	v_fmaak_f64 v[40:41], v[38:39], v[40:41], 0x3fb3b13657b87036
	s_delay_alu instid0(VALU_DEP_1) | instskip(NEXT) | instid1(VALU_DEP_1)
	v_fmaak_f64 v[40:41], v[38:39], v[40:41], 0xbfb745d119378e4f
	v_fmaak_f64 v[40:41], v[38:39], v[40:41], 0x3fbc71c717e1913c
	v_add_f64_e32 v[50:51], v[44:45], v[36:37]
	s_delay_alu instid0(VALU_DEP_2) | instskip(NEXT) | instid1(VALU_DEP_1)
	v_fmaak_f64 v[40:41], v[38:39], v[40:41], 0xbfc2492492376b7d
	v_fmaak_f64 v[40:41], v[38:39], v[40:41], 0x3fc99999999952cc
	s_delay_alu instid0(VALU_DEP_1) | instskip(NEXT) | instid1(VALU_DEP_1)
	v_fmaak_f64 v[40:41], v[38:39], v[40:41], 0xbfd5555555555523
	v_mul_f64_e32 v[38:39], v[38:39], v[40:41]
	v_add_f64_e64 v[40:41], v[46:47], -v[48:49]
	v_add_f64_e64 v[42:43], v[50:51], -v[44:45]
	s_delay_alu instid0(VALU_DEP_3) | instskip(NEXT) | instid1(VALU_DEP_3)
	v_fmac_f64_e32 v[32:33], v[32:33], v[38:39]
	v_add_f64_e32 v[6:7], v[6:7], v[40:41]
	s_delay_alu instid0(VALU_DEP_3) | instskip(NEXT) | instid1(VALU_DEP_3)
	v_add_f64_e64 v[36:37], v[36:37], -v[42:43]
	v_add_f64_e64 v[38:39], -v[32:33], s[24:25]
	s_delay_alu instid0(VALU_DEP_1) | instskip(NEXT) | instid1(VALU_DEP_2)
	v_dual_add_f64 v[6:7], v[6:7], v[36:37] :: v_dual_cndmask_b32 v33, v33, v39, s0
	v_cndmask_b32_e64 v32, v32, v38, s0
	v_and_b32_e32 v38, 0x54442d18, v8
	v_and_b32_e32 v8, 0x400921fb, v8
	s_delay_alu instid0(VALU_DEP_3) | instskip(NEXT) | instid1(VALU_DEP_1)
	v_add_f64_e64 v[36:37], -v[32:33], s[26:27]
	v_dual_add_f64 v[6:7], v[50:51], v[6:7] :: v_dual_cndmask_b32 v32, v32, v36, vcc_lo
	s_delay_alu instid0(VALU_DEP_2) | instskip(SKIP_1) | instid1(VALU_DEP_3)
	v_cndmask_b32_e32 v11, v33, v37, vcc_lo
	v_cmp_ngt_f64_e32 vcc_lo, -1.0, v[34:35]
	v_mul_f64_e32 v[6:7], 0.5, v[6:7]
	s_delay_alu instid0(VALU_DEP_3)
	v_dual_cndmask_b32 v32, v32, v38, s1 :: v_dual_cndmask_b32 v8, v11, v8, s1
	s_and_b32 s1, s2, s3
	s_delay_alu instid0(VALU_DEP_2) | instid1(SALU_CYCLE_1)
	v_cndmask_b32_e64 v6, 0, v6, s1
	v_cmp_neq_f64_e64 s1, -1.0, v[34:35]
	s_delay_alu instid0(VALU_DEP_4) | instskip(NEXT) | instid1(VALU_DEP_1)
	v_cndmask_b32_e64 v7, 0x7ff00000, v7, s3
	v_cndmask_b32_e32 v7, 0x7ff80000, v7, vcc_lo
	s_and_b32 vcc_lo, s5, s4
	v_cndmask_b32_e32 v33, v8, v10, vcc_lo
	v_cndmask_b32_e32 v32, v32, v21, vcc_lo
	s_delay_alu instid0(VALU_DEP_3)
	v_cndmask_b32_e64 v7, 0xfff00000, v7, s1
.LBB185_209:                            ;   in Loop: Header=BB185_162 Depth=1
	s_or_b32 exec_lo, exec_lo, s44
.LBB185_210:                            ;   in Loop: Header=BB185_162 Depth=1
	s_delay_alu instid0(SALU_CYCLE_1)
	s_or_b32 exec_lo, exec_lo, s43
.LBB185_211:                            ;   in Loop: Header=BB185_162 Depth=1
	s_and_not1_saveexec_b32 s3, s42
	s_cbranch_execz .LBB185_213
; %bb.212:                              ;   in Loop: Header=BB185_162 Depth=1
	v_max_num_f64_e64 v[6:7], |v[12:13]|, |v[12:13]|
	v_max_num_f64_e64 v[32:33], |v[10:11]|, |v[10:11]|
	v_cmp_class_f64_e64 s4, v[10:11], 0x204
	v_cmp_class_f64_e64 s5, v[12:13], 0x204
	v_cmp_eq_f64_e64 s2, 0, v[12:13]
	s_delay_alu instid0(VALU_DEP_4) | instskip(SKIP_2) | instid1(VALU_DEP_2)
	v_max_num_f64_e32 v[34:35], v[32:33], v[6:7]
	v_min_num_f64_e32 v[6:7], v[32:33], v[6:7]
	s_or_b32 s1, s4, s5
	v_frexp_exp_i32_f64_e32 v8, v[34:35]
	s_delay_alu instid0(VALU_DEP_1) | instskip(NEXT) | instid1(VALU_DEP_1)
	v_sub_nc_u32_e32 v21, 0, v8
	v_ldexp_f64 v[36:37], |v[12:13]|, v21
	v_ldexp_f64 v[38:39], |v[10:11]|, v21
	s_delay_alu instid0(VALU_DEP_2) | instskip(NEXT) | instid1(VALU_DEP_1)
	v_mul_f64_e32 v[36:37], v[36:37], v[36:37]
	v_fmac_f64_e32 v[36:37], v[38:39], v[38:39]
	s_delay_alu instid0(VALU_DEP_1) | instskip(SKIP_1) | instid1(TRANS32_DEP_1)
	v_rsq_f64_e32 v[38:39], v[36:37]
	v_cmp_eq_f64_e32 vcc_lo, 0, v[36:37]
	v_mul_f64_e32 v[40:41], v[36:37], v[38:39]
	v_mul_f64_e32 v[38:39], 0.5, v[38:39]
	s_delay_alu instid0(VALU_DEP_1) | instskip(NEXT) | instid1(VALU_DEP_1)
	v_fma_f64 v[42:43], -v[38:39], v[40:41], 0.5
	v_fmac_f64_e32 v[40:41], v[40:41], v[42:43]
	v_fmac_f64_e32 v[38:39], v[38:39], v[42:43]
	s_delay_alu instid0(VALU_DEP_2) | instskip(NEXT) | instid1(VALU_DEP_1)
	v_fma_f64 v[42:43], -v[40:41], v[40:41], v[36:37]
	v_fmac_f64_e32 v[40:41], v[42:43], v[38:39]
	s_delay_alu instid0(VALU_DEP_1) | instskip(NEXT) | instid1(VALU_DEP_1)
	v_dual_cndmask_b32 v37, v41, v37 :: v_dual_cndmask_b32 v36, v40, v36
	v_ldexp_f64 v[36:37], v[36:37], v8
	s_delay_alu instid0(VALU_DEP_1) | instskip(NEXT) | instid1(VALU_DEP_2)
	v_cndmask_b32_e64 v37, v37, 0x7ff00000, s1
	v_cndmask_b32_e64 v36, v36, 0, s1
	s_delay_alu instid0(VALU_DEP_1) | instskip(SKIP_1) | instid1(VALU_DEP_2)
	v_frexp_mant_f64_e32 v[38:39], v[36:37]
	v_cmp_class_f64_e64 s1, v[36:37], 0x204
	v_cmp_gt_f64_e32 vcc_lo, s[20:21], v[38:39]
	v_cndmask_b32_e64 v8, 0, 1, vcc_lo
	s_delay_alu instid0(VALU_DEP_1) | instskip(SKIP_1) | instid1(VALU_DEP_2)
	v_ldexp_f64 v[38:39], v[38:39], v8
	v_frexp_exp_i32_f64_e32 v8, v[36:37]
	v_add_f64_e32 v[40:41], 1.0, v[38:39]
	v_add_f64_e32 v[46:47], -1.0, v[38:39]
	s_delay_alu instid0(VALU_DEP_3) | instskip(SKIP_1) | instid1(VALU_DEP_4)
	v_subrev_co_ci_u32_e64 v8, null, 0, v8, vcc_lo
	v_div_scale_f64 v[54:55], vcc_lo, v[6:7], v[34:35], v[6:7]
	v_rcp_f64_e32 v[42:43], v[40:41]
	v_add_f64_e32 v[48:49], -1.0, v[40:41]
	s_delay_alu instid0(VALU_DEP_1) | instskip(NEXT) | instid1(TRANS32_DEP_1)
	v_add_f64_e64 v[38:39], v[38:39], -v[48:49]
	v_fma_f64 v[44:45], -v[40:41], v[42:43], 1.0
	s_delay_alu instid0(VALU_DEP_1) | instskip(NEXT) | instid1(VALU_DEP_1)
	v_fmac_f64_e32 v[42:43], v[44:45], v[42:43]
	v_fma_f64 v[44:45], -v[40:41], v[42:43], 1.0
	s_delay_alu instid0(VALU_DEP_1) | instskip(NEXT) | instid1(VALU_DEP_1)
	v_fmac_f64_e32 v[42:43], v[44:45], v[42:43]
	v_mul_f64_e32 v[44:45], v[46:47], v[42:43]
	s_delay_alu instid0(VALU_DEP_1) | instskip(NEXT) | instid1(VALU_DEP_1)
	v_mul_f64_e32 v[50:51], v[40:41], v[44:45]
	v_fma_f64 v[40:41], v[44:45], v[40:41], -v[50:51]
	s_delay_alu instid0(VALU_DEP_1) | instskip(NEXT) | instid1(VALU_DEP_1)
	v_fmac_f64_e32 v[40:41], v[44:45], v[38:39]
	v_add_f64_e32 v[38:39], v[50:51], v[40:41]
	s_delay_alu instid0(VALU_DEP_1) | instskip(SKIP_1) | instid1(VALU_DEP_2)
	v_add_f64_e64 v[48:49], v[46:47], -v[38:39]
	v_add_f64_e64 v[50:51], v[38:39], -v[50:51]
	;; [unrolled: 1-line block ×3, first 2 shown]
	s_delay_alu instid0(VALU_DEP_2) | instskip(NEXT) | instid1(VALU_DEP_2)
	v_add_f64_e64 v[40:41], v[50:51], -v[40:41]
	v_add_f64_e64 v[38:39], v[46:47], -v[38:39]
	s_delay_alu instid0(VALU_DEP_1) | instskip(NEXT) | instid1(VALU_DEP_1)
	v_add_f64_e32 v[38:39], v[40:41], v[38:39]
	v_add_f64_e32 v[38:39], v[48:49], v[38:39]
	s_delay_alu instid0(VALU_DEP_1) | instskip(SKIP_1) | instid1(VALU_DEP_2)
	v_mul_f64_e32 v[32:33], v[42:43], v[38:39]
	v_div_scale_f64 v[38:39], null, v[34:35], v[34:35], v[6:7]
	v_add_f64_e32 v[40:41], v[44:45], v[32:33]
	s_delay_alu instid0(VALU_DEP_2) | instskip(NEXT) | instid1(VALU_DEP_1)
	v_rcp_f64_e32 v[42:43], v[38:39]
	v_mul_f64_e32 v[46:47], v[40:41], v[40:41]
	s_delay_alu instid0(TRANS32_DEP_1) | instskip(NEXT) | instid1(VALU_DEP_2)
	v_fma_f64 v[50:51], -v[38:39], v[42:43], 1.0
	v_fmamk_f64 v[48:49], v[46:47], 0x3fc3ab76bf559e2b, v[22:23]
	v_mul_f64_e32 v[52:53], v[40:41], v[46:47]
	s_delay_alu instid0(VALU_DEP_3) | instskip(NEXT) | instid1(VALU_DEP_3)
	v_fmac_f64_e32 v[42:43], v[42:43], v[50:51]
	v_fmaak_f64 v[48:49], v[46:47], v[48:49], 0x3fc7474dd7f4df2e
	s_delay_alu instid0(VALU_DEP_1) | instskip(NEXT) | instid1(VALU_DEP_1)
	v_fmaak_f64 v[48:49], v[46:47], v[48:49], 0x3fcc71c016291751
	v_fmaak_f64 v[48:49], v[46:47], v[48:49], 0x3fd249249b27acf1
	s_delay_alu instid0(VALU_DEP_1) | instskip(NEXT) | instid1(VALU_DEP_1)
	v_fmaak_f64 v[48:49], v[46:47], v[48:49], 0x3fd99999998ef7b6
	v_fmaak_f64 v[46:47], v[46:47], v[48:49], 0x3fe5555555555780
	v_ldexp_f64 v[48:49], v[40:41], 1
	v_add_f64_e64 v[40:41], v[40:41], -v[44:45]
	v_fma_f64 v[50:51], -v[38:39], v[42:43], 1.0
	s_delay_alu instid0(VALU_DEP_4) | instskip(SKIP_1) | instid1(VALU_DEP_4)
	v_mul_f64_e32 v[46:47], v[52:53], v[46:47]
	v_cvt_f64_i32_e32 v[52:53], v8
	v_dual_add_f64 v[32:33], v[32:33], -v[40:41] :: v_dual_ashrrev_i32 v8, 31, v11
	s_delay_alu instid0(VALU_DEP_4) | instskip(NEXT) | instid1(VALU_DEP_4)
	v_fmac_f64_e32 v[42:43], v[42:43], v[50:51]
	v_add_f64_e32 v[44:45], v[48:49], v[46:47]
	s_delay_alu instid0(VALU_DEP_4) | instskip(NEXT) | instid1(VALU_DEP_4)
	v_mul_f64_e32 v[50:51], 0x3fe62e42fefa39ef, v[52:53]
	v_ldexp_f64 v[32:33], v[32:33], 1
	s_delay_alu instid0(VALU_DEP_3) | instskip(SKIP_1) | instid1(VALU_DEP_4)
	v_add_f64_e64 v[40:41], v[44:45], -v[48:49]
	v_mul_f64_e32 v[48:49], v[54:55], v[42:43]
	v_fma_f64 v[56:57], v[52:53], s[22:23], -v[50:51]
	s_delay_alu instid0(VALU_DEP_3) | instskip(NEXT) | instid1(VALU_DEP_3)
	v_add_f64_e64 v[40:41], v[46:47], -v[40:41]
	v_fma_f64 v[38:39], -v[38:39], v[48:49], v[54:55]
	s_delay_alu instid0(VALU_DEP_3) | instskip(NEXT) | instid1(VALU_DEP_3)
	v_fmac_f64_e32 v[56:57], 0x3c7abc9e3b39803f, v[52:53]
	v_add_f64_e32 v[32:33], v[32:33], v[40:41]
	s_delay_alu instid0(VALU_DEP_3) | instskip(NEXT) | instid1(VALU_DEP_3)
	v_div_fmas_f64 v[38:39], v[38:39], v[42:43], v[48:49]
	v_add_f64_e32 v[40:41], v[50:51], v[56:57]
	v_cmp_gt_i32_e32 vcc_lo, 0, v11
	v_cndmask_b32_e32 v21, 0x54442d18, v60, vcc_lo
	v_add_f64_e32 v[42:43], v[44:45], v[32:33]
	v_div_fixup_f64 v[6:7], v[38:39], v[34:35], v[6:7]
	v_add_f64_e64 v[50:51], v[40:41], -v[50:51]
	s_delay_alu instid0(VALU_DEP_3) | instskip(NEXT) | instid1(VALU_DEP_3)
	v_add_f64_e32 v[34:35], v[40:41], v[42:43]
	v_mul_f64_e32 v[38:39], v[6:7], v[6:7]
	v_add_f64_e64 v[44:45], v[42:43], -v[44:45]
	s_delay_alu instid0(VALU_DEP_4) | instskip(NEXT) | instid1(VALU_DEP_4)
	v_add_f64_e64 v[50:51], v[56:57], -v[50:51]
	v_add_f64_e64 v[46:47], v[34:35], -v[40:41]
	s_delay_alu instid0(VALU_DEP_4) | instskip(NEXT) | instid1(VALU_DEP_4)
	v_fmamk_f64 v[48:49], v[38:39], 0x3eeba404b5e68a13, v[24:25]
	v_add_f64_e64 v[32:33], v[32:33], -v[44:45]
	s_delay_alu instid0(VALU_DEP_2) | instskip(NEXT) | instid1(VALU_DEP_1)
	v_fmaak_f64 v[48:49], v[38:39], v[48:49], 0x3f4b2bb069efb384
	v_fmaak_f64 v[48:49], v[38:39], v[48:49], 0xbf67952daf56de9b
	s_delay_alu instid0(VALU_DEP_1) | instskip(NEXT) | instid1(VALU_DEP_1)
	v_fmaak_f64 v[48:49], v[38:39], v[48:49], 0x3f7d6d43a595c56f
	v_fmaak_f64 v[48:49], v[38:39], v[48:49], 0xbf8c6ea4a57d9582
	v_add_f64_e64 v[52:53], v[34:35], -v[46:47]
	v_add_f64_e64 v[42:43], v[42:43], -v[46:47]
	v_add_f64_e32 v[46:47], v[50:51], v[32:33]
	s_delay_alu instid0(VALU_DEP_4) | instskip(NEXT) | instid1(VALU_DEP_1)
	v_fmaak_f64 v[48:49], v[38:39], v[48:49], 0x3f967e295f08b19f
	v_fmaak_f64 v[44:45], v[38:39], v[48:49], 0xbf9e9ae6fc27006a
	s_delay_alu instid0(VALU_DEP_1) | instskip(NEXT) | instid1(VALU_DEP_1)
	v_fmaak_f64 v[44:45], v[38:39], v[44:45], 0x3fa2c15b5711927a
	v_fmaak_f64 v[44:45], v[38:39], v[44:45], 0xbfa59976e82d3ff0
	s_delay_alu instid0(VALU_DEP_1) | instskip(SKIP_1) | instid1(VALU_DEP_2)
	v_fmaak_f64 v[44:45], v[38:39], v[44:45], 0x3fa82d5d6ef28734
	v_add_f64_e64 v[40:41], v[40:41], -v[52:53]
	v_fmaak_f64 v[44:45], v[38:39], v[44:45], 0xbfaae5ce6a214619
	s_delay_alu instid0(VALU_DEP_2) | instskip(NEXT) | instid1(VALU_DEP_2)
	v_add_f64_e32 v[40:41], v[42:43], v[40:41]
	v_fmaak_f64 v[42:43], v[38:39], v[44:45], 0x3fae1bb48427b883
	v_add_f64_e64 v[44:45], v[46:47], -v[50:51]
	s_delay_alu instid0(VALU_DEP_2) | instskip(NEXT) | instid1(VALU_DEP_1)
	v_fmaak_f64 v[42:43], v[38:39], v[42:43], 0xbfb110e48b207f05
	v_fmaak_f64 v[42:43], v[38:39], v[42:43], 0x3fb3b13657b87036
	s_delay_alu instid0(VALU_DEP_1) | instskip(NEXT) | instid1(VALU_DEP_1)
	v_fmaak_f64 v[42:43], v[38:39], v[42:43], 0xbfb745d119378e4f
	v_fmaak_f64 v[42:43], v[38:39], v[42:43], 0x3fbc71c717e1913c
	v_add_f64_e32 v[40:41], v[46:47], v[40:41]
	v_add_f64_e64 v[32:33], v[32:33], -v[44:45]
	s_delay_alu instid0(VALU_DEP_3) | instskip(NEXT) | instid1(VALU_DEP_1)
	v_fmaak_f64 v[42:43], v[38:39], v[42:43], 0xbfc2492492376b7d
	v_fmaak_f64 v[42:43], v[38:39], v[42:43], 0x3fc99999999952cc
	s_delay_alu instid0(VALU_DEP_1) | instskip(NEXT) | instid1(VALU_DEP_1)
	v_fmaak_f64 v[42:43], v[38:39], v[42:43], 0xbfd5555555555523
	v_mul_f64_e32 v[38:39], v[38:39], v[42:43]
	v_add_f64_e64 v[42:43], v[46:47], -v[44:45]
	v_add_f64_e32 v[46:47], v[34:35], v[40:41]
	s_delay_alu instid0(VALU_DEP_3) | instskip(NEXT) | instid1(VALU_DEP_3)
	v_fmac_f64_e32 v[6:7], v[6:7], v[38:39]
	v_add_f64_e64 v[38:39], v[50:51], -v[42:43]
	s_delay_alu instid0(VALU_DEP_3) | instskip(NEXT) | instid1(VALU_DEP_3)
	v_add_f64_e64 v[34:35], v[46:47], -v[34:35]
	v_add_f64_e64 v[42:43], -v[6:7], s[24:25]
	s_delay_alu instid0(VALU_DEP_3) | instskip(SKIP_4) | instid1(VALU_DEP_2)
	v_add_f64_e32 v[32:33], v[32:33], v[38:39]
	v_and_b32_e32 v38, 0x54442d18, v8
	v_and_b32_e32 v8, 0x400921fb, v8
	v_add_f64_e64 v[34:35], v[40:41], -v[34:35]
	v_dual_cndmask_b32 v7, v7, v43, s0 :: v_dual_cndmask_b32 v6, v6, v42, s0
	v_add_f64_e32 v[32:33], v[32:33], v[34:35]
	s_delay_alu instid0(VALU_DEP_2) | instskip(NEXT) | instid1(VALU_DEP_2)
	v_add_f64_e64 v[34:35], -v[6:7], s[26:27]
	v_add_f64_e32 v[10:11], v[46:47], v[32:33]
	s_delay_alu instid0(VALU_DEP_2) | instskip(SKIP_1) | instid1(VALU_DEP_4)
	v_cndmask_b32_e32 v6, v6, v34, vcc_lo
	v_cndmask_b32_e32 v32, 0x3fe921fb, v61, vcc_lo
	;; [unrolled: 1-line block ×3, first 2 shown]
	v_cmp_ngt_f64_e32 vcc_lo, 0, v[36:37]
	s_delay_alu instid0(VALU_DEP_4) | instskip(NEXT) | instid1(VALU_DEP_4)
	v_cndmask_b32_e64 v34, v6, v38, s2
	v_bfi_b32 v32, 0x7fffffff, v32, v13
	s_delay_alu instid0(VALU_DEP_4) | instskip(SKIP_2) | instid1(VALU_DEP_2)
	v_cndmask_b32_e64 v6, v7, v8, s2
	v_dual_cndmask_b32 v10, v10, v36, s1 :: v_dual_cndmask_b32 v11, v11, v37, s1
	v_cmp_nge_f64_e64 s1, 0, v[36:37]
	v_cndmask_b32_e32 v7, 0x7ff80000, v11, vcc_lo
	s_and_b32 vcc_lo, s4, s5
	v_cndmask_b32_e32 v33, v6, v32, vcc_lo
	v_dual_cndmask_b32 v32, v34, v21, vcc_lo :: v_dual_cndmask_b32 v6, 0, v10, s1
	v_cmp_neq_f64_e64 s1, 0, v[36:37]
	s_delay_alu instid0(VALU_DEP_1)
	v_cndmask_b32_e64 v7, 0xfff00000, v7, s1
.LBB185_213:                            ;   in Loop: Header=BB185_162 Depth=1
	s_or_b32 exec_lo, exec_lo, s3
                                        ; implicit-def: $vgpr36_vgpr37
.LBB185_214:                            ;   in Loop: Header=BB185_162 Depth=1
	s_and_not1_saveexec_b32 s3, s41
	s_cbranch_execz .LBB185_220
; %bb.215:                              ;   in Loop: Header=BB185_162 Depth=1
                                        ; implicit-def: $vgpr6_vgpr7
                                        ; implicit-def: $vgpr32_vgpr33
	s_mov_b32 s1, exec_lo
	v_cmpx_ngt_f64_e32 s[30:31], v[36:37]
	s_xor_b32 s4, exec_lo, s1
	s_cbranch_execz .LBB185_217
; %bb.216:                              ;   in Loop: Header=BB185_162 Depth=1
	v_mul_f64_e32 v[6:7], v[36:37], v[36:37]
	v_cmp_eq_f64_e64 s1, 0, v[12:13]
	v_cmp_class_f64_e64 s5, v[12:13], 0x204
	v_cmp_class_f64_e64 s6, v[10:11], 0x204
	s_delay_alu instid0(VALU_DEP_4) | instskip(NEXT) | instid1(VALU_DEP_1)
	v_add_f64_e32 v[32:33], 1.0, v[6:7]
	v_frexp_mant_f64_e32 v[34:35], v[32:33]
	v_frexp_exp_i32_f64_e32 v8, v[32:33]
	s_delay_alu instid0(VALU_DEP_2) | instskip(NEXT) | instid1(VALU_DEP_2)
	v_cmp_gt_f64_e32 vcc_lo, s[20:21], v[34:35]
	v_subrev_co_ci_u32_e64 v8, null, 0, v8, vcc_lo
	s_delay_alu instid0(VALU_DEP_1) | instskip(SKIP_1) | instid1(VALU_DEP_1)
	v_sub_nc_u32_e32 v21, 0, v8
	v_add_f64_e32 v[36:37], -1.0, v[32:33]
	v_add_f64_e64 v[34:35], v[36:37], -v[32:33]
	s_delay_alu instid0(VALU_DEP_3) | instskip(SKIP_1) | instid1(VALU_DEP_3)
	v_ldexp_f64 v[32:33], v[32:33], v21
	v_add_f64_e64 v[36:37], v[6:7], -v[36:37]
	v_add_f64_e32 v[34:35], 1.0, v[34:35]
	s_delay_alu instid0(VALU_DEP_3) | instskip(SKIP_1) | instid1(VALU_DEP_3)
	v_add_f64_e32 v[38:39], 1.0, v[32:33]
	v_add_f64_e32 v[44:45], -1.0, v[32:33]
	v_add_f64_e32 v[34:35], v[36:37], v[34:35]
	s_delay_alu instid0(VALU_DEP_3) | instskip(NEXT) | instid1(VALU_DEP_3)
	v_add_f64_e32 v[36:37], -1.0, v[38:39]
	v_add_f64_e32 v[46:47], 1.0, v[44:45]
	s_delay_alu instid0(VALU_DEP_3) | instskip(NEXT) | instid1(VALU_DEP_3)
	v_ldexp_f64 v[34:35], v[34:35], v21
	v_add_f64_e64 v[36:37], v[32:33], -v[36:37]
	s_delay_alu instid0(VALU_DEP_3) | instskip(NEXT) | instid1(VALU_DEP_2)
	v_add_f64_e64 v[32:33], v[32:33], -v[46:47]
	v_add_f64_e32 v[36:37], v[34:35], v[36:37]
	s_delay_alu instid0(VALU_DEP_2) | instskip(NEXT) | instid1(VALU_DEP_2)
	v_add_f64_e32 v[32:33], v[34:35], v[32:33]
	v_add_f64_e32 v[40:41], v[38:39], v[36:37]
	s_delay_alu instid0(VALU_DEP_2) | instskip(NEXT) | instid1(VALU_DEP_2)
	v_add_f64_e32 v[46:47], v[44:45], v[32:33]
	v_rcp_f64_e32 v[42:43], v[40:41]
	v_add_f64_e64 v[38:39], v[38:39], -v[40:41]
	s_delay_alu instid0(VALU_DEP_2) | instskip(NEXT) | instid1(VALU_DEP_2)
	v_add_f64_e64 v[44:45], v[44:45], -v[46:47]
	v_add_f64_e32 v[36:37], v[36:37], v[38:39]
	s_delay_alu instid0(VALU_DEP_2) | instskip(NEXT) | instid1(TRANS32_DEP_1)
	v_add_f64_e32 v[32:33], v[32:33], v[44:45]
	v_fma_f64 v[48:49], -v[40:41], v[42:43], 1.0
	s_delay_alu instid0(VALU_DEP_1) | instskip(NEXT) | instid1(VALU_DEP_1)
	v_fmac_f64_e32 v[42:43], v[48:49], v[42:43]
	v_fma_f64 v[34:35], -v[40:41], v[42:43], 1.0
	s_delay_alu instid0(VALU_DEP_1) | instskip(NEXT) | instid1(VALU_DEP_1)
	v_fmac_f64_e32 v[42:43], v[34:35], v[42:43]
	v_mul_f64_e32 v[34:35], v[46:47], v[42:43]
	s_delay_alu instid0(VALU_DEP_1) | instskip(NEXT) | instid1(VALU_DEP_1)
	v_mul_f64_e32 v[48:49], v[40:41], v[34:35]
	v_fma_f64 v[38:39], v[34:35], v[40:41], -v[48:49]
	s_delay_alu instid0(VALU_DEP_1) | instskip(NEXT) | instid1(VALU_DEP_1)
	v_fmac_f64_e32 v[38:39], v[34:35], v[36:37]
	v_add_f64_e32 v[50:51], v[48:49], v[38:39]
	s_delay_alu instid0(VALU_DEP_1) | instskip(SKIP_1) | instid1(VALU_DEP_2)
	v_add_f64_e64 v[52:53], v[46:47], -v[50:51]
	v_add_f64_e64 v[44:45], v[50:51], -v[48:49]
	;; [unrolled: 1-line block ×3, first 2 shown]
	s_delay_alu instid0(VALU_DEP_2) | instskip(NEXT) | instid1(VALU_DEP_2)
	v_add_f64_e64 v[38:39], v[44:45], -v[38:39]
	v_add_f64_e64 v[46:47], v[46:47], -v[50:51]
	s_delay_alu instid0(VALU_DEP_1) | instskip(NEXT) | instid1(VALU_DEP_1)
	v_add_f64_e32 v[32:33], v[32:33], v[46:47]
	v_add_f64_e32 v[32:33], v[38:39], v[32:33]
	s_delay_alu instid0(VALU_DEP_1) | instskip(NEXT) | instid1(VALU_DEP_1)
	v_add_f64_e32 v[38:39], v[52:53], v[32:33]
	v_mul_f64_e32 v[44:45], v[42:43], v[38:39]
	v_add_f64_e64 v[50:51], v[52:53], -v[38:39]
	s_delay_alu instid0(VALU_DEP_2) | instskip(NEXT) | instid1(VALU_DEP_2)
	v_mul_f64_e32 v[46:47], v[40:41], v[44:45]
	v_add_f64_e32 v[32:33], v[32:33], v[50:51]
	s_delay_alu instid0(VALU_DEP_2) | instskip(NEXT) | instid1(VALU_DEP_1)
	v_fma_f64 v[40:41], v[44:45], v[40:41], -v[46:47]
	v_fmac_f64_e32 v[40:41], v[44:45], v[36:37]
	s_delay_alu instid0(VALU_DEP_1) | instskip(NEXT) | instid1(VALU_DEP_1)
	v_add_f64_e32 v[36:37], v[46:47], v[40:41]
	v_add_f64_e64 v[48:49], v[38:39], -v[36:37]
	v_add_f64_e64 v[46:47], v[36:37], -v[46:47]
	s_delay_alu instid0(VALU_DEP_2) | instskip(NEXT) | instid1(VALU_DEP_1)
	v_add_f64_e64 v[38:39], v[38:39], -v[48:49]
	v_add_f64_e64 v[36:37], v[38:39], -v[36:37]
	s_delay_alu instid0(VALU_DEP_3) | instskip(SKIP_1) | instid1(VALU_DEP_3)
	v_add_f64_e64 v[38:39], v[46:47], -v[40:41]
	v_max_num_f64_e64 v[40:41], |v[10:11]|, |v[10:11]|
	v_add_f64_e32 v[32:33], v[32:33], v[36:37]
	v_add_f64_e32 v[36:37], v[34:35], v[44:45]
	s_delay_alu instid0(VALU_DEP_2) | instskip(NEXT) | instid1(VALU_DEP_2)
	v_add_f64_e32 v[32:33], v[38:39], v[32:33]
	v_add_f64_e64 v[34:35], v[36:37], -v[34:35]
	v_max_num_f64_e64 v[38:39], |v[12:13]|, |v[12:13]|
	s_delay_alu instid0(VALU_DEP_3) | instskip(NEXT) | instid1(VALU_DEP_3)
	v_add_f64_e32 v[32:33], v[48:49], v[32:33]
	v_add_f64_e64 v[34:35], v[44:45], -v[34:35]
	s_delay_alu instid0(VALU_DEP_2) | instskip(NEXT) | instid1(VALU_DEP_1)
	v_mul_f64_e32 v[32:33], v[42:43], v[32:33]
	v_add_f64_e32 v[32:33], v[34:35], v[32:33]
	v_max_num_f64_e32 v[34:35], v[40:41], v[38:39]
	v_min_num_f64_e32 v[38:39], v[40:41], v[38:39]
	s_delay_alu instid0(VALU_DEP_3) | instskip(NEXT) | instid1(VALU_DEP_2)
	v_add_f64_e32 v[40:41], v[36:37], v[32:33]
	v_div_scale_f64 v[42:43], null, v[34:35], v[34:35], v[38:39]
	s_delay_alu instid0(VALU_DEP_2) | instskip(SKIP_1) | instid1(VALU_DEP_3)
	v_mul_f64_e32 v[44:45], v[40:41], v[40:41]
	v_add_f64_e64 v[36:37], v[40:41], -v[36:37]
	v_rcp_f64_e32 v[46:47], v[42:43]
	s_delay_alu instid0(VALU_DEP_2) | instskip(SKIP_1) | instid1(VALU_DEP_3)
	v_fmamk_f64 v[48:49], v[44:45], 0x3fc3ab76bf559e2b, v[22:23]
	v_mul_f64_e32 v[50:51], v[40:41], v[44:45]
	v_add_f64_e64 v[32:33], v[32:33], -v[36:37]
	s_delay_alu instid0(VALU_DEP_3) | instskip(NEXT) | instid1(TRANS32_DEP_1)
	v_fmaak_f64 v[48:49], v[44:45], v[48:49], 0x3fc7474dd7f4df2e
	v_fma_f64 v[52:53], -v[42:43], v[46:47], 1.0
	s_delay_alu instid0(VALU_DEP_2) | instskip(NEXT) | instid1(VALU_DEP_1)
	v_fmaak_f64 v[48:49], v[44:45], v[48:49], 0x3fcc71c016291751
	v_fmaak_f64 v[48:49], v[44:45], v[48:49], 0x3fd249249b27acf1
	s_delay_alu instid0(VALU_DEP_1) | instskip(SKIP_1) | instid1(VALU_DEP_2)
	v_fmaak_f64 v[48:49], v[44:45], v[48:49], 0x3fd99999998ef7b6
	v_ldexp_f64 v[32:33], v[32:33], 1
	v_fmaak_f64 v[44:45], v[44:45], v[48:49], 0x3fe5555555555780
	v_ldexp_f64 v[48:49], v[40:41], 1
	v_fmac_f64_e32 v[46:47], v[46:47], v[52:53]
	s_delay_alu instid0(VALU_DEP_3) | instskip(SKIP_2) | instid1(VALU_DEP_4)
	v_mul_f64_e32 v[44:45], v[50:51], v[44:45]
	v_cvt_f64_i32_e32 v[50:51], v8
	v_ashrrev_i32_e32 v8, 31, v11
	v_fma_f64 v[52:53], -v[42:43], v[46:47], 1.0
	s_delay_alu instid0(VALU_DEP_4) | instskip(NEXT) | instid1(VALU_DEP_4)
	v_add_f64_e32 v[40:41], v[48:49], v[44:45]
	v_mul_f64_e32 v[54:55], 0x3fe62e42fefa39ef, v[50:51]
	s_delay_alu instid0(VALU_DEP_3) | instskip(NEXT) | instid1(VALU_DEP_3)
	v_fmac_f64_e32 v[46:47], v[46:47], v[52:53]
	v_add_f64_e64 v[36:37], v[40:41], -v[48:49]
	v_div_scale_f64 v[48:49], vcc_lo, v[38:39], v[34:35], v[38:39]
	s_delay_alu instid0(VALU_DEP_4) | instskip(NEXT) | instid1(VALU_DEP_3)
	v_fma_f64 v[52:53], v[50:51], s[22:23], -v[54:55]
	v_add_f64_e64 v[36:37], v[44:45], -v[36:37]
	s_delay_alu instid0(VALU_DEP_3) | instskip(NEXT) | instid1(VALU_DEP_3)
	v_mul_f64_e32 v[44:45], v[48:49], v[46:47]
	v_fmac_f64_e32 v[52:53], 0x3c7abc9e3b39803f, v[50:51]
	s_delay_alu instid0(VALU_DEP_3) | instskip(NEXT) | instid1(VALU_DEP_3)
	v_add_f64_e32 v[32:33], v[32:33], v[36:37]
	v_fma_f64 v[36:37], -v[42:43], v[44:45], v[48:49]
	s_delay_alu instid0(VALU_DEP_3) | instskip(NEXT) | instid1(VALU_DEP_3)
	v_add_f64_e32 v[42:43], v[54:55], v[52:53]
	v_add_f64_e32 v[48:49], v[40:41], v[32:33]
	s_delay_alu instid0(VALU_DEP_3) | instskip(SKIP_1) | instid1(VALU_DEP_4)
	v_div_fmas_f64 v[36:37], v[36:37], v[46:47], v[44:45]
	v_cmp_gt_i32_e32 vcc_lo, 0, v11
	v_add_f64_e64 v[46:47], v[42:43], -v[54:55]
	v_cndmask_b32_e32 v21, 0x54442d18, v60, vcc_lo
	v_add_f64_e32 v[44:45], v[42:43], v[48:49]
	v_div_fixup_f64 v[34:35], v[36:37], v[34:35], v[38:39]
	v_add_f64_e64 v[40:41], v[48:49], -v[40:41]
	v_add_f64_e64 v[46:47], v[52:53], -v[46:47]
	s_delay_alu instid0(VALU_DEP_4) | instskip(NEXT) | instid1(VALU_DEP_4)
	v_add_f64_e64 v[36:37], v[44:45], -v[42:43]
	v_mul_f64_e32 v[38:39], v[34:35], v[34:35]
	s_delay_alu instid0(VALU_DEP_4) | instskip(NEXT) | instid1(VALU_DEP_3)
	v_add_f64_e64 v[32:33], v[32:33], -v[40:41]
	v_add_f64_e64 v[50:51], v[44:45], -v[36:37]
	s_delay_alu instid0(VALU_DEP_3) | instskip(SKIP_1) | instid1(VALU_DEP_4)
	v_fmamk_f64 v[54:55], v[38:39], 0x3eeba404b5e68a13, v[24:25]
	v_add_f64_e64 v[36:37], v[48:49], -v[36:37]
	v_add_f64_e32 v[48:49], v[46:47], v[32:33]
	s_delay_alu instid0(VALU_DEP_3) | instskip(NEXT) | instid1(VALU_DEP_1)
	v_fmaak_f64 v[54:55], v[38:39], v[54:55], 0x3f4b2bb069efb384
	v_fmaak_f64 v[54:55], v[38:39], v[54:55], 0xbf67952daf56de9b
	v_add_f64_e64 v[40:41], v[42:43], -v[50:51]
	s_delay_alu instid0(VALU_DEP_2) | instskip(NEXT) | instid1(VALU_DEP_1)
	v_fmaak_f64 v[42:43], v[38:39], v[54:55], 0x3f7d6d43a595c56f
	v_fmaak_f64 v[42:43], v[38:39], v[42:43], 0xbf8c6ea4a57d9582
	s_delay_alu instid0(VALU_DEP_1) | instskip(NEXT) | instid1(VALU_DEP_1)
	v_fmaak_f64 v[42:43], v[38:39], v[42:43], 0x3f967e295f08b19f
	v_fmaak_f64 v[42:43], v[38:39], v[42:43], 0xbf9e9ae6fc27006a
	s_delay_alu instid0(VALU_DEP_1) | instskip(SKIP_1) | instid1(VALU_DEP_2)
	v_fmaak_f64 v[42:43], v[38:39], v[42:43], 0x3fa2c15b5711927a
	v_add_f64_e32 v[36:37], v[36:37], v[40:41]
	v_fmaak_f64 v[40:41], v[38:39], v[42:43], 0xbfa59976e82d3ff0
	v_add_f64_e64 v[42:43], v[48:49], -v[46:47]
	s_delay_alu instid0(VALU_DEP_2) | instskip(NEXT) | instid1(VALU_DEP_1)
	v_fmaak_f64 v[40:41], v[38:39], v[40:41], 0x3fa82d5d6ef28734
	v_fmaak_f64 v[40:41], v[38:39], v[40:41], 0xbfaae5ce6a214619
	s_delay_alu instid0(VALU_DEP_1) | instskip(NEXT) | instid1(VALU_DEP_1)
	v_fmaak_f64 v[40:41], v[38:39], v[40:41], 0x3fae1bb48427b883
	v_fmaak_f64 v[40:41], v[38:39], v[40:41], 0xbfb110e48b207f05
	v_add_f64_e32 v[36:37], v[48:49], v[36:37]
	v_add_f64_e64 v[48:49], v[48:49], -v[42:43]
	v_add_f64_e64 v[32:33], v[32:33], -v[42:43]
	s_delay_alu instid0(VALU_DEP_4) | instskip(NEXT) | instid1(VALU_DEP_1)
	v_fmaak_f64 v[40:41], v[38:39], v[40:41], 0x3fb3b13657b87036
	v_fmaak_f64 v[40:41], v[38:39], v[40:41], 0xbfb745d119378e4f
	s_delay_alu instid0(VALU_DEP_1) | instskip(NEXT) | instid1(VALU_DEP_1)
	v_fmaak_f64 v[40:41], v[38:39], v[40:41], 0x3fbc71c717e1913c
	v_fmaak_f64 v[40:41], v[38:39], v[40:41], 0xbfc2492492376b7d
	v_add_f64_e32 v[50:51], v[44:45], v[36:37]
	s_delay_alu instid0(VALU_DEP_2) | instskip(NEXT) | instid1(VALU_DEP_1)
	v_fmaak_f64 v[40:41], v[38:39], v[40:41], 0x3fc99999999952cc
	v_fmaak_f64 v[40:41], v[38:39], v[40:41], 0xbfd5555555555523
	s_delay_alu instid0(VALU_DEP_1) | instskip(SKIP_2) | instid1(VALU_DEP_3)
	v_mul_f64_e32 v[38:39], v[38:39], v[40:41]
	v_add_f64_e64 v[40:41], v[46:47], -v[48:49]
	v_add_f64_e64 v[42:43], v[50:51], -v[44:45]
	v_fmac_f64_e32 v[34:35], v[34:35], v[38:39]
	s_delay_alu instid0(VALU_DEP_3) | instskip(NEXT) | instid1(VALU_DEP_3)
	v_add_f64_e32 v[32:33], v[32:33], v[40:41]
	v_add_f64_e64 v[36:37], v[36:37], -v[42:43]
	s_delay_alu instid0(VALU_DEP_3) | instskip(NEXT) | instid1(VALU_DEP_1)
	v_add_f64_e64 v[38:39], -v[34:35], s[24:25]
	v_dual_add_f64 v[32:33], v[32:33], v[36:37] :: v_dual_cndmask_b32 v35, v35, v39, s0
	s_delay_alu instid0(VALU_DEP_2)
	v_cndmask_b32_e64 v34, v34, v38, s0
	v_cmp_neq_f64_e64 s2, 0x7ff00000, v[6:7]
	v_and_b32_e32 v38, 0x54442d18, v8
	v_cndmask_b32_e32 v6, 0x3fe921fb, v61, vcc_lo
	v_and_b32_e32 v7, 0x400921fb, v8
	v_add_f64_e64 v[36:37], -v[34:35], s[26:27]
	s_delay_alu instid0(VALU_DEP_3) | instskip(SKIP_1) | instid1(VALU_DEP_3)
	v_bfi_b32 v6, 0x7fffffff, v6, v13
	v_add_f64_e32 v[32:33], v[50:51], v[32:33]
	v_dual_cndmask_b32 v34, v34, v36, vcc_lo :: v_dual_cndmask_b32 v8, v35, v37, vcc_lo
	s_and_b32 vcc_lo, s6, s5
                                        ; implicit-def: $vgpr36_vgpr37
	s_delay_alu instid0(VALU_DEP_1) | instskip(NEXT) | instid1(VALU_DEP_2)
	v_dual_mul_f64 v[10:11], 0.5, v[32:33] :: v_dual_cndmask_b32 v7, v8, v7, s1
	v_cndmask_b32_e64 v32, v34, v38, s1
	s_delay_alu instid0(VALU_DEP_1) | instskip(NEXT) | instid1(VALU_DEP_3)
	v_dual_cndmask_b32 v33, v7, v6 :: v_dual_cndmask_b32 v32, v32, v21
	v_cndmask_b32_e64 v7, 0x7ff00000, v11, s2
	s_delay_alu instid0(VALU_DEP_4)
	v_cndmask_b32_e64 v6, 0, v10, s2
.LBB185_217:                            ;   in Loop: Header=BB185_162 Depth=1
	s_and_not1_saveexec_b32 s2, s4
	s_cbranch_execz .LBB185_219
; %bb.218:                              ;   in Loop: Header=BB185_162 Depth=1
	v_max_num_f64_e64 v[6:7], |v[12:13]|, |v[12:13]|
	v_max_num_f64_e64 v[32:33], |v[10:11]|, |v[10:11]|
	v_cmp_eq_f64_e64 s1, 0, v[12:13]
	v_cmp_class_f64_e64 s4, v[12:13], 0x204
	v_cmp_class_f64_e64 s5, v[10:11], 0x204
	v_ashrrev_i32_e32 v8, 31, v11
	v_max_num_f64_e32 v[34:35], v[32:33], v[6:7]
	v_min_num_f64_e32 v[6:7], v[32:33], v[6:7]
	s_delay_alu instid0(VALU_DEP_1) | instskip(SKIP_1) | instid1(VALU_DEP_2)
	v_div_scale_f64 v[32:33], null, v[34:35], v[34:35], v[6:7]
	v_div_scale_f64 v[42:43], vcc_lo, v[6:7], v[34:35], v[6:7]
	v_rcp_f64_e32 v[38:39], v[32:33]
	v_nop
	s_delay_alu instid0(TRANS32_DEP_1) | instskip(NEXT) | instid1(VALU_DEP_1)
	v_fma_f64 v[40:41], -v[32:33], v[38:39], 1.0
	v_fmac_f64_e32 v[38:39], v[38:39], v[40:41]
	s_delay_alu instid0(VALU_DEP_1) | instskip(NEXT) | instid1(VALU_DEP_1)
	v_fma_f64 v[40:41], -v[32:33], v[38:39], 1.0
	v_fmac_f64_e32 v[38:39], v[38:39], v[40:41]
	s_delay_alu instid0(VALU_DEP_1) | instskip(NEXT) | instid1(VALU_DEP_1)
	v_mul_f64_e32 v[40:41], v[42:43], v[38:39]
	v_fma_f64 v[32:33], -v[32:33], v[40:41], v[42:43]
	s_delay_alu instid0(VALU_DEP_1)
	v_div_fmas_f64 v[32:33], v[32:33], v[38:39], v[40:41]
	v_cmp_gt_i32_e32 vcc_lo, 0, v11
	v_and_b32_e32 v38, 0x54442d18, v8
	v_and_b32_e32 v8, 0x400921fb, v8
	v_cndmask_b32_e32 v10, 0x3fe921fb, v61, vcc_lo
	v_cndmask_b32_e32 v21, 0x54442d18, v60, vcc_lo
	s_delay_alu instid0(VALU_DEP_2) | instskip(SKIP_1) | instid1(VALU_DEP_1)
	v_bfi_b32 v10, 0x7fffffff, v10, v13
	v_div_fixup_f64 v[6:7], v[32:33], v[34:35], v[6:7]
	v_mul_f64_e32 v[32:33], v[6:7], v[6:7]
	s_delay_alu instid0(VALU_DEP_1) | instskip(NEXT) | instid1(VALU_DEP_1)
	v_fmamk_f64 v[34:35], v[32:33], 0x3eeba404b5e68a13, v[24:25]
	v_fmaak_f64 v[34:35], v[32:33], v[34:35], 0x3f4b2bb069efb384
	s_delay_alu instid0(VALU_DEP_1) | instskip(NEXT) | instid1(VALU_DEP_1)
	v_fmaak_f64 v[34:35], v[32:33], v[34:35], 0xbf67952daf56de9b
	v_fmaak_f64 v[34:35], v[32:33], v[34:35], 0x3f7d6d43a595c56f
	s_delay_alu instid0(VALU_DEP_1) | instskip(NEXT) | instid1(VALU_DEP_1)
	v_fmaak_f64 v[34:35], v[32:33], v[34:35], 0xbf8c6ea4a57d9582
	;; [unrolled: 3-line block ×9, first 2 shown]
	v_mul_f64_e32 v[32:33], v[32:33], v[34:35]
	s_delay_alu instid0(VALU_DEP_1) | instskip(NEXT) | instid1(VALU_DEP_1)
	v_fmac_f64_e32 v[6:7], v[6:7], v[32:33]
	v_add_f64_e64 v[32:33], -v[6:7], s[24:25]
	s_delay_alu instid0(VALU_DEP_1) | instskip(SKIP_1) | instid1(VALU_DEP_1)
	v_dual_cndmask_b32 v33, v7, v33, s0 :: v_dual_cndmask_b32 v32, v6, v32, s0
	v_mul_f64_e32 v[6:7], 0.5, v[36:37]
	v_mul_f64_e32 v[6:7], v[36:37], v[6:7]
	s_delay_alu instid0(VALU_DEP_3) | instskip(NEXT) | instid1(VALU_DEP_1)
	v_add_f64_e64 v[34:35], -v[32:33], s[26:27]
	v_dual_cndmask_b32 v32, v32, v34 :: v_dual_cndmask_b32 v11, v33, v35
	s_and_b32 vcc_lo, s5, s4
	s_delay_alu instid0(VALU_DEP_1) | instskip(NEXT) | instid1(VALU_DEP_1)
	v_dual_cndmask_b32 v32, v32, v38, s1 :: v_dual_cndmask_b32 v8, v11, v8, s1
	v_cndmask_b32_e32 v32, v32, v21, vcc_lo
	s_delay_alu instid0(VALU_DEP_2)
	v_cndmask_b32_e32 v33, v8, v10, vcc_lo
.LBB185_219:                            ;   in Loop: Header=BB185_162 Depth=1
	s_or_b32 exec_lo, exec_lo, s2
.LBB185_220:                            ;   in Loop: Header=BB185_162 Depth=1
	s_delay_alu instid0(SALU_CYCLE_1)
	s_or_b32 exec_lo, exec_lo, s3
.LBB185_221:                            ;   in Loop: Header=BB185_162 Depth=1
	s_and_not1_saveexec_b32 s2, s40
	s_cbranch_execz .LBB185_223
; %bb.222:                              ;   in Loop: Header=BB185_162 Depth=1
	v_div_scale_f64 v[6:7], null, s[34:35], s[34:35], v[10:11]
	v_div_scale_f64 v[32:33], null, s[34:35], s[34:35], v[12:13]
	v_div_scale_f64 v[42:43], vcc_lo, v[10:11], s[34:35], v[10:11]
	s_delay_alu instid0(VALU_DEP_3) | instskip(NEXT) | instid1(VALU_DEP_2)
	v_rcp_f64_e32 v[34:35], v[6:7]
	v_rcp_f64_e32 v[36:37], v[32:33]
	s_delay_alu instid0(TRANS32_DEP_2) | instskip(NEXT) | instid1(TRANS32_DEP_1)
	v_fma_f64 v[38:39], -v[6:7], v[34:35], 1.0
	v_fma_f64 v[40:41], -v[32:33], v[36:37], 1.0
	s_delay_alu instid0(VALU_DEP_2) | instskip(NEXT) | instid1(VALU_DEP_2)
	v_fmac_f64_e32 v[34:35], v[34:35], v[38:39]
	v_fmac_f64_e32 v[36:37], v[36:37], v[40:41]
	s_delay_alu instid0(VALU_DEP_2) | instskip(NEXT) | instid1(VALU_DEP_2)
	v_fma_f64 v[38:39], -v[6:7], v[34:35], 1.0
	v_fma_f64 v[40:41], -v[32:33], v[36:37], 1.0
	s_delay_alu instid0(VALU_DEP_2) | instskip(SKIP_1) | instid1(VALU_DEP_3)
	v_fmac_f64_e32 v[34:35], v[34:35], v[38:39]
	v_div_scale_f64 v[38:39], s1, v[12:13], s[34:35], v[12:13]
	v_fmac_f64_e32 v[36:37], v[36:37], v[40:41]
	s_delay_alu instid0(VALU_DEP_3) | instskip(NEXT) | instid1(VALU_DEP_2)
	v_mul_f64_e32 v[40:41], v[42:43], v[34:35]
	v_mul_f64_e32 v[44:45], v[38:39], v[36:37]
	s_delay_alu instid0(VALU_DEP_2) | instskip(NEXT) | instid1(VALU_DEP_2)
	v_fma_f64 v[6:7], -v[6:7], v[40:41], v[42:43]
	v_fma_f64 v[32:33], -v[32:33], v[44:45], v[38:39]
	s_delay_alu instid0(VALU_DEP_2) | instskip(SKIP_1) | instid1(VALU_DEP_2)
	v_div_fmas_f64 v[6:7], v[6:7], v[34:35], v[40:41]
	s_mov_b32 vcc_lo, s1
	v_div_fmas_f64 v[32:33], v[32:33], v[36:37], v[44:45]
	s_delay_alu instid0(VALU_DEP_2) | instskip(NEXT) | instid1(VALU_DEP_2)
	v_div_fixup_f64 v[6:7], v[6:7], s[34:35], v[10:11]
	v_div_fixup_f64 v[32:33], v[32:33], s[34:35], v[12:13]
	s_delay_alu instid0(VALU_DEP_2) | instskip(NEXT) | instid1(VALU_DEP_2)
	v_cmp_class_f64_e64 s1, v[6:7], 0x204
	v_max_num_f64_e64 v[34:35], |v[6:7]|, |v[32:33]|
	v_cmp_class_f64_e64 s3, v[32:33], 0x204
	s_delay_alu instid0(VALU_DEP_2) | instskip(SKIP_2) | instid1(VALU_DEP_2)
	v_frexp_exp_i32_f64_e32 v8, v[34:35]
	s_or_b32 s1, s1, s3
	v_cmp_class_f64_e64 s3, v[10:11], 0x204
	v_sub_nc_u32_e32 v21, 0, v8
	s_delay_alu instid0(VALU_DEP_1) | instskip(SKIP_1) | instid1(VALU_DEP_2)
	v_ldexp_f64 v[34:35], |v[32:33]|, v21
	v_ldexp_f64 v[36:37], |v[6:7]|, v21
	v_mul_f64_e32 v[34:35], v[34:35], v[34:35]
	s_delay_alu instid0(VALU_DEP_1) | instskip(NEXT) | instid1(VALU_DEP_1)
	v_fmac_f64_e32 v[34:35], v[36:37], v[36:37]
	v_rsq_f64_e32 v[36:37], v[34:35]
	v_cmp_eq_f64_e32 vcc_lo, 0, v[34:35]
	s_delay_alu instid0(TRANS32_DEP_1) | instskip(SKIP_1) | instid1(VALU_DEP_1)
	v_mul_f64_e32 v[38:39], v[34:35], v[36:37]
	v_mul_f64_e32 v[36:37], 0.5, v[36:37]
	v_fma_f64 v[40:41], -v[36:37], v[38:39], 0.5
	s_delay_alu instid0(VALU_DEP_1) | instskip(SKIP_1) | instid1(VALU_DEP_2)
	v_fmac_f64_e32 v[38:39], v[38:39], v[40:41]
	v_fmac_f64_e32 v[36:37], v[36:37], v[40:41]
	v_fma_f64 v[40:41], -v[38:39], v[38:39], v[34:35]
	s_delay_alu instid0(VALU_DEP_1) | instskip(NEXT) | instid1(VALU_DEP_1)
	v_fmac_f64_e32 v[38:39], v[40:41], v[36:37]
	v_dual_cndmask_b32 v35, v39, v35 :: v_dual_cndmask_b32 v34, v38, v34
	v_cmp_o_f64_e32 vcc_lo, v[6:7], v[32:33]
	s_delay_alu instid0(VALU_DEP_2) | instskip(NEXT) | instid1(VALU_DEP_1)
	v_ldexp_f64 v[34:35], v[34:35], v8
	v_cndmask_b32_e32 v6, 0, v34, vcc_lo
	s_delay_alu instid0(VALU_DEP_2) | instskip(NEXT) | instid1(VALU_DEP_2)
	v_cndmask_b32_e32 v7, 0x7ff80000, v35, vcc_lo
	v_cndmask_b32_e64 v34, v6, 0, s1
	s_delay_alu instid0(VALU_DEP_2) | instskip(SKIP_1) | instid1(VALU_DEP_2)
	v_cndmask_b32_e64 v35, v7, 0x7ff00000, s1
	v_cmp_class_f64_e64 s1, v[12:13], 0x204
	v_frexp_mant_f64_e32 v[6:7], v[34:35]
	s_delay_alu instid0(VALU_DEP_1) | instskip(SKIP_1) | instid1(VALU_DEP_1)
	v_cmp_gt_f64_e32 vcc_lo, s[20:21], v[6:7]
	v_cndmask_b32_e64 v8, 0, 1, vcc_lo
	v_ldexp_f64 v[6:7], v[6:7], v8
	v_frexp_exp_i32_f64_e32 v8, v[34:35]
	s_delay_alu instid0(VALU_DEP_2) | instskip(SKIP_1) | instid1(VALU_DEP_3)
	v_add_f64_e32 v[32:33], 1.0, v[6:7]
	v_add_f64_e32 v[40:41], -1.0, v[6:7]
	v_subrev_co_ci_u32_e64 v8, null, 0, v8, vcc_lo
	s_delay_alu instid0(VALU_DEP_3) | instskip(SKIP_1) | instid1(VALU_DEP_1)
	v_rcp_f64_e32 v[36:37], v[32:33]
	v_add_f64_e32 v[42:43], -1.0, v[32:33]
	v_add_f64_e64 v[6:7], v[6:7], -v[42:43]
	s_delay_alu instid0(TRANS32_DEP_1) | instskip(NEXT) | instid1(VALU_DEP_1)
	v_fma_f64 v[38:39], -v[32:33], v[36:37], 1.0
	v_fmac_f64_e32 v[36:37], v[38:39], v[36:37]
	s_delay_alu instid0(VALU_DEP_1) | instskip(NEXT) | instid1(VALU_DEP_1)
	v_fma_f64 v[38:39], -v[32:33], v[36:37], 1.0
	v_fmac_f64_e32 v[36:37], v[38:39], v[36:37]
	s_delay_alu instid0(VALU_DEP_1) | instskip(NEXT) | instid1(VALU_DEP_1)
	v_mul_f64_e32 v[38:39], v[40:41], v[36:37]
	v_mul_f64_e32 v[44:45], v[32:33], v[38:39]
	s_delay_alu instid0(VALU_DEP_1) | instskip(NEXT) | instid1(VALU_DEP_1)
	v_fma_f64 v[32:33], v[38:39], v[32:33], -v[44:45]
	v_fmac_f64_e32 v[32:33], v[38:39], v[6:7]
	s_delay_alu instid0(VALU_DEP_1) | instskip(NEXT) | instid1(VALU_DEP_1)
	v_add_f64_e32 v[6:7], v[44:45], v[32:33]
	v_add_f64_e64 v[42:43], v[40:41], -v[6:7]
	v_add_f64_e64 v[44:45], v[6:7], -v[44:45]
	s_delay_alu instid0(VALU_DEP_2) | instskip(NEXT) | instid1(VALU_DEP_2)
	v_add_f64_e64 v[40:41], v[40:41], -v[42:43]
	v_add_f64_e64 v[32:33], v[44:45], -v[32:33]
	s_delay_alu instid0(VALU_DEP_2) | instskip(SKIP_1) | instid1(VALU_DEP_2)
	v_add_f64_e64 v[6:7], v[40:41], -v[6:7]
	v_max_num_f64_e64 v[40:41], |v[10:11]|, |v[10:11]|
	v_add_f64_e32 v[6:7], v[32:33], v[6:7]
	v_max_num_f64_e64 v[32:33], |v[12:13]|, |v[12:13]|
	s_delay_alu instid0(VALU_DEP_2) | instskip(NEXT) | instid1(VALU_DEP_1)
	v_add_f64_e32 v[6:7], v[42:43], v[6:7]
	v_mul_f64_e32 v[6:7], v[36:37], v[6:7]
	s_delay_alu instid0(VALU_DEP_3) | instskip(SKIP_1) | instid1(VALU_DEP_3)
	v_max_num_f64_e32 v[36:37], v[40:41], v[32:33]
	v_min_num_f64_e32 v[32:33], v[40:41], v[32:33]
	v_add_f64_e32 v[40:41], v[38:39], v[6:7]
	s_delay_alu instid0(VALU_DEP_2) | instskip(NEXT) | instid1(VALU_DEP_2)
	v_div_scale_f64 v[42:43], null, v[36:37], v[36:37], v[32:33]
	v_mul_f64_e32 v[44:45], v[40:41], v[40:41]
	v_add_f64_e64 v[38:39], v[40:41], -v[38:39]
	s_delay_alu instid0(VALU_DEP_3) | instskip(NEXT) | instid1(VALU_DEP_2)
	v_rcp_f64_e32 v[46:47], v[42:43]
	v_fmamk_f64 v[48:49], v[44:45], 0x3fc3ab76bf559e2b, v[22:23]
	v_mul_f64_e32 v[50:51], v[40:41], v[44:45]
	s_delay_alu instid0(VALU_DEP_3) | instskip(NEXT) | instid1(VALU_DEP_3)
	v_add_f64_e64 v[6:7], v[6:7], -v[38:39]
	v_fmaak_f64 v[48:49], v[44:45], v[48:49], 0x3fc7474dd7f4df2e
	s_delay_alu instid0(TRANS32_DEP_1) | instskip(NEXT) | instid1(VALU_DEP_2)
	v_fma_f64 v[52:53], -v[42:43], v[46:47], 1.0
	v_fmaak_f64 v[48:49], v[44:45], v[48:49], 0x3fcc71c016291751
	s_delay_alu instid0(VALU_DEP_1) | instskip(NEXT) | instid1(VALU_DEP_1)
	v_fmaak_f64 v[48:49], v[44:45], v[48:49], 0x3fd249249b27acf1
	v_fmaak_f64 v[48:49], v[44:45], v[48:49], 0x3fd99999998ef7b6
	v_ldexp_f64 v[6:7], v[6:7], 1
	s_delay_alu instid0(VALU_DEP_2) | instskip(SKIP_2) | instid1(VALU_DEP_3)
	v_fmaak_f64 v[44:45], v[44:45], v[48:49], 0x3fe5555555555780
	v_ldexp_f64 v[48:49], v[40:41], 1
	v_fmac_f64_e32 v[46:47], v[46:47], v[52:53]
	v_mul_f64_e32 v[44:45], v[50:51], v[44:45]
	v_cvt_f64_i32_e32 v[50:51], v8
	v_ashrrev_i32_e32 v8, 31, v11
	s_delay_alu instid0(VALU_DEP_4) | instskip(NEXT) | instid1(VALU_DEP_4)
	v_fma_f64 v[52:53], -v[42:43], v[46:47], 1.0
	v_add_f64_e32 v[40:41], v[48:49], v[44:45]
	s_delay_alu instid0(VALU_DEP_4) | instskip(NEXT) | instid1(VALU_DEP_3)
	v_mul_f64_e32 v[54:55], 0x3fe62e42fefa39ef, v[50:51]
	v_fmac_f64_e32 v[46:47], v[46:47], v[52:53]
	s_delay_alu instid0(VALU_DEP_3) | instskip(SKIP_1) | instid1(VALU_DEP_4)
	v_add_f64_e64 v[38:39], v[40:41], -v[48:49]
	v_div_scale_f64 v[48:49], vcc_lo, v[32:33], v[36:37], v[32:33]
	v_fma_f64 v[52:53], v[50:51], s[22:23], -v[54:55]
	s_delay_alu instid0(VALU_DEP_3) | instskip(NEXT) | instid1(VALU_DEP_3)
	v_add_f64_e64 v[38:39], v[44:45], -v[38:39]
	v_mul_f64_e32 v[44:45], v[48:49], v[46:47]
	s_delay_alu instid0(VALU_DEP_3) | instskip(NEXT) | instid1(VALU_DEP_3)
	v_fmac_f64_e32 v[52:53], 0x3c7abc9e3b39803f, v[50:51]
	v_add_f64_e32 v[6:7], v[6:7], v[38:39]
	s_delay_alu instid0(VALU_DEP_3) | instskip(NEXT) | instid1(VALU_DEP_3)
	v_fma_f64 v[38:39], -v[42:43], v[44:45], v[48:49]
	v_add_f64_e32 v[42:43], v[54:55], v[52:53]
	s_delay_alu instid0(VALU_DEP_3) | instskip(NEXT) | instid1(VALU_DEP_3)
	v_add_f64_e32 v[48:49], v[40:41], v[6:7]
	v_div_fmas_f64 v[38:39], v[38:39], v[46:47], v[44:45]
	v_cmp_class_f64_e64 vcc_lo, v[34:35], 0x204
	s_delay_alu instid0(VALU_DEP_4) | instskip(NEXT) | instid1(VALU_DEP_4)
	v_add_f64_e64 v[46:47], v[42:43], -v[54:55]
	v_add_f64_e32 v[44:45], v[42:43], v[48:49]
	s_delay_alu instid0(VALU_DEP_4) | instskip(SKIP_1) | instid1(VALU_DEP_4)
	v_div_fixup_f64 v[32:33], v[38:39], v[36:37], v[32:33]
	v_add_f64_e64 v[40:41], v[48:49], -v[40:41]
	v_add_f64_e64 v[46:47], v[52:53], -v[46:47]
	s_delay_alu instid0(VALU_DEP_4) | instskip(NEXT) | instid1(VALU_DEP_4)
	v_add_f64_e64 v[36:37], v[44:45], -v[42:43]
	v_mul_f64_e32 v[38:39], v[32:33], v[32:33]
	s_delay_alu instid0(VALU_DEP_4) | instskip(NEXT) | instid1(VALU_DEP_3)
	v_add_f64_e64 v[6:7], v[6:7], -v[40:41]
	v_add_f64_e64 v[50:51], v[44:45], -v[36:37]
	s_delay_alu instid0(VALU_DEP_3) | instskip(SKIP_1) | instid1(VALU_DEP_4)
	v_fmamk_f64 v[54:55], v[38:39], 0x3eeba404b5e68a13, v[24:25]
	v_add_f64_e64 v[36:37], v[48:49], -v[36:37]
	v_add_f64_e32 v[48:49], v[46:47], v[6:7]
	s_delay_alu instid0(VALU_DEP_3) | instskip(SKIP_1) | instid1(VALU_DEP_2)
	v_fmaak_f64 v[54:55], v[38:39], v[54:55], 0x3f4b2bb069efb384
	v_add_f64_e64 v[40:41], v[42:43], -v[50:51]
	v_fmaak_f64 v[42:43], v[38:39], v[54:55], 0xbf67952daf56de9b
	s_delay_alu instid0(VALU_DEP_1) | instskip(NEXT) | instid1(VALU_DEP_1)
	v_fmaak_f64 v[42:43], v[38:39], v[42:43], 0x3f7d6d43a595c56f
	v_fmaak_f64 v[42:43], v[38:39], v[42:43], 0xbf8c6ea4a57d9582
	s_delay_alu instid0(VALU_DEP_1) | instskip(SKIP_1) | instid1(VALU_DEP_2)
	v_fmaak_f64 v[42:43], v[38:39], v[42:43], 0x3f967e295f08b19f
	v_add_f64_e32 v[36:37], v[36:37], v[40:41]
	v_fmaak_f64 v[40:41], v[38:39], v[42:43], 0xbf9e9ae6fc27006a
	v_add_f64_e64 v[42:43], v[48:49], -v[46:47]
	s_delay_alu instid0(VALU_DEP_2) | instskip(NEXT) | instid1(VALU_DEP_1)
	v_fmaak_f64 v[40:41], v[38:39], v[40:41], 0x3fa2c15b5711927a
	v_fmaak_f64 v[40:41], v[38:39], v[40:41], 0xbfa59976e82d3ff0
	s_delay_alu instid0(VALU_DEP_1) | instskip(NEXT) | instid1(VALU_DEP_1)
	v_fmaak_f64 v[40:41], v[38:39], v[40:41], 0x3fa82d5d6ef28734
	v_fmaak_f64 v[40:41], v[38:39], v[40:41], 0xbfaae5ce6a214619
	v_add_f64_e32 v[36:37], v[48:49], v[36:37]
	v_add_f64_e64 v[48:49], v[48:49], -v[42:43]
	v_add_f64_e64 v[6:7], v[6:7], -v[42:43]
	s_delay_alu instid0(VALU_DEP_4) | instskip(NEXT) | instid1(VALU_DEP_1)
	v_fmaak_f64 v[40:41], v[38:39], v[40:41], 0x3fae1bb48427b883
	v_fmaak_f64 v[40:41], v[38:39], v[40:41], 0xbfb110e48b207f05
	s_delay_alu instid0(VALU_DEP_1) | instskip(NEXT) | instid1(VALU_DEP_1)
	v_fmaak_f64 v[40:41], v[38:39], v[40:41], 0x3fb3b13657b87036
	v_fmaak_f64 v[40:41], v[38:39], v[40:41], 0xbfb745d119378e4f
	s_delay_alu instid0(VALU_DEP_1) | instskip(SKIP_1) | instid1(VALU_DEP_2)
	v_fmaak_f64 v[40:41], v[38:39], v[40:41], 0x3fbc71c717e1913c
	v_add_f64_e32 v[50:51], v[44:45], v[36:37]
	v_fmaak_f64 v[40:41], v[38:39], v[40:41], 0xbfc2492492376b7d
	s_delay_alu instid0(VALU_DEP_1) | instskip(NEXT) | instid1(VALU_DEP_1)
	v_fmaak_f64 v[40:41], v[38:39], v[40:41], 0x3fc99999999952cc
	v_fmaak_f64 v[40:41], v[38:39], v[40:41], 0xbfd5555555555523
	s_delay_alu instid0(VALU_DEP_1) | instskip(SKIP_2) | instid1(VALU_DEP_3)
	v_mul_f64_e32 v[38:39], v[38:39], v[40:41]
	v_add_f64_e64 v[40:41], v[46:47], -v[48:49]
	v_add_f64_e64 v[42:43], v[50:51], -v[44:45]
	v_fmac_f64_e32 v[32:33], v[32:33], v[38:39]
	s_delay_alu instid0(VALU_DEP_3) | instskip(NEXT) | instid1(VALU_DEP_3)
	v_add_f64_e32 v[6:7], v[6:7], v[40:41]
	v_add_f64_e64 v[36:37], v[36:37], -v[42:43]
	s_delay_alu instid0(VALU_DEP_3) | instskip(NEXT) | instid1(VALU_DEP_1)
	v_add_f64_e64 v[38:39], -v[32:33], s[24:25]
	v_dual_add_f64 v[6:7], v[6:7], v[36:37] :: v_dual_cndmask_b32 v33, v33, v39, s0
	s_delay_alu instid0(VALU_DEP_2)
	v_cndmask_b32_e64 v32, v32, v38, s0
	v_cmp_gt_i32_e64 s0, 0, v11
	v_and_b32_e32 v38, 0x54442d18, v8
	v_and_b32_e32 v8, 0x400921fb, v8
	v_add_f64_e32 v[6:7], v[50:51], v[6:7]
	v_add_f64_e64 v[36:37], -v[32:33], s[26:27]
	v_cndmask_b32_e64 v21, 0x54442d18, v60, s0
	v_cndmask_b32_e64 v10, 0x3fe921fb, v61, s0
	s_delay_alu instid0(VALU_DEP_1) | instskip(SKIP_4) | instid1(VALU_DEP_4)
	v_bfi_b32 v10, 0x7fffffff, v10, v13
	v_dual_cndmask_b32 v7, v7, v35 :: v_dual_cndmask_b32 v6, v6, v34
	v_cmp_eq_f64_e32 vcc_lo, 0, v[12:13]
	v_dual_cndmask_b32 v32, v32, v36, s0 :: v_dual_cndmask_b32 v11, v33, v37, s0
	v_cmp_nge_f64_e64 s0, 0, v[34:35]
	v_add_f64_e32 v[6:7], 1.0, v[6:7]
	s_delay_alu instid0(VALU_DEP_3) | instskip(SKIP_1) | instid1(VALU_DEP_3)
	v_dual_cndmask_b32 v32, v32, v38, vcc_lo :: v_dual_cndmask_b32 v8, v11, v8, vcc_lo
	v_cmp_ngt_f64_e32 vcc_lo, 0, v[34:35]
	v_cndmask_b32_e64 v6, 0, v6, s0
	v_cmp_neq_f64_e64 s0, 0, v[34:35]
	v_cndmask_b32_e32 v7, 0x7ff80000, v7, vcc_lo
	s_and_b32 vcc_lo, s3, s1
	v_cndmask_b32_e32 v33, v8, v10, vcc_lo
	v_cndmask_b32_e32 v32, v32, v21, vcc_lo
	s_delay_alu instid0(VALU_DEP_3)
	v_cndmask_b32_e64 v7, 0xfff00000, v7, s0
.LBB185_223:                            ;   in Loop: Header=BB185_162 Depth=1
	s_or_b32 exec_lo, exec_lo, s2
.LBB185_224:                            ;   in Loop: Header=BB185_162 Depth=1
	s_and_not1_saveexec_b32 s0, s33
	s_cbranch_execz .LBB185_230
; %bb.225:                              ;   in Loop: Header=BB185_162 Depth=1
	v_cmp_ngt_f64_e64 s1, 0x20000000, |v[10:11]|
	v_cmp_ngt_f64_e64 s2, 0x20000000, |v[12:13]|
                                        ; implicit-def: $vgpr34_vgpr35
	s_or_b32 s1, s1, s2
	s_delay_alu instid0(SALU_CYCLE_1) | instskip(NEXT) | instid1(SALU_CYCLE_1)
	s_and_saveexec_b32 s2, s1
	s_xor_b32 s1, exec_lo, s2
	s_cbranch_execz .LBB185_227
; %bb.226:                              ;   in Loop: Header=BB185_162 Depth=1
	v_mul_f64_e32 v[34:35], v[12:13], v[12:13]
	s_delay_alu instid0(VALU_DEP_1)
	v_fmac_f64_e32 v[34:35], v[10:11], v[10:11]
.LBB185_227:                            ;   in Loop: Header=BB185_162 Depth=1
	s_and_not1_saveexec_b32 s1, s1
	s_cbranch_execz .LBB185_229
; %bb.228:                              ;   in Loop: Header=BB185_162 Depth=1
	v_mul_f64_e32 v[6:7], 4.0, v[12:13]
	v_mul_f64_e32 v[10:11], 4.0, v[10:11]
	s_delay_alu instid0(VALU_DEP_2) | instskip(NEXT) | instid1(VALU_DEP_1)
	v_mul_f64_e32 v[6:7], v[6:7], v[6:7]
	v_fmac_f64_e32 v[6:7], v[10:11], v[10:11]
	s_delay_alu instid0(VALU_DEP_1)
	v_ldexp_f64 v[34:35], v[6:7], -4
.LBB185_229:                            ;   in Loop: Header=BB185_162 Depth=1
	s_or_b32 exec_lo, exec_lo, s1
	s_delay_alu instid0(VALU_DEP_1) | instskip(NEXT) | instid1(VALU_DEP_1)
	v_frexp_mant_f64_e32 v[6:7], v[34:35]
	v_cmp_gt_f64_e32 vcc_lo, s[20:21], v[6:7]
	v_cndmask_b32_e64 v8, 0, 1, vcc_lo
	s_delay_alu instid0(VALU_DEP_1) | instskip(SKIP_1) | instid1(VALU_DEP_2)
	v_ldexp_f64 v[6:7], v[6:7], v8
	v_frexp_exp_i32_f64_e32 v8, v[34:35]
	v_add_f64_e32 v[10:11], 1.0, v[6:7]
	v_add_f64_e32 v[38:39], -1.0, v[6:7]
	s_delay_alu instid0(VALU_DEP_3) | instskip(SKIP_1) | instid1(VALU_DEP_4)
	v_subrev_co_ci_u32_e64 v8, null, 0, v8, vcc_lo
	v_cmp_class_f64_e64 vcc_lo, v[34:35], 0x204
	v_rcp_f64_e32 v[32:33], v[10:11]
	v_add_f64_e32 v[40:41], -1.0, v[10:11]
	s_delay_alu instid0(VALU_DEP_1) | instskip(NEXT) | instid1(TRANS32_DEP_1)
	v_add_f64_e64 v[6:7], v[6:7], -v[40:41]
	v_fma_f64 v[36:37], -v[10:11], v[32:33], 1.0
	s_delay_alu instid0(VALU_DEP_1) | instskip(NEXT) | instid1(VALU_DEP_1)
	v_fmac_f64_e32 v[32:33], v[36:37], v[32:33]
	v_fma_f64 v[36:37], -v[10:11], v[32:33], 1.0
	s_delay_alu instid0(VALU_DEP_1) | instskip(NEXT) | instid1(VALU_DEP_1)
	v_fmac_f64_e32 v[32:33], v[36:37], v[32:33]
	v_mul_f64_e32 v[36:37], v[38:39], v[32:33]
	s_delay_alu instid0(VALU_DEP_1) | instskip(NEXT) | instid1(VALU_DEP_1)
	v_mul_f64_e32 v[42:43], v[10:11], v[36:37]
	v_fma_f64 v[10:11], v[36:37], v[10:11], -v[42:43]
	s_delay_alu instid0(VALU_DEP_1) | instskip(NEXT) | instid1(VALU_DEP_1)
	v_fmac_f64_e32 v[10:11], v[36:37], v[6:7]
	v_add_f64_e32 v[6:7], v[42:43], v[10:11]
	s_delay_alu instid0(VALU_DEP_1) | instskip(SKIP_1) | instid1(VALU_DEP_2)
	v_add_f64_e64 v[40:41], v[38:39], -v[6:7]
	v_add_f64_e64 v[42:43], v[6:7], -v[42:43]
	;; [unrolled: 1-line block ×3, first 2 shown]
	s_delay_alu instid0(VALU_DEP_2) | instskip(NEXT) | instid1(VALU_DEP_2)
	v_add_f64_e64 v[10:11], v[42:43], -v[10:11]
	v_add_f64_e64 v[6:7], v[38:39], -v[6:7]
	s_delay_alu instid0(VALU_DEP_1) | instskip(NEXT) | instid1(VALU_DEP_1)
	v_add_f64_e32 v[6:7], v[10:11], v[6:7]
	v_add_f64_e32 v[6:7], v[40:41], v[6:7]
	s_delay_alu instid0(VALU_DEP_1) | instskip(NEXT) | instid1(VALU_DEP_1)
	v_mul_f64_e32 v[6:7], v[32:33], v[6:7]
	v_add_f64_e32 v[10:11], v[36:37], v[6:7]
	s_delay_alu instid0(VALU_DEP_1) | instskip(NEXT) | instid1(VALU_DEP_1)
	v_mul_f64_e32 v[32:33], v[10:11], v[10:11]
	v_fmamk_f64 v[38:39], v[32:33], 0x3fc3ab76bf559e2b, v[22:23]
	v_mul_f64_e32 v[40:41], v[10:11], v[32:33]
	s_delay_alu instid0(VALU_DEP_2) | instskip(NEXT) | instid1(VALU_DEP_1)
	v_fmaak_f64 v[38:39], v[32:33], v[38:39], 0x3fc7474dd7f4df2e
	v_fmaak_f64 v[38:39], v[32:33], v[38:39], 0x3fcc71c016291751
	s_delay_alu instid0(VALU_DEP_1) | instskip(NEXT) | instid1(VALU_DEP_1)
	v_fmaak_f64 v[38:39], v[32:33], v[38:39], 0x3fd249249b27acf1
	v_fmaak_f64 v[38:39], v[32:33], v[38:39], 0x3fd99999998ef7b6
	s_delay_alu instid0(VALU_DEP_1) | instskip(SKIP_2) | instid1(VALU_DEP_3)
	v_fmaak_f64 v[32:33], v[32:33], v[38:39], 0x3fe5555555555780
	v_ldexp_f64 v[38:39], v[10:11], 1
	v_add_f64_e64 v[10:11], v[10:11], -v[36:37]
	v_mul_f64_e32 v[32:33], v[40:41], v[32:33]
	v_cvt_f64_i32_e32 v[40:41], v8
	s_delay_alu instid0(VALU_DEP_3) | instskip(NEXT) | instid1(VALU_DEP_3)
	v_add_f64_e64 v[6:7], v[6:7], -v[10:11]
	v_add_f64_e32 v[36:37], v[38:39], v[32:33]
	s_delay_alu instid0(VALU_DEP_3) | instskip(NEXT) | instid1(VALU_DEP_3)
	v_mul_f64_e32 v[42:43], 0x3fe62e42fefa39ef, v[40:41]
	v_ldexp_f64 v[6:7], v[6:7], 1
	s_delay_alu instid0(VALU_DEP_3) | instskip(NEXT) | instid1(VALU_DEP_3)
	v_add_f64_e64 v[10:11], v[36:37], -v[38:39]
	v_fma_f64 v[38:39], v[40:41], s[22:23], -v[42:43]
	s_delay_alu instid0(VALU_DEP_2) | instskip(NEXT) | instid1(VALU_DEP_2)
	v_add_f64_e64 v[10:11], v[32:33], -v[10:11]
	v_fmac_f64_e32 v[38:39], 0x3c7abc9e3b39803f, v[40:41]
	s_delay_alu instid0(VALU_DEP_2) | instskip(NEXT) | instid1(VALU_DEP_2)
	v_add_f64_e32 v[6:7], v[6:7], v[10:11]
	v_add_f64_e32 v[10:11], v[42:43], v[38:39]
	s_delay_alu instid0(VALU_DEP_2) | instskip(NEXT) | instid1(VALU_DEP_2)
	v_add_f64_e32 v[32:33], v[36:37], v[6:7]
	v_add_f64_e64 v[42:43], v[10:11], -v[42:43]
	s_delay_alu instid0(VALU_DEP_2) | instskip(SKIP_1) | instid1(VALU_DEP_3)
	v_add_f64_e32 v[40:41], v[10:11], v[32:33]
	v_add_f64_e64 v[36:37], v[32:33], -v[36:37]
	v_add_f64_e64 v[38:39], v[38:39], -v[42:43]
	s_delay_alu instid0(VALU_DEP_3) | instskip(NEXT) | instid1(VALU_DEP_3)
	v_add_f64_e64 v[44:45], v[40:41], -v[10:11]
	v_add_f64_e64 v[6:7], v[6:7], -v[36:37]
	s_delay_alu instid0(VALU_DEP_2) | instskip(SKIP_1) | instid1(VALU_DEP_3)
	v_add_f64_e64 v[46:47], v[40:41], -v[44:45]
	v_add_f64_e64 v[32:33], v[32:33], -v[44:45]
	v_add_f64_e32 v[36:37], v[38:39], v[6:7]
	s_delay_alu instid0(VALU_DEP_3) | instskip(NEXT) | instid1(VALU_DEP_1)
	v_add_f64_e64 v[10:11], v[10:11], -v[46:47]
	v_add_f64_e32 v[10:11], v[32:33], v[10:11]
	s_delay_alu instid0(VALU_DEP_3) | instskip(NEXT) | instid1(VALU_DEP_2)
	v_add_f64_e64 v[32:33], v[36:37], -v[38:39]
	v_add_f64_e32 v[10:11], v[36:37], v[10:11]
	s_delay_alu instid0(VALU_DEP_2) | instskip(SKIP_1) | instid1(VALU_DEP_3)
	v_add_f64_e64 v[36:37], v[36:37], -v[32:33]
	v_add_f64_e64 v[6:7], v[6:7], -v[32:33]
	v_add_f64_e32 v[42:43], v[40:41], v[10:11]
	s_delay_alu instid0(VALU_DEP_3) | instskip(NEXT) | instid1(VALU_DEP_2)
	v_add_f64_e64 v[32:33], v[38:39], -v[36:37]
	v_add_f64_e64 v[36:37], v[42:43], -v[40:41]
	s_delay_alu instid0(VALU_DEP_2) | instskip(SKIP_1) | instid1(VALU_DEP_3)
	v_add_f64_e32 v[6:7], v[6:7], v[32:33]
	v_mov_b64_e32 v[32:33], 0x7ff8000000000000
	v_add_f64_e64 v[10:11], v[10:11], -v[36:37]
	s_delay_alu instid0(VALU_DEP_1) | instskip(NEXT) | instid1(VALU_DEP_1)
	v_add_f64_e32 v[6:7], v[6:7], v[10:11]
	v_add_f64_e32 v[6:7], v[42:43], v[6:7]
	s_delay_alu instid0(VALU_DEP_1) | instskip(SKIP_1) | instid1(VALU_DEP_2)
	v_dual_cndmask_b32 v6, v6, v34 :: v_dual_cndmask_b32 v7, v7, v35
	v_cmp_ngt_f64_e32 vcc_lo, 0, v[34:35]
	v_cndmask_b32_e32 v7, 0x7ff80000, v7, vcc_lo
	v_cmp_nge_f64_e32 vcc_lo, 0, v[34:35]
	s_delay_alu instid0(VALU_DEP_4) | instskip(SKIP_1) | instid1(VALU_DEP_4)
	v_cndmask_b32_e32 v6, 0, v6, vcc_lo
	v_cmp_neq_f64_e32 vcc_lo, 0, v[34:35]
	v_cndmask_b32_e32 v7, 0xfff00000, v7, vcc_lo
.LBB185_230:                            ;   in Loop: Header=BB185_162 Depth=1
	s_or_b32 exec_lo, exec_lo, s0
                                        ; implicit-def: $vgpr10_vgpr11
                                        ; implicit-def: $vgpr34_vgpr35
	s_delay_alu instid0(SALU_CYCLE_1)
	s_mov_b32 s0, exec_lo
	s_wait_loadcnt 0x0
	v_cmpx_o_f64_e32 v[14:15], v[16:17]
	s_xor_b32 s33, exec_lo, s0
	s_cbranch_execz .LBB185_258
; %bb.231:                              ;   in Loop: Header=BB185_162 Depth=1
	v_cmp_lt_f64_e64 s0, |v[14:15]|, |v[16:17]|
	v_and_b32_e32 v12, 0x7fffffff, v15
	v_and_b32_e32 v21, 0x7fffffff, v17
	v_mov_b32_e32 v8, v16
                                        ; implicit-def: $vgpr10_vgpr11
                                        ; implicit-def: $vgpr34_vgpr35
	s_mov_b32 s1, exec_lo
	s_delay_alu instid0(VALU_DEP_2) | instskip(NEXT) | instid1(VALU_DEP_1)
	v_dual_cndmask_b32 v39, v21, v12, s0 :: v_dual_cndmask_b32 v38, v16, v14, s0
	v_cmpx_nlt_f64_e32 s[12:13], v[38:39]
	s_xor_b32 s40, exec_lo, s1
	s_cbranch_execz .LBB185_255
; %bb.232:                              ;   in Loop: Header=BB185_162 Depth=1
	v_dual_cndmask_b32 v41, v12, v21, s0 :: v_dual_cndmask_b32 v40, v14, v8, s0
                                        ; implicit-def: $vgpr10_vgpr11
                                        ; implicit-def: $vgpr34_vgpr35
	s_mov_b32 s1, exec_lo
	s_delay_alu instid0(VALU_DEP_1)
	v_cmpx_neq_f64_e32 1.0, v[40:41]
	s_xor_b32 s41, exec_lo, s1
	s_cbranch_execz .LBB185_248
; %bb.233:                              ;   in Loop: Header=BB185_162 Depth=1
	v_max_num_f64_e32 v[10:11], v[38:39], v[38:39]
	v_max_num_f64_e32 v[34:35], v[40:41], v[40:41]
	s_delay_alu instid0(VALU_DEP_1) | instskip(SKIP_1) | instid1(VALU_DEP_2)
	v_min_num_f64_e32 v[36:37], v[34:35], v[10:11]
	v_max_num_f64_e32 v[10:11], v[34:35], v[10:11]
                                        ; implicit-def: $vgpr34_vgpr35
	v_cmp_ngt_f64_e32 vcc_lo, s[14:15], v[36:37]
	s_delay_alu instid0(VALU_DEP_2) | instskip(SKIP_1) | instid1(SALU_CYCLE_1)
	v_cmp_nlt_f64_e64 s1, s[16:17], v[10:11]
                                        ; implicit-def: $vgpr10_vgpr11
	s_and_b32 s1, s1, vcc_lo
	s_and_saveexec_b32 s2, s1
	s_delay_alu instid0(SALU_CYCLE_1)
	s_xor_b32 s42, exec_lo, s2
	s_cbranch_execz .LBB185_245
; %bb.234:                              ;   in Loop: Header=BB185_162 Depth=1
                                        ; implicit-def: $vgpr10_vgpr11
                                        ; implicit-def: $vgpr34_vgpr35
	s_mov_b32 s1, exec_lo
	v_cmpx_le_f64_e32 1.0, v[40:41]
	s_xor_b32 s4, exec_lo, s1
	s_cbranch_execz .LBB185_236
; %bb.235:                              ;   in Loop: Header=BB185_162 Depth=1
	v_add_f64_e32 v[10:11], -1.0, v[40:41]
	v_add_f64_e32 v[34:35], 1.0, v[40:41]
	v_cmp_eq_f64_e64 s1, 0, v[16:17]
	v_cmp_class_f64_e64 s6, v[14:15], 0x204
	v_cmp_class_f64_e64 s5, v[16:17], 0x204
	s_delay_alu instid0(VALU_DEP_4) | instskip(NEXT) | instid1(VALU_DEP_1)
	v_mul_f64_e32 v[36:37], v[10:11], v[34:35]
	v_fmac_f64_e32 v[36:37], v[38:39], v[38:39]
	s_delay_alu instid0(VALU_DEP_1) | instskip(SKIP_2) | instid1(VALU_DEP_3)
	v_add_f64_e32 v[10:11], 1.0, v[36:37]
	v_cmp_nge_f64_e64 s2, -1.0, v[36:37]
	v_cmp_neq_f64_e64 s3, 0x7ff00000, v[36:37]
	v_frexp_mant_f64_e32 v[34:35], v[10:11]
	v_frexp_exp_i32_f64_e32 v8, v[10:11]
	v_add_f64_e32 v[38:39], -1.0, v[10:11]
	s_delay_alu instid0(VALU_DEP_3) | instskip(NEXT) | instid1(VALU_DEP_2)
	v_cmp_gt_f64_e32 vcc_lo, s[20:21], v[34:35]
	v_add_f64_e64 v[34:35], v[38:39], -v[10:11]
	v_add_f64_e64 v[38:39], v[36:37], -v[38:39]
	v_subrev_co_ci_u32_e64 v8, null, 0, v8, vcc_lo
	s_delay_alu instid0(VALU_DEP_1) | instskip(NEXT) | instid1(VALU_DEP_1)
	v_dual_add_f64 v[34:35], 1.0, v[34:35] :: v_dual_sub_nc_u32 v12, 0, v8
	v_ldexp_f64 v[10:11], v[10:11], v12
	s_delay_alu instid0(VALU_DEP_2) | instskip(NEXT) | instid1(VALU_DEP_2)
	v_add_f64_e32 v[34:35], v[38:39], v[34:35]
	v_add_f64_e32 v[40:41], 1.0, v[10:11]
	v_add_f64_e32 v[46:47], -1.0, v[10:11]
	s_delay_alu instid0(VALU_DEP_3) | instskip(NEXT) | instid1(VALU_DEP_3)
	v_ldexp_f64 v[34:35], v[34:35], v12
	v_add_f64_e32 v[38:39], -1.0, v[40:41]
	s_delay_alu instid0(VALU_DEP_3) | instskip(NEXT) | instid1(VALU_DEP_2)
	v_add_f64_e32 v[48:49], 1.0, v[46:47]
	v_add_f64_e64 v[38:39], v[10:11], -v[38:39]
	s_delay_alu instid0(VALU_DEP_2) | instskip(NEXT) | instid1(VALU_DEP_2)
	v_add_f64_e64 v[10:11], v[10:11], -v[48:49]
	v_add_f64_e32 v[38:39], v[34:35], v[38:39]
	s_delay_alu instid0(VALU_DEP_2) | instskip(NEXT) | instid1(VALU_DEP_2)
	v_add_f64_e32 v[10:11], v[34:35], v[10:11]
	v_add_f64_e32 v[42:43], v[40:41], v[38:39]
	s_delay_alu instid0(VALU_DEP_2) | instskip(NEXT) | instid1(VALU_DEP_2)
	v_add_f64_e32 v[48:49], v[46:47], v[10:11]
	v_rcp_f64_e32 v[44:45], v[42:43]
	v_add_f64_e64 v[40:41], v[42:43], -v[40:41]
	s_delay_alu instid0(VALU_DEP_2) | instskip(NEXT) | instid1(VALU_DEP_2)
	v_add_f64_e64 v[46:47], v[48:49], -v[46:47]
	v_add_f64_e64 v[38:39], v[38:39], -v[40:41]
	s_delay_alu instid0(VALU_DEP_2) | instskip(NEXT) | instid1(TRANS32_DEP_1)
	v_add_f64_e64 v[10:11], v[10:11], -v[46:47]
	v_fma_f64 v[50:51], -v[42:43], v[44:45], 1.0
	s_delay_alu instid0(VALU_DEP_1) | instskip(NEXT) | instid1(VALU_DEP_1)
	v_fmac_f64_e32 v[44:45], v[50:51], v[44:45]
	v_fma_f64 v[34:35], -v[42:43], v[44:45], 1.0
	s_delay_alu instid0(VALU_DEP_1) | instskip(NEXT) | instid1(VALU_DEP_1)
	v_fmac_f64_e32 v[44:45], v[34:35], v[44:45]
	v_mul_f64_e32 v[34:35], v[48:49], v[44:45]
	s_delay_alu instid0(VALU_DEP_1) | instskip(NEXT) | instid1(VALU_DEP_1)
	v_mul_f64_e32 v[50:51], v[42:43], v[34:35]
	v_fma_f64 v[40:41], v[34:35], v[42:43], -v[50:51]
	s_delay_alu instid0(VALU_DEP_1) | instskip(NEXT) | instid1(VALU_DEP_1)
	v_fmac_f64_e32 v[40:41], v[34:35], v[38:39]
	v_add_f64_e32 v[52:53], v[50:51], v[40:41]
	s_delay_alu instid0(VALU_DEP_1) | instskip(SKIP_1) | instid1(VALU_DEP_2)
	v_add_f64_e64 v[54:55], v[48:49], -v[52:53]
	v_add_f64_e64 v[46:47], v[52:53], -v[50:51]
	;; [unrolled: 1-line block ×3, first 2 shown]
	s_delay_alu instid0(VALU_DEP_2) | instskip(NEXT) | instid1(VALU_DEP_2)
	v_add_f64_e64 v[40:41], v[46:47], -v[40:41]
	v_add_f64_e64 v[48:49], v[48:49], -v[52:53]
	s_delay_alu instid0(VALU_DEP_1) | instskip(NEXT) | instid1(VALU_DEP_1)
	v_add_f64_e32 v[10:11], v[10:11], v[48:49]
	v_add_f64_e32 v[10:11], v[40:41], v[10:11]
	s_delay_alu instid0(VALU_DEP_1) | instskip(NEXT) | instid1(VALU_DEP_1)
	v_add_f64_e32 v[40:41], v[54:55], v[10:11]
	v_mul_f64_e32 v[46:47], v[44:45], v[40:41]
	v_add_f64_e64 v[52:53], v[54:55], -v[40:41]
	s_delay_alu instid0(VALU_DEP_2) | instskip(NEXT) | instid1(VALU_DEP_2)
	v_mul_f64_e32 v[48:49], v[42:43], v[46:47]
	v_add_f64_e32 v[10:11], v[10:11], v[52:53]
	s_delay_alu instid0(VALU_DEP_2) | instskip(NEXT) | instid1(VALU_DEP_1)
	v_fma_f64 v[42:43], v[46:47], v[42:43], -v[48:49]
	v_fmac_f64_e32 v[42:43], v[46:47], v[38:39]
	s_delay_alu instid0(VALU_DEP_1) | instskip(NEXT) | instid1(VALU_DEP_1)
	v_add_f64_e32 v[38:39], v[48:49], v[42:43]
	v_add_f64_e64 v[50:51], v[40:41], -v[38:39]
	v_add_f64_e64 v[48:49], v[38:39], -v[48:49]
	s_delay_alu instid0(VALU_DEP_2) | instskip(NEXT) | instid1(VALU_DEP_1)
	v_add_f64_e64 v[40:41], v[40:41], -v[50:51]
	v_add_f64_e64 v[38:39], v[40:41], -v[38:39]
	s_delay_alu instid0(VALU_DEP_3) | instskip(SKIP_1) | instid1(VALU_DEP_3)
	v_add_f64_e64 v[40:41], v[48:49], -v[42:43]
	v_max_num_f64_e64 v[42:43], |v[14:15]|, |v[14:15]|
	v_add_f64_e32 v[10:11], v[10:11], v[38:39]
	v_add_f64_e32 v[38:39], v[34:35], v[46:47]
	s_delay_alu instid0(VALU_DEP_2) | instskip(NEXT) | instid1(VALU_DEP_2)
	v_add_f64_e32 v[10:11], v[40:41], v[10:11]
	v_add_f64_e64 v[34:35], v[38:39], -v[34:35]
	v_max_num_f64_e64 v[40:41], |v[16:17]|, |v[16:17]|
	s_delay_alu instid0(VALU_DEP_3) | instskip(NEXT) | instid1(VALU_DEP_3)
	v_add_f64_e32 v[10:11], v[50:51], v[10:11]
	v_add_f64_e64 v[34:35], v[46:47], -v[34:35]
	s_delay_alu instid0(VALU_DEP_2) | instskip(NEXT) | instid1(VALU_DEP_1)
	v_mul_f64_e32 v[10:11], v[44:45], v[10:11]
	v_add_f64_e32 v[10:11], v[34:35], v[10:11]
	v_max_num_f64_e32 v[34:35], v[42:43], v[40:41]
	v_min_num_f64_e32 v[40:41], v[42:43], v[40:41]
	s_delay_alu instid0(VALU_DEP_3) | instskip(NEXT) | instid1(VALU_DEP_2)
	v_add_f64_e32 v[42:43], v[38:39], v[10:11]
	v_div_scale_f64 v[44:45], null, v[34:35], v[34:35], v[40:41]
	s_delay_alu instid0(VALU_DEP_2) | instskip(SKIP_1) | instid1(VALU_DEP_3)
	v_mul_f64_e32 v[46:47], v[42:43], v[42:43]
	v_add_f64_e64 v[38:39], v[42:43], -v[38:39]
	v_rcp_f64_e32 v[48:49], v[44:45]
	s_delay_alu instid0(VALU_DEP_2) | instskip(SKIP_1) | instid1(VALU_DEP_3)
	v_fmamk_f64 v[50:51], v[46:47], 0x3fc3ab76bf559e2b, v[22:23]
	v_mul_f64_e32 v[52:53], v[42:43], v[46:47]
	v_add_f64_e64 v[10:11], v[10:11], -v[38:39]
	s_delay_alu instid0(VALU_DEP_3) | instskip(NEXT) | instid1(TRANS32_DEP_1)
	v_fmaak_f64 v[50:51], v[46:47], v[50:51], 0x3fc7474dd7f4df2e
	v_fma_f64 v[54:55], -v[44:45], v[48:49], 1.0
	s_delay_alu instid0(VALU_DEP_2) | instskip(NEXT) | instid1(VALU_DEP_1)
	v_fmaak_f64 v[50:51], v[46:47], v[50:51], 0x3fcc71c016291751
	v_fmaak_f64 v[50:51], v[46:47], v[50:51], 0x3fd249249b27acf1
	s_delay_alu instid0(VALU_DEP_1) | instskip(SKIP_1) | instid1(VALU_DEP_2)
	v_fmaak_f64 v[50:51], v[46:47], v[50:51], 0x3fd99999998ef7b6
	v_ldexp_f64 v[10:11], v[10:11], 1
	v_fmaak_f64 v[46:47], v[46:47], v[50:51], 0x3fe5555555555780
	v_ldexp_f64 v[50:51], v[42:43], 1
	v_fmac_f64_e32 v[48:49], v[48:49], v[54:55]
	s_delay_alu instid0(VALU_DEP_3) | instskip(SKIP_2) | instid1(VALU_DEP_1)
	v_mul_f64_e32 v[46:47], v[52:53], v[46:47]
	v_cvt_f64_i32_e32 v[52:53], v8
	v_ashrrev_i32_e32 v8, 31, v15
	v_and_b32_e32 v21, 0x54442d18, v8
	v_and_b32_e32 v8, 0x400921fb, v8
	v_fma_f64 v[54:55], -v[44:45], v[48:49], 1.0
	v_add_f64_e32 v[42:43], v[50:51], v[46:47]
	v_mul_f64_e32 v[56:57], 0x3fe62e42fefa39ef, v[52:53]
	s_delay_alu instid0(VALU_DEP_3) | instskip(NEXT) | instid1(VALU_DEP_3)
	v_fmac_f64_e32 v[48:49], v[48:49], v[54:55]
	v_add_f64_e64 v[38:39], v[42:43], -v[50:51]
	v_div_scale_f64 v[50:51], vcc_lo, v[40:41], v[34:35], v[40:41]
	s_delay_alu instid0(VALU_DEP_4) | instskip(NEXT) | instid1(VALU_DEP_3)
	v_fma_f64 v[54:55], v[52:53], s[22:23], -v[56:57]
	v_add_f64_e64 v[38:39], v[46:47], -v[38:39]
	s_delay_alu instid0(VALU_DEP_3) | instskip(NEXT) | instid1(VALU_DEP_3)
	v_mul_f64_e32 v[46:47], v[50:51], v[48:49]
	v_fmac_f64_e32 v[54:55], 0x3c7abc9e3b39803f, v[52:53]
	s_delay_alu instid0(VALU_DEP_3) | instskip(NEXT) | instid1(VALU_DEP_3)
	v_add_f64_e32 v[10:11], v[10:11], v[38:39]
	v_fma_f64 v[38:39], -v[44:45], v[46:47], v[50:51]
	s_delay_alu instid0(VALU_DEP_3) | instskip(NEXT) | instid1(VALU_DEP_3)
	v_add_f64_e32 v[44:45], v[56:57], v[54:55]
	v_add_f64_e32 v[50:51], v[42:43], v[10:11]
	s_delay_alu instid0(VALU_DEP_3) | instskip(SKIP_1) | instid1(VALU_DEP_4)
	v_div_fmas_f64 v[38:39], v[38:39], v[48:49], v[46:47]
	v_cmp_gt_i32_e32 vcc_lo, 0, v15
	v_add_f64_e64 v[48:49], v[44:45], -v[56:57]
	v_cndmask_b32_e32 v12, 0x54442d18, v60, vcc_lo
	v_cndmask_b32_e32 v14, 0x3fe921fb, v61, vcc_lo
	s_delay_alu instid0(VALU_DEP_1) | instskip(SKIP_4) | instid1(VALU_DEP_4)
	v_bfi_b32 v14, 0x7fffffff, v14, v17
	v_add_f64_e32 v[46:47], v[44:45], v[50:51]
	v_div_fixup_f64 v[34:35], v[38:39], v[34:35], v[40:41]
	v_add_f64_e64 v[42:43], v[50:51], -v[42:43]
	v_add_f64_e64 v[48:49], v[54:55], -v[48:49]
	;; [unrolled: 1-line block ×3, first 2 shown]
	s_delay_alu instid0(VALU_DEP_4) | instskip(NEXT) | instid1(VALU_DEP_4)
	v_mul_f64_e32 v[40:41], v[34:35], v[34:35]
	v_add_f64_e64 v[10:11], v[10:11], -v[42:43]
	s_delay_alu instid0(VALU_DEP_3) | instskip(NEXT) | instid1(VALU_DEP_3)
	v_add_f64_e64 v[52:53], v[46:47], -v[38:39]
	v_fmamk_f64 v[56:57], v[40:41], 0x3eeba404b5e68a13, v[24:25]
	v_add_f64_e64 v[38:39], v[50:51], -v[38:39]
	s_delay_alu instid0(VALU_DEP_4) | instskip(NEXT) | instid1(VALU_DEP_3)
	v_add_f64_e32 v[50:51], v[48:49], v[10:11]
	v_fmaak_f64 v[56:57], v[40:41], v[56:57], 0x3f4b2bb069efb384
	v_add_f64_e64 v[42:43], v[44:45], -v[52:53]
	s_delay_alu instid0(VALU_DEP_2) | instskip(NEXT) | instid1(VALU_DEP_1)
	v_fmaak_f64 v[44:45], v[40:41], v[56:57], 0xbf67952daf56de9b
	v_fmaak_f64 v[44:45], v[40:41], v[44:45], 0x3f7d6d43a595c56f
	s_delay_alu instid0(VALU_DEP_1) | instskip(NEXT) | instid1(VALU_DEP_1)
	v_fmaak_f64 v[44:45], v[40:41], v[44:45], 0xbf8c6ea4a57d9582
	v_fmaak_f64 v[44:45], v[40:41], v[44:45], 0x3f967e295f08b19f
	s_delay_alu instid0(VALU_DEP_1) | instskip(SKIP_1) | instid1(VALU_DEP_2)
	v_fmaak_f64 v[44:45], v[40:41], v[44:45], 0xbf9e9ae6fc27006a
	v_add_f64_e32 v[38:39], v[38:39], v[42:43]
	v_fmaak_f64 v[42:43], v[40:41], v[44:45], 0x3fa2c15b5711927a
	v_add_f64_e64 v[44:45], v[50:51], -v[48:49]
	s_delay_alu instid0(VALU_DEP_2) | instskip(NEXT) | instid1(VALU_DEP_1)
	v_fmaak_f64 v[42:43], v[40:41], v[42:43], 0xbfa59976e82d3ff0
	v_fmaak_f64 v[42:43], v[40:41], v[42:43], 0x3fa82d5d6ef28734
	s_delay_alu instid0(VALU_DEP_1) | instskip(NEXT) | instid1(VALU_DEP_1)
	v_fmaak_f64 v[42:43], v[40:41], v[42:43], 0xbfaae5ce6a214619
	v_fmaak_f64 v[42:43], v[40:41], v[42:43], 0x3fae1bb48427b883
	v_add_f64_e32 v[38:39], v[50:51], v[38:39]
	v_add_f64_e64 v[50:51], v[50:51], -v[44:45]
	v_add_f64_e64 v[10:11], v[10:11], -v[44:45]
	s_delay_alu instid0(VALU_DEP_4) | instskip(NEXT) | instid1(VALU_DEP_1)
	v_fmaak_f64 v[42:43], v[40:41], v[42:43], 0xbfb110e48b207f05
	v_fmaak_f64 v[42:43], v[40:41], v[42:43], 0x3fb3b13657b87036
	s_delay_alu instid0(VALU_DEP_1) | instskip(NEXT) | instid1(VALU_DEP_1)
	v_fmaak_f64 v[42:43], v[40:41], v[42:43], 0xbfb745d119378e4f
	v_fmaak_f64 v[42:43], v[40:41], v[42:43], 0x3fbc71c717e1913c
	v_add_f64_e32 v[52:53], v[46:47], v[38:39]
	s_delay_alu instid0(VALU_DEP_2) | instskip(NEXT) | instid1(VALU_DEP_1)
	v_fmaak_f64 v[42:43], v[40:41], v[42:43], 0xbfc2492492376b7d
	v_fmaak_f64 v[42:43], v[40:41], v[42:43], 0x3fc99999999952cc
	s_delay_alu instid0(VALU_DEP_1) | instskip(NEXT) | instid1(VALU_DEP_1)
	v_fmaak_f64 v[42:43], v[40:41], v[42:43], 0xbfd5555555555523
	v_mul_f64_e32 v[40:41], v[40:41], v[42:43]
	v_add_f64_e64 v[42:43], v[48:49], -v[50:51]
	v_add_f64_e64 v[44:45], v[52:53], -v[46:47]
	s_delay_alu instid0(VALU_DEP_3) | instskip(NEXT) | instid1(VALU_DEP_3)
	v_fmac_f64_e32 v[34:35], v[34:35], v[40:41]
	v_add_f64_e32 v[10:11], v[10:11], v[42:43]
	s_delay_alu instid0(VALU_DEP_3) | instskip(NEXT) | instid1(VALU_DEP_3)
	v_add_f64_e64 v[38:39], v[38:39], -v[44:45]
	v_add_f64_e64 v[40:41], -v[34:35], s[24:25]
	s_delay_alu instid0(VALU_DEP_2) | instskip(NEXT) | instid1(VALU_DEP_2)
	v_add_f64_e32 v[10:11], v[10:11], v[38:39]
	v_dual_cndmask_b32 v35, v35, v41, s0 :: v_dual_cndmask_b32 v34, v34, v40, s0
                                        ; implicit-def: $vgpr40_vgpr41
	s_delay_alu instid0(VALU_DEP_1) | instskip(NEXT) | instid1(VALU_DEP_3)
	v_add_f64_e64 v[38:39], -v[34:35], s[26:27]
	v_add_f64_e32 v[10:11], v[52:53], v[10:11]
	s_delay_alu instid0(VALU_DEP_2) | instskip(SKIP_1) | instid1(VALU_DEP_3)
	v_dual_cndmask_b32 v34, v34, v38 :: v_dual_cndmask_b32 v15, v35, v39
	v_cmp_ngt_f64_e32 vcc_lo, -1.0, v[36:37]
	v_mul_f64_e32 v[10:11], 0.5, v[10:11]
                                        ; implicit-def: $vgpr38_vgpr39
	s_delay_alu instid0(VALU_DEP_3)
	v_dual_cndmask_b32 v21, v34, v21, s1 :: v_dual_cndmask_b32 v8, v15, v8, s1
	s_and_b32 s1, s2, s3
	s_delay_alu instid0(VALU_DEP_2) | instid1(SALU_CYCLE_1)
	v_cndmask_b32_e64 v10, 0, v10, s1
	v_cmp_neq_f64_e64 s1, -1.0, v[36:37]
	s_delay_alu instid0(VALU_DEP_4) | instskip(NEXT) | instid1(VALU_DEP_1)
	v_cndmask_b32_e64 v11, 0x7ff00000, v11, s3
	v_cndmask_b32_e32 v11, 0x7ff80000, v11, vcc_lo
	s_and_b32 vcc_lo, s6, s5
	v_dual_cndmask_b32 v35, v8, v14 :: v_dual_cndmask_b32 v34, v21, v12
	s_delay_alu instid0(VALU_DEP_2)
	v_cndmask_b32_e64 v11, 0xfff00000, v11, s1
.LBB185_236:                            ;   in Loop: Header=BB185_162 Depth=1
	s_and_not1_saveexec_b32 s43, s4
	s_cbranch_execz .LBB185_244
; %bb.237:                              ;   in Loop: Header=BB185_162 Depth=1
	v_mul_f64_e32 v[36:37], v[38:39], v[38:39]
                                        ; implicit-def: $vgpr10_vgpr11
                                        ; implicit-def: $vgpr34_vgpr35
	s_mov_b32 s1, exec_lo
	s_delay_alu instid0(VALU_DEP_1) | instskip(NEXT) | instid1(VALU_DEP_1)
	v_fmac_f64_e32 v[36:37], v[40:41], v[40:41]
	v_cmpx_ge_f64_e32 s[28:29], v[36:37]
	s_xor_b32 s3, exec_lo, s1
	s_cbranch_execz .LBB185_239
; %bb.238:                              ;   in Loop: Header=BB185_162 Depth=1
	v_frexp_mant_f64_e32 v[10:11], v[36:37]
	v_cmp_eq_f64_e64 s1, 0, v[16:17]
	v_cmp_neq_f64_e64 s2, 0, v[36:37]
	v_cmp_class_f64_e64 s4, v[16:17], 0x204
	v_cmp_class_f64_e64 s5, v[14:15], 0x204
	v_cmp_gt_f64_e32 vcc_lo, s[20:21], v[10:11]
	v_cndmask_b32_e64 v8, 0, 1, vcc_lo
	s_delay_alu instid0(VALU_DEP_1) | instskip(SKIP_1) | instid1(VALU_DEP_2)
	v_ldexp_f64 v[10:11], v[10:11], v8
	v_frexp_exp_i32_f64_e32 v8, v[36:37]
	v_add_f64_e32 v[34:35], 1.0, v[10:11]
	v_add_f64_e32 v[42:43], -1.0, v[10:11]
	s_delay_alu instid0(VALU_DEP_3) | instskip(NEXT) | instid1(VALU_DEP_3)
	v_subrev_co_ci_u32_e64 v8, null, 0, v8, vcc_lo
	v_rcp_f64_e32 v[38:39], v[34:35]
	v_add_f64_e32 v[44:45], -1.0, v[34:35]
	s_delay_alu instid0(VALU_DEP_1) | instskip(NEXT) | instid1(TRANS32_DEP_1)
	v_add_f64_e64 v[10:11], v[10:11], -v[44:45]
	v_fma_f64 v[40:41], -v[34:35], v[38:39], 1.0
	s_delay_alu instid0(VALU_DEP_1) | instskip(NEXT) | instid1(VALU_DEP_1)
	v_fmac_f64_e32 v[38:39], v[40:41], v[38:39]
	v_fma_f64 v[40:41], -v[34:35], v[38:39], 1.0
	s_delay_alu instid0(VALU_DEP_1) | instskip(NEXT) | instid1(VALU_DEP_1)
	v_fmac_f64_e32 v[38:39], v[40:41], v[38:39]
	v_mul_f64_e32 v[40:41], v[42:43], v[38:39]
	s_delay_alu instid0(VALU_DEP_1) | instskip(NEXT) | instid1(VALU_DEP_1)
	v_mul_f64_e32 v[46:47], v[34:35], v[40:41]
	v_fma_f64 v[34:35], v[40:41], v[34:35], -v[46:47]
	s_delay_alu instid0(VALU_DEP_1) | instskip(NEXT) | instid1(VALU_DEP_1)
	v_fmac_f64_e32 v[34:35], v[40:41], v[10:11]
	v_add_f64_e32 v[10:11], v[46:47], v[34:35]
	s_delay_alu instid0(VALU_DEP_1) | instskip(SKIP_1) | instid1(VALU_DEP_2)
	v_add_f64_e64 v[44:45], v[42:43], -v[10:11]
	v_add_f64_e64 v[46:47], v[10:11], -v[46:47]
	;; [unrolled: 1-line block ×3, first 2 shown]
	s_delay_alu instid0(VALU_DEP_2) | instskip(NEXT) | instid1(VALU_DEP_2)
	v_add_f64_e64 v[34:35], v[46:47], -v[34:35]
	v_add_f64_e64 v[10:11], v[42:43], -v[10:11]
	v_max_num_f64_e64 v[42:43], |v[14:15]|, |v[14:15]|
	s_delay_alu instid0(VALU_DEP_2) | instskip(SKIP_1) | instid1(VALU_DEP_2)
	v_add_f64_e32 v[10:11], v[34:35], v[10:11]
	v_max_num_f64_e64 v[34:35], |v[16:17]|, |v[16:17]|
	v_add_f64_e32 v[10:11], v[44:45], v[10:11]
	s_delay_alu instid0(VALU_DEP_1) | instskip(NEXT) | instid1(VALU_DEP_3)
	v_mul_f64_e32 v[10:11], v[38:39], v[10:11]
	v_max_num_f64_e32 v[38:39], v[42:43], v[34:35]
	v_min_num_f64_e32 v[34:35], v[42:43], v[34:35]
	s_delay_alu instid0(VALU_DEP_3) | instskip(NEXT) | instid1(VALU_DEP_2)
	v_add_f64_e32 v[42:43], v[40:41], v[10:11]
	v_div_scale_f64 v[44:45], null, v[38:39], v[38:39], v[34:35]
	s_delay_alu instid0(VALU_DEP_2) | instskip(SKIP_1) | instid1(VALU_DEP_3)
	v_mul_f64_e32 v[46:47], v[42:43], v[42:43]
	v_add_f64_e64 v[40:41], v[42:43], -v[40:41]
	v_rcp_f64_e32 v[48:49], v[44:45]
	s_delay_alu instid0(VALU_DEP_2) | instskip(SKIP_1) | instid1(VALU_DEP_3)
	v_fmamk_f64 v[50:51], v[46:47], 0x3fc3ab76bf559e2b, v[22:23]
	v_mul_f64_e32 v[52:53], v[42:43], v[46:47]
	v_add_f64_e64 v[10:11], v[10:11], -v[40:41]
	s_delay_alu instid0(VALU_DEP_3) | instskip(NEXT) | instid1(TRANS32_DEP_1)
	v_fmaak_f64 v[50:51], v[46:47], v[50:51], 0x3fc7474dd7f4df2e
	v_fma_f64 v[54:55], -v[44:45], v[48:49], 1.0
	s_delay_alu instid0(VALU_DEP_2) | instskip(NEXT) | instid1(VALU_DEP_1)
	v_fmaak_f64 v[50:51], v[46:47], v[50:51], 0x3fcc71c016291751
	v_fmaak_f64 v[50:51], v[46:47], v[50:51], 0x3fd249249b27acf1
	s_delay_alu instid0(VALU_DEP_1) | instskip(SKIP_1) | instid1(VALU_DEP_2)
	v_fmaak_f64 v[50:51], v[46:47], v[50:51], 0x3fd99999998ef7b6
	v_ldexp_f64 v[10:11], v[10:11], 1
	v_fmaak_f64 v[46:47], v[46:47], v[50:51], 0x3fe5555555555780
	v_ldexp_f64 v[50:51], v[42:43], 1
	v_fmac_f64_e32 v[48:49], v[48:49], v[54:55]
	s_delay_alu instid0(VALU_DEP_3) | instskip(SKIP_2) | instid1(VALU_DEP_1)
	v_mul_f64_e32 v[46:47], v[52:53], v[46:47]
	v_cvt_f64_i32_e32 v[52:53], v8
	v_ashrrev_i32_e32 v8, 31, v15
	v_and_b32_e32 v21, 0x54442d18, v8
	v_and_b32_e32 v8, 0x400921fb, v8
	v_fma_f64 v[54:55], -v[44:45], v[48:49], 1.0
	v_add_f64_e32 v[42:43], v[50:51], v[46:47]
	v_mul_f64_e32 v[56:57], 0x3fe62e42fefa39ef, v[52:53]
	s_delay_alu instid0(VALU_DEP_3) | instskip(NEXT) | instid1(VALU_DEP_3)
	v_fmac_f64_e32 v[48:49], v[48:49], v[54:55]
	v_add_f64_e64 v[40:41], v[42:43], -v[50:51]
	v_div_scale_f64 v[50:51], vcc_lo, v[34:35], v[38:39], v[34:35]
	s_delay_alu instid0(VALU_DEP_4) | instskip(NEXT) | instid1(VALU_DEP_3)
	v_fma_f64 v[54:55], v[52:53], s[22:23], -v[56:57]
	v_add_f64_e64 v[40:41], v[46:47], -v[40:41]
	s_delay_alu instid0(VALU_DEP_3) | instskip(NEXT) | instid1(VALU_DEP_3)
	v_mul_f64_e32 v[46:47], v[50:51], v[48:49]
	v_fmac_f64_e32 v[54:55], 0x3c7abc9e3b39803f, v[52:53]
	s_delay_alu instid0(VALU_DEP_3) | instskip(NEXT) | instid1(VALU_DEP_3)
	v_add_f64_e32 v[10:11], v[10:11], v[40:41]
	v_fma_f64 v[40:41], -v[44:45], v[46:47], v[50:51]
	s_delay_alu instid0(VALU_DEP_3) | instskip(NEXT) | instid1(VALU_DEP_3)
	v_add_f64_e32 v[44:45], v[56:57], v[54:55]
	v_add_f64_e32 v[50:51], v[42:43], v[10:11]
	s_delay_alu instid0(VALU_DEP_3) | instskip(SKIP_1) | instid1(VALU_DEP_4)
	v_div_fmas_f64 v[40:41], v[40:41], v[48:49], v[46:47]
	v_cmp_gt_i32_e32 vcc_lo, 0, v15
	v_add_f64_e64 v[48:49], v[44:45], -v[56:57]
	v_cndmask_b32_e32 v14, 0x3fe921fb, v61, vcc_lo
	v_cndmask_b32_e32 v12, 0x54442d18, v60, vcc_lo
	s_delay_alu instid0(VALU_DEP_2) | instskip(SKIP_4) | instid1(VALU_DEP_4)
	v_bfi_b32 v14, 0x7fffffff, v14, v17
	v_add_f64_e32 v[46:47], v[44:45], v[50:51]
	v_div_fixup_f64 v[34:35], v[40:41], v[38:39], v[34:35]
	v_add_f64_e64 v[42:43], v[50:51], -v[42:43]
	v_add_f64_e64 v[48:49], v[54:55], -v[48:49]
	v_add_f64_e64 v[38:39], v[46:47], -v[44:45]
	s_delay_alu instid0(VALU_DEP_4) | instskip(NEXT) | instid1(VALU_DEP_4)
	v_mul_f64_e32 v[40:41], v[34:35], v[34:35]
	v_add_f64_e64 v[10:11], v[10:11], -v[42:43]
	s_delay_alu instid0(VALU_DEP_3) | instskip(NEXT) | instid1(VALU_DEP_3)
	v_add_f64_e64 v[52:53], v[46:47], -v[38:39]
	v_fmamk_f64 v[56:57], v[40:41], 0x3eeba404b5e68a13, v[24:25]
	v_add_f64_e64 v[38:39], v[50:51], -v[38:39]
	s_delay_alu instid0(VALU_DEP_4) | instskip(NEXT) | instid1(VALU_DEP_3)
	v_add_f64_e32 v[50:51], v[48:49], v[10:11]
	v_fmaak_f64 v[56:57], v[40:41], v[56:57], 0x3f4b2bb069efb384
	s_delay_alu instid0(VALU_DEP_1) | instskip(SKIP_1) | instid1(VALU_DEP_2)
	v_fmaak_f64 v[56:57], v[40:41], v[56:57], 0xbf67952daf56de9b
	v_add_f64_e64 v[42:43], v[44:45], -v[52:53]
	v_fmaak_f64 v[44:45], v[40:41], v[56:57], 0x3f7d6d43a595c56f
	s_delay_alu instid0(VALU_DEP_1) | instskip(NEXT) | instid1(VALU_DEP_1)
	v_fmaak_f64 v[44:45], v[40:41], v[44:45], 0xbf8c6ea4a57d9582
	v_fmaak_f64 v[44:45], v[40:41], v[44:45], 0x3f967e295f08b19f
	s_delay_alu instid0(VALU_DEP_1) | instskip(NEXT) | instid1(VALU_DEP_1)
	v_fmaak_f64 v[44:45], v[40:41], v[44:45], 0xbf9e9ae6fc27006a
	v_fmaak_f64 v[44:45], v[40:41], v[44:45], 0x3fa2c15b5711927a
	v_add_f64_e32 v[38:39], v[38:39], v[42:43]
	s_delay_alu instid0(VALU_DEP_2) | instskip(SKIP_1) | instid1(VALU_DEP_2)
	v_fmaak_f64 v[42:43], v[40:41], v[44:45], 0xbfa59976e82d3ff0
	v_add_f64_e64 v[44:45], v[50:51], -v[48:49]
	v_fmaak_f64 v[42:43], v[40:41], v[42:43], 0x3fa82d5d6ef28734
	s_delay_alu instid0(VALU_DEP_1) | instskip(NEXT) | instid1(VALU_DEP_1)
	v_fmaak_f64 v[42:43], v[40:41], v[42:43], 0xbfaae5ce6a214619
	v_fmaak_f64 v[42:43], v[40:41], v[42:43], 0x3fae1bb48427b883
	s_delay_alu instid0(VALU_DEP_1) | instskip(SKIP_3) | instid1(VALU_DEP_4)
	v_fmaak_f64 v[42:43], v[40:41], v[42:43], 0xbfb110e48b207f05
	v_add_f64_e32 v[38:39], v[50:51], v[38:39]
	v_add_f64_e64 v[50:51], v[50:51], -v[44:45]
	v_add_f64_e64 v[10:11], v[10:11], -v[44:45]
	v_fmaak_f64 v[42:43], v[40:41], v[42:43], 0x3fb3b13657b87036
	s_delay_alu instid0(VALU_DEP_1) | instskip(NEXT) | instid1(VALU_DEP_1)
	v_fmaak_f64 v[42:43], v[40:41], v[42:43], 0xbfb745d119378e4f
	v_fmaak_f64 v[42:43], v[40:41], v[42:43], 0x3fbc71c717e1913c
	s_delay_alu instid0(VALU_DEP_1) | instskip(SKIP_1) | instid1(VALU_DEP_2)
	v_fmaak_f64 v[42:43], v[40:41], v[42:43], 0xbfc2492492376b7d
	v_add_f64_e32 v[52:53], v[46:47], v[38:39]
	v_fmaak_f64 v[42:43], v[40:41], v[42:43], 0x3fc99999999952cc
	s_delay_alu instid0(VALU_DEP_1) | instskip(NEXT) | instid1(VALU_DEP_1)
	v_fmaak_f64 v[42:43], v[40:41], v[42:43], 0xbfd5555555555523
	v_mul_f64_e32 v[40:41], v[40:41], v[42:43]
	v_add_f64_e64 v[42:43], v[48:49], -v[50:51]
	v_add_f64_e64 v[44:45], v[52:53], -v[46:47]
	s_delay_alu instid0(VALU_DEP_3) | instskip(NEXT) | instid1(VALU_DEP_3)
	v_fmac_f64_e32 v[34:35], v[34:35], v[40:41]
	v_add_f64_e32 v[10:11], v[10:11], v[42:43]
	s_delay_alu instid0(VALU_DEP_3) | instskip(NEXT) | instid1(VALU_DEP_3)
	v_add_f64_e64 v[38:39], v[38:39], -v[44:45]
	v_add_f64_e64 v[40:41], -v[34:35], s[24:25]
	s_delay_alu instid0(VALU_DEP_2) | instskip(NEXT) | instid1(VALU_DEP_2)
	v_add_f64_e32 v[10:11], v[10:11], v[38:39]
	v_dual_cndmask_b32 v35, v35, v41, s0 :: v_dual_cndmask_b32 v34, v34, v40, s0
                                        ; implicit-def: $vgpr40_vgpr41
	s_delay_alu instid0(VALU_DEP_1) | instskip(NEXT) | instid1(VALU_DEP_3)
	v_add_f64_e64 v[38:39], -v[34:35], s[26:27]
	v_add_f64_e32 v[10:11], v[52:53], v[10:11]
	s_delay_alu instid0(VALU_DEP_2) | instskip(SKIP_1) | instid1(VALU_DEP_1)
	v_dual_cndmask_b32 v34, v34, v38 :: v_dual_cndmask_b32 v15, v35, v39
	s_and_b32 vcc_lo, s5, s4
                                        ; implicit-def: $vgpr38_vgpr39
	v_dual_cndmask_b32 v21, v34, v21, s1 :: v_dual_cndmask_b32 v8, v15, v8, s1
	s_delay_alu instid0(VALU_DEP_1) | instskip(NEXT) | instid1(VALU_DEP_2)
	v_dual_mul_f64 v[10:11], 0.5, v[10:11] :: v_dual_cndmask_b32 v34, v21, v12, vcc_lo
	v_cndmask_b32_e32 v35, v8, v14, vcc_lo
	s_delay_alu instid0(VALU_DEP_2) | instskip(NEXT) | instid1(VALU_DEP_3)
	v_cndmask_b32_e64 v11, 0xfff00000, v11, s2
	v_cndmask_b32_e64 v10, 0, v10, s2
.LBB185_239:                            ;   in Loop: Header=BB185_162 Depth=1
	s_and_not1_saveexec_b32 s44, s3
	s_cbranch_execz .LBB185_243
; %bb.240:                              ;   in Loop: Header=BB185_162 Depth=1
	v_and_b32_e32 v21, 0x7ffffff8, v41
	v_and_b32_e32 v35, 0x7ffffff8, v39
	v_mov_b32_e32 v34, v20
	s_mov_b32 s45, 0
	v_mov_b32_e32 v42, v20
	v_add_f64_e64 v[10:11], v[40:41], -v[20:21]
	s_delay_alu instid0(VALU_DEP_3)
	v_dual_add_f64 v[36:37], v[38:39], -v[34:35] :: v_dual_mov_b32 v40, v20
	v_add_f64_e32 v[44:45], v[20:21], v[20:21]
	v_mul_f64_e32 v[38:39], v[34:35], v[34:35]
	v_add_f64_e32 v[52:53], v[34:35], v[34:35]
	v_and_b32_e32 v41, -8, v11
	v_and_b32_e32 v43, -8, v37
	s_delay_alu instid0(VALU_DEP_2) | instskip(SKIP_1) | instid1(VALU_DEP_3)
	v_add_f64_e64 v[54:55], v[10:11], -v[40:41]
	v_add_f64_e32 v[58:59], v[40:41], v[40:41]
	v_add_f64_e64 v[56:57], v[36:37], -v[42:43]
	v_add_f64_e32 v[62:63], v[42:43], v[42:43]
	v_mul_f64_e32 v[10:11], v[20:21], v[20:21]
	v_mul_f64_e32 v[50:51], v[44:45], v[40:41]
	;; [unrolled: 1-line block ×11, first 2 shown]
.LBB185_241:                            ;   Parent Loop BB185_162 Depth=1
                                        ; =>  This Inner Loop Header: Depth=2
	v_cmp_nlt_f64_e32 vcc_lo, v[10:11], v[38:39]
	v_dual_cndmask_b32 v57, v11, v39 :: v_dual_cndmask_b32 v56, v10, v38
	v_dual_cndmask_b32 v11, v39, v11 :: v_dual_cndmask_b32 v10, v38, v10
	s_delay_alu instid0(VALU_DEP_2) | instskip(NEXT) | instid1(VALU_DEP_1)
	v_cmp_nlt_f64_e64 s1, v[56:57], v[50:51]
	v_dual_cndmask_b32 v59, v57, v51, s1 :: v_dual_cndmask_b32 v58, v56, v50, s1
	v_dual_cndmask_b32 v39, v51, v57, s1 :: v_dual_cndmask_b32 v38, v50, v56, s1
	s_and_b32 s1, vcc_lo, s1
	s_delay_alu instid0(VALU_DEP_2) | instskip(NEXT) | instid1(VALU_DEP_1)
	v_cmp_nlt_f64_e64 s2, v[58:59], v[36:37]
	v_dual_cndmask_b32 v63, v59, v37, s2 :: v_dual_cndmask_b32 v62, v58, v36, s2
	v_dual_cndmask_b32 v51, v37, v59, s2 :: v_dual_cndmask_b32 v50, v36, v58, s2
	s_delay_alu instid0(VALU_DEP_2) | instskip(NEXT) | instid1(VALU_DEP_1)
	v_cmp_nlt_f64_e64 s3, v[62:63], v[48:49]
	v_dual_cndmask_b32 v65, v63, v49, s3 :: v_dual_cndmask_b32 v64, v62, v48, s3
	v_dual_cndmask_b32 v37, v49, v63, s3 :: v_dual_cndmask_b32 v36, v48, v62, s3
	s_and_b32 s2, s2, s3
	s_delay_alu instid0(VALU_DEP_2) | instskip(NEXT) | instid1(VALU_DEP_1)
	v_cmp_nlt_f64_e64 s4, v[64:65], v[34:35]
	v_dual_cndmask_b32 v67, v65, v35, s4 :: v_dual_cndmask_b32 v66, v64, v34, s4
	v_dual_cndmask_b32 v49, v35, v65, s4 :: v_dual_cndmask_b32 v48, v34, v64, s4
	s_delay_alu instid0(VALU_DEP_2) | instskip(NEXT) | instid1(VALU_DEP_1)
	v_cmp_nlt_f64_e64 s5, v[66:67], v[46:47]
	v_dual_cndmask_b32 v69, v67, v47, s5 :: v_dual_cndmask_b32 v68, v66, v46, s5
	s_and_b32 s3, s4, s5
	v_dual_cndmask_b32 v35, v47, v67, s5 :: v_dual_cndmask_b32 v34, v46, v66, s5
	s_delay_alu instid0(VALU_DEP_2) | instskip(NEXT) | instid1(VALU_DEP_1)
	v_cmp_nlt_f64_e64 s6, v[68:69], v[44:45]
	v_dual_cndmask_b32 v71, v69, v45, s6 :: v_dual_cndmask_b32 v70, v68, v44, s6
	s_and_b32 s3, s3, s6
	;; [unrolled: 5-line block ×6, first 2 shown]
	v_dual_cndmask_b32 v53, v55, v77, s10 :: v_dual_cndmask_b32 v52, v54, v76, s10
	s_and_b32 s2, s3, s2
	s_delay_alu instid0(VALU_DEP_2) | instskip(SKIP_1) | instid1(SALU_CYCLE_1)
	v_mov_b64_e32 v[54:55], v[56:57]
	s_and_b32 s1, s2, s1
	s_and_b32 s1, exec_lo, s1
	s_delay_alu instid0(SALU_CYCLE_1) | instskip(NEXT) | instid1(SALU_CYCLE_1)
	s_or_b32 s45, s1, s45
	s_and_not1_b32 exec_lo, exec_lo, s45
	s_cbranch_execnz .LBB185_241
; %bb.242:                              ;   in Loop: Header=BB185_162 Depth=1
	s_or_b32 exec_lo, exec_lo, s45
	v_add_f64_e32 v[10:11], -1.0, v[10:11]
	v_cmp_eq_f64_e64 s1, 0, v[16:17]
	v_cmp_class_f64_e64 s5, v[14:15], 0x204
	v_cmp_class_f64_e64 s4, v[16:17], 0x204
	s_delay_alu instid0(VALU_DEP_4) | instskip(NEXT) | instid1(VALU_DEP_1)
	v_add_f64_e32 v[10:11], v[10:11], v[38:39]
	v_add_f64_e32 v[10:11], v[10:11], v[50:51]
	s_delay_alu instid0(VALU_DEP_1) | instskip(NEXT) | instid1(VALU_DEP_1)
	v_add_f64_e32 v[10:11], v[10:11], v[36:37]
	v_add_f64_e32 v[10:11], v[10:11], v[48:49]
	s_delay_alu instid0(VALU_DEP_1) | instskip(NEXT) | instid1(VALU_DEP_1)
	;; [unrolled: 3-line block ×5, first 2 shown]
	v_add_f64_e32 v[36:37], v[56:57], v[10:11]
	v_add_f64_e32 v[10:11], 1.0, v[36:37]
	s_delay_alu instid0(VALU_DEP_1) | instskip(SKIP_2) | instid1(VALU_DEP_3)
	v_frexp_mant_f64_e32 v[34:35], v[10:11]
	v_frexp_exp_i32_f64_e32 v8, v[10:11]
	v_add_f64_e32 v[38:39], -1.0, v[10:11]
	v_cmp_gt_f64_e32 vcc_lo, s[20:21], v[34:35]
	s_delay_alu instid0(VALU_DEP_2) | instskip(SKIP_2) | instid1(VALU_DEP_1)
	v_add_f64_e64 v[34:35], v[38:39], -v[10:11]
	v_add_f64_e64 v[38:39], v[36:37], -v[38:39]
	v_subrev_co_ci_u32_e64 v8, null, 0, v8, vcc_lo
	v_dual_add_f64 v[34:35], 1.0, v[34:35] :: v_dual_sub_nc_u32 v12, 0, v8
	s_delay_alu instid0(VALU_DEP_1) | instskip(NEXT) | instid1(VALU_DEP_2)
	v_ldexp_f64 v[10:11], v[10:11], v12
	v_add_f64_e32 v[34:35], v[38:39], v[34:35]
	s_delay_alu instid0(VALU_DEP_2) | instskip(SKIP_1) | instid1(VALU_DEP_3)
	v_add_f64_e32 v[40:41], 1.0, v[10:11]
	v_add_f64_e32 v[46:47], -1.0, v[10:11]
	v_ldexp_f64 v[34:35], v[34:35], v12
	s_delay_alu instid0(VALU_DEP_3) | instskip(NEXT) | instid1(VALU_DEP_3)
	v_add_f64_e32 v[38:39], -1.0, v[40:41]
	v_add_f64_e32 v[48:49], 1.0, v[46:47]
	s_delay_alu instid0(VALU_DEP_2) | instskip(NEXT) | instid1(VALU_DEP_2)
	v_add_f64_e64 v[38:39], v[10:11], -v[38:39]
	v_add_f64_e64 v[10:11], v[10:11], -v[48:49]
	s_delay_alu instid0(VALU_DEP_2) | instskip(NEXT) | instid1(VALU_DEP_2)
	v_add_f64_e32 v[38:39], v[34:35], v[38:39]
	v_add_f64_e32 v[10:11], v[34:35], v[10:11]
	s_delay_alu instid0(VALU_DEP_2) | instskip(NEXT) | instid1(VALU_DEP_2)
	v_add_f64_e32 v[42:43], v[40:41], v[38:39]
	v_add_f64_e32 v[48:49], v[46:47], v[10:11]
	s_delay_alu instid0(VALU_DEP_2) | instskip(SKIP_1) | instid1(VALU_DEP_2)
	v_rcp_f64_e32 v[44:45], v[42:43]
	v_add_f64_e64 v[40:41], v[42:43], -v[40:41]
	v_add_f64_e64 v[46:47], v[48:49], -v[46:47]
	s_delay_alu instid0(VALU_DEP_2) | instskip(NEXT) | instid1(VALU_DEP_2)
	v_add_f64_e64 v[38:39], v[38:39], -v[40:41]
	v_add_f64_e64 v[10:11], v[10:11], -v[46:47]
	s_delay_alu instid0(TRANS32_DEP_1) | instskip(NEXT) | instid1(VALU_DEP_1)
	v_fma_f64 v[50:51], -v[42:43], v[44:45], 1.0
	v_fmac_f64_e32 v[44:45], v[50:51], v[44:45]
	s_delay_alu instid0(VALU_DEP_1) | instskip(NEXT) | instid1(VALU_DEP_1)
	v_fma_f64 v[34:35], -v[42:43], v[44:45], 1.0
	v_fmac_f64_e32 v[44:45], v[34:35], v[44:45]
	s_delay_alu instid0(VALU_DEP_1) | instskip(NEXT) | instid1(VALU_DEP_1)
	v_mul_f64_e32 v[34:35], v[48:49], v[44:45]
	v_mul_f64_e32 v[50:51], v[42:43], v[34:35]
	s_delay_alu instid0(VALU_DEP_1) | instskip(NEXT) | instid1(VALU_DEP_1)
	v_fma_f64 v[40:41], v[34:35], v[42:43], -v[50:51]
	v_fmac_f64_e32 v[40:41], v[34:35], v[38:39]
	s_delay_alu instid0(VALU_DEP_1) | instskip(NEXT) | instid1(VALU_DEP_1)
	v_add_f64_e32 v[52:53], v[50:51], v[40:41]
	v_add_f64_e64 v[54:55], v[48:49], -v[52:53]
	v_add_f64_e64 v[46:47], v[52:53], -v[50:51]
	s_delay_alu instid0(VALU_DEP_2) | instskip(NEXT) | instid1(VALU_DEP_2)
	v_add_f64_e64 v[48:49], v[48:49], -v[54:55]
	v_add_f64_e64 v[40:41], v[46:47], -v[40:41]
	s_delay_alu instid0(VALU_DEP_2) | instskip(NEXT) | instid1(VALU_DEP_1)
	v_add_f64_e64 v[48:49], v[48:49], -v[52:53]
	v_add_f64_e32 v[10:11], v[10:11], v[48:49]
	s_delay_alu instid0(VALU_DEP_1) | instskip(NEXT) | instid1(VALU_DEP_1)
	v_add_f64_e32 v[10:11], v[40:41], v[10:11]
	v_add_f64_e32 v[40:41], v[54:55], v[10:11]
	s_delay_alu instid0(VALU_DEP_1) | instskip(SKIP_1) | instid1(VALU_DEP_2)
	v_mul_f64_e32 v[46:47], v[44:45], v[40:41]
	v_add_f64_e64 v[52:53], v[54:55], -v[40:41]
	v_mul_f64_e32 v[48:49], v[42:43], v[46:47]
	s_delay_alu instid0(VALU_DEP_2) | instskip(NEXT) | instid1(VALU_DEP_2)
	v_add_f64_e32 v[10:11], v[10:11], v[52:53]
	v_fma_f64 v[42:43], v[46:47], v[42:43], -v[48:49]
	s_delay_alu instid0(VALU_DEP_1) | instskip(NEXT) | instid1(VALU_DEP_1)
	v_fmac_f64_e32 v[42:43], v[46:47], v[38:39]
	v_add_f64_e32 v[38:39], v[48:49], v[42:43]
	s_delay_alu instid0(VALU_DEP_1) | instskip(SKIP_1) | instid1(VALU_DEP_2)
	v_add_f64_e64 v[50:51], v[40:41], -v[38:39]
	v_add_f64_e64 v[48:49], v[38:39], -v[48:49]
	;; [unrolled: 1-line block ×3, first 2 shown]
	s_delay_alu instid0(VALU_DEP_1) | instskip(NEXT) | instid1(VALU_DEP_3)
	v_add_f64_e64 v[38:39], v[40:41], -v[38:39]
	v_add_f64_e64 v[40:41], v[48:49], -v[42:43]
	v_max_num_f64_e64 v[42:43], |v[14:15]|, |v[14:15]|
	s_delay_alu instid0(VALU_DEP_3) | instskip(SKIP_1) | instid1(VALU_DEP_2)
	v_add_f64_e32 v[10:11], v[10:11], v[38:39]
	v_add_f64_e32 v[38:39], v[34:35], v[46:47]
	;; [unrolled: 1-line block ×3, first 2 shown]
	s_delay_alu instid0(VALU_DEP_2) | instskip(SKIP_1) | instid1(VALU_DEP_3)
	v_add_f64_e64 v[34:35], v[38:39], -v[34:35]
	v_max_num_f64_e64 v[40:41], |v[16:17]|, |v[16:17]|
	v_add_f64_e32 v[10:11], v[50:51], v[10:11]
	s_delay_alu instid0(VALU_DEP_3) | instskip(NEXT) | instid1(VALU_DEP_2)
	v_add_f64_e64 v[34:35], v[46:47], -v[34:35]
	v_mul_f64_e32 v[10:11], v[44:45], v[10:11]
	s_delay_alu instid0(VALU_DEP_1) | instskip(SKIP_2) | instid1(VALU_DEP_3)
	v_add_f64_e32 v[10:11], v[34:35], v[10:11]
	v_max_num_f64_e32 v[34:35], v[42:43], v[40:41]
	v_min_num_f64_e32 v[40:41], v[42:43], v[40:41]
	v_add_f64_e32 v[42:43], v[38:39], v[10:11]
	s_delay_alu instid0(VALU_DEP_2) | instskip(NEXT) | instid1(VALU_DEP_2)
	v_div_scale_f64 v[44:45], null, v[34:35], v[34:35], v[40:41]
	v_mul_f64_e32 v[46:47], v[42:43], v[42:43]
	v_add_f64_e64 v[38:39], v[42:43], -v[38:39]
	s_delay_alu instid0(VALU_DEP_3) | instskip(NEXT) | instid1(VALU_DEP_2)
	v_rcp_f64_e32 v[48:49], v[44:45]
	v_fmamk_f64 v[50:51], v[46:47], 0x3fc3ab76bf559e2b, v[22:23]
	v_mul_f64_e32 v[52:53], v[42:43], v[46:47]
	s_delay_alu instid0(VALU_DEP_3) | instskip(NEXT) | instid1(VALU_DEP_3)
	v_add_f64_e64 v[10:11], v[10:11], -v[38:39]
	v_fmaak_f64 v[50:51], v[46:47], v[50:51], 0x3fc7474dd7f4df2e
	s_delay_alu instid0(TRANS32_DEP_1) | instskip(NEXT) | instid1(VALU_DEP_2)
	v_fma_f64 v[54:55], -v[44:45], v[48:49], 1.0
	v_fmaak_f64 v[50:51], v[46:47], v[50:51], 0x3fcc71c016291751
	s_delay_alu instid0(VALU_DEP_1) | instskip(NEXT) | instid1(VALU_DEP_1)
	v_fmaak_f64 v[50:51], v[46:47], v[50:51], 0x3fd249249b27acf1
	v_fmaak_f64 v[50:51], v[46:47], v[50:51], 0x3fd99999998ef7b6
	v_ldexp_f64 v[10:11], v[10:11], 1
	s_delay_alu instid0(VALU_DEP_2) | instskip(SKIP_2) | instid1(VALU_DEP_3)
	v_fmaak_f64 v[46:47], v[46:47], v[50:51], 0x3fe5555555555780
	v_ldexp_f64 v[50:51], v[42:43], 1
	v_fmac_f64_e32 v[48:49], v[48:49], v[54:55]
	v_mul_f64_e32 v[46:47], v[52:53], v[46:47]
	v_cvt_f64_i32_e32 v[52:53], v8
	v_ashrrev_i32_e32 v8, 31, v15
	s_delay_alu instid0(VALU_DEP_1) | instskip(SKIP_4) | instid1(VALU_DEP_3)
	v_and_b32_e32 v21, 0x54442d18, v8
	v_and_b32_e32 v8, 0x400921fb, v8
	v_fma_f64 v[54:55], -v[44:45], v[48:49], 1.0
	v_add_f64_e32 v[42:43], v[50:51], v[46:47]
	v_mul_f64_e32 v[56:57], 0x3fe62e42fefa39ef, v[52:53]
	v_fmac_f64_e32 v[48:49], v[48:49], v[54:55]
	s_delay_alu instid0(VALU_DEP_3) | instskip(SKIP_1) | instid1(VALU_DEP_4)
	v_add_f64_e64 v[38:39], v[42:43], -v[50:51]
	v_div_scale_f64 v[50:51], vcc_lo, v[40:41], v[34:35], v[40:41]
	v_fma_f64 v[54:55], v[52:53], s[22:23], -v[56:57]
	s_delay_alu instid0(VALU_DEP_3) | instskip(NEXT) | instid1(VALU_DEP_3)
	v_add_f64_e64 v[38:39], v[46:47], -v[38:39]
	v_mul_f64_e32 v[46:47], v[50:51], v[48:49]
	s_delay_alu instid0(VALU_DEP_3) | instskip(NEXT) | instid1(VALU_DEP_3)
	v_fmac_f64_e32 v[54:55], 0x3c7abc9e3b39803f, v[52:53]
	v_add_f64_e32 v[10:11], v[10:11], v[38:39]
	s_delay_alu instid0(VALU_DEP_3) | instskip(NEXT) | instid1(VALU_DEP_3)
	v_fma_f64 v[38:39], -v[44:45], v[46:47], v[50:51]
	v_add_f64_e32 v[44:45], v[56:57], v[54:55]
	s_delay_alu instid0(VALU_DEP_3) | instskip(NEXT) | instid1(VALU_DEP_3)
	v_add_f64_e32 v[50:51], v[42:43], v[10:11]
	v_div_fmas_f64 v[38:39], v[38:39], v[48:49], v[46:47]
	v_cmp_gt_i32_e32 vcc_lo, 0, v15
	s_delay_alu instid0(VALU_DEP_4) | instskip(SKIP_2) | instid1(VALU_DEP_1)
	v_add_f64_e64 v[48:49], v[44:45], -v[56:57]
	v_cndmask_b32_e32 v12, 0x54442d18, v60, vcc_lo
	v_cndmask_b32_e32 v14, 0x3fe921fb, v61, vcc_lo
	v_bfi_b32 v14, 0x7fffffff, v14, v17
	v_add_f64_e32 v[46:47], v[44:45], v[50:51]
	v_div_fixup_f64 v[34:35], v[38:39], v[34:35], v[40:41]
	v_add_f64_e64 v[42:43], v[50:51], -v[42:43]
	v_add_f64_e64 v[48:49], v[54:55], -v[48:49]
	s_delay_alu instid0(VALU_DEP_4) | instskip(NEXT) | instid1(VALU_DEP_4)
	v_add_f64_e64 v[38:39], v[46:47], -v[44:45]
	v_mul_f64_e32 v[40:41], v[34:35], v[34:35]
	s_delay_alu instid0(VALU_DEP_4) | instskip(NEXT) | instid1(VALU_DEP_3)
	v_add_f64_e64 v[10:11], v[10:11], -v[42:43]
	v_add_f64_e64 v[52:53], v[46:47], -v[38:39]
	s_delay_alu instid0(VALU_DEP_3) | instskip(SKIP_1) | instid1(VALU_DEP_4)
	v_fmamk_f64 v[56:57], v[40:41], 0x3eeba404b5e68a13, v[24:25]
	v_add_f64_e64 v[38:39], v[50:51], -v[38:39]
	v_add_f64_e32 v[50:51], v[48:49], v[10:11]
	s_delay_alu instid0(VALU_DEP_3) | instskip(SKIP_1) | instid1(VALU_DEP_2)
	v_fmaak_f64 v[56:57], v[40:41], v[56:57], 0x3f4b2bb069efb384
	v_add_f64_e64 v[42:43], v[44:45], -v[52:53]
	v_fmaak_f64 v[44:45], v[40:41], v[56:57], 0xbf67952daf56de9b
	s_delay_alu instid0(VALU_DEP_1) | instskip(NEXT) | instid1(VALU_DEP_1)
	v_fmaak_f64 v[44:45], v[40:41], v[44:45], 0x3f7d6d43a595c56f
	v_fmaak_f64 v[44:45], v[40:41], v[44:45], 0xbf8c6ea4a57d9582
	s_delay_alu instid0(VALU_DEP_1) | instskip(NEXT) | instid1(VALU_DEP_1)
	v_fmaak_f64 v[44:45], v[40:41], v[44:45], 0x3f967e295f08b19f
	v_fmaak_f64 v[44:45], v[40:41], v[44:45], 0xbf9e9ae6fc27006a
	v_add_f64_e32 v[38:39], v[38:39], v[42:43]
	s_delay_alu instid0(VALU_DEP_2) | instskip(SKIP_1) | instid1(VALU_DEP_2)
	v_fmaak_f64 v[42:43], v[40:41], v[44:45], 0x3fa2c15b5711927a
	v_add_f64_e64 v[44:45], v[50:51], -v[48:49]
	v_fmaak_f64 v[42:43], v[40:41], v[42:43], 0xbfa59976e82d3ff0
	s_delay_alu instid0(VALU_DEP_1) | instskip(NEXT) | instid1(VALU_DEP_1)
	v_fmaak_f64 v[42:43], v[40:41], v[42:43], 0x3fa82d5d6ef28734
	v_fmaak_f64 v[42:43], v[40:41], v[42:43], 0xbfaae5ce6a214619
	s_delay_alu instid0(VALU_DEP_1) | instskip(SKIP_3) | instid1(VALU_DEP_4)
	v_fmaak_f64 v[42:43], v[40:41], v[42:43], 0x3fae1bb48427b883
	v_add_f64_e32 v[38:39], v[50:51], v[38:39]
	v_add_f64_e64 v[50:51], v[50:51], -v[44:45]
	v_add_f64_e64 v[10:11], v[10:11], -v[44:45]
	v_fmaak_f64 v[42:43], v[40:41], v[42:43], 0xbfb110e48b207f05
	s_delay_alu instid0(VALU_DEP_1) | instskip(NEXT) | instid1(VALU_DEP_1)
	v_fmaak_f64 v[42:43], v[40:41], v[42:43], 0x3fb3b13657b87036
	v_fmaak_f64 v[42:43], v[40:41], v[42:43], 0xbfb745d119378e4f
	s_delay_alu instid0(VALU_DEP_1) | instskip(SKIP_1) | instid1(VALU_DEP_2)
	v_fmaak_f64 v[42:43], v[40:41], v[42:43], 0x3fbc71c717e1913c
	v_add_f64_e32 v[52:53], v[46:47], v[38:39]
	v_fmaak_f64 v[42:43], v[40:41], v[42:43], 0xbfc2492492376b7d
	s_delay_alu instid0(VALU_DEP_1) | instskip(NEXT) | instid1(VALU_DEP_1)
	v_fmaak_f64 v[42:43], v[40:41], v[42:43], 0x3fc99999999952cc
	v_fmaak_f64 v[42:43], v[40:41], v[42:43], 0xbfd5555555555523
	s_delay_alu instid0(VALU_DEP_1) | instskip(SKIP_2) | instid1(VALU_DEP_3)
	v_mul_f64_e32 v[40:41], v[40:41], v[42:43]
	v_add_f64_e64 v[42:43], v[48:49], -v[50:51]
	v_add_f64_e64 v[44:45], v[52:53], -v[46:47]
	v_fmac_f64_e32 v[34:35], v[34:35], v[40:41]
	s_delay_alu instid0(VALU_DEP_3) | instskip(NEXT) | instid1(VALU_DEP_3)
	v_add_f64_e32 v[10:11], v[10:11], v[42:43]
	v_add_f64_e64 v[38:39], v[38:39], -v[44:45]
	s_delay_alu instid0(VALU_DEP_3) | instskip(NEXT) | instid1(VALU_DEP_2)
	v_add_f64_e64 v[40:41], -v[34:35], s[24:25]
	v_add_f64_e32 v[10:11], v[10:11], v[38:39]
	s_delay_alu instid0(VALU_DEP_2) | instskip(SKIP_2) | instid1(VALU_DEP_3)
	v_dual_cndmask_b32 v35, v35, v41, s0 :: v_dual_cndmask_b32 v34, v34, v40, s0
	v_cmp_nge_f64_e64 s2, -1.0, v[36:37]
	v_cmp_neq_f64_e64 s3, 0x7ff00000, v[36:37]
	v_add_f64_e64 v[38:39], -v[34:35], s[26:27]
	v_add_f64_e32 v[10:11], v[52:53], v[10:11]
	s_delay_alu instid0(VALU_DEP_2) | instskip(SKIP_1) | instid1(VALU_DEP_2)
	v_dual_cndmask_b32 v34, v34, v38 :: v_dual_cndmask_b32 v15, v35, v39
	v_cmp_ngt_f64_e32 vcc_lo, -1.0, v[36:37]
	v_dual_mul_f64 v[10:11], 0.5, v[10:11] :: v_dual_cndmask_b32 v21, v34, v21, s1
	s_delay_alu instid0(VALU_DEP_3)
	v_cndmask_b32_e64 v8, v15, v8, s1
	s_and_b32 s1, s2, s3
	s_delay_alu instid0(VALU_DEP_2) | instid1(SALU_CYCLE_1)
	v_cndmask_b32_e64 v10, 0, v10, s1
	v_cmp_neq_f64_e64 s1, -1.0, v[36:37]
	s_delay_alu instid0(VALU_DEP_4) | instskip(NEXT) | instid1(VALU_DEP_1)
	v_cndmask_b32_e64 v11, 0x7ff00000, v11, s3
	v_cndmask_b32_e32 v11, 0x7ff80000, v11, vcc_lo
	s_and_b32 vcc_lo, s5, s4
	v_dual_cndmask_b32 v35, v8, v14 :: v_dual_cndmask_b32 v34, v21, v12
	s_delay_alu instid0(VALU_DEP_2)
	v_cndmask_b32_e64 v11, 0xfff00000, v11, s1
.LBB185_243:                            ;   in Loop: Header=BB185_162 Depth=1
	s_or_b32 exec_lo, exec_lo, s44
.LBB185_244:                            ;   in Loop: Header=BB185_162 Depth=1
	s_delay_alu instid0(SALU_CYCLE_1)
	s_or_b32 exec_lo, exec_lo, s43
.LBB185_245:                            ;   in Loop: Header=BB185_162 Depth=1
	s_and_not1_saveexec_b32 s3, s42
	s_cbranch_execz .LBB185_247
; %bb.246:                              ;   in Loop: Header=BB185_162 Depth=1
	v_max_num_f64_e64 v[10:11], |v[16:17]|, |v[16:17]|
	v_max_num_f64_e64 v[34:35], |v[14:15]|, |v[14:15]|
	v_cmp_class_f64_e64 s4, v[14:15], 0x204
	v_cmp_class_f64_e64 s5, v[16:17], 0x204
	v_cmp_eq_f64_e64 s2, 0, v[16:17]
	s_delay_alu instid0(VALU_DEP_4) | instskip(SKIP_2) | instid1(VALU_DEP_2)
	v_max_num_f64_e32 v[36:37], v[34:35], v[10:11]
	v_min_num_f64_e32 v[10:11], v[34:35], v[10:11]
	s_or_b32 s1, s4, s5
	v_frexp_exp_i32_f64_e32 v8, v[36:37]
	s_delay_alu instid0(VALU_DEP_1) | instskip(NEXT) | instid1(VALU_DEP_1)
	v_sub_nc_u32_e32 v12, 0, v8
	v_ldexp_f64 v[38:39], |v[16:17]|, v12
	v_ldexp_f64 v[40:41], |v[14:15]|, v12
	s_delay_alu instid0(VALU_DEP_2) | instskip(NEXT) | instid1(VALU_DEP_1)
	v_mul_f64_e32 v[38:39], v[38:39], v[38:39]
	v_fmac_f64_e32 v[38:39], v[40:41], v[40:41]
	s_delay_alu instid0(VALU_DEP_1) | instskip(SKIP_1) | instid1(TRANS32_DEP_1)
	v_rsq_f64_e32 v[40:41], v[38:39]
	v_cmp_eq_f64_e32 vcc_lo, 0, v[38:39]
	v_mul_f64_e32 v[42:43], v[38:39], v[40:41]
	v_mul_f64_e32 v[40:41], 0.5, v[40:41]
	s_delay_alu instid0(VALU_DEP_1) | instskip(NEXT) | instid1(VALU_DEP_1)
	v_fma_f64 v[44:45], -v[40:41], v[42:43], 0.5
	v_fmac_f64_e32 v[42:43], v[42:43], v[44:45]
	v_fmac_f64_e32 v[40:41], v[40:41], v[44:45]
	s_delay_alu instid0(VALU_DEP_2) | instskip(NEXT) | instid1(VALU_DEP_1)
	v_fma_f64 v[44:45], -v[42:43], v[42:43], v[38:39]
	v_fmac_f64_e32 v[42:43], v[44:45], v[40:41]
	s_delay_alu instid0(VALU_DEP_1) | instskip(NEXT) | instid1(VALU_DEP_1)
	v_dual_cndmask_b32 v39, v43, v39 :: v_dual_cndmask_b32 v38, v42, v38
	v_ldexp_f64 v[38:39], v[38:39], v8
	s_delay_alu instid0(VALU_DEP_1) | instskip(NEXT) | instid1(VALU_DEP_2)
	v_cndmask_b32_e64 v39, v39, 0x7ff00000, s1
	v_cndmask_b32_e64 v38, v38, 0, s1
	s_delay_alu instid0(VALU_DEP_1) | instskip(SKIP_1) | instid1(VALU_DEP_2)
	v_frexp_mant_f64_e32 v[40:41], v[38:39]
	v_cmp_class_f64_e64 s1, v[38:39], 0x204
	v_cmp_gt_f64_e32 vcc_lo, s[20:21], v[40:41]
	v_cndmask_b32_e64 v8, 0, 1, vcc_lo
	s_delay_alu instid0(VALU_DEP_1) | instskip(SKIP_1) | instid1(VALU_DEP_2)
	v_ldexp_f64 v[40:41], v[40:41], v8
	v_frexp_exp_i32_f64_e32 v8, v[38:39]
	v_add_f64_e32 v[42:43], 1.0, v[40:41]
	v_add_f64_e32 v[48:49], -1.0, v[40:41]
	s_delay_alu instid0(VALU_DEP_3) | instskip(SKIP_1) | instid1(VALU_DEP_4)
	v_subrev_co_ci_u32_e64 v8, null, 0, v8, vcc_lo
	v_div_scale_f64 v[56:57], vcc_lo, v[10:11], v[36:37], v[10:11]
	v_rcp_f64_e32 v[44:45], v[42:43]
	v_add_f64_e32 v[50:51], -1.0, v[42:43]
	s_delay_alu instid0(VALU_DEP_1) | instskip(NEXT) | instid1(TRANS32_DEP_1)
	v_add_f64_e64 v[40:41], v[40:41], -v[50:51]
	v_fma_f64 v[46:47], -v[42:43], v[44:45], 1.0
	s_delay_alu instid0(VALU_DEP_1) | instskip(NEXT) | instid1(VALU_DEP_1)
	v_fmac_f64_e32 v[44:45], v[46:47], v[44:45]
	v_fma_f64 v[46:47], -v[42:43], v[44:45], 1.0
	s_delay_alu instid0(VALU_DEP_1) | instskip(NEXT) | instid1(VALU_DEP_1)
	v_fmac_f64_e32 v[44:45], v[46:47], v[44:45]
	v_mul_f64_e32 v[46:47], v[48:49], v[44:45]
	s_delay_alu instid0(VALU_DEP_1) | instskip(NEXT) | instid1(VALU_DEP_1)
	v_mul_f64_e32 v[52:53], v[42:43], v[46:47]
	v_fma_f64 v[42:43], v[46:47], v[42:43], -v[52:53]
	s_delay_alu instid0(VALU_DEP_1) | instskip(NEXT) | instid1(VALU_DEP_1)
	v_fmac_f64_e32 v[42:43], v[46:47], v[40:41]
	v_add_f64_e32 v[40:41], v[52:53], v[42:43]
	s_delay_alu instid0(VALU_DEP_1) | instskip(SKIP_1) | instid1(VALU_DEP_2)
	v_add_f64_e64 v[50:51], v[48:49], -v[40:41]
	v_add_f64_e64 v[52:53], v[40:41], -v[52:53]
	;; [unrolled: 1-line block ×3, first 2 shown]
	s_delay_alu instid0(VALU_DEP_2) | instskip(NEXT) | instid1(VALU_DEP_2)
	v_add_f64_e64 v[42:43], v[52:53], -v[42:43]
	v_add_f64_e64 v[40:41], v[48:49], -v[40:41]
	s_delay_alu instid0(VALU_DEP_1) | instskip(NEXT) | instid1(VALU_DEP_1)
	v_add_f64_e32 v[40:41], v[42:43], v[40:41]
	v_add_f64_e32 v[40:41], v[50:51], v[40:41]
	s_delay_alu instid0(VALU_DEP_1) | instskip(SKIP_1) | instid1(VALU_DEP_2)
	v_mul_f64_e32 v[34:35], v[44:45], v[40:41]
	v_div_scale_f64 v[40:41], null, v[36:37], v[36:37], v[10:11]
	v_add_f64_e32 v[42:43], v[46:47], v[34:35]
	s_delay_alu instid0(VALU_DEP_2) | instskip(NEXT) | instid1(VALU_DEP_1)
	v_rcp_f64_e32 v[44:45], v[40:41]
	v_mul_f64_e32 v[48:49], v[42:43], v[42:43]
	s_delay_alu instid0(TRANS32_DEP_1) | instskip(NEXT) | instid1(VALU_DEP_2)
	v_fma_f64 v[52:53], -v[40:41], v[44:45], 1.0
	v_fmamk_f64 v[50:51], v[48:49], 0x3fc3ab76bf559e2b, v[22:23]
	v_mul_f64_e32 v[54:55], v[42:43], v[48:49]
	s_delay_alu instid0(VALU_DEP_3) | instskip(NEXT) | instid1(VALU_DEP_3)
	v_fmac_f64_e32 v[44:45], v[44:45], v[52:53]
	v_fmaak_f64 v[50:51], v[48:49], v[50:51], 0x3fc7474dd7f4df2e
	s_delay_alu instid0(VALU_DEP_1) | instskip(NEXT) | instid1(VALU_DEP_1)
	v_fmaak_f64 v[50:51], v[48:49], v[50:51], 0x3fcc71c016291751
	v_fmaak_f64 v[50:51], v[48:49], v[50:51], 0x3fd249249b27acf1
	s_delay_alu instid0(VALU_DEP_1) | instskip(NEXT) | instid1(VALU_DEP_1)
	v_fmaak_f64 v[50:51], v[48:49], v[50:51], 0x3fd99999998ef7b6
	v_fmaak_f64 v[48:49], v[48:49], v[50:51], 0x3fe5555555555780
	v_ldexp_f64 v[50:51], v[42:43], 1
	v_add_f64_e64 v[42:43], v[42:43], -v[46:47]
	v_fma_f64 v[52:53], -v[40:41], v[44:45], 1.0
	s_delay_alu instid0(VALU_DEP_4) | instskip(SKIP_2) | instid1(VALU_DEP_1)
	v_mul_f64_e32 v[48:49], v[54:55], v[48:49]
	v_cvt_f64_i32_e32 v[54:55], v8
	v_ashrrev_i32_e32 v8, 31, v15
	v_and_b32_e32 v21, 0x54442d18, v8
	v_and_b32_e32 v8, 0x400921fb, v8
	v_add_f64_e64 v[34:35], v[34:35], -v[42:43]
	v_fmac_f64_e32 v[44:45], v[44:45], v[52:53]
	v_add_f64_e32 v[46:47], v[50:51], v[48:49]
	v_mul_f64_e32 v[52:53], 0x3fe62e42fefa39ef, v[54:55]
	s_delay_alu instid0(VALU_DEP_4) | instskip(NEXT) | instid1(VALU_DEP_3)
	v_ldexp_f64 v[34:35], v[34:35], 1
	v_add_f64_e64 v[42:43], v[46:47], -v[50:51]
	v_mul_f64_e32 v[50:51], v[56:57], v[44:45]
	s_delay_alu instid0(VALU_DEP_4) | instskip(NEXT) | instid1(VALU_DEP_3)
	v_fma_f64 v[58:59], v[54:55], s[22:23], -v[52:53]
	v_add_f64_e64 v[42:43], v[48:49], -v[42:43]
	s_delay_alu instid0(VALU_DEP_3) | instskip(NEXT) | instid1(VALU_DEP_3)
	v_fma_f64 v[40:41], -v[40:41], v[50:51], v[56:57]
	v_fmac_f64_e32 v[58:59], 0x3c7abc9e3b39803f, v[54:55]
	s_delay_alu instid0(VALU_DEP_3) | instskip(NEXT) | instid1(VALU_DEP_3)
	v_add_f64_e32 v[34:35], v[34:35], v[42:43]
	v_div_fmas_f64 v[40:41], v[40:41], v[44:45], v[50:51]
	s_delay_alu instid0(VALU_DEP_3)
	v_add_f64_e32 v[42:43], v[52:53], v[58:59]
	v_cmp_gt_i32_e32 vcc_lo, 0, v15
	v_cndmask_b32_e32 v12, 0x54442d18, v60, vcc_lo
	v_add_f64_e32 v[44:45], v[46:47], v[34:35]
	v_div_fixup_f64 v[10:11], v[40:41], v[36:37], v[10:11]
	v_add_f64_e64 v[52:53], v[42:43], -v[52:53]
	s_delay_alu instid0(VALU_DEP_3) | instskip(NEXT) | instid1(VALU_DEP_3)
	v_add_f64_e32 v[36:37], v[42:43], v[44:45]
	v_mul_f64_e32 v[40:41], v[10:11], v[10:11]
	v_add_f64_e64 v[46:47], v[44:45], -v[46:47]
	s_delay_alu instid0(VALU_DEP_4) | instskip(NEXT) | instid1(VALU_DEP_4)
	v_add_f64_e64 v[52:53], v[58:59], -v[52:53]
	v_add_f64_e64 v[48:49], v[36:37], -v[42:43]
	s_delay_alu instid0(VALU_DEP_4) | instskip(NEXT) | instid1(VALU_DEP_4)
	v_fmamk_f64 v[50:51], v[40:41], 0x3eeba404b5e68a13, v[24:25]
	v_add_f64_e64 v[34:35], v[34:35], -v[46:47]
	s_delay_alu instid0(VALU_DEP_2) | instskip(NEXT) | instid1(VALU_DEP_1)
	v_fmaak_f64 v[50:51], v[40:41], v[50:51], 0x3f4b2bb069efb384
	v_fmaak_f64 v[50:51], v[40:41], v[50:51], 0xbf67952daf56de9b
	s_delay_alu instid0(VALU_DEP_1) | instskip(NEXT) | instid1(VALU_DEP_1)
	v_fmaak_f64 v[50:51], v[40:41], v[50:51], 0x3f7d6d43a595c56f
	v_fmaak_f64 v[50:51], v[40:41], v[50:51], 0xbf8c6ea4a57d9582
	v_add_f64_e64 v[54:55], v[36:37], -v[48:49]
	v_add_f64_e64 v[44:45], v[44:45], -v[48:49]
	v_add_f64_e32 v[48:49], v[52:53], v[34:35]
	s_delay_alu instid0(VALU_DEP_4) | instskip(NEXT) | instid1(VALU_DEP_1)
	v_fmaak_f64 v[50:51], v[40:41], v[50:51], 0x3f967e295f08b19f
	v_fmaak_f64 v[46:47], v[40:41], v[50:51], 0xbf9e9ae6fc27006a
	s_delay_alu instid0(VALU_DEP_1) | instskip(NEXT) | instid1(VALU_DEP_1)
	v_fmaak_f64 v[46:47], v[40:41], v[46:47], 0x3fa2c15b5711927a
	v_fmaak_f64 v[46:47], v[40:41], v[46:47], 0xbfa59976e82d3ff0
	s_delay_alu instid0(VALU_DEP_1) | instskip(SKIP_1) | instid1(VALU_DEP_2)
	v_fmaak_f64 v[46:47], v[40:41], v[46:47], 0x3fa82d5d6ef28734
	v_add_f64_e64 v[42:43], v[42:43], -v[54:55]
	v_fmaak_f64 v[46:47], v[40:41], v[46:47], 0xbfaae5ce6a214619
	s_delay_alu instid0(VALU_DEP_2) | instskip(NEXT) | instid1(VALU_DEP_2)
	v_add_f64_e32 v[42:43], v[44:45], v[42:43]
	v_fmaak_f64 v[44:45], v[40:41], v[46:47], 0x3fae1bb48427b883
	v_add_f64_e64 v[46:47], v[48:49], -v[52:53]
	s_delay_alu instid0(VALU_DEP_2) | instskip(NEXT) | instid1(VALU_DEP_1)
	v_fmaak_f64 v[44:45], v[40:41], v[44:45], 0xbfb110e48b207f05
	v_fmaak_f64 v[44:45], v[40:41], v[44:45], 0x3fb3b13657b87036
	s_delay_alu instid0(VALU_DEP_1) | instskip(NEXT) | instid1(VALU_DEP_1)
	v_fmaak_f64 v[44:45], v[40:41], v[44:45], 0xbfb745d119378e4f
	v_fmaak_f64 v[44:45], v[40:41], v[44:45], 0x3fbc71c717e1913c
	v_add_f64_e32 v[42:43], v[48:49], v[42:43]
	v_add_f64_e64 v[34:35], v[34:35], -v[46:47]
	s_delay_alu instid0(VALU_DEP_3) | instskip(NEXT) | instid1(VALU_DEP_1)
	v_fmaak_f64 v[44:45], v[40:41], v[44:45], 0xbfc2492492376b7d
	v_fmaak_f64 v[44:45], v[40:41], v[44:45], 0x3fc99999999952cc
	s_delay_alu instid0(VALU_DEP_1) | instskip(NEXT) | instid1(VALU_DEP_1)
	v_fmaak_f64 v[44:45], v[40:41], v[44:45], 0xbfd5555555555523
	v_mul_f64_e32 v[40:41], v[40:41], v[44:45]
	v_add_f64_e64 v[44:45], v[48:49], -v[46:47]
	v_add_f64_e32 v[48:49], v[36:37], v[42:43]
	s_delay_alu instid0(VALU_DEP_3) | instskip(NEXT) | instid1(VALU_DEP_3)
	v_fmac_f64_e32 v[10:11], v[10:11], v[40:41]
	v_add_f64_e64 v[40:41], v[52:53], -v[44:45]
	s_delay_alu instid0(VALU_DEP_3) | instskip(NEXT) | instid1(VALU_DEP_3)
	v_add_f64_e64 v[36:37], v[48:49], -v[36:37]
	v_add_f64_e64 v[44:45], -v[10:11], s[24:25]
	s_delay_alu instid0(VALU_DEP_3) | instskip(NEXT) | instid1(VALU_DEP_3)
	v_add_f64_e32 v[34:35], v[34:35], v[40:41]
	v_add_f64_e64 v[36:37], v[42:43], -v[36:37]
	s_delay_alu instid0(VALU_DEP_3) | instskip(NEXT) | instid1(VALU_DEP_2)
	v_dual_cndmask_b32 v11, v11, v45, s0 :: v_dual_cndmask_b32 v10, v10, v44, s0
	v_add_f64_e32 v[34:35], v[34:35], v[36:37]
	s_delay_alu instid0(VALU_DEP_2) | instskip(NEXT) | instid1(VALU_DEP_1)
	v_add_f64_e64 v[36:37], -v[10:11], s[26:27]
	v_dual_add_f64 v[14:15], v[48:49], v[34:35] :: v_dual_cndmask_b32 v10, v10, v36, vcc_lo
	v_cndmask_b32_e32 v34, 0x3fe921fb, v61, vcc_lo
	s_delay_alu instid0(VALU_DEP_3) | instskip(SKIP_1) | instid1(VALU_DEP_4)
	v_cndmask_b32_e32 v11, v11, v37, vcc_lo
	v_cmp_ngt_f64_e32 vcc_lo, 0, v[38:39]
	v_cndmask_b32_e64 v21, v10, v21, s2
	s_delay_alu instid0(VALU_DEP_4) | instskip(NEXT) | instid1(VALU_DEP_4)
	v_bfi_b32 v34, 0x7fffffff, v34, v17
	v_dual_cndmask_b32 v8, v11, v8, s2 :: v_dual_cndmask_b32 v14, v14, v38, s1
	v_cndmask_b32_e64 v15, v15, v39, s1
	v_cmp_nge_f64_e64 s1, 0, v[38:39]
	s_delay_alu instid0(VALU_DEP_2) | instskip(SKIP_4) | instid1(VALU_DEP_1)
	v_cndmask_b32_e32 v11, 0x7ff80000, v15, vcc_lo
	s_and_b32 vcc_lo, s4, s5
	v_dual_cndmask_b32 v35, v8, v34 :: v_dual_cndmask_b32 v34, v21, v12
	v_cndmask_b32_e64 v10, 0, v14, s1
	v_cmp_neq_f64_e64 s1, 0, v[38:39]
	v_cndmask_b32_e64 v11, 0xfff00000, v11, s1
.LBB185_247:                            ;   in Loop: Header=BB185_162 Depth=1
	s_or_b32 exec_lo, exec_lo, s3
                                        ; implicit-def: $vgpr38_vgpr39
.LBB185_248:                            ;   in Loop: Header=BB185_162 Depth=1
	s_and_not1_saveexec_b32 s3, s41
	s_cbranch_execz .LBB185_254
; %bb.249:                              ;   in Loop: Header=BB185_162 Depth=1
                                        ; implicit-def: $vgpr10_vgpr11
                                        ; implicit-def: $vgpr34_vgpr35
	s_mov_b32 s1, exec_lo
	v_cmpx_ngt_f64_e32 s[30:31], v[38:39]
	s_xor_b32 s4, exec_lo, s1
	s_cbranch_execz .LBB185_251
; %bb.250:                              ;   in Loop: Header=BB185_162 Depth=1
	v_mul_f64_e32 v[10:11], v[38:39], v[38:39]
	v_cmp_eq_f64_e64 s1, 0, v[16:17]
	v_cmp_class_f64_e64 s5, v[16:17], 0x204
	v_cmp_class_f64_e64 s6, v[14:15], 0x204
	s_delay_alu instid0(VALU_DEP_4) | instskip(NEXT) | instid1(VALU_DEP_1)
	v_add_f64_e32 v[34:35], 1.0, v[10:11]
	v_frexp_mant_f64_e32 v[36:37], v[34:35]
	v_frexp_exp_i32_f64_e32 v8, v[34:35]
	v_add_f64_e32 v[38:39], -1.0, v[34:35]
	s_delay_alu instid0(VALU_DEP_3) | instskip(NEXT) | instid1(VALU_DEP_2)
	v_cmp_gt_f64_e32 vcc_lo, s[20:21], v[36:37]
	v_add_f64_e64 v[36:37], v[38:39], -v[34:35]
	s_delay_alu instid0(VALU_DEP_4) | instskip(NEXT) | instid1(VALU_DEP_2)
	v_subrev_co_ci_u32_e64 v8, null, 0, v8, vcc_lo
	v_add_f64_e32 v[36:37], 1.0, v[36:37]
	s_delay_alu instid0(VALU_DEP_2) | instskip(SKIP_1) | instid1(VALU_DEP_2)
	v_dual_add_f64 v[38:39], v[10:11], -v[38:39] :: v_dual_sub_nc_u32 v12, 0, v8
	v_cmp_neq_f64_e64 s2, 0x7ff00000, v[10:11]
	v_ldexp_f64 v[34:35], v[34:35], v12
	s_delay_alu instid0(VALU_DEP_3) | instskip(NEXT) | instid1(VALU_DEP_2)
	v_add_f64_e32 v[36:37], v[38:39], v[36:37]
	v_add_f64_e32 v[40:41], 1.0, v[34:35]
	v_add_f64_e32 v[46:47], -1.0, v[34:35]
	s_delay_alu instid0(VALU_DEP_3) | instskip(NEXT) | instid1(VALU_DEP_3)
	v_ldexp_f64 v[36:37], v[36:37], v12
	v_add_f64_e32 v[38:39], -1.0, v[40:41]
	s_delay_alu instid0(VALU_DEP_3) | instskip(NEXT) | instid1(VALU_DEP_2)
	v_add_f64_e32 v[48:49], 1.0, v[46:47]
	v_add_f64_e64 v[38:39], v[34:35], -v[38:39]
	s_delay_alu instid0(VALU_DEP_2) | instskip(NEXT) | instid1(VALU_DEP_2)
	v_add_f64_e64 v[34:35], v[34:35], -v[48:49]
	v_add_f64_e32 v[38:39], v[36:37], v[38:39]
	s_delay_alu instid0(VALU_DEP_2) | instskip(NEXT) | instid1(VALU_DEP_2)
	v_add_f64_e32 v[34:35], v[36:37], v[34:35]
	v_add_f64_e32 v[42:43], v[40:41], v[38:39]
	s_delay_alu instid0(VALU_DEP_2) | instskip(NEXT) | instid1(VALU_DEP_2)
	v_add_f64_e32 v[48:49], v[46:47], v[34:35]
	v_rcp_f64_e32 v[44:45], v[42:43]
	v_add_f64_e64 v[40:41], v[40:41], -v[42:43]
	s_delay_alu instid0(VALU_DEP_2) | instskip(NEXT) | instid1(VALU_DEP_2)
	v_add_f64_e64 v[46:47], v[46:47], -v[48:49]
	v_add_f64_e32 v[38:39], v[38:39], v[40:41]
	s_delay_alu instid0(VALU_DEP_2) | instskip(NEXT) | instid1(TRANS32_DEP_1)
	v_add_f64_e32 v[34:35], v[34:35], v[46:47]
	v_fma_f64 v[50:51], -v[42:43], v[44:45], 1.0
	s_delay_alu instid0(VALU_DEP_1) | instskip(NEXT) | instid1(VALU_DEP_1)
	v_fmac_f64_e32 v[44:45], v[50:51], v[44:45]
	v_fma_f64 v[36:37], -v[42:43], v[44:45], 1.0
	s_delay_alu instid0(VALU_DEP_1) | instskip(NEXT) | instid1(VALU_DEP_1)
	v_fmac_f64_e32 v[44:45], v[36:37], v[44:45]
	v_mul_f64_e32 v[36:37], v[48:49], v[44:45]
	s_delay_alu instid0(VALU_DEP_1) | instskip(NEXT) | instid1(VALU_DEP_1)
	v_mul_f64_e32 v[50:51], v[42:43], v[36:37]
	v_fma_f64 v[40:41], v[36:37], v[42:43], -v[50:51]
	s_delay_alu instid0(VALU_DEP_1) | instskip(NEXT) | instid1(VALU_DEP_1)
	v_fmac_f64_e32 v[40:41], v[36:37], v[38:39]
	v_add_f64_e32 v[52:53], v[50:51], v[40:41]
	s_delay_alu instid0(VALU_DEP_1) | instskip(SKIP_1) | instid1(VALU_DEP_2)
	v_add_f64_e64 v[54:55], v[48:49], -v[52:53]
	v_add_f64_e64 v[46:47], v[52:53], -v[50:51]
	;; [unrolled: 1-line block ×3, first 2 shown]
	s_delay_alu instid0(VALU_DEP_2) | instskip(NEXT) | instid1(VALU_DEP_2)
	v_add_f64_e64 v[40:41], v[46:47], -v[40:41]
	v_add_f64_e64 v[48:49], v[48:49], -v[52:53]
	s_delay_alu instid0(VALU_DEP_1) | instskip(NEXT) | instid1(VALU_DEP_1)
	v_add_f64_e32 v[34:35], v[34:35], v[48:49]
	v_add_f64_e32 v[34:35], v[40:41], v[34:35]
	s_delay_alu instid0(VALU_DEP_1) | instskip(NEXT) | instid1(VALU_DEP_1)
	v_add_f64_e32 v[40:41], v[54:55], v[34:35]
	v_mul_f64_e32 v[46:47], v[44:45], v[40:41]
	v_add_f64_e64 v[52:53], v[54:55], -v[40:41]
	s_delay_alu instid0(VALU_DEP_2) | instskip(NEXT) | instid1(VALU_DEP_2)
	v_mul_f64_e32 v[48:49], v[42:43], v[46:47]
	v_add_f64_e32 v[34:35], v[34:35], v[52:53]
	s_delay_alu instid0(VALU_DEP_2) | instskip(NEXT) | instid1(VALU_DEP_1)
	v_fma_f64 v[42:43], v[46:47], v[42:43], -v[48:49]
	v_fmac_f64_e32 v[42:43], v[46:47], v[38:39]
	s_delay_alu instid0(VALU_DEP_1) | instskip(NEXT) | instid1(VALU_DEP_1)
	v_add_f64_e32 v[38:39], v[48:49], v[42:43]
	v_add_f64_e64 v[50:51], v[40:41], -v[38:39]
	v_add_f64_e64 v[48:49], v[38:39], -v[48:49]
	s_delay_alu instid0(VALU_DEP_2) | instskip(NEXT) | instid1(VALU_DEP_1)
	v_add_f64_e64 v[40:41], v[40:41], -v[50:51]
	v_add_f64_e64 v[38:39], v[40:41], -v[38:39]
	s_delay_alu instid0(VALU_DEP_3) | instskip(SKIP_1) | instid1(VALU_DEP_3)
	v_add_f64_e64 v[40:41], v[48:49], -v[42:43]
	v_max_num_f64_e64 v[42:43], |v[14:15]|, |v[14:15]|
	v_add_f64_e32 v[34:35], v[34:35], v[38:39]
	v_add_f64_e32 v[38:39], v[36:37], v[46:47]
	s_delay_alu instid0(VALU_DEP_2) | instskip(NEXT) | instid1(VALU_DEP_2)
	v_add_f64_e32 v[34:35], v[40:41], v[34:35]
	v_add_f64_e64 v[36:37], v[38:39], -v[36:37]
	v_max_num_f64_e64 v[40:41], |v[16:17]|, |v[16:17]|
	s_delay_alu instid0(VALU_DEP_3) | instskip(NEXT) | instid1(VALU_DEP_3)
	v_add_f64_e32 v[34:35], v[50:51], v[34:35]
	v_add_f64_e64 v[36:37], v[46:47], -v[36:37]
	s_delay_alu instid0(VALU_DEP_2) | instskip(NEXT) | instid1(VALU_DEP_1)
	v_mul_f64_e32 v[34:35], v[44:45], v[34:35]
	v_add_f64_e32 v[34:35], v[36:37], v[34:35]
	v_max_num_f64_e32 v[36:37], v[42:43], v[40:41]
	v_min_num_f64_e32 v[40:41], v[42:43], v[40:41]
	s_delay_alu instid0(VALU_DEP_3) | instskip(NEXT) | instid1(VALU_DEP_2)
	v_add_f64_e32 v[42:43], v[38:39], v[34:35]
	v_div_scale_f64 v[44:45], null, v[36:37], v[36:37], v[40:41]
	s_delay_alu instid0(VALU_DEP_2) | instskip(SKIP_1) | instid1(VALU_DEP_3)
	v_mul_f64_e32 v[46:47], v[42:43], v[42:43]
	v_add_f64_e64 v[38:39], v[42:43], -v[38:39]
	v_rcp_f64_e32 v[48:49], v[44:45]
	s_delay_alu instid0(VALU_DEP_2) | instskip(SKIP_1) | instid1(VALU_DEP_3)
	v_fmamk_f64 v[50:51], v[46:47], 0x3fc3ab76bf559e2b, v[22:23]
	v_mul_f64_e32 v[52:53], v[42:43], v[46:47]
	v_add_f64_e64 v[34:35], v[34:35], -v[38:39]
	s_delay_alu instid0(VALU_DEP_3) | instskip(NEXT) | instid1(TRANS32_DEP_1)
	v_fmaak_f64 v[50:51], v[46:47], v[50:51], 0x3fc7474dd7f4df2e
	v_fma_f64 v[54:55], -v[44:45], v[48:49], 1.0
	s_delay_alu instid0(VALU_DEP_2) | instskip(NEXT) | instid1(VALU_DEP_1)
	v_fmaak_f64 v[50:51], v[46:47], v[50:51], 0x3fcc71c016291751
	v_fmaak_f64 v[50:51], v[46:47], v[50:51], 0x3fd249249b27acf1
	s_delay_alu instid0(VALU_DEP_1) | instskip(SKIP_1) | instid1(VALU_DEP_2)
	v_fmaak_f64 v[50:51], v[46:47], v[50:51], 0x3fd99999998ef7b6
	v_ldexp_f64 v[34:35], v[34:35], 1
	v_fmaak_f64 v[46:47], v[46:47], v[50:51], 0x3fe5555555555780
	v_ldexp_f64 v[50:51], v[42:43], 1
	v_fmac_f64_e32 v[48:49], v[48:49], v[54:55]
	s_delay_alu instid0(VALU_DEP_3) | instskip(SKIP_2) | instid1(VALU_DEP_1)
	v_mul_f64_e32 v[46:47], v[52:53], v[46:47]
	v_cvt_f64_i32_e32 v[52:53], v8
	v_ashrrev_i32_e32 v8, 31, v15
	v_and_b32_e32 v21, 0x54442d18, v8
	v_and_b32_e32 v8, 0x400921fb, v8
	v_fma_f64 v[54:55], -v[44:45], v[48:49], 1.0
	v_add_f64_e32 v[42:43], v[50:51], v[46:47]
	v_mul_f64_e32 v[56:57], 0x3fe62e42fefa39ef, v[52:53]
	s_delay_alu instid0(VALU_DEP_3) | instskip(NEXT) | instid1(VALU_DEP_3)
	v_fmac_f64_e32 v[48:49], v[48:49], v[54:55]
	v_add_f64_e64 v[38:39], v[42:43], -v[50:51]
	v_div_scale_f64 v[50:51], vcc_lo, v[40:41], v[36:37], v[40:41]
	s_delay_alu instid0(VALU_DEP_4) | instskip(NEXT) | instid1(VALU_DEP_3)
	v_fma_f64 v[54:55], v[52:53], s[22:23], -v[56:57]
	v_add_f64_e64 v[38:39], v[46:47], -v[38:39]
	s_delay_alu instid0(VALU_DEP_3) | instskip(NEXT) | instid1(VALU_DEP_3)
	v_mul_f64_e32 v[46:47], v[50:51], v[48:49]
	v_fmac_f64_e32 v[54:55], 0x3c7abc9e3b39803f, v[52:53]
	s_delay_alu instid0(VALU_DEP_3) | instskip(NEXT) | instid1(VALU_DEP_3)
	v_add_f64_e32 v[34:35], v[34:35], v[38:39]
	v_fma_f64 v[38:39], -v[44:45], v[46:47], v[50:51]
	s_delay_alu instid0(VALU_DEP_3) | instskip(NEXT) | instid1(VALU_DEP_3)
	v_add_f64_e32 v[44:45], v[56:57], v[54:55]
	v_add_f64_e32 v[50:51], v[42:43], v[34:35]
	s_delay_alu instid0(VALU_DEP_3) | instskip(SKIP_1) | instid1(VALU_DEP_4)
	v_div_fmas_f64 v[38:39], v[38:39], v[48:49], v[46:47]
	v_cmp_gt_i32_e32 vcc_lo, 0, v15
	v_add_f64_e64 v[48:49], v[44:45], -v[56:57]
	v_cndmask_b32_e32 v10, 0x3fe921fb, v61, vcc_lo
	v_cndmask_b32_e32 v12, 0x54442d18, v60, vcc_lo
	s_delay_alu instid0(VALU_DEP_2) | instskip(SKIP_4) | instid1(VALU_DEP_4)
	v_bfi_b32 v10, 0x7fffffff, v10, v17
	v_add_f64_e32 v[46:47], v[44:45], v[50:51]
	v_div_fixup_f64 v[36:37], v[38:39], v[36:37], v[40:41]
	v_add_f64_e64 v[42:43], v[50:51], -v[42:43]
	v_add_f64_e64 v[48:49], v[54:55], -v[48:49]
	;; [unrolled: 1-line block ×3, first 2 shown]
	s_delay_alu instid0(VALU_DEP_4) | instskip(NEXT) | instid1(VALU_DEP_4)
	v_mul_f64_e32 v[40:41], v[36:37], v[36:37]
	v_add_f64_e64 v[34:35], v[34:35], -v[42:43]
	s_delay_alu instid0(VALU_DEP_3) | instskip(NEXT) | instid1(VALU_DEP_3)
	v_add_f64_e64 v[52:53], v[46:47], -v[38:39]
	v_fmamk_f64 v[56:57], v[40:41], 0x3eeba404b5e68a13, v[24:25]
	v_add_f64_e64 v[38:39], v[50:51], -v[38:39]
	s_delay_alu instid0(VALU_DEP_4) | instskip(NEXT) | instid1(VALU_DEP_3)
	v_add_f64_e32 v[50:51], v[48:49], v[34:35]
	v_fmaak_f64 v[56:57], v[40:41], v[56:57], 0x3f4b2bb069efb384
	s_delay_alu instid0(VALU_DEP_1) | instskip(SKIP_1) | instid1(VALU_DEP_2)
	v_fmaak_f64 v[56:57], v[40:41], v[56:57], 0xbf67952daf56de9b
	v_add_f64_e64 v[42:43], v[44:45], -v[52:53]
	v_fmaak_f64 v[44:45], v[40:41], v[56:57], 0x3f7d6d43a595c56f
	s_delay_alu instid0(VALU_DEP_1) | instskip(NEXT) | instid1(VALU_DEP_1)
	v_fmaak_f64 v[44:45], v[40:41], v[44:45], 0xbf8c6ea4a57d9582
	v_fmaak_f64 v[44:45], v[40:41], v[44:45], 0x3f967e295f08b19f
	s_delay_alu instid0(VALU_DEP_1) | instskip(NEXT) | instid1(VALU_DEP_1)
	v_fmaak_f64 v[44:45], v[40:41], v[44:45], 0xbf9e9ae6fc27006a
	v_fmaak_f64 v[44:45], v[40:41], v[44:45], 0x3fa2c15b5711927a
	v_add_f64_e32 v[38:39], v[38:39], v[42:43]
	s_delay_alu instid0(VALU_DEP_2) | instskip(SKIP_1) | instid1(VALU_DEP_2)
	v_fmaak_f64 v[42:43], v[40:41], v[44:45], 0xbfa59976e82d3ff0
	v_add_f64_e64 v[44:45], v[50:51], -v[48:49]
	v_fmaak_f64 v[42:43], v[40:41], v[42:43], 0x3fa82d5d6ef28734
	s_delay_alu instid0(VALU_DEP_1) | instskip(NEXT) | instid1(VALU_DEP_1)
	v_fmaak_f64 v[42:43], v[40:41], v[42:43], 0xbfaae5ce6a214619
	v_fmaak_f64 v[42:43], v[40:41], v[42:43], 0x3fae1bb48427b883
	s_delay_alu instid0(VALU_DEP_1) | instskip(SKIP_3) | instid1(VALU_DEP_4)
	v_fmaak_f64 v[42:43], v[40:41], v[42:43], 0xbfb110e48b207f05
	v_add_f64_e32 v[38:39], v[50:51], v[38:39]
	v_add_f64_e64 v[50:51], v[50:51], -v[44:45]
	v_add_f64_e64 v[34:35], v[34:35], -v[44:45]
	v_fmaak_f64 v[42:43], v[40:41], v[42:43], 0x3fb3b13657b87036
	s_delay_alu instid0(VALU_DEP_1) | instskip(NEXT) | instid1(VALU_DEP_1)
	v_fmaak_f64 v[42:43], v[40:41], v[42:43], 0xbfb745d119378e4f
	v_fmaak_f64 v[42:43], v[40:41], v[42:43], 0x3fbc71c717e1913c
	s_delay_alu instid0(VALU_DEP_1) | instskip(SKIP_1) | instid1(VALU_DEP_2)
	v_fmaak_f64 v[42:43], v[40:41], v[42:43], 0xbfc2492492376b7d
	v_add_f64_e32 v[52:53], v[46:47], v[38:39]
	v_fmaak_f64 v[42:43], v[40:41], v[42:43], 0x3fc99999999952cc
	s_delay_alu instid0(VALU_DEP_1) | instskip(NEXT) | instid1(VALU_DEP_1)
	v_fmaak_f64 v[42:43], v[40:41], v[42:43], 0xbfd5555555555523
	v_mul_f64_e32 v[40:41], v[40:41], v[42:43]
	v_add_f64_e64 v[42:43], v[48:49], -v[50:51]
	v_add_f64_e64 v[44:45], v[52:53], -v[46:47]
	s_delay_alu instid0(VALU_DEP_3) | instskip(NEXT) | instid1(VALU_DEP_3)
	v_fmac_f64_e32 v[36:37], v[36:37], v[40:41]
	v_add_f64_e32 v[34:35], v[34:35], v[42:43]
	s_delay_alu instid0(VALU_DEP_3) | instskip(NEXT) | instid1(VALU_DEP_3)
	v_add_f64_e64 v[38:39], v[38:39], -v[44:45]
	v_add_f64_e64 v[40:41], -v[36:37], s[24:25]
	s_delay_alu instid0(VALU_DEP_1) | instskip(NEXT) | instid1(VALU_DEP_2)
	v_dual_add_f64 v[34:35], v[34:35], v[38:39] :: v_dual_cndmask_b32 v37, v37, v41, s0
	v_cndmask_b32_e64 v36, v36, v40, s0
	s_delay_alu instid0(VALU_DEP_1) | instskip(NEXT) | instid1(VALU_DEP_3)
	v_add_f64_e64 v[38:39], -v[36:37], s[26:27]
	v_add_f64_e32 v[34:35], v[52:53], v[34:35]
	s_delay_alu instid0(VALU_DEP_2) | instskip(SKIP_1) | instid1(VALU_DEP_1)
	v_dual_cndmask_b32 v36, v36, v38 :: v_dual_cndmask_b32 v11, v37, v39
	s_and_b32 vcc_lo, s6, s5
                                        ; implicit-def: $vgpr38_vgpr39
	v_dual_cndmask_b32 v21, v36, v21, s1 :: v_dual_cndmask_b32 v8, v11, v8, s1
	s_delay_alu instid0(VALU_DEP_3) | instskip(NEXT) | instid1(VALU_DEP_2)
	v_mul_f64_e32 v[14:15], 0.5, v[34:35]
	v_dual_cndmask_b32 v35, v8, v10 :: v_dual_cndmask_b32 v34, v21, v12
	s_delay_alu instid0(VALU_DEP_2) | instskip(NEXT) | instid1(VALU_DEP_3)
	v_cndmask_b32_e64 v11, 0x7ff00000, v15, s2
	v_cndmask_b32_e64 v10, 0, v14, s2
.LBB185_251:                            ;   in Loop: Header=BB185_162 Depth=1
	s_and_not1_saveexec_b32 s2, s4
	s_cbranch_execz .LBB185_253
; %bb.252:                              ;   in Loop: Header=BB185_162 Depth=1
	v_max_num_f64_e64 v[10:11], |v[16:17]|, |v[16:17]|
	v_max_num_f64_e64 v[34:35], |v[14:15]|, |v[14:15]|
	v_cmp_class_f64_e64 s5, v[14:15], 0x204
	v_cmp_eq_f64_e64 s1, 0, v[16:17]
	v_cmp_class_f64_e64 s4, v[16:17], 0x204
	v_ashrrev_i32_e32 v8, 31, v15
	s_delay_alu instid0(VALU_DEP_1) | instskip(SKIP_3) | instid1(VALU_DEP_1)
	v_and_b32_e32 v21, 0x54442d18, v8
	v_and_b32_e32 v8, 0x400921fb, v8
	v_max_num_f64_e32 v[36:37], v[34:35], v[10:11]
	v_min_num_f64_e32 v[10:11], v[34:35], v[10:11]
	v_div_scale_f64 v[34:35], null, v[36:37], v[36:37], v[10:11]
	v_div_scale_f64 v[44:45], vcc_lo, v[10:11], v[36:37], v[10:11]
	s_delay_alu instid0(VALU_DEP_2) | instskip(SKIP_1) | instid1(TRANS32_DEP_1)
	v_rcp_f64_e32 v[40:41], v[34:35]
	v_nop
	v_fma_f64 v[42:43], -v[34:35], v[40:41], 1.0
	s_delay_alu instid0(VALU_DEP_1) | instskip(NEXT) | instid1(VALU_DEP_1)
	v_fmac_f64_e32 v[40:41], v[40:41], v[42:43]
	v_fma_f64 v[42:43], -v[34:35], v[40:41], 1.0
	s_delay_alu instid0(VALU_DEP_1) | instskip(NEXT) | instid1(VALU_DEP_1)
	v_fmac_f64_e32 v[40:41], v[40:41], v[42:43]
	v_mul_f64_e32 v[42:43], v[44:45], v[40:41]
	s_delay_alu instid0(VALU_DEP_1) | instskip(NEXT) | instid1(VALU_DEP_1)
	v_fma_f64 v[34:35], -v[34:35], v[42:43], v[44:45]
	v_div_fmas_f64 v[34:35], v[34:35], v[40:41], v[42:43]
	v_cmp_gt_i32_e32 vcc_lo, 0, v15
	v_cndmask_b32_e32 v14, 0x3fe921fb, v61, vcc_lo
	v_cndmask_b32_e32 v12, 0x54442d18, v60, vcc_lo
	s_delay_alu instid0(VALU_DEP_2) | instskip(SKIP_1) | instid1(VALU_DEP_1)
	v_bfi_b32 v14, 0x7fffffff, v14, v17
	v_div_fixup_f64 v[10:11], v[34:35], v[36:37], v[10:11]
	v_mul_f64_e32 v[34:35], v[10:11], v[10:11]
	s_delay_alu instid0(VALU_DEP_1) | instskip(NEXT) | instid1(VALU_DEP_1)
	v_fmamk_f64 v[36:37], v[34:35], 0x3eeba404b5e68a13, v[24:25]
	v_fmaak_f64 v[36:37], v[34:35], v[36:37], 0x3f4b2bb069efb384
	s_delay_alu instid0(VALU_DEP_1) | instskip(NEXT) | instid1(VALU_DEP_1)
	v_fmaak_f64 v[36:37], v[34:35], v[36:37], 0xbf67952daf56de9b
	v_fmaak_f64 v[36:37], v[34:35], v[36:37], 0x3f7d6d43a595c56f
	s_delay_alu instid0(VALU_DEP_1) | instskip(NEXT) | instid1(VALU_DEP_1)
	v_fmaak_f64 v[36:37], v[34:35], v[36:37], 0xbf8c6ea4a57d9582
	;; [unrolled: 3-line block ×9, first 2 shown]
	v_mul_f64_e32 v[34:35], v[34:35], v[36:37]
	s_delay_alu instid0(VALU_DEP_1) | instskip(NEXT) | instid1(VALU_DEP_1)
	v_fmac_f64_e32 v[10:11], v[10:11], v[34:35]
	v_add_f64_e64 v[34:35], -v[10:11], s[24:25]
	s_delay_alu instid0(VALU_DEP_1) | instskip(NEXT) | instid1(VALU_DEP_1)
	v_dual_cndmask_b32 v35, v11, v35, s0 :: v_dual_cndmask_b32 v34, v10, v34, s0
	v_add_f64_e64 v[36:37], -v[34:35], s[26:27]
	s_delay_alu instid0(VALU_DEP_1) | instskip(NEXT) | instid1(VALU_DEP_2)
	v_dual_mul_f64 v[10:11], 0.5, v[38:39] :: v_dual_cndmask_b32 v15, v35, v37, vcc_lo
	v_cndmask_b32_e32 v34, v34, v36, vcc_lo
	s_and_b32 vcc_lo, s5, s4
	s_delay_alu instid0(VALU_DEP_1) | instskip(NEXT) | instid1(VALU_DEP_1)
	v_dual_cndmask_b32 v8, v15, v8, s1 :: v_dual_cndmask_b32 v21, v34, v21, s1
	v_dual_cndmask_b32 v35, v8, v14 :: v_dual_cndmask_b32 v34, v21, v12
	s_delay_alu instid0(VALU_DEP_4)
	v_mul_f64_e32 v[10:11], v[38:39], v[10:11]
.LBB185_253:                            ;   in Loop: Header=BB185_162 Depth=1
	s_or_b32 exec_lo, exec_lo, s2
.LBB185_254:                            ;   in Loop: Header=BB185_162 Depth=1
	s_delay_alu instid0(SALU_CYCLE_1)
	s_or_b32 exec_lo, exec_lo, s3
.LBB185_255:                            ;   in Loop: Header=BB185_162 Depth=1
	s_and_not1_saveexec_b32 s2, s40
	s_cbranch_execz .LBB185_257
; %bb.256:                              ;   in Loop: Header=BB185_162 Depth=1
	v_div_scale_f64 v[10:11], null, s[34:35], s[34:35], v[14:15]
	v_div_scale_f64 v[34:35], null, s[34:35], s[34:35], v[16:17]
	v_div_scale_f64 v[44:45], vcc_lo, v[14:15], s[34:35], v[14:15]
	s_delay_alu instid0(VALU_DEP_3) | instskip(NEXT) | instid1(VALU_DEP_2)
	v_rcp_f64_e32 v[36:37], v[10:11]
	v_rcp_f64_e32 v[38:39], v[34:35]
	s_delay_alu instid0(TRANS32_DEP_2) | instskip(NEXT) | instid1(TRANS32_DEP_1)
	v_fma_f64 v[40:41], -v[10:11], v[36:37], 1.0
	v_fma_f64 v[42:43], -v[34:35], v[38:39], 1.0
	s_delay_alu instid0(VALU_DEP_2) | instskip(NEXT) | instid1(VALU_DEP_2)
	v_fmac_f64_e32 v[36:37], v[36:37], v[40:41]
	v_fmac_f64_e32 v[38:39], v[38:39], v[42:43]
	s_delay_alu instid0(VALU_DEP_2) | instskip(NEXT) | instid1(VALU_DEP_2)
	v_fma_f64 v[40:41], -v[10:11], v[36:37], 1.0
	v_fma_f64 v[42:43], -v[34:35], v[38:39], 1.0
	s_delay_alu instid0(VALU_DEP_2) | instskip(SKIP_1) | instid1(VALU_DEP_3)
	v_fmac_f64_e32 v[36:37], v[36:37], v[40:41]
	v_div_scale_f64 v[40:41], s1, v[16:17], s[34:35], v[16:17]
	v_fmac_f64_e32 v[38:39], v[38:39], v[42:43]
	s_delay_alu instid0(VALU_DEP_3) | instskip(NEXT) | instid1(VALU_DEP_2)
	v_mul_f64_e32 v[42:43], v[44:45], v[36:37]
	v_mul_f64_e32 v[46:47], v[40:41], v[38:39]
	s_delay_alu instid0(VALU_DEP_2) | instskip(NEXT) | instid1(VALU_DEP_2)
	v_fma_f64 v[10:11], -v[10:11], v[42:43], v[44:45]
	v_fma_f64 v[34:35], -v[34:35], v[46:47], v[40:41]
	s_delay_alu instid0(VALU_DEP_2) | instskip(SKIP_1) | instid1(VALU_DEP_2)
	v_div_fmas_f64 v[10:11], v[10:11], v[36:37], v[42:43]
	s_mov_b32 vcc_lo, s1
	v_div_fmas_f64 v[34:35], v[34:35], v[38:39], v[46:47]
	s_delay_alu instid0(VALU_DEP_2) | instskip(NEXT) | instid1(VALU_DEP_2)
	v_div_fixup_f64 v[10:11], v[10:11], s[34:35], v[14:15]
	v_div_fixup_f64 v[34:35], v[34:35], s[34:35], v[16:17]
	s_delay_alu instid0(VALU_DEP_2) | instskip(NEXT) | instid1(VALU_DEP_2)
	v_cmp_class_f64_e64 s1, v[10:11], 0x204
	v_max_num_f64_e64 v[36:37], |v[10:11]|, |v[34:35]|
	v_cmp_class_f64_e64 s3, v[34:35], 0x204
	s_delay_alu instid0(VALU_DEP_2) | instskip(SKIP_2) | instid1(VALU_DEP_2)
	v_frexp_exp_i32_f64_e32 v8, v[36:37]
	s_or_b32 s1, s1, s3
	v_cmp_class_f64_e64 s3, v[14:15], 0x204
	v_sub_nc_u32_e32 v12, 0, v8
	s_delay_alu instid0(VALU_DEP_1) | instskip(SKIP_1) | instid1(VALU_DEP_2)
	v_ldexp_f64 v[36:37], |v[34:35]|, v12
	v_ldexp_f64 v[38:39], |v[10:11]|, v12
	v_mul_f64_e32 v[36:37], v[36:37], v[36:37]
	s_delay_alu instid0(VALU_DEP_1) | instskip(NEXT) | instid1(VALU_DEP_1)
	v_fmac_f64_e32 v[36:37], v[38:39], v[38:39]
	v_rsq_f64_e32 v[38:39], v[36:37]
	v_cmp_eq_f64_e32 vcc_lo, 0, v[36:37]
	s_delay_alu instid0(TRANS32_DEP_1) | instskip(SKIP_1) | instid1(VALU_DEP_1)
	v_mul_f64_e32 v[40:41], v[36:37], v[38:39]
	v_mul_f64_e32 v[38:39], 0.5, v[38:39]
	v_fma_f64 v[42:43], -v[38:39], v[40:41], 0.5
	s_delay_alu instid0(VALU_DEP_1) | instskip(SKIP_1) | instid1(VALU_DEP_2)
	v_fmac_f64_e32 v[40:41], v[40:41], v[42:43]
	v_fmac_f64_e32 v[38:39], v[38:39], v[42:43]
	v_fma_f64 v[42:43], -v[40:41], v[40:41], v[36:37]
	s_delay_alu instid0(VALU_DEP_1) | instskip(NEXT) | instid1(VALU_DEP_1)
	v_fmac_f64_e32 v[40:41], v[42:43], v[38:39]
	v_dual_cndmask_b32 v37, v41, v37 :: v_dual_cndmask_b32 v36, v40, v36
	v_cmp_o_f64_e32 vcc_lo, v[10:11], v[34:35]
	s_delay_alu instid0(VALU_DEP_2) | instskip(NEXT) | instid1(VALU_DEP_1)
	v_ldexp_f64 v[36:37], v[36:37], v8
	v_cndmask_b32_e32 v8, 0, v36, vcc_lo
	s_delay_alu instid0(VALU_DEP_2) | instskip(NEXT) | instid1(VALU_DEP_2)
	v_cndmask_b32_e32 v10, 0x7ff80000, v37, vcc_lo
	v_cndmask_b32_e64 v36, v8, 0, s1
	s_delay_alu instid0(VALU_DEP_2) | instskip(SKIP_1) | instid1(VALU_DEP_2)
	v_cndmask_b32_e64 v37, v10, 0x7ff00000, s1
	v_cmp_class_f64_e64 s1, v[16:17], 0x204
	v_frexp_mant_f64_e32 v[10:11], v[36:37]
	s_delay_alu instid0(VALU_DEP_1) | instskip(SKIP_1) | instid1(VALU_DEP_1)
	v_cmp_gt_f64_e32 vcc_lo, s[20:21], v[10:11]
	v_cndmask_b32_e64 v8, 0, 1, vcc_lo
	v_ldexp_f64 v[10:11], v[10:11], v8
	v_frexp_exp_i32_f64_e32 v8, v[36:37]
	s_delay_alu instid0(VALU_DEP_2) | instskip(SKIP_1) | instid1(VALU_DEP_3)
	v_add_f64_e32 v[34:35], 1.0, v[10:11]
	v_add_f64_e32 v[42:43], -1.0, v[10:11]
	v_subrev_co_ci_u32_e64 v8, null, 0, v8, vcc_lo
	s_delay_alu instid0(VALU_DEP_3) | instskip(SKIP_1) | instid1(VALU_DEP_1)
	v_rcp_f64_e32 v[38:39], v[34:35]
	v_add_f64_e32 v[44:45], -1.0, v[34:35]
	v_add_f64_e64 v[10:11], v[10:11], -v[44:45]
	s_delay_alu instid0(TRANS32_DEP_1) | instskip(NEXT) | instid1(VALU_DEP_1)
	v_fma_f64 v[40:41], -v[34:35], v[38:39], 1.0
	v_fmac_f64_e32 v[38:39], v[40:41], v[38:39]
	s_delay_alu instid0(VALU_DEP_1) | instskip(NEXT) | instid1(VALU_DEP_1)
	v_fma_f64 v[40:41], -v[34:35], v[38:39], 1.0
	v_fmac_f64_e32 v[38:39], v[40:41], v[38:39]
	s_delay_alu instid0(VALU_DEP_1) | instskip(NEXT) | instid1(VALU_DEP_1)
	v_mul_f64_e32 v[40:41], v[42:43], v[38:39]
	v_mul_f64_e32 v[46:47], v[34:35], v[40:41]
	s_delay_alu instid0(VALU_DEP_1) | instskip(NEXT) | instid1(VALU_DEP_1)
	v_fma_f64 v[34:35], v[40:41], v[34:35], -v[46:47]
	v_fmac_f64_e32 v[34:35], v[40:41], v[10:11]
	s_delay_alu instid0(VALU_DEP_1) | instskip(NEXT) | instid1(VALU_DEP_1)
	v_add_f64_e32 v[10:11], v[46:47], v[34:35]
	v_add_f64_e64 v[44:45], v[42:43], -v[10:11]
	v_add_f64_e64 v[46:47], v[10:11], -v[46:47]
	s_delay_alu instid0(VALU_DEP_2) | instskip(NEXT) | instid1(VALU_DEP_2)
	v_add_f64_e64 v[42:43], v[42:43], -v[44:45]
	v_add_f64_e64 v[34:35], v[46:47], -v[34:35]
	s_delay_alu instid0(VALU_DEP_2) | instskip(SKIP_1) | instid1(VALU_DEP_2)
	v_add_f64_e64 v[10:11], v[42:43], -v[10:11]
	v_max_num_f64_e64 v[42:43], |v[14:15]|, |v[14:15]|
	v_add_f64_e32 v[10:11], v[34:35], v[10:11]
	v_max_num_f64_e64 v[34:35], |v[16:17]|, |v[16:17]|
	s_delay_alu instid0(VALU_DEP_2) | instskip(NEXT) | instid1(VALU_DEP_1)
	v_add_f64_e32 v[10:11], v[44:45], v[10:11]
	v_mul_f64_e32 v[10:11], v[38:39], v[10:11]
	s_delay_alu instid0(VALU_DEP_3) | instskip(SKIP_1) | instid1(VALU_DEP_3)
	v_max_num_f64_e32 v[38:39], v[42:43], v[34:35]
	v_min_num_f64_e32 v[34:35], v[42:43], v[34:35]
	v_add_f64_e32 v[42:43], v[40:41], v[10:11]
	s_delay_alu instid0(VALU_DEP_2) | instskip(NEXT) | instid1(VALU_DEP_2)
	v_div_scale_f64 v[44:45], null, v[38:39], v[38:39], v[34:35]
	v_mul_f64_e32 v[46:47], v[42:43], v[42:43]
	v_add_f64_e64 v[40:41], v[42:43], -v[40:41]
	s_delay_alu instid0(VALU_DEP_3) | instskip(NEXT) | instid1(VALU_DEP_2)
	v_rcp_f64_e32 v[48:49], v[44:45]
	v_fmamk_f64 v[50:51], v[46:47], 0x3fc3ab76bf559e2b, v[22:23]
	v_mul_f64_e32 v[52:53], v[42:43], v[46:47]
	s_delay_alu instid0(VALU_DEP_3) | instskip(NEXT) | instid1(VALU_DEP_3)
	v_add_f64_e64 v[10:11], v[10:11], -v[40:41]
	v_fmaak_f64 v[50:51], v[46:47], v[50:51], 0x3fc7474dd7f4df2e
	s_delay_alu instid0(TRANS32_DEP_1) | instskip(NEXT) | instid1(VALU_DEP_2)
	v_fma_f64 v[54:55], -v[44:45], v[48:49], 1.0
	v_fmaak_f64 v[50:51], v[46:47], v[50:51], 0x3fcc71c016291751
	s_delay_alu instid0(VALU_DEP_1) | instskip(NEXT) | instid1(VALU_DEP_1)
	v_fmaak_f64 v[50:51], v[46:47], v[50:51], 0x3fd249249b27acf1
	v_fmaak_f64 v[50:51], v[46:47], v[50:51], 0x3fd99999998ef7b6
	v_ldexp_f64 v[10:11], v[10:11], 1
	s_delay_alu instid0(VALU_DEP_2) | instskip(SKIP_2) | instid1(VALU_DEP_3)
	v_fmaak_f64 v[46:47], v[46:47], v[50:51], 0x3fe5555555555780
	v_ldexp_f64 v[50:51], v[42:43], 1
	v_fmac_f64_e32 v[48:49], v[48:49], v[54:55]
	v_mul_f64_e32 v[46:47], v[52:53], v[46:47]
	v_cvt_f64_i32_e32 v[52:53], v8
	v_ashrrev_i32_e32 v8, 31, v15
	s_delay_alu instid0(VALU_DEP_1) | instskip(SKIP_4) | instid1(VALU_DEP_3)
	v_and_b32_e32 v21, 0x54442d18, v8
	v_and_b32_e32 v8, 0x400921fb, v8
	v_fma_f64 v[54:55], -v[44:45], v[48:49], 1.0
	v_add_f64_e32 v[42:43], v[50:51], v[46:47]
	v_mul_f64_e32 v[56:57], 0x3fe62e42fefa39ef, v[52:53]
	v_fmac_f64_e32 v[48:49], v[48:49], v[54:55]
	s_delay_alu instid0(VALU_DEP_3) | instskip(SKIP_1) | instid1(VALU_DEP_4)
	v_add_f64_e64 v[40:41], v[42:43], -v[50:51]
	v_div_scale_f64 v[50:51], vcc_lo, v[34:35], v[38:39], v[34:35]
	v_fma_f64 v[54:55], v[52:53], s[22:23], -v[56:57]
	s_delay_alu instid0(VALU_DEP_3) | instskip(NEXT) | instid1(VALU_DEP_3)
	v_add_f64_e64 v[40:41], v[46:47], -v[40:41]
	v_mul_f64_e32 v[46:47], v[50:51], v[48:49]
	s_delay_alu instid0(VALU_DEP_3) | instskip(NEXT) | instid1(VALU_DEP_3)
	v_fmac_f64_e32 v[54:55], 0x3c7abc9e3b39803f, v[52:53]
	v_add_f64_e32 v[10:11], v[10:11], v[40:41]
	s_delay_alu instid0(VALU_DEP_3) | instskip(NEXT) | instid1(VALU_DEP_3)
	v_fma_f64 v[40:41], -v[44:45], v[46:47], v[50:51]
	v_add_f64_e32 v[44:45], v[56:57], v[54:55]
	s_delay_alu instid0(VALU_DEP_3) | instskip(NEXT) | instid1(VALU_DEP_3)
	v_add_f64_e32 v[50:51], v[42:43], v[10:11]
	v_div_fmas_f64 v[40:41], v[40:41], v[48:49], v[46:47]
	v_cmp_class_f64_e64 vcc_lo, v[36:37], 0x204
	s_delay_alu instid0(VALU_DEP_4) | instskip(NEXT) | instid1(VALU_DEP_4)
	v_add_f64_e64 v[48:49], v[44:45], -v[56:57]
	v_add_f64_e32 v[46:47], v[44:45], v[50:51]
	s_delay_alu instid0(VALU_DEP_4) | instskip(SKIP_1) | instid1(VALU_DEP_4)
	v_div_fixup_f64 v[34:35], v[40:41], v[38:39], v[34:35]
	v_add_f64_e64 v[42:43], v[50:51], -v[42:43]
	v_add_f64_e64 v[48:49], v[54:55], -v[48:49]
	s_delay_alu instid0(VALU_DEP_4) | instskip(NEXT) | instid1(VALU_DEP_4)
	v_add_f64_e64 v[38:39], v[46:47], -v[44:45]
	v_mul_f64_e32 v[40:41], v[34:35], v[34:35]
	s_delay_alu instid0(VALU_DEP_4) | instskip(NEXT) | instid1(VALU_DEP_3)
	v_add_f64_e64 v[10:11], v[10:11], -v[42:43]
	v_add_f64_e64 v[52:53], v[46:47], -v[38:39]
	s_delay_alu instid0(VALU_DEP_3) | instskip(SKIP_1) | instid1(VALU_DEP_4)
	v_fmamk_f64 v[56:57], v[40:41], 0x3eeba404b5e68a13, v[24:25]
	v_add_f64_e64 v[38:39], v[50:51], -v[38:39]
	v_add_f64_e32 v[50:51], v[48:49], v[10:11]
	s_delay_alu instid0(VALU_DEP_3) | instskip(SKIP_1) | instid1(VALU_DEP_2)
	v_fmaak_f64 v[56:57], v[40:41], v[56:57], 0x3f4b2bb069efb384
	v_add_f64_e64 v[42:43], v[44:45], -v[52:53]
	v_fmaak_f64 v[44:45], v[40:41], v[56:57], 0xbf67952daf56de9b
	s_delay_alu instid0(VALU_DEP_1) | instskip(NEXT) | instid1(VALU_DEP_1)
	v_fmaak_f64 v[44:45], v[40:41], v[44:45], 0x3f7d6d43a595c56f
	v_fmaak_f64 v[44:45], v[40:41], v[44:45], 0xbf8c6ea4a57d9582
	s_delay_alu instid0(VALU_DEP_1) | instskip(SKIP_1) | instid1(VALU_DEP_2)
	v_fmaak_f64 v[44:45], v[40:41], v[44:45], 0x3f967e295f08b19f
	v_add_f64_e32 v[38:39], v[38:39], v[42:43]
	v_fmaak_f64 v[42:43], v[40:41], v[44:45], 0xbf9e9ae6fc27006a
	v_add_f64_e64 v[44:45], v[50:51], -v[48:49]
	s_delay_alu instid0(VALU_DEP_2) | instskip(NEXT) | instid1(VALU_DEP_1)
	v_fmaak_f64 v[42:43], v[40:41], v[42:43], 0x3fa2c15b5711927a
	v_fmaak_f64 v[42:43], v[40:41], v[42:43], 0xbfa59976e82d3ff0
	s_delay_alu instid0(VALU_DEP_1) | instskip(NEXT) | instid1(VALU_DEP_1)
	v_fmaak_f64 v[42:43], v[40:41], v[42:43], 0x3fa82d5d6ef28734
	v_fmaak_f64 v[42:43], v[40:41], v[42:43], 0xbfaae5ce6a214619
	v_add_f64_e32 v[38:39], v[50:51], v[38:39]
	v_add_f64_e64 v[50:51], v[50:51], -v[44:45]
	v_add_f64_e64 v[10:11], v[10:11], -v[44:45]
	s_delay_alu instid0(VALU_DEP_4) | instskip(NEXT) | instid1(VALU_DEP_1)
	v_fmaak_f64 v[42:43], v[40:41], v[42:43], 0x3fae1bb48427b883
	v_fmaak_f64 v[42:43], v[40:41], v[42:43], 0xbfb110e48b207f05
	s_delay_alu instid0(VALU_DEP_1) | instskip(NEXT) | instid1(VALU_DEP_1)
	v_fmaak_f64 v[42:43], v[40:41], v[42:43], 0x3fb3b13657b87036
	v_fmaak_f64 v[42:43], v[40:41], v[42:43], 0xbfb745d119378e4f
	s_delay_alu instid0(VALU_DEP_1) | instskip(SKIP_1) | instid1(VALU_DEP_2)
	v_fmaak_f64 v[42:43], v[40:41], v[42:43], 0x3fbc71c717e1913c
	v_add_f64_e32 v[52:53], v[46:47], v[38:39]
	v_fmaak_f64 v[42:43], v[40:41], v[42:43], 0xbfc2492492376b7d
	s_delay_alu instid0(VALU_DEP_1) | instskip(NEXT) | instid1(VALU_DEP_1)
	v_fmaak_f64 v[42:43], v[40:41], v[42:43], 0x3fc99999999952cc
	v_fmaak_f64 v[42:43], v[40:41], v[42:43], 0xbfd5555555555523
	s_delay_alu instid0(VALU_DEP_1) | instskip(SKIP_2) | instid1(VALU_DEP_3)
	v_mul_f64_e32 v[40:41], v[40:41], v[42:43]
	v_add_f64_e64 v[42:43], v[48:49], -v[50:51]
	v_add_f64_e64 v[44:45], v[52:53], -v[46:47]
	v_fmac_f64_e32 v[34:35], v[34:35], v[40:41]
	s_delay_alu instid0(VALU_DEP_3) | instskip(NEXT) | instid1(VALU_DEP_3)
	v_add_f64_e32 v[10:11], v[10:11], v[42:43]
	v_add_f64_e64 v[38:39], v[38:39], -v[44:45]
	s_delay_alu instid0(VALU_DEP_3) | instskip(NEXT) | instid1(VALU_DEP_2)
	v_add_f64_e64 v[40:41], -v[34:35], s[24:25]
	v_add_f64_e32 v[10:11], v[10:11], v[38:39]
	s_delay_alu instid0(VALU_DEP_2) | instskip(SKIP_1) | instid1(VALU_DEP_3)
	v_dual_cndmask_b32 v35, v35, v41, s0 :: v_dual_cndmask_b32 v34, v34, v40, s0
	v_cmp_gt_i32_e64 s0, 0, v15
	v_add_f64_e32 v[10:11], v[52:53], v[10:11]
	s_delay_alu instid0(VALU_DEP_3) | instskip(NEXT) | instid1(VALU_DEP_3)
	v_add_f64_e64 v[38:39], -v[34:35], s[26:27]
	v_cndmask_b32_e64 v12, 0x54442d18, v60, s0
	v_cndmask_b32_e64 v14, 0x3fe921fb, v61, s0
	s_delay_alu instid0(VALU_DEP_1) | instskip(SKIP_4) | instid1(VALU_DEP_2)
	v_bfi_b32 v14, 0x7fffffff, v14, v17
	v_dual_cndmask_b32 v11, v11, v37 :: v_dual_cndmask_b32 v10, v10, v36
	v_cmp_eq_f64_e32 vcc_lo, 0, v[16:17]
	v_dual_cndmask_b32 v34, v34, v38, s0 :: v_dual_cndmask_b32 v15, v35, v39, s0
	v_cmp_nge_f64_e64 s0, 0, v[36:37]
	v_dual_add_f64 v[10:11], 1.0, v[10:11] :: v_dual_cndmask_b32 v21, v34, v21, vcc_lo
	s_delay_alu instid0(VALU_DEP_3) | instskip(SKIP_1) | instid1(VALU_DEP_3)
	v_cndmask_b32_e32 v8, v15, v8, vcc_lo
	v_cmp_ngt_f64_e32 vcc_lo, 0, v[36:37]
	v_cndmask_b32_e64 v10, 0, v10, s0
	v_cmp_neq_f64_e64 s0, 0, v[36:37]
	v_cndmask_b32_e32 v11, 0x7ff80000, v11, vcc_lo
	s_and_b32 vcc_lo, s3, s1
	v_dual_cndmask_b32 v35, v8, v14 :: v_dual_cndmask_b32 v34, v21, v12
	s_delay_alu instid0(VALU_DEP_2)
	v_cndmask_b32_e64 v11, 0xfff00000, v11, s0
.LBB185_257:                            ;   in Loop: Header=BB185_162 Depth=1
	s_or_b32 exec_lo, exec_lo, s2
.LBB185_258:                            ;   in Loop: Header=BB185_162 Depth=1
	s_and_not1_saveexec_b32 s0, s33
	s_cbranch_execz .LBB185_264
; %bb.259:                              ;   in Loop: Header=BB185_162 Depth=1
	v_cmp_ngt_f64_e64 s1, 0x20000000, |v[14:15]|
	v_cmp_ngt_f64_e64 s2, 0x20000000, |v[16:17]|
                                        ; implicit-def: $vgpr36_vgpr37
	s_or_b32 s1, s1, s2
	s_delay_alu instid0(SALU_CYCLE_1) | instskip(NEXT) | instid1(SALU_CYCLE_1)
	s_and_saveexec_b32 s2, s1
	s_xor_b32 s1, exec_lo, s2
	s_cbranch_execz .LBB185_261
; %bb.260:                              ;   in Loop: Header=BB185_162 Depth=1
	v_mul_f64_e32 v[36:37], v[16:17], v[16:17]
	s_delay_alu instid0(VALU_DEP_1)
	v_fmac_f64_e32 v[36:37], v[14:15], v[14:15]
.LBB185_261:                            ;   in Loop: Header=BB185_162 Depth=1
	s_and_not1_saveexec_b32 s1, s1
	s_cbranch_execz .LBB185_263
; %bb.262:                              ;   in Loop: Header=BB185_162 Depth=1
	v_mul_f64_e32 v[10:11], 4.0, v[16:17]
	v_mul_f64_e32 v[14:15], 4.0, v[14:15]
	s_delay_alu instid0(VALU_DEP_2) | instskip(NEXT) | instid1(VALU_DEP_1)
	v_mul_f64_e32 v[10:11], v[10:11], v[10:11]
	v_fmac_f64_e32 v[10:11], v[14:15], v[14:15]
	s_delay_alu instid0(VALU_DEP_1)
	v_ldexp_f64 v[36:37], v[10:11], -4
.LBB185_263:                            ;   in Loop: Header=BB185_162 Depth=1
	s_or_b32 exec_lo, exec_lo, s1
	s_delay_alu instid0(VALU_DEP_1) | instskip(NEXT) | instid1(VALU_DEP_1)
	v_frexp_mant_f64_e32 v[10:11], v[36:37]
	v_cmp_gt_f64_e32 vcc_lo, s[20:21], v[10:11]
	v_cndmask_b32_e64 v8, 0, 1, vcc_lo
	s_delay_alu instid0(VALU_DEP_1) | instskip(SKIP_1) | instid1(VALU_DEP_1)
	v_ldexp_f64 v[10:11], v[10:11], v8
	v_frexp_exp_i32_f64_e32 v8, v[36:37]
	v_subrev_co_ci_u32_e64 v8, null, 0, v8, vcc_lo
	v_cmp_class_f64_e64 vcc_lo, v[36:37], 0x204
	s_delay_alu instid0(VALU_DEP_4) | instskip(SKIP_1) | instid1(VALU_DEP_2)
	v_add_f64_e32 v[14:15], 1.0, v[10:11]
	v_add_f64_e32 v[40:41], -1.0, v[10:11]
	v_rcp_f64_e32 v[34:35], v[14:15]
	v_add_f64_e32 v[42:43], -1.0, v[14:15]
	s_delay_alu instid0(VALU_DEP_1) | instskip(NEXT) | instid1(TRANS32_DEP_1)
	v_add_f64_e64 v[10:11], v[10:11], -v[42:43]
	v_fma_f64 v[38:39], -v[14:15], v[34:35], 1.0
	s_delay_alu instid0(VALU_DEP_1) | instskip(NEXT) | instid1(VALU_DEP_1)
	v_fmac_f64_e32 v[34:35], v[38:39], v[34:35]
	v_fma_f64 v[38:39], -v[14:15], v[34:35], 1.0
	s_delay_alu instid0(VALU_DEP_1) | instskip(NEXT) | instid1(VALU_DEP_1)
	v_fmac_f64_e32 v[34:35], v[38:39], v[34:35]
	v_mul_f64_e32 v[38:39], v[40:41], v[34:35]
	s_delay_alu instid0(VALU_DEP_1) | instskip(NEXT) | instid1(VALU_DEP_1)
	v_mul_f64_e32 v[44:45], v[14:15], v[38:39]
	v_fma_f64 v[14:15], v[38:39], v[14:15], -v[44:45]
	s_delay_alu instid0(VALU_DEP_1) | instskip(NEXT) | instid1(VALU_DEP_1)
	v_fmac_f64_e32 v[14:15], v[38:39], v[10:11]
	v_add_f64_e32 v[10:11], v[44:45], v[14:15]
	s_delay_alu instid0(VALU_DEP_1) | instskip(SKIP_1) | instid1(VALU_DEP_2)
	v_add_f64_e64 v[42:43], v[40:41], -v[10:11]
	v_add_f64_e64 v[44:45], v[10:11], -v[44:45]
	;; [unrolled: 1-line block ×3, first 2 shown]
	s_delay_alu instid0(VALU_DEP_2) | instskip(NEXT) | instid1(VALU_DEP_2)
	v_add_f64_e64 v[14:15], v[44:45], -v[14:15]
	v_add_f64_e64 v[10:11], v[40:41], -v[10:11]
	s_delay_alu instid0(VALU_DEP_1) | instskip(NEXT) | instid1(VALU_DEP_1)
	v_add_f64_e32 v[10:11], v[14:15], v[10:11]
	v_add_f64_e32 v[10:11], v[42:43], v[10:11]
	s_delay_alu instid0(VALU_DEP_1) | instskip(NEXT) | instid1(VALU_DEP_1)
	v_mul_f64_e32 v[10:11], v[34:35], v[10:11]
	v_add_f64_e32 v[14:15], v[38:39], v[10:11]
	s_delay_alu instid0(VALU_DEP_1) | instskip(NEXT) | instid1(VALU_DEP_1)
	v_mul_f64_e32 v[34:35], v[14:15], v[14:15]
	v_fmamk_f64 v[40:41], v[34:35], 0x3fc3ab76bf559e2b, v[22:23]
	v_mul_f64_e32 v[42:43], v[14:15], v[34:35]
	s_delay_alu instid0(VALU_DEP_2) | instskip(NEXT) | instid1(VALU_DEP_1)
	v_fmaak_f64 v[40:41], v[34:35], v[40:41], 0x3fc7474dd7f4df2e
	v_fmaak_f64 v[40:41], v[34:35], v[40:41], 0x3fcc71c016291751
	s_delay_alu instid0(VALU_DEP_1) | instskip(NEXT) | instid1(VALU_DEP_1)
	v_fmaak_f64 v[40:41], v[34:35], v[40:41], 0x3fd249249b27acf1
	v_fmaak_f64 v[40:41], v[34:35], v[40:41], 0x3fd99999998ef7b6
	s_delay_alu instid0(VALU_DEP_1) | instskip(SKIP_2) | instid1(VALU_DEP_3)
	v_fmaak_f64 v[34:35], v[34:35], v[40:41], 0x3fe5555555555780
	v_ldexp_f64 v[40:41], v[14:15], 1
	v_add_f64_e64 v[14:15], v[14:15], -v[38:39]
	v_mul_f64_e32 v[34:35], v[42:43], v[34:35]
	v_cvt_f64_i32_e32 v[42:43], v8
	s_delay_alu instid0(VALU_DEP_3) | instskip(NEXT) | instid1(VALU_DEP_3)
	v_add_f64_e64 v[10:11], v[10:11], -v[14:15]
	v_add_f64_e32 v[38:39], v[40:41], v[34:35]
	s_delay_alu instid0(VALU_DEP_3) | instskip(NEXT) | instid1(VALU_DEP_3)
	v_mul_f64_e32 v[44:45], 0x3fe62e42fefa39ef, v[42:43]
	v_ldexp_f64 v[10:11], v[10:11], 1
	s_delay_alu instid0(VALU_DEP_3) | instskip(NEXT) | instid1(VALU_DEP_3)
	v_add_f64_e64 v[14:15], v[38:39], -v[40:41]
	v_fma_f64 v[40:41], v[42:43], s[22:23], -v[44:45]
	s_delay_alu instid0(VALU_DEP_2) | instskip(NEXT) | instid1(VALU_DEP_2)
	v_add_f64_e64 v[14:15], v[34:35], -v[14:15]
	v_fmac_f64_e32 v[40:41], 0x3c7abc9e3b39803f, v[42:43]
	s_delay_alu instid0(VALU_DEP_2) | instskip(NEXT) | instid1(VALU_DEP_2)
	v_add_f64_e32 v[10:11], v[10:11], v[14:15]
	v_add_f64_e32 v[14:15], v[44:45], v[40:41]
	s_delay_alu instid0(VALU_DEP_2) | instskip(NEXT) | instid1(VALU_DEP_2)
	v_add_f64_e32 v[34:35], v[38:39], v[10:11]
	v_add_f64_e64 v[44:45], v[14:15], -v[44:45]
	s_delay_alu instid0(VALU_DEP_2) | instskip(SKIP_1) | instid1(VALU_DEP_3)
	v_add_f64_e32 v[42:43], v[14:15], v[34:35]
	v_add_f64_e64 v[38:39], v[34:35], -v[38:39]
	v_add_f64_e64 v[40:41], v[40:41], -v[44:45]
	s_delay_alu instid0(VALU_DEP_3) | instskip(NEXT) | instid1(VALU_DEP_3)
	v_add_f64_e64 v[46:47], v[42:43], -v[14:15]
	v_add_f64_e64 v[10:11], v[10:11], -v[38:39]
	s_delay_alu instid0(VALU_DEP_2) | instskip(SKIP_1) | instid1(VALU_DEP_3)
	v_add_f64_e64 v[48:49], v[42:43], -v[46:47]
	v_add_f64_e64 v[34:35], v[34:35], -v[46:47]
	v_add_f64_e32 v[38:39], v[40:41], v[10:11]
	s_delay_alu instid0(VALU_DEP_3) | instskip(NEXT) | instid1(VALU_DEP_1)
	v_add_f64_e64 v[14:15], v[14:15], -v[48:49]
	v_add_f64_e32 v[14:15], v[34:35], v[14:15]
	s_delay_alu instid0(VALU_DEP_3) | instskip(NEXT) | instid1(VALU_DEP_2)
	v_add_f64_e64 v[34:35], v[38:39], -v[40:41]
	v_add_f64_e32 v[14:15], v[38:39], v[14:15]
	s_delay_alu instid0(VALU_DEP_2) | instskip(SKIP_1) | instid1(VALU_DEP_3)
	v_add_f64_e64 v[38:39], v[38:39], -v[34:35]
	v_add_f64_e64 v[10:11], v[10:11], -v[34:35]
	v_add_f64_e32 v[44:45], v[42:43], v[14:15]
	s_delay_alu instid0(VALU_DEP_3) | instskip(NEXT) | instid1(VALU_DEP_2)
	v_add_f64_e64 v[34:35], v[40:41], -v[38:39]
	v_add_f64_e64 v[38:39], v[44:45], -v[42:43]
	s_delay_alu instid0(VALU_DEP_2) | instskip(SKIP_1) | instid1(VALU_DEP_3)
	v_add_f64_e32 v[10:11], v[10:11], v[34:35]
	v_mov_b64_e32 v[34:35], 0x7ff8000000000000
	v_add_f64_e64 v[14:15], v[14:15], -v[38:39]
	s_delay_alu instid0(VALU_DEP_1) | instskip(NEXT) | instid1(VALU_DEP_1)
	v_add_f64_e32 v[10:11], v[10:11], v[14:15]
	v_add_f64_e32 v[10:11], v[44:45], v[10:11]
	s_delay_alu instid0(VALU_DEP_1) | instskip(SKIP_1) | instid1(VALU_DEP_2)
	v_dual_cndmask_b32 v8, v10, v36, vcc_lo :: v_dual_cndmask_b32 v10, v11, v37, vcc_lo
	v_cmp_ngt_f64_e32 vcc_lo, 0, v[36:37]
	v_cndmask_b32_e32 v11, 0x7ff80000, v10, vcc_lo
	v_cmp_nge_f64_e32 vcc_lo, 0, v[36:37]
	s_delay_alu instid0(VALU_DEP_4) | instskip(SKIP_1) | instid1(VALU_DEP_4)
	v_cndmask_b32_e32 v10, 0, v8, vcc_lo
	v_cmp_neq_f64_e32 vcc_lo, 0, v[36:37]
	v_cndmask_b32_e32 v11, 0xfff00000, v11, vcc_lo
.LBB185_264:                            ;   in Loop: Header=BB185_162 Depth=1
	s_or_b32 exec_lo, exec_lo, s0
                                        ; implicit-def: $vgpr14_vgpr15
                                        ; implicit-def: $vgpr36_vgpr37
	s_delay_alu instid0(SALU_CYCLE_1)
	s_mov_b32 s0, exec_lo
	v_cmpx_o_f64_e32 v[2:3], v[4:5]
	s_xor_b32 s33, exec_lo, s0
	s_cbranch_execz .LBB185_292
; %bb.265:                              ;   in Loop: Header=BB185_162 Depth=1
	v_cmp_lt_f64_e64 s0, |v[2:3]|, |v[4:5]|
	v_and_b32_e32 v12, 0x7fffffff, v3
	v_and_b32_e32 v21, 0x7fffffff, v5
	v_mov_b32_e32 v8, v4
                                        ; implicit-def: $vgpr14_vgpr15
                                        ; implicit-def: $vgpr36_vgpr37
	s_mov_b32 s1, exec_lo
	s_delay_alu instid0(VALU_DEP_2) | instskip(NEXT) | instid1(VALU_DEP_1)
	v_dual_cndmask_b32 v41, v21, v12, s0 :: v_dual_cndmask_b32 v40, v4, v2, s0
	v_cmpx_nlt_f64_e32 s[12:13], v[40:41]
	s_xor_b32 s40, exec_lo, s1
	s_cbranch_execz .LBB185_289
; %bb.266:                              ;   in Loop: Header=BB185_162 Depth=1
	v_dual_cndmask_b32 v43, v12, v21, s0 :: v_dual_cndmask_b32 v42, v2, v8, s0
                                        ; implicit-def: $vgpr14_vgpr15
                                        ; implicit-def: $vgpr36_vgpr37
	s_mov_b32 s1, exec_lo
	s_delay_alu instid0(VALU_DEP_1)
	v_cmpx_neq_f64_e32 1.0, v[42:43]
	s_xor_b32 s41, exec_lo, s1
	s_cbranch_execz .LBB185_282
; %bb.267:                              ;   in Loop: Header=BB185_162 Depth=1
	v_max_num_f64_e32 v[14:15], v[40:41], v[40:41]
	v_max_num_f64_e32 v[36:37], v[42:43], v[42:43]
	s_delay_alu instid0(VALU_DEP_1) | instskip(SKIP_1) | instid1(VALU_DEP_2)
	v_min_num_f64_e32 v[38:39], v[36:37], v[14:15]
	v_max_num_f64_e32 v[14:15], v[36:37], v[14:15]
                                        ; implicit-def: $vgpr36_vgpr37
	v_cmp_ngt_f64_e32 vcc_lo, s[14:15], v[38:39]
	s_delay_alu instid0(VALU_DEP_2) | instskip(SKIP_1) | instid1(SALU_CYCLE_1)
	v_cmp_nlt_f64_e64 s1, s[16:17], v[14:15]
                                        ; implicit-def: $vgpr14_vgpr15
	s_and_b32 s1, s1, vcc_lo
	s_and_saveexec_b32 s2, s1
	s_delay_alu instid0(SALU_CYCLE_1)
	s_xor_b32 s42, exec_lo, s2
	s_cbranch_execz .LBB185_279
; %bb.268:                              ;   in Loop: Header=BB185_162 Depth=1
                                        ; implicit-def: $vgpr14_vgpr15
                                        ; implicit-def: $vgpr36_vgpr37
	s_mov_b32 s1, exec_lo
	v_cmpx_le_f64_e32 1.0, v[42:43]
	s_xor_b32 s4, exec_lo, s1
	s_cbranch_execz .LBB185_270
; %bb.269:                              ;   in Loop: Header=BB185_162 Depth=1
	v_add_f64_e32 v[14:15], -1.0, v[42:43]
	v_cmp_eq_f64_e64 s1, 0, v[4:5]
	v_add_f64_e32 v[36:37], 1.0, v[42:43]
	v_cmp_class_f64_e64 s6, v[2:3], 0x204
	v_cmp_class_f64_e64 s5, v[4:5], 0x204
	s_delay_alu instid0(VALU_DEP_3) | instskip(NEXT) | instid1(VALU_DEP_1)
	v_mul_f64_e32 v[38:39], v[14:15], v[36:37]
	v_fmac_f64_e32 v[38:39], v[40:41], v[40:41]
	s_delay_alu instid0(VALU_DEP_1) | instskip(SKIP_2) | instid1(VALU_DEP_3)
	v_add_f64_e32 v[14:15], 1.0, v[38:39]
	v_cmp_nge_f64_e64 s2, -1.0, v[38:39]
	v_cmp_neq_f64_e64 s3, 0x7ff00000, v[38:39]
	v_frexp_mant_f64_e32 v[36:37], v[14:15]
	v_frexp_exp_i32_f64_e32 v8, v[14:15]
	v_add_f64_e32 v[40:41], -1.0, v[14:15]
	s_delay_alu instid0(VALU_DEP_3) | instskip(NEXT) | instid1(VALU_DEP_2)
	v_cmp_gt_f64_e32 vcc_lo, s[20:21], v[36:37]
	v_add_f64_e64 v[36:37], v[40:41], -v[14:15]
	v_add_f64_e64 v[40:41], v[38:39], -v[40:41]
	v_subrev_co_ci_u32_e64 v8, null, 0, v8, vcc_lo
	s_delay_alu instid0(VALU_DEP_3) | instskip(NEXT) | instid1(VALU_DEP_2)
	v_add_f64_e32 v[36:37], 1.0, v[36:37]
	v_sub_nc_u32_e32 v12, 0, v8
	s_delay_alu instid0(VALU_DEP_1) | instskip(NEXT) | instid1(VALU_DEP_3)
	v_ldexp_f64 v[14:15], v[14:15], v12
	v_add_f64_e32 v[36:37], v[40:41], v[36:37]
	s_delay_alu instid0(VALU_DEP_2) | instskip(SKIP_1) | instid1(VALU_DEP_3)
	v_add_f64_e32 v[42:43], 1.0, v[14:15]
	v_add_f64_e32 v[48:49], -1.0, v[14:15]
	v_ldexp_f64 v[36:37], v[36:37], v12
	s_delay_alu instid0(VALU_DEP_3) | instskip(NEXT) | instid1(VALU_DEP_3)
	v_add_f64_e32 v[40:41], -1.0, v[42:43]
	v_add_f64_e32 v[50:51], 1.0, v[48:49]
	s_delay_alu instid0(VALU_DEP_2) | instskip(NEXT) | instid1(VALU_DEP_2)
	v_add_f64_e64 v[40:41], v[14:15], -v[40:41]
	v_add_f64_e64 v[14:15], v[14:15], -v[50:51]
	s_delay_alu instid0(VALU_DEP_2) | instskip(NEXT) | instid1(VALU_DEP_2)
	v_add_f64_e32 v[40:41], v[36:37], v[40:41]
	v_add_f64_e32 v[14:15], v[36:37], v[14:15]
	s_delay_alu instid0(VALU_DEP_2) | instskip(NEXT) | instid1(VALU_DEP_2)
	v_add_f64_e32 v[44:45], v[42:43], v[40:41]
	v_add_f64_e32 v[50:51], v[48:49], v[14:15]
	s_delay_alu instid0(VALU_DEP_2) | instskip(SKIP_1) | instid1(VALU_DEP_2)
	v_rcp_f64_e32 v[46:47], v[44:45]
	v_add_f64_e64 v[42:43], v[44:45], -v[42:43]
	v_add_f64_e64 v[48:49], v[50:51], -v[48:49]
	s_delay_alu instid0(VALU_DEP_2) | instskip(NEXT) | instid1(VALU_DEP_2)
	v_add_f64_e64 v[40:41], v[40:41], -v[42:43]
	v_add_f64_e64 v[14:15], v[14:15], -v[48:49]
	s_delay_alu instid0(TRANS32_DEP_1) | instskip(NEXT) | instid1(VALU_DEP_1)
	v_fma_f64 v[52:53], -v[44:45], v[46:47], 1.0
	v_fmac_f64_e32 v[46:47], v[52:53], v[46:47]
	s_delay_alu instid0(VALU_DEP_1) | instskip(NEXT) | instid1(VALU_DEP_1)
	v_fma_f64 v[36:37], -v[44:45], v[46:47], 1.0
	v_fmac_f64_e32 v[46:47], v[36:37], v[46:47]
	s_delay_alu instid0(VALU_DEP_1) | instskip(NEXT) | instid1(VALU_DEP_1)
	v_mul_f64_e32 v[36:37], v[50:51], v[46:47]
	v_mul_f64_e32 v[52:53], v[44:45], v[36:37]
	s_delay_alu instid0(VALU_DEP_1) | instskip(NEXT) | instid1(VALU_DEP_1)
	v_fma_f64 v[42:43], v[36:37], v[44:45], -v[52:53]
	v_fmac_f64_e32 v[42:43], v[36:37], v[40:41]
	s_delay_alu instid0(VALU_DEP_1) | instskip(NEXT) | instid1(VALU_DEP_1)
	v_add_f64_e32 v[54:55], v[52:53], v[42:43]
	v_add_f64_e64 v[56:57], v[50:51], -v[54:55]
	v_add_f64_e64 v[48:49], v[54:55], -v[52:53]
	s_delay_alu instid0(VALU_DEP_2) | instskip(NEXT) | instid1(VALU_DEP_2)
	v_add_f64_e64 v[50:51], v[50:51], -v[56:57]
	v_add_f64_e64 v[42:43], v[48:49], -v[42:43]
	s_delay_alu instid0(VALU_DEP_2) | instskip(NEXT) | instid1(VALU_DEP_1)
	v_add_f64_e64 v[50:51], v[50:51], -v[54:55]
	v_add_f64_e32 v[14:15], v[14:15], v[50:51]
	s_delay_alu instid0(VALU_DEP_1) | instskip(NEXT) | instid1(VALU_DEP_1)
	v_add_f64_e32 v[14:15], v[42:43], v[14:15]
	v_add_f64_e32 v[42:43], v[56:57], v[14:15]
	s_delay_alu instid0(VALU_DEP_1) | instskip(SKIP_1) | instid1(VALU_DEP_2)
	v_mul_f64_e32 v[48:49], v[46:47], v[42:43]
	v_add_f64_e64 v[54:55], v[56:57], -v[42:43]
	v_mul_f64_e32 v[50:51], v[44:45], v[48:49]
	s_delay_alu instid0(VALU_DEP_2) | instskip(NEXT) | instid1(VALU_DEP_2)
	v_add_f64_e32 v[14:15], v[14:15], v[54:55]
	v_fma_f64 v[44:45], v[48:49], v[44:45], -v[50:51]
	s_delay_alu instid0(VALU_DEP_1) | instskip(NEXT) | instid1(VALU_DEP_1)
	v_fmac_f64_e32 v[44:45], v[48:49], v[40:41]
	v_add_f64_e32 v[40:41], v[50:51], v[44:45]
	s_delay_alu instid0(VALU_DEP_1) | instskip(SKIP_1) | instid1(VALU_DEP_2)
	v_add_f64_e64 v[52:53], v[42:43], -v[40:41]
	v_add_f64_e64 v[50:51], v[40:41], -v[50:51]
	;; [unrolled: 1-line block ×3, first 2 shown]
	s_delay_alu instid0(VALU_DEP_1) | instskip(NEXT) | instid1(VALU_DEP_3)
	v_add_f64_e64 v[40:41], v[42:43], -v[40:41]
	v_add_f64_e64 v[42:43], v[50:51], -v[44:45]
	v_max_num_f64_e64 v[44:45], |v[2:3]|, |v[2:3]|
	s_delay_alu instid0(VALU_DEP_3) | instskip(SKIP_1) | instid1(VALU_DEP_2)
	v_add_f64_e32 v[14:15], v[14:15], v[40:41]
	v_add_f64_e32 v[40:41], v[36:37], v[48:49]
	;; [unrolled: 1-line block ×3, first 2 shown]
	s_delay_alu instid0(VALU_DEP_2) | instskip(SKIP_1) | instid1(VALU_DEP_3)
	v_add_f64_e64 v[36:37], v[40:41], -v[36:37]
	v_max_num_f64_e64 v[42:43], |v[4:5]|, |v[4:5]|
	v_add_f64_e32 v[14:15], v[52:53], v[14:15]
	s_delay_alu instid0(VALU_DEP_3) | instskip(NEXT) | instid1(VALU_DEP_2)
	v_add_f64_e64 v[36:37], v[48:49], -v[36:37]
	v_mul_f64_e32 v[14:15], v[46:47], v[14:15]
	s_delay_alu instid0(VALU_DEP_1) | instskip(SKIP_2) | instid1(VALU_DEP_3)
	v_add_f64_e32 v[14:15], v[36:37], v[14:15]
	v_max_num_f64_e32 v[36:37], v[44:45], v[42:43]
	v_min_num_f64_e32 v[42:43], v[44:45], v[42:43]
	v_add_f64_e32 v[44:45], v[40:41], v[14:15]
	s_delay_alu instid0(VALU_DEP_2) | instskip(NEXT) | instid1(VALU_DEP_2)
	v_div_scale_f64 v[46:47], null, v[36:37], v[36:37], v[42:43]
	v_mul_f64_e32 v[48:49], v[44:45], v[44:45]
	v_add_f64_e64 v[40:41], v[44:45], -v[40:41]
	s_delay_alu instid0(VALU_DEP_3) | instskip(NEXT) | instid1(VALU_DEP_2)
	v_rcp_f64_e32 v[50:51], v[46:47]
	v_fmamk_f64 v[52:53], v[48:49], 0x3fc3ab76bf559e2b, v[22:23]
	v_mul_f64_e32 v[54:55], v[44:45], v[48:49]
	s_delay_alu instid0(VALU_DEP_3) | instskip(NEXT) | instid1(VALU_DEP_3)
	v_add_f64_e64 v[14:15], v[14:15], -v[40:41]
	v_fmaak_f64 v[52:53], v[48:49], v[52:53], 0x3fc7474dd7f4df2e
	s_delay_alu instid0(TRANS32_DEP_1) | instskip(NEXT) | instid1(VALU_DEP_2)
	v_fma_f64 v[56:57], -v[46:47], v[50:51], 1.0
	v_fmaak_f64 v[52:53], v[48:49], v[52:53], 0x3fcc71c016291751
	s_delay_alu instid0(VALU_DEP_1) | instskip(NEXT) | instid1(VALU_DEP_1)
	v_fmaak_f64 v[52:53], v[48:49], v[52:53], 0x3fd249249b27acf1
	v_fmaak_f64 v[52:53], v[48:49], v[52:53], 0x3fd99999998ef7b6
	v_ldexp_f64 v[14:15], v[14:15], 1
	s_delay_alu instid0(VALU_DEP_2) | instskip(SKIP_2) | instid1(VALU_DEP_3)
	v_fmaak_f64 v[48:49], v[48:49], v[52:53], 0x3fe5555555555780
	v_ldexp_f64 v[52:53], v[44:45], 1
	v_fmac_f64_e32 v[50:51], v[50:51], v[56:57]
	v_mul_f64_e32 v[48:49], v[54:55], v[48:49]
	v_cvt_f64_i32_e32 v[54:55], v8
	v_ashrrev_i32_e32 v8, 31, v3
	s_delay_alu instid0(VALU_DEP_1) | instskip(SKIP_3) | instid1(VALU_DEP_3)
	v_and_b32_e32 v16, 0x54442d18, v8
	v_fma_f64 v[56:57], -v[46:47], v[50:51], 1.0
	v_add_f64_e32 v[44:45], v[52:53], v[48:49]
	v_mul_f64_e32 v[58:59], 0x3fe62e42fefa39ef, v[54:55]
	v_fmac_f64_e32 v[50:51], v[50:51], v[56:57]
	s_delay_alu instid0(VALU_DEP_3) | instskip(SKIP_1) | instid1(VALU_DEP_4)
	v_add_f64_e64 v[40:41], v[44:45], -v[52:53]
	v_div_scale_f64 v[52:53], vcc_lo, v[42:43], v[36:37], v[42:43]
	v_fma_f64 v[56:57], v[54:55], s[22:23], -v[58:59]
	s_delay_alu instid0(VALU_DEP_3) | instskip(NEXT) | instid1(VALU_DEP_3)
	v_add_f64_e64 v[40:41], v[48:49], -v[40:41]
	v_mul_f64_e32 v[48:49], v[52:53], v[50:51]
	s_delay_alu instid0(VALU_DEP_3) | instskip(NEXT) | instid1(VALU_DEP_3)
	v_fmac_f64_e32 v[56:57], 0x3c7abc9e3b39803f, v[54:55]
	v_add_f64_e32 v[14:15], v[14:15], v[40:41]
	s_delay_alu instid0(VALU_DEP_3) | instskip(NEXT) | instid1(VALU_DEP_3)
	v_fma_f64 v[40:41], -v[46:47], v[48:49], v[52:53]
	v_add_f64_e32 v[46:47], v[58:59], v[56:57]
	s_delay_alu instid0(VALU_DEP_3) | instskip(NEXT) | instid1(VALU_DEP_3)
	v_add_f64_e32 v[52:53], v[44:45], v[14:15]
	v_div_fmas_f64 v[40:41], v[40:41], v[50:51], v[48:49]
	v_cmp_gt_i32_e32 vcc_lo, 0, v3
	s_delay_alu instid0(VALU_DEP_4) | instskip(SKIP_3) | instid1(VALU_DEP_1)
	v_add_f64_e64 v[50:51], v[46:47], -v[58:59]
	v_and_b32_e32 v3, 0x400921fb, v8
	v_cndmask_b32_e32 v12, 0x54442d18, v60, vcc_lo
	v_cndmask_b32_e32 v2, 0x3fe921fb, v61, vcc_lo
	v_bfi_b32 v2, 0x7fffffff, v2, v5
	v_add_f64_e32 v[48:49], v[46:47], v[52:53]
	v_div_fixup_f64 v[36:37], v[40:41], v[36:37], v[42:43]
	v_add_f64_e64 v[44:45], v[52:53], -v[44:45]
	v_add_f64_e64 v[50:51], v[56:57], -v[50:51]
	s_delay_alu instid0(VALU_DEP_4) | instskip(NEXT) | instid1(VALU_DEP_4)
	v_add_f64_e64 v[40:41], v[48:49], -v[46:47]
	v_mul_f64_e32 v[42:43], v[36:37], v[36:37]
	s_delay_alu instid0(VALU_DEP_4) | instskip(NEXT) | instid1(VALU_DEP_3)
	v_add_f64_e64 v[14:15], v[14:15], -v[44:45]
	v_add_f64_e64 v[54:55], v[48:49], -v[40:41]
	s_delay_alu instid0(VALU_DEP_3) | instskip(SKIP_1) | instid1(VALU_DEP_4)
	v_fmamk_f64 v[58:59], v[42:43], 0x3eeba404b5e68a13, v[24:25]
	v_add_f64_e64 v[40:41], v[52:53], -v[40:41]
	v_add_f64_e32 v[52:53], v[50:51], v[14:15]
	s_delay_alu instid0(VALU_DEP_3) | instskip(SKIP_1) | instid1(VALU_DEP_2)
	v_fmaak_f64 v[58:59], v[42:43], v[58:59], 0x3f4b2bb069efb384
	v_add_f64_e64 v[44:45], v[46:47], -v[54:55]
	v_fmaak_f64 v[46:47], v[42:43], v[58:59], 0xbf67952daf56de9b
	s_delay_alu instid0(VALU_DEP_1) | instskip(NEXT) | instid1(VALU_DEP_1)
	v_fmaak_f64 v[46:47], v[42:43], v[46:47], 0x3f7d6d43a595c56f
	v_fmaak_f64 v[46:47], v[42:43], v[46:47], 0xbf8c6ea4a57d9582
	s_delay_alu instid0(VALU_DEP_1) | instskip(NEXT) | instid1(VALU_DEP_1)
	v_fmaak_f64 v[46:47], v[42:43], v[46:47], 0x3f967e295f08b19f
	v_fmaak_f64 v[46:47], v[42:43], v[46:47], 0xbf9e9ae6fc27006a
	v_add_f64_e32 v[40:41], v[40:41], v[44:45]
	s_delay_alu instid0(VALU_DEP_2) | instskip(SKIP_1) | instid1(VALU_DEP_2)
	v_fmaak_f64 v[44:45], v[42:43], v[46:47], 0x3fa2c15b5711927a
	v_add_f64_e64 v[46:47], v[52:53], -v[50:51]
	v_fmaak_f64 v[44:45], v[42:43], v[44:45], 0xbfa59976e82d3ff0
	s_delay_alu instid0(VALU_DEP_1) | instskip(NEXT) | instid1(VALU_DEP_1)
	v_fmaak_f64 v[44:45], v[42:43], v[44:45], 0x3fa82d5d6ef28734
	v_fmaak_f64 v[44:45], v[42:43], v[44:45], 0xbfaae5ce6a214619
	s_delay_alu instid0(VALU_DEP_1) | instskip(SKIP_3) | instid1(VALU_DEP_4)
	v_fmaak_f64 v[44:45], v[42:43], v[44:45], 0x3fae1bb48427b883
	v_add_f64_e32 v[40:41], v[52:53], v[40:41]
	v_add_f64_e64 v[52:53], v[52:53], -v[46:47]
	v_add_f64_e64 v[14:15], v[14:15], -v[46:47]
	v_fmaak_f64 v[44:45], v[42:43], v[44:45], 0xbfb110e48b207f05
	s_delay_alu instid0(VALU_DEP_1) | instskip(NEXT) | instid1(VALU_DEP_1)
	v_fmaak_f64 v[44:45], v[42:43], v[44:45], 0x3fb3b13657b87036
	v_fmaak_f64 v[44:45], v[42:43], v[44:45], 0xbfb745d119378e4f
	s_delay_alu instid0(VALU_DEP_1) | instskip(SKIP_1) | instid1(VALU_DEP_2)
	v_fmaak_f64 v[44:45], v[42:43], v[44:45], 0x3fbc71c717e1913c
	v_add_f64_e32 v[54:55], v[48:49], v[40:41]
	v_fmaak_f64 v[44:45], v[42:43], v[44:45], 0xbfc2492492376b7d
	s_delay_alu instid0(VALU_DEP_1) | instskip(NEXT) | instid1(VALU_DEP_1)
	v_fmaak_f64 v[44:45], v[42:43], v[44:45], 0x3fc99999999952cc
	v_fmaak_f64 v[44:45], v[42:43], v[44:45], 0xbfd5555555555523
	s_delay_alu instid0(VALU_DEP_1) | instskip(SKIP_2) | instid1(VALU_DEP_3)
	v_mul_f64_e32 v[42:43], v[42:43], v[44:45]
	v_add_f64_e64 v[44:45], v[50:51], -v[52:53]
	v_add_f64_e64 v[46:47], v[54:55], -v[48:49]
	v_fmac_f64_e32 v[36:37], v[36:37], v[42:43]
	s_delay_alu instid0(VALU_DEP_3) | instskip(NEXT) | instid1(VALU_DEP_3)
	v_add_f64_e32 v[14:15], v[14:15], v[44:45]
	v_add_f64_e64 v[40:41], v[40:41], -v[46:47]
	s_delay_alu instid0(VALU_DEP_3) | instskip(NEXT) | instid1(VALU_DEP_1)
	v_add_f64_e64 v[42:43], -v[36:37], s[24:25]
	v_dual_add_f64 v[14:15], v[14:15], v[40:41] :: v_dual_cndmask_b32 v37, v37, v43, s0
	s_delay_alu instid0(VALU_DEP_2) | instskip(NEXT) | instid1(VALU_DEP_1)
	v_cndmask_b32_e64 v36, v36, v42, s0
                                        ; implicit-def: $vgpr42_vgpr43
	v_add_f64_e64 v[40:41], -v[36:37], s[26:27]
	s_delay_alu instid0(VALU_DEP_1) | instskip(NEXT) | instid1(VALU_DEP_2)
	v_dual_add_f64 v[14:15], v[54:55], v[14:15] :: v_dual_cndmask_b32 v21, v36, v40, vcc_lo
	v_cndmask_b32_e32 v8, v37, v41, vcc_lo
	v_cmp_ngt_f64_e32 vcc_lo, -1.0, v[38:39]
	s_delay_alu instid0(VALU_DEP_3) | instskip(NEXT) | instid1(VALU_DEP_3)
	v_mul_f64_e32 v[14:15], 0.5, v[14:15]
                                        ; implicit-def: $vgpr40_vgpr41
	v_dual_cndmask_b32 v16, v21, v16, s1 :: v_dual_cndmask_b32 v3, v8, v3, s1
	s_and_b32 s1, s2, s3
	s_delay_alu instid0(VALU_DEP_2) | instid1(SALU_CYCLE_1)
	v_cndmask_b32_e64 v14, 0, v14, s1
	v_cmp_neq_f64_e64 s1, -1.0, v[38:39]
	s_delay_alu instid0(VALU_DEP_4) | instskip(NEXT) | instid1(VALU_DEP_1)
	v_cndmask_b32_e64 v15, 0x7ff00000, v15, s3
	v_cndmask_b32_e32 v8, 0x7ff80000, v15, vcc_lo
	s_and_b32 vcc_lo, s6, s5
	v_dual_cndmask_b32 v37, v3, v2 :: v_dual_cndmask_b32 v36, v16, v12
	s_delay_alu instid0(VALU_DEP_2)
	v_cndmask_b32_e64 v15, 0xfff00000, v8, s1
.LBB185_270:                            ;   in Loop: Header=BB185_162 Depth=1
	s_and_not1_saveexec_b32 s43, s4
	s_cbranch_execz .LBB185_278
; %bb.271:                              ;   in Loop: Header=BB185_162 Depth=1
	v_mul_f64_e32 v[38:39], v[40:41], v[40:41]
                                        ; implicit-def: $vgpr14_vgpr15
                                        ; implicit-def: $vgpr36_vgpr37
	s_mov_b32 s1, exec_lo
	s_delay_alu instid0(VALU_DEP_1) | instskip(NEXT) | instid1(VALU_DEP_1)
	v_fmac_f64_e32 v[38:39], v[42:43], v[42:43]
	v_cmpx_ge_f64_e32 s[28:29], v[38:39]
	s_xor_b32 s3, exec_lo, s1
	s_cbranch_execz .LBB185_273
; %bb.272:                              ;   in Loop: Header=BB185_162 Depth=1
	v_frexp_mant_f64_e32 v[14:15], v[38:39]
	v_cmp_eq_f64_e64 s1, 0, v[4:5]
	v_cmp_neq_f64_e64 s2, 0, v[38:39]
	v_cmp_class_f64_e64 s4, v[4:5], 0x204
	v_cmp_class_f64_e64 s5, v[2:3], 0x204
	v_cmp_gt_f64_e32 vcc_lo, s[20:21], v[14:15]
	v_cndmask_b32_e64 v8, 0, 1, vcc_lo
	s_delay_alu instid0(VALU_DEP_1) | instskip(SKIP_1) | instid1(VALU_DEP_2)
	v_ldexp_f64 v[14:15], v[14:15], v8
	v_frexp_exp_i32_f64_e32 v8, v[38:39]
	v_add_f64_e32 v[36:37], 1.0, v[14:15]
	v_add_f64_e32 v[44:45], -1.0, v[14:15]
	s_delay_alu instid0(VALU_DEP_3) | instskip(NEXT) | instid1(VALU_DEP_3)
	v_subrev_co_ci_u32_e64 v8, null, 0, v8, vcc_lo
	v_rcp_f64_e32 v[40:41], v[36:37]
	v_add_f64_e32 v[46:47], -1.0, v[36:37]
	s_delay_alu instid0(VALU_DEP_1) | instskip(NEXT) | instid1(TRANS32_DEP_1)
	v_add_f64_e64 v[14:15], v[14:15], -v[46:47]
	v_fma_f64 v[42:43], -v[36:37], v[40:41], 1.0
	s_delay_alu instid0(VALU_DEP_1) | instskip(NEXT) | instid1(VALU_DEP_1)
	v_fmac_f64_e32 v[40:41], v[42:43], v[40:41]
	v_fma_f64 v[42:43], -v[36:37], v[40:41], 1.0
	s_delay_alu instid0(VALU_DEP_1) | instskip(NEXT) | instid1(VALU_DEP_1)
	v_fmac_f64_e32 v[40:41], v[42:43], v[40:41]
	v_mul_f64_e32 v[42:43], v[44:45], v[40:41]
	s_delay_alu instid0(VALU_DEP_1) | instskip(NEXT) | instid1(VALU_DEP_1)
	v_mul_f64_e32 v[48:49], v[36:37], v[42:43]
	v_fma_f64 v[36:37], v[42:43], v[36:37], -v[48:49]
	s_delay_alu instid0(VALU_DEP_1) | instskip(NEXT) | instid1(VALU_DEP_1)
	v_fmac_f64_e32 v[36:37], v[42:43], v[14:15]
	v_add_f64_e32 v[14:15], v[48:49], v[36:37]
	s_delay_alu instid0(VALU_DEP_1) | instskip(SKIP_1) | instid1(VALU_DEP_2)
	v_add_f64_e64 v[46:47], v[44:45], -v[14:15]
	v_add_f64_e64 v[48:49], v[14:15], -v[48:49]
	;; [unrolled: 1-line block ×3, first 2 shown]
	s_delay_alu instid0(VALU_DEP_2) | instskip(NEXT) | instid1(VALU_DEP_2)
	v_add_f64_e64 v[36:37], v[48:49], -v[36:37]
	v_add_f64_e64 v[14:15], v[44:45], -v[14:15]
	v_max_num_f64_e64 v[44:45], |v[2:3]|, |v[2:3]|
	s_delay_alu instid0(VALU_DEP_2) | instskip(SKIP_1) | instid1(VALU_DEP_2)
	v_add_f64_e32 v[14:15], v[36:37], v[14:15]
	v_max_num_f64_e64 v[36:37], |v[4:5]|, |v[4:5]|
	v_add_f64_e32 v[14:15], v[46:47], v[14:15]
	s_delay_alu instid0(VALU_DEP_1) | instskip(NEXT) | instid1(VALU_DEP_3)
	v_mul_f64_e32 v[14:15], v[40:41], v[14:15]
	v_max_num_f64_e32 v[40:41], v[44:45], v[36:37]
	v_min_num_f64_e32 v[36:37], v[44:45], v[36:37]
	s_delay_alu instid0(VALU_DEP_3) | instskip(NEXT) | instid1(VALU_DEP_2)
	v_add_f64_e32 v[44:45], v[42:43], v[14:15]
	v_div_scale_f64 v[46:47], null, v[40:41], v[40:41], v[36:37]
	s_delay_alu instid0(VALU_DEP_2) | instskip(NEXT) | instid1(VALU_DEP_2)
	v_mul_f64_e32 v[48:49], v[44:45], v[44:45]
	v_rcp_f64_e32 v[50:51], v[46:47]
	s_delay_alu instid0(VALU_DEP_1) | instskip(SKIP_1) | instid1(VALU_DEP_2)
	v_fmamk_f64 v[52:53], v[48:49], 0x3fc3ab76bf559e2b, v[22:23]
	v_mul_f64_e32 v[54:55], v[44:45], v[48:49]
	v_fmaak_f64 v[52:53], v[48:49], v[52:53], 0x3fc7474dd7f4df2e
	s_delay_alu instid0(TRANS32_DEP_1) | instskip(NEXT) | instid1(VALU_DEP_2)
	v_fma_f64 v[56:57], -v[46:47], v[50:51], 1.0
	v_fmaak_f64 v[52:53], v[48:49], v[52:53], 0x3fcc71c016291751
	s_delay_alu instid0(VALU_DEP_1) | instskip(NEXT) | instid1(VALU_DEP_1)
	v_fmaak_f64 v[52:53], v[48:49], v[52:53], 0x3fd249249b27acf1
	v_fmaak_f64 v[52:53], v[48:49], v[52:53], 0x3fd99999998ef7b6
	s_delay_alu instid0(VALU_DEP_1) | instskip(SKIP_2) | instid1(VALU_DEP_3)
	v_fmaak_f64 v[48:49], v[48:49], v[52:53], 0x3fe5555555555780
	v_ldexp_f64 v[52:53], v[44:45], 1
	v_fmac_f64_e32 v[50:51], v[50:51], v[56:57]
	v_mul_f64_e32 v[48:49], v[54:55], v[48:49]
	v_cvt_f64_i32_e32 v[54:55], v8
	v_ashrrev_i32_e32 v8, 31, v3
	v_add_f64_e64 v[42:43], v[44:45], -v[42:43]
	s_delay_alu instid0(VALU_DEP_2)
	v_and_b32_e32 v16, 0x54442d18, v8
	v_and_b32_e32 v8, 0x400921fb, v8
	v_fma_f64 v[56:57], -v[46:47], v[50:51], 1.0
	v_add_f64_e32 v[44:45], v[52:53], v[48:49]
	v_mul_f64_e32 v[58:59], 0x3fe62e42fefa39ef, v[54:55]
	v_add_f64_e64 v[14:15], v[14:15], -v[42:43]
	s_delay_alu instid0(VALU_DEP_4) | instskip(NEXT) | instid1(VALU_DEP_4)
	v_fmac_f64_e32 v[50:51], v[50:51], v[56:57]
	v_add_f64_e64 v[42:43], v[44:45], -v[52:53]
	v_div_scale_f64 v[52:53], vcc_lo, v[36:37], v[40:41], v[36:37]
	v_fma_f64 v[56:57], v[54:55], s[22:23], -v[58:59]
	v_ldexp_f64 v[14:15], v[14:15], 1
	s_delay_alu instid0(VALU_DEP_4) | instskip(NEXT) | instid1(VALU_DEP_4)
	v_add_f64_e64 v[42:43], v[48:49], -v[42:43]
	v_mul_f64_e32 v[48:49], v[52:53], v[50:51]
	s_delay_alu instid0(VALU_DEP_4) | instskip(NEXT) | instid1(VALU_DEP_3)
	v_fmac_f64_e32 v[56:57], 0x3c7abc9e3b39803f, v[54:55]
	v_add_f64_e32 v[14:15], v[14:15], v[42:43]
	s_delay_alu instid0(VALU_DEP_3) | instskip(NEXT) | instid1(VALU_DEP_3)
	v_fma_f64 v[42:43], -v[46:47], v[48:49], v[52:53]
	v_add_f64_e32 v[46:47], v[58:59], v[56:57]
	s_delay_alu instid0(VALU_DEP_3) | instskip(NEXT) | instid1(VALU_DEP_3)
	v_add_f64_e32 v[52:53], v[44:45], v[14:15]
	v_div_fmas_f64 v[42:43], v[42:43], v[50:51], v[48:49]
	v_cmp_gt_i32_e32 vcc_lo, 0, v3
	s_delay_alu instid0(VALU_DEP_4)
	v_add_f64_e64 v[50:51], v[46:47], -v[58:59]
	v_cndmask_b32_e32 v12, 0x54442d18, v60, vcc_lo
	v_add_f64_e32 v[48:49], v[46:47], v[52:53]
	v_div_fixup_f64 v[36:37], v[42:43], v[40:41], v[36:37]
	v_add_f64_e64 v[44:45], v[52:53], -v[44:45]
	v_add_f64_e64 v[50:51], v[56:57], -v[50:51]
	s_delay_alu instid0(VALU_DEP_4) | instskip(NEXT) | instid1(VALU_DEP_4)
	v_add_f64_e64 v[40:41], v[48:49], -v[46:47]
	v_mul_f64_e32 v[42:43], v[36:37], v[36:37]
	s_delay_alu instid0(VALU_DEP_4) | instskip(NEXT) | instid1(VALU_DEP_3)
	v_add_f64_e64 v[14:15], v[14:15], -v[44:45]
	v_add_f64_e64 v[54:55], v[48:49], -v[40:41]
	s_delay_alu instid0(VALU_DEP_3) | instskip(SKIP_1) | instid1(VALU_DEP_4)
	v_fmamk_f64 v[58:59], v[42:43], 0x3eeba404b5e68a13, v[24:25]
	v_add_f64_e64 v[40:41], v[52:53], -v[40:41]
	v_add_f64_e32 v[52:53], v[50:51], v[14:15]
	s_delay_alu instid0(VALU_DEP_3) | instskip(NEXT) | instid1(VALU_DEP_1)
	v_fmaak_f64 v[58:59], v[42:43], v[58:59], 0x3f4b2bb069efb384
	v_fmaak_f64 v[58:59], v[42:43], v[58:59], 0xbf67952daf56de9b
	v_add_f64_e64 v[44:45], v[46:47], -v[54:55]
	s_delay_alu instid0(VALU_DEP_2) | instskip(NEXT) | instid1(VALU_DEP_1)
	v_fmaak_f64 v[46:47], v[42:43], v[58:59], 0x3f7d6d43a595c56f
	v_fmaak_f64 v[46:47], v[42:43], v[46:47], 0xbf8c6ea4a57d9582
	s_delay_alu instid0(VALU_DEP_1) | instskip(NEXT) | instid1(VALU_DEP_1)
	v_fmaak_f64 v[46:47], v[42:43], v[46:47], 0x3f967e295f08b19f
	v_fmaak_f64 v[46:47], v[42:43], v[46:47], 0xbf9e9ae6fc27006a
	s_delay_alu instid0(VALU_DEP_1) | instskip(SKIP_1) | instid1(VALU_DEP_2)
	v_fmaak_f64 v[46:47], v[42:43], v[46:47], 0x3fa2c15b5711927a
	v_add_f64_e32 v[40:41], v[40:41], v[44:45]
	v_fmaak_f64 v[44:45], v[42:43], v[46:47], 0xbfa59976e82d3ff0
	v_add_f64_e64 v[46:47], v[52:53], -v[50:51]
	s_delay_alu instid0(VALU_DEP_2) | instskip(NEXT) | instid1(VALU_DEP_1)
	v_fmaak_f64 v[44:45], v[42:43], v[44:45], 0x3fa82d5d6ef28734
	v_fmaak_f64 v[44:45], v[42:43], v[44:45], 0xbfaae5ce6a214619
	s_delay_alu instid0(VALU_DEP_1) | instskip(NEXT) | instid1(VALU_DEP_1)
	v_fmaak_f64 v[44:45], v[42:43], v[44:45], 0x3fae1bb48427b883
	v_fmaak_f64 v[44:45], v[42:43], v[44:45], 0xbfb110e48b207f05
	v_add_f64_e32 v[40:41], v[52:53], v[40:41]
	v_add_f64_e64 v[52:53], v[52:53], -v[46:47]
	v_add_f64_e64 v[14:15], v[14:15], -v[46:47]
	s_delay_alu instid0(VALU_DEP_4) | instskip(NEXT) | instid1(VALU_DEP_1)
	v_fmaak_f64 v[44:45], v[42:43], v[44:45], 0x3fb3b13657b87036
	v_fmaak_f64 v[44:45], v[42:43], v[44:45], 0xbfb745d119378e4f
	s_delay_alu instid0(VALU_DEP_1) | instskip(NEXT) | instid1(VALU_DEP_1)
	v_fmaak_f64 v[44:45], v[42:43], v[44:45], 0x3fbc71c717e1913c
	v_fmaak_f64 v[44:45], v[42:43], v[44:45], 0xbfc2492492376b7d
	v_add_f64_e32 v[54:55], v[48:49], v[40:41]
	s_delay_alu instid0(VALU_DEP_2) | instskip(NEXT) | instid1(VALU_DEP_1)
	v_fmaak_f64 v[44:45], v[42:43], v[44:45], 0x3fc99999999952cc
	v_fmaak_f64 v[44:45], v[42:43], v[44:45], 0xbfd5555555555523
	s_delay_alu instid0(VALU_DEP_1) | instskip(SKIP_2) | instid1(VALU_DEP_3)
	v_mul_f64_e32 v[42:43], v[42:43], v[44:45]
	v_add_f64_e64 v[44:45], v[50:51], -v[52:53]
	v_add_f64_e64 v[46:47], v[54:55], -v[48:49]
	v_fmac_f64_e32 v[36:37], v[36:37], v[42:43]
	s_delay_alu instid0(VALU_DEP_3) | instskip(NEXT) | instid1(VALU_DEP_3)
	v_add_f64_e32 v[14:15], v[14:15], v[44:45]
	v_add_f64_e64 v[40:41], v[40:41], -v[46:47]
	s_delay_alu instid0(VALU_DEP_3) | instskip(NEXT) | instid1(VALU_DEP_1)
	v_add_f64_e64 v[42:43], -v[36:37], s[24:25]
	v_dual_add_f64 v[14:15], v[14:15], v[40:41] :: v_dual_cndmask_b32 v37, v37, v43, s0
	s_delay_alu instid0(VALU_DEP_2) | instskip(NEXT) | instid1(VALU_DEP_1)
	v_cndmask_b32_e64 v36, v36, v42, s0
                                        ; implicit-def: $vgpr42_vgpr43
	v_add_f64_e64 v[40:41], -v[36:37], s[26:27]
	s_delay_alu instid0(VALU_DEP_1) | instskip(NEXT) | instid1(VALU_DEP_1)
	v_dual_add_f64 v[14:15], v[54:55], v[14:15] :: v_dual_cndmask_b32 v21, v36, v40, vcc_lo
	v_dual_mul_f64 v[2:3], 0.5, v[14:15] :: v_dual_cndmask_b32 v16, v21, v16, s1
	v_cndmask_b32_e32 v14, 0x3fe921fb, v61, vcc_lo
	s_delay_alu instid0(VALU_DEP_4) | instskip(SKIP_1) | instid1(VALU_DEP_3)
	v_cndmask_b32_e32 v15, v37, v41, vcc_lo
	s_and_b32 vcc_lo, s5, s4
                                        ; implicit-def: $vgpr40_vgpr41
	v_cndmask_b32_e32 v36, v16, v12, vcc_lo
	s_delay_alu instid0(VALU_DEP_3) | instskip(NEXT) | instid1(VALU_DEP_3)
	v_bfi_b32 v14, 0x7fffffff, v14, v5
	v_cndmask_b32_e64 v8, v15, v8, s1
	s_delay_alu instid0(VALU_DEP_1)
	v_cndmask_b32_e32 v37, v8, v14, vcc_lo
	v_cndmask_b32_e64 v15, 0xfff00000, v3, s2
	v_cndmask_b32_e64 v14, 0, v2, s2
.LBB185_273:                            ;   in Loop: Header=BB185_162 Depth=1
	s_and_not1_saveexec_b32 s44, s3
	s_cbranch_execz .LBB185_277
; %bb.274:                              ;   in Loop: Header=BB185_162 Depth=1
	v_and_b32_e32 v21, 0x7ffffff8, v43
	v_and_b32_e32 v37, 0x7ffffff8, v41
	v_mov_b32_e32 v36, v20
	s_mov_b32 s45, 0
	s_delay_alu instid0(VALU_DEP_3) | instskip(SKIP_1) | instid1(VALU_DEP_3)
	v_dual_add_f64 v[14:15], v[42:43], -v[20:21] :: v_dual_mov_b32 v44, v20
	v_mov_b32_e32 v42, v20
	v_add_f64_e64 v[38:39], v[40:41], -v[36:37]
	v_add_f64_e32 v[54:55], v[36:37], v[36:37]
	s_delay_alu instid0(VALU_DEP_4) | instskip(NEXT) | instid1(VALU_DEP_3)
	v_dual_mul_f64 v[40:41], v[36:37], v[36:37] :: v_dual_bitop2_b32 v43, -8, v15 bitop3:0x40
	v_dual_add_f64 v[46:47], v[20:21], v[20:21] :: v_dual_bitop2_b32 v45, -8, v39 bitop3:0x40
	s_delay_alu instid0(VALU_DEP_2) | instskip(SKIP_1) | instid1(VALU_DEP_3)
	v_add_f64_e64 v[56:57], v[14:15], -v[42:43]
	v_add_f64_e32 v[62:63], v[42:43], v[42:43]
	v_add_f64_e64 v[58:59], v[38:39], -v[44:45]
	v_add_f64_e32 v[64:65], v[44:45], v[44:45]
	v_mul_f64_e32 v[14:15], v[20:21], v[20:21]
	v_mul_f64_e32 v[38:39], v[54:55], v[44:45]
	;; [unrolled: 1-line block ×11, first 2 shown]
.LBB185_275:                            ;   Parent Loop BB185_162 Depth=1
                                        ; =>  This Inner Loop Header: Depth=2
	v_cmp_nlt_f64_e32 vcc_lo, v[14:15], v[40:41]
	v_dual_cndmask_b32 v59, v15, v41 :: v_dual_cndmask_b32 v58, v14, v40
	v_dual_cndmask_b32 v15, v41, v15 :: v_dual_cndmask_b32 v14, v40, v14
	s_delay_alu instid0(VALU_DEP_2) | instskip(NEXT) | instid1(VALU_DEP_1)
	v_cmp_nlt_f64_e64 s1, v[58:59], v[52:53]
	v_dual_cndmask_b32 v63, v59, v53, s1 :: v_dual_cndmask_b32 v62, v58, v52, s1
	v_dual_cndmask_b32 v41, v53, v59, s1 :: v_dual_cndmask_b32 v40, v52, v58, s1
	s_and_b32 s1, vcc_lo, s1
	s_delay_alu instid0(VALU_DEP_2) | instskip(NEXT) | instid1(VALU_DEP_1)
	v_cmp_nlt_f64_e64 s2, v[62:63], v[38:39]
	v_dual_cndmask_b32 v65, v63, v39, s2 :: v_dual_cndmask_b32 v64, v62, v38, s2
	v_dual_cndmask_b32 v53, v39, v63, s2 :: v_dual_cndmask_b32 v52, v38, v62, s2
	s_delay_alu instid0(VALU_DEP_2) | instskip(NEXT) | instid1(VALU_DEP_1)
	v_cmp_nlt_f64_e64 s3, v[64:65], v[50:51]
	v_dual_cndmask_b32 v67, v65, v51, s3 :: v_dual_cndmask_b32 v66, v64, v50, s3
	v_dual_cndmask_b32 v39, v51, v65, s3 :: v_dual_cndmask_b32 v38, v50, v64, s3
	s_and_b32 s2, s2, s3
	s_delay_alu instid0(VALU_DEP_2) | instskip(NEXT) | instid1(VALU_DEP_1)
	v_cmp_nlt_f64_e64 s4, v[66:67], v[36:37]
	v_dual_cndmask_b32 v69, v67, v37, s4 :: v_dual_cndmask_b32 v68, v66, v36, s4
	v_dual_cndmask_b32 v51, v37, v67, s4 :: v_dual_cndmask_b32 v50, v36, v66, s4
	s_delay_alu instid0(VALU_DEP_2) | instskip(NEXT) | instid1(VALU_DEP_1)
	v_cmp_nlt_f64_e64 s5, v[68:69], v[48:49]
	v_dual_cndmask_b32 v71, v69, v49, s5 :: v_dual_cndmask_b32 v70, v68, v48, s5
	s_and_b32 s3, s4, s5
	v_dual_cndmask_b32 v37, v49, v69, s5 :: v_dual_cndmask_b32 v36, v48, v68, s5
	s_delay_alu instid0(VALU_DEP_2) | instskip(NEXT) | instid1(VALU_DEP_1)
	v_cmp_nlt_f64_e64 s6, v[70:71], v[46:47]
	v_dual_cndmask_b32 v73, v71, v47, s6 :: v_dual_cndmask_b32 v72, v70, v46, s6
	s_and_b32 s3, s3, s6
	;; [unrolled: 5-line block ×6, first 2 shown]
	v_dual_cndmask_b32 v55, v57, v79, s10 :: v_dual_cndmask_b32 v54, v56, v78, s10
	s_and_b32 s2, s3, s2
	s_delay_alu instid0(VALU_DEP_2) | instskip(SKIP_1) | instid1(SALU_CYCLE_1)
	v_mov_b64_e32 v[56:57], v[58:59]
	s_and_b32 s1, s2, s1
	s_and_b32 s1, exec_lo, s1
	s_delay_alu instid0(SALU_CYCLE_1) | instskip(NEXT) | instid1(SALU_CYCLE_1)
	s_or_b32 s45, s1, s45
	s_and_not1_b32 exec_lo, exec_lo, s45
	s_cbranch_execnz .LBB185_275
; %bb.276:                              ;   in Loop: Header=BB185_162 Depth=1
	s_or_b32 exec_lo, exec_lo, s45
	v_add_f64_e32 v[14:15], -1.0, v[14:15]
	v_cmp_eq_f64_e64 s1, 0, v[4:5]
	v_cmp_class_f64_e64 s5, v[2:3], 0x204
	v_cmp_class_f64_e64 s4, v[4:5], 0x204
	s_delay_alu instid0(VALU_DEP_4) | instskip(NEXT) | instid1(VALU_DEP_1)
	v_add_f64_e32 v[14:15], v[14:15], v[40:41]
	v_add_f64_e32 v[14:15], v[14:15], v[52:53]
	s_delay_alu instid0(VALU_DEP_1) | instskip(NEXT) | instid1(VALU_DEP_1)
	v_add_f64_e32 v[14:15], v[14:15], v[38:39]
	v_add_f64_e32 v[14:15], v[14:15], v[50:51]
	s_delay_alu instid0(VALU_DEP_1) | instskip(NEXT) | instid1(VALU_DEP_1)
	;; [unrolled: 3-line block ×5, first 2 shown]
	v_add_f64_e32 v[38:39], v[58:59], v[14:15]
	v_add_f64_e32 v[14:15], 1.0, v[38:39]
	v_cmp_nge_f64_e64 s2, -1.0, v[38:39]
	v_cmp_neq_f64_e64 s3, 0x7ff00000, v[38:39]
	s_delay_alu instid0(VALU_DEP_3) | instskip(SKIP_2) | instid1(VALU_DEP_3)
	v_frexp_mant_f64_e32 v[36:37], v[14:15]
	v_frexp_exp_i32_f64_e32 v8, v[14:15]
	v_add_f64_e32 v[40:41], -1.0, v[14:15]
	v_cmp_gt_f64_e32 vcc_lo, s[20:21], v[36:37]
	s_delay_alu instid0(VALU_DEP_2) | instskip(SKIP_2) | instid1(VALU_DEP_3)
	v_add_f64_e64 v[36:37], v[40:41], -v[14:15]
	v_add_f64_e64 v[40:41], v[38:39], -v[40:41]
	v_subrev_co_ci_u32_e64 v8, null, 0, v8, vcc_lo
	v_add_f64_e32 v[36:37], 1.0, v[36:37]
	s_delay_alu instid0(VALU_DEP_2) | instskip(NEXT) | instid1(VALU_DEP_1)
	v_sub_nc_u32_e32 v12, 0, v8
	v_ldexp_f64 v[14:15], v[14:15], v12
	s_delay_alu instid0(VALU_DEP_3) | instskip(NEXT) | instid1(VALU_DEP_2)
	v_add_f64_e32 v[36:37], v[40:41], v[36:37]
	v_add_f64_e32 v[42:43], 1.0, v[14:15]
	v_add_f64_e32 v[48:49], -1.0, v[14:15]
	s_delay_alu instid0(VALU_DEP_3) | instskip(NEXT) | instid1(VALU_DEP_3)
	v_ldexp_f64 v[36:37], v[36:37], v12
	v_add_f64_e32 v[40:41], -1.0, v[42:43]
	s_delay_alu instid0(VALU_DEP_3) | instskip(NEXT) | instid1(VALU_DEP_2)
	v_add_f64_e32 v[50:51], 1.0, v[48:49]
	v_add_f64_e64 v[40:41], v[14:15], -v[40:41]
	s_delay_alu instid0(VALU_DEP_2) | instskip(NEXT) | instid1(VALU_DEP_2)
	v_add_f64_e64 v[14:15], v[14:15], -v[50:51]
	v_add_f64_e32 v[40:41], v[36:37], v[40:41]
	s_delay_alu instid0(VALU_DEP_2) | instskip(NEXT) | instid1(VALU_DEP_2)
	v_add_f64_e32 v[14:15], v[36:37], v[14:15]
	v_add_f64_e32 v[44:45], v[42:43], v[40:41]
	s_delay_alu instid0(VALU_DEP_2) | instskip(NEXT) | instid1(VALU_DEP_2)
	v_add_f64_e32 v[50:51], v[48:49], v[14:15]
	v_rcp_f64_e32 v[46:47], v[44:45]
	v_add_f64_e64 v[42:43], v[44:45], -v[42:43]
	s_delay_alu instid0(VALU_DEP_2) | instskip(NEXT) | instid1(VALU_DEP_2)
	v_add_f64_e64 v[48:49], v[50:51], -v[48:49]
	v_add_f64_e64 v[40:41], v[40:41], -v[42:43]
	s_delay_alu instid0(VALU_DEP_2) | instskip(NEXT) | instid1(TRANS32_DEP_1)
	v_add_f64_e64 v[14:15], v[14:15], -v[48:49]
	v_fma_f64 v[52:53], -v[44:45], v[46:47], 1.0
	s_delay_alu instid0(VALU_DEP_1) | instskip(NEXT) | instid1(VALU_DEP_1)
	v_fmac_f64_e32 v[46:47], v[52:53], v[46:47]
	v_fma_f64 v[36:37], -v[44:45], v[46:47], 1.0
	s_delay_alu instid0(VALU_DEP_1) | instskip(NEXT) | instid1(VALU_DEP_1)
	v_fmac_f64_e32 v[46:47], v[36:37], v[46:47]
	v_mul_f64_e32 v[36:37], v[50:51], v[46:47]
	s_delay_alu instid0(VALU_DEP_1) | instskip(NEXT) | instid1(VALU_DEP_1)
	v_mul_f64_e32 v[52:53], v[44:45], v[36:37]
	v_fma_f64 v[42:43], v[36:37], v[44:45], -v[52:53]
	s_delay_alu instid0(VALU_DEP_1) | instskip(NEXT) | instid1(VALU_DEP_1)
	v_fmac_f64_e32 v[42:43], v[36:37], v[40:41]
	v_add_f64_e32 v[54:55], v[52:53], v[42:43]
	s_delay_alu instid0(VALU_DEP_1) | instskip(SKIP_1) | instid1(VALU_DEP_2)
	v_add_f64_e64 v[56:57], v[50:51], -v[54:55]
	v_add_f64_e64 v[48:49], v[54:55], -v[52:53]
	;; [unrolled: 1-line block ×3, first 2 shown]
	s_delay_alu instid0(VALU_DEP_2) | instskip(NEXT) | instid1(VALU_DEP_2)
	v_add_f64_e64 v[42:43], v[48:49], -v[42:43]
	v_add_f64_e64 v[50:51], v[50:51], -v[54:55]
	s_delay_alu instid0(VALU_DEP_1) | instskip(NEXT) | instid1(VALU_DEP_1)
	v_add_f64_e32 v[14:15], v[14:15], v[50:51]
	v_add_f64_e32 v[14:15], v[42:43], v[14:15]
	s_delay_alu instid0(VALU_DEP_1) | instskip(NEXT) | instid1(VALU_DEP_1)
	v_add_f64_e32 v[42:43], v[56:57], v[14:15]
	v_mul_f64_e32 v[48:49], v[46:47], v[42:43]
	v_add_f64_e64 v[54:55], v[56:57], -v[42:43]
	s_delay_alu instid0(VALU_DEP_2) | instskip(NEXT) | instid1(VALU_DEP_2)
	v_mul_f64_e32 v[50:51], v[44:45], v[48:49]
	v_add_f64_e32 v[14:15], v[14:15], v[54:55]
	s_delay_alu instid0(VALU_DEP_2) | instskip(NEXT) | instid1(VALU_DEP_1)
	v_fma_f64 v[44:45], v[48:49], v[44:45], -v[50:51]
	v_fmac_f64_e32 v[44:45], v[48:49], v[40:41]
	s_delay_alu instid0(VALU_DEP_1) | instskip(NEXT) | instid1(VALU_DEP_1)
	v_add_f64_e32 v[40:41], v[50:51], v[44:45]
	v_add_f64_e64 v[52:53], v[42:43], -v[40:41]
	v_add_f64_e64 v[50:51], v[40:41], -v[50:51]
	s_delay_alu instid0(VALU_DEP_2) | instskip(NEXT) | instid1(VALU_DEP_1)
	v_add_f64_e64 v[42:43], v[42:43], -v[52:53]
	v_add_f64_e64 v[40:41], v[42:43], -v[40:41]
	s_delay_alu instid0(VALU_DEP_3) | instskip(SKIP_1) | instid1(VALU_DEP_3)
	v_add_f64_e64 v[42:43], v[50:51], -v[44:45]
	v_max_num_f64_e64 v[44:45], |v[2:3]|, |v[2:3]|
	v_add_f64_e32 v[14:15], v[14:15], v[40:41]
	v_add_f64_e32 v[40:41], v[36:37], v[48:49]
	s_delay_alu instid0(VALU_DEP_2) | instskip(NEXT) | instid1(VALU_DEP_2)
	v_add_f64_e32 v[14:15], v[42:43], v[14:15]
	v_add_f64_e64 v[36:37], v[40:41], -v[36:37]
	v_max_num_f64_e64 v[42:43], |v[4:5]|, |v[4:5]|
	s_delay_alu instid0(VALU_DEP_3) | instskip(NEXT) | instid1(VALU_DEP_3)
	v_add_f64_e32 v[14:15], v[52:53], v[14:15]
	v_add_f64_e64 v[36:37], v[48:49], -v[36:37]
	s_delay_alu instid0(VALU_DEP_2) | instskip(NEXT) | instid1(VALU_DEP_1)
	v_mul_f64_e32 v[14:15], v[46:47], v[14:15]
	v_add_f64_e32 v[14:15], v[36:37], v[14:15]
	v_max_num_f64_e32 v[36:37], v[44:45], v[42:43]
	v_min_num_f64_e32 v[42:43], v[44:45], v[42:43]
	s_delay_alu instid0(VALU_DEP_3) | instskip(NEXT) | instid1(VALU_DEP_2)
	v_add_f64_e32 v[44:45], v[40:41], v[14:15]
	v_div_scale_f64 v[46:47], null, v[36:37], v[36:37], v[42:43]
	s_delay_alu instid0(VALU_DEP_2) | instskip(SKIP_1) | instid1(VALU_DEP_3)
	v_mul_f64_e32 v[48:49], v[44:45], v[44:45]
	v_add_f64_e64 v[40:41], v[44:45], -v[40:41]
	v_rcp_f64_e32 v[50:51], v[46:47]
	s_delay_alu instid0(VALU_DEP_2) | instskip(SKIP_1) | instid1(VALU_DEP_3)
	v_fmamk_f64 v[52:53], v[48:49], 0x3fc3ab76bf559e2b, v[22:23]
	v_mul_f64_e32 v[54:55], v[44:45], v[48:49]
	v_add_f64_e64 v[14:15], v[14:15], -v[40:41]
	s_delay_alu instid0(VALU_DEP_3) | instskip(NEXT) | instid1(TRANS32_DEP_1)
	v_fmaak_f64 v[52:53], v[48:49], v[52:53], 0x3fc7474dd7f4df2e
	v_fma_f64 v[56:57], -v[46:47], v[50:51], 1.0
	s_delay_alu instid0(VALU_DEP_2) | instskip(NEXT) | instid1(VALU_DEP_1)
	v_fmaak_f64 v[52:53], v[48:49], v[52:53], 0x3fcc71c016291751
	v_fmaak_f64 v[52:53], v[48:49], v[52:53], 0x3fd249249b27acf1
	s_delay_alu instid0(VALU_DEP_1) | instskip(SKIP_1) | instid1(VALU_DEP_2)
	v_fmaak_f64 v[52:53], v[48:49], v[52:53], 0x3fd99999998ef7b6
	v_ldexp_f64 v[14:15], v[14:15], 1
	v_fmaak_f64 v[48:49], v[48:49], v[52:53], 0x3fe5555555555780
	v_ldexp_f64 v[52:53], v[44:45], 1
	v_fmac_f64_e32 v[50:51], v[50:51], v[56:57]
	s_delay_alu instid0(VALU_DEP_3) | instskip(SKIP_2) | instid1(VALU_DEP_1)
	v_mul_f64_e32 v[48:49], v[54:55], v[48:49]
	v_cvt_f64_i32_e32 v[54:55], v8
	v_ashrrev_i32_e32 v8, 31, v3
	v_and_b32_e32 v16, 0x54442d18, v8
	v_fma_f64 v[56:57], -v[46:47], v[50:51], 1.0
	v_add_f64_e32 v[44:45], v[52:53], v[48:49]
	v_mul_f64_e32 v[58:59], 0x3fe62e42fefa39ef, v[54:55]
	s_delay_alu instid0(VALU_DEP_3) | instskip(NEXT) | instid1(VALU_DEP_3)
	v_fmac_f64_e32 v[50:51], v[50:51], v[56:57]
	v_add_f64_e64 v[40:41], v[44:45], -v[52:53]
	v_div_scale_f64 v[52:53], vcc_lo, v[42:43], v[36:37], v[42:43]
	s_delay_alu instid0(VALU_DEP_4) | instskip(NEXT) | instid1(VALU_DEP_3)
	v_fma_f64 v[56:57], v[54:55], s[22:23], -v[58:59]
	v_add_f64_e64 v[40:41], v[48:49], -v[40:41]
	s_delay_alu instid0(VALU_DEP_3) | instskip(NEXT) | instid1(VALU_DEP_3)
	v_mul_f64_e32 v[48:49], v[52:53], v[50:51]
	v_fmac_f64_e32 v[56:57], 0x3c7abc9e3b39803f, v[54:55]
	s_delay_alu instid0(VALU_DEP_3) | instskip(NEXT) | instid1(VALU_DEP_3)
	v_add_f64_e32 v[14:15], v[14:15], v[40:41]
	v_fma_f64 v[40:41], -v[46:47], v[48:49], v[52:53]
	s_delay_alu instid0(VALU_DEP_3) | instskip(NEXT) | instid1(VALU_DEP_3)
	v_add_f64_e32 v[46:47], v[58:59], v[56:57]
	v_add_f64_e32 v[52:53], v[44:45], v[14:15]
	s_delay_alu instid0(VALU_DEP_3) | instskip(SKIP_1) | instid1(VALU_DEP_4)
	v_div_fmas_f64 v[40:41], v[40:41], v[50:51], v[48:49]
	v_cmp_gt_i32_e32 vcc_lo, 0, v3
	v_add_f64_e64 v[50:51], v[46:47], -v[58:59]
	v_and_b32_e32 v3, 0x400921fb, v8
	v_cndmask_b32_e32 v12, 0x54442d18, v60, vcc_lo
	v_cndmask_b32_e32 v2, 0x3fe921fb, v61, vcc_lo
	s_delay_alu instid0(VALU_DEP_1) | instskip(SKIP_4) | instid1(VALU_DEP_4)
	v_bfi_b32 v2, 0x7fffffff, v2, v5
	v_add_f64_e32 v[48:49], v[46:47], v[52:53]
	v_div_fixup_f64 v[36:37], v[40:41], v[36:37], v[42:43]
	v_add_f64_e64 v[44:45], v[52:53], -v[44:45]
	v_add_f64_e64 v[50:51], v[56:57], -v[50:51]
	;; [unrolled: 1-line block ×3, first 2 shown]
	s_delay_alu instid0(VALU_DEP_4) | instskip(NEXT) | instid1(VALU_DEP_4)
	v_mul_f64_e32 v[42:43], v[36:37], v[36:37]
	v_add_f64_e64 v[14:15], v[14:15], -v[44:45]
	s_delay_alu instid0(VALU_DEP_3) | instskip(NEXT) | instid1(VALU_DEP_3)
	v_add_f64_e64 v[54:55], v[48:49], -v[40:41]
	v_fmamk_f64 v[58:59], v[42:43], 0x3eeba404b5e68a13, v[24:25]
	v_add_f64_e64 v[40:41], v[52:53], -v[40:41]
	s_delay_alu instid0(VALU_DEP_4) | instskip(NEXT) | instid1(VALU_DEP_3)
	v_add_f64_e32 v[52:53], v[50:51], v[14:15]
	v_fmaak_f64 v[58:59], v[42:43], v[58:59], 0x3f4b2bb069efb384
	v_add_f64_e64 v[44:45], v[46:47], -v[54:55]
	s_delay_alu instid0(VALU_DEP_2) | instskip(NEXT) | instid1(VALU_DEP_1)
	v_fmaak_f64 v[46:47], v[42:43], v[58:59], 0xbf67952daf56de9b
	v_fmaak_f64 v[46:47], v[42:43], v[46:47], 0x3f7d6d43a595c56f
	s_delay_alu instid0(VALU_DEP_1) | instskip(NEXT) | instid1(VALU_DEP_1)
	v_fmaak_f64 v[46:47], v[42:43], v[46:47], 0xbf8c6ea4a57d9582
	v_fmaak_f64 v[46:47], v[42:43], v[46:47], 0x3f967e295f08b19f
	s_delay_alu instid0(VALU_DEP_1) | instskip(SKIP_1) | instid1(VALU_DEP_2)
	v_fmaak_f64 v[46:47], v[42:43], v[46:47], 0xbf9e9ae6fc27006a
	v_add_f64_e32 v[40:41], v[40:41], v[44:45]
	v_fmaak_f64 v[44:45], v[42:43], v[46:47], 0x3fa2c15b5711927a
	v_add_f64_e64 v[46:47], v[52:53], -v[50:51]
	s_delay_alu instid0(VALU_DEP_2) | instskip(NEXT) | instid1(VALU_DEP_1)
	v_fmaak_f64 v[44:45], v[42:43], v[44:45], 0xbfa59976e82d3ff0
	v_fmaak_f64 v[44:45], v[42:43], v[44:45], 0x3fa82d5d6ef28734
	s_delay_alu instid0(VALU_DEP_1) | instskip(NEXT) | instid1(VALU_DEP_1)
	v_fmaak_f64 v[44:45], v[42:43], v[44:45], 0xbfaae5ce6a214619
	v_fmaak_f64 v[44:45], v[42:43], v[44:45], 0x3fae1bb48427b883
	v_add_f64_e32 v[40:41], v[52:53], v[40:41]
	v_add_f64_e64 v[52:53], v[52:53], -v[46:47]
	v_add_f64_e64 v[14:15], v[14:15], -v[46:47]
	s_delay_alu instid0(VALU_DEP_4) | instskip(NEXT) | instid1(VALU_DEP_1)
	v_fmaak_f64 v[44:45], v[42:43], v[44:45], 0xbfb110e48b207f05
	v_fmaak_f64 v[44:45], v[42:43], v[44:45], 0x3fb3b13657b87036
	s_delay_alu instid0(VALU_DEP_1) | instskip(NEXT) | instid1(VALU_DEP_1)
	v_fmaak_f64 v[44:45], v[42:43], v[44:45], 0xbfb745d119378e4f
	v_fmaak_f64 v[44:45], v[42:43], v[44:45], 0x3fbc71c717e1913c
	v_add_f64_e32 v[54:55], v[48:49], v[40:41]
	s_delay_alu instid0(VALU_DEP_2) | instskip(NEXT) | instid1(VALU_DEP_1)
	v_fmaak_f64 v[44:45], v[42:43], v[44:45], 0xbfc2492492376b7d
	v_fmaak_f64 v[44:45], v[42:43], v[44:45], 0x3fc99999999952cc
	s_delay_alu instid0(VALU_DEP_1) | instskip(NEXT) | instid1(VALU_DEP_1)
	v_fmaak_f64 v[44:45], v[42:43], v[44:45], 0xbfd5555555555523
	v_mul_f64_e32 v[42:43], v[42:43], v[44:45]
	v_add_f64_e64 v[44:45], v[50:51], -v[52:53]
	v_add_f64_e64 v[46:47], v[54:55], -v[48:49]
	s_delay_alu instid0(VALU_DEP_3) | instskip(NEXT) | instid1(VALU_DEP_3)
	v_fmac_f64_e32 v[36:37], v[36:37], v[42:43]
	v_add_f64_e32 v[14:15], v[14:15], v[44:45]
	s_delay_alu instid0(VALU_DEP_3) | instskip(NEXT) | instid1(VALU_DEP_3)
	v_add_f64_e64 v[40:41], v[40:41], -v[46:47]
	v_add_f64_e64 v[42:43], -v[36:37], s[24:25]
	s_delay_alu instid0(VALU_DEP_1) | instskip(NEXT) | instid1(VALU_DEP_2)
	v_dual_add_f64 v[14:15], v[14:15], v[40:41] :: v_dual_cndmask_b32 v37, v37, v43, s0
	v_cndmask_b32_e64 v36, v36, v42, s0
	s_delay_alu instid0(VALU_DEP_1) | instskip(NEXT) | instid1(VALU_DEP_1)
	v_add_f64_e64 v[40:41], -v[36:37], s[26:27]
	v_dual_add_f64 v[14:15], v[54:55], v[14:15] :: v_dual_cndmask_b32 v21, v36, v40, vcc_lo
	s_delay_alu instid0(VALU_DEP_2) | instskip(SKIP_1) | instid1(VALU_DEP_3)
	v_cndmask_b32_e32 v8, v37, v41, vcc_lo
	v_cmp_ngt_f64_e32 vcc_lo, -1.0, v[38:39]
	v_dual_mul_f64 v[14:15], 0.5, v[14:15] :: v_dual_cndmask_b32 v16, v21, v16, s1
	s_delay_alu instid0(VALU_DEP_3)
	v_cndmask_b32_e64 v3, v8, v3, s1
	s_and_b32 s1, s2, s3
	s_delay_alu instid0(VALU_DEP_2) | instid1(SALU_CYCLE_1)
	v_cndmask_b32_e64 v14, 0, v14, s1
	v_cmp_neq_f64_e64 s1, -1.0, v[38:39]
	s_delay_alu instid0(VALU_DEP_4) | instskip(NEXT) | instid1(VALU_DEP_1)
	v_cndmask_b32_e64 v15, 0x7ff00000, v15, s3
	v_cndmask_b32_e32 v8, 0x7ff80000, v15, vcc_lo
	s_and_b32 vcc_lo, s5, s4
	v_dual_cndmask_b32 v37, v3, v2 :: v_dual_cndmask_b32 v36, v16, v12
	s_delay_alu instid0(VALU_DEP_2)
	v_cndmask_b32_e64 v15, 0xfff00000, v8, s1
.LBB185_277:                            ;   in Loop: Header=BB185_162 Depth=1
	s_or_b32 exec_lo, exec_lo, s44
.LBB185_278:                            ;   in Loop: Header=BB185_162 Depth=1
	s_delay_alu instid0(SALU_CYCLE_1)
	s_or_b32 exec_lo, exec_lo, s43
.LBB185_279:                            ;   in Loop: Header=BB185_162 Depth=1
	s_and_not1_saveexec_b32 s3, s42
	s_cbranch_execz .LBB185_281
; %bb.280:                              ;   in Loop: Header=BB185_162 Depth=1
	v_max_num_f64_e64 v[14:15], |v[4:5]|, |v[4:5]|
	v_max_num_f64_e64 v[36:37], |v[2:3]|, |v[2:3]|
	v_cmp_class_f64_e64 s4, v[2:3], 0x204
	v_cmp_class_f64_e64 s5, v[4:5], 0x204
	v_cmp_eq_f64_e64 s2, 0, v[4:5]
	s_delay_alu instid0(VALU_DEP_4) | instskip(SKIP_2) | instid1(VALU_DEP_2)
	v_max_num_f64_e32 v[38:39], v[36:37], v[14:15]
	v_min_num_f64_e32 v[14:15], v[36:37], v[14:15]
	s_or_b32 s1, s4, s5
	v_frexp_exp_i32_f64_e32 v8, v[38:39]
	s_delay_alu instid0(VALU_DEP_1) | instskip(NEXT) | instid1(VALU_DEP_1)
	v_sub_nc_u32_e32 v12, 0, v8
	v_ldexp_f64 v[40:41], |v[4:5]|, v12
	v_ldexp_f64 v[42:43], |v[2:3]|, v12
	s_delay_alu instid0(VALU_DEP_2) | instskip(NEXT) | instid1(VALU_DEP_1)
	v_mul_f64_e32 v[40:41], v[40:41], v[40:41]
	v_fmac_f64_e32 v[40:41], v[42:43], v[42:43]
	s_delay_alu instid0(VALU_DEP_1) | instskip(SKIP_1) | instid1(TRANS32_DEP_1)
	v_rsq_f64_e32 v[42:43], v[40:41]
	v_cmp_eq_f64_e32 vcc_lo, 0, v[40:41]
	v_mul_f64_e32 v[44:45], v[40:41], v[42:43]
	v_mul_f64_e32 v[42:43], 0.5, v[42:43]
	s_delay_alu instid0(VALU_DEP_1) | instskip(NEXT) | instid1(VALU_DEP_1)
	v_fma_f64 v[46:47], -v[42:43], v[44:45], 0.5
	v_fmac_f64_e32 v[44:45], v[44:45], v[46:47]
	v_fmac_f64_e32 v[42:43], v[42:43], v[46:47]
	s_delay_alu instid0(VALU_DEP_2) | instskip(NEXT) | instid1(VALU_DEP_1)
	v_fma_f64 v[46:47], -v[44:45], v[44:45], v[40:41]
	v_fmac_f64_e32 v[44:45], v[46:47], v[42:43]
	s_delay_alu instid0(VALU_DEP_1) | instskip(NEXT) | instid1(VALU_DEP_1)
	v_dual_cndmask_b32 v41, v45, v41 :: v_dual_cndmask_b32 v40, v44, v40
	v_ldexp_f64 v[40:41], v[40:41], v8
	v_ashrrev_i32_e32 v8, 31, v3
	s_delay_alu instid0(VALU_DEP_1) | instskip(SKIP_1) | instid1(VALU_DEP_4)
	v_and_b32_e32 v16, 0x54442d18, v8
	v_and_b32_e32 v8, 0x400921fb, v8
	v_cndmask_b32_e64 v41, v41, 0x7ff00000, s1
	v_cndmask_b32_e64 v40, v40, 0, s1
	s_delay_alu instid0(VALU_DEP_1) | instskip(SKIP_1) | instid1(VALU_DEP_2)
	v_frexp_mant_f64_e32 v[42:43], v[40:41]
	v_cmp_class_f64_e64 s1, v[40:41], 0x204
	v_cmp_gt_f64_e32 vcc_lo, s[20:21], v[42:43]
	v_cndmask_b32_e64 v2, 0, 1, vcc_lo
	s_delay_alu instid0(VALU_DEP_1) | instskip(SKIP_1) | instid1(VALU_DEP_2)
	v_ldexp_f64 v[42:43], v[42:43], v2
	v_frexp_exp_i32_f64_e32 v2, v[40:41]
	v_add_f64_e32 v[44:45], 1.0, v[42:43]
	v_add_f64_e32 v[50:51], -1.0, v[42:43]
	s_delay_alu instid0(VALU_DEP_3) | instskip(SKIP_1) | instid1(VALU_DEP_4)
	v_subrev_co_ci_u32_e64 v2, null, 0, v2, vcc_lo
	v_div_scale_f64 v[58:59], vcc_lo, v[14:15], v[38:39], v[14:15]
	v_rcp_f64_e32 v[46:47], v[44:45]
	v_add_f64_e32 v[52:53], -1.0, v[44:45]
	s_delay_alu instid0(VALU_DEP_1) | instskip(NEXT) | instid1(TRANS32_DEP_1)
	v_add_f64_e64 v[42:43], v[42:43], -v[52:53]
	v_fma_f64 v[48:49], -v[44:45], v[46:47], 1.0
	s_delay_alu instid0(VALU_DEP_1) | instskip(NEXT) | instid1(VALU_DEP_1)
	v_fmac_f64_e32 v[46:47], v[48:49], v[46:47]
	v_fma_f64 v[48:49], -v[44:45], v[46:47], 1.0
	s_delay_alu instid0(VALU_DEP_1) | instskip(NEXT) | instid1(VALU_DEP_1)
	v_fmac_f64_e32 v[46:47], v[48:49], v[46:47]
	v_mul_f64_e32 v[48:49], v[50:51], v[46:47]
	s_delay_alu instid0(VALU_DEP_1) | instskip(NEXT) | instid1(VALU_DEP_1)
	v_mul_f64_e32 v[54:55], v[44:45], v[48:49]
	v_fma_f64 v[44:45], v[48:49], v[44:45], -v[54:55]
	s_delay_alu instid0(VALU_DEP_1) | instskip(NEXT) | instid1(VALU_DEP_1)
	v_fmac_f64_e32 v[44:45], v[48:49], v[42:43]
	v_add_f64_e32 v[42:43], v[54:55], v[44:45]
	s_delay_alu instid0(VALU_DEP_1) | instskip(SKIP_1) | instid1(VALU_DEP_2)
	v_add_f64_e64 v[52:53], v[50:51], -v[42:43]
	v_add_f64_e64 v[54:55], v[42:43], -v[54:55]
	;; [unrolled: 1-line block ×3, first 2 shown]
	s_delay_alu instid0(VALU_DEP_2) | instskip(NEXT) | instid1(VALU_DEP_2)
	v_add_f64_e64 v[44:45], v[54:55], -v[44:45]
	v_add_f64_e64 v[42:43], v[50:51], -v[42:43]
	s_delay_alu instid0(VALU_DEP_1) | instskip(NEXT) | instid1(VALU_DEP_1)
	v_add_f64_e32 v[42:43], v[44:45], v[42:43]
	v_add_f64_e32 v[42:43], v[52:53], v[42:43]
	s_delay_alu instid0(VALU_DEP_1) | instskip(SKIP_1) | instid1(VALU_DEP_2)
	v_mul_f64_e32 v[36:37], v[46:47], v[42:43]
	v_div_scale_f64 v[42:43], null, v[38:39], v[38:39], v[14:15]
	v_add_f64_e32 v[44:45], v[48:49], v[36:37]
	s_delay_alu instid0(VALU_DEP_2) | instskip(NEXT) | instid1(VALU_DEP_1)
	v_rcp_f64_e32 v[46:47], v[42:43]
	v_mul_f64_e32 v[50:51], v[44:45], v[44:45]
	s_delay_alu instid0(TRANS32_DEP_1) | instskip(NEXT) | instid1(VALU_DEP_2)
	v_fma_f64 v[54:55], -v[42:43], v[46:47], 1.0
	v_fmamk_f64 v[52:53], v[50:51], 0x3fc3ab76bf559e2b, v[22:23]
	v_mul_f64_e32 v[56:57], v[44:45], v[50:51]
	s_delay_alu instid0(VALU_DEP_3) | instskip(NEXT) | instid1(VALU_DEP_3)
	v_fmac_f64_e32 v[46:47], v[46:47], v[54:55]
	v_fmaak_f64 v[52:53], v[50:51], v[52:53], 0x3fc7474dd7f4df2e
	s_delay_alu instid0(VALU_DEP_1) | instskip(NEXT) | instid1(VALU_DEP_1)
	v_fmaak_f64 v[52:53], v[50:51], v[52:53], 0x3fcc71c016291751
	v_fmaak_f64 v[52:53], v[50:51], v[52:53], 0x3fd249249b27acf1
	s_delay_alu instid0(VALU_DEP_1) | instskip(NEXT) | instid1(VALU_DEP_1)
	v_fmaak_f64 v[52:53], v[50:51], v[52:53], 0x3fd99999998ef7b6
	v_fmaak_f64 v[50:51], v[50:51], v[52:53], 0x3fe5555555555780
	v_ldexp_f64 v[52:53], v[44:45], 1
	v_add_f64_e64 v[44:45], v[44:45], -v[48:49]
	v_fma_f64 v[54:55], -v[42:43], v[46:47], 1.0
	s_delay_alu instid0(VALU_DEP_4) | instskip(SKIP_1) | instid1(VALU_DEP_4)
	v_mul_f64_e32 v[50:51], v[56:57], v[50:51]
	v_cvt_f64_i32_e32 v[56:57], v2
	v_add_f64_e64 v[36:37], v[36:37], -v[44:45]
	s_delay_alu instid0(VALU_DEP_4) | instskip(NEXT) | instid1(VALU_DEP_4)
	v_fmac_f64_e32 v[46:47], v[46:47], v[54:55]
	v_add_f64_e32 v[48:49], v[52:53], v[50:51]
	s_delay_alu instid0(VALU_DEP_4) | instskip(NEXT) | instid1(VALU_DEP_4)
	v_mul_f64_e32 v[54:55], 0x3fe62e42fefa39ef, v[56:57]
	v_ldexp_f64 v[36:37], v[36:37], 1
	s_delay_alu instid0(VALU_DEP_3) | instskip(SKIP_1) | instid1(VALU_DEP_4)
	v_add_f64_e64 v[44:45], v[48:49], -v[52:53]
	v_mul_f64_e32 v[52:53], v[58:59], v[46:47]
	v_fma_f64 v[62:63], v[56:57], s[22:23], -v[54:55]
	s_delay_alu instid0(VALU_DEP_3) | instskip(NEXT) | instid1(VALU_DEP_3)
	v_add_f64_e64 v[44:45], v[50:51], -v[44:45]
	v_fma_f64 v[42:43], -v[42:43], v[52:53], v[58:59]
	s_delay_alu instid0(VALU_DEP_3) | instskip(NEXT) | instid1(VALU_DEP_3)
	v_fmac_f64_e32 v[62:63], 0x3c7abc9e3b39803f, v[56:57]
	v_add_f64_e32 v[36:37], v[36:37], v[44:45]
	s_delay_alu instid0(VALU_DEP_3) | instskip(NEXT) | instid1(VALU_DEP_3)
	v_div_fmas_f64 v[42:43], v[42:43], v[46:47], v[52:53]
	v_add_f64_e32 v[44:45], v[54:55], v[62:63]
	v_cmp_gt_i32_e32 vcc_lo, 0, v3
	v_cndmask_b32_e32 v12, 0x54442d18, v60, vcc_lo
	v_cndmask_b32_e32 v21, 0x3fe921fb, v61, vcc_lo
	s_delay_alu instid0(VALU_DEP_1) | instskip(SKIP_3) | instid1(VALU_DEP_3)
	v_bfi_b32 v21, 0x7fffffff, v21, v5
	v_add_f64_e32 v[46:47], v[48:49], v[36:37]
	v_div_fixup_f64 v[14:15], v[42:43], v[38:39], v[14:15]
	v_add_f64_e64 v[54:55], v[44:45], -v[54:55]
	v_add_f64_e32 v[38:39], v[44:45], v[46:47]
	s_delay_alu instid0(VALU_DEP_3) | instskip(SKIP_1) | instid1(VALU_DEP_4)
	v_mul_f64_e32 v[42:43], v[14:15], v[14:15]
	v_add_f64_e64 v[48:49], v[46:47], -v[48:49]
	v_add_f64_e64 v[54:55], v[62:63], -v[54:55]
	s_delay_alu instid0(VALU_DEP_4) | instskip(NEXT) | instid1(VALU_DEP_4)
	v_add_f64_e64 v[50:51], v[38:39], -v[44:45]
	v_fmamk_f64 v[52:53], v[42:43], 0x3eeba404b5e68a13, v[24:25]
	s_delay_alu instid0(VALU_DEP_4) | instskip(NEXT) | instid1(VALU_DEP_2)
	v_add_f64_e64 v[36:37], v[36:37], -v[48:49]
	v_fmaak_f64 v[52:53], v[42:43], v[52:53], 0x3f4b2bb069efb384
	s_delay_alu instid0(VALU_DEP_1) | instskip(NEXT) | instid1(VALU_DEP_1)
	v_fmaak_f64 v[52:53], v[42:43], v[52:53], 0xbf67952daf56de9b
	v_fmaak_f64 v[52:53], v[42:43], v[52:53], 0x3f7d6d43a595c56f
	s_delay_alu instid0(VALU_DEP_1) | instskip(SKIP_3) | instid1(VALU_DEP_4)
	v_fmaak_f64 v[52:53], v[42:43], v[52:53], 0xbf8c6ea4a57d9582
	v_add_f64_e64 v[56:57], v[38:39], -v[50:51]
	v_add_f64_e64 v[46:47], v[46:47], -v[50:51]
	v_add_f64_e32 v[50:51], v[54:55], v[36:37]
	v_fmaak_f64 v[52:53], v[42:43], v[52:53], 0x3f967e295f08b19f
	s_delay_alu instid0(VALU_DEP_1) | instskip(NEXT) | instid1(VALU_DEP_1)
	v_fmaak_f64 v[48:49], v[42:43], v[52:53], 0xbf9e9ae6fc27006a
	v_fmaak_f64 v[48:49], v[42:43], v[48:49], 0x3fa2c15b5711927a
	s_delay_alu instid0(VALU_DEP_1) | instskip(NEXT) | instid1(VALU_DEP_1)
	v_fmaak_f64 v[48:49], v[42:43], v[48:49], 0xbfa59976e82d3ff0
	v_fmaak_f64 v[48:49], v[42:43], v[48:49], 0x3fa82d5d6ef28734
	v_add_f64_e64 v[44:45], v[44:45], -v[56:57]
	s_delay_alu instid0(VALU_DEP_2) | instskip(NEXT) | instid1(VALU_DEP_2)
	v_fmaak_f64 v[48:49], v[42:43], v[48:49], 0xbfaae5ce6a214619
	v_add_f64_e32 v[44:45], v[46:47], v[44:45]
	s_delay_alu instid0(VALU_DEP_2) | instskip(SKIP_1) | instid1(VALU_DEP_2)
	v_fmaak_f64 v[46:47], v[42:43], v[48:49], 0x3fae1bb48427b883
	v_add_f64_e64 v[48:49], v[50:51], -v[54:55]
	v_fmaak_f64 v[46:47], v[42:43], v[46:47], 0xbfb110e48b207f05
	s_delay_alu instid0(VALU_DEP_1) | instskip(NEXT) | instid1(VALU_DEP_1)
	v_fmaak_f64 v[46:47], v[42:43], v[46:47], 0x3fb3b13657b87036
	v_fmaak_f64 v[46:47], v[42:43], v[46:47], 0xbfb745d119378e4f
	s_delay_alu instid0(VALU_DEP_1) | instskip(SKIP_2) | instid1(VALU_DEP_3)
	v_fmaak_f64 v[46:47], v[42:43], v[46:47], 0x3fbc71c717e1913c
	v_add_f64_e32 v[44:45], v[50:51], v[44:45]
	v_add_f64_e64 v[36:37], v[36:37], -v[48:49]
	v_fmaak_f64 v[46:47], v[42:43], v[46:47], 0xbfc2492492376b7d
	s_delay_alu instid0(VALU_DEP_1) | instskip(NEXT) | instid1(VALU_DEP_1)
	v_fmaak_f64 v[46:47], v[42:43], v[46:47], 0x3fc99999999952cc
	v_fmaak_f64 v[46:47], v[42:43], v[46:47], 0xbfd5555555555523
	s_delay_alu instid0(VALU_DEP_1) | instskip(SKIP_2) | instid1(VALU_DEP_3)
	v_mul_f64_e32 v[42:43], v[42:43], v[46:47]
	v_add_f64_e64 v[46:47], v[50:51], -v[48:49]
	v_add_f64_e32 v[50:51], v[38:39], v[44:45]
	v_fmac_f64_e32 v[14:15], v[14:15], v[42:43]
	s_delay_alu instid0(VALU_DEP_3) | instskip(NEXT) | instid1(VALU_DEP_3)
	v_add_f64_e64 v[42:43], v[54:55], -v[46:47]
	v_add_f64_e64 v[38:39], v[50:51], -v[38:39]
	s_delay_alu instid0(VALU_DEP_3) | instskip(NEXT) | instid1(VALU_DEP_3)
	v_add_f64_e64 v[46:47], -v[14:15], s[24:25]
	v_add_f64_e32 v[36:37], v[36:37], v[42:43]
	s_delay_alu instid0(VALU_DEP_3) | instskip(NEXT) | instid1(VALU_DEP_3)
	v_add_f64_e64 v[38:39], v[44:45], -v[38:39]
	v_dual_cndmask_b32 v15, v15, v47, s0 :: v_dual_cndmask_b32 v14, v14, v46, s0
	s_delay_alu instid0(VALU_DEP_2) | instskip(NEXT) | instid1(VALU_DEP_2)
	v_add_f64_e32 v[36:37], v[36:37], v[38:39]
	v_add_f64_e64 v[38:39], -v[14:15], s[26:27]
	s_delay_alu instid0(VALU_DEP_2) | instskip(NEXT) | instid1(VALU_DEP_2)
	v_add_f64_e32 v[2:3], v[50:51], v[36:37]
	v_dual_cndmask_b32 v14, v14, v38 :: v_dual_cndmask_b32 v15, v15, v39
	v_cmp_ngt_f64_e32 vcc_lo, 0, v[40:41]
	s_delay_alu instid0(VALU_DEP_2) | instskip(NEXT) | instid1(VALU_DEP_3)
	v_cndmask_b32_e64 v16, v14, v16, s2
	v_cndmask_b32_e64 v8, v15, v8, s2
	v_dual_cndmask_b32 v2, v2, v40, s1 :: v_dual_cndmask_b32 v3, v3, v41, s1
	v_cmp_nge_f64_e64 s1, 0, v[40:41]
	s_delay_alu instid0(VALU_DEP_2) | instskip(SKIP_4) | instid1(VALU_DEP_1)
	v_cndmask_b32_e32 v3, 0x7ff80000, v3, vcc_lo
	s_and_b32 vcc_lo, s4, s5
	v_cndmask_b32_e32 v37, v8, v21, vcc_lo
	v_dual_cndmask_b32 v36, v16, v12, vcc_lo :: v_dual_cndmask_b32 v14, 0, v2, s1
	v_cmp_neq_f64_e64 s1, 0, v[40:41]
	v_cndmask_b32_e64 v15, 0xfff00000, v3, s1
.LBB185_281:                            ;   in Loop: Header=BB185_162 Depth=1
	s_or_b32 exec_lo, exec_lo, s3
                                        ; implicit-def: $vgpr40_vgpr41
.LBB185_282:                            ;   in Loop: Header=BB185_162 Depth=1
	s_and_not1_saveexec_b32 s3, s41
	s_cbranch_execz .LBB185_288
; %bb.283:                              ;   in Loop: Header=BB185_162 Depth=1
                                        ; implicit-def: $vgpr14_vgpr15
                                        ; implicit-def: $vgpr36_vgpr37
	s_mov_b32 s1, exec_lo
	v_cmpx_ngt_f64_e32 s[30:31], v[40:41]
	s_xor_b32 s4, exec_lo, s1
	s_cbranch_execz .LBB185_285
; %bb.284:                              ;   in Loop: Header=BB185_162 Depth=1
	v_mul_f64_e32 v[14:15], v[40:41], v[40:41]
	v_cmp_eq_f64_e64 s1, 0, v[4:5]
	v_cmp_class_f64_e64 s5, v[4:5], 0x204
	v_cmp_class_f64_e64 s6, v[2:3], 0x204
	s_delay_alu instid0(VALU_DEP_4) | instskip(NEXT) | instid1(VALU_DEP_1)
	v_add_f64_e32 v[36:37], 1.0, v[14:15]
	v_frexp_mant_f64_e32 v[38:39], v[36:37]
	v_frexp_exp_i32_f64_e32 v8, v[36:37]
	s_delay_alu instid0(VALU_DEP_2) | instskip(NEXT) | instid1(VALU_DEP_2)
	v_cmp_gt_f64_e32 vcc_lo, s[20:21], v[38:39]
	v_subrev_co_ci_u32_e64 v8, null, 0, v8, vcc_lo
	s_delay_alu instid0(VALU_DEP_1) | instskip(SKIP_1) | instid1(VALU_DEP_1)
	v_sub_nc_u32_e32 v12, 0, v8
	v_add_f64_e32 v[40:41], -1.0, v[36:37]
	v_add_f64_e64 v[38:39], v[40:41], -v[36:37]
	s_delay_alu instid0(VALU_DEP_3) | instskip(SKIP_1) | instid1(VALU_DEP_3)
	v_ldexp_f64 v[36:37], v[36:37], v12
	v_add_f64_e64 v[40:41], v[14:15], -v[40:41]
	v_add_f64_e32 v[38:39], 1.0, v[38:39]
	s_delay_alu instid0(VALU_DEP_3) | instskip(SKIP_1) | instid1(VALU_DEP_3)
	v_add_f64_e32 v[42:43], 1.0, v[36:37]
	v_add_f64_e32 v[48:49], -1.0, v[36:37]
	v_add_f64_e32 v[38:39], v[40:41], v[38:39]
	s_delay_alu instid0(VALU_DEP_3) | instskip(NEXT) | instid1(VALU_DEP_3)
	v_add_f64_e32 v[40:41], -1.0, v[42:43]
	v_add_f64_e32 v[50:51], 1.0, v[48:49]
	s_delay_alu instid0(VALU_DEP_3) | instskip(NEXT) | instid1(VALU_DEP_3)
	v_ldexp_f64 v[38:39], v[38:39], v12
	v_add_f64_e64 v[40:41], v[36:37], -v[40:41]
	s_delay_alu instid0(VALU_DEP_3) | instskip(NEXT) | instid1(VALU_DEP_2)
	v_add_f64_e64 v[36:37], v[36:37], -v[50:51]
	v_add_f64_e32 v[40:41], v[38:39], v[40:41]
	s_delay_alu instid0(VALU_DEP_2) | instskip(NEXT) | instid1(VALU_DEP_2)
	v_add_f64_e32 v[36:37], v[38:39], v[36:37]
	v_add_f64_e32 v[44:45], v[42:43], v[40:41]
	s_delay_alu instid0(VALU_DEP_2) | instskip(NEXT) | instid1(VALU_DEP_2)
	v_add_f64_e32 v[50:51], v[48:49], v[36:37]
	v_rcp_f64_e32 v[46:47], v[44:45]
	v_add_f64_e64 v[42:43], v[42:43], -v[44:45]
	s_delay_alu instid0(VALU_DEP_2) | instskip(NEXT) | instid1(VALU_DEP_2)
	v_add_f64_e64 v[48:49], v[48:49], -v[50:51]
	v_add_f64_e32 v[40:41], v[40:41], v[42:43]
	s_delay_alu instid0(VALU_DEP_2) | instskip(NEXT) | instid1(TRANS32_DEP_1)
	v_add_f64_e32 v[36:37], v[36:37], v[48:49]
	v_fma_f64 v[52:53], -v[44:45], v[46:47], 1.0
	s_delay_alu instid0(VALU_DEP_1) | instskip(NEXT) | instid1(VALU_DEP_1)
	v_fmac_f64_e32 v[46:47], v[52:53], v[46:47]
	v_fma_f64 v[38:39], -v[44:45], v[46:47], 1.0
	s_delay_alu instid0(VALU_DEP_1) | instskip(NEXT) | instid1(VALU_DEP_1)
	v_fmac_f64_e32 v[46:47], v[38:39], v[46:47]
	v_mul_f64_e32 v[38:39], v[50:51], v[46:47]
	s_delay_alu instid0(VALU_DEP_1) | instskip(NEXT) | instid1(VALU_DEP_1)
	v_mul_f64_e32 v[52:53], v[44:45], v[38:39]
	v_fma_f64 v[42:43], v[38:39], v[44:45], -v[52:53]
	s_delay_alu instid0(VALU_DEP_1) | instskip(NEXT) | instid1(VALU_DEP_1)
	v_fmac_f64_e32 v[42:43], v[38:39], v[40:41]
	v_add_f64_e32 v[54:55], v[52:53], v[42:43]
	s_delay_alu instid0(VALU_DEP_1) | instskip(SKIP_1) | instid1(VALU_DEP_2)
	v_add_f64_e64 v[56:57], v[50:51], -v[54:55]
	v_add_f64_e64 v[48:49], v[54:55], -v[52:53]
	;; [unrolled: 1-line block ×3, first 2 shown]
	s_delay_alu instid0(VALU_DEP_2) | instskip(NEXT) | instid1(VALU_DEP_2)
	v_add_f64_e64 v[42:43], v[48:49], -v[42:43]
	v_add_f64_e64 v[50:51], v[50:51], -v[54:55]
	s_delay_alu instid0(VALU_DEP_1) | instskip(NEXT) | instid1(VALU_DEP_1)
	v_add_f64_e32 v[36:37], v[36:37], v[50:51]
	v_add_f64_e32 v[36:37], v[42:43], v[36:37]
	s_delay_alu instid0(VALU_DEP_1) | instskip(NEXT) | instid1(VALU_DEP_1)
	v_add_f64_e32 v[42:43], v[56:57], v[36:37]
	v_mul_f64_e32 v[48:49], v[46:47], v[42:43]
	v_add_f64_e64 v[54:55], v[56:57], -v[42:43]
	s_delay_alu instid0(VALU_DEP_2) | instskip(NEXT) | instid1(VALU_DEP_2)
	v_mul_f64_e32 v[50:51], v[44:45], v[48:49]
	v_add_f64_e32 v[36:37], v[36:37], v[54:55]
	s_delay_alu instid0(VALU_DEP_2) | instskip(NEXT) | instid1(VALU_DEP_1)
	v_fma_f64 v[44:45], v[48:49], v[44:45], -v[50:51]
	v_fmac_f64_e32 v[44:45], v[48:49], v[40:41]
	s_delay_alu instid0(VALU_DEP_1) | instskip(NEXT) | instid1(VALU_DEP_1)
	v_add_f64_e32 v[40:41], v[50:51], v[44:45]
	v_add_f64_e64 v[52:53], v[42:43], -v[40:41]
	v_add_f64_e64 v[50:51], v[40:41], -v[50:51]
	s_delay_alu instid0(VALU_DEP_2) | instskip(NEXT) | instid1(VALU_DEP_1)
	v_add_f64_e64 v[42:43], v[42:43], -v[52:53]
	v_add_f64_e64 v[40:41], v[42:43], -v[40:41]
	s_delay_alu instid0(VALU_DEP_3) | instskip(SKIP_1) | instid1(VALU_DEP_3)
	v_add_f64_e64 v[42:43], v[50:51], -v[44:45]
	v_max_num_f64_e64 v[44:45], |v[2:3]|, |v[2:3]|
	v_add_f64_e32 v[36:37], v[36:37], v[40:41]
	v_add_f64_e32 v[40:41], v[38:39], v[48:49]
	s_delay_alu instid0(VALU_DEP_2) | instskip(NEXT) | instid1(VALU_DEP_2)
	v_add_f64_e32 v[36:37], v[42:43], v[36:37]
	v_add_f64_e64 v[38:39], v[40:41], -v[38:39]
	v_max_num_f64_e64 v[42:43], |v[4:5]|, |v[4:5]|
	s_delay_alu instid0(VALU_DEP_3) | instskip(NEXT) | instid1(VALU_DEP_3)
	v_add_f64_e32 v[36:37], v[52:53], v[36:37]
	v_add_f64_e64 v[38:39], v[48:49], -v[38:39]
	s_delay_alu instid0(VALU_DEP_2) | instskip(NEXT) | instid1(VALU_DEP_1)
	v_mul_f64_e32 v[36:37], v[46:47], v[36:37]
	v_add_f64_e32 v[36:37], v[38:39], v[36:37]
	v_max_num_f64_e32 v[38:39], v[44:45], v[42:43]
	v_min_num_f64_e32 v[42:43], v[44:45], v[42:43]
	s_delay_alu instid0(VALU_DEP_3) | instskip(NEXT) | instid1(VALU_DEP_2)
	v_add_f64_e32 v[44:45], v[40:41], v[36:37]
	v_div_scale_f64 v[46:47], null, v[38:39], v[38:39], v[42:43]
	s_delay_alu instid0(VALU_DEP_2) | instskip(SKIP_1) | instid1(VALU_DEP_3)
	v_mul_f64_e32 v[48:49], v[44:45], v[44:45]
	v_add_f64_e64 v[40:41], v[44:45], -v[40:41]
	v_rcp_f64_e32 v[50:51], v[46:47]
	s_delay_alu instid0(VALU_DEP_2) | instskip(SKIP_1) | instid1(VALU_DEP_3)
	v_fmamk_f64 v[52:53], v[48:49], 0x3fc3ab76bf559e2b, v[22:23]
	v_mul_f64_e32 v[54:55], v[44:45], v[48:49]
	v_add_f64_e64 v[36:37], v[36:37], -v[40:41]
	s_delay_alu instid0(VALU_DEP_3) | instskip(NEXT) | instid1(TRANS32_DEP_1)
	v_fmaak_f64 v[52:53], v[48:49], v[52:53], 0x3fc7474dd7f4df2e
	v_fma_f64 v[56:57], -v[46:47], v[50:51], 1.0
	s_delay_alu instid0(VALU_DEP_2) | instskip(NEXT) | instid1(VALU_DEP_1)
	v_fmaak_f64 v[52:53], v[48:49], v[52:53], 0x3fcc71c016291751
	v_fmaak_f64 v[52:53], v[48:49], v[52:53], 0x3fd249249b27acf1
	s_delay_alu instid0(VALU_DEP_1) | instskip(SKIP_1) | instid1(VALU_DEP_2)
	v_fmaak_f64 v[52:53], v[48:49], v[52:53], 0x3fd99999998ef7b6
	v_ldexp_f64 v[36:37], v[36:37], 1
	v_fmaak_f64 v[48:49], v[48:49], v[52:53], 0x3fe5555555555780
	v_ldexp_f64 v[52:53], v[44:45], 1
	v_fmac_f64_e32 v[50:51], v[50:51], v[56:57]
	s_delay_alu instid0(VALU_DEP_3) | instskip(SKIP_2) | instid1(VALU_DEP_1)
	v_mul_f64_e32 v[48:49], v[54:55], v[48:49]
	v_cvt_f64_i32_e32 v[54:55], v8
	v_ashrrev_i32_e32 v8, 31, v3
	v_and_b32_e32 v16, 0x54442d18, v8
	v_and_b32_e32 v8, 0x400921fb, v8
	v_fma_f64 v[56:57], -v[46:47], v[50:51], 1.0
	v_add_f64_e32 v[44:45], v[52:53], v[48:49]
	v_mul_f64_e32 v[58:59], 0x3fe62e42fefa39ef, v[54:55]
	s_delay_alu instid0(VALU_DEP_3) | instskip(NEXT) | instid1(VALU_DEP_3)
	v_fmac_f64_e32 v[50:51], v[50:51], v[56:57]
	v_add_f64_e64 v[40:41], v[44:45], -v[52:53]
	v_div_scale_f64 v[52:53], vcc_lo, v[42:43], v[38:39], v[42:43]
	s_delay_alu instid0(VALU_DEP_4) | instskip(NEXT) | instid1(VALU_DEP_3)
	v_fma_f64 v[56:57], v[54:55], s[22:23], -v[58:59]
	v_add_f64_e64 v[40:41], v[48:49], -v[40:41]
	s_delay_alu instid0(VALU_DEP_3) | instskip(NEXT) | instid1(VALU_DEP_3)
	v_mul_f64_e32 v[48:49], v[52:53], v[50:51]
	v_fmac_f64_e32 v[56:57], 0x3c7abc9e3b39803f, v[54:55]
	s_delay_alu instid0(VALU_DEP_3) | instskip(NEXT) | instid1(VALU_DEP_3)
	v_add_f64_e32 v[36:37], v[36:37], v[40:41]
	v_fma_f64 v[40:41], -v[46:47], v[48:49], v[52:53]
	s_delay_alu instid0(VALU_DEP_3) | instskip(NEXT) | instid1(VALU_DEP_3)
	v_add_f64_e32 v[46:47], v[58:59], v[56:57]
	v_add_f64_e32 v[52:53], v[44:45], v[36:37]
	s_delay_alu instid0(VALU_DEP_3) | instskip(SKIP_1) | instid1(VALU_DEP_4)
	v_div_fmas_f64 v[40:41], v[40:41], v[50:51], v[48:49]
	v_cmp_gt_i32_e32 vcc_lo, 0, v3
	v_add_f64_e64 v[50:51], v[46:47], -v[58:59]
	v_cndmask_b32_e32 v12, 0x54442d18, v60, vcc_lo
	v_add_f64_e32 v[48:49], v[46:47], v[52:53]
	v_div_fixup_f64 v[38:39], v[40:41], v[38:39], v[42:43]
	v_add_f64_e64 v[44:45], v[52:53], -v[44:45]
	v_add_f64_e64 v[50:51], v[56:57], -v[50:51]
	s_delay_alu instid0(VALU_DEP_4) | instskip(NEXT) | instid1(VALU_DEP_4)
	v_add_f64_e64 v[40:41], v[48:49], -v[46:47]
	v_mul_f64_e32 v[42:43], v[38:39], v[38:39]
	s_delay_alu instid0(VALU_DEP_4) | instskip(NEXT) | instid1(VALU_DEP_3)
	v_add_f64_e64 v[36:37], v[36:37], -v[44:45]
	v_add_f64_e64 v[54:55], v[48:49], -v[40:41]
	s_delay_alu instid0(VALU_DEP_3) | instskip(SKIP_1) | instid1(VALU_DEP_4)
	v_fmamk_f64 v[58:59], v[42:43], 0x3eeba404b5e68a13, v[24:25]
	v_add_f64_e64 v[40:41], v[52:53], -v[40:41]
	v_add_f64_e32 v[52:53], v[50:51], v[36:37]
	s_delay_alu instid0(VALU_DEP_3) | instskip(NEXT) | instid1(VALU_DEP_1)
	v_fmaak_f64 v[58:59], v[42:43], v[58:59], 0x3f4b2bb069efb384
	v_fmaak_f64 v[58:59], v[42:43], v[58:59], 0xbf67952daf56de9b
	v_add_f64_e64 v[44:45], v[46:47], -v[54:55]
	s_delay_alu instid0(VALU_DEP_2) | instskip(NEXT) | instid1(VALU_DEP_1)
	v_fmaak_f64 v[46:47], v[42:43], v[58:59], 0x3f7d6d43a595c56f
	v_fmaak_f64 v[46:47], v[42:43], v[46:47], 0xbf8c6ea4a57d9582
	s_delay_alu instid0(VALU_DEP_1) | instskip(NEXT) | instid1(VALU_DEP_1)
	v_fmaak_f64 v[46:47], v[42:43], v[46:47], 0x3f967e295f08b19f
	v_fmaak_f64 v[46:47], v[42:43], v[46:47], 0xbf9e9ae6fc27006a
	s_delay_alu instid0(VALU_DEP_1) | instskip(SKIP_1) | instid1(VALU_DEP_2)
	v_fmaak_f64 v[46:47], v[42:43], v[46:47], 0x3fa2c15b5711927a
	v_add_f64_e32 v[40:41], v[40:41], v[44:45]
	v_fmaak_f64 v[44:45], v[42:43], v[46:47], 0xbfa59976e82d3ff0
	v_add_f64_e64 v[46:47], v[52:53], -v[50:51]
	s_delay_alu instid0(VALU_DEP_2) | instskip(NEXT) | instid1(VALU_DEP_1)
	v_fmaak_f64 v[44:45], v[42:43], v[44:45], 0x3fa82d5d6ef28734
	v_fmaak_f64 v[44:45], v[42:43], v[44:45], 0xbfaae5ce6a214619
	s_delay_alu instid0(VALU_DEP_1) | instskip(NEXT) | instid1(VALU_DEP_1)
	v_fmaak_f64 v[44:45], v[42:43], v[44:45], 0x3fae1bb48427b883
	v_fmaak_f64 v[44:45], v[42:43], v[44:45], 0xbfb110e48b207f05
	v_add_f64_e32 v[40:41], v[52:53], v[40:41]
	v_add_f64_e64 v[52:53], v[52:53], -v[46:47]
	v_add_f64_e64 v[36:37], v[36:37], -v[46:47]
	s_delay_alu instid0(VALU_DEP_4) | instskip(NEXT) | instid1(VALU_DEP_1)
	v_fmaak_f64 v[44:45], v[42:43], v[44:45], 0x3fb3b13657b87036
	v_fmaak_f64 v[44:45], v[42:43], v[44:45], 0xbfb745d119378e4f
	s_delay_alu instid0(VALU_DEP_1) | instskip(NEXT) | instid1(VALU_DEP_1)
	v_fmaak_f64 v[44:45], v[42:43], v[44:45], 0x3fbc71c717e1913c
	v_fmaak_f64 v[44:45], v[42:43], v[44:45], 0xbfc2492492376b7d
	v_add_f64_e32 v[54:55], v[48:49], v[40:41]
	s_delay_alu instid0(VALU_DEP_2) | instskip(NEXT) | instid1(VALU_DEP_1)
	v_fmaak_f64 v[44:45], v[42:43], v[44:45], 0x3fc99999999952cc
	v_fmaak_f64 v[44:45], v[42:43], v[44:45], 0xbfd5555555555523
	s_delay_alu instid0(VALU_DEP_1) | instskip(SKIP_2) | instid1(VALU_DEP_3)
	v_mul_f64_e32 v[42:43], v[42:43], v[44:45]
	v_add_f64_e64 v[44:45], v[50:51], -v[52:53]
	v_add_f64_e64 v[46:47], v[54:55], -v[48:49]
	v_fmac_f64_e32 v[38:39], v[38:39], v[42:43]
	s_delay_alu instid0(VALU_DEP_3) | instskip(NEXT) | instid1(VALU_DEP_3)
	v_add_f64_e32 v[36:37], v[36:37], v[44:45]
	v_add_f64_e64 v[40:41], v[40:41], -v[46:47]
	s_delay_alu instid0(VALU_DEP_3) | instskip(NEXT) | instid1(VALU_DEP_1)
	v_add_f64_e64 v[42:43], -v[38:39], s[24:25]
	v_dual_add_f64 v[36:37], v[36:37], v[40:41] :: v_dual_cndmask_b32 v39, v39, v43, s0
	s_delay_alu instid0(VALU_DEP_2) | instskip(SKIP_2) | instid1(VALU_DEP_3)
	v_cndmask_b32_e64 v38, v38, v42, s0
	v_cmp_neq_f64_e64 s2, 0x7ff00000, v[14:15]
	v_cndmask_b32_e32 v14, 0x3fe921fb, v61, vcc_lo
	v_add_f64_e64 v[40:41], -v[38:39], s[26:27]
	s_delay_alu instid0(VALU_DEP_2) | instskip(SKIP_1) | instid1(VALU_DEP_3)
	v_bfi_b32 v14, 0x7fffffff, v14, v5
	v_add_f64_e32 v[36:37], v[54:55], v[36:37]
	v_dual_cndmask_b32 v21, v38, v40, vcc_lo :: v_dual_cndmask_b32 v15, v39, v41, vcc_lo
	s_and_b32 vcc_lo, s6, s5
                                        ; implicit-def: $vgpr40_vgpr41
	s_delay_alu instid0(VALU_DEP_1) | instskip(NEXT) | instid1(VALU_DEP_2)
	v_cndmask_b32_e64 v16, v21, v16, s1
	v_cndmask_b32_e64 v8, v15, v8, s1
	s_delay_alu instid0(VALU_DEP_1) | instskip(NEXT) | instid1(VALU_DEP_3)
	v_dual_mul_f64 v[2:3], 0.5, v[36:37] :: v_dual_cndmask_b32 v37, v8, v14, vcc_lo
	v_cndmask_b32_e32 v36, v16, v12, vcc_lo
	s_delay_alu instid0(VALU_DEP_2) | instskip(NEXT) | instid1(VALU_DEP_3)
	v_cndmask_b32_e64 v15, 0x7ff00000, v3, s2
	v_cndmask_b32_e64 v14, 0, v2, s2
.LBB185_285:                            ;   in Loop: Header=BB185_162 Depth=1
	s_and_not1_saveexec_b32 s2, s4
	s_cbranch_execz .LBB185_287
; %bb.286:                              ;   in Loop: Header=BB185_162 Depth=1
	v_max_num_f64_e64 v[14:15], |v[4:5]|, |v[4:5]|
	v_max_num_f64_e64 v[36:37], |v[2:3]|, |v[2:3]|
	v_ashrrev_i32_e32 v8, 31, v3
	v_cmp_eq_f64_e64 s1, 0, v[4:5]
	v_cmp_class_f64_e64 s4, v[4:5], 0x204
	v_cmp_class_f64_e64 s5, v[2:3], 0x204
	s_delay_alu instid0(VALU_DEP_4) | instskip(SKIP_2) | instid1(VALU_DEP_1)
	v_and_b32_e32 v16, 0x54442d18, v8
	v_max_num_f64_e32 v[38:39], v[36:37], v[14:15]
	v_min_num_f64_e32 v[14:15], v[36:37], v[14:15]
	v_div_scale_f64 v[36:37], null, v[38:39], v[38:39], v[14:15]
	v_div_scale_f64 v[46:47], vcc_lo, v[14:15], v[38:39], v[14:15]
	s_delay_alu instid0(VALU_DEP_2) | instskip(SKIP_1) | instid1(TRANS32_DEP_1)
	v_rcp_f64_e32 v[42:43], v[36:37]
	v_nop
	v_fma_f64 v[44:45], -v[36:37], v[42:43], 1.0
	s_delay_alu instid0(VALU_DEP_1) | instskip(NEXT) | instid1(VALU_DEP_1)
	v_fmac_f64_e32 v[42:43], v[42:43], v[44:45]
	v_fma_f64 v[44:45], -v[36:37], v[42:43], 1.0
	s_delay_alu instid0(VALU_DEP_1) | instskip(NEXT) | instid1(VALU_DEP_1)
	v_fmac_f64_e32 v[42:43], v[42:43], v[44:45]
	v_mul_f64_e32 v[44:45], v[46:47], v[42:43]
	s_delay_alu instid0(VALU_DEP_1) | instskip(NEXT) | instid1(VALU_DEP_1)
	v_fma_f64 v[36:37], -v[36:37], v[44:45], v[46:47]
	v_div_fmas_f64 v[36:37], v[36:37], v[42:43], v[44:45]
	v_cmp_gt_i32_e32 vcc_lo, 0, v3
	v_and_b32_e32 v3, 0x400921fb, v8
	v_cndmask_b32_e32 v12, 0x54442d18, v60, vcc_lo
	v_cndmask_b32_e32 v2, 0x3fe921fb, v61, vcc_lo
	s_delay_alu instid0(VALU_DEP_1) | instskip(SKIP_1) | instid1(VALU_DEP_1)
	v_bfi_b32 v2, 0x7fffffff, v2, v5
	v_div_fixup_f64 v[14:15], v[36:37], v[38:39], v[14:15]
	v_mul_f64_e32 v[36:37], v[14:15], v[14:15]
	s_delay_alu instid0(VALU_DEP_1) | instskip(NEXT) | instid1(VALU_DEP_1)
	v_fmamk_f64 v[38:39], v[36:37], 0x3eeba404b5e68a13, v[24:25]
	v_fmaak_f64 v[38:39], v[36:37], v[38:39], 0x3f4b2bb069efb384
	s_delay_alu instid0(VALU_DEP_1) | instskip(NEXT) | instid1(VALU_DEP_1)
	v_fmaak_f64 v[38:39], v[36:37], v[38:39], 0xbf67952daf56de9b
	v_fmaak_f64 v[38:39], v[36:37], v[38:39], 0x3f7d6d43a595c56f
	s_delay_alu instid0(VALU_DEP_1) | instskip(NEXT) | instid1(VALU_DEP_1)
	v_fmaak_f64 v[38:39], v[36:37], v[38:39], 0xbf8c6ea4a57d9582
	;; [unrolled: 3-line block ×9, first 2 shown]
	v_mul_f64_e32 v[36:37], v[36:37], v[38:39]
	s_delay_alu instid0(VALU_DEP_1) | instskip(NEXT) | instid1(VALU_DEP_1)
	v_fmac_f64_e32 v[14:15], v[14:15], v[36:37]
	v_add_f64_e64 v[36:37], -v[14:15], s[24:25]
	s_delay_alu instid0(VALU_DEP_1) | instskip(SKIP_1) | instid1(VALU_DEP_1)
	v_dual_cndmask_b32 v37, v15, v37, s0 :: v_dual_cndmask_b32 v36, v14, v36, s0
	v_mul_f64_e32 v[14:15], 0.5, v[40:41]
	v_mul_f64_e32 v[14:15], v[40:41], v[14:15]
	s_delay_alu instid0(VALU_DEP_3) | instskip(NEXT) | instid1(VALU_DEP_1)
	v_add_f64_e64 v[38:39], -v[36:37], s[26:27]
	v_cndmask_b32_e32 v21, v36, v38, vcc_lo
	s_delay_alu instid0(VALU_DEP_1) | instskip(NEXT) | instid1(VALU_DEP_3)
	v_cndmask_b32_e64 v16, v21, v16, s1
	v_cndmask_b32_e32 v8, v37, v39, vcc_lo
	s_and_b32 vcc_lo, s5, s4
	s_delay_alu instid0(VALU_DEP_2) | instskip(NEXT) | instid1(VALU_DEP_2)
	v_cndmask_b32_e32 v36, v16, v12, vcc_lo
	v_cndmask_b32_e64 v3, v8, v3, s1
	s_delay_alu instid0(VALU_DEP_1)
	v_cndmask_b32_e32 v37, v3, v2, vcc_lo
.LBB185_287:                            ;   in Loop: Header=BB185_162 Depth=1
	s_or_b32 exec_lo, exec_lo, s2
.LBB185_288:                            ;   in Loop: Header=BB185_162 Depth=1
	s_delay_alu instid0(SALU_CYCLE_1)
	s_or_b32 exec_lo, exec_lo, s3
.LBB185_289:                            ;   in Loop: Header=BB185_162 Depth=1
	s_and_not1_saveexec_b32 s2, s40
	s_cbranch_execz .LBB185_291
; %bb.290:                              ;   in Loop: Header=BB185_162 Depth=1
	v_div_scale_f64 v[14:15], null, s[34:35], s[34:35], v[2:3]
	v_div_scale_f64 v[36:37], null, s[34:35], s[34:35], v[4:5]
	v_div_scale_f64 v[46:47], vcc_lo, v[2:3], s[34:35], v[2:3]
	s_delay_alu instid0(VALU_DEP_3) | instskip(NEXT) | instid1(VALU_DEP_2)
	v_rcp_f64_e32 v[38:39], v[14:15]
	v_rcp_f64_e32 v[40:41], v[36:37]
	s_delay_alu instid0(TRANS32_DEP_2) | instskip(NEXT) | instid1(TRANS32_DEP_1)
	v_fma_f64 v[42:43], -v[14:15], v[38:39], 1.0
	v_fma_f64 v[44:45], -v[36:37], v[40:41], 1.0
	s_delay_alu instid0(VALU_DEP_2) | instskip(NEXT) | instid1(VALU_DEP_2)
	v_fmac_f64_e32 v[38:39], v[38:39], v[42:43]
	v_fmac_f64_e32 v[40:41], v[40:41], v[44:45]
	s_delay_alu instid0(VALU_DEP_2) | instskip(NEXT) | instid1(VALU_DEP_2)
	v_fma_f64 v[42:43], -v[14:15], v[38:39], 1.0
	v_fma_f64 v[44:45], -v[36:37], v[40:41], 1.0
	s_delay_alu instid0(VALU_DEP_2) | instskip(SKIP_1) | instid1(VALU_DEP_3)
	v_fmac_f64_e32 v[38:39], v[38:39], v[42:43]
	v_div_scale_f64 v[42:43], s1, v[4:5], s[34:35], v[4:5]
	v_fmac_f64_e32 v[40:41], v[40:41], v[44:45]
	s_delay_alu instid0(VALU_DEP_3) | instskip(NEXT) | instid1(VALU_DEP_2)
	v_mul_f64_e32 v[44:45], v[46:47], v[38:39]
	v_mul_f64_e32 v[48:49], v[42:43], v[40:41]
	s_delay_alu instid0(VALU_DEP_2) | instskip(NEXT) | instid1(VALU_DEP_2)
	v_fma_f64 v[14:15], -v[14:15], v[44:45], v[46:47]
	v_fma_f64 v[36:37], -v[36:37], v[48:49], v[42:43]
	s_delay_alu instid0(VALU_DEP_2) | instskip(SKIP_1) | instid1(VALU_DEP_2)
	v_div_fmas_f64 v[14:15], v[14:15], v[38:39], v[44:45]
	s_mov_b32 vcc_lo, s1
	v_div_fmas_f64 v[36:37], v[36:37], v[40:41], v[48:49]
	s_delay_alu instid0(VALU_DEP_2) | instskip(NEXT) | instid1(VALU_DEP_2)
	v_div_fixup_f64 v[14:15], v[14:15], s[34:35], v[2:3]
	v_div_fixup_f64 v[36:37], v[36:37], s[34:35], v[4:5]
	s_delay_alu instid0(VALU_DEP_2) | instskip(NEXT) | instid1(VALU_DEP_2)
	v_cmp_class_f64_e64 s1, v[14:15], 0x204
	v_max_num_f64_e64 v[38:39], |v[14:15]|, |v[36:37]|
	v_cmp_class_f64_e64 s3, v[36:37], 0x204
	s_delay_alu instid0(VALU_DEP_2) | instskip(SKIP_2) | instid1(VALU_DEP_2)
	v_frexp_exp_i32_f64_e32 v8, v[38:39]
	s_or_b32 s1, s1, s3
	v_cmp_class_f64_e64 s3, v[2:3], 0x204
	v_sub_nc_u32_e32 v12, 0, v8
	s_delay_alu instid0(VALU_DEP_1) | instskip(SKIP_1) | instid1(VALU_DEP_2)
	v_ldexp_f64 v[38:39], |v[36:37]|, v12
	v_ldexp_f64 v[40:41], |v[14:15]|, v12
	v_mul_f64_e32 v[38:39], v[38:39], v[38:39]
	s_delay_alu instid0(VALU_DEP_1) | instskip(NEXT) | instid1(VALU_DEP_1)
	v_fmac_f64_e32 v[38:39], v[40:41], v[40:41]
	v_rsq_f64_e32 v[40:41], v[38:39]
	v_cmp_eq_f64_e32 vcc_lo, 0, v[38:39]
	s_delay_alu instid0(TRANS32_DEP_1) | instskip(SKIP_1) | instid1(VALU_DEP_1)
	v_mul_f64_e32 v[42:43], v[38:39], v[40:41]
	v_mul_f64_e32 v[40:41], 0.5, v[40:41]
	v_fma_f64 v[44:45], -v[40:41], v[42:43], 0.5
	s_delay_alu instid0(VALU_DEP_1) | instskip(SKIP_1) | instid1(VALU_DEP_2)
	v_fmac_f64_e32 v[42:43], v[42:43], v[44:45]
	v_fmac_f64_e32 v[40:41], v[40:41], v[44:45]
	v_fma_f64 v[44:45], -v[42:43], v[42:43], v[38:39]
	s_delay_alu instid0(VALU_DEP_1) | instskip(NEXT) | instid1(VALU_DEP_1)
	v_fmac_f64_e32 v[42:43], v[44:45], v[40:41]
	v_dual_cndmask_b32 v39, v43, v39 :: v_dual_cndmask_b32 v38, v42, v38
	v_cmp_o_f64_e32 vcc_lo, v[14:15], v[36:37]
	s_delay_alu instid0(VALU_DEP_2) | instskip(NEXT) | instid1(VALU_DEP_1)
	v_ldexp_f64 v[38:39], v[38:39], v8
	v_cndmask_b32_e32 v8, 0, v38, vcc_lo
	s_delay_alu instid0(VALU_DEP_2) | instskip(NEXT) | instid1(VALU_DEP_2)
	v_cndmask_b32_e32 v12, 0x7ff80000, v39, vcc_lo
	v_cndmask_b32_e64 v38, v8, 0, s1
	s_delay_alu instid0(VALU_DEP_2) | instskip(SKIP_1) | instid1(VALU_DEP_2)
	v_cndmask_b32_e64 v39, v12, 0x7ff00000, s1
	v_cmp_class_f64_e64 s1, v[4:5], 0x204
	v_frexp_mant_f64_e32 v[14:15], v[38:39]
	s_delay_alu instid0(VALU_DEP_1) | instskip(SKIP_1) | instid1(VALU_DEP_1)
	v_cmp_gt_f64_e32 vcc_lo, s[20:21], v[14:15]
	v_cndmask_b32_e64 v8, 0, 1, vcc_lo
	v_ldexp_f64 v[14:15], v[14:15], v8
	v_frexp_exp_i32_f64_e32 v8, v[38:39]
	s_delay_alu instid0(VALU_DEP_2) | instskip(SKIP_1) | instid1(VALU_DEP_3)
	v_add_f64_e32 v[36:37], 1.0, v[14:15]
	v_add_f64_e32 v[44:45], -1.0, v[14:15]
	v_subrev_co_ci_u32_e64 v8, null, 0, v8, vcc_lo
	s_delay_alu instid0(VALU_DEP_3) | instskip(SKIP_1) | instid1(VALU_DEP_1)
	v_rcp_f64_e32 v[40:41], v[36:37]
	v_add_f64_e32 v[46:47], -1.0, v[36:37]
	v_add_f64_e64 v[14:15], v[14:15], -v[46:47]
	s_delay_alu instid0(TRANS32_DEP_1) | instskip(NEXT) | instid1(VALU_DEP_1)
	v_fma_f64 v[42:43], -v[36:37], v[40:41], 1.0
	v_fmac_f64_e32 v[40:41], v[42:43], v[40:41]
	s_delay_alu instid0(VALU_DEP_1) | instskip(NEXT) | instid1(VALU_DEP_1)
	v_fma_f64 v[42:43], -v[36:37], v[40:41], 1.0
	v_fmac_f64_e32 v[40:41], v[42:43], v[40:41]
	s_delay_alu instid0(VALU_DEP_1) | instskip(NEXT) | instid1(VALU_DEP_1)
	v_mul_f64_e32 v[42:43], v[44:45], v[40:41]
	v_mul_f64_e32 v[48:49], v[36:37], v[42:43]
	s_delay_alu instid0(VALU_DEP_1) | instskip(NEXT) | instid1(VALU_DEP_1)
	v_fma_f64 v[36:37], v[42:43], v[36:37], -v[48:49]
	v_fmac_f64_e32 v[36:37], v[42:43], v[14:15]
	s_delay_alu instid0(VALU_DEP_1) | instskip(NEXT) | instid1(VALU_DEP_1)
	v_add_f64_e32 v[14:15], v[48:49], v[36:37]
	v_add_f64_e64 v[46:47], v[44:45], -v[14:15]
	v_add_f64_e64 v[48:49], v[14:15], -v[48:49]
	s_delay_alu instid0(VALU_DEP_2) | instskip(NEXT) | instid1(VALU_DEP_2)
	v_add_f64_e64 v[44:45], v[44:45], -v[46:47]
	v_add_f64_e64 v[36:37], v[48:49], -v[36:37]
	s_delay_alu instid0(VALU_DEP_2) | instskip(SKIP_1) | instid1(VALU_DEP_2)
	v_add_f64_e64 v[14:15], v[44:45], -v[14:15]
	v_max_num_f64_e64 v[44:45], |v[2:3]|, |v[2:3]|
	v_add_f64_e32 v[14:15], v[36:37], v[14:15]
	v_max_num_f64_e64 v[36:37], |v[4:5]|, |v[4:5]|
	s_delay_alu instid0(VALU_DEP_2) | instskip(NEXT) | instid1(VALU_DEP_1)
	v_add_f64_e32 v[14:15], v[46:47], v[14:15]
	v_mul_f64_e32 v[14:15], v[40:41], v[14:15]
	s_delay_alu instid0(VALU_DEP_3) | instskip(SKIP_1) | instid1(VALU_DEP_3)
	v_max_num_f64_e32 v[40:41], v[44:45], v[36:37]
	v_min_num_f64_e32 v[36:37], v[44:45], v[36:37]
	v_add_f64_e32 v[44:45], v[42:43], v[14:15]
	s_delay_alu instid0(VALU_DEP_2) | instskip(NEXT) | instid1(VALU_DEP_2)
	v_div_scale_f64 v[46:47], null, v[40:41], v[40:41], v[36:37]
	v_mul_f64_e32 v[48:49], v[44:45], v[44:45]
	v_add_f64_e64 v[42:43], v[44:45], -v[42:43]
	s_delay_alu instid0(VALU_DEP_3) | instskip(NEXT) | instid1(VALU_DEP_2)
	v_rcp_f64_e32 v[50:51], v[46:47]
	v_fmamk_f64 v[52:53], v[48:49], 0x3fc3ab76bf559e2b, v[22:23]
	v_mul_f64_e32 v[54:55], v[44:45], v[48:49]
	s_delay_alu instid0(VALU_DEP_3) | instskip(NEXT) | instid1(VALU_DEP_3)
	v_add_f64_e64 v[14:15], v[14:15], -v[42:43]
	v_fmaak_f64 v[52:53], v[48:49], v[52:53], 0x3fc7474dd7f4df2e
	s_delay_alu instid0(TRANS32_DEP_1) | instskip(NEXT) | instid1(VALU_DEP_2)
	v_fma_f64 v[56:57], -v[46:47], v[50:51], 1.0
	v_fmaak_f64 v[52:53], v[48:49], v[52:53], 0x3fcc71c016291751
	s_delay_alu instid0(VALU_DEP_1) | instskip(NEXT) | instid1(VALU_DEP_1)
	v_fmaak_f64 v[52:53], v[48:49], v[52:53], 0x3fd249249b27acf1
	v_fmaak_f64 v[52:53], v[48:49], v[52:53], 0x3fd99999998ef7b6
	v_ldexp_f64 v[14:15], v[14:15], 1
	s_delay_alu instid0(VALU_DEP_2) | instskip(SKIP_2) | instid1(VALU_DEP_3)
	v_fmaak_f64 v[48:49], v[48:49], v[52:53], 0x3fe5555555555780
	v_ldexp_f64 v[52:53], v[44:45], 1
	v_fmac_f64_e32 v[50:51], v[50:51], v[56:57]
	v_mul_f64_e32 v[48:49], v[54:55], v[48:49]
	v_cvt_f64_i32_e32 v[54:55], v8
	v_ashrrev_i32_e32 v8, 31, v3
	s_delay_alu instid0(VALU_DEP_1) | instskip(SKIP_3) | instid1(VALU_DEP_3)
	v_and_b32_e32 v16, 0x54442d18, v8
	v_fma_f64 v[56:57], -v[46:47], v[50:51], 1.0
	v_add_f64_e32 v[44:45], v[52:53], v[48:49]
	v_mul_f64_e32 v[58:59], 0x3fe62e42fefa39ef, v[54:55]
	v_fmac_f64_e32 v[50:51], v[50:51], v[56:57]
	s_delay_alu instid0(VALU_DEP_3) | instskip(SKIP_1) | instid1(VALU_DEP_4)
	v_add_f64_e64 v[42:43], v[44:45], -v[52:53]
	v_div_scale_f64 v[52:53], vcc_lo, v[36:37], v[40:41], v[36:37]
	v_fma_f64 v[56:57], v[54:55], s[22:23], -v[58:59]
	s_delay_alu instid0(VALU_DEP_3) | instskip(NEXT) | instid1(VALU_DEP_3)
	v_add_f64_e64 v[42:43], v[48:49], -v[42:43]
	v_mul_f64_e32 v[48:49], v[52:53], v[50:51]
	s_delay_alu instid0(VALU_DEP_3) | instskip(NEXT) | instid1(VALU_DEP_3)
	v_fmac_f64_e32 v[56:57], 0x3c7abc9e3b39803f, v[54:55]
	v_add_f64_e32 v[14:15], v[14:15], v[42:43]
	s_delay_alu instid0(VALU_DEP_3) | instskip(NEXT) | instid1(VALU_DEP_3)
	v_fma_f64 v[42:43], -v[46:47], v[48:49], v[52:53]
	v_add_f64_e32 v[46:47], v[58:59], v[56:57]
	s_delay_alu instid0(VALU_DEP_3) | instskip(NEXT) | instid1(VALU_DEP_3)
	v_add_f64_e32 v[52:53], v[44:45], v[14:15]
	v_div_fmas_f64 v[42:43], v[42:43], v[50:51], v[48:49]
	v_cmp_class_f64_e64 vcc_lo, v[38:39], 0x204
	s_delay_alu instid0(VALU_DEP_4) | instskip(NEXT) | instid1(VALU_DEP_4)
	v_add_f64_e64 v[50:51], v[46:47], -v[58:59]
	v_add_f64_e32 v[48:49], v[46:47], v[52:53]
	s_delay_alu instid0(VALU_DEP_4) | instskip(SKIP_1) | instid1(VALU_DEP_4)
	v_div_fixup_f64 v[36:37], v[42:43], v[40:41], v[36:37]
	v_add_f64_e64 v[44:45], v[52:53], -v[44:45]
	v_add_f64_e64 v[50:51], v[56:57], -v[50:51]
	s_delay_alu instid0(VALU_DEP_4) | instskip(NEXT) | instid1(VALU_DEP_4)
	v_add_f64_e64 v[40:41], v[48:49], -v[46:47]
	v_mul_f64_e32 v[42:43], v[36:37], v[36:37]
	s_delay_alu instid0(VALU_DEP_4) | instskip(NEXT) | instid1(VALU_DEP_3)
	v_add_f64_e64 v[14:15], v[14:15], -v[44:45]
	v_add_f64_e64 v[54:55], v[48:49], -v[40:41]
	s_delay_alu instid0(VALU_DEP_3) | instskip(SKIP_1) | instid1(VALU_DEP_4)
	v_fmamk_f64 v[58:59], v[42:43], 0x3eeba404b5e68a13, v[24:25]
	v_add_f64_e64 v[40:41], v[52:53], -v[40:41]
	v_add_f64_e32 v[52:53], v[50:51], v[14:15]
	s_delay_alu instid0(VALU_DEP_3) | instskip(SKIP_1) | instid1(VALU_DEP_2)
	v_fmaak_f64 v[58:59], v[42:43], v[58:59], 0x3f4b2bb069efb384
	v_add_f64_e64 v[44:45], v[46:47], -v[54:55]
	v_fmaak_f64 v[46:47], v[42:43], v[58:59], 0xbf67952daf56de9b
	s_delay_alu instid0(VALU_DEP_1) | instskip(NEXT) | instid1(VALU_DEP_1)
	v_fmaak_f64 v[46:47], v[42:43], v[46:47], 0x3f7d6d43a595c56f
	v_fmaak_f64 v[46:47], v[42:43], v[46:47], 0xbf8c6ea4a57d9582
	s_delay_alu instid0(VALU_DEP_1) | instskip(SKIP_1) | instid1(VALU_DEP_2)
	v_fmaak_f64 v[46:47], v[42:43], v[46:47], 0x3f967e295f08b19f
	v_add_f64_e32 v[40:41], v[40:41], v[44:45]
	v_fmaak_f64 v[44:45], v[42:43], v[46:47], 0xbf9e9ae6fc27006a
	v_add_f64_e64 v[46:47], v[52:53], -v[50:51]
	s_delay_alu instid0(VALU_DEP_2) | instskip(NEXT) | instid1(VALU_DEP_1)
	v_fmaak_f64 v[44:45], v[42:43], v[44:45], 0x3fa2c15b5711927a
	v_fmaak_f64 v[44:45], v[42:43], v[44:45], 0xbfa59976e82d3ff0
	s_delay_alu instid0(VALU_DEP_1) | instskip(NEXT) | instid1(VALU_DEP_1)
	v_fmaak_f64 v[44:45], v[42:43], v[44:45], 0x3fa82d5d6ef28734
	v_fmaak_f64 v[44:45], v[42:43], v[44:45], 0xbfaae5ce6a214619
	v_add_f64_e32 v[40:41], v[52:53], v[40:41]
	v_add_f64_e64 v[52:53], v[52:53], -v[46:47]
	v_add_f64_e64 v[14:15], v[14:15], -v[46:47]
	s_delay_alu instid0(VALU_DEP_4) | instskip(NEXT) | instid1(VALU_DEP_1)
	v_fmaak_f64 v[44:45], v[42:43], v[44:45], 0x3fae1bb48427b883
	v_fmaak_f64 v[44:45], v[42:43], v[44:45], 0xbfb110e48b207f05
	s_delay_alu instid0(VALU_DEP_1) | instskip(NEXT) | instid1(VALU_DEP_1)
	v_fmaak_f64 v[44:45], v[42:43], v[44:45], 0x3fb3b13657b87036
	v_fmaak_f64 v[44:45], v[42:43], v[44:45], 0xbfb745d119378e4f
	s_delay_alu instid0(VALU_DEP_1) | instskip(SKIP_1) | instid1(VALU_DEP_2)
	v_fmaak_f64 v[44:45], v[42:43], v[44:45], 0x3fbc71c717e1913c
	v_add_f64_e32 v[54:55], v[48:49], v[40:41]
	v_fmaak_f64 v[44:45], v[42:43], v[44:45], 0xbfc2492492376b7d
	s_delay_alu instid0(VALU_DEP_1) | instskip(NEXT) | instid1(VALU_DEP_1)
	v_fmaak_f64 v[44:45], v[42:43], v[44:45], 0x3fc99999999952cc
	v_fmaak_f64 v[44:45], v[42:43], v[44:45], 0xbfd5555555555523
	s_delay_alu instid0(VALU_DEP_1) | instskip(SKIP_2) | instid1(VALU_DEP_3)
	v_mul_f64_e32 v[42:43], v[42:43], v[44:45]
	v_add_f64_e64 v[44:45], v[50:51], -v[52:53]
	v_add_f64_e64 v[46:47], v[54:55], -v[48:49]
	v_fmac_f64_e32 v[36:37], v[36:37], v[42:43]
	s_delay_alu instid0(VALU_DEP_3) | instskip(NEXT) | instid1(VALU_DEP_3)
	v_add_f64_e32 v[14:15], v[14:15], v[44:45]
	v_add_f64_e64 v[40:41], v[40:41], -v[46:47]
	s_delay_alu instid0(VALU_DEP_3) | instskip(NEXT) | instid1(VALU_DEP_1)
	v_add_f64_e64 v[42:43], -v[36:37], s[24:25]
	v_dual_add_f64 v[14:15], v[14:15], v[40:41] :: v_dual_cndmask_b32 v37, v37, v43, s0
	s_delay_alu instid0(VALU_DEP_2) | instskip(SKIP_2) | instid1(VALU_DEP_4)
	v_cndmask_b32_e64 v36, v36, v42, s0
	v_cmp_gt_i32_e64 s0, 0, v3
	v_and_b32_e32 v3, 0x400921fb, v8
	v_add_f64_e32 v[14:15], v[54:55], v[14:15]
	s_delay_alu instid0(VALU_DEP_4) | instskip(NEXT) | instid1(VALU_DEP_4)
	v_add_f64_e64 v[40:41], -v[36:37], s[26:27]
	v_cndmask_b32_e64 v12, 0x54442d18, v60, s0
	v_cndmask_b32_e64 v2, 0x3fe921fb, v61, s0
	s_delay_alu instid0(VALU_DEP_1) | instskip(SKIP_4) | instid1(VALU_DEP_2)
	v_bfi_b32 v2, 0x7fffffff, v2, v5
	v_dual_cndmask_b32 v15, v15, v39 :: v_dual_cndmask_b32 v14, v14, v38
	v_cmp_eq_f64_e32 vcc_lo, 0, v[4:5]
	v_dual_cndmask_b32 v21, v36, v40, s0 :: v_dual_cndmask_b32 v8, v37, v41, s0
	v_cmp_nge_f64_e64 s0, 0, v[38:39]
	v_dual_add_f64 v[14:15], 1.0, v[14:15] :: v_dual_cndmask_b32 v16, v21, v16, vcc_lo
	s_delay_alu instid0(VALU_DEP_3) | instskip(SKIP_1) | instid1(VALU_DEP_3)
	v_cndmask_b32_e32 v3, v8, v3, vcc_lo
	v_cmp_ngt_f64_e32 vcc_lo, 0, v[38:39]
	v_cndmask_b32_e64 v14, 0, v14, s0
	v_cmp_neq_f64_e64 s0, 0, v[38:39]
	v_cndmask_b32_e32 v8, 0x7ff80000, v15, vcc_lo
	s_and_b32 vcc_lo, s3, s1
	v_dual_cndmask_b32 v37, v3, v2 :: v_dual_cndmask_b32 v36, v16, v12
	s_delay_alu instid0(VALU_DEP_2)
	v_cndmask_b32_e64 v15, 0xfff00000, v8, s0
.LBB185_291:                            ;   in Loop: Header=BB185_162 Depth=1
	s_or_b32 exec_lo, exec_lo, s2
.LBB185_292:                            ;   in Loop: Header=BB185_162 Depth=1
	s_and_not1_saveexec_b32 s0, s33
	s_cbranch_execz .LBB185_161
; %bb.293:                              ;   in Loop: Header=BB185_162 Depth=1
	v_cmp_ngt_f64_e64 s1, 0x20000000, |v[2:3]|
	v_cmp_ngt_f64_e64 s2, 0x20000000, |v[4:5]|
                                        ; implicit-def: $vgpr38_vgpr39
	s_or_b32 s1, s1, s2
	s_delay_alu instid0(SALU_CYCLE_1) | instskip(NEXT) | instid1(SALU_CYCLE_1)
	s_and_saveexec_b32 s2, s1
	s_xor_b32 s1, exec_lo, s2
	s_cbranch_execz .LBB185_295
; %bb.294:                              ;   in Loop: Header=BB185_162 Depth=1
	v_mul_f64_e32 v[38:39], v[4:5], v[4:5]
	s_delay_alu instid0(VALU_DEP_1)
	v_fmac_f64_e32 v[38:39], v[2:3], v[2:3]
.LBB185_295:                            ;   in Loop: Header=BB185_162 Depth=1
	s_and_not1_saveexec_b32 s1, s1
	s_cbranch_execz .LBB185_160
; %bb.296:                              ;   in Loop: Header=BB185_162 Depth=1
	v_mul_f64_e32 v[14:15], 4.0, v[4:5]
	v_mul_f64_e32 v[2:3], 4.0, v[2:3]
	s_delay_alu instid0(VALU_DEP_2) | instskip(NEXT) | instid1(VALU_DEP_1)
	v_mul_f64_e32 v[14:15], v[14:15], v[14:15]
	v_fmac_f64_e32 v[14:15], v[2:3], v[2:3]
	s_delay_alu instid0(VALU_DEP_1)
	v_ldexp_f64 v[38:39], v[14:15], -4
	s_branch .LBB185_160
.LBB185_297:
	s_sendmsg sendmsg(MSG_DEALLOC_VGPRS)
	s_endpgm
	.section	.rodata,"a",@progbits
	.p2align	6, 0x0
	.amdhsa_kernel _ZN2at6native12_GLOBAL__N_125multi_tensor_apply_kernelINS1_18TensorListMetadataILi1EEENS1_14UnaryOpFunctorIN3c107complexIdEELi1ELi1ELi0EEEJNS0_5Log10IS8_EEEEEvT_T0_DpT1_
		.amdhsa_group_segment_fixed_size 0
		.amdhsa_private_segment_fixed_size 0
		.amdhsa_kernarg_size 3632
		.amdhsa_user_sgpr_count 2
		.amdhsa_user_sgpr_dispatch_ptr 0
		.amdhsa_user_sgpr_queue_ptr 0
		.amdhsa_user_sgpr_kernarg_segment_ptr 1
		.amdhsa_user_sgpr_dispatch_id 0
		.amdhsa_user_sgpr_kernarg_preload_length 0
		.amdhsa_user_sgpr_kernarg_preload_offset 0
		.amdhsa_user_sgpr_private_segment_size 0
		.amdhsa_wavefront_size32 1
		.amdhsa_uses_dynamic_stack 0
		.amdhsa_enable_private_segment 0
		.amdhsa_system_sgpr_workgroup_id_x 1
		.amdhsa_system_sgpr_workgroup_id_y 0
		.amdhsa_system_sgpr_workgroup_id_z 0
		.amdhsa_system_sgpr_workgroup_info 0
		.amdhsa_system_vgpr_workitem_id 0
		.amdhsa_next_free_vgpr 94
		.amdhsa_next_free_sgpr 61
		.amdhsa_named_barrier_count 0
		.amdhsa_reserve_vcc 1
		.amdhsa_float_round_mode_32 0
		.amdhsa_float_round_mode_16_64 0
		.amdhsa_float_denorm_mode_32 3
		.amdhsa_float_denorm_mode_16_64 3
		.amdhsa_fp16_overflow 0
		.amdhsa_memory_ordered 1
		.amdhsa_forward_progress 1
		.amdhsa_inst_pref_size 255
		.amdhsa_round_robin_scheduling 0
		.amdhsa_exception_fp_ieee_invalid_op 0
		.amdhsa_exception_fp_denorm_src 0
		.amdhsa_exception_fp_ieee_div_zero 0
		.amdhsa_exception_fp_ieee_overflow 0
		.amdhsa_exception_fp_ieee_underflow 0
		.amdhsa_exception_fp_ieee_inexact 0
		.amdhsa_exception_int_div_zero 0
	.end_amdhsa_kernel
	.section	.text._ZN2at6native12_GLOBAL__N_125multi_tensor_apply_kernelINS1_18TensorListMetadataILi1EEENS1_14UnaryOpFunctorIN3c107complexIdEELi1ELi1ELi0EEEJNS0_5Log10IS8_EEEEEvT_T0_DpT1_,"axG",@progbits,_ZN2at6native12_GLOBAL__N_125multi_tensor_apply_kernelINS1_18TensorListMetadataILi1EEENS1_14UnaryOpFunctorIN3c107complexIdEELi1ELi1ELi0EEEJNS0_5Log10IS8_EEEEEvT_T0_DpT1_,comdat
.Lfunc_end185:
	.size	_ZN2at6native12_GLOBAL__N_125multi_tensor_apply_kernelINS1_18TensorListMetadataILi1EEENS1_14UnaryOpFunctorIN3c107complexIdEELi1ELi1ELi0EEEJNS0_5Log10IS8_EEEEEvT_T0_DpT1_, .Lfunc_end185-_ZN2at6native12_GLOBAL__N_125multi_tensor_apply_kernelINS1_18TensorListMetadataILi1EEENS1_14UnaryOpFunctorIN3c107complexIdEELi1ELi1ELi0EEEJNS0_5Log10IS8_EEEEEvT_T0_DpT1_
                                        ; -- End function
	.set _ZN2at6native12_GLOBAL__N_125multi_tensor_apply_kernelINS1_18TensorListMetadataILi1EEENS1_14UnaryOpFunctorIN3c107complexIdEELi1ELi1ELi0EEEJNS0_5Log10IS8_EEEEEvT_T0_DpT1_.num_vgpr, 94
	.set _ZN2at6native12_GLOBAL__N_125multi_tensor_apply_kernelINS1_18TensorListMetadataILi1EEENS1_14UnaryOpFunctorIN3c107complexIdEELi1ELi1ELi0EEEJNS0_5Log10IS8_EEEEEvT_T0_DpT1_.num_agpr, 0
	.set _ZN2at6native12_GLOBAL__N_125multi_tensor_apply_kernelINS1_18TensorListMetadataILi1EEENS1_14UnaryOpFunctorIN3c107complexIdEELi1ELi1ELi0EEEJNS0_5Log10IS8_EEEEEvT_T0_DpT1_.numbered_sgpr, 61
	.set _ZN2at6native12_GLOBAL__N_125multi_tensor_apply_kernelINS1_18TensorListMetadataILi1EEENS1_14UnaryOpFunctorIN3c107complexIdEELi1ELi1ELi0EEEJNS0_5Log10IS8_EEEEEvT_T0_DpT1_.num_named_barrier, 0
	.set _ZN2at6native12_GLOBAL__N_125multi_tensor_apply_kernelINS1_18TensorListMetadataILi1EEENS1_14UnaryOpFunctorIN3c107complexIdEELi1ELi1ELi0EEEJNS0_5Log10IS8_EEEEEvT_T0_DpT1_.private_seg_size, 0
	.set _ZN2at6native12_GLOBAL__N_125multi_tensor_apply_kernelINS1_18TensorListMetadataILi1EEENS1_14UnaryOpFunctorIN3c107complexIdEELi1ELi1ELi0EEEJNS0_5Log10IS8_EEEEEvT_T0_DpT1_.uses_vcc, 1
	.set _ZN2at6native12_GLOBAL__N_125multi_tensor_apply_kernelINS1_18TensorListMetadataILi1EEENS1_14UnaryOpFunctorIN3c107complexIdEELi1ELi1ELi0EEEJNS0_5Log10IS8_EEEEEvT_T0_DpT1_.uses_flat_scratch, 0
	.set _ZN2at6native12_GLOBAL__N_125multi_tensor_apply_kernelINS1_18TensorListMetadataILi1EEENS1_14UnaryOpFunctorIN3c107complexIdEELi1ELi1ELi0EEEJNS0_5Log10IS8_EEEEEvT_T0_DpT1_.has_dyn_sized_stack, 0
	.set _ZN2at6native12_GLOBAL__N_125multi_tensor_apply_kernelINS1_18TensorListMetadataILi1EEENS1_14UnaryOpFunctorIN3c107complexIdEELi1ELi1ELi0EEEJNS0_5Log10IS8_EEEEEvT_T0_DpT1_.has_recursion, 0
	.set _ZN2at6native12_GLOBAL__N_125multi_tensor_apply_kernelINS1_18TensorListMetadataILi1EEENS1_14UnaryOpFunctorIN3c107complexIdEELi1ELi1ELi0EEEJNS0_5Log10IS8_EEEEEvT_T0_DpT1_.has_indirect_call, 0
	.section	.AMDGPU.csdata,"",@progbits
; Kernel info:
; codeLenInByte = 91624
; TotalNumSgprs: 63
; NumVgprs: 94
; ScratchSize: 0
; MemoryBound: 1
; FloatMode: 240
; IeeeMode: 1
; LDSByteSize: 0 bytes/workgroup (compile time only)
; SGPRBlocks: 0
; VGPRBlocks: 5
; NumSGPRsForWavesPerEU: 63
; NumVGPRsForWavesPerEU: 94
; NamedBarCnt: 0
; Occupancy: 10
; WaveLimiterHint : 0
; COMPUTE_PGM_RSRC2:SCRATCH_EN: 0
; COMPUTE_PGM_RSRC2:USER_SGPR: 2
; COMPUTE_PGM_RSRC2:TRAP_HANDLER: 0
; COMPUTE_PGM_RSRC2:TGID_X_EN: 1
; COMPUTE_PGM_RSRC2:TGID_Y_EN: 0
; COMPUTE_PGM_RSRC2:TGID_Z_EN: 0
; COMPUTE_PGM_RSRC2:TIDIG_COMP_CNT: 0
	.section	.text._ZN2at6native12_GLOBAL__N_125multi_tensor_apply_kernelINS1_18TensorListMetadataILi1EEENS1_14UnaryOpFunctorIN3c107complexIfEELi1ELi1ELi0EEEJNS0_5Log10IS8_EEEEEvT_T0_DpT1_,"axG",@progbits,_ZN2at6native12_GLOBAL__N_125multi_tensor_apply_kernelINS1_18TensorListMetadataILi1EEENS1_14UnaryOpFunctorIN3c107complexIfEELi1ELi1ELi0EEEJNS0_5Log10IS8_EEEEEvT_T0_DpT1_,comdat
	.globl	_ZN2at6native12_GLOBAL__N_125multi_tensor_apply_kernelINS1_18TensorListMetadataILi1EEENS1_14UnaryOpFunctorIN3c107complexIfEELi1ELi1ELi0EEEJNS0_5Log10IS8_EEEEEvT_T0_DpT1_ ; -- Begin function _ZN2at6native12_GLOBAL__N_125multi_tensor_apply_kernelINS1_18TensorListMetadataILi1EEENS1_14UnaryOpFunctorIN3c107complexIfEELi1ELi1ELi0EEEJNS0_5Log10IS8_EEEEEvT_T0_DpT1_
	.p2align	8
	.type	_ZN2at6native12_GLOBAL__N_125multi_tensor_apply_kernelINS1_18TensorListMetadataILi1EEENS1_14UnaryOpFunctorIN3c107complexIfEELi1ELi1ELi0EEEJNS0_5Log10IS8_EEEEEvT_T0_DpT1_,@function
_ZN2at6native12_GLOBAL__N_125multi_tensor_apply_kernelINS1_18TensorListMetadataILi1EEENS1_14UnaryOpFunctorIN3c107complexIfEELi1ELi1ELi0EEEJNS0_5Log10IS8_EEEEEvT_T0_DpT1_: ; @_ZN2at6native12_GLOBAL__N_125multi_tensor_apply_kernelINS1_18TensorListMetadataILi1EEENS1_14UnaryOpFunctorIN3c107complexIfEELi1ELi1ELi0EEEJNS0_5Log10IS8_EEEEEvT_T0_DpT1_
; %bb.0:
	s_bfe_u32 s2, ttmp6, 0x4000c
	s_and_b32 s3, ttmp6, 15
	s_add_co_i32 s2, s2, 1
	s_getreg_b32 s4, hwreg(HW_REG_IB_STS2, 6, 4)
	s_mul_i32 s2, ttmp9, s2
	s_delay_alu instid0(SALU_CYCLE_1)
	s_add_co_i32 s3, s3, s2
	s_cmp_eq_u32 s4, 0
	s_cselect_b32 s2, ttmp9, s3
	s_mov_b32 s3, 0
	s_load_u8 s12, s[0:1], s2 offset:0x6e0
	s_add_nc_u64 s[4:5], s[0:1], s[2:3]
	s_mul_u64 s[6:7], s[2:3], 3
	s_delay_alu instid0(SALU_CYCLE_1)
	s_add_nc_u64 s[4:5], s[4:5], s[6:7]
	s_load_b32 s6, s[4:5], 0x820
	s_wait_kmcnt 0x0
	s_clause 0x1
	s_load_b64 s[8:9], s[0:1], s12 offset:0x0 scale_offset
	s_load_b64 s[10:11], s[0:1], s12 offset:0x370 scale_offset
	s_ashr_i32 s7, s6, 31
	s_delay_alu instid0(SALU_CYCLE_1) | instskip(SKIP_3) | instid1(SALU_CYCLE_1)
	s_lshl_b64 s[4:5], s[6:7], 19
	s_wait_kmcnt 0x0
	s_and_b32 s2, s10, 3
	s_add_nc_u64 s[14:15], s[8:9], s[4:5]
	s_and_b64 s[4:5], s[14:15], 31
	s_delay_alu instid0(SALU_CYCLE_1)
	s_or_b64 s[2:3], s[4:5], s[2:3]
	s_lshl_b64 s[4:5], s[6:7], 16
	s_cmp_eq_u64 s[2:3], 0
	s_sub_nc_u64 s[16:17], s[10:11], s[4:5]
	s_cbranch_scc1 .LBB186_157
; %bb.1:
	v_cmp_lt_i64_e64 s2, s[16:17], 1
	s_and_b32 vcc_lo, exec_lo, s2
	s_cbranch_vccnz .LBB186_156
; %bb.2:
	v_min_i64 v[2:3], 0x10000, s[16:17]
	v_min_u64 v[4:5], 0x10000, s[16:17]
	s_load_b32 s2, s[0:1], 0xd3c
	v_mov_b64_e32 v[6:7], 0x3f800000bf800000
	v_dual_mov_b32 v1, 0 :: v_dual_mov_b32 v8, 0x3f317218
	v_mov_b32_e32 v32, 0x4016cbe4
	s_mov_b32 s19, 0
	s_mov_b64 s[26:27], 0
	s_mov_b32 s21, s19
	s_mov_b32 s23, s19
	;; [unrolled: 1-line block ×5, first 2 shown]
	s_wait_kmcnt 0x0
	s_and_b32 s18, s2, 0xffff
	s_delay_alu instid0(SALU_CYCLE_1)
	s_lshl_b32 s20, s18, 1
	s_mul_i32 s22, s18, 3
	s_lshl_b32 s24, s18, 2
	s_branch .LBB186_4
.LBB186_3:                              ;   in Loop: Header=BB186_4 Depth=1
	s_wait_xcnt 0x0
	s_or_b32 exec_lo, exec_lo, s3
	s_add_nc_u64 s[26:27], s[26:27], s[24:25]
	s_delay_alu instid0(SALU_CYCLE_1)
	v_cmp_ge_i64_e32 vcc_lo, s[26:27], v[2:3]
	s_cbranch_vccnz .LBB186_156
.LBB186_4:                              ; =>This Loop Header: Depth=1
                                        ;     Child Loop BB186_23 Depth 2
                                        ;     Child Loop BB186_57 Depth 2
                                        ;     Child Loop BB186_91 Depth 2
                                        ;     Child Loop BB186_130 Depth 2
	v_add_nc_u64_e32 v[10:11], s[26:27], v[0:1]
	v_dual_mov_b32 v24, 0 :: v_dual_mov_b32 v25, 0
	s_delay_alu instid0(VALU_DEP_2)
	v_cmp_lt_u64_e64 s5, v[10:11], v[4:5]
	v_lshl_add_u64 v[20:21], v[10:11], 3, s[14:15]
	s_and_saveexec_b32 s2, s5
	s_cbranch_execz .LBB186_6
; %bb.5:                                ;   in Loop: Header=BB186_4 Depth=1
	global_load_b64 v[24:25], v[20:21], off
.LBB186_6:                              ;   in Loop: Header=BB186_4 Depth=1
	s_wait_xcnt 0x0
	s_or_b32 exec_lo, exec_lo, s2
	v_add_nc_u64_e32 v[12:13], s[18:19], v[10:11]
	v_dual_mov_b32 v16, 0 :: v_dual_mov_b32 v22, 0
	v_mov_b32_e32 v23, 0
	s_delay_alu instid0(VALU_DEP_3)
	v_cmp_lt_u64_e64 s4, v[12:13], v[4:5]
	v_lshl_add_u64 v[18:19], v[12:13], 3, s[14:15]
	s_and_saveexec_b32 s2, s4
	s_cbranch_execz .LBB186_8
; %bb.7:                                ;   in Loop: Header=BB186_4 Depth=1
	global_load_b64 v[22:23], v[18:19], off
.LBB186_8:                              ;   in Loop: Header=BB186_4 Depth=1
	s_wait_xcnt 0x0
	s_or_b32 exec_lo, exec_lo, s2
	v_add_nc_u64_e32 v[12:13], s[20:21], v[10:11]
	v_mov_b32_e32 v17, 0
	s_delay_alu instid0(VALU_DEP_2)
	v_cmp_lt_u64_e64 s3, v[12:13], v[4:5]
	v_lshl_add_u64 v[12:13], v[12:13], 3, s[14:15]
	s_and_saveexec_b32 s2, s3
	s_cbranch_execz .LBB186_10
; %bb.9:                                ;   in Loop: Header=BB186_4 Depth=1
	global_load_b64 v[16:17], v[12:13], off
.LBB186_10:                             ;   in Loop: Header=BB186_4 Depth=1
	s_wait_xcnt 0x0
	s_or_b32 exec_lo, exec_lo, s2
	v_add_nc_u64_e32 v[10:11], s[22:23], v[10:11]
	v_mov_b32_e32 v14, 0
	s_delay_alu instid0(VALU_DEP_1) | instskip(NEXT) | instid1(VALU_DEP_3)
	v_mov_b32_e32 v15, v14
	v_cmp_lt_u64_e64 s2, v[10:11], v[4:5]
	v_lshl_add_u64 v[10:11], v[10:11], 3, s[14:15]
	s_and_saveexec_b32 s6, s2
	s_cbranch_execz .LBB186_12
; %bb.11:                               ;   in Loop: Header=BB186_4 Depth=1
	global_load_b64 v[14:15], v[10:11], off
.LBB186_12:                             ;   in Loop: Header=BB186_4 Depth=1
	s_wait_xcnt 0x0
	s_or_b32 exec_lo, exec_lo, s6
                                        ; implicit-def: $vgpr33
                                        ; implicit-def: $vgpr34
	s_delay_alu instid0(SALU_CYCLE_1)
	s_mov_b32 s6, exec_lo
	s_wait_loadcnt 0x0
	v_cmpx_o_f32_e32 v25, v24
	s_xor_b32 s30, exec_lo, s6
	s_cbranch_execz .LBB186_40
; %bb.13:                               ;   in Loop: Header=BB186_4 Depth=1
	v_cmp_lt_f32_e64 s6, |v24|, |v25|
                                        ; implicit-def: $vgpr33
                                        ; implicit-def: $vgpr34
	s_mov_b32 s8, exec_lo
	v_cndmask_b32_e64 v9, v25, v24, s6
	s_delay_alu instid0(VALU_DEP_1)
	v_cmpx_nlt_f32_e64 0x77f684df, |v9|
	s_xor_b32 s31, exec_lo, s8
	s_cbranch_execz .LBB186_37
; %bb.14:                               ;   in Loop: Header=BB186_4 Depth=1
	v_cndmask_b32_e64 v26, v24, v25, s6
                                        ; implicit-def: $vgpr33
                                        ; implicit-def: $vgpr34
	s_mov_b32 s7, exec_lo
	s_delay_alu instid0(VALU_DEP_1) | instskip(SKIP_1) | instid1(VALU_DEP_2)
	v_and_b32_e32 v27, 0x7fffffff, v26
	v_and_b32_e32 v26, 0x7fffffff, v9
	v_cmpx_neq_f32_e32 1.0, v27
	s_xor_b32 s33, exec_lo, s7
	s_cbranch_execz .LBB186_30
; %bb.15:                               ;   in Loop: Header=BB186_4 Depth=1
	s_delay_alu instid0(VALU_DEP_2) | instskip(NEXT) | instid1(VALU_DEP_1)
	v_dual_max_num_f32 v9, v26, v26 :: v_dual_max_num_f32 v28, v27, v27
                                        ; implicit-def: $vgpr33
                                        ; implicit-def: $vgpr34
	v_dual_min_num_f32 v29, v28, v9 :: v_dual_max_num_f32 v9, v28, v9
	s_delay_alu instid0(VALU_DEP_1) | instskip(NEXT) | instid1(VALU_DEP_2)
	v_cmp_ngt_f32_e32 vcc_lo, 0x358637bd, v29
	v_cmp_nlt_f32_e64 s7, 0x49742400, v9
	s_and_b32 s7, s7, vcc_lo
	s_delay_alu instid0(SALU_CYCLE_1) | instskip(NEXT) | instid1(SALU_CYCLE_1)
	s_and_saveexec_b32 s8, s7
	s_xor_b32 s34, exec_lo, s8
	s_cbranch_execz .LBB186_27
; %bb.16:                               ;   in Loop: Header=BB186_4 Depth=1
                                        ; implicit-def: $vgpr33
                                        ; implicit-def: $vgpr34
	s_mov_b32 s7, exec_lo
	v_cmpx_le_f32_e32 1.0, v27
	s_xor_b32 s8, exec_lo, s7
	s_cbranch_execz .LBB186_18
; %bb.17:                               ;   in Loop: Header=BB186_4 Depth=1
	v_pk_add_f32 v[28:29], v[26:27], v[6:7] op_sel:[1,0]
	v_mov_b32_e32 v30, v26
	v_cmp_class_f32_e64 s9, v24, 0x204
	s_delay_alu instid0(VALU_DEP_3) | instskip(SKIP_1) | instid1(VALU_DEP_1)
	v_dual_mov_b32 v27, v28 :: v_dual_mov_b32 v31, v29
	v_mul_f32_e32 v28, v28, v29
	v_pk_fma_f32 v[26:27], v[26:27], v[30:31], v[28:29] op_sel_hi:[1,1,0]
	s_delay_alu instid0(VALU_DEP_1) | instskip(SKIP_1) | instid1(VALU_DEP_2)
	v_add_f32_e32 v29, 1.0, v26
	v_cmp_neq_f32_e64 s7, -1.0, v26
	v_frexp_mant_f32_e32 v28, v29
	v_add_f32_e32 v27, -1.0, v29
	s_delay_alu instid0(VALU_DEP_2) | instskip(NEXT) | instid1(VALU_DEP_2)
	v_cmp_gt_f32_e32 vcc_lo, 0x3f2aaaab, v28
	v_mov_b32_e32 v28, v27
	v_cvt_f64_f32_e32 v[30:31], v29
	s_delay_alu instid0(VALU_DEP_1) | instskip(NEXT) | instid1(VALU_DEP_3)
	v_frexp_exp_i32_f64_e32 v9, v[30:31]
	v_pk_add_f32 v[30:31], v[26:27], v[28:29] neg_lo:[0,1] neg_hi:[0,1]
	s_delay_alu instid0(VALU_DEP_1) | instskip(NEXT) | instid1(VALU_DEP_3)
	v_add_f32_e32 v28, 1.0, v31
	v_subrev_co_ci_u32_e64 v9, null, 0, v9, vcc_lo
	v_cmp_neq_f32_e32 vcc_lo, 0x7f800000, v26
	s_delay_alu instid0(VALU_DEP_2) | instskip(NEXT) | instid1(VALU_DEP_1)
	v_sub_nc_u32_e32 v33, 0, v9
	v_ldexp_f32 v27, v29, v33
	s_delay_alu instid0(VALU_DEP_1) | instskip(NEXT) | instid1(VALU_DEP_1)
	v_dual_add_f32 v31, 1.0, v27 :: v_dual_add_f32 v28, v30, v28
	v_add_f32_e32 v29, -1.0, v31
	v_add_f32_e32 v35, -1.0, v27
	s_delay_alu instid0(VALU_DEP_3) | instskip(NEXT) | instid1(VALU_DEP_2)
	v_ldexp_f32 v28, v28, v33
	v_dual_sub_f32 v29, v27, v29 :: v_dual_add_f32 v30, 1.0, v35
	s_delay_alu instid0(VALU_DEP_1) | instskip(NEXT) | instid1(VALU_DEP_1)
	v_add_f32_e32 v33, v28, v29
	v_add_f32_e32 v36, v31, v33
	s_delay_alu instid0(VALU_DEP_1) | instskip(NEXT) | instid1(VALU_DEP_3)
	v_rcp_f32_e32 v37, v36
	v_sub_f32_e32 v27, v27, v30
	s_delay_alu instid0(VALU_DEP_1) | instskip(NEXT) | instid1(VALU_DEP_1)
	v_add_f32_e32 v27, v28, v27
	v_add_f32_e32 v29, v35, v27
	s_delay_alu instid0(TRANS32_DEP_1) | instid1(VALU_DEP_1)
	v_mul_f32_e32 v38, v29, v37
	s_delay_alu instid0(VALU_DEP_1) | instskip(NEXT) | instid1(VALU_DEP_1)
	v_dual_mul_f32 v30, v36, v38 :: v_dual_sub_f32 v28, v36, v31
	v_fma_f32 v34, v38, v36, -v30
	s_delay_alu instid0(VALU_DEP_2) | instskip(NEXT) | instid1(VALU_DEP_1)
	v_sub_f32_e32 v33, v33, v28
	v_fmac_f32_e32 v34, v38, v33
	s_delay_alu instid0(VALU_DEP_1) | instskip(NEXT) | instid1(VALU_DEP_1)
	v_dual_add_f32 v28, v30, v34 :: v_dual_sub_f32 v39, v29, v35
	v_dual_mov_b32 v35, v28 :: v_dual_sub_f32 v31, v29, v28
	s_delay_alu instid0(VALU_DEP_2) | instskip(NEXT) | instid1(VALU_DEP_2)
	v_sub_f32_e32 v27, v27, v39
	v_pk_add_f32 v[28:29], v[28:29], v[30:31] neg_lo:[0,1] neg_hi:[0,1]
	s_delay_alu instid0(VALU_DEP_1) | instskip(NEXT) | instid1(VALU_DEP_1)
	v_pk_add_f32 v[28:29], v[28:29], v[34:35] neg_lo:[0,1] neg_hi:[0,1]
	v_add_f32_e32 v27, v27, v29
	s_delay_alu instid0(VALU_DEP_1) | instskip(NEXT) | instid1(VALU_DEP_1)
	v_add_f32_e32 v27, v28, v27
	v_add_f32_e32 v29, v31, v27
	s_delay_alu instid0(VALU_DEP_1) | instskip(NEXT) | instid1(VALU_DEP_1)
	v_mul_f32_e32 v39, v37, v29
	v_mul_f32_e32 v34, v36, v39
	s_delay_alu instid0(VALU_DEP_1) | instskip(NEXT) | instid1(VALU_DEP_1)
	v_fma_f32 v30, v39, v36, -v34
	v_fmac_f32_e32 v30, v39, v33
	s_delay_alu instid0(VALU_DEP_1) | instskip(NEXT) | instid1(VALU_DEP_1)
	v_dual_add_f32 v28, v34, v30 :: v_dual_sub_f32 v33, v31, v29
	v_dual_mov_b32 v31, v28 :: v_dual_sub_f32 v35, v29, v28
	s_delay_alu instid0(VALU_DEP_2) | instskip(NEXT) | instid1(VALU_DEP_2)
	v_dual_add_f32 v27, v27, v33 :: v_dual_add_f32 v33, v38, v39
	v_pk_add_f32 v[28:29], v[28:29], v[34:35] neg_lo:[0,1] neg_hi:[0,1]
	s_delay_alu instid0(VALU_DEP_1) | instskip(NEXT) | instid1(VALU_DEP_1)
	v_pk_add_f32 v[28:29], v[28:29], v[30:31] neg_lo:[0,1] neg_hi:[0,1]
	v_add_f32_e32 v27, v27, v29
	s_delay_alu instid0(VALU_DEP_1) | instskip(NEXT) | instid1(VALU_DEP_1)
	v_dual_add_f32 v27, v28, v27 :: v_dual_sub_f32 v28, v33, v38
	v_sub_f32_e32 v28, v39, v28
	s_delay_alu instid0(VALU_DEP_2) | instskip(NEXT) | instid1(VALU_DEP_1)
	v_add_f32_e32 v27, v35, v27
	v_mul_f32_e32 v27, v37, v27
	s_delay_alu instid0(VALU_DEP_1) | instskip(SKIP_1) | instid1(VALU_DEP_2)
	v_add_f32_e32 v27, v28, v27
	v_cvt_f32_i32_e32 v28, v9
	v_add_f32_e32 v36, v33, v27
	s_delay_alu instid0(VALU_DEP_1) | instskip(NEXT) | instid1(VALU_DEP_1)
	v_mul_f32_e32 v30, v36, v36
	v_fmaak_f32 v31, s28, v30, 0x3ecc95a3
	v_mul_f32_e32 v29, v36, v30
	v_ldexp_f32 v35, v36, 1
	s_delay_alu instid0(VALU_DEP_3) | instskip(NEXT) | instid1(VALU_DEP_1)
	v_fmaak_f32 v9, v30, v31, 0x3f2aaada
	v_pk_mul_f32 v[30:31], v[28:29], v[8:9]
	s_delay_alu instid0(VALU_DEP_1) | instskip(NEXT) | instid1(VALU_DEP_1)
	v_fma_f32 v34, 0x3f317218, v28, -v30
	v_fmac_f32_e32 v34, 0xb102e308, v28
	s_delay_alu instid0(VALU_DEP_1) | instskip(SKIP_1) | instid1(VALU_DEP_1)
	v_pk_add_f32 v[28:29], v[30:31], v[34:35]
	v_dual_sub_f32 v9, v36, v33 :: v_dual_mov_b32 v36, v30
	v_dual_mov_b32 v44, v29 :: v_dual_sub_f32 v9, v27, v9
	s_delay_alu instid0(VALU_DEP_3) | instskip(NEXT) | instid1(VALU_DEP_2)
	v_dual_sub_f32 v27, v29, v35 :: v_dual_mov_b32 v35, v28
	v_ldexp_f32 v9, v9, 1
	s_delay_alu instid0(VALU_DEP_2) | instskip(SKIP_1) | instid1(VALU_DEP_2)
	v_sub_f32_e32 v27, v31, v27
	v_pk_add_f32 v[30:31], v[28:29], v[30:31] neg_lo:[0,1] neg_hi:[0,1]
	v_add_f32_e32 v37, v9, v27
	v_max_num_f32_e64 v9, |v25|, |v25|
	v_max_num_f32_e64 v27, |v24|, |v24|
	s_delay_alu instid0(VALU_DEP_3) | instskip(NEXT) | instid1(VALU_DEP_2)
	v_pk_add_f32 v[38:39], v[28:29], v[36:37]
	v_dual_max_num_f32 v33, v27, v9 :: v_dual_min_num_f32 v9, v27, v9
	s_delay_alu instid0(VALU_DEP_2) | instskip(NEXT) | instid1(VALU_DEP_2)
	v_mov_b32_e32 v31, v39
	v_frexp_exp_i32_f32_e32 v27, v33
	s_delay_alu instid0(VALU_DEP_3) | instskip(SKIP_1) | instid1(VALU_DEP_4)
	v_frexp_mant_f32_e32 v46, v9
	v_frexp_mant_f32_e32 v33, v33
	v_pk_add_f32 v[40:41], v[34:35], v[30:31]
	v_frexp_exp_i32_f32_e32 v40, v9
	v_pk_add_f32 v[30:31], v[34:35], v[30:31] neg_lo:[0,1] neg_hi:[0,1]
	s_delay_alu instid0(VALU_DEP_4) | instskip(NEXT) | instid1(VALU_DEP_2)
	v_rcp_f32_e32 v33, v33
	v_dual_mov_b32 v36, v41 :: v_dual_sub_nc_u32 v27, v40, v27
	s_delay_alu instid0(VALU_DEP_1) | instskip(SKIP_1) | instid1(VALU_DEP_2)
	v_pk_add_f32 v[42:43], v[36:37], v[28:29] neg_lo:[0,1] neg_hi:[0,1]
	v_dual_mov_b32 v40, v39 :: v_dual_mov_b32 v29, v28
	v_dual_mov_b32 v28, v37 :: v_dual_mov_b32 v45, v42
	v_mov_b32_e32 v9, v42
	s_delay_alu instid0(VALU_DEP_2) | instskip(NEXT) | instid1(VALU_DEP_2)
	v_pk_add_f32 v[34:35], v[40:41], v[44:45] neg_lo:[0,1] neg_hi:[0,1]
	v_pk_add_f32 v[38:39], v[38:39], v[8:9] neg_lo:[0,1] neg_hi:[0,1]
	v_mov_b32_e32 v38, v30
	s_delay_alu instid0(VALU_DEP_3) | instskip(NEXT) | instid1(VALU_DEP_1)
	v_pk_add_f32 v[28:29], v[28:29], v[34:35] neg_lo:[0,1] neg_hi:[0,1]
	v_pk_add_f32 v[34:35], v[38:39], v[28:29]
	s_delay_alu instid0(VALU_DEP_1) | instskip(NEXT) | instid1(VALU_DEP_1)
	v_dual_mul_f32 v31, v46, v33 :: v_dual_mov_b32 v38, v35
	v_ldexp_f32 v9, v31, v27
	s_delay_alu instid0(VALU_DEP_2) | instskip(SKIP_1) | instid1(VALU_DEP_2)
	v_pk_add_f32 v[38:39], v[34:35], v[38:39]
	v_mov_b32_e32 v31, v41
	v_pk_add_f32 v[36:37], v[36:37], v[38:39]
	s_delay_alu instid0(VALU_DEP_1) | instskip(NEXT) | instid1(VALU_DEP_1)
	v_dual_mul_f32 v27, v9, v9 :: v_dual_mov_b32 v35, v36
	v_pk_add_f32 v[40:41], v[34:35], v[30:31] neg_lo:[0,1] neg_hi:[0,1]
	s_delay_alu instid0(VALU_DEP_1) | instskip(NEXT) | instid1(VALU_DEP_1)
	v_sub_f32_e32 v33, v34, v40
	v_dual_fmaak_f32 v29, s29, v27, 0xbc7a590c :: v_dual_sub_f32 v30, v30, v33
	s_delay_alu instid0(VALU_DEP_1) | instskip(NEXT) | instid1(VALU_DEP_1)
	v_fmaak_f32 v29, v27, v29, 0x3d29fb3f
	v_fmaak_f32 v29, v27, v29, 0xbd97d4d7
	s_delay_alu instid0(VALU_DEP_1) | instskip(NEXT) | instid1(VALU_DEP_1)
	v_fmaak_f32 v29, v27, v29, 0x3dd931b2
	v_fmaak_f32 v31, v27, v29, 0xbe1160e6
	v_mov_b32_e32 v29, v38
	s_delay_alu instid0(VALU_DEP_1) | instskip(NEXT) | instid1(VALU_DEP_1)
	v_pk_add_f32 v[28:29], v[28:29], v[40:41] neg_lo:[0,1] neg_hi:[0,1]
	v_add_f32_e32 v28, v28, v30
	s_delay_alu instid0(VALU_DEP_1) | instskip(NEXT) | instid1(VALU_DEP_1)
	v_dual_add_f32 v28, v28, v29 :: v_dual_fmaak_f32 v31, v27, v31, 0x3e4cb8bf
	v_fmaak_f32 v31, v27, v31, 0xbeaaaa62
	s_delay_alu instid0(VALU_DEP_1) | instskip(NEXT) | instid1(VALU_DEP_1)
	v_mul_f32_e32 v27, v27, v31
	v_dual_fmac_f32 v9, v9, v27 :: v_dual_add_f32 v27, v36, v28
	s_delay_alu instid0(VALU_DEP_1) | instskip(NEXT) | instid1(VALU_DEP_2)
	v_sub_f32_e32 v28, 0x3fc90fdb, v9
	v_cndmask_b32_e32 v27, 0x7f800000, v27, vcc_lo
	v_cmp_gt_i32_e32 vcc_lo, 0, v24
	s_delay_alu instid0(VALU_DEP_3) | instskip(SKIP_2) | instid1(VALU_DEP_3)
	v_cndmask_b32_e64 v9, v9, v28, s6
	v_cndmask_b32_e64 v28, 0, 0x40490fdb, vcc_lo
	v_cmp_ngt_f32_e32 vcc_lo, -1.0, v26
	v_sub_f32_e32 v29, 0x40490fdb, v9
	v_cndmask_b32_e32 v27, 0x7fc00000, v27, vcc_lo
	v_cmp_gt_f32_e32 vcc_lo, 0, v24
	s_delay_alu instid0(VALU_DEP_2) | instskip(NEXT) | instid1(VALU_DEP_4)
	v_cndmask_b32_e64 v24, 0xff800000, v27, s7
	v_cndmask_b32_e32 v9, v9, v29, vcc_lo
	v_cndmask_b32_e32 v27, 0x3f490fdb, v32, vcc_lo
	v_cmp_gt_f32_e64 vcc_lo, 0x33800000, |v26|
	v_cmp_class_f32_e64 s7, v25, 0x204
	v_cndmask_b32_e32 v24, v24, v26, vcc_lo
	v_cmp_eq_f32_e32 vcc_lo, 0, v25
	s_delay_alu instid0(VALU_DEP_2) | instskip(SKIP_2) | instid1(VALU_DEP_1)
	v_mul_f32_e32 v33, 0.5, v24
	v_cndmask_b32_e32 v9, v9, v28, vcc_lo
	s_and_b32 vcc_lo, s7, s9
	v_cndmask_b32_e32 v34, v9, v27, vcc_lo
                                        ; implicit-def: $vgpr26_vgpr27
.LBB186_18:                             ;   in Loop: Header=BB186_4 Depth=1
	s_and_not1_saveexec_b32 s35, s8
	s_cbranch_execz .LBB186_26
; %bb.19:                               ;   in Loop: Header=BB186_4 Depth=1
	v_pk_mul_f32 v[28:29], v[26:27], v[26:27]
                                        ; implicit-def: $vgpr33
                                        ; implicit-def: $vgpr34
	s_mov_b32 s7, exec_lo
	s_delay_alu instid0(VALU_DEP_1) | instskip(NEXT) | instid1(VALU_DEP_1)
	v_add_f32_e32 v9, v29, v28
	v_cmpx_ge_f32_e32 0x3f333333, v9
	s_xor_b32 s8, exec_lo, s7
	s_cbranch_execz .LBB186_21
; %bb.20:                               ;   in Loop: Header=BB186_4 Depth=1
	v_max_num_f32_e64 v26, |v25|, |v25|
	v_max_num_f32_e64 v27, |v24|, |v24|
	v_cmp_gt_f32_e32 vcc_lo, 0x800000, v9
	v_cmp_gt_i32_e64 s7, 0, v24
	v_cmp_class_f32_e64 s9, v24, 0x204
	v_cmp_class_f32_e64 s10, v25, 0x204
	v_dual_max_num_f32 v28, v27, v26 :: v_dual_min_num_f32 v26, v27, v26
	v_cndmask_b32_e64 v30, 0, 0x41b17218, vcc_lo
	s_delay_alu instid0(VALU_DEP_2) | instskip(SKIP_1) | instid1(VALU_DEP_2)
	v_frexp_mant_f32_e32 v29, v28
	v_frexp_exp_i32_f32_e32 v27, v28
	v_rcp_f32_e32 v28, v29
	v_nop
	v_frexp_exp_i32_f32_e32 v29, v26
	v_frexp_mant_f32_e32 v26, v26
	s_delay_alu instid0(TRANS32_DEP_1) | instid1(VALU_DEP_1)
	v_dual_mul_f32 v26, v26, v28 :: v_dual_sub_nc_u32 v27, v29, v27
	v_cndmask_b32_e64 v29, 0, 32, vcc_lo
	s_delay_alu instid0(VALU_DEP_2) | instskip(NEXT) | instid1(VALU_DEP_2)
	v_ldexp_f32 v26, v26, v27
	v_ldexp_f32 v9, v9, v29
	s_delay_alu instid0(VALU_DEP_1) | instskip(NEXT) | instid1(VALU_DEP_2)
	v_log_f32_e32 v9, v9
	v_mul_f32_e32 v27, v26, v26
	s_delay_alu instid0(VALU_DEP_1) | instskip(NEXT) | instid1(TRANS32_DEP_1)
	v_fmaak_f32 v28, s29, v27, 0xbc7a590c
	v_cmp_gt_f32_e64 vcc_lo, 0x7f800000, |v9|
	s_delay_alu instid0(VALU_DEP_2) | instskip(NEXT) | instid1(VALU_DEP_1)
	v_fmaak_f32 v28, v27, v28, 0x3d29fb3f
	v_fmaak_f32 v28, v27, v28, 0xbd97d4d7
	s_delay_alu instid0(VALU_DEP_1) | instskip(NEXT) | instid1(VALU_DEP_1)
	v_fmaak_f32 v28, v27, v28, 0x3dd931b2
	v_fmaak_f32 v28, v27, v28, 0xbe1160e6
	s_delay_alu instid0(VALU_DEP_1) | instskip(NEXT) | instid1(VALU_DEP_1)
	;; [unrolled: 3-line block ×3, first 2 shown]
	v_dual_mul_f32 v27, v27, v28 :: v_dual_mul_f32 v28, 0x3f317217, v9
	v_fmac_f32_e32 v26, v26, v27
	s_delay_alu instid0(VALU_DEP_2) | instskip(NEXT) | instid1(VALU_DEP_1)
	v_fma_f32 v27, 0x3f317217, v9, -v28
	v_fmac_f32_e32 v27, 0x3377d1cf, v9
	s_delay_alu instid0(VALU_DEP_3) | instskip(NEXT) | instid1(VALU_DEP_2)
	v_sub_f32_e32 v28, 0x3fc90fdb, v26
	v_fmac_f32_e32 v27, 0x3f317217, v9
	s_delay_alu instid0(VALU_DEP_2) | instskip(SKIP_2) | instid1(VALU_DEP_4)
	v_cndmask_b32_e64 v26, v26, v28, s6
	v_cndmask_b32_e64 v28, 0, 0x40490fdb, s7
	v_cmp_eq_f32_e64 s7, 0, v25
	v_cndmask_b32_e32 v9, v9, v27, vcc_lo
	s_delay_alu instid0(VALU_DEP_4) | instskip(SKIP_1) | instid1(VALU_DEP_2)
	v_sub_f32_e32 v29, 0x40490fdb, v26
	v_cmp_gt_f32_e32 vcc_lo, 0, v24
	v_dual_sub_f32 v9, v9, v30 :: v_dual_cndmask_b32 v26, v26, v29
	s_delay_alu instid0(VALU_DEP_1) | instskip(SKIP_2) | instid1(VALU_DEP_1)
	v_dual_mul_f32 v33, 0.5, v9 :: v_dual_cndmask_b32 v24, v26, v28, s7
	v_cndmask_b32_e32 v26, 0x3f490fdb, v32, vcc_lo
	s_and_b32 vcc_lo, s10, s9
	v_cndmask_b32_e32 v34, v24, v26, vcc_lo
                                        ; implicit-def: $vgpr26
.LBB186_21:                             ;   in Loop: Header=BB186_4 Depth=1
	s_and_not1_saveexec_b32 s36, s8
	s_cbranch_execz .LBB186_25
; %bb.22:                               ;   in Loop: Header=BB186_4 Depth=1
	v_and_b32_e32 v29, 0x7fff0000, v26
	v_and_b32_e32 v28, 0x7fff0000, v27
	s_mov_b32 s37, 0
	s_delay_alu instid0(VALU_DEP_1) | instskip(SKIP_2) | instid1(VALU_DEP_2)
	v_dual_add_f32 v38, v29, v29 :: v_dual_add_f32 v33, v28, v28
	v_pk_add_f32 v[30:31], v[26:27], v[28:29] op_sel:[1,0] op_sel_hi:[0,1] neg_lo:[0,1] neg_hi:[0,1]
	v_pk_mul_f32 v[26:27], v[28:29], v[28:29]
	v_and_b32_e32 v37, 0xffff0000, v31
	s_delay_alu instid0(VALU_DEP_3) | instskip(NEXT) | instid1(VALU_DEP_1)
	v_and_b32_e32 v36, 0xffff0000, v30
	v_dual_add_f32 v40, v37, v37 :: v_dual_add_f32 v39, v36, v36
	v_pk_add_f32 v[28:29], v[30:31], v[36:37] neg_lo:[0,1] neg_hi:[0,1]
	v_dual_mul_f32 v9, v33, v36 :: v_dual_mul_f32 v35, v38, v37
	v_pk_mul_f32 v[30:31], v[36:37], v[36:37]
	s_delay_alu instid0(VALU_DEP_3)
	v_dual_mul_f32 v34, v33, v28 :: v_dual_mul_f32 v37, v38, v29
	v_dual_mul_f32 v33, v39, v28 :: v_dual_mul_f32 v36, v40, v29
	v_pk_mul_f32 v[28:29], v[28:29], v[28:29]
.LBB186_23:                             ;   Parent Loop BB186_4 Depth=1
                                        ; =>  This Inner Loop Header: Depth=2
	v_cmp_nlt_f32_e32 vcc_lo, v26, v27
	v_dual_cndmask_b32 v38, v26, v27, vcc_lo :: v_dual_cndmask_b32 v26, v27, v26, vcc_lo
	s_delay_alu instid0(VALU_DEP_1) | instskip(NEXT) | instid1(VALU_DEP_1)
	v_cmp_nlt_f32_e64 s7, v38, v9
	v_dual_cndmask_b32 v39, v38, v9, s7 :: v_dual_cndmask_b32 v27, v9, v38, s7
	s_and_b32 s7, vcc_lo, s7
	s_delay_alu instid0(VALU_DEP_1) | instskip(NEXT) | instid1(VALU_DEP_1)
	v_cmp_nlt_f32_e64 s8, v39, v35
	v_cndmask_b32_e64 v40, v39, v35, s8
	v_cndmask_b32_e64 v9, v35, v39, s8
	s_delay_alu instid0(VALU_DEP_2) | instskip(NEXT) | instid1(VALU_DEP_1)
	v_cmp_nlt_f32_e64 s9, v40, v30
	v_cndmask_b32_e64 v38, v40, v30, s9
	s_and_b32 s38, s8, s9
	s_delay_alu instid0(VALU_DEP_1) | instskip(NEXT) | instid1(VALU_DEP_1)
	v_cmp_nlt_f32_e64 s10, v38, v31
	v_cndmask_b32_e64 v39, v38, v31, s10
	s_delay_alu instid0(VALU_DEP_1) | instskip(NEXT) | instid1(VALU_DEP_1)
	v_cmp_nlt_f32_e64 s11, v39, v34
	v_dual_cndmask_b32 v41, v39, v34, s11 :: v_dual_cndmask_b32 v35, v30, v40, s9
	v_cndmask_b32_e64 v30, v31, v38, s10
	s_and_b32 s10, s10, s11
	s_delay_alu instid0(VALU_DEP_2) | instskip(NEXT) | instid1(VALU_DEP_1)
	v_cmp_nlt_f32_e64 s12, v41, v37
	v_dual_cndmask_b32 v42, v41, v37, s12 :: v_dual_cndmask_b32 v31, v34, v39, s11
	v_cndmask_b32_e64 v34, v37, v41, s12
	s_and_b32 s10, s10, s12
	s_delay_alu instid0(VALU_DEP_2) | instskip(NEXT) | instid1(VALU_DEP_1)
	v_cmp_nlt_f32_e64 s13, v42, v33
	v_dual_cndmask_b32 v40, v42, v33, s13 :: v_dual_cndmask_b32 v37, v33, v42, s13
	s_and_b32 s11, s10, s13
	s_delay_alu instid0(VALU_DEP_1) | instskip(NEXT) | instid1(VALU_DEP_1)
	v_cmp_nlt_f32_e64 s8, v40, v36
	v_cndmask_b32_e64 v38, v40, v36, s8
	s_delay_alu instid0(VALU_DEP_1) | instskip(NEXT) | instid1(VALU_DEP_1)
	v_cmp_nlt_f32_e64 s9, v38, v28
	v_cndmask_b32_e64 v39, v38, v28, s9
	v_cndmask_b32_e64 v33, v36, v40, s8
	;; [unrolled: 1-line block ×3, first 2 shown]
	s_and_b32 s8, s11, s8
	s_delay_alu instid0(SALU_CYCLE_1)
	s_and_b32 s8, s8, s9
	v_cmp_nlt_f32_e64 s10, v39, v29
	s_and_b32 s8, s8, s10
	v_cndmask_b32_e64 v28, v29, v39, s10
	s_and_b32 s8, s8, s38
	v_cndmask_b32_e64 v29, v39, v29, s10
	s_and_b32 s7, s8, s7
	s_delay_alu instid0(SALU_CYCLE_1) | instskip(NEXT) | instid1(SALU_CYCLE_1)
	s_and_b32 s7, exec_lo, s7
	s_or_b32 s37, s7, s37
	s_delay_alu instid0(SALU_CYCLE_1)
	s_and_not1_b32 exec_lo, exec_lo, s37
	s_cbranch_execnz .LBB186_23
; %bb.24:                               ;   in Loop: Header=BB186_4 Depth=1
	s_or_b32 exec_lo, exec_lo, s37
	v_add_f32_e32 v26, -1.0, v26
	v_cmp_class_f32_e64 s8, v24, 0x204
	s_delay_alu instid0(VALU_DEP_2) | instskip(NEXT) | instid1(VALU_DEP_1)
	v_add_f32_e32 v26, v26, v27
	v_add_f32_e32 v9, v26, v9
	s_delay_alu instid0(VALU_DEP_1) | instskip(NEXT) | instid1(VALU_DEP_1)
	v_add_f32_e32 v9, v9, v35
	v_add_f32_e32 v9, v9, v30
	s_delay_alu instid0(VALU_DEP_1) | instskip(NEXT) | instid1(VALU_DEP_1)
	;; [unrolled: 3-line block ×5, first 2 shown]
	v_add_f32_e32 v26, v29, v9
	v_add_f32_e32 v29, 1.0, v26
	s_delay_alu instid0(VALU_DEP_1) | instskip(SKIP_2) | instid1(VALU_DEP_2)
	v_cvt_f64_f32_e32 v[30:31], v29
	v_frexp_mant_f32_e32 v28, v29
	v_add_f32_e32 v27, -1.0, v29
	v_cmp_gt_f32_e32 vcc_lo, 0x3f2aaaab, v28
	s_delay_alu instid0(VALU_DEP_2) | instskip(SKIP_1) | instid1(VALU_DEP_1)
	v_mov_b32_e32 v28, v27
	v_frexp_exp_i32_f64_e32 v9, v[30:31]
	v_subrev_co_ci_u32_e64 v9, null, 0, v9, vcc_lo
	s_delay_alu instid0(VALU_DEP_1) | instskip(NEXT) | instid1(VALU_DEP_4)
	v_sub_nc_u32_e32 v33, 0, v9
	v_pk_add_f32 v[30:31], v[26:27], v[28:29] neg_lo:[0,1] neg_hi:[0,1]
	v_cmp_neq_f32_e32 vcc_lo, 0x7f800000, v26
	v_cmp_neq_f32_e64 s7, -1.0, v26
	s_delay_alu instid0(VALU_DEP_4) | instskip(NEXT) | instid1(VALU_DEP_4)
	v_ldexp_f32 v27, v29, v33
	v_add_f32_e32 v28, 1.0, v31
	s_delay_alu instid0(VALU_DEP_1) | instskip(NEXT) | instid1(VALU_DEP_1)
	v_dual_add_f32 v31, 1.0, v27 :: v_dual_add_f32 v28, v30, v28
	v_add_f32_e32 v29, -1.0, v31
	v_add_f32_e32 v35, -1.0, v27
	s_delay_alu instid0(VALU_DEP_3) | instskip(NEXT) | instid1(VALU_DEP_2)
	v_ldexp_f32 v28, v28, v33
	v_dual_sub_f32 v29, v27, v29 :: v_dual_add_f32 v30, 1.0, v35
	s_delay_alu instid0(VALU_DEP_1) | instskip(NEXT) | instid1(VALU_DEP_1)
	v_add_f32_e32 v33, v28, v29
	v_add_f32_e32 v36, v31, v33
	s_delay_alu instid0(VALU_DEP_1) | instskip(NEXT) | instid1(VALU_DEP_3)
	v_rcp_f32_e32 v37, v36
	v_sub_f32_e32 v27, v27, v30
	s_delay_alu instid0(VALU_DEP_1) | instskip(NEXT) | instid1(VALU_DEP_1)
	v_add_f32_e32 v27, v28, v27
	v_add_f32_e32 v29, v35, v27
	s_delay_alu instid0(TRANS32_DEP_1) | instid1(VALU_DEP_1)
	v_mul_f32_e32 v38, v29, v37
	s_delay_alu instid0(VALU_DEP_1) | instskip(NEXT) | instid1(VALU_DEP_1)
	v_dual_mul_f32 v30, v36, v38 :: v_dual_sub_f32 v28, v36, v31
	v_fma_f32 v34, v38, v36, -v30
	s_delay_alu instid0(VALU_DEP_2) | instskip(NEXT) | instid1(VALU_DEP_1)
	v_sub_f32_e32 v33, v33, v28
	v_fmac_f32_e32 v34, v38, v33
	s_delay_alu instid0(VALU_DEP_1) | instskip(NEXT) | instid1(VALU_DEP_1)
	v_dual_add_f32 v28, v30, v34 :: v_dual_sub_f32 v39, v29, v35
	v_dual_mov_b32 v35, v28 :: v_dual_sub_f32 v31, v29, v28
	s_delay_alu instid0(VALU_DEP_2) | instskip(NEXT) | instid1(VALU_DEP_2)
	v_sub_f32_e32 v27, v27, v39
	v_pk_add_f32 v[28:29], v[28:29], v[30:31] neg_lo:[0,1] neg_hi:[0,1]
	s_delay_alu instid0(VALU_DEP_1) | instskip(NEXT) | instid1(VALU_DEP_1)
	v_pk_add_f32 v[28:29], v[28:29], v[34:35] neg_lo:[0,1] neg_hi:[0,1]
	v_add_f32_e32 v27, v27, v29
	s_delay_alu instid0(VALU_DEP_1) | instskip(NEXT) | instid1(VALU_DEP_1)
	v_add_f32_e32 v27, v28, v27
	v_add_f32_e32 v29, v31, v27
	s_delay_alu instid0(VALU_DEP_1) | instskip(NEXT) | instid1(VALU_DEP_1)
	v_mul_f32_e32 v39, v37, v29
	v_mul_f32_e32 v34, v36, v39
	s_delay_alu instid0(VALU_DEP_1) | instskip(NEXT) | instid1(VALU_DEP_1)
	v_fma_f32 v30, v39, v36, -v34
	v_fmac_f32_e32 v30, v39, v33
	s_delay_alu instid0(VALU_DEP_1) | instskip(NEXT) | instid1(VALU_DEP_1)
	v_dual_add_f32 v28, v34, v30 :: v_dual_sub_f32 v33, v31, v29
	v_dual_mov_b32 v31, v28 :: v_dual_sub_f32 v35, v29, v28
	s_delay_alu instid0(VALU_DEP_2) | instskip(NEXT) | instid1(VALU_DEP_2)
	v_dual_add_f32 v27, v27, v33 :: v_dual_add_f32 v33, v38, v39
	v_pk_add_f32 v[28:29], v[28:29], v[34:35] neg_lo:[0,1] neg_hi:[0,1]
	s_delay_alu instid0(VALU_DEP_1) | instskip(NEXT) | instid1(VALU_DEP_1)
	v_pk_add_f32 v[28:29], v[28:29], v[30:31] neg_lo:[0,1] neg_hi:[0,1]
	v_add_f32_e32 v27, v27, v29
	s_delay_alu instid0(VALU_DEP_1) | instskip(NEXT) | instid1(VALU_DEP_1)
	v_dual_add_f32 v27, v28, v27 :: v_dual_sub_f32 v28, v33, v38
	v_sub_f32_e32 v28, v39, v28
	s_delay_alu instid0(VALU_DEP_2) | instskip(NEXT) | instid1(VALU_DEP_1)
	v_add_f32_e32 v27, v35, v27
	v_mul_f32_e32 v27, v37, v27
	s_delay_alu instid0(VALU_DEP_1) | instskip(SKIP_1) | instid1(VALU_DEP_2)
	v_add_f32_e32 v27, v28, v27
	v_cvt_f32_i32_e32 v28, v9
	v_add_f32_e32 v36, v33, v27
	s_delay_alu instid0(VALU_DEP_1) | instskip(NEXT) | instid1(VALU_DEP_1)
	v_mul_f32_e32 v30, v36, v36
	v_fmaak_f32 v31, s28, v30, 0x3ecc95a3
	v_mul_f32_e32 v29, v36, v30
	v_ldexp_f32 v35, v36, 1
	s_delay_alu instid0(VALU_DEP_3) | instskip(NEXT) | instid1(VALU_DEP_1)
	v_fmaak_f32 v9, v30, v31, 0x3f2aaada
	v_pk_mul_f32 v[30:31], v[28:29], v[8:9]
	s_delay_alu instid0(VALU_DEP_1) | instskip(NEXT) | instid1(VALU_DEP_1)
	v_fma_f32 v34, 0x3f317218, v28, -v30
	v_fmac_f32_e32 v34, 0xb102e308, v28
	s_delay_alu instid0(VALU_DEP_1) | instskip(SKIP_1) | instid1(VALU_DEP_1)
	v_pk_add_f32 v[28:29], v[30:31], v[34:35]
	v_dual_sub_f32 v9, v36, v33 :: v_dual_mov_b32 v36, v30
	v_dual_mov_b32 v44, v29 :: v_dual_sub_f32 v9, v27, v9
	s_delay_alu instid0(VALU_DEP_3) | instskip(NEXT) | instid1(VALU_DEP_2)
	v_dual_sub_f32 v27, v29, v35 :: v_dual_mov_b32 v35, v28
	v_ldexp_f32 v9, v9, 1
	s_delay_alu instid0(VALU_DEP_2) | instskip(SKIP_1) | instid1(VALU_DEP_2)
	v_sub_f32_e32 v27, v31, v27
	v_pk_add_f32 v[30:31], v[28:29], v[30:31] neg_lo:[0,1] neg_hi:[0,1]
	v_add_f32_e32 v37, v9, v27
	v_max_num_f32_e64 v9, |v25|, |v25|
	v_max_num_f32_e64 v27, |v24|, |v24|
	s_delay_alu instid0(VALU_DEP_3) | instskip(NEXT) | instid1(VALU_DEP_2)
	v_pk_add_f32 v[38:39], v[28:29], v[36:37]
	v_dual_max_num_f32 v33, v27, v9 :: v_dual_min_num_f32 v9, v27, v9
	s_delay_alu instid0(VALU_DEP_2) | instskip(NEXT) | instid1(VALU_DEP_2)
	v_mov_b32_e32 v31, v39
	v_frexp_exp_i32_f32_e32 v27, v33
	s_delay_alu instid0(VALU_DEP_3) | instskip(SKIP_1) | instid1(VALU_DEP_4)
	v_frexp_mant_f32_e32 v46, v9
	v_frexp_mant_f32_e32 v33, v33
	v_pk_add_f32 v[40:41], v[34:35], v[30:31]
	v_frexp_exp_i32_f32_e32 v40, v9
	v_pk_add_f32 v[30:31], v[34:35], v[30:31] neg_lo:[0,1] neg_hi:[0,1]
	s_delay_alu instid0(VALU_DEP_4) | instskip(NEXT) | instid1(VALU_DEP_2)
	v_rcp_f32_e32 v33, v33
	v_dual_mov_b32 v36, v41 :: v_dual_sub_nc_u32 v27, v40, v27
	s_delay_alu instid0(VALU_DEP_1) | instskip(SKIP_1) | instid1(VALU_DEP_2)
	v_pk_add_f32 v[42:43], v[36:37], v[28:29] neg_lo:[0,1] neg_hi:[0,1]
	v_dual_mov_b32 v40, v39 :: v_dual_mov_b32 v29, v28
	v_dual_mov_b32 v28, v37 :: v_dual_mov_b32 v45, v42
	v_mov_b32_e32 v9, v42
	s_delay_alu instid0(VALU_DEP_2) | instskip(NEXT) | instid1(VALU_DEP_2)
	v_pk_add_f32 v[34:35], v[40:41], v[44:45] neg_lo:[0,1] neg_hi:[0,1]
	v_pk_add_f32 v[38:39], v[38:39], v[8:9] neg_lo:[0,1] neg_hi:[0,1]
	v_mov_b32_e32 v38, v30
	s_delay_alu instid0(VALU_DEP_3) | instskip(NEXT) | instid1(VALU_DEP_1)
	v_pk_add_f32 v[28:29], v[28:29], v[34:35] neg_lo:[0,1] neg_hi:[0,1]
	v_pk_add_f32 v[34:35], v[38:39], v[28:29]
	s_delay_alu instid0(VALU_DEP_1) | instskip(NEXT) | instid1(VALU_DEP_1)
	v_dual_mul_f32 v31, v46, v33 :: v_dual_mov_b32 v38, v35
	v_ldexp_f32 v9, v31, v27
	s_delay_alu instid0(VALU_DEP_2) | instskip(SKIP_1) | instid1(VALU_DEP_2)
	v_pk_add_f32 v[38:39], v[34:35], v[38:39]
	v_mov_b32_e32 v31, v41
	v_pk_add_f32 v[36:37], v[36:37], v[38:39]
	s_delay_alu instid0(VALU_DEP_1) | instskip(NEXT) | instid1(VALU_DEP_1)
	v_dual_mul_f32 v27, v9, v9 :: v_dual_mov_b32 v35, v36
	v_pk_add_f32 v[40:41], v[34:35], v[30:31] neg_lo:[0,1] neg_hi:[0,1]
	s_delay_alu instid0(VALU_DEP_1) | instskip(NEXT) | instid1(VALU_DEP_1)
	v_sub_f32_e32 v33, v34, v40
	v_dual_fmaak_f32 v29, s29, v27, 0xbc7a590c :: v_dual_sub_f32 v30, v30, v33
	s_delay_alu instid0(VALU_DEP_1) | instskip(NEXT) | instid1(VALU_DEP_1)
	v_fmaak_f32 v29, v27, v29, 0x3d29fb3f
	v_fmaak_f32 v29, v27, v29, 0xbd97d4d7
	s_delay_alu instid0(VALU_DEP_1) | instskip(NEXT) | instid1(VALU_DEP_1)
	v_fmaak_f32 v29, v27, v29, 0x3dd931b2
	v_fmaak_f32 v31, v27, v29, 0xbe1160e6
	v_mov_b32_e32 v29, v38
	s_delay_alu instid0(VALU_DEP_1) | instskip(NEXT) | instid1(VALU_DEP_1)
	v_pk_add_f32 v[28:29], v[28:29], v[40:41] neg_lo:[0,1] neg_hi:[0,1]
	v_add_f32_e32 v28, v28, v30
	s_delay_alu instid0(VALU_DEP_1) | instskip(NEXT) | instid1(VALU_DEP_1)
	v_dual_add_f32 v28, v28, v29 :: v_dual_fmaak_f32 v31, v27, v31, 0x3e4cb8bf
	v_fmaak_f32 v31, v27, v31, 0xbeaaaa62
	s_delay_alu instid0(VALU_DEP_1) | instskip(NEXT) | instid1(VALU_DEP_1)
	v_mul_f32_e32 v27, v27, v31
	v_dual_fmac_f32 v9, v9, v27 :: v_dual_add_f32 v27, v36, v28
	s_delay_alu instid0(VALU_DEP_1) | instskip(NEXT) | instid1(VALU_DEP_2)
	v_sub_f32_e32 v28, 0x3fc90fdb, v9
	v_cndmask_b32_e32 v27, 0x7f800000, v27, vcc_lo
	v_cmp_gt_i32_e32 vcc_lo, 0, v24
	s_delay_alu instid0(VALU_DEP_3) | instskip(SKIP_2) | instid1(VALU_DEP_3)
	v_cndmask_b32_e64 v9, v9, v28, s6
	v_cndmask_b32_e64 v28, 0, 0x40490fdb, vcc_lo
	v_cmp_ngt_f32_e32 vcc_lo, -1.0, v26
	v_sub_f32_e32 v29, 0x40490fdb, v9
	v_cndmask_b32_e32 v27, 0x7fc00000, v27, vcc_lo
	v_cmp_gt_f32_e32 vcc_lo, 0, v24
	s_delay_alu instid0(VALU_DEP_2) | instskip(NEXT) | instid1(VALU_DEP_4)
	v_cndmask_b32_e64 v24, 0xff800000, v27, s7
	v_cndmask_b32_e32 v9, v9, v29, vcc_lo
	v_cndmask_b32_e32 v27, 0x3f490fdb, v32, vcc_lo
	v_cmp_gt_f32_e64 vcc_lo, 0x33800000, |v26|
	v_cmp_class_f32_e64 s7, v25, 0x204
	v_cndmask_b32_e32 v24, v24, v26, vcc_lo
	v_cmp_eq_f32_e32 vcc_lo, 0, v25
	s_delay_alu instid0(VALU_DEP_2) | instskip(SKIP_2) | instid1(VALU_DEP_1)
	v_mul_f32_e32 v33, 0.5, v24
	v_cndmask_b32_e32 v9, v9, v28, vcc_lo
	s_and_b32 vcc_lo, s7, s8
	v_cndmask_b32_e32 v34, v9, v27, vcc_lo
.LBB186_25:                             ;   in Loop: Header=BB186_4 Depth=1
	s_or_b32 exec_lo, exec_lo, s36
.LBB186_26:                             ;   in Loop: Header=BB186_4 Depth=1
	s_delay_alu instid0(SALU_CYCLE_1)
	s_or_b32 exec_lo, exec_lo, s35
.LBB186_27:                             ;   in Loop: Header=BB186_4 Depth=1
	s_and_not1_saveexec_b32 s8, s34
	s_cbranch_execz .LBB186_29
; %bb.28:                               ;   in Loop: Header=BB186_4 Depth=1
	v_max_num_f32_e64 v9, |v25|, |v25|
	v_max_num_f32_e64 v28, |v24|, |v24|
	v_cmp_gt_i32_e64 s7, 0, v24
	v_cmp_class_f32_e64 s9, v24, 0x204
	v_cmp_class_f32_e64 s10, v25, 0x204
	s_delay_alu instid0(VALU_DEP_4) | instskip(NEXT) | instid1(VALU_DEP_1)
	v_dual_max_num_f32 v29, v28, v9 :: v_dual_min_num_f32 v9, v28, v9
	v_cvt_f64_f32_e32 v[26:27], v29
	v_frexp_exp_i32_f32_e32 v28, v29
	s_delay_alu instid0(VALU_DEP_3) | instskip(SKIP_4) | instid1(VALU_DEP_1)
	v_frexp_exp_i32_f32_e32 v30, v9
	v_frexp_mant_f32_e32 v9, v9
	v_cmp_neq_f32_e32 vcc_lo, 0x7f800000, v29
	v_frexp_exp_i32_f64_e32 v26, v[26:27]
	v_frexp_mant_f32_e32 v27, v29
	v_rcp_f32_e32 v27, v27
	v_nop
	s_delay_alu instid0(TRANS32_DEP_1) | instskip(NEXT) | instid1(VALU_DEP_1)
	v_dual_mul_f32 v9, v9, v27 :: v_dual_sub_nc_u32 v28, v30, v28
	v_ldexp_f32 v9, v9, v28
	s_delay_alu instid0(VALU_DEP_1) | instskip(NEXT) | instid1(VALU_DEP_1)
	v_dual_mul_f32 v28, v9, v9 :: v_dual_sub_nc_u32 v27, 0, v26
	v_ldexp_f32 v30, |v25|, v27
	s_delay_alu instid0(VALU_DEP_2) | instskip(SKIP_1) | instid1(VALU_DEP_2)
	v_fmaak_f32 v31, s29, v28, 0xbc7a590c
	v_ldexp_f32 v27, |v24|, v27
	v_dual_mul_f32 v30, v30, v30 :: v_dual_fmaak_f32 v31, v28, v31, 0x3d29fb3f
	s_delay_alu instid0(VALU_DEP_1) | instskip(NEXT) | instid1(VALU_DEP_2)
	v_fmac_f32_e32 v30, v27, v27
	v_fmaak_f32 v27, v28, v31, 0xbd97d4d7
	s_delay_alu instid0(VALU_DEP_1) | instskip(NEXT) | instid1(VALU_DEP_3)
	v_fmaak_f32 v27, v28, v27, 0x3dd931b2
	v_sqrt_f32_e32 v30, v30
	s_delay_alu instid0(VALU_DEP_1) | instskip(NEXT) | instid1(TRANS32_DEP_1)
	v_fmaak_f32 v27, v28, v27, 0xbe1160e6
	v_ldexp_f32 v26, v30, v26
	s_delay_alu instid0(VALU_DEP_2) | instskip(NEXT) | instid1(VALU_DEP_1)
	v_fmaak_f32 v27, v28, v27, 0x3e4cb8bf
	v_fmaak_f32 v27, v28, v27, 0xbeaaaa62
	s_delay_alu instid0(VALU_DEP_1) | instskip(NEXT) | instid1(VALU_DEP_1)
	v_dual_cndmask_b32 v26, 0x7f800000, v26 :: v_dual_mul_f32 v27, v28, v27
	v_cmp_gt_f32_e32 vcc_lo, 0x800000, v26
	v_cndmask_b32_e64 v29, 0, 32, vcc_lo
	s_delay_alu instid0(VALU_DEP_1) | instskip(NEXT) | instid1(VALU_DEP_1)
	v_ldexp_f32 v26, v26, v29
	v_log_f32_e32 v26, v26
	v_fmac_f32_e32 v9, v9, v27
	s_delay_alu instid0(VALU_DEP_1) | instskip(NEXT) | instid1(TRANS32_DEP_1)
	v_sub_f32_e32 v28, 0x3fc90fdb, v9
	v_mul_f32_e32 v27, 0x3f317217, v26
	s_delay_alu instid0(VALU_DEP_2) | instskip(NEXT) | instid1(VALU_DEP_2)
	v_cndmask_b32_e64 v9, v9, v28, s6
	v_fma_f32 v27, 0x3f317217, v26, -v27
	v_cndmask_b32_e64 v28, 0, 0x40490fdb, s7
	v_cmp_gt_f32_e64 s7, 0, v24
	s_delay_alu instid0(VALU_DEP_4) | instskip(NEXT) | instid1(VALU_DEP_4)
	v_sub_f32_e32 v29, 0x40490fdb, v9
	v_fmac_f32_e32 v27, 0x3377d1cf, v26
	s_delay_alu instid0(VALU_DEP_3) | instskip(NEXT) | instid1(VALU_DEP_3)
	v_cndmask_b32_e64 v24, 0x3f490fdb, v32, s7
	v_cndmask_b32_e64 v9, v9, v29, s7
	s_delay_alu instid0(VALU_DEP_3) | instskip(SKIP_2) | instid1(VALU_DEP_3)
	v_fmac_f32_e32 v27, 0x3f317217, v26
	v_cndmask_b32_e64 v29, 0, 0x41b17218, vcc_lo
	v_cmp_gt_f32_e64 vcc_lo, 0x7f800000, |v26|
	v_cndmask_b32_e32 v26, v26, v27, vcc_lo
	v_cmp_eq_f32_e32 vcc_lo, 0, v25
	s_delay_alu instid0(VALU_DEP_2) | instskip(SKIP_1) | instid1(VALU_DEP_1)
	v_dual_sub_f32 v33, v26, v29 :: v_dual_cndmask_b32 v9, v9, v28, vcc_lo
	s_and_b32 vcc_lo, s10, s9
	v_cndmask_b32_e32 v34, v9, v24, vcc_lo
.LBB186_29:                             ;   in Loop: Header=BB186_4 Depth=1
	s_or_b32 exec_lo, exec_lo, s8
                                        ; implicit-def: $vgpr26
.LBB186_30:                             ;   in Loop: Header=BB186_4 Depth=1
	s_and_not1_saveexec_b32 s8, s33
	s_cbranch_execz .LBB186_36
; %bb.31:                               ;   in Loop: Header=BB186_4 Depth=1
                                        ; implicit-def: $vgpr33
                                        ; implicit-def: $vgpr34
	s_mov_b32 s7, exec_lo
	v_cmpx_ngt_f32_e32 0x1fec1e4a, v26
	s_xor_b32 s9, exec_lo, s7
	s_cbranch_execz .LBB186_33
; %bb.32:                               ;   in Loop: Header=BB186_4 Depth=1
	v_pk_mul_f32 v[26:27], v[26:27], v[26:27]
	v_max_num_f32_e64 v40, |v24|, |v24|
	v_cmp_class_f32_e64 s10, v24, 0x204
	s_delay_alu instid0(VALU_DEP_3) | instskip(SKIP_1) | instid1(VALU_DEP_2)
	v_add_f32_e32 v29, 1.0, v26
	v_cmp_neq_f32_e64 s7, 0x7f800000, v26
	v_frexp_mant_f32_e32 v28, v29
	v_add_f32_e32 v27, -1.0, v29
	s_delay_alu instid0(VALU_DEP_2) | instskip(NEXT) | instid1(VALU_DEP_2)
	v_cmp_gt_f32_e32 vcc_lo, 0x3f2aaaab, v28
	v_mov_b32_e32 v28, v27
	v_cvt_f64_f32_e32 v[30:31], v29
	s_delay_alu instid0(VALU_DEP_1) | instskip(NEXT) | instid1(VALU_DEP_3)
	v_frexp_exp_i32_f64_e32 v9, v[30:31]
	v_pk_add_f32 v[30:31], v[26:27], v[28:29] neg_lo:[0,1] neg_hi:[0,1]
	s_delay_alu instid0(VALU_DEP_1) | instskip(NEXT) | instid1(VALU_DEP_3)
	v_add_f32_e32 v28, 1.0, v31
	v_subrev_co_ci_u32_e64 v9, null, 0, v9, vcc_lo
	v_cmp_gt_i32_e32 vcc_lo, 0, v24
	s_delay_alu instid0(VALU_DEP_2) | instskip(NEXT) | instid1(VALU_DEP_1)
	v_sub_nc_u32_e32 v33, 0, v9
	v_ldexp_f32 v27, v29, v33
	s_delay_alu instid0(VALU_DEP_1) | instskip(NEXT) | instid1(VALU_DEP_1)
	v_dual_add_f32 v31, 1.0, v27 :: v_dual_add_f32 v28, v30, v28
	v_add_f32_e32 v29, -1.0, v31
	v_add_f32_e32 v35, -1.0, v27
	s_delay_alu instid0(VALU_DEP_3) | instskip(NEXT) | instid1(VALU_DEP_2)
	v_ldexp_f32 v28, v28, v33
	v_dual_sub_f32 v29, v27, v29 :: v_dual_add_f32 v30, 1.0, v35
	s_delay_alu instid0(VALU_DEP_1) | instskip(NEXT) | instid1(VALU_DEP_1)
	v_add_f32_e32 v33, v28, v29
	v_add_f32_e32 v36, v31, v33
	s_delay_alu instid0(VALU_DEP_1) | instskip(NEXT) | instid1(VALU_DEP_3)
	v_rcp_f32_e32 v37, v36
	v_sub_f32_e32 v27, v27, v30
	s_delay_alu instid0(VALU_DEP_1) | instskip(NEXT) | instid1(VALU_DEP_1)
	v_add_f32_e32 v27, v28, v27
	v_add_f32_e32 v29, v35, v27
	s_delay_alu instid0(TRANS32_DEP_1) | instid1(VALU_DEP_1)
	v_mul_f32_e32 v38, v29, v37
	s_delay_alu instid0(VALU_DEP_1) | instskip(NEXT) | instid1(VALU_DEP_1)
	v_dual_mul_f32 v30, v36, v38 :: v_dual_sub_f32 v28, v31, v36
	v_fma_f32 v34, v38, v36, -v30
	s_delay_alu instid0(VALU_DEP_2) | instskip(NEXT) | instid1(VALU_DEP_1)
	v_add_f32_e32 v33, v33, v28
	v_fmac_f32_e32 v34, v38, v33
	s_delay_alu instid0(VALU_DEP_1) | instskip(NEXT) | instid1(VALU_DEP_1)
	v_dual_add_f32 v28, v30, v34 :: v_dual_sub_f32 v39, v35, v29
	v_dual_mov_b32 v35, v28 :: v_dual_sub_f32 v31, v29, v28
	s_delay_alu instid0(VALU_DEP_2) | instskip(NEXT) | instid1(VALU_DEP_2)
	v_add_f32_e32 v27, v27, v39
	v_pk_add_f32 v[28:29], v[28:29], v[30:31] neg_lo:[0,1] neg_hi:[0,1]
	s_delay_alu instid0(VALU_DEP_1) | instskip(NEXT) | instid1(VALU_DEP_1)
	v_pk_add_f32 v[28:29], v[28:29], v[34:35] neg_lo:[0,1] neg_hi:[0,1]
	v_add_f32_e32 v27, v27, v29
	s_delay_alu instid0(VALU_DEP_1) | instskip(NEXT) | instid1(VALU_DEP_1)
	v_add_f32_e32 v27, v28, v27
	v_add_f32_e32 v29, v31, v27
	s_delay_alu instid0(VALU_DEP_1) | instskip(NEXT) | instid1(VALU_DEP_1)
	v_mul_f32_e32 v39, v37, v29
	v_mul_f32_e32 v34, v36, v39
	s_delay_alu instid0(VALU_DEP_1) | instskip(NEXT) | instid1(VALU_DEP_1)
	v_fma_f32 v30, v39, v36, -v34
	v_fmac_f32_e32 v30, v39, v33
	s_delay_alu instid0(VALU_DEP_1) | instskip(NEXT) | instid1(VALU_DEP_1)
	v_dual_add_f32 v28, v34, v30 :: v_dual_sub_f32 v33, v31, v29
	v_dual_mov_b32 v31, v28 :: v_dual_sub_f32 v35, v29, v28
	s_delay_alu instid0(VALU_DEP_2) | instskip(NEXT) | instid1(VALU_DEP_2)
	v_dual_add_f32 v27, v27, v33 :: v_dual_add_f32 v33, v38, v39
	v_pk_add_f32 v[28:29], v[28:29], v[34:35] neg_lo:[0,1] neg_hi:[0,1]
	s_delay_alu instid0(VALU_DEP_1) | instskip(NEXT) | instid1(VALU_DEP_1)
	v_pk_add_f32 v[28:29], v[28:29], v[30:31] neg_lo:[0,1] neg_hi:[0,1]
	v_add_f32_e32 v27, v27, v29
	s_delay_alu instid0(VALU_DEP_1) | instskip(NEXT) | instid1(VALU_DEP_1)
	v_dual_add_f32 v27, v28, v27 :: v_dual_sub_f32 v28, v33, v38
	v_sub_f32_e32 v28, v39, v28
	s_delay_alu instid0(VALU_DEP_2) | instskip(NEXT) | instid1(VALU_DEP_1)
	v_add_f32_e32 v27, v35, v27
	v_mul_f32_e32 v27, v37, v27
	s_delay_alu instid0(VALU_DEP_1) | instskip(SKIP_1) | instid1(VALU_DEP_2)
	v_add_f32_e32 v27, v28, v27
	v_cvt_f32_i32_e32 v28, v9
	v_add_f32_e32 v36, v33, v27
	s_delay_alu instid0(VALU_DEP_1) | instskip(NEXT) | instid1(VALU_DEP_1)
	v_mul_f32_e32 v30, v36, v36
	v_fmaak_f32 v31, s28, v30, 0x3ecc95a3
	v_mul_f32_e32 v29, v36, v30
	v_ldexp_f32 v35, v36, 1
	s_delay_alu instid0(VALU_DEP_3) | instskip(NEXT) | instid1(VALU_DEP_1)
	v_fmaak_f32 v9, v30, v31, 0x3f2aaada
	v_pk_mul_f32 v[30:31], v[28:29], v[8:9]
	s_delay_alu instid0(VALU_DEP_1) | instskip(NEXT) | instid1(VALU_DEP_1)
	v_fma_f32 v34, 0x3f317218, v28, -v30
	v_fmac_f32_e32 v34, 0xb102e308, v28
	s_delay_alu instid0(VALU_DEP_1) | instskip(SKIP_2) | instid1(VALU_DEP_2)
	v_pk_add_f32 v[28:29], v[30:31], v[34:35]
	v_sub_f32_e32 v9, v36, v33
	v_max_num_f32_e64 v33, |v25|, |v25|
	v_dual_mov_b32 v36, v30 :: v_dual_sub_f32 v9, v27, v9
	s_delay_alu instid0(VALU_DEP_4) | instskip(NEXT) | instid1(VALU_DEP_2)
	v_dual_sub_f32 v27, v29, v35 :: v_dual_mov_b32 v35, v28
	v_ldexp_f32 v9, v9, 1
	s_delay_alu instid0(VALU_DEP_2) | instskip(SKIP_1) | instid1(VALU_DEP_2)
	v_sub_f32_e32 v27, v31, v27
	v_pk_add_f32 v[30:31], v[28:29], v[30:31] neg_lo:[0,1] neg_hi:[0,1]
	v_dual_add_f32 v37, v9, v27 :: v_dual_max_num_f32 v9, v40, v33
	v_min_num_f32_e32 v33, v40, v33
	s_delay_alu instid0(VALU_DEP_2) | instskip(NEXT) | instid1(VALU_DEP_3)
	v_pk_add_f32 v[38:39], v[28:29], v[36:37]
	v_frexp_mant_f32_e32 v27, v9
	v_frexp_exp_i32_f32_e32 v9, v9
	s_delay_alu instid0(VALU_DEP_3) | instskip(NEXT) | instid1(VALU_DEP_3)
	v_dual_mov_b32 v44, v29 :: v_dual_mov_b32 v31, v39
	v_rcp_f32_e32 v27, v27
	s_delay_alu instid0(VALU_DEP_1) | instskip(SKIP_1) | instid1(VALU_DEP_2)
	v_pk_add_f32 v[40:41], v[34:35], v[30:31]
	v_pk_add_f32 v[30:31], v[34:35], v[30:31] neg_lo:[0,1] neg_hi:[0,1]
	v_mov_b32_e32 v36, v41
	v_frexp_exp_i32_f32_e32 v40, v33
	v_frexp_mant_f32_e32 v33, v33
	s_delay_alu instid0(VALU_DEP_3) | instskip(NEXT) | instid1(VALU_DEP_2)
	v_pk_add_f32 v[42:43], v[36:37], v[28:29] neg_lo:[0,1] neg_hi:[0,1]
	v_dual_sub_nc_u32 v9, v40, v9 :: v_dual_mul_f32 v27, v33, v27
	v_dual_mov_b32 v40, v39 :: v_dual_mov_b32 v29, v28
	s_delay_alu instid0(VALU_DEP_3) | instskip(NEXT) | instid1(VALU_DEP_3)
	v_dual_mov_b32 v45, v42 :: v_dual_mov_b32 v28, v37
	v_ldexp_f32 v27, v27, v9
	v_mov_b32_e32 v9, v42
	s_delay_alu instid0(VALU_DEP_3) | instskip(NEXT) | instid1(VALU_DEP_3)
	v_pk_add_f32 v[34:35], v[40:41], v[44:45] neg_lo:[0,1] neg_hi:[0,1]
	v_mul_f32_e32 v33, v27, v27
	s_delay_alu instid0(VALU_DEP_3) | instskip(SKIP_1) | instid1(VALU_DEP_4)
	v_pk_add_f32 v[38:39], v[38:39], v[8:9] neg_lo:[0,1] neg_hi:[0,1]
	v_mov_b32_e32 v38, v30
	v_pk_add_f32 v[28:29], v[28:29], v[34:35] neg_lo:[0,1] neg_hi:[0,1]
	s_delay_alu instid0(VALU_DEP_1) | instskip(NEXT) | instid1(VALU_DEP_1)
	v_pk_add_f32 v[34:35], v[38:39], v[28:29]
	v_dual_fmaak_f32 v9, s29, v33, 0xbc7a590c :: v_dual_mov_b32 v38, v35
	s_delay_alu instid0(VALU_DEP_1) | instskip(NEXT) | instid1(VALU_DEP_1)
	v_pk_add_f32 v[38:39], v[34:35], v[38:39]
	v_pk_add_f32 v[36:37], v[36:37], v[38:39]
	s_delay_alu instid0(VALU_DEP_1) | instskip(NEXT) | instid1(VALU_DEP_1)
	v_dual_mov_b32 v31, v41 :: v_dual_mov_b32 v35, v36
	v_pk_add_f32 v[40:41], v[34:35], v[30:31] neg_lo:[0,1] neg_hi:[0,1]
	s_delay_alu instid0(VALU_DEP_1) | instskip(NEXT) | instid1(VALU_DEP_1)
	v_sub_f32_e32 v31, v34, v40
	v_dual_fmaak_f32 v9, v33, v9, 0x3d29fb3f :: v_dual_sub_f32 v30, v30, v31
	s_delay_alu instid0(VALU_DEP_1) | instskip(NEXT) | instid1(VALU_DEP_1)
	v_fmaak_f32 v9, v33, v9, 0xbd97d4d7
	v_fmaak_f32 v9, v33, v9, 0x3dd931b2
	s_delay_alu instid0(VALU_DEP_1) | instskip(NEXT) | instid1(VALU_DEP_1)
	v_fmaak_f32 v9, v33, v9, 0xbe1160e6
	v_fmaak_f32 v9, v33, v9, 0x3e4cb8bf
	s_delay_alu instid0(VALU_DEP_1) | instskip(NEXT) | instid1(VALU_DEP_1)
	v_fmaak_f32 v9, v33, v9, 0xbeaaaa62
	v_dual_mov_b32 v29, v38 :: v_dual_mul_f32 v9, v33, v9
	s_delay_alu instid0(VALU_DEP_1) | instskip(NEXT) | instid1(VALU_DEP_1)
	v_pk_add_f32 v[28:29], v[28:29], v[40:41] neg_lo:[0,1] neg_hi:[0,1]
	v_dual_fmac_f32 v27, v27, v9 :: v_dual_add_f32 v9, v28, v30
	s_delay_alu instid0(VALU_DEP_1) | instskip(NEXT) | instid1(VALU_DEP_1)
	v_dual_sub_f32 v28, 0x3fc90fdb, v27 :: v_dual_add_f32 v9, v9, v29
	v_cndmask_b32_e64 v27, v27, v28, s6
	v_cndmask_b32_e64 v28, 0, 0x40490fdb, vcc_lo
	s_delay_alu instid0(VALU_DEP_3) | instskip(SKIP_1) | instid1(VALU_DEP_4)
	v_add_f32_e32 v9, v36, v9
	v_cmp_gt_f32_e32 vcc_lo, 0, v24
	v_sub_f32_e32 v29, 0x40490fdb, v27
	s_delay_alu instid0(VALU_DEP_3) | instskip(SKIP_1) | instid1(VALU_DEP_3)
	v_cndmask_b32_e64 v9, 0x7f800000, v9, s7
	v_cmp_class_f32_e64 s7, v25, 0x204
	v_cndmask_b32_e32 v24, v27, v29, vcc_lo
	v_cndmask_b32_e32 v27, 0x3f490fdb, v32, vcc_lo
	v_cmp_gt_f32_e64 vcc_lo, 0x33800000, |v26|
	v_cndmask_b32_e32 v9, v9, v26, vcc_lo
	v_cmp_eq_f32_e32 vcc_lo, 0, v25
                                        ; implicit-def: $vgpr26
	s_delay_alu instid0(VALU_DEP_2) | instskip(SKIP_1) | instid1(VALU_DEP_1)
	v_dual_mul_f32 v33, 0.5, v9 :: v_dual_cndmask_b32 v24, v24, v28
	s_and_b32 vcc_lo, s7, s10
	v_cndmask_b32_e32 v34, v24, v27, vcc_lo
.LBB186_33:                             ;   in Loop: Header=BB186_4 Depth=1
	s_and_not1_saveexec_b32 s9, s9
	s_cbranch_execz .LBB186_35
; %bb.34:                               ;   in Loop: Header=BB186_4 Depth=1
	v_max_num_f32_e64 v9, |v25|, |v25|
	v_max_num_f32_e64 v27, |v24|, |v24|
	v_cmp_eq_f32_e64 s7, 0, v25
	v_cmp_gt_i32_e32 vcc_lo, 0, v24
	v_cmp_class_f32_e64 s10, v24, 0x204
	v_cmp_class_f32_e64 s11, v25, 0x204
	v_dual_max_num_f32 v28, v27, v9 :: v_dual_min_num_f32 v9, v27, v9
	s_delay_alu instid0(VALU_DEP_1) | instskip(SKIP_1) | instid1(VALU_DEP_2)
	v_frexp_mant_f32_e32 v29, v28
	v_frexp_exp_i32_f32_e32 v27, v28
	v_rcp_f32_e32 v28, v29
	v_nop
	v_frexp_exp_i32_f32_e32 v29, v9
	v_frexp_mant_f32_e32 v9, v9
	s_delay_alu instid0(VALU_DEP_2)
	v_sub_nc_u32_e32 v27, v29, v27
	s_delay_alu instid0(TRANS32_DEP_1) | instid1(VALU_DEP_2)
	v_mul_f32_e32 v9, v9, v28
	s_delay_alu instid0(VALU_DEP_1) | instskip(NEXT) | instid1(VALU_DEP_1)
	v_ldexp_f32 v9, v9, v27
	v_mul_f32_e32 v27, v9, v9
	s_delay_alu instid0(VALU_DEP_1) | instskip(NEXT) | instid1(VALU_DEP_1)
	v_fmaak_f32 v28, s29, v27, 0xbc7a590c
	v_fmaak_f32 v28, v27, v28, 0x3d29fb3f
	s_delay_alu instid0(VALU_DEP_1) | instskip(NEXT) | instid1(VALU_DEP_1)
	v_fmaak_f32 v28, v27, v28, 0xbd97d4d7
	v_fmaak_f32 v28, v27, v28, 0x3dd931b2
	s_delay_alu instid0(VALU_DEP_1) | instskip(NEXT) | instid1(VALU_DEP_1)
	v_fmaak_f32 v28, v27, v28, 0xbe1160e6
	v_fmaak_f32 v28, v27, v28, 0x3e4cb8bf
	s_delay_alu instid0(VALU_DEP_1) | instskip(NEXT) | instid1(VALU_DEP_1)
	v_fmaak_f32 v28, v27, v28, 0xbeaaaa62
	v_mul_f32_e32 v27, v27, v28
	v_cndmask_b32_e64 v28, 0, 0x40490fdb, vcc_lo
	v_cmp_gt_f32_e32 vcc_lo, 0, v24
	s_delay_alu instid0(VALU_DEP_3) | instskip(NEXT) | instid1(VALU_DEP_1)
	v_dual_fmac_f32 v9, v9, v27 :: v_dual_cndmask_b32 v24, 0x3f490fdb, v32
	v_sub_f32_e32 v27, 0x3fc90fdb, v9
	s_delay_alu instid0(VALU_DEP_1) | instskip(NEXT) | instid1(VALU_DEP_1)
	v_cndmask_b32_e64 v9, v9, v27, s6
	v_sub_f32_e32 v27, 0x40490fdb, v9
	s_delay_alu instid0(VALU_DEP_1) | instskip(SKIP_1) | instid1(VALU_DEP_1)
	v_dual_cndmask_b32 v9, v9, v27, vcc_lo :: v_dual_mul_f32 v27, 0.5, v26
	s_and_b32 vcc_lo, s11, s10
	v_dual_cndmask_b32 v9, v9, v28, s7 :: v_dual_mul_f32 v33, v26, v27
	s_delay_alu instid0(VALU_DEP_1)
	v_cndmask_b32_e32 v34, v9, v24, vcc_lo
.LBB186_35:                             ;   in Loop: Header=BB186_4 Depth=1
	s_or_b32 exec_lo, exec_lo, s9
.LBB186_36:                             ;   in Loop: Header=BB186_4 Depth=1
	s_delay_alu instid0(SALU_CYCLE_1)
	s_or_b32 exec_lo, exec_lo, s8
.LBB186_37:                             ;   in Loop: Header=BB186_4 Depth=1
	s_and_not1_saveexec_b32 s8, s31
	s_cbranch_execz .LBB186_39
; %bb.38:                               ;   in Loop: Header=BB186_4 Depth=1
	v_div_scale_f32 v9, null, 0x402df854, 0x402df854, v24
	v_div_scale_f32 v26, null, 0x402df854, 0x402df854, v25
	v_div_scale_f32 v31, vcc_lo, v24, 0x402df854, v24
	s_delay_alu instid0(VALU_DEP_3) | instskip(NEXT) | instid1(VALU_DEP_2)
	v_rcp_f32_e32 v27, v9
	v_rcp_f32_e32 v28, v26
	v_cmp_class_f32_e64 s9, v25, 0x204
	s_delay_alu instid0(TRANS32_DEP_2) | instskip(NEXT) | instid1(TRANS32_DEP_1)
	v_fma_f32 v29, -v9, v27, 1.0
	v_fma_f32 v30, -v26, v28, 1.0
	s_delay_alu instid0(VALU_DEP_1) | instskip(SKIP_1) | instid1(VALU_DEP_1)
	v_dual_fmac_f32 v27, v29, v27 :: v_dual_fmac_f32 v28, v30, v28
	v_div_scale_f32 v29, s7, v25, 0x402df854, v25
	v_dual_mul_f32 v30, v31, v27 :: v_dual_mul_f32 v33, v29, v28
	s_delay_alu instid0(VALU_DEP_1) | instskip(NEXT) | instid1(VALU_DEP_1)
	v_dual_fma_f32 v34, -v9, v30, v31 :: v_dual_fma_f32 v35, -v26, v33, v29
	v_dual_fmac_f32 v30, v34, v27 :: v_dual_fmac_f32 v33, v35, v28
	s_delay_alu instid0(VALU_DEP_1) | instskip(NEXT) | instid1(VALU_DEP_1)
	v_dual_fma_f32 v9, -v9, v30, v31 :: v_dual_fma_f32 v26, -v26, v33, v29
	v_div_fmas_f32 v9, v9, v27, v30
	s_mov_b32 vcc_lo, s7
	v_max_num_f32_e64 v30, |v24|, |v24|
	s_delay_alu instid0(VALU_DEP_3) | instskip(SKIP_2) | instid1(VALU_DEP_3)
	v_div_fmas_f32 v26, v26, v28, v33
	v_cmp_class_f32_e64 s7, v24, 0x204
	v_div_fixup_f32 v9, v9, 0x402df854, v24
	v_div_fixup_f32 v28, v26, 0x402df854, v25
	s_delay_alu instid0(VALU_DEP_1) | instskip(NEXT) | instid1(VALU_DEP_1)
	v_max_num_f32_e64 v29, |v9|, |v28|
	v_cvt_f64_f32_e32 v[26:27], v29
	v_cmp_neq_f32_e32 vcc_lo, 0x7f800000, v29
	s_delay_alu instid0(VALU_DEP_2) | instskip(SKIP_1) | instid1(VALU_DEP_1)
	v_frexp_exp_i32_f64_e32 v26, v[26:27]
	v_max_num_f32_e64 v27, |v25|, |v25|
	v_dual_max_num_f32 v31, v30, v27 :: v_dual_min_num_f32 v27, v30, v27
	s_delay_alu instid0(VALU_DEP_1) | instskip(SKIP_1) | instid1(VALU_DEP_2)
	v_frexp_mant_f32_e32 v33, v31
	v_frexp_exp_i32_f32_e32 v30, v31
	v_rcp_f32_e32 v31, v33
	v_nop
	v_frexp_exp_i32_f32_e32 v33, v27
	v_frexp_mant_f32_e32 v27, v27
	s_delay_alu instid0(TRANS32_DEP_1) | instid1(VALU_DEP_1)
	v_dual_mul_f32 v27, v27, v31 :: v_dual_sub_nc_u32 v30, v33, v30
	s_delay_alu instid0(VALU_DEP_1) | instskip(NEXT) | instid1(VALU_DEP_1)
	v_ldexp_f32 v27, v27, v30
	v_dual_mul_f32 v30, v27, v27 :: v_dual_sub_nc_u32 v31, 0, v26
	s_delay_alu instid0(VALU_DEP_1) | instskip(SKIP_1) | instid1(VALU_DEP_2)
	v_ldexp_f32 v28, |v28|, v31
	v_ldexp_f32 v9, |v9|, v31
	v_dual_fmaak_f32 v31, s29, v30, 0xbc7a590c :: v_dual_mul_f32 v28, v28, v28
	s_delay_alu instid0(VALU_DEP_1) | instskip(NEXT) | instid1(VALU_DEP_1)
	v_dual_fmac_f32 v28, v9, v9 :: v_dual_fmaak_f32 v9, v30, v31, 0x3d29fb3f
	v_sqrt_f32_e32 v28, v28
	s_delay_alu instid0(VALU_DEP_1) | instskip(NEXT) | instid1(VALU_DEP_1)
	v_fmaak_f32 v9, v30, v9, 0xbd97d4d7
	v_fmaak_f32 v9, v30, v9, 0x3dd931b2
	s_delay_alu instid0(TRANS32_DEP_1) | instskip(NEXT) | instid1(VALU_DEP_2)
	v_ldexp_f32 v26, v28, v26
	v_fmaak_f32 v9, v30, v9, 0xbe1160e6
	s_delay_alu instid0(VALU_DEP_1) | instskip(NEXT) | instid1(VALU_DEP_1)
	v_fmaak_f32 v9, v30, v9, 0x3e4cb8bf
	v_fmaak_f32 v9, v30, v9, 0xbeaaaa62
	s_delay_alu instid0(VALU_DEP_1) | instskip(NEXT) | instid1(VALU_DEP_1)
	v_dual_cndmask_b32 v26, 0x7f800000, v26 :: v_dual_mul_f32 v9, v30, v9
	v_cmp_gt_f32_e32 vcc_lo, 0x800000, v26
	s_delay_alu instid0(VALU_DEP_2) | instskip(SKIP_2) | instid1(VALU_DEP_2)
	v_fmac_f32_e32 v27, v27, v9
	v_cndmask_b32_e64 v28, 0, 32, vcc_lo
	v_cndmask_b32_e64 v30, 0, 0x41b17218, vcc_lo
	v_ldexp_f32 v26, v26, v28
	s_delay_alu instid0(VALU_DEP_1) | instskip(SKIP_1) | instid1(TRANS32_DEP_1)
	v_log_f32_e32 v26, v26
	v_nop
	v_mul_f32_e32 v28, 0x3f317217, v26
	v_cmp_gt_f32_e64 vcc_lo, 0x7f800000, |v26|
	s_delay_alu instid0(VALU_DEP_2) | instskip(NEXT) | instid1(VALU_DEP_1)
	v_fma_f32 v9, 0x3f317217, v26, -v28
	v_fmac_f32_e32 v9, 0x3377d1cf, v26
	s_delay_alu instid0(VALU_DEP_1) | instskip(NEXT) | instid1(VALU_DEP_1)
	v_fmac_f32_e32 v9, 0x3f317217, v26
	v_dual_sub_f32 v28, 0x3fc90fdb, v27 :: v_dual_cndmask_b32 v9, v26, v9
	s_delay_alu instid0(VALU_DEP_1) | instskip(SKIP_2) | instid1(VALU_DEP_4)
	v_cndmask_b32_e64 v27, v27, v28, s6
	v_cmp_gt_i32_e64 s6, 0, v24
	v_cmp_eq_f32_e32 vcc_lo, 0, v25
	v_sub_f32_e32 v9, v9, v30
	s_delay_alu instid0(VALU_DEP_4) | instskip(NEXT) | instid1(VALU_DEP_4)
	v_sub_f32_e32 v29, 0x40490fdb, v27
	v_cndmask_b32_e64 v28, 0, 0x40490fdb, s6
	v_cmp_gt_f32_e64 s6, 0, v24
	s_delay_alu instid0(VALU_DEP_4) | instskip(NEXT) | instid1(VALU_DEP_2)
	v_add_f32_e32 v33, 1.0, v9
	v_cndmask_b32_e64 v24, v27, v29, s6
	v_cndmask_b32_e64 v26, 0x3f490fdb, v32, s6
	s_delay_alu instid0(VALU_DEP_2) | instskip(SKIP_1) | instid1(VALU_DEP_1)
	v_cndmask_b32_e32 v24, v24, v28, vcc_lo
	s_and_b32 vcc_lo, s9, s7
	v_cndmask_b32_e32 v34, v24, v26, vcc_lo
.LBB186_39:                             ;   in Loop: Header=BB186_4 Depth=1
	s_or_b32 exec_lo, exec_lo, s8
.LBB186_40:                             ;   in Loop: Header=BB186_4 Depth=1
	s_and_not1_saveexec_b32 s6, s30
	s_cbranch_execz .LBB186_46
; %bb.41:                               ;   in Loop: Header=BB186_4 Depth=1
	v_cmp_ngt_f32_e64 s7, 0x20000000, |v24|
	v_cmp_ngt_f32_e64 s8, 0x20000000, |v25|
                                        ; implicit-def: $vgpr9
	s_or_b32 s7, s8, s7
	s_delay_alu instid0(SALU_CYCLE_1) | instskip(NEXT) | instid1(SALU_CYCLE_1)
	s_and_saveexec_b32 s8, s7
	s_xor_b32 s7, exec_lo, s8
; %bb.42:                               ;   in Loop: Header=BB186_4 Depth=1
	v_pk_mul_f32 v[26:27], v[24:25], v[24:25]
	s_delay_alu instid0(VALU_DEP_1)
	v_add_f32_e32 v9, v27, v26
; %bb.43:                               ;   in Loop: Header=BB186_4 Depth=1
	s_and_not1_saveexec_b32 s7, s7
; %bb.44:                               ;   in Loop: Header=BB186_4 Depth=1
	v_pk_mul_f32 v[26:27], v[24:25], 4.0 op_sel_hi:[1,0]
	s_delay_alu instid0(VALU_DEP_1) | instskip(NEXT) | instid1(VALU_DEP_1)
	v_pk_mul_f32 v[26:27], v[26:27], v[26:27]
	v_add_f32_e32 v9, v27, v26
	s_delay_alu instid0(VALU_DEP_1)
	v_mul_f32_e32 v9, 0x3d800000, v9
; %bb.45:                               ;   in Loop: Header=BB186_4 Depth=1
	s_or_b32 exec_lo, exec_lo, s7
	s_delay_alu instid0(VALU_DEP_1) | instskip(SKIP_3) | instid1(VALU_DEP_2)
	v_cmp_gt_f32_e32 vcc_lo, 0x800000, v9
	v_mov_b32_e32 v34, 0x7fc00000
	v_cndmask_b32_e64 v24, 0, 32, vcc_lo
	v_cndmask_b32_e64 v26, 0, 0x41b17218, vcc_lo
	v_ldexp_f32 v9, v9, v24
	s_delay_alu instid0(VALU_DEP_1) | instskip(SKIP_1) | instid1(TRANS32_DEP_1)
	v_log_f32_e32 v9, v9
	v_nop
	v_mul_f32_e32 v24, 0x3f317217, v9
	v_cmp_gt_f32_e64 vcc_lo, 0x7f800000, |v9|
	s_delay_alu instid0(VALU_DEP_2) | instskip(NEXT) | instid1(VALU_DEP_1)
	v_fma_f32 v24, 0x3f317217, v9, -v24
	v_fmac_f32_e32 v24, 0x3377d1cf, v9
	s_delay_alu instid0(VALU_DEP_1) | instskip(NEXT) | instid1(VALU_DEP_1)
	v_fmac_f32_e32 v24, 0x3f317217, v9
	v_cndmask_b32_e32 v9, v9, v24, vcc_lo
	s_delay_alu instid0(VALU_DEP_1)
	v_sub_f32_e32 v33, v9, v26
.LBB186_46:                             ;   in Loop: Header=BB186_4 Depth=1
	s_or_b32 exec_lo, exec_lo, s6
                                        ; implicit-def: $vgpr24
                                        ; implicit-def: $vgpr35
	s_delay_alu instid0(SALU_CYCLE_1)
	s_mov_b32 s6, exec_lo
	v_cmpx_o_f32_e32 v23, v22
	s_xor_b32 s30, exec_lo, s6
	s_cbranch_execz .LBB186_74
; %bb.47:                               ;   in Loop: Header=BB186_4 Depth=1
	v_cmp_lt_f32_e64 s6, |v22|, |v23|
                                        ; implicit-def: $vgpr24
                                        ; implicit-def: $vgpr35
	s_mov_b32 s8, exec_lo
	v_cndmask_b32_e64 v9, v23, v22, s6
	s_delay_alu instid0(VALU_DEP_1)
	v_cmpx_nlt_f32_e64 0x77f684df, |v9|
	s_xor_b32 s31, exec_lo, s8
	s_cbranch_execz .LBB186_71
; %bb.48:                               ;   in Loop: Header=BB186_4 Depth=1
	v_cndmask_b32_e64 v24, v22, v23, s6
	v_and_b32_e32 v26, 0x7fffffff, v9
                                        ; implicit-def: $vgpr35
	s_mov_b32 s7, exec_lo
	s_delay_alu instid0(VALU_DEP_2) | instskip(NEXT) | instid1(VALU_DEP_1)
	v_and_b32_e32 v27, 0x7fffffff, v24
                                        ; implicit-def: $vgpr24
	v_cmpx_neq_f32_e32 1.0, v27
	s_xor_b32 s33, exec_lo, s7
	s_cbranch_execz .LBB186_64
; %bb.49:                               ;   in Loop: Header=BB186_4 Depth=1
	v_dual_max_num_f32 v9, v26, v26 :: v_dual_max_num_f32 v24, v27, v27
                                        ; implicit-def: $vgpr35
	s_delay_alu instid0(VALU_DEP_1) | instskip(NEXT) | instid1(VALU_DEP_1)
	v_dual_min_num_f32 v28, v24, v9 :: v_dual_max_num_f32 v9, v24, v9
                                        ; implicit-def: $vgpr24
	v_cmp_ngt_f32_e32 vcc_lo, 0x358637bd, v28
	s_delay_alu instid0(VALU_DEP_2) | instskip(SKIP_1) | instid1(SALU_CYCLE_1)
	v_cmp_nlt_f32_e64 s7, 0x49742400, v9
	s_and_b32 s7, s7, vcc_lo
	s_and_saveexec_b32 s8, s7
	s_delay_alu instid0(SALU_CYCLE_1)
	s_xor_b32 s34, exec_lo, s8
	s_cbranch_execz .LBB186_61
; %bb.50:                               ;   in Loop: Header=BB186_4 Depth=1
                                        ; implicit-def: $vgpr24
                                        ; implicit-def: $vgpr35
	s_mov_b32 s7, exec_lo
	v_cmpx_le_f32_e32 1.0, v27
	s_xor_b32 s8, exec_lo, s7
	s_cbranch_execz .LBB186_52
; %bb.51:                               ;   in Loop: Header=BB186_4 Depth=1
	v_pk_add_f32 v[28:29], v[26:27], v[6:7] op_sel:[1,0]
	v_mov_b32_e32 v30, v26
	v_cmp_class_f32_e64 s9, v22, 0x204
	s_delay_alu instid0(VALU_DEP_3) | instskip(SKIP_1) | instid1(VALU_DEP_1)
	v_dual_mov_b32 v27, v28 :: v_dual_mov_b32 v31, v29
	v_mul_f32_e32 v24, v28, v29
	v_pk_fma_f32 v[26:27], v[26:27], v[30:31], v[24:25] op_sel_hi:[1,1,0]
	s_delay_alu instid0(VALU_DEP_1) | instskip(SKIP_1) | instid1(VALU_DEP_2)
	v_add_f32_e32 v29, 1.0, v26
	v_cmp_neq_f32_e64 s7, -1.0, v26
	v_add_f32_e32 v27, -1.0, v29
	s_delay_alu instid0(VALU_DEP_1) | instskip(SKIP_2) | instid1(VALU_DEP_1)
	v_mov_b32_e32 v28, v27
	v_cvt_f64_f32_e32 v[30:31], v29
	v_frexp_mant_f32_e32 v24, v29
	v_cmp_gt_f32_e32 vcc_lo, 0x3f2aaaab, v24
	s_delay_alu instid0(VALU_DEP_3) | instskip(SKIP_1) | instid1(VALU_DEP_1)
	v_frexp_exp_i32_f64_e32 v9, v[30:31]
	v_pk_add_f32 v[30:31], v[26:27], v[28:29] neg_lo:[0,1] neg_hi:[0,1]
	v_add_f32_e32 v28, 1.0, v31
	s_delay_alu instid0(VALU_DEP_3) | instskip(SKIP_1) | instid1(VALU_DEP_2)
	v_subrev_co_ci_u32_e64 v9, null, 0, v9, vcc_lo
	v_cmp_neq_f32_e32 vcc_lo, 0x7f800000, v26
	v_sub_nc_u32_e32 v24, 0, v9
	s_delay_alu instid0(VALU_DEP_1) | instskip(NEXT) | instid1(VALU_DEP_1)
	v_ldexp_f32 v27, v29, v24
	v_dual_add_f32 v31, 1.0, v27 :: v_dual_add_f32 v28, v30, v28
	s_delay_alu instid0(VALU_DEP_1) | instskip(SKIP_1) | instid1(VALU_DEP_3)
	v_add_f32_e32 v29, -1.0, v31
	v_add_f32_e32 v35, -1.0, v27
	v_ldexp_f32 v24, v28, v24
	s_delay_alu instid0(VALU_DEP_2) | instskip(NEXT) | instid1(VALU_DEP_1)
	v_dual_sub_f32 v28, v27, v29 :: v_dual_add_f32 v29, 1.0, v35
	v_add_f32_e32 v28, v24, v28
	s_delay_alu instid0(VALU_DEP_1) | instskip(NEXT) | instid1(VALU_DEP_1)
	v_add_f32_e32 v38, v31, v28
	v_dual_sub_f32 v27, v27, v29 :: v_dual_sub_f32 v31, v38, v31
	s_delay_alu instid0(VALU_DEP_1) | instskip(SKIP_1) | instid1(VALU_DEP_1)
	v_add_f32_e32 v24, v24, v27
	v_rcp_f32_e32 v27, v38
	v_add_f32_e32 v29, v35, v24
	s_delay_alu instid0(TRANS32_DEP_1) | instid1(VALU_DEP_1)
	v_mul_f32_e32 v39, v29, v27
	s_delay_alu instid0(VALU_DEP_1) | instskip(SKIP_1) | instid1(VALU_DEP_2)
	v_mul_f32_e32 v30, v38, v39
	v_sub_f32_e32 v40, v28, v31
	v_dual_sub_f32 v35, v29, v35 :: v_dual_fma_f32 v36, v39, v38, -v30
	s_delay_alu instid0(VALU_DEP_1) | instskip(NEXT) | instid1(VALU_DEP_1)
	v_dual_sub_f32 v24, v24, v35 :: v_dual_fmac_f32 v36, v39, v40
	v_add_f32_e32 v28, v30, v36
	s_delay_alu instid0(VALU_DEP_1) | instskip(NEXT) | instid1(VALU_DEP_1)
	v_dual_sub_f32 v31, v29, v28 :: v_dual_mov_b32 v37, v28
	v_pk_add_f32 v[28:29], v[28:29], v[30:31] neg_lo:[0,1] neg_hi:[0,1]
	s_delay_alu instid0(VALU_DEP_1) | instskip(NEXT) | instid1(VALU_DEP_1)
	v_pk_add_f32 v[28:29], v[28:29], v[36:37] neg_lo:[0,1] neg_hi:[0,1]
	v_add_f32_e32 v24, v24, v29
	s_delay_alu instid0(VALU_DEP_1) | instskip(NEXT) | instid1(VALU_DEP_1)
	v_add_f32_e32 v24, v28, v24
	v_add_f32_e32 v29, v31, v24
	s_delay_alu instid0(VALU_DEP_1) | instskip(NEXT) | instid1(VALU_DEP_1)
	v_mul_f32_e32 v35, v27, v29
	v_mul_f32_e32 v36, v38, v35
	s_delay_alu instid0(VALU_DEP_1) | instskip(NEXT) | instid1(VALU_DEP_1)
	v_fma_f32 v30, v35, v38, -v36
	v_fmac_f32_e32 v30, v35, v40
	s_delay_alu instid0(VALU_DEP_1) | instskip(NEXT) | instid1(VALU_DEP_1)
	v_dual_add_f32 v28, v36, v30 :: v_dual_sub_f32 v38, v31, v29
	v_dual_sub_f32 v37, v29, v28 :: v_dual_mov_b32 v31, v28
	s_delay_alu instid0(VALU_DEP_2) | instskip(NEXT) | instid1(VALU_DEP_2)
	v_dual_add_f32 v24, v24, v38 :: v_dual_add_f32 v38, v39, v35
	v_pk_add_f32 v[28:29], v[28:29], v[36:37] neg_lo:[0,1] neg_hi:[0,1]
	s_delay_alu instid0(VALU_DEP_1) | instskip(NEXT) | instid1(VALU_DEP_1)
	v_pk_add_f32 v[28:29], v[28:29], v[30:31] neg_lo:[0,1] neg_hi:[0,1]
	v_add_f32_e32 v24, v24, v29
	s_delay_alu instid0(VALU_DEP_1) | instskip(NEXT) | instid1(VALU_DEP_1)
	v_dual_add_f32 v24, v28, v24 :: v_dual_sub_f32 v28, v38, v39
	v_add_f32_e32 v24, v37, v24
	s_delay_alu instid0(VALU_DEP_2) | instskip(NEXT) | instid1(VALU_DEP_2)
	v_sub_f32_e32 v28, v35, v28
	v_mul_f32_e32 v24, v27, v24
	s_delay_alu instid0(VALU_DEP_1) | instskip(SKIP_1) | instid1(VALU_DEP_2)
	v_add_f32_e32 v24, v28, v24
	v_cvt_f32_i32_e32 v28, v9
	v_add_f32_e32 v27, v38, v24
	s_delay_alu instid0(VALU_DEP_1) | instskip(NEXT) | instid1(VALU_DEP_1)
	v_mul_f32_e32 v30, v27, v27
	v_fmaak_f32 v31, s28, v30, 0x3ecc95a3
	v_mul_f32_e32 v29, v27, v30
	s_delay_alu instid0(VALU_DEP_2) | instskip(NEXT) | instid1(VALU_DEP_1)
	v_fmaak_f32 v9, v30, v31, 0x3f2aaada
	v_pk_mul_f32 v[30:31], v[28:29], v[8:9]
	v_sub_f32_e32 v9, v27, v38
	s_delay_alu instid0(VALU_DEP_2) | instskip(NEXT) | instid1(VALU_DEP_2)
	v_fma_f32 v36, 0x3f317218, v28, -v30
	v_sub_f32_e32 v9, v24, v9
	v_ldexp_f32 v37, v27, 1
	v_mov_b32_e32 v38, v30
	s_delay_alu instid0(VALU_DEP_4) | instskip(NEXT) | instid1(VALU_DEP_4)
	v_fmac_f32_e32 v36, 0xb102e308, v28
	v_ldexp_f32 v9, v9, 1
	s_delay_alu instid0(VALU_DEP_2) | instskip(NEXT) | instid1(VALU_DEP_1)
	v_pk_add_f32 v[28:29], v[30:31], v[36:37]
	v_dual_sub_f32 v24, v29, v37 :: v_dual_mov_b32 v37, v28
	s_delay_alu instid0(VALU_DEP_1) | instskip(SKIP_1) | instid1(VALU_DEP_2)
	v_dual_mov_b32 v46, v29 :: v_dual_sub_f32 v24, v31, v24
	v_pk_add_f32 v[30:31], v[28:29], v[30:31] neg_lo:[0,1] neg_hi:[0,1]
	v_add_f32_e32 v39, v9, v24
	v_max_num_f32_e64 v9, |v23|, |v23|
	v_max_num_f32_e64 v24, |v22|, |v22|
	s_delay_alu instid0(VALU_DEP_1) | instskip(NEXT) | instid1(VALU_DEP_4)
	v_max_num_f32_e32 v27, v24, v9
	v_pk_add_f32 v[40:41], v[28:29], v[38:39]
	s_delay_alu instid0(VALU_DEP_2) | instskip(NEXT) | instid1(VALU_DEP_2)
	v_frexp_exp_i32_f32_e32 v35, v27
	v_mov_b32_e32 v31, v41
	v_frexp_mant_f32_e32 v27, v27
	s_delay_alu instid0(VALU_DEP_2) | instskip(SKIP_2) | instid1(VALU_DEP_4)
	v_pk_add_f32 v[42:43], v[36:37], v[30:31]
	v_min_num_f32_e32 v9, v24, v9
	v_pk_add_f32 v[30:31], v[36:37], v[30:31] neg_lo:[0,1] neg_hi:[0,1]
	v_rcp_f32_e32 v27, v27
	s_delay_alu instid0(VALU_DEP_3) | instskip(NEXT) | instid1(VALU_DEP_3)
	v_mov_b32_e32 v24, v43
	v_frexp_exp_i32_f32_e32 v38, v9
	v_frexp_mant_f32_e32 v48, v9
	v_mov_b32_e32 v31, v43
	s_delay_alu instid0(VALU_DEP_4) | instskip(NEXT) | instid1(VALU_DEP_4)
	v_pk_add_f32 v[44:45], v[24:25], v[28:29] neg_lo:[0,1] neg_hi:[0,1]
	v_dual_mov_b32 v42, v41 :: v_dual_sub_nc_u32 v35, v38, v35
	v_dual_mov_b32 v29, v28 :: v_dual_mov_b32 v28, v39
	s_delay_alu instid0(VALU_DEP_3) | instskip(NEXT) | instid1(VALU_DEP_1)
	v_dual_mov_b32 v47, v44 :: v_dual_mov_b32 v9, v44
	v_pk_add_f32 v[36:37], v[42:43], v[46:47] neg_lo:[0,1] neg_hi:[0,1]
	s_delay_alu instid0(VALU_DEP_2) | instskip(SKIP_1) | instid1(VALU_DEP_3)
	v_pk_add_f32 v[38:39], v[40:41], v[8:9] neg_lo:[0,1] neg_hi:[0,1]
	v_mov_b32_e32 v38, v30
	v_pk_add_f32 v[28:29], v[28:29], v[36:37] neg_lo:[0,1] neg_hi:[0,1]
	s_delay_alu instid0(VALU_DEP_1) | instskip(NEXT) | instid1(VALU_DEP_1)
	v_pk_add_f32 v[36:37], v[38:39], v[28:29]
	v_dual_mul_f32 v27, v48, v27 :: v_dual_mov_b32 v38, v37
	s_delay_alu instid0(VALU_DEP_1) | instskip(NEXT) | instid1(VALU_DEP_2)
	v_ldexp_f32 v9, v27, v35
	v_pk_add_f32 v[38:39], v[36:37], v[38:39]
	s_delay_alu instid0(VALU_DEP_2) | instskip(NEXT) | instid1(VALU_DEP_2)
	v_mul_f32_e32 v27, v9, v9
	v_pk_add_f32 v[40:41], v[24:25], v[38:39]
	s_delay_alu instid0(VALU_DEP_1) | instskip(NEXT) | instid1(VALU_DEP_1)
	v_mov_b32_e32 v37, v40
	v_pk_add_f32 v[42:43], v[36:37], v[30:31] neg_lo:[0,1] neg_hi:[0,1]
	s_delay_alu instid0(VALU_DEP_1) | instskip(NEXT) | instid1(VALU_DEP_1)
	v_sub_f32_e32 v31, v36, v42
	v_sub_f32_e32 v30, v30, v31
	v_fmaak_f32 v29, s29, v27, 0xbc7a590c
	s_delay_alu instid0(VALU_DEP_1) | instskip(NEXT) | instid1(VALU_DEP_1)
	v_fmaak_f32 v29, v27, v29, 0x3d29fb3f
	v_dual_fmaak_f32 v24, v27, v29, 0xbd97d4d7 :: v_dual_mov_b32 v29, v38
	s_delay_alu instid0(VALU_DEP_1) | instskip(NEXT) | instid1(VALU_DEP_2)
	v_fmaak_f32 v24, v27, v24, 0x3dd931b2
	v_pk_add_f32 v[28:29], v[28:29], v[42:43] neg_lo:[0,1] neg_hi:[0,1]
	s_delay_alu instid0(VALU_DEP_1) | instskip(NEXT) | instid1(VALU_DEP_3)
	v_add_f32_e32 v28, v28, v30
	v_fmaak_f32 v24, v27, v24, 0xbe1160e6
	s_delay_alu instid0(VALU_DEP_1) | instskip(NEXT) | instid1(VALU_DEP_1)
	v_fmaak_f32 v24, v27, v24, 0x3e4cb8bf
	v_fmaak_f32 v24, v27, v24, 0xbeaaaa62
	s_delay_alu instid0(VALU_DEP_1) | instskip(NEXT) | instid1(VALU_DEP_1)
	v_dual_mul_f32 v24, v27, v24 :: v_dual_add_f32 v27, v28, v29
	v_dual_fmac_f32 v9, v9, v24 :: v_dual_add_f32 v24, v40, v27
	s_delay_alu instid0(VALU_DEP_1) | instskip(NEXT) | instid1(VALU_DEP_2)
	v_sub_f32_e32 v27, 0x3fc90fdb, v9
	v_cndmask_b32_e32 v24, 0x7f800000, v24, vcc_lo
	v_cmp_gt_i32_e32 vcc_lo, 0, v22
	s_delay_alu instid0(VALU_DEP_3) | instskip(SKIP_2) | instid1(VALU_DEP_3)
	v_cndmask_b32_e64 v9, v9, v27, s6
	v_cndmask_b32_e64 v27, 0, 0x40490fdb, vcc_lo
	v_cmp_ngt_f32_e32 vcc_lo, -1.0, v26
	v_sub_f32_e32 v28, 0x40490fdb, v9
	v_cndmask_b32_e32 v24, 0x7fc00000, v24, vcc_lo
	v_cmp_gt_f32_e32 vcc_lo, 0, v22
	s_delay_alu instid0(VALU_DEP_2) | instskip(NEXT) | instid1(VALU_DEP_4)
	v_cndmask_b32_e64 v22, 0xff800000, v24, s7
	v_cndmask_b32_e32 v9, v9, v28, vcc_lo
	v_cndmask_b32_e32 v28, 0x3f490fdb, v32, vcc_lo
	v_cmp_gt_f32_e64 vcc_lo, 0x33800000, |v26|
	v_cmp_class_f32_e64 s7, v23, 0x204
	v_cndmask_b32_e32 v22, v22, v26, vcc_lo
	v_cmp_eq_f32_e32 vcc_lo, 0, v23
	s_delay_alu instid0(VALU_DEP_2) | instskip(SKIP_1) | instid1(VALU_DEP_1)
	v_dual_mul_f32 v24, 0.5, v22 :: v_dual_cndmask_b32 v9, v9, v27
	s_and_b32 vcc_lo, s7, s9
                                        ; implicit-def: $vgpr26_vgpr27
	v_cndmask_b32_e32 v35, v9, v28, vcc_lo
.LBB186_52:                             ;   in Loop: Header=BB186_4 Depth=1
	s_and_not1_saveexec_b32 s35, s8
	s_cbranch_execz .LBB186_60
; %bb.53:                               ;   in Loop: Header=BB186_4 Depth=1
	v_pk_mul_f32 v[28:29], v[26:27], v[26:27]
                                        ; implicit-def: $vgpr24
                                        ; implicit-def: $vgpr35
	s_mov_b32 s7, exec_lo
	s_delay_alu instid0(VALU_DEP_1) | instskip(NEXT) | instid1(VALU_DEP_1)
	v_add_f32_e32 v9, v29, v28
	v_cmpx_ge_f32_e32 0x3f333333, v9
	s_xor_b32 s8, exec_lo, s7
	s_cbranch_execz .LBB186_55
; %bb.54:                               ;   in Loop: Header=BB186_4 Depth=1
	v_max_num_f32_e64 v24, |v23|, |v23|
	v_max_num_f32_e64 v26, |v22|, |v22|
	v_cmp_gt_f32_e32 vcc_lo, 0x800000, v9
	v_cmp_gt_i32_e64 s7, 0, v22
	v_cmp_class_f32_e64 s9, v22, 0x204
	v_cmp_class_f32_e64 s10, v23, 0x204
	v_dual_max_num_f32 v27, v26, v24 :: v_dual_min_num_f32 v24, v26, v24
	v_cndmask_b32_e64 v29, 0, 0x41b17218, vcc_lo
	s_delay_alu instid0(VALU_DEP_2) | instskip(SKIP_1) | instid1(VALU_DEP_2)
	v_frexp_mant_f32_e32 v28, v27
	v_frexp_exp_i32_f32_e32 v26, v27
	v_rcp_f32_e32 v27, v28
	v_nop
	v_frexp_exp_i32_f32_e32 v28, v24
	v_frexp_mant_f32_e32 v24, v24
	s_delay_alu instid0(VALU_DEP_2)
	v_sub_nc_u32_e32 v26, v28, v26
	s_delay_alu instid0(TRANS32_DEP_1) | instid1(VALU_DEP_2)
	v_mul_f32_e32 v24, v24, v27
	v_cndmask_b32_e64 v28, 0, 32, vcc_lo
	s_delay_alu instid0(VALU_DEP_2) | instskip(NEXT) | instid1(VALU_DEP_2)
	v_ldexp_f32 v24, v24, v26
	v_ldexp_f32 v9, v9, v28
	s_delay_alu instid0(VALU_DEP_2) | instskip(NEXT) | instid1(VALU_DEP_2)
	v_mul_f32_e32 v26, v24, v24
	v_log_f32_e32 v9, v9
	s_delay_alu instid0(VALU_DEP_1) | instskip(NEXT) | instid1(TRANS32_DEP_1)
	v_fmaak_f32 v27, s29, v26, 0xbc7a590c
	v_cmp_gt_f32_e64 vcc_lo, 0x7f800000, |v9|
	s_delay_alu instid0(VALU_DEP_2) | instskip(NEXT) | instid1(VALU_DEP_1)
	v_fmaak_f32 v27, v26, v27, 0x3d29fb3f
	v_fmaak_f32 v27, v26, v27, 0xbd97d4d7
	s_delay_alu instid0(VALU_DEP_1) | instskip(NEXT) | instid1(VALU_DEP_1)
	v_fmaak_f32 v27, v26, v27, 0x3dd931b2
	v_fmaak_f32 v27, v26, v27, 0xbe1160e6
	s_delay_alu instid0(VALU_DEP_1) | instskip(NEXT) | instid1(VALU_DEP_1)
	;; [unrolled: 3-line block ×3, first 2 shown]
	v_dual_mul_f32 v26, v26, v27 :: v_dual_mul_f32 v27, 0x3f317217, v9
	v_fmac_f32_e32 v24, v24, v26
	s_delay_alu instid0(VALU_DEP_2) | instskip(NEXT) | instid1(VALU_DEP_2)
	v_fma_f32 v26, 0x3f317217, v9, -v27
	v_sub_f32_e32 v27, 0x3fc90fdb, v24
	s_delay_alu instid0(VALU_DEP_2) | instskip(NEXT) | instid1(VALU_DEP_2)
	v_fmac_f32_e32 v26, 0x3377d1cf, v9
	v_cndmask_b32_e64 v24, v24, v27, s6
	s_delay_alu instid0(VALU_DEP_2) | instskip(SKIP_2) | instid1(VALU_DEP_3)
	v_fmac_f32_e32 v26, 0x3f317217, v9
	v_cndmask_b32_e64 v27, 0, 0x40490fdb, s7
	v_cmp_eq_f32_e64 s7, 0, v23
	v_dual_sub_f32 v28, 0x40490fdb, v24 :: v_dual_cndmask_b32 v9, v9, v26
	v_cmp_gt_f32_e32 vcc_lo, 0, v22
	s_delay_alu instid0(VALU_DEP_2) | instskip(SKIP_2) | instid1(VALU_DEP_2)
	v_dual_cndmask_b32 v24, v24, v28 :: v_dual_sub_f32 v9, v9, v29
	v_cndmask_b32_e32 v26, 0x3f490fdb, v32, vcc_lo
	s_and_b32 vcc_lo, s10, s9
	v_dual_cndmask_b32 v22, v24, v27, s7 :: v_dual_mul_f32 v24, 0.5, v9
	s_delay_alu instid0(VALU_DEP_1)
	v_cndmask_b32_e32 v35, v22, v26, vcc_lo
                                        ; implicit-def: $vgpr26
.LBB186_55:                             ;   in Loop: Header=BB186_4 Depth=1
	s_and_not1_saveexec_b32 s36, s8
	s_cbranch_execz .LBB186_59
; %bb.56:                               ;   in Loop: Header=BB186_4 Depth=1
	v_and_b32_e32 v29, 0x7fff0000, v26
	v_and_b32_e32 v28, 0x7fff0000, v27
	s_mov_b32 s37, 0
	s_delay_alu instid0(VALU_DEP_1) | instskip(SKIP_2) | instid1(VALU_DEP_2)
	v_dual_add_f32 v37, v29, v29 :: v_dual_add_f32 v24, v28, v28
	v_pk_add_f32 v[30:31], v[26:27], v[28:29] op_sel:[1,0] op_sel_hi:[0,1] neg_lo:[0,1] neg_hi:[0,1]
	v_pk_mul_f32 v[26:27], v[28:29], v[28:29]
	v_and_b32_e32 v39, 0xffff0000, v31
	s_delay_alu instid0(VALU_DEP_3) | instskip(NEXT) | instid1(VALU_DEP_1)
	v_and_b32_e32 v38, 0xffff0000, v30
	v_dual_add_f32 v41, v39, v39 :: v_dual_add_f32 v40, v38, v38
	v_pk_add_f32 v[28:29], v[30:31], v[38:39] neg_lo:[0,1] neg_hi:[0,1]
	v_dual_mul_f32 v9, v24, v38 :: v_dual_mul_f32 v36, v37, v39
	v_pk_mul_f32 v[30:31], v[38:39], v[38:39]
	s_delay_alu instid0(VALU_DEP_3)
	v_dual_mul_f32 v35, v24, v28 :: v_dual_mul_f32 v38, v37, v29
	v_dual_mul_f32 v24, v40, v28 :: v_dual_mul_f32 v37, v41, v29
	v_pk_mul_f32 v[28:29], v[28:29], v[28:29]
.LBB186_57:                             ;   Parent Loop BB186_4 Depth=1
                                        ; =>  This Inner Loop Header: Depth=2
	v_cmp_nlt_f32_e32 vcc_lo, v26, v27
	v_dual_cndmask_b32 v39, v26, v27 :: v_dual_cndmask_b32 v26, v27, v26
	s_delay_alu instid0(VALU_DEP_1) | instskip(NEXT) | instid1(VALU_DEP_1)
	v_cmp_nlt_f32_e64 s7, v39, v9
	v_dual_cndmask_b32 v40, v39, v9, s7 :: v_dual_cndmask_b32 v27, v9, v39, s7
	s_and_b32 s7, vcc_lo, s7
	s_delay_alu instid0(VALU_DEP_1) | instskip(NEXT) | instid1(VALU_DEP_1)
	v_cmp_nlt_f32_e64 s8, v40, v36
	v_cndmask_b32_e64 v41, v40, v36, s8
	v_cndmask_b32_e64 v9, v36, v40, s8
	s_delay_alu instid0(VALU_DEP_2) | instskip(NEXT) | instid1(VALU_DEP_1)
	v_cmp_nlt_f32_e64 s9, v41, v30
	v_cndmask_b32_e64 v39, v41, v30, s9
	s_and_b32 s38, s8, s9
	s_delay_alu instid0(VALU_DEP_1) | instskip(NEXT) | instid1(VALU_DEP_1)
	v_cmp_nlt_f32_e64 s10, v39, v31
	v_dual_cndmask_b32 v40, v39, v31, s10 :: v_dual_cndmask_b32 v36, v30, v41, s9
	v_cndmask_b32_e64 v30, v31, v39, s10
	s_delay_alu instid0(VALU_DEP_2) | instskip(NEXT) | instid1(VALU_DEP_1)
	v_cmp_nlt_f32_e64 s11, v40, v35
	v_cndmask_b32_e64 v42, v40, v35, s11
	s_and_b32 s10, s10, s11
	s_delay_alu instid0(VALU_DEP_1) | instskip(NEXT) | instid1(VALU_DEP_1)
	v_cmp_nlt_f32_e64 s12, v42, v38
	v_cndmask_b32_e64 v43, v42, v38, s12
	s_and_b32 s10, s10, s12
	s_delay_alu instid0(VALU_DEP_1) | instskip(NEXT) | instid1(VALU_DEP_1)
	v_cmp_nlt_f32_e64 s13, v43, v24
	v_cndmask_b32_e64 v41, v43, v24, s13
	v_dual_cndmask_b32 v31, v35, v40, s11 :: v_dual_cndmask_b32 v35, v38, v42, s12
	s_and_b32 s11, s10, s13
	v_cndmask_b32_e64 v38, v24, v43, s13
	s_delay_alu instid0(VALU_DEP_3) | instskip(NEXT) | instid1(VALU_DEP_1)
	v_cmp_nlt_f32_e64 s8, v41, v37
	v_cndmask_b32_e64 v39, v41, v37, s8
	v_cndmask_b32_e64 v24, v37, v41, s8
	s_and_b32 s8, s11, s8
	s_delay_alu instid0(VALU_DEP_2) | instskip(NEXT) | instid1(VALU_DEP_1)
	v_cmp_nlt_f32_e64 s9, v39, v28
	v_dual_cndmask_b32 v40, v39, v28, s9 :: v_dual_cndmask_b32 v37, v28, v39, s9
	s_and_b32 s8, s8, s9
	s_delay_alu instid0(VALU_DEP_1) | instskip(SKIP_3) | instid1(SALU_CYCLE_1)
	v_cmp_nlt_f32_e64 s10, v40, v29
	s_and_b32 s8, s8, s10
	v_dual_cndmask_b32 v28, v29, v40, s10 :: v_dual_cndmask_b32 v29, v40, v29, s10
	s_and_b32 s8, s8, s38
	s_and_b32 s7, s8, s7
	s_delay_alu instid0(SALU_CYCLE_1) | instskip(NEXT) | instid1(SALU_CYCLE_1)
	s_and_b32 s7, exec_lo, s7
	s_or_b32 s37, s7, s37
	s_delay_alu instid0(SALU_CYCLE_1)
	s_and_not1_b32 exec_lo, exec_lo, s37
	s_cbranch_execnz .LBB186_57
; %bb.58:                               ;   in Loop: Header=BB186_4 Depth=1
	s_or_b32 exec_lo, exec_lo, s37
	v_add_f32_e32 v26, -1.0, v26
	v_cmp_class_f32_e64 s8, v22, 0x204
	s_delay_alu instid0(VALU_DEP_2) | instskip(NEXT) | instid1(VALU_DEP_1)
	v_add_f32_e32 v26, v26, v27
	v_add_f32_e32 v9, v26, v9
	s_delay_alu instid0(VALU_DEP_1) | instskip(NEXT) | instid1(VALU_DEP_1)
	v_add_f32_e32 v9, v9, v36
	v_add_f32_e32 v9, v9, v30
	s_delay_alu instid0(VALU_DEP_1) | instskip(NEXT) | instid1(VALU_DEP_1)
	v_add_f32_e32 v9, v9, v31
	v_add_f32_e32 v9, v9, v35
	s_delay_alu instid0(VALU_DEP_1) | instskip(NEXT) | instid1(VALU_DEP_1)
	v_add_f32_e32 v9, v9, v38
	v_add_f32_e32 v9, v9, v24
	s_delay_alu instid0(VALU_DEP_1) | instskip(NEXT) | instid1(VALU_DEP_1)
	v_add_f32_e32 v9, v9, v37
	v_add_f32_e32 v9, v9, v28
	s_delay_alu instid0(VALU_DEP_1) | instskip(NEXT) | instid1(VALU_DEP_1)
	v_add_f32_e32 v26, v29, v9
	v_add_f32_e32 v29, 1.0, v26
	s_delay_alu instid0(VALU_DEP_1) | instskip(SKIP_2) | instid1(VALU_DEP_2)
	v_cvt_f64_f32_e32 v[30:31], v29
	v_frexp_mant_f32_e32 v24, v29
	v_add_f32_e32 v27, -1.0, v29
	v_cmp_gt_f32_e32 vcc_lo, 0x3f2aaaab, v24
	s_delay_alu instid0(VALU_DEP_2) | instskip(SKIP_1) | instid1(VALU_DEP_1)
	v_mov_b32_e32 v28, v27
	v_frexp_exp_i32_f64_e32 v9, v[30:31]
	v_subrev_co_ci_u32_e64 v9, null, 0, v9, vcc_lo
	s_delay_alu instid0(VALU_DEP_1) | instskip(NEXT) | instid1(VALU_DEP_4)
	v_sub_nc_u32_e32 v24, 0, v9
	v_pk_add_f32 v[30:31], v[26:27], v[28:29] neg_lo:[0,1] neg_hi:[0,1]
	v_cmp_neq_f32_e32 vcc_lo, 0x7f800000, v26
	v_cmp_neq_f32_e64 s7, -1.0, v26
	s_delay_alu instid0(VALU_DEP_4) | instskip(NEXT) | instid1(VALU_DEP_4)
	v_ldexp_f32 v27, v29, v24
	v_add_f32_e32 v28, 1.0, v31
	s_delay_alu instid0(VALU_DEP_1) | instskip(NEXT) | instid1(VALU_DEP_1)
	v_dual_add_f32 v31, 1.0, v27 :: v_dual_add_f32 v28, v30, v28
	v_add_f32_e32 v29, -1.0, v31
	v_add_f32_e32 v35, -1.0, v27
	s_delay_alu instid0(VALU_DEP_3) | instskip(NEXT) | instid1(VALU_DEP_2)
	v_ldexp_f32 v24, v28, v24
	v_dual_sub_f32 v28, v27, v29 :: v_dual_add_f32 v29, 1.0, v35
	s_delay_alu instid0(VALU_DEP_1) | instskip(NEXT) | instid1(VALU_DEP_1)
	v_add_f32_e32 v28, v24, v28
	v_add_f32_e32 v38, v31, v28
	s_delay_alu instid0(VALU_DEP_1) | instskip(NEXT) | instid1(VALU_DEP_1)
	v_dual_sub_f32 v27, v27, v29 :: v_dual_sub_f32 v31, v38, v31
	v_add_f32_e32 v24, v24, v27
	v_rcp_f32_e32 v27, v38
	s_delay_alu instid0(VALU_DEP_1)
	v_add_f32_e32 v29, v35, v24
	s_delay_alu instid0(TRANS32_DEP_1) | instid1(VALU_DEP_1)
	v_mul_f32_e32 v39, v29, v27
	s_delay_alu instid0(VALU_DEP_1) | instskip(SKIP_1) | instid1(VALU_DEP_2)
	v_mul_f32_e32 v30, v38, v39
	v_sub_f32_e32 v40, v28, v31
	v_dual_sub_f32 v35, v29, v35 :: v_dual_fma_f32 v36, v39, v38, -v30
	s_delay_alu instid0(VALU_DEP_1) | instskip(NEXT) | instid1(VALU_DEP_1)
	v_dual_sub_f32 v24, v24, v35 :: v_dual_fmac_f32 v36, v39, v40
	v_add_f32_e32 v28, v30, v36
	s_delay_alu instid0(VALU_DEP_1) | instskip(NEXT) | instid1(VALU_DEP_1)
	v_dual_sub_f32 v31, v29, v28 :: v_dual_mov_b32 v37, v28
	v_pk_add_f32 v[28:29], v[28:29], v[30:31] neg_lo:[0,1] neg_hi:[0,1]
	s_delay_alu instid0(VALU_DEP_1) | instskip(NEXT) | instid1(VALU_DEP_1)
	v_pk_add_f32 v[28:29], v[28:29], v[36:37] neg_lo:[0,1] neg_hi:[0,1]
	v_add_f32_e32 v24, v24, v29
	s_delay_alu instid0(VALU_DEP_1) | instskip(NEXT) | instid1(VALU_DEP_1)
	v_add_f32_e32 v24, v28, v24
	v_add_f32_e32 v29, v31, v24
	s_delay_alu instid0(VALU_DEP_1) | instskip(NEXT) | instid1(VALU_DEP_1)
	v_mul_f32_e32 v35, v27, v29
	v_mul_f32_e32 v36, v38, v35
	s_delay_alu instid0(VALU_DEP_1) | instskip(NEXT) | instid1(VALU_DEP_1)
	v_fma_f32 v30, v35, v38, -v36
	v_fmac_f32_e32 v30, v35, v40
	s_delay_alu instid0(VALU_DEP_1) | instskip(NEXT) | instid1(VALU_DEP_1)
	v_dual_add_f32 v28, v36, v30 :: v_dual_sub_f32 v38, v31, v29
	v_dual_sub_f32 v37, v29, v28 :: v_dual_mov_b32 v31, v28
	s_delay_alu instid0(VALU_DEP_2) | instskip(NEXT) | instid1(VALU_DEP_2)
	v_dual_add_f32 v24, v24, v38 :: v_dual_add_f32 v38, v39, v35
	v_pk_add_f32 v[28:29], v[28:29], v[36:37] neg_lo:[0,1] neg_hi:[0,1]
	s_delay_alu instid0(VALU_DEP_1) | instskip(NEXT) | instid1(VALU_DEP_1)
	v_pk_add_f32 v[28:29], v[28:29], v[30:31] neg_lo:[0,1] neg_hi:[0,1]
	v_add_f32_e32 v24, v24, v29
	s_delay_alu instid0(VALU_DEP_1) | instskip(NEXT) | instid1(VALU_DEP_1)
	v_dual_add_f32 v24, v28, v24 :: v_dual_sub_f32 v28, v38, v39
	v_add_f32_e32 v24, v37, v24
	s_delay_alu instid0(VALU_DEP_2) | instskip(NEXT) | instid1(VALU_DEP_2)
	v_sub_f32_e32 v28, v35, v28
	v_mul_f32_e32 v24, v27, v24
	s_delay_alu instid0(VALU_DEP_1) | instskip(SKIP_1) | instid1(VALU_DEP_2)
	v_add_f32_e32 v24, v28, v24
	v_cvt_f32_i32_e32 v28, v9
	v_add_f32_e32 v27, v38, v24
	s_delay_alu instid0(VALU_DEP_1) | instskip(NEXT) | instid1(VALU_DEP_1)
	v_mul_f32_e32 v30, v27, v27
	v_fmaak_f32 v31, s28, v30, 0x3ecc95a3
	v_mul_f32_e32 v29, v27, v30
	s_delay_alu instid0(VALU_DEP_2) | instskip(NEXT) | instid1(VALU_DEP_1)
	v_fmaak_f32 v9, v30, v31, 0x3f2aaada
	v_pk_mul_f32 v[30:31], v[28:29], v[8:9]
	v_sub_f32_e32 v9, v27, v38
	s_delay_alu instid0(VALU_DEP_2) | instskip(NEXT) | instid1(VALU_DEP_2)
	v_fma_f32 v36, 0x3f317218, v28, -v30
	v_sub_f32_e32 v9, v24, v9
	v_ldexp_f32 v37, v27, 1
	v_mov_b32_e32 v38, v30
	s_delay_alu instid0(VALU_DEP_4) | instskip(NEXT) | instid1(VALU_DEP_4)
	v_fmac_f32_e32 v36, 0xb102e308, v28
	v_ldexp_f32 v9, v9, 1
	s_delay_alu instid0(VALU_DEP_2) | instskip(NEXT) | instid1(VALU_DEP_1)
	v_pk_add_f32 v[28:29], v[30:31], v[36:37]
	v_dual_sub_f32 v24, v29, v37 :: v_dual_mov_b32 v37, v28
	s_delay_alu instid0(VALU_DEP_1) | instskip(SKIP_1) | instid1(VALU_DEP_2)
	v_dual_mov_b32 v46, v29 :: v_dual_sub_f32 v24, v31, v24
	v_pk_add_f32 v[30:31], v[28:29], v[30:31] neg_lo:[0,1] neg_hi:[0,1]
	v_add_f32_e32 v39, v9, v24
	v_max_num_f32_e64 v9, |v23|, |v23|
	v_max_num_f32_e64 v24, |v22|, |v22|
	s_delay_alu instid0(VALU_DEP_1) | instskip(NEXT) | instid1(VALU_DEP_4)
	v_max_num_f32_e32 v27, v24, v9
	v_pk_add_f32 v[40:41], v[28:29], v[38:39]
	s_delay_alu instid0(VALU_DEP_2) | instskip(NEXT) | instid1(VALU_DEP_2)
	v_frexp_exp_i32_f32_e32 v35, v27
	v_mov_b32_e32 v31, v41
	v_frexp_mant_f32_e32 v27, v27
	s_delay_alu instid0(VALU_DEP_2) | instskip(SKIP_2) | instid1(VALU_DEP_4)
	v_pk_add_f32 v[42:43], v[36:37], v[30:31]
	v_min_num_f32_e32 v9, v24, v9
	v_pk_add_f32 v[30:31], v[36:37], v[30:31] neg_lo:[0,1] neg_hi:[0,1]
	v_rcp_f32_e32 v27, v27
	s_delay_alu instid0(VALU_DEP_3) | instskip(NEXT) | instid1(VALU_DEP_3)
	v_mov_b32_e32 v24, v43
	v_frexp_exp_i32_f32_e32 v38, v9
	v_frexp_mant_f32_e32 v48, v9
	v_mov_b32_e32 v31, v43
	s_delay_alu instid0(VALU_DEP_4) | instskip(NEXT) | instid1(VALU_DEP_4)
	v_pk_add_f32 v[44:45], v[24:25], v[28:29] neg_lo:[0,1] neg_hi:[0,1]
	v_dual_mov_b32 v42, v41 :: v_dual_sub_nc_u32 v35, v38, v35
	v_dual_mov_b32 v29, v28 :: v_dual_mov_b32 v28, v39
	s_delay_alu instid0(VALU_DEP_3) | instskip(NEXT) | instid1(VALU_DEP_1)
	v_dual_mov_b32 v47, v44 :: v_dual_mov_b32 v9, v44
	v_pk_add_f32 v[36:37], v[42:43], v[46:47] neg_lo:[0,1] neg_hi:[0,1]
	s_delay_alu instid0(VALU_DEP_2) | instskip(SKIP_1) | instid1(VALU_DEP_3)
	v_pk_add_f32 v[38:39], v[40:41], v[8:9] neg_lo:[0,1] neg_hi:[0,1]
	v_mov_b32_e32 v38, v30
	v_pk_add_f32 v[28:29], v[28:29], v[36:37] neg_lo:[0,1] neg_hi:[0,1]
	s_delay_alu instid0(VALU_DEP_1) | instskip(NEXT) | instid1(VALU_DEP_1)
	v_pk_add_f32 v[36:37], v[38:39], v[28:29]
	v_dual_mul_f32 v27, v48, v27 :: v_dual_mov_b32 v38, v37
	s_delay_alu instid0(VALU_DEP_1) | instskip(NEXT) | instid1(VALU_DEP_2)
	v_ldexp_f32 v9, v27, v35
	v_pk_add_f32 v[38:39], v[36:37], v[38:39]
	s_delay_alu instid0(VALU_DEP_2) | instskip(NEXT) | instid1(VALU_DEP_2)
	v_mul_f32_e32 v27, v9, v9
	v_pk_add_f32 v[40:41], v[24:25], v[38:39]
	s_delay_alu instid0(VALU_DEP_1) | instskip(NEXT) | instid1(VALU_DEP_1)
	v_mov_b32_e32 v37, v40
	v_pk_add_f32 v[42:43], v[36:37], v[30:31] neg_lo:[0,1] neg_hi:[0,1]
	s_delay_alu instid0(VALU_DEP_1) | instskip(NEXT) | instid1(VALU_DEP_1)
	v_sub_f32_e32 v31, v36, v42
	v_sub_f32_e32 v30, v30, v31
	v_fmaak_f32 v29, s29, v27, 0xbc7a590c
	s_delay_alu instid0(VALU_DEP_1) | instskip(NEXT) | instid1(VALU_DEP_1)
	v_fmaak_f32 v29, v27, v29, 0x3d29fb3f
	v_dual_fmaak_f32 v24, v27, v29, 0xbd97d4d7 :: v_dual_mov_b32 v29, v38
	s_delay_alu instid0(VALU_DEP_1) | instskip(NEXT) | instid1(VALU_DEP_2)
	v_fmaak_f32 v24, v27, v24, 0x3dd931b2
	v_pk_add_f32 v[28:29], v[28:29], v[42:43] neg_lo:[0,1] neg_hi:[0,1]
	s_delay_alu instid0(VALU_DEP_1) | instskip(NEXT) | instid1(VALU_DEP_3)
	v_add_f32_e32 v28, v28, v30
	v_fmaak_f32 v24, v27, v24, 0xbe1160e6
	s_delay_alu instid0(VALU_DEP_1) | instskip(NEXT) | instid1(VALU_DEP_1)
	v_fmaak_f32 v24, v27, v24, 0x3e4cb8bf
	v_fmaak_f32 v24, v27, v24, 0xbeaaaa62
	s_delay_alu instid0(VALU_DEP_1) | instskip(NEXT) | instid1(VALU_DEP_1)
	v_dual_mul_f32 v24, v27, v24 :: v_dual_add_f32 v27, v28, v29
	v_dual_fmac_f32 v9, v9, v24 :: v_dual_add_f32 v24, v40, v27
	s_delay_alu instid0(VALU_DEP_1) | instskip(NEXT) | instid1(VALU_DEP_2)
	v_sub_f32_e32 v27, 0x3fc90fdb, v9
	v_cndmask_b32_e32 v24, 0x7f800000, v24, vcc_lo
	v_cmp_gt_i32_e32 vcc_lo, 0, v22
	s_delay_alu instid0(VALU_DEP_3) | instskip(SKIP_2) | instid1(VALU_DEP_3)
	v_cndmask_b32_e64 v9, v9, v27, s6
	v_cndmask_b32_e64 v27, 0, 0x40490fdb, vcc_lo
	v_cmp_ngt_f32_e32 vcc_lo, -1.0, v26
	v_sub_f32_e32 v28, 0x40490fdb, v9
	v_cndmask_b32_e32 v24, 0x7fc00000, v24, vcc_lo
	v_cmp_gt_f32_e32 vcc_lo, 0, v22
	s_delay_alu instid0(VALU_DEP_2) | instskip(NEXT) | instid1(VALU_DEP_4)
	v_cndmask_b32_e64 v22, 0xff800000, v24, s7
	v_cndmask_b32_e32 v9, v9, v28, vcc_lo
	v_cndmask_b32_e32 v28, 0x3f490fdb, v32, vcc_lo
	v_cmp_gt_f32_e64 vcc_lo, 0x33800000, |v26|
	v_cmp_class_f32_e64 s7, v23, 0x204
	v_cndmask_b32_e32 v22, v22, v26, vcc_lo
	v_cmp_eq_f32_e32 vcc_lo, 0, v23
	s_delay_alu instid0(VALU_DEP_2) | instskip(SKIP_1) | instid1(VALU_DEP_1)
	v_dual_mul_f32 v24, 0.5, v22 :: v_dual_cndmask_b32 v9, v9, v27
	s_and_b32 vcc_lo, s7, s8
	v_cndmask_b32_e32 v35, v9, v28, vcc_lo
.LBB186_59:                             ;   in Loop: Header=BB186_4 Depth=1
	s_or_b32 exec_lo, exec_lo, s36
.LBB186_60:                             ;   in Loop: Header=BB186_4 Depth=1
	s_delay_alu instid0(SALU_CYCLE_1)
	s_or_b32 exec_lo, exec_lo, s35
.LBB186_61:                             ;   in Loop: Header=BB186_4 Depth=1
	s_and_not1_saveexec_b32 s8, s34
	s_cbranch_execz .LBB186_63
; %bb.62:                               ;   in Loop: Header=BB186_4 Depth=1
	v_max_num_f32_e64 v9, |v23|, |v23|
	v_max_num_f32_e64 v24, |v22|, |v22|
	v_cmp_gt_i32_e64 s7, 0, v22
	v_cmp_class_f32_e64 s9, v22, 0x204
	v_cmp_class_f32_e64 s10, v23, 0x204
	s_delay_alu instid0(VALU_DEP_4) | instskip(NEXT) | instid1(VALU_DEP_1)
	v_dual_max_num_f32 v28, v24, v9 :: v_dual_min_num_f32 v9, v24, v9
	v_cvt_f64_f32_e32 v[26:27], v28
	v_frexp_exp_i32_f32_e32 v24, v28
	s_delay_alu instid0(VALU_DEP_3) | instskip(SKIP_2) | instid1(VALU_DEP_3)
	v_frexp_exp_i32_f32_e32 v29, v9
	v_frexp_mant_f32_e32 v9, v9
	v_cmp_neq_f32_e32 vcc_lo, 0x7f800000, v28
	v_sub_nc_u32_e32 v24, v29, v24
	v_frexp_exp_i32_f64_e32 v26, v[26:27]
	v_frexp_mant_f32_e32 v27, v28
	s_delay_alu instid0(VALU_DEP_1) | instskip(SKIP_1) | instid1(TRANS32_DEP_1)
	v_rcp_f32_e32 v27, v27
	v_nop
	v_mul_f32_e32 v9, v9, v27
	s_delay_alu instid0(VALU_DEP_1) | instskip(SKIP_1) | instid1(VALU_DEP_1)
	v_ldexp_f32 v9, v9, v24
	v_sub_nc_u32_e32 v24, 0, v26
	v_ldexp_f32 v29, |v23|, v24
	v_ldexp_f32 v24, |v22|, v24
	s_delay_alu instid0(VALU_DEP_2) | instskip(NEXT) | instid1(VALU_DEP_1)
	v_mul_f32_e32 v29, v29, v29
	v_dual_mul_f32 v27, v9, v9 :: v_dual_fmac_f32 v29, v24, v24
	s_delay_alu instid0(VALU_DEP_1) | instskip(NEXT) | instid1(VALU_DEP_2)
	v_fmaak_f32 v30, s29, v27, 0xbc7a590c
	v_sqrt_f32_e32 v29, v29
	s_delay_alu instid0(VALU_DEP_1) | instskip(NEXT) | instid1(VALU_DEP_1)
	v_fmaak_f32 v30, v27, v30, 0x3d29fb3f
	v_fmaak_f32 v24, v27, v30, 0xbd97d4d7
	s_delay_alu instid0(TRANS32_DEP_1) | instskip(NEXT) | instid1(VALU_DEP_2)
	v_ldexp_f32 v26, v29, v26
	v_fmaak_f32 v24, v27, v24, 0x3dd931b2
	s_delay_alu instid0(VALU_DEP_2) | instskip(NEXT) | instid1(VALU_DEP_2)
	v_cndmask_b32_e32 v26, 0x7f800000, v26, vcc_lo
	v_fmaak_f32 v24, v27, v24, 0xbe1160e6
	s_delay_alu instid0(VALU_DEP_2) | instskip(NEXT) | instid1(VALU_DEP_2)
	v_cmp_gt_f32_e32 vcc_lo, 0x800000, v26
	v_fmaak_f32 v24, v27, v24, 0x3e4cb8bf
	v_cndmask_b32_e64 v28, 0, 32, vcc_lo
	s_delay_alu instid0(VALU_DEP_2) | instskip(NEXT) | instid1(VALU_DEP_2)
	v_fmaak_f32 v24, v27, v24, 0xbeaaaa62
	v_ldexp_f32 v26, v26, v28
	s_delay_alu instid0(VALU_DEP_2) | instskip(NEXT) | instid1(VALU_DEP_2)
	v_mul_f32_e32 v24, v27, v24
	v_log_f32_e32 v26, v26
	v_nop
	s_delay_alu instid0(TRANS32_DEP_1) | instskip(NEXT) | instid1(VALU_DEP_1)
	v_dual_fmac_f32 v9, v9, v24 :: v_dual_mul_f32 v24, 0x3f317217, v26
	v_sub_f32_e32 v27, 0x3fc90fdb, v9
	s_delay_alu instid0(VALU_DEP_2) | instskip(NEXT) | instid1(VALU_DEP_1)
	v_fma_f32 v24, 0x3f317217, v26, -v24
	v_fmac_f32_e32 v24, 0x3377d1cf, v26
	s_delay_alu instid0(VALU_DEP_1) | instskip(NEXT) | instid1(VALU_DEP_4)
	v_fmac_f32_e32 v24, 0x3f317217, v26
	v_cndmask_b32_e64 v9, v9, v27, s6
	v_cndmask_b32_e64 v27, 0, 0x40490fdb, s7
	v_cmp_gt_f32_e64 s7, 0, v22
	s_delay_alu instid0(VALU_DEP_3) | instskip(NEXT) | instid1(VALU_DEP_2)
	v_sub_f32_e32 v28, 0x40490fdb, v9
	v_cndmask_b32_e64 v22, 0x3f490fdb, v32, s7
	s_delay_alu instid0(VALU_DEP_2) | instskip(SKIP_4) | instid1(VALU_DEP_2)
	v_cndmask_b32_e64 v9, v9, v28, s7
	v_cndmask_b32_e64 v28, 0, 0x41b17218, vcc_lo
	v_cmp_gt_f32_e64 vcc_lo, 0x7f800000, |v26|
	v_cndmask_b32_e32 v24, v26, v24, vcc_lo
	v_cmp_eq_f32_e32 vcc_lo, 0, v23
	v_dual_sub_f32 v24, v24, v28 :: v_dual_cndmask_b32 v9, v9, v27
	s_and_b32 vcc_lo, s10, s9
	s_delay_alu instid0(VALU_DEP_1)
	v_cndmask_b32_e32 v35, v9, v22, vcc_lo
.LBB186_63:                             ;   in Loop: Header=BB186_4 Depth=1
	s_or_b32 exec_lo, exec_lo, s8
                                        ; implicit-def: $vgpr26
.LBB186_64:                             ;   in Loop: Header=BB186_4 Depth=1
	s_and_not1_saveexec_b32 s8, s33
	s_cbranch_execz .LBB186_70
; %bb.65:                               ;   in Loop: Header=BB186_4 Depth=1
                                        ; implicit-def: $vgpr24
                                        ; implicit-def: $vgpr35
	s_mov_b32 s7, exec_lo
	v_cmpx_ngt_f32_e32 0x1fec1e4a, v26
	s_xor_b32 s9, exec_lo, s7
	s_cbranch_execz .LBB186_67
; %bb.66:                               ;   in Loop: Header=BB186_4 Depth=1
	v_pk_mul_f32 v[26:27], v[26:27], v[26:27]
	v_cmp_class_f32_e64 s10, v22, 0x204
	s_delay_alu instid0(VALU_DEP_2) | instskip(SKIP_1) | instid1(VALU_DEP_2)
	v_add_f32_e32 v29, 1.0, v26
	v_cmp_neq_f32_e64 s7, 0x7f800000, v26
	v_add_f32_e32 v27, -1.0, v29
	s_delay_alu instid0(VALU_DEP_1) | instskip(SKIP_2) | instid1(VALU_DEP_1)
	v_mov_b32_e32 v28, v27
	v_cvt_f64_f32_e32 v[30:31], v29
	v_frexp_mant_f32_e32 v24, v29
	v_cmp_gt_f32_e32 vcc_lo, 0x3f2aaaab, v24
	s_delay_alu instid0(VALU_DEP_3) | instskip(SKIP_1) | instid1(VALU_DEP_1)
	v_frexp_exp_i32_f64_e32 v9, v[30:31]
	v_pk_add_f32 v[30:31], v[26:27], v[28:29] neg_lo:[0,1] neg_hi:[0,1]
	v_add_f32_e32 v28, 1.0, v31
	s_delay_alu instid0(VALU_DEP_3) | instskip(SKIP_1) | instid1(VALU_DEP_2)
	v_subrev_co_ci_u32_e64 v9, null, 0, v9, vcc_lo
	v_cmp_gt_i32_e32 vcc_lo, 0, v22
	v_sub_nc_u32_e32 v24, 0, v9
	s_delay_alu instid0(VALU_DEP_1) | instskip(NEXT) | instid1(VALU_DEP_1)
	v_ldexp_f32 v27, v29, v24
	v_dual_add_f32 v31, 1.0, v27 :: v_dual_add_f32 v28, v30, v28
	s_delay_alu instid0(VALU_DEP_1) | instskip(SKIP_1) | instid1(VALU_DEP_3)
	v_add_f32_e32 v29, -1.0, v31
	v_add_f32_e32 v35, -1.0, v27
	v_ldexp_f32 v24, v28, v24
	s_delay_alu instid0(VALU_DEP_2) | instskip(NEXT) | instid1(VALU_DEP_1)
	v_dual_sub_f32 v28, v27, v29 :: v_dual_add_f32 v29, 1.0, v35
	v_add_f32_e32 v28, v24, v28
	s_delay_alu instid0(VALU_DEP_1) | instskip(NEXT) | instid1(VALU_DEP_3)
	v_add_f32_e32 v38, v31, v28
	v_sub_f32_e32 v27, v27, v29
	s_delay_alu instid0(VALU_DEP_1) | instskip(NEXT) | instid1(VALU_DEP_3)
	v_add_f32_e32 v24, v24, v27
	v_rcp_f32_e32 v27, v38
	v_sub_f32_e32 v31, v31, v38
	s_delay_alu instid0(VALU_DEP_1)
	v_dual_add_f32 v29, v35, v24 :: v_dual_add_f32 v40, v28, v31
	s_delay_alu instid0(TRANS32_DEP_1) | instid1(VALU_DEP_1)
	v_dual_mul_f32 v39, v29, v27 :: v_dual_sub_f32 v35, v35, v29
	s_delay_alu instid0(VALU_DEP_1) | instskip(NEXT) | instid1(VALU_DEP_1)
	v_mul_f32_e32 v30, v38, v39
	v_dual_add_f32 v24, v24, v35 :: v_dual_fma_f32 v36, v39, v38, -v30
	s_delay_alu instid0(VALU_DEP_1) | instskip(NEXT) | instid1(VALU_DEP_1)
	v_fmac_f32_e32 v36, v39, v40
	v_add_f32_e32 v28, v30, v36
	s_delay_alu instid0(VALU_DEP_1) | instskip(NEXT) | instid1(VALU_DEP_1)
	v_dual_sub_f32 v31, v29, v28 :: v_dual_mov_b32 v37, v28
	v_pk_add_f32 v[28:29], v[28:29], v[30:31] neg_lo:[0,1] neg_hi:[0,1]
	s_delay_alu instid0(VALU_DEP_1) | instskip(NEXT) | instid1(VALU_DEP_1)
	v_pk_add_f32 v[28:29], v[28:29], v[36:37] neg_lo:[0,1] neg_hi:[0,1]
	v_add_f32_e32 v24, v24, v29
	s_delay_alu instid0(VALU_DEP_1) | instskip(NEXT) | instid1(VALU_DEP_1)
	v_add_f32_e32 v24, v28, v24
	v_add_f32_e32 v29, v31, v24
	s_delay_alu instid0(VALU_DEP_1) | instskip(NEXT) | instid1(VALU_DEP_1)
	v_mul_f32_e32 v35, v27, v29
	v_mul_f32_e32 v36, v38, v35
	s_delay_alu instid0(VALU_DEP_1) | instskip(SKIP_1) | instid1(VALU_DEP_1)
	v_fma_f32 v30, v35, v38, -v36
	v_sub_f32_e32 v38, v31, v29
	v_dual_fmac_f32 v30, v35, v40 :: v_dual_add_f32 v24, v24, v38
	s_delay_alu instid0(VALU_DEP_1) | instskip(NEXT) | instid1(VALU_DEP_1)
	v_dual_add_f32 v38, v39, v35 :: v_dual_add_f32 v28, v36, v30
	v_dual_sub_f32 v37, v29, v28 :: v_dual_mov_b32 v31, v28
	s_delay_alu instid0(VALU_DEP_1) | instskip(NEXT) | instid1(VALU_DEP_1)
	v_pk_add_f32 v[28:29], v[28:29], v[36:37] neg_lo:[0,1] neg_hi:[0,1]
	v_pk_add_f32 v[28:29], v[28:29], v[30:31] neg_lo:[0,1] neg_hi:[0,1]
	s_delay_alu instid0(VALU_DEP_1) | instskip(NEXT) | instid1(VALU_DEP_1)
	v_add_f32_e32 v24, v24, v29
	v_dual_add_f32 v24, v28, v24 :: v_dual_sub_f32 v28, v38, v39
	s_delay_alu instid0(VALU_DEP_1) | instskip(NEXT) | instid1(VALU_DEP_2)
	v_add_f32_e32 v24, v37, v24
	v_sub_f32_e32 v28, v35, v28
	v_max_num_f32_e64 v35, |v22|, |v22|
	s_delay_alu instid0(VALU_DEP_3) | instskip(NEXT) | instid1(VALU_DEP_1)
	v_mul_f32_e32 v24, v27, v24
	v_add_f32_e32 v24, v28, v24
	v_cvt_f32_i32_e32 v28, v9
	s_delay_alu instid0(VALU_DEP_2) | instskip(NEXT) | instid1(VALU_DEP_1)
	v_add_f32_e32 v27, v38, v24
	v_mul_f32_e32 v30, v27, v27
	s_delay_alu instid0(VALU_DEP_1) | instskip(SKIP_1) | instid1(VALU_DEP_2)
	v_fmaak_f32 v31, s28, v30, 0x3ecc95a3
	v_mul_f32_e32 v29, v27, v30
	v_fmaak_f32 v9, v30, v31, 0x3f2aaada
	s_delay_alu instid0(VALU_DEP_1) | instskip(SKIP_1) | instid1(VALU_DEP_2)
	v_pk_mul_f32 v[30:31], v[28:29], v[8:9]
	v_sub_f32_e32 v9, v27, v38
	v_fma_f32 v36, 0x3f317218, v28, -v30
	s_delay_alu instid0(VALU_DEP_2)
	v_sub_f32_e32 v9, v24, v9
	v_ldexp_f32 v37, v27, 1
	v_max_num_f32_e64 v27, |v23|, |v23|
	v_mov_b32_e32 v38, v30
	v_fmac_f32_e32 v36, 0xb102e308, v28
	v_ldexp_f32 v9, v9, 1
	s_delay_alu instid0(VALU_DEP_2) | instskip(NEXT) | instid1(VALU_DEP_1)
	v_pk_add_f32 v[28:29], v[30:31], v[36:37]
	v_dual_sub_f32 v24, v29, v37 :: v_dual_mov_b32 v37, v28
	s_delay_alu instid0(VALU_DEP_1) | instskip(SKIP_1) | instid1(VALU_DEP_2)
	v_sub_f32_e32 v24, v31, v24
	v_pk_add_f32 v[30:31], v[28:29], v[30:31] neg_lo:[0,1] neg_hi:[0,1]
	v_dual_add_f32 v39, v9, v24 :: v_dual_max_num_f32 v9, v35, v27
	v_min_num_f32_e32 v27, v35, v27
	s_delay_alu instid0(VALU_DEP_2) | instskip(NEXT) | instid1(VALU_DEP_3)
	v_pk_add_f32 v[40:41], v[28:29], v[38:39]
	v_frexp_mant_f32_e32 v24, v9
	v_frexp_exp_i32_f32_e32 v9, v9
	s_delay_alu instid0(VALU_DEP_4) | instskip(SKIP_3) | instid1(VALU_DEP_3)
	v_frexp_exp_i32_f32_e32 v38, v27
	v_frexp_mant_f32_e32 v27, v27
	v_mov_b32_e32 v31, v41
	v_rcp_f32_e32 v35, v24
	v_dual_mov_b32 v46, v29 :: v_dual_sub_nc_u32 v9, v38, v9
	s_delay_alu instid0(VALU_DEP_2) | instskip(NEXT) | instid1(TRANS32_DEP_1)
	v_pk_add_f32 v[42:43], v[36:37], v[30:31]
	v_dual_mov_b32 v42, v41 :: v_dual_mul_f32 v27, v27, v35
	s_delay_alu instid0(VALU_DEP_2) | instskip(SKIP_1) | instid1(VALU_DEP_3)
	v_mov_b32_e32 v24, v43
	v_pk_add_f32 v[30:31], v[36:37], v[30:31] neg_lo:[0,1] neg_hi:[0,1]
	v_ldexp_f32 v27, v27, v9
	s_delay_alu instid0(VALU_DEP_3) | instskip(SKIP_1) | instid1(VALU_DEP_2)
	v_pk_add_f32 v[44:45], v[24:25], v[28:29] neg_lo:[0,1] neg_hi:[0,1]
	v_dual_mov_b32 v29, v28 :: v_dual_mov_b32 v28, v39
	v_dual_mul_f32 v35, v27, v27 :: v_dual_mov_b32 v47, v44
	v_mov_b32_e32 v9, v44
	s_delay_alu instid0(VALU_DEP_2) | instskip(NEXT) | instid1(VALU_DEP_2)
	v_pk_add_f32 v[36:37], v[42:43], v[46:47] neg_lo:[0,1] neg_hi:[0,1]
	v_pk_add_f32 v[38:39], v[40:41], v[8:9] neg_lo:[0,1] neg_hi:[0,1]
	v_mov_b32_e32 v38, v30
	s_delay_alu instid0(VALU_DEP_3) | instskip(NEXT) | instid1(VALU_DEP_1)
	v_pk_add_f32 v[28:29], v[28:29], v[36:37] neg_lo:[0,1] neg_hi:[0,1]
	v_pk_add_f32 v[36:37], v[38:39], v[28:29]
	s_delay_alu instid0(VALU_DEP_1) | instskip(NEXT) | instid1(VALU_DEP_1)
	v_dual_fmaak_f32 v9, s29, v35, 0xbc7a590c :: v_dual_mov_b32 v38, v37
	v_pk_add_f32 v[38:39], v[36:37], v[38:39]
	s_delay_alu instid0(VALU_DEP_1) | instskip(NEXT) | instid1(VALU_DEP_1)
	v_pk_add_f32 v[40:41], v[24:25], v[38:39]
	v_dual_mov_b32 v31, v43 :: v_dual_mov_b32 v37, v40
	s_delay_alu instid0(VALU_DEP_1) | instskip(NEXT) | instid1(VALU_DEP_1)
	v_pk_add_f32 v[42:43], v[36:37], v[30:31] neg_lo:[0,1] neg_hi:[0,1]
	v_dual_fmaak_f32 v9, v35, v9, 0x3d29fb3f :: v_dual_sub_f32 v24, v36, v42
	s_delay_alu instid0(VALU_DEP_1) | instskip(NEXT) | instid1(VALU_DEP_1)
	v_dual_fmaak_f32 v9, v35, v9, 0xbd97d4d7 :: v_dual_sub_f32 v24, v30, v24
	v_fmaak_f32 v9, v35, v9, 0x3dd931b2
	s_delay_alu instid0(VALU_DEP_1) | instskip(NEXT) | instid1(VALU_DEP_1)
	v_fmaak_f32 v9, v35, v9, 0xbe1160e6
	v_fmaak_f32 v9, v35, v9, 0x3e4cb8bf
	s_delay_alu instid0(VALU_DEP_1) | instskip(NEXT) | instid1(VALU_DEP_1)
	v_fmaak_f32 v9, v35, v9, 0xbeaaaa62
	v_dual_mov_b32 v29, v38 :: v_dual_mul_f32 v9, v35, v9
	s_delay_alu instid0(VALU_DEP_1) | instskip(NEXT) | instid1(VALU_DEP_1)
	v_pk_add_f32 v[28:29], v[28:29], v[42:43] neg_lo:[0,1] neg_hi:[0,1]
	v_dual_fmac_f32 v27, v27, v9 :: v_dual_add_f32 v9, v28, v24
	s_delay_alu instid0(VALU_DEP_1) | instskip(NEXT) | instid1(VALU_DEP_1)
	v_dual_sub_f32 v24, 0x3fc90fdb, v27 :: v_dual_add_f32 v9, v9, v29
	v_dual_cndmask_b32 v24, v27, v24, s6 :: v_dual_add_f32 v9, v40, v9
	v_cndmask_b32_e64 v27, 0, 0x40490fdb, vcc_lo
	v_cmp_gt_f32_e32 vcc_lo, 0, v22
	s_delay_alu instid0(VALU_DEP_3) | instskip(NEXT) | instid1(VALU_DEP_4)
	v_cndmask_b32_e64 v9, 0x7f800000, v9, s7
	v_sub_f32_e32 v28, 0x40490fdb, v24
	v_cmp_class_f32_e64 s7, v23, 0x204
	s_delay_alu instid0(VALU_DEP_2)
	v_cndmask_b32_e32 v22, v24, v28, vcc_lo
	v_cndmask_b32_e32 v28, 0x3f490fdb, v32, vcc_lo
	v_cmp_gt_f32_e64 vcc_lo, 0x33800000, |v26|
	v_cndmask_b32_e32 v9, v9, v26, vcc_lo
	v_cmp_eq_f32_e32 vcc_lo, 0, v23
                                        ; implicit-def: $vgpr26
	v_cndmask_b32_e32 v22, v22, v27, vcc_lo
	s_and_b32 vcc_lo, s7, s10
	s_delay_alu instid0(VALU_DEP_1)
	v_dual_mul_f32 v24, 0.5, v9 :: v_dual_cndmask_b32 v35, v22, v28
.LBB186_67:                             ;   in Loop: Header=BB186_4 Depth=1
	s_and_not1_saveexec_b32 s9, s9
	s_cbranch_execz .LBB186_69
; %bb.68:                               ;   in Loop: Header=BB186_4 Depth=1
	v_max_num_f32_e64 v9, |v23|, |v23|
	v_max_num_f32_e64 v24, |v22|, |v22|
	v_cmp_eq_f32_e64 s7, 0, v23
	v_cmp_gt_i32_e32 vcc_lo, 0, v22
	v_cmp_class_f32_e64 s10, v22, 0x204
	v_cmp_class_f32_e64 s11, v23, 0x204
	v_dual_max_num_f32 v27, v24, v9 :: v_dual_min_num_f32 v9, v24, v9
	s_delay_alu instid0(VALU_DEP_1) | instskip(SKIP_1) | instid1(VALU_DEP_2)
	v_frexp_mant_f32_e32 v28, v27
	v_frexp_exp_i32_f32_e32 v24, v27
	v_rcp_f32_e32 v27, v28
	v_nop
	v_frexp_exp_i32_f32_e32 v28, v9
	v_frexp_mant_f32_e32 v9, v9
	s_delay_alu instid0(TRANS32_DEP_1) | instid1(VALU_DEP_1)
	v_dual_mul_f32 v9, v9, v27 :: v_dual_sub_nc_u32 v24, v28, v24
	s_delay_alu instid0(VALU_DEP_1) | instskip(NEXT) | instid1(VALU_DEP_1)
	v_ldexp_f32 v9, v9, v24
	v_mul_f32_e32 v24, v9, v9
	s_delay_alu instid0(VALU_DEP_1) | instskip(NEXT) | instid1(VALU_DEP_1)
	v_fmaak_f32 v27, s29, v24, 0xbc7a590c
	v_fmaak_f32 v27, v24, v27, 0x3d29fb3f
	s_delay_alu instid0(VALU_DEP_1) | instskip(NEXT) | instid1(VALU_DEP_1)
	v_fmaak_f32 v27, v24, v27, 0xbd97d4d7
	v_fmaak_f32 v27, v24, v27, 0x3dd931b2
	;; [unrolled: 3-line block ×3, first 2 shown]
	s_delay_alu instid0(VALU_DEP_1) | instskip(NEXT) | instid1(VALU_DEP_1)
	v_fmaak_f32 v27, v24, v27, 0xbeaaaa62
	v_mul_f32_e32 v24, v24, v27
	v_cndmask_b32_e64 v27, 0, 0x40490fdb, vcc_lo
	v_cmp_gt_f32_e32 vcc_lo, 0, v22
	s_delay_alu instid0(VALU_DEP_3) | instskip(SKIP_1) | instid1(VALU_DEP_2)
	v_fmac_f32_e32 v9, v9, v24
	v_cndmask_b32_e32 v22, 0x3f490fdb, v32, vcc_lo
	v_sub_f32_e32 v24, 0x3fc90fdb, v9
	s_delay_alu instid0(VALU_DEP_1) | instskip(NEXT) | instid1(VALU_DEP_1)
	v_cndmask_b32_e64 v9, v9, v24, s6
	v_sub_f32_e32 v24, 0x40490fdb, v9
	s_delay_alu instid0(VALU_DEP_1) | instskip(SKIP_1) | instid1(VALU_DEP_1)
	v_dual_cndmask_b32 v9, v9, v24 :: v_dual_mul_f32 v24, 0.5, v26
	s_and_b32 vcc_lo, s11, s10
	v_dual_cndmask_b32 v9, v9, v27, s7 :: v_dual_mul_f32 v24, v26, v24
	s_delay_alu instid0(VALU_DEP_1)
	v_cndmask_b32_e32 v35, v9, v22, vcc_lo
.LBB186_69:                             ;   in Loop: Header=BB186_4 Depth=1
	s_or_b32 exec_lo, exec_lo, s9
.LBB186_70:                             ;   in Loop: Header=BB186_4 Depth=1
	s_delay_alu instid0(SALU_CYCLE_1)
	s_or_b32 exec_lo, exec_lo, s8
.LBB186_71:                             ;   in Loop: Header=BB186_4 Depth=1
	s_and_not1_saveexec_b32 s8, s31
	s_cbranch_execz .LBB186_73
; %bb.72:                               ;   in Loop: Header=BB186_4 Depth=1
	v_div_scale_f32 v9, null, 0x402df854, 0x402df854, v22
	v_div_scale_f32 v24, null, 0x402df854, 0x402df854, v23
	v_div_scale_f32 v30, vcc_lo, v22, 0x402df854, v22
	s_delay_alu instid0(VALU_DEP_3) | instskip(NEXT) | instid1(VALU_DEP_2)
	v_rcp_f32_e32 v26, v9
	v_rcp_f32_e32 v27, v24
	v_cmp_class_f32_e64 s9, v23, 0x204
	s_delay_alu instid0(TRANS32_DEP_2) | instskip(NEXT) | instid1(TRANS32_DEP_1)
	v_fma_f32 v28, -v9, v26, 1.0
	v_fma_f32 v29, -v24, v27, 1.0
	s_delay_alu instid0(VALU_DEP_1) | instskip(SKIP_1) | instid1(VALU_DEP_1)
	v_dual_fmac_f32 v26, v28, v26 :: v_dual_fmac_f32 v27, v29, v27
	v_div_scale_f32 v28, s7, v23, 0x402df854, v23
	v_dual_mul_f32 v29, v30, v26 :: v_dual_mul_f32 v31, v28, v27
	s_delay_alu instid0(VALU_DEP_1) | instskip(NEXT) | instid1(VALU_DEP_1)
	v_dual_fma_f32 v35, -v9, v29, v30 :: v_dual_fma_f32 v36, -v24, v31, v28
	v_dual_fmac_f32 v29, v35, v26 :: v_dual_fmac_f32 v31, v36, v27
	s_delay_alu instid0(VALU_DEP_1) | instskip(NEXT) | instid1(VALU_DEP_1)
	v_dual_fma_f32 v9, -v9, v29, v30 :: v_dual_fma_f32 v24, -v24, v31, v28
	v_div_fmas_f32 v9, v9, v26, v29
	s_mov_b32 vcc_lo, s7
	v_max_num_f32_e64 v29, |v22|, |v22|
	s_delay_alu instid0(VALU_DEP_3) | instskip(SKIP_2) | instid1(VALU_DEP_3)
	v_div_fmas_f32 v24, v24, v27, v31
	v_cmp_class_f32_e64 s7, v22, 0x204
	v_div_fixup_f32 v9, v9, 0x402df854, v22
	v_div_fixup_f32 v24, v24, 0x402df854, v23
	s_delay_alu instid0(VALU_DEP_1) | instskip(NEXT) | instid1(VALU_DEP_1)
	v_max_num_f32_e64 v28, |v9|, |v24|
	v_cvt_f64_f32_e32 v[26:27], v28
	v_cmp_neq_f32_e32 vcc_lo, 0x7f800000, v28
	s_delay_alu instid0(VALU_DEP_2) | instskip(SKIP_1) | instid1(VALU_DEP_1)
	v_frexp_exp_i32_f64_e32 v26, v[26:27]
	v_max_num_f32_e64 v27, |v23|, |v23|
	v_dual_max_num_f32 v30, v29, v27 :: v_dual_min_num_f32 v27, v29, v27
	s_delay_alu instid0(VALU_DEP_1) | instskip(SKIP_1) | instid1(VALU_DEP_2)
	v_frexp_mant_f32_e32 v31, v30
	v_frexp_exp_i32_f32_e32 v29, v30
	v_rcp_f32_e32 v30, v31
	v_nop
	v_frexp_exp_i32_f32_e32 v31, v27
	v_frexp_mant_f32_e32 v27, v27
	s_delay_alu instid0(VALU_DEP_2)
	v_sub_nc_u32_e32 v29, v31, v29
	s_delay_alu instid0(TRANS32_DEP_1) | instid1(VALU_DEP_2)
	v_mul_f32_e32 v27, v27, v30
	v_sub_nc_u32_e32 v30, 0, v26
	s_delay_alu instid0(VALU_DEP_1) | instskip(SKIP_1) | instid1(VALU_DEP_2)
	v_ldexp_f32 v24, |v24|, v30
	v_ldexp_f32 v9, |v9|, v30
	v_mul_f32_e32 v24, v24, v24
	v_ldexp_f32 v27, v27, v29
	s_delay_alu instid0(VALU_DEP_1) | instskip(NEXT) | instid1(VALU_DEP_1)
	v_dual_fmac_f32 v24, v9, v9 :: v_dual_mul_f32 v29, v27, v27
	v_sqrt_f32_e32 v24, v24
	s_delay_alu instid0(VALU_DEP_1) | instskip(NEXT) | instid1(VALU_DEP_1)
	v_fmaak_f32 v30, s29, v29, 0xbc7a590c
	v_fmaak_f32 v9, v29, v30, 0x3d29fb3f
	s_delay_alu instid0(TRANS32_DEP_1) | instskip(NEXT) | instid1(VALU_DEP_2)
	v_ldexp_f32 v24, v24, v26
	v_fmaak_f32 v9, v29, v9, 0xbd97d4d7
	s_delay_alu instid0(VALU_DEP_1) | instskip(NEXT) | instid1(VALU_DEP_1)
	v_fmaak_f32 v9, v29, v9, 0x3dd931b2
	v_fmaak_f32 v9, v29, v9, 0xbe1160e6
	s_delay_alu instid0(VALU_DEP_1) | instskip(NEXT) | instid1(VALU_DEP_1)
	v_fmaak_f32 v9, v29, v9, 0x3e4cb8bf
	v_fmaak_f32 v9, v29, v9, 0xbeaaaa62
	s_delay_alu instid0(VALU_DEP_1) | instskip(NEXT) | instid1(VALU_DEP_1)
	v_dual_cndmask_b32 v24, 0x7f800000, v24 :: v_dual_mul_f32 v9, v29, v9
	v_cmp_gt_f32_e32 vcc_lo, 0x800000, v24
	s_delay_alu instid0(VALU_DEP_2) | instskip(SKIP_2) | instid1(VALU_DEP_2)
	v_fmac_f32_e32 v27, v27, v9
	v_cndmask_b32_e64 v26, 0, 32, vcc_lo
	v_cndmask_b32_e64 v29, 0, 0x41b17218, vcc_lo
	v_ldexp_f32 v24, v24, v26
	s_delay_alu instid0(VALU_DEP_1) | instskip(SKIP_1) | instid1(TRANS32_DEP_1)
	v_log_f32_e32 v24, v24
	v_nop
	v_mul_f32_e32 v26, 0x3f317217, v24
	v_cmp_gt_f32_e64 vcc_lo, 0x7f800000, |v24|
	s_delay_alu instid0(VALU_DEP_2) | instskip(NEXT) | instid1(VALU_DEP_1)
	v_fma_f32 v9, 0x3f317217, v24, -v26
	v_fmac_f32_e32 v9, 0x3377d1cf, v24
	s_delay_alu instid0(VALU_DEP_1) | instskip(NEXT) | instid1(VALU_DEP_1)
	v_fmac_f32_e32 v9, 0x3f317217, v24
	v_dual_sub_f32 v26, 0x3fc90fdb, v27 :: v_dual_cndmask_b32 v9, v24, v9
	v_cmp_eq_f32_e32 vcc_lo, 0, v23
	s_delay_alu instid0(VALU_DEP_2) | instskip(SKIP_1) | instid1(VALU_DEP_2)
	v_dual_sub_f32 v9, v9, v29 :: v_dual_cndmask_b32 v26, v27, v26, s6
	v_cmp_gt_i32_e64 s6, 0, v22
	v_add_f32_e32 v24, 1.0, v9
	s_delay_alu instid0(VALU_DEP_3) | instskip(NEXT) | instid1(VALU_DEP_3)
	v_sub_f32_e32 v28, 0x40490fdb, v26
	v_cndmask_b32_e64 v27, 0, 0x40490fdb, s6
	v_cmp_gt_f32_e64 s6, 0, v22
	s_delay_alu instid0(VALU_DEP_1) | instskip(SKIP_1) | instid1(VALU_DEP_2)
	v_cndmask_b32_e64 v22, v26, v28, s6
	v_cndmask_b32_e64 v26, 0x3f490fdb, v32, s6
	v_cndmask_b32_e32 v22, v22, v27, vcc_lo
	s_and_b32 vcc_lo, s9, s7
	s_delay_alu instid0(VALU_DEP_1)
	v_cndmask_b32_e32 v35, v22, v26, vcc_lo
.LBB186_73:                             ;   in Loop: Header=BB186_4 Depth=1
	s_or_b32 exec_lo, exec_lo, s8
.LBB186_74:                             ;   in Loop: Header=BB186_4 Depth=1
	s_and_not1_saveexec_b32 s6, s30
	s_cbranch_execz .LBB186_80
; %bb.75:                               ;   in Loop: Header=BB186_4 Depth=1
	v_cmp_ngt_f32_e64 s7, 0x20000000, |v22|
	v_cmp_ngt_f32_e64 s8, 0x20000000, |v23|
                                        ; implicit-def: $vgpr9
	s_or_b32 s7, s8, s7
	s_delay_alu instid0(SALU_CYCLE_1) | instskip(NEXT) | instid1(SALU_CYCLE_1)
	s_and_saveexec_b32 s8, s7
	s_xor_b32 s7, exec_lo, s8
; %bb.76:                               ;   in Loop: Header=BB186_4 Depth=1
	v_pk_mul_f32 v[26:27], v[22:23], v[22:23]
	s_delay_alu instid0(VALU_DEP_1)
	v_add_f32_e32 v9, v27, v26
; %bb.77:                               ;   in Loop: Header=BB186_4 Depth=1
	s_and_not1_saveexec_b32 s7, s7
; %bb.78:                               ;   in Loop: Header=BB186_4 Depth=1
	v_pk_mul_f32 v[26:27], v[22:23], 4.0 op_sel_hi:[1,0]
	s_delay_alu instid0(VALU_DEP_1) | instskip(NEXT) | instid1(VALU_DEP_1)
	v_pk_mul_f32 v[26:27], v[26:27], v[26:27]
	v_add_f32_e32 v9, v27, v26
	s_delay_alu instid0(VALU_DEP_1)
	v_mul_f32_e32 v9, 0x3d800000, v9
; %bb.79:                               ;   in Loop: Header=BB186_4 Depth=1
	s_or_b32 exec_lo, exec_lo, s7
	s_delay_alu instid0(VALU_DEP_1) | instskip(SKIP_3) | instid1(VALU_DEP_2)
	v_cmp_gt_f32_e32 vcc_lo, 0x800000, v9
	v_mov_b32_e32 v35, 0x7fc00000
	v_cndmask_b32_e64 v22, 0, 32, vcc_lo
	v_cndmask_b32_e64 v24, 0, 0x41b17218, vcc_lo
	v_ldexp_f32 v9, v9, v22
	s_delay_alu instid0(VALU_DEP_1) | instskip(SKIP_1) | instid1(TRANS32_DEP_1)
	v_log_f32_e32 v9, v9
	v_nop
	v_mul_f32_e32 v22, 0x3f317217, v9
	v_cmp_gt_f32_e64 vcc_lo, 0x7f800000, |v9|
	s_delay_alu instid0(VALU_DEP_2) | instskip(NEXT) | instid1(VALU_DEP_1)
	v_fma_f32 v22, 0x3f317217, v9, -v22
	v_fmac_f32_e32 v22, 0x3377d1cf, v9
	s_delay_alu instid0(VALU_DEP_1) | instskip(NEXT) | instid1(VALU_DEP_1)
	v_fmac_f32_e32 v22, 0x3f317217, v9
	v_cndmask_b32_e32 v9, v9, v22, vcc_lo
	s_delay_alu instid0(VALU_DEP_1)
	v_sub_f32_e32 v24, v9, v24
.LBB186_80:                             ;   in Loop: Header=BB186_4 Depth=1
	s_or_b32 exec_lo, exec_lo, s6
                                        ; implicit-def: $vgpr22
                                        ; implicit-def: $vgpr36
	s_delay_alu instid0(SALU_CYCLE_1)
	s_mov_b32 s6, exec_lo
	v_cmpx_o_f32_e32 v17, v16
	s_xor_b32 s30, exec_lo, s6
	s_cbranch_execz .LBB186_108
; %bb.81:                               ;   in Loop: Header=BB186_4 Depth=1
	v_cmp_lt_f32_e64 s6, |v16|, |v17|
                                        ; implicit-def: $vgpr22
                                        ; implicit-def: $vgpr36
	s_mov_b32 s8, exec_lo
	v_cndmask_b32_e64 v9, v17, v16, s6
	s_delay_alu instid0(VALU_DEP_1)
	v_cmpx_nlt_f32_e64 0x77f684df, |v9|
	s_xor_b32 s31, exec_lo, s8
	s_cbranch_execz .LBB186_105
; %bb.82:                               ;   in Loop: Header=BB186_4 Depth=1
	v_cndmask_b32_e64 v22, v16, v17, s6
	v_and_b32_e32 v26, 0x7fffffff, v9
                                        ; implicit-def: $vgpr36
	s_mov_b32 s7, exec_lo
	s_delay_alu instid0(VALU_DEP_2) | instskip(NEXT) | instid1(VALU_DEP_1)
	v_and_b32_e32 v27, 0x7fffffff, v22
                                        ; implicit-def: $vgpr22
	v_cmpx_neq_f32_e32 1.0, v27
	s_xor_b32 s33, exec_lo, s7
	s_cbranch_execz .LBB186_98
; %bb.83:                               ;   in Loop: Header=BB186_4 Depth=1
	v_dual_max_num_f32 v9, v26, v26 :: v_dual_max_num_f32 v22, v27, v27
                                        ; implicit-def: $vgpr36
	s_delay_alu instid0(VALU_DEP_1) | instskip(NEXT) | instid1(VALU_DEP_1)
	v_dual_min_num_f32 v28, v22, v9 :: v_dual_max_num_f32 v9, v22, v9
                                        ; implicit-def: $vgpr22
	v_cmp_ngt_f32_e32 vcc_lo, 0x358637bd, v28
	s_delay_alu instid0(VALU_DEP_2) | instskip(SKIP_1) | instid1(SALU_CYCLE_1)
	v_cmp_nlt_f32_e64 s7, 0x49742400, v9
	s_and_b32 s7, s7, vcc_lo
	s_and_saveexec_b32 s8, s7
	s_delay_alu instid0(SALU_CYCLE_1)
	s_xor_b32 s34, exec_lo, s8
	s_cbranch_execz .LBB186_95
; %bb.84:                               ;   in Loop: Header=BB186_4 Depth=1
                                        ; implicit-def: $vgpr22
                                        ; implicit-def: $vgpr36
	s_mov_b32 s7, exec_lo
	v_cmpx_le_f32_e32 1.0, v27
	s_xor_b32 s8, exec_lo, s7
	s_cbranch_execz .LBB186_86
; %bb.85:                               ;   in Loop: Header=BB186_4 Depth=1
	v_pk_add_f32 v[28:29], v[26:27], v[6:7] op_sel:[1,0]
	v_mov_b32_e32 v30, v26
	v_cmp_class_f32_e64 s9, v16, 0x204
	s_delay_alu instid0(VALU_DEP_3) | instskip(SKIP_1) | instid1(VALU_DEP_1)
	v_dual_mov_b32 v27, v28 :: v_dual_mov_b32 v31, v29
	v_mul_f32_e32 v22, v28, v29
	v_pk_fma_f32 v[26:27], v[26:27], v[30:31], v[22:23] op_sel_hi:[1,1,0]
	s_delay_alu instid0(VALU_DEP_1) | instskip(SKIP_1) | instid1(VALU_DEP_2)
	v_add_f32_e32 v29, 1.0, v26
	v_cmp_neq_f32_e64 s7, -1.0, v26
	v_add_f32_e32 v27, -1.0, v29
	s_delay_alu instid0(VALU_DEP_1) | instskip(SKIP_2) | instid1(VALU_DEP_1)
	v_mov_b32_e32 v28, v27
	v_cvt_f64_f32_e32 v[30:31], v29
	v_frexp_mant_f32_e32 v22, v29
	v_cmp_gt_f32_e32 vcc_lo, 0x3f2aaaab, v22
	s_delay_alu instid0(VALU_DEP_3) | instskip(SKIP_1) | instid1(VALU_DEP_1)
	v_frexp_exp_i32_f64_e32 v9, v[30:31]
	v_pk_add_f32 v[30:31], v[26:27], v[28:29] neg_lo:[0,1] neg_hi:[0,1]
	v_add_f32_e32 v28, 1.0, v31
	s_delay_alu instid0(VALU_DEP_3) | instskip(SKIP_1) | instid1(VALU_DEP_2)
	v_subrev_co_ci_u32_e64 v9, null, 0, v9, vcc_lo
	v_cmp_neq_f32_e32 vcc_lo, 0x7f800000, v26
	v_sub_nc_u32_e32 v22, 0, v9
	s_delay_alu instid0(VALU_DEP_1) | instskip(NEXT) | instid1(VALU_DEP_1)
	v_ldexp_f32 v27, v29, v22
	v_dual_add_f32 v31, 1.0, v27 :: v_dual_add_f32 v28, v30, v28
	s_delay_alu instid0(VALU_DEP_1) | instskip(SKIP_1) | instid1(VALU_DEP_3)
	v_add_f32_e32 v29, -1.0, v31
	v_add_f32_e32 v37, -1.0, v27
	v_ldexp_f32 v22, v28, v22
	s_delay_alu instid0(VALU_DEP_3) | instskip(NEXT) | instid1(VALU_DEP_1)
	v_sub_f32_e32 v28, v27, v29
	v_dual_add_f32 v29, 1.0, v37 :: v_dual_add_f32 v28, v22, v28
	s_delay_alu instid0(VALU_DEP_1) | instskip(NEXT) | instid1(VALU_DEP_1)
	v_sub_f32_e32 v27, v27, v29
	v_dual_add_f32 v38, v31, v28 :: v_dual_add_f32 v22, v22, v27
	s_delay_alu instid0(VALU_DEP_1) | instskip(NEXT) | instid1(VALU_DEP_1)
	v_rcp_f32_e32 v27, v38
	v_add_f32_e32 v29, v37, v22
	s_delay_alu instid0(TRANS32_DEP_1) | instid1(VALU_DEP_1)
	v_mul_f32_e32 v39, v29, v27
	s_delay_alu instid0(VALU_DEP_1) | instskip(NEXT) | instid1(VALU_DEP_1)
	v_mul_f32_e32 v30, v38, v39
	v_dual_sub_f32 v31, v38, v31 :: v_dual_fma_f32 v36, v39, v38, -v30
	s_delay_alu instid0(VALU_DEP_1) | instskip(NEXT) | instid1(VALU_DEP_1)
	v_sub_f32_e32 v40, v28, v31
	v_fmac_f32_e32 v36, v39, v40
	s_delay_alu instid0(VALU_DEP_1) | instskip(NEXT) | instid1(VALU_DEP_1)
	v_dual_add_f32 v28, v30, v36 :: v_dual_sub_f32 v41, v29, v37
	v_dual_mov_b32 v37, v28 :: v_dual_sub_f32 v31, v29, v28
	s_delay_alu instid0(VALU_DEP_2) | instskip(NEXT) | instid1(VALU_DEP_2)
	v_sub_f32_e32 v22, v22, v41
	v_pk_add_f32 v[28:29], v[28:29], v[30:31] neg_lo:[0,1] neg_hi:[0,1]
	s_delay_alu instid0(VALU_DEP_1) | instskip(NEXT) | instid1(VALU_DEP_1)
	v_pk_add_f32 v[28:29], v[28:29], v[36:37] neg_lo:[0,1] neg_hi:[0,1]
	v_add_f32_e32 v22, v22, v29
	s_delay_alu instid0(VALU_DEP_1) | instskip(NEXT) | instid1(VALU_DEP_1)
	v_add_f32_e32 v22, v28, v22
	v_add_f32_e32 v29, v31, v22
	s_delay_alu instid0(VALU_DEP_1) | instskip(NEXT) | instid1(VALU_DEP_1)
	v_mul_f32_e32 v41, v27, v29
	v_mul_f32_e32 v36, v38, v41
	s_delay_alu instid0(VALU_DEP_1) | instskip(NEXT) | instid1(VALU_DEP_1)
	v_fma_f32 v30, v41, v38, -v36
	v_dual_fmac_f32 v30, v41, v40 :: v_dual_sub_f32 v38, v31, v29
	s_delay_alu instid0(VALU_DEP_1) | instskip(NEXT) | instid1(VALU_DEP_2)
	v_add_f32_e32 v28, v36, v30
	v_dual_add_f32 v22, v22, v38 :: v_dual_add_f32 v38, v39, v41
	s_delay_alu instid0(VALU_DEP_2) | instskip(NEXT) | instid1(VALU_DEP_1)
	v_dual_sub_f32 v37, v29, v28 :: v_dual_mov_b32 v31, v28
	v_pk_add_f32 v[28:29], v[28:29], v[36:37] neg_lo:[0,1] neg_hi:[0,1]
	s_delay_alu instid0(VALU_DEP_1) | instskip(NEXT) | instid1(VALU_DEP_1)
	v_pk_add_f32 v[28:29], v[28:29], v[30:31] neg_lo:[0,1] neg_hi:[0,1]
	v_add_f32_e32 v22, v22, v29
	s_delay_alu instid0(VALU_DEP_1) | instskip(NEXT) | instid1(VALU_DEP_1)
	v_dual_add_f32 v22, v28, v22 :: v_dual_sub_f32 v28, v38, v39
	v_add_f32_e32 v22, v37, v22
	s_delay_alu instid0(VALU_DEP_1) | instskip(NEXT) | instid1(VALU_DEP_1)
	v_dual_sub_f32 v28, v41, v28 :: v_dual_mul_f32 v22, v27, v22
	v_add_f32_e32 v22, v28, v22
	v_cvt_f32_i32_e32 v28, v9
	s_delay_alu instid0(VALU_DEP_2) | instskip(NEXT) | instid1(VALU_DEP_1)
	v_add_f32_e32 v27, v38, v22
	v_mul_f32_e32 v30, v27, v27
	s_delay_alu instid0(VALU_DEP_1) | instskip(SKIP_1) | instid1(VALU_DEP_2)
	v_fmaak_f32 v31, s28, v30, 0x3ecc95a3
	v_mul_f32_e32 v29, v27, v30
	v_fmaak_f32 v9, v30, v31, 0x3f2aaada
	s_delay_alu instid0(VALU_DEP_1) | instskip(NEXT) | instid1(VALU_DEP_1)
	v_pk_mul_f32 v[30:31], v[28:29], v[8:9]
	v_fma_f32 v36, 0x3f317218, v28, -v30
	s_delay_alu instid0(VALU_DEP_1) | instskip(SKIP_1) | instid1(VALU_DEP_1)
	v_fmac_f32_e32 v36, 0xb102e308, v28
	v_ldexp_f32 v37, v27, 1
	v_pk_add_f32 v[28:29], v[30:31], v[36:37]
	v_dual_sub_f32 v9, v27, v38 :: v_dual_mov_b32 v38, v30
	s_delay_alu instid0(VALU_DEP_1) | instskip(NEXT) | instid1(VALU_DEP_3)
	v_dual_mov_b32 v46, v29 :: v_dual_sub_f32 v9, v22, v9
	v_dual_sub_f32 v22, v29, v37 :: v_dual_mov_b32 v37, v28
	s_delay_alu instid0(VALU_DEP_2) | instskip(NEXT) | instid1(VALU_DEP_2)
	v_ldexp_f32 v9, v9, 1
	v_sub_f32_e32 v22, v31, v22
	v_pk_add_f32 v[30:31], v[28:29], v[30:31] neg_lo:[0,1] neg_hi:[0,1]
	s_delay_alu instid0(VALU_DEP_2) | instskip(SKIP_2) | instid1(VALU_DEP_1)
	v_add_f32_e32 v39, v9, v22
	v_max_num_f32_e64 v9, |v17|, |v17|
	v_max_num_f32_e64 v22, |v16|, |v16|
	v_max_num_f32_e32 v27, v22, v9
	s_delay_alu instid0(VALU_DEP_4) | instskip(NEXT) | instid1(VALU_DEP_2)
	v_pk_add_f32 v[40:41], v[28:29], v[38:39]
	v_frexp_exp_i32_f32_e32 v38, v27
	s_delay_alu instid0(VALU_DEP_2) | instskip(SKIP_1) | instid1(VALU_DEP_2)
	v_mov_b32_e32 v31, v41
	v_frexp_mant_f32_e32 v27, v27
	v_pk_add_f32 v[42:43], v[36:37], v[30:31]
	v_min_num_f32_e32 v9, v22, v9
	v_pk_add_f32 v[30:31], v[36:37], v[30:31] neg_lo:[0,1] neg_hi:[0,1]
	s_delay_alu instid0(VALU_DEP_4) | instskip(NEXT) | instid1(VALU_DEP_3)
	v_rcp_f32_e32 v27, v27
	v_mov_b32_e32 v22, v43
	s_delay_alu instid0(VALU_DEP_3) | instskip(SKIP_2) | instid1(VALU_DEP_4)
	v_frexp_exp_i32_f32_e32 v42, v9
	v_frexp_mant_f32_e32 v48, v9
	v_mov_b32_e32 v31, v43
	v_pk_add_f32 v[44:45], v[22:23], v[28:29] neg_lo:[0,1] neg_hi:[0,1]
	s_delay_alu instid0(VALU_DEP_4) | instskip(SKIP_1) | instid1(VALU_DEP_3)
	v_dual_mov_b32 v42, v41 :: v_dual_sub_nc_u32 v45, v42, v38
	v_dual_mov_b32 v29, v28 :: v_dual_mov_b32 v28, v39
	v_dual_mov_b32 v47, v44 :: v_dual_mov_b32 v9, v44
	s_delay_alu instid0(VALU_DEP_1) | instskip(NEXT) | instid1(VALU_DEP_2)
	v_pk_add_f32 v[36:37], v[42:43], v[46:47] neg_lo:[0,1] neg_hi:[0,1]
	v_pk_add_f32 v[38:39], v[40:41], v[8:9] neg_lo:[0,1] neg_hi:[0,1]
	v_mov_b32_e32 v38, v30
	s_delay_alu instid0(VALU_DEP_3) | instskip(NEXT) | instid1(VALU_DEP_1)
	v_pk_add_f32 v[28:29], v[28:29], v[36:37] neg_lo:[0,1] neg_hi:[0,1]
	v_pk_add_f32 v[36:37], v[38:39], v[28:29]
	s_delay_alu instid0(VALU_DEP_1) | instskip(NEXT) | instid1(VALU_DEP_1)
	v_dual_mul_f32 v27, v48, v27 :: v_dual_mov_b32 v38, v37
	v_ldexp_f32 v9, v27, v45
	s_delay_alu instid0(VALU_DEP_2) | instskip(NEXT) | instid1(VALU_DEP_2)
	v_pk_add_f32 v[38:39], v[36:37], v[38:39]
	v_mul_f32_e32 v27, v9, v9
	s_delay_alu instid0(VALU_DEP_2) | instskip(NEXT) | instid1(VALU_DEP_1)
	v_pk_add_f32 v[40:41], v[22:23], v[38:39]
	v_mov_b32_e32 v37, v40
	s_delay_alu instid0(VALU_DEP_1) | instskip(NEXT) | instid1(VALU_DEP_1)
	v_pk_add_f32 v[42:43], v[36:37], v[30:31] neg_lo:[0,1] neg_hi:[0,1]
	v_sub_f32_e32 v31, v36, v42
	s_delay_alu instid0(VALU_DEP_1) | instskip(SKIP_1) | instid1(VALU_DEP_1)
	v_sub_f32_e32 v30, v30, v31
	v_fmaak_f32 v29, s29, v27, 0xbc7a590c
	v_fmaak_f32 v29, v27, v29, 0x3d29fb3f
	s_delay_alu instid0(VALU_DEP_1) | instskip(NEXT) | instid1(VALU_DEP_1)
	v_dual_fmaak_f32 v22, v27, v29, 0xbd97d4d7 :: v_dual_mov_b32 v29, v38
	v_fmaak_f32 v22, v27, v22, 0x3dd931b2
	s_delay_alu instid0(VALU_DEP_2) | instskip(NEXT) | instid1(VALU_DEP_1)
	v_pk_add_f32 v[28:29], v[28:29], v[42:43] neg_lo:[0,1] neg_hi:[0,1]
	v_add_f32_e32 v28, v28, v30
	s_delay_alu instid0(VALU_DEP_3) | instskip(NEXT) | instid1(VALU_DEP_1)
	v_fmaak_f32 v22, v27, v22, 0xbe1160e6
	v_fmaak_f32 v22, v27, v22, 0x3e4cb8bf
	s_delay_alu instid0(VALU_DEP_1) | instskip(NEXT) | instid1(VALU_DEP_1)
	v_fmaak_f32 v22, v27, v22, 0xbeaaaa62
	v_dual_mul_f32 v22, v27, v22 :: v_dual_add_f32 v27, v28, v29
	s_delay_alu instid0(VALU_DEP_1) | instskip(NEXT) | instid1(VALU_DEP_1)
	v_dual_fmac_f32 v9, v9, v22 :: v_dual_add_f32 v22, v40, v27
	v_sub_f32_e32 v27, 0x3fc90fdb, v9
	s_delay_alu instid0(VALU_DEP_2) | instskip(SKIP_1) | instid1(VALU_DEP_3)
	v_cndmask_b32_e32 v22, 0x7f800000, v22, vcc_lo
	v_cmp_gt_i32_e32 vcc_lo, 0, v16
	v_cndmask_b32_e64 v9, v9, v27, s6
	v_cndmask_b32_e64 v27, 0, 0x40490fdb, vcc_lo
	v_cmp_ngt_f32_e32 vcc_lo, -1.0, v26
	s_delay_alu instid0(VALU_DEP_3) | instskip(SKIP_2) | instid1(VALU_DEP_2)
	v_sub_f32_e32 v28, 0x40490fdb, v9
	v_cndmask_b32_e32 v22, 0x7fc00000, v22, vcc_lo
	v_cmp_gt_f32_e32 vcc_lo, 0, v16
	v_cndmask_b32_e64 v16, 0xff800000, v22, s7
	s_delay_alu instid0(VALU_DEP_4)
	v_cndmask_b32_e32 v9, v9, v28, vcc_lo
	v_cndmask_b32_e32 v28, 0x3f490fdb, v32, vcc_lo
	v_cmp_gt_f32_e64 vcc_lo, 0x33800000, |v26|
	v_cmp_class_f32_e64 s7, v17, 0x204
	v_cndmask_b32_e32 v16, v16, v26, vcc_lo
	v_cmp_eq_f32_e32 vcc_lo, 0, v17
	v_cndmask_b32_e32 v9, v9, v27, vcc_lo
	s_and_b32 vcc_lo, s7, s9
                                        ; implicit-def: $vgpr26_vgpr27
	s_delay_alu instid0(VALU_DEP_1)
	v_cndmask_b32_e32 v36, v9, v28, vcc_lo
	v_mul_f32_e32 v22, 0.5, v16
.LBB186_86:                             ;   in Loop: Header=BB186_4 Depth=1
	s_and_not1_saveexec_b32 s35, s8
	s_cbranch_execz .LBB186_94
; %bb.87:                               ;   in Loop: Header=BB186_4 Depth=1
	v_pk_mul_f32 v[28:29], v[26:27], v[26:27]
                                        ; implicit-def: $vgpr22
                                        ; implicit-def: $vgpr36
	s_mov_b32 s7, exec_lo
	s_delay_alu instid0(VALU_DEP_1) | instskip(NEXT) | instid1(VALU_DEP_1)
	v_add_f32_e32 v9, v29, v28
	v_cmpx_ge_f32_e32 0x3f333333, v9
	s_xor_b32 s8, exec_lo, s7
	s_cbranch_execz .LBB186_89
; %bb.88:                               ;   in Loop: Header=BB186_4 Depth=1
	v_max_num_f32_e64 v22, |v17|, |v17|
	v_max_num_f32_e64 v26, |v16|, |v16|
	v_cmp_gt_f32_e32 vcc_lo, 0x800000, v9
	v_cmp_gt_i32_e64 s7, 0, v16
	v_cmp_class_f32_e64 s9, v16, 0x204
	v_cmp_class_f32_e64 s10, v17, 0x204
	v_dual_max_num_f32 v27, v26, v22 :: v_dual_min_num_f32 v22, v26, v22
	v_cndmask_b32_e64 v29, 0, 0x41b17218, vcc_lo
	s_delay_alu instid0(VALU_DEP_2) | instskip(SKIP_1) | instid1(VALU_DEP_2)
	v_frexp_mant_f32_e32 v28, v27
	v_frexp_exp_i32_f32_e32 v26, v27
	v_rcp_f32_e32 v27, v28
	v_nop
	v_frexp_exp_i32_f32_e32 v28, v22
	v_frexp_mant_f32_e32 v22, v22
	s_delay_alu instid0(TRANS32_DEP_1) | instid1(VALU_DEP_1)
	v_dual_sub_nc_u32 v26, v28, v26 :: v_dual_mul_f32 v22, v22, v27
	v_cndmask_b32_e64 v28, 0, 32, vcc_lo
	s_delay_alu instid0(VALU_DEP_2) | instskip(NEXT) | instid1(VALU_DEP_2)
	v_ldexp_f32 v22, v22, v26
	v_ldexp_f32 v9, v9, v28
	s_delay_alu instid0(VALU_DEP_1) | instskip(NEXT) | instid1(VALU_DEP_2)
	v_log_f32_e32 v9, v9
	v_mul_f32_e32 v26, v22, v22
	s_delay_alu instid0(VALU_DEP_1) | instskip(NEXT) | instid1(TRANS32_DEP_1)
	v_fmaak_f32 v27, s29, v26, 0xbc7a590c
	v_cmp_gt_f32_e64 vcc_lo, 0x7f800000, |v9|
	s_delay_alu instid0(VALU_DEP_2) | instskip(NEXT) | instid1(VALU_DEP_1)
	v_fmaak_f32 v27, v26, v27, 0x3d29fb3f
	v_fmaak_f32 v27, v26, v27, 0xbd97d4d7
	s_delay_alu instid0(VALU_DEP_1) | instskip(NEXT) | instid1(VALU_DEP_1)
	v_fmaak_f32 v27, v26, v27, 0x3dd931b2
	v_fmaak_f32 v27, v26, v27, 0xbe1160e6
	s_delay_alu instid0(VALU_DEP_1) | instskip(NEXT) | instid1(VALU_DEP_1)
	;; [unrolled: 3-line block ×3, first 2 shown]
	v_dual_mul_f32 v26, v26, v27 :: v_dual_mul_f32 v27, 0x3f317217, v9
	v_fmac_f32_e32 v22, v22, v26
	s_delay_alu instid0(VALU_DEP_2) | instskip(NEXT) | instid1(VALU_DEP_2)
	v_fma_f32 v26, 0x3f317217, v9, -v27
	v_sub_f32_e32 v27, 0x3fc90fdb, v22
	s_delay_alu instid0(VALU_DEP_2) | instskip(NEXT) | instid1(VALU_DEP_1)
	v_fmac_f32_e32 v26, 0x3377d1cf, v9
	v_fmac_f32_e32 v26, 0x3f317217, v9
	s_delay_alu instid0(VALU_DEP_3) | instskip(SKIP_2) | instid1(VALU_DEP_4)
	v_cndmask_b32_e64 v22, v22, v27, s6
	v_cndmask_b32_e64 v27, 0, 0x40490fdb, s7
	v_cmp_eq_f32_e64 s7, 0, v17
	v_cndmask_b32_e32 v9, v9, v26, vcc_lo
	s_delay_alu instid0(VALU_DEP_4) | instskip(SKIP_1) | instid1(VALU_DEP_2)
	v_sub_f32_e32 v28, 0x40490fdb, v22
	v_cmp_gt_f32_e32 vcc_lo, 0, v16
	v_dual_sub_f32 v9, v9, v29 :: v_dual_cndmask_b32 v22, v22, v28
	v_cndmask_b32_e32 v26, 0x3f490fdb, v32, vcc_lo
	s_and_b32 vcc_lo, s10, s9
	s_delay_alu instid0(VALU_DEP_2) | instskip(NEXT) | instid1(VALU_DEP_1)
	v_dual_cndmask_b32 v16, v22, v27, s7 :: v_dual_mul_f32 v22, 0.5, v9
	v_cndmask_b32_e32 v36, v16, v26, vcc_lo
                                        ; implicit-def: $vgpr26
.LBB186_89:                             ;   in Loop: Header=BB186_4 Depth=1
	s_and_not1_saveexec_b32 s36, s8
	s_cbranch_execz .LBB186_93
; %bb.90:                               ;   in Loop: Header=BB186_4 Depth=1
	v_and_b32_e32 v29, 0x7fff0000, v26
	v_and_b32_e32 v28, 0x7fff0000, v27
	s_mov_b32 s37, 0
	s_delay_alu instid0(VALU_DEP_1) | instskip(SKIP_2) | instid1(VALU_DEP_2)
	v_dual_add_f32 v40, v29, v29 :: v_dual_add_f32 v22, v28, v28
	v_pk_add_f32 v[30:31], v[26:27], v[28:29] op_sel:[1,0] op_sel_hi:[0,1] neg_lo:[0,1] neg_hi:[0,1]
	v_pk_mul_f32 v[26:27], v[28:29], v[28:29]
	v_and_b32_e32 v39, 0xffff0000, v31
	s_delay_alu instid0(VALU_DEP_3) | instskip(NEXT) | instid1(VALU_DEP_1)
	v_and_b32_e32 v38, 0xffff0000, v30
	v_dual_add_f32 v42, v39, v39 :: v_dual_add_f32 v41, v38, v38
	v_pk_add_f32 v[28:29], v[30:31], v[38:39] neg_lo:[0,1] neg_hi:[0,1]
	v_dual_mul_f32 v9, v22, v38 :: v_dual_mul_f32 v37, v40, v39
	v_pk_mul_f32 v[30:31], v[38:39], v[38:39]
	s_delay_alu instid0(VALU_DEP_3)
	v_dual_mul_f32 v36, v22, v28 :: v_dual_mul_f32 v39, v40, v29
	v_dual_mul_f32 v22, v41, v28 :: v_dual_mul_f32 v38, v42, v29
	v_pk_mul_f32 v[28:29], v[28:29], v[28:29]
.LBB186_91:                             ;   Parent Loop BB186_4 Depth=1
                                        ; =>  This Inner Loop Header: Depth=2
	v_cmp_nlt_f32_e32 vcc_lo, v26, v27
	v_dual_cndmask_b32 v40, v26, v27, vcc_lo :: v_dual_cndmask_b32 v26, v27, v26, vcc_lo
	s_delay_alu instid0(VALU_DEP_1) | instskip(NEXT) | instid1(VALU_DEP_1)
	v_cmp_nlt_f32_e64 s7, v40, v9
	v_dual_cndmask_b32 v41, v40, v9, s7 :: v_dual_cndmask_b32 v27, v9, v40, s7
	s_and_b32 s7, vcc_lo, s7
	s_delay_alu instid0(VALU_DEP_1) | instskip(NEXT) | instid1(VALU_DEP_1)
	v_cmp_nlt_f32_e64 s8, v41, v37
	v_cndmask_b32_e64 v42, v41, v37, s8
	v_cndmask_b32_e64 v9, v37, v41, s8
	s_delay_alu instid0(VALU_DEP_2) | instskip(NEXT) | instid1(VALU_DEP_1)
	v_cmp_nlt_f32_e64 s9, v42, v30
	v_cndmask_b32_e64 v40, v42, v30, s9
	s_and_b32 s38, s8, s9
	s_delay_alu instid0(VALU_DEP_1) | instskip(NEXT) | instid1(VALU_DEP_1)
	v_cmp_nlt_f32_e64 s10, v40, v31
	v_dual_cndmask_b32 v41, v40, v31, s10 :: v_dual_cndmask_b32 v37, v30, v42, s9
	v_cndmask_b32_e64 v30, v31, v40, s10
	s_delay_alu instid0(VALU_DEP_2) | instskip(NEXT) | instid1(VALU_DEP_1)
	v_cmp_nlt_f32_e64 s11, v41, v36
	v_cndmask_b32_e64 v43, v41, v36, s11
	s_and_b32 s10, s10, s11
	s_delay_alu instid0(VALU_DEP_1) | instskip(NEXT) | instid1(VALU_DEP_1)
	v_cmp_nlt_f32_e64 s12, v43, v39
	v_dual_cndmask_b32 v31, v36, v41, s11 :: v_dual_cndmask_b32 v36, v39, v43, s12
	v_cndmask_b32_e64 v44, v43, v39, s12
	s_and_b32 s10, s10, s12
	s_delay_alu instid0(VALU_DEP_1) | instskip(NEXT) | instid1(VALU_DEP_1)
	v_cmp_nlt_f32_e64 s13, v44, v22
	v_cndmask_b32_e64 v42, v44, v22, s13
	s_and_b32 s11, s10, s13
	s_delay_alu instid0(VALU_DEP_1) | instskip(NEXT) | instid1(VALU_DEP_1)
	v_cmp_nlt_f32_e64 s8, v42, v38
	v_cndmask_b32_e64 v40, v42, v38, s8
	s_delay_alu instid0(VALU_DEP_1) | instskip(NEXT) | instid1(VALU_DEP_1)
	v_cmp_nlt_f32_e64 s9, v40, v28
	v_cndmask_b32_e64 v41, v40, v28, s9
	v_cndmask_b32_e64 v39, v22, v44, s13
	;; [unrolled: 1-line block ×3, first 2 shown]
	s_and_b32 s8, s11, s8
	s_delay_alu instid0(VALU_DEP_3)
	v_cmp_nlt_f32_e64 s10, v41, v29
	s_and_b32 s8, s8, s9
	v_cndmask_b32_e64 v38, v28, v40, s9
	s_and_b32 s8, s8, s10
	v_cndmask_b32_e64 v28, v29, v41, s10
	;; [unrolled: 2-line block ×3, first 2 shown]
	s_and_b32 s7, s8, s7
	s_delay_alu instid0(SALU_CYCLE_1) | instskip(NEXT) | instid1(SALU_CYCLE_1)
	s_and_b32 s7, exec_lo, s7
	s_or_b32 s37, s7, s37
	s_delay_alu instid0(SALU_CYCLE_1)
	s_and_not1_b32 exec_lo, exec_lo, s37
	s_cbranch_execnz .LBB186_91
; %bb.92:                               ;   in Loop: Header=BB186_4 Depth=1
	s_or_b32 exec_lo, exec_lo, s37
	v_add_f32_e32 v26, -1.0, v26
	v_cmp_class_f32_e64 s8, v16, 0x204
	s_delay_alu instid0(VALU_DEP_2) | instskip(NEXT) | instid1(VALU_DEP_1)
	v_add_f32_e32 v26, v26, v27
	v_add_f32_e32 v9, v26, v9
	s_delay_alu instid0(VALU_DEP_1) | instskip(NEXT) | instid1(VALU_DEP_1)
	v_add_f32_e32 v9, v9, v37
	v_add_f32_e32 v9, v9, v30
	s_delay_alu instid0(VALU_DEP_1) | instskip(NEXT) | instid1(VALU_DEP_1)
	;; [unrolled: 3-line block ×5, first 2 shown]
	v_add_f32_e32 v26, v29, v9
	v_add_f32_e32 v29, 1.0, v26
	s_delay_alu instid0(VALU_DEP_1) | instskip(SKIP_2) | instid1(VALU_DEP_2)
	v_cvt_f64_f32_e32 v[30:31], v29
	v_frexp_mant_f32_e32 v22, v29
	v_add_f32_e32 v27, -1.0, v29
	v_cmp_gt_f32_e32 vcc_lo, 0x3f2aaaab, v22
	s_delay_alu instid0(VALU_DEP_2) | instskip(SKIP_1) | instid1(VALU_DEP_1)
	v_mov_b32_e32 v28, v27
	v_frexp_exp_i32_f64_e32 v9, v[30:31]
	v_subrev_co_ci_u32_e64 v9, null, 0, v9, vcc_lo
	s_delay_alu instid0(VALU_DEP_1) | instskip(NEXT) | instid1(VALU_DEP_4)
	v_sub_nc_u32_e32 v22, 0, v9
	v_pk_add_f32 v[30:31], v[26:27], v[28:29] neg_lo:[0,1] neg_hi:[0,1]
	v_cmp_neq_f32_e32 vcc_lo, 0x7f800000, v26
	v_cmp_neq_f32_e64 s7, -1.0, v26
	s_delay_alu instid0(VALU_DEP_4) | instskip(NEXT) | instid1(VALU_DEP_4)
	v_ldexp_f32 v27, v29, v22
	v_add_f32_e32 v28, 1.0, v31
	s_delay_alu instid0(VALU_DEP_1) | instskip(NEXT) | instid1(VALU_DEP_1)
	v_dual_add_f32 v31, 1.0, v27 :: v_dual_add_f32 v28, v30, v28
	v_add_f32_e32 v29, -1.0, v31
	v_add_f32_e32 v37, -1.0, v27
	s_delay_alu instid0(VALU_DEP_3) | instskip(NEXT) | instid1(VALU_DEP_3)
	v_ldexp_f32 v22, v28, v22
	v_sub_f32_e32 v28, v27, v29
	s_delay_alu instid0(VALU_DEP_1) | instskip(NEXT) | instid1(VALU_DEP_1)
	v_dual_add_f32 v29, 1.0, v37 :: v_dual_add_f32 v28, v22, v28
	v_sub_f32_e32 v27, v27, v29
	s_delay_alu instid0(VALU_DEP_1) | instskip(NEXT) | instid1(VALU_DEP_1)
	v_dual_add_f32 v38, v31, v28 :: v_dual_add_f32 v22, v22, v27
	v_rcp_f32_e32 v27, v38
	s_delay_alu instid0(VALU_DEP_1)
	v_add_f32_e32 v29, v37, v22
	s_delay_alu instid0(TRANS32_DEP_1) | instid1(VALU_DEP_1)
	v_mul_f32_e32 v39, v29, v27
	s_delay_alu instid0(VALU_DEP_1) | instskip(NEXT) | instid1(VALU_DEP_1)
	v_mul_f32_e32 v30, v38, v39
	v_dual_sub_f32 v31, v38, v31 :: v_dual_fma_f32 v36, v39, v38, -v30
	s_delay_alu instid0(VALU_DEP_1) | instskip(NEXT) | instid1(VALU_DEP_1)
	v_sub_f32_e32 v40, v28, v31
	v_fmac_f32_e32 v36, v39, v40
	s_delay_alu instid0(VALU_DEP_1) | instskip(NEXT) | instid1(VALU_DEP_1)
	v_dual_add_f32 v28, v30, v36 :: v_dual_sub_f32 v41, v29, v37
	v_dual_mov_b32 v37, v28 :: v_dual_sub_f32 v31, v29, v28
	s_delay_alu instid0(VALU_DEP_2) | instskip(NEXT) | instid1(VALU_DEP_2)
	v_sub_f32_e32 v22, v22, v41
	v_pk_add_f32 v[28:29], v[28:29], v[30:31] neg_lo:[0,1] neg_hi:[0,1]
	s_delay_alu instid0(VALU_DEP_1) | instskip(NEXT) | instid1(VALU_DEP_1)
	v_pk_add_f32 v[28:29], v[28:29], v[36:37] neg_lo:[0,1] neg_hi:[0,1]
	v_add_f32_e32 v22, v22, v29
	s_delay_alu instid0(VALU_DEP_1) | instskip(NEXT) | instid1(VALU_DEP_1)
	v_add_f32_e32 v22, v28, v22
	v_add_f32_e32 v29, v31, v22
	s_delay_alu instid0(VALU_DEP_1) | instskip(NEXT) | instid1(VALU_DEP_1)
	v_mul_f32_e32 v41, v27, v29
	v_mul_f32_e32 v36, v38, v41
	s_delay_alu instid0(VALU_DEP_1) | instskip(NEXT) | instid1(VALU_DEP_1)
	v_fma_f32 v30, v41, v38, -v36
	v_dual_fmac_f32 v30, v41, v40 :: v_dual_sub_f32 v38, v31, v29
	s_delay_alu instid0(VALU_DEP_1) | instskip(NEXT) | instid1(VALU_DEP_2)
	v_add_f32_e32 v28, v36, v30
	v_dual_add_f32 v22, v22, v38 :: v_dual_add_f32 v38, v39, v41
	s_delay_alu instid0(VALU_DEP_2) | instskip(NEXT) | instid1(VALU_DEP_1)
	v_dual_sub_f32 v37, v29, v28 :: v_dual_mov_b32 v31, v28
	v_pk_add_f32 v[28:29], v[28:29], v[36:37] neg_lo:[0,1] neg_hi:[0,1]
	s_delay_alu instid0(VALU_DEP_1) | instskip(NEXT) | instid1(VALU_DEP_1)
	v_pk_add_f32 v[28:29], v[28:29], v[30:31] neg_lo:[0,1] neg_hi:[0,1]
	v_add_f32_e32 v22, v22, v29
	s_delay_alu instid0(VALU_DEP_1) | instskip(NEXT) | instid1(VALU_DEP_1)
	v_dual_add_f32 v22, v28, v22 :: v_dual_sub_f32 v28, v38, v39
	v_add_f32_e32 v22, v37, v22
	s_delay_alu instid0(VALU_DEP_1) | instskip(NEXT) | instid1(VALU_DEP_1)
	v_dual_sub_f32 v28, v41, v28 :: v_dual_mul_f32 v22, v27, v22
	v_add_f32_e32 v22, v28, v22
	v_cvt_f32_i32_e32 v28, v9
	s_delay_alu instid0(VALU_DEP_2) | instskip(NEXT) | instid1(VALU_DEP_1)
	v_add_f32_e32 v27, v38, v22
	v_mul_f32_e32 v30, v27, v27
	s_delay_alu instid0(VALU_DEP_1) | instskip(SKIP_1) | instid1(VALU_DEP_2)
	v_fmaak_f32 v31, s28, v30, 0x3ecc95a3
	v_mul_f32_e32 v29, v27, v30
	v_fmaak_f32 v9, v30, v31, 0x3f2aaada
	s_delay_alu instid0(VALU_DEP_1) | instskip(NEXT) | instid1(VALU_DEP_1)
	v_pk_mul_f32 v[30:31], v[28:29], v[8:9]
	v_fma_f32 v36, 0x3f317218, v28, -v30
	s_delay_alu instid0(VALU_DEP_1) | instskip(SKIP_1) | instid1(VALU_DEP_1)
	v_fmac_f32_e32 v36, 0xb102e308, v28
	v_ldexp_f32 v37, v27, 1
	v_pk_add_f32 v[28:29], v[30:31], v[36:37]
	v_dual_sub_f32 v9, v27, v38 :: v_dual_mov_b32 v38, v30
	s_delay_alu instid0(VALU_DEP_1) | instskip(NEXT) | instid1(VALU_DEP_3)
	v_dual_mov_b32 v46, v29 :: v_dual_sub_f32 v9, v22, v9
	v_dual_sub_f32 v22, v29, v37 :: v_dual_mov_b32 v37, v28
	s_delay_alu instid0(VALU_DEP_2) | instskip(NEXT) | instid1(VALU_DEP_2)
	v_ldexp_f32 v9, v9, 1
	v_sub_f32_e32 v22, v31, v22
	v_pk_add_f32 v[30:31], v[28:29], v[30:31] neg_lo:[0,1] neg_hi:[0,1]
	s_delay_alu instid0(VALU_DEP_2) | instskip(SKIP_2) | instid1(VALU_DEP_1)
	v_add_f32_e32 v39, v9, v22
	v_max_num_f32_e64 v9, |v17|, |v17|
	v_max_num_f32_e64 v22, |v16|, |v16|
	v_max_num_f32_e32 v27, v22, v9
	s_delay_alu instid0(VALU_DEP_4) | instskip(NEXT) | instid1(VALU_DEP_2)
	v_pk_add_f32 v[40:41], v[28:29], v[38:39]
	v_frexp_exp_i32_f32_e32 v38, v27
	s_delay_alu instid0(VALU_DEP_2) | instskip(SKIP_1) | instid1(VALU_DEP_2)
	v_mov_b32_e32 v31, v41
	v_frexp_mant_f32_e32 v27, v27
	v_pk_add_f32 v[42:43], v[36:37], v[30:31]
	v_min_num_f32_e32 v9, v22, v9
	v_pk_add_f32 v[30:31], v[36:37], v[30:31] neg_lo:[0,1] neg_hi:[0,1]
	s_delay_alu instid0(VALU_DEP_4) | instskip(NEXT) | instid1(VALU_DEP_3)
	v_rcp_f32_e32 v27, v27
	v_mov_b32_e32 v22, v43
	s_delay_alu instid0(VALU_DEP_3) | instskip(SKIP_2) | instid1(VALU_DEP_4)
	v_frexp_exp_i32_f32_e32 v42, v9
	v_frexp_mant_f32_e32 v48, v9
	v_mov_b32_e32 v31, v43
	v_pk_add_f32 v[44:45], v[22:23], v[28:29] neg_lo:[0,1] neg_hi:[0,1]
	s_delay_alu instid0(VALU_DEP_4) | instskip(SKIP_1) | instid1(VALU_DEP_3)
	v_dual_mov_b32 v42, v41 :: v_dual_sub_nc_u32 v45, v42, v38
	v_dual_mov_b32 v29, v28 :: v_dual_mov_b32 v28, v39
	v_dual_mov_b32 v47, v44 :: v_dual_mov_b32 v9, v44
	s_delay_alu instid0(VALU_DEP_1) | instskip(NEXT) | instid1(VALU_DEP_2)
	v_pk_add_f32 v[36:37], v[42:43], v[46:47] neg_lo:[0,1] neg_hi:[0,1]
	v_pk_add_f32 v[38:39], v[40:41], v[8:9] neg_lo:[0,1] neg_hi:[0,1]
	v_mov_b32_e32 v38, v30
	s_delay_alu instid0(VALU_DEP_3) | instskip(NEXT) | instid1(VALU_DEP_1)
	v_pk_add_f32 v[28:29], v[28:29], v[36:37] neg_lo:[0,1] neg_hi:[0,1]
	v_pk_add_f32 v[36:37], v[38:39], v[28:29]
	s_delay_alu instid0(VALU_DEP_1) | instskip(NEXT) | instid1(VALU_DEP_1)
	v_dual_mul_f32 v27, v48, v27 :: v_dual_mov_b32 v38, v37
	v_ldexp_f32 v9, v27, v45
	s_delay_alu instid0(VALU_DEP_2) | instskip(NEXT) | instid1(VALU_DEP_2)
	v_pk_add_f32 v[38:39], v[36:37], v[38:39]
	v_mul_f32_e32 v27, v9, v9
	s_delay_alu instid0(VALU_DEP_2) | instskip(NEXT) | instid1(VALU_DEP_1)
	v_pk_add_f32 v[40:41], v[22:23], v[38:39]
	v_mov_b32_e32 v37, v40
	s_delay_alu instid0(VALU_DEP_1) | instskip(NEXT) | instid1(VALU_DEP_1)
	v_pk_add_f32 v[42:43], v[36:37], v[30:31] neg_lo:[0,1] neg_hi:[0,1]
	v_sub_f32_e32 v31, v36, v42
	s_delay_alu instid0(VALU_DEP_1) | instskip(SKIP_1) | instid1(VALU_DEP_1)
	v_sub_f32_e32 v30, v30, v31
	v_fmaak_f32 v29, s29, v27, 0xbc7a590c
	v_fmaak_f32 v29, v27, v29, 0x3d29fb3f
	s_delay_alu instid0(VALU_DEP_1) | instskip(NEXT) | instid1(VALU_DEP_1)
	v_dual_fmaak_f32 v22, v27, v29, 0xbd97d4d7 :: v_dual_mov_b32 v29, v38
	v_fmaak_f32 v22, v27, v22, 0x3dd931b2
	s_delay_alu instid0(VALU_DEP_2) | instskip(NEXT) | instid1(VALU_DEP_1)
	v_pk_add_f32 v[28:29], v[28:29], v[42:43] neg_lo:[0,1] neg_hi:[0,1]
	v_add_f32_e32 v28, v28, v30
	s_delay_alu instid0(VALU_DEP_3) | instskip(NEXT) | instid1(VALU_DEP_1)
	v_fmaak_f32 v22, v27, v22, 0xbe1160e6
	v_fmaak_f32 v22, v27, v22, 0x3e4cb8bf
	s_delay_alu instid0(VALU_DEP_1) | instskip(NEXT) | instid1(VALU_DEP_1)
	v_fmaak_f32 v22, v27, v22, 0xbeaaaa62
	v_dual_mul_f32 v22, v27, v22 :: v_dual_add_f32 v27, v28, v29
	s_delay_alu instid0(VALU_DEP_1) | instskip(NEXT) | instid1(VALU_DEP_1)
	v_dual_fmac_f32 v9, v9, v22 :: v_dual_add_f32 v22, v40, v27
	v_sub_f32_e32 v27, 0x3fc90fdb, v9
	s_delay_alu instid0(VALU_DEP_2) | instskip(SKIP_1) | instid1(VALU_DEP_3)
	v_cndmask_b32_e32 v22, 0x7f800000, v22, vcc_lo
	v_cmp_gt_i32_e32 vcc_lo, 0, v16
	v_cndmask_b32_e64 v9, v9, v27, s6
	v_cndmask_b32_e64 v27, 0, 0x40490fdb, vcc_lo
	v_cmp_ngt_f32_e32 vcc_lo, -1.0, v26
	s_delay_alu instid0(VALU_DEP_3) | instskip(SKIP_2) | instid1(VALU_DEP_2)
	v_sub_f32_e32 v28, 0x40490fdb, v9
	v_cndmask_b32_e32 v22, 0x7fc00000, v22, vcc_lo
	v_cmp_gt_f32_e32 vcc_lo, 0, v16
	v_cndmask_b32_e64 v16, 0xff800000, v22, s7
	s_delay_alu instid0(VALU_DEP_4)
	v_cndmask_b32_e32 v9, v9, v28, vcc_lo
	v_cndmask_b32_e32 v28, 0x3f490fdb, v32, vcc_lo
	v_cmp_gt_f32_e64 vcc_lo, 0x33800000, |v26|
	v_cmp_class_f32_e64 s7, v17, 0x204
	v_cndmask_b32_e32 v16, v16, v26, vcc_lo
	v_cmp_eq_f32_e32 vcc_lo, 0, v17
	v_cndmask_b32_e32 v9, v9, v27, vcc_lo
	s_and_b32 vcc_lo, s7, s8
	s_delay_alu instid0(VALU_DEP_1)
	v_cndmask_b32_e32 v36, v9, v28, vcc_lo
	v_mul_f32_e32 v22, 0.5, v16
.LBB186_93:                             ;   in Loop: Header=BB186_4 Depth=1
	s_or_b32 exec_lo, exec_lo, s36
.LBB186_94:                             ;   in Loop: Header=BB186_4 Depth=1
	s_delay_alu instid0(SALU_CYCLE_1)
	s_or_b32 exec_lo, exec_lo, s35
.LBB186_95:                             ;   in Loop: Header=BB186_4 Depth=1
	s_and_not1_saveexec_b32 s8, s34
	s_cbranch_execz .LBB186_97
; %bb.96:                               ;   in Loop: Header=BB186_4 Depth=1
	v_max_num_f32_e64 v9, |v17|, |v17|
	v_max_num_f32_e64 v22, |v16|, |v16|
	v_cmp_gt_i32_e64 s7, 0, v16
	v_cmp_class_f32_e64 s9, v16, 0x204
	v_cmp_class_f32_e64 s10, v17, 0x204
	s_delay_alu instid0(VALU_DEP_4) | instskip(NEXT) | instid1(VALU_DEP_1)
	v_dual_max_num_f32 v28, v22, v9 :: v_dual_min_num_f32 v9, v22, v9
	v_cvt_f64_f32_e32 v[26:27], v28
	v_frexp_exp_i32_f32_e32 v22, v28
	s_delay_alu instid0(VALU_DEP_3) | instskip(SKIP_2) | instid1(VALU_DEP_3)
	v_frexp_exp_i32_f32_e32 v29, v9
	v_frexp_mant_f32_e32 v9, v9
	v_cmp_neq_f32_e32 vcc_lo, 0x7f800000, v28
	v_sub_nc_u32_e32 v22, v29, v22
	v_frexp_exp_i32_f64_e32 v26, v[26:27]
	v_frexp_mant_f32_e32 v27, v28
	s_delay_alu instid0(VALU_DEP_1) | instskip(SKIP_1) | instid1(TRANS32_DEP_1)
	v_rcp_f32_e32 v27, v27
	v_nop
	v_mul_f32_e32 v9, v9, v27
	s_delay_alu instid0(VALU_DEP_1) | instskip(SKIP_1) | instid1(VALU_DEP_1)
	v_ldexp_f32 v9, v9, v22
	v_sub_nc_u32_e32 v22, 0, v26
	v_ldexp_f32 v29, |v17|, v22
	v_ldexp_f32 v22, |v16|, v22
	s_delay_alu instid0(VALU_DEP_2) | instskip(NEXT) | instid1(VALU_DEP_1)
	v_mul_f32_e32 v29, v29, v29
	v_dual_mul_f32 v27, v9, v9 :: v_dual_fmac_f32 v29, v22, v22
	s_delay_alu instid0(VALU_DEP_1) | instskip(NEXT) | instid1(VALU_DEP_2)
	v_fmaak_f32 v30, s29, v27, 0xbc7a590c
	v_sqrt_f32_e32 v29, v29
	s_delay_alu instid0(VALU_DEP_1) | instskip(NEXT) | instid1(VALU_DEP_1)
	v_fmaak_f32 v30, v27, v30, 0x3d29fb3f
	v_fmaak_f32 v22, v27, v30, 0xbd97d4d7
	s_delay_alu instid0(TRANS32_DEP_1) | instskip(NEXT) | instid1(VALU_DEP_2)
	v_ldexp_f32 v26, v29, v26
	v_fmaak_f32 v22, v27, v22, 0x3dd931b2
	s_delay_alu instid0(VALU_DEP_2) | instskip(NEXT) | instid1(VALU_DEP_2)
	v_cndmask_b32_e32 v26, 0x7f800000, v26, vcc_lo
	v_fmaak_f32 v22, v27, v22, 0xbe1160e6
	s_delay_alu instid0(VALU_DEP_2) | instskip(NEXT) | instid1(VALU_DEP_2)
	v_cmp_gt_f32_e32 vcc_lo, 0x800000, v26
	v_fmaak_f32 v22, v27, v22, 0x3e4cb8bf
	v_cndmask_b32_e64 v28, 0, 32, vcc_lo
	s_delay_alu instid0(VALU_DEP_2) | instskip(NEXT) | instid1(VALU_DEP_2)
	v_fmaak_f32 v22, v27, v22, 0xbeaaaa62
	v_ldexp_f32 v26, v26, v28
	s_delay_alu instid0(VALU_DEP_2) | instskip(NEXT) | instid1(VALU_DEP_2)
	v_mul_f32_e32 v22, v27, v22
	v_log_f32_e32 v26, v26
	s_delay_alu instid0(VALU_DEP_1) | instskip(NEXT) | instid1(TRANS32_DEP_1)
	v_fmac_f32_e32 v9, v9, v22
	v_mul_f32_e32 v22, 0x3f317217, v26
	s_delay_alu instid0(VALU_DEP_2) | instskip(NEXT) | instid1(VALU_DEP_2)
	v_sub_f32_e32 v27, 0x3fc90fdb, v9
	v_fma_f32 v22, 0x3f317217, v26, -v22
	s_delay_alu instid0(VALU_DEP_1) | instskip(NEXT) | instid1(VALU_DEP_1)
	v_fmac_f32_e32 v22, 0x3377d1cf, v26
	v_fmac_f32_e32 v22, 0x3f317217, v26
	s_delay_alu instid0(VALU_DEP_4) | instskip(SKIP_2) | instid1(VALU_DEP_3)
	v_cndmask_b32_e64 v9, v9, v27, s6
	v_cndmask_b32_e64 v27, 0, 0x40490fdb, s7
	v_cmp_gt_f32_e64 s7, 0, v16
	v_sub_f32_e32 v28, 0x40490fdb, v9
	s_delay_alu instid0(VALU_DEP_2) | instskip(NEXT) | instid1(VALU_DEP_2)
	v_cndmask_b32_e64 v16, 0x3f490fdb, v32, s7
	v_cndmask_b32_e64 v9, v9, v28, s7
	v_cndmask_b32_e64 v28, 0, 0x41b17218, vcc_lo
	v_cmp_gt_f32_e64 vcc_lo, 0x7f800000, |v26|
	v_cndmask_b32_e32 v22, v26, v22, vcc_lo
	v_cmp_eq_f32_e32 vcc_lo, 0, v17
	s_delay_alu instid0(VALU_DEP_2) | instskip(SKIP_1) | instid1(VALU_DEP_1)
	v_dual_sub_f32 v22, v22, v28 :: v_dual_cndmask_b32 v9, v9, v27
	s_and_b32 vcc_lo, s10, s9
	v_cndmask_b32_e32 v36, v9, v16, vcc_lo
.LBB186_97:                             ;   in Loop: Header=BB186_4 Depth=1
	s_or_b32 exec_lo, exec_lo, s8
                                        ; implicit-def: $vgpr26
.LBB186_98:                             ;   in Loop: Header=BB186_4 Depth=1
	s_and_not1_saveexec_b32 s8, s33
	s_cbranch_execz .LBB186_104
; %bb.99:                               ;   in Loop: Header=BB186_4 Depth=1
                                        ; implicit-def: $vgpr22
                                        ; implicit-def: $vgpr36
	s_mov_b32 s7, exec_lo
	v_cmpx_ngt_f32_e32 0x1fec1e4a, v26
	s_xor_b32 s9, exec_lo, s7
	s_cbranch_execz .LBB186_101
; %bb.100:                              ;   in Loop: Header=BB186_4 Depth=1
	v_pk_mul_f32 v[26:27], v[26:27], v[26:27]
	v_max_num_f32_e64 v42, |v16|, |v16|
	v_cmp_class_f32_e64 s10, v16, 0x204
	s_delay_alu instid0(VALU_DEP_3) | instskip(SKIP_1) | instid1(VALU_DEP_2)
	v_add_f32_e32 v29, 1.0, v26
	v_cmp_neq_f32_e64 s7, 0x7f800000, v26
	v_add_f32_e32 v27, -1.0, v29
	s_delay_alu instid0(VALU_DEP_1) | instskip(SKIP_2) | instid1(VALU_DEP_1)
	v_mov_b32_e32 v28, v27
	v_cvt_f64_f32_e32 v[30:31], v29
	v_frexp_mant_f32_e32 v22, v29
	v_cmp_gt_f32_e32 vcc_lo, 0x3f2aaaab, v22
	s_delay_alu instid0(VALU_DEP_3) | instskip(SKIP_1) | instid1(VALU_DEP_1)
	v_frexp_exp_i32_f64_e32 v9, v[30:31]
	v_pk_add_f32 v[30:31], v[26:27], v[28:29] neg_lo:[0,1] neg_hi:[0,1]
	v_add_f32_e32 v28, 1.0, v31
	s_delay_alu instid0(VALU_DEP_3) | instskip(SKIP_1) | instid1(VALU_DEP_2)
	v_subrev_co_ci_u32_e64 v9, null, 0, v9, vcc_lo
	v_cmp_gt_i32_e32 vcc_lo, 0, v16
	v_sub_nc_u32_e32 v22, 0, v9
	s_delay_alu instid0(VALU_DEP_1) | instskip(NEXT) | instid1(VALU_DEP_1)
	v_ldexp_f32 v27, v29, v22
	v_dual_add_f32 v31, 1.0, v27 :: v_dual_add_f32 v28, v30, v28
	s_delay_alu instid0(VALU_DEP_1) | instskip(SKIP_1) | instid1(VALU_DEP_3)
	v_add_f32_e32 v29, -1.0, v31
	v_add_f32_e32 v37, -1.0, v27
	v_ldexp_f32 v22, v28, v22
	s_delay_alu instid0(VALU_DEP_3) | instskip(NEXT) | instid1(VALU_DEP_1)
	v_sub_f32_e32 v28, v27, v29
	v_dual_add_f32 v29, 1.0, v37 :: v_dual_add_f32 v28, v22, v28
	s_delay_alu instid0(VALU_DEP_1) | instskip(NEXT) | instid1(VALU_DEP_1)
	v_sub_f32_e32 v27, v27, v29
	v_dual_add_f32 v38, v31, v28 :: v_dual_add_f32 v22, v22, v27
	s_delay_alu instid0(VALU_DEP_1) | instskip(NEXT) | instid1(VALU_DEP_1)
	v_rcp_f32_e32 v27, v38
	v_add_f32_e32 v29, v37, v22
	s_delay_alu instid0(VALU_DEP_1) | instskip(NEXT) | instid1(TRANS32_DEP_1)
	v_dual_sub_f32 v31, v31, v38 :: v_dual_sub_f32 v41, v37, v29
	v_mul_f32_e32 v39, v29, v27
	s_delay_alu instid0(VALU_DEP_2) | instskip(NEXT) | instid1(VALU_DEP_2)
	v_dual_add_f32 v40, v28, v31 :: v_dual_add_f32 v22, v22, v41
	v_mul_f32_e32 v30, v38, v39
	s_delay_alu instid0(VALU_DEP_1) | instskip(NEXT) | instid1(VALU_DEP_1)
	v_fma_f32 v36, v39, v38, -v30
	v_fmac_f32_e32 v36, v39, v40
	s_delay_alu instid0(VALU_DEP_1) | instskip(NEXT) | instid1(VALU_DEP_1)
	v_add_f32_e32 v28, v30, v36
	v_dual_sub_f32 v31, v29, v28 :: v_dual_mov_b32 v37, v28
	s_delay_alu instid0(VALU_DEP_1) | instskip(NEXT) | instid1(VALU_DEP_1)
	v_pk_add_f32 v[28:29], v[28:29], v[30:31] neg_lo:[0,1] neg_hi:[0,1]
	v_pk_add_f32 v[28:29], v[28:29], v[36:37] neg_lo:[0,1] neg_hi:[0,1]
	s_delay_alu instid0(VALU_DEP_1) | instskip(NEXT) | instid1(VALU_DEP_1)
	v_add_f32_e32 v22, v22, v29
	v_add_f32_e32 v22, v28, v22
	s_delay_alu instid0(VALU_DEP_1) | instskip(NEXT) | instid1(VALU_DEP_1)
	v_add_f32_e32 v29, v31, v22
	v_mul_f32_e32 v41, v27, v29
	s_delay_alu instid0(VALU_DEP_1) | instskip(NEXT) | instid1(VALU_DEP_1)
	v_mul_f32_e32 v36, v38, v41
	v_fma_f32 v30, v41, v38, -v36
	s_delay_alu instid0(VALU_DEP_1) | instskip(NEXT) | instid1(VALU_DEP_1)
	v_dual_fmac_f32 v30, v41, v40 :: v_dual_sub_f32 v38, v31, v29
	v_add_f32_e32 v28, v36, v30
	s_delay_alu instid0(VALU_DEP_2) | instskip(NEXT) | instid1(VALU_DEP_2)
	v_dual_add_f32 v22, v22, v38 :: v_dual_add_f32 v38, v39, v41
	v_dual_sub_f32 v37, v29, v28 :: v_dual_mov_b32 v31, v28
	s_delay_alu instid0(VALU_DEP_1) | instskip(NEXT) | instid1(VALU_DEP_1)
	v_pk_add_f32 v[28:29], v[28:29], v[36:37] neg_lo:[0,1] neg_hi:[0,1]
	v_pk_add_f32 v[28:29], v[28:29], v[30:31] neg_lo:[0,1] neg_hi:[0,1]
	s_delay_alu instid0(VALU_DEP_1) | instskip(NEXT) | instid1(VALU_DEP_1)
	v_add_f32_e32 v22, v22, v29
	v_dual_add_f32 v22, v28, v22 :: v_dual_sub_f32 v28, v38, v39
	s_delay_alu instid0(VALU_DEP_1) | instskip(NEXT) | instid1(VALU_DEP_1)
	v_add_f32_e32 v22, v37, v22
	v_dual_sub_f32 v28, v41, v28 :: v_dual_mul_f32 v22, v27, v22
	s_delay_alu instid0(VALU_DEP_1) | instskip(SKIP_1) | instid1(VALU_DEP_2)
	v_add_f32_e32 v22, v28, v22
	v_cvt_f32_i32_e32 v28, v9
	v_add_f32_e32 v27, v38, v22
	s_delay_alu instid0(VALU_DEP_1) | instskip(NEXT) | instid1(VALU_DEP_1)
	v_mul_f32_e32 v30, v27, v27
	v_fmaak_f32 v31, s28, v30, 0x3ecc95a3
	v_mul_f32_e32 v29, v27, v30
	s_delay_alu instid0(VALU_DEP_2) | instskip(NEXT) | instid1(VALU_DEP_1)
	v_fmaak_f32 v9, v30, v31, 0x3f2aaada
	v_pk_mul_f32 v[30:31], v[28:29], v[8:9]
	s_delay_alu instid0(VALU_DEP_1) | instskip(NEXT) | instid1(VALU_DEP_1)
	v_fma_f32 v36, 0x3f317218, v28, -v30
	v_fmac_f32_e32 v36, 0xb102e308, v28
	v_ldexp_f32 v37, v27, 1
	s_delay_alu instid0(VALU_DEP_1) | instskip(SKIP_2) | instid1(VALU_DEP_2)
	v_pk_add_f32 v[28:29], v[30:31], v[36:37]
	v_dual_sub_f32 v9, v27, v38 :: v_dual_mov_b32 v38, v30
	v_max_num_f32_e64 v27, |v17|, |v17|
	v_sub_f32_e32 v9, v22, v9
	s_delay_alu instid0(VALU_DEP_4) | instskip(NEXT) | instid1(VALU_DEP_2)
	v_dual_sub_f32 v22, v29, v37 :: v_dual_mov_b32 v37, v28
	v_ldexp_f32 v9, v9, 1
	s_delay_alu instid0(VALU_DEP_2) | instskip(SKIP_1) | instid1(VALU_DEP_2)
	v_sub_f32_e32 v22, v31, v22
	v_pk_add_f32 v[30:31], v[28:29], v[30:31] neg_lo:[0,1] neg_hi:[0,1]
	v_dual_add_f32 v39, v9, v22 :: v_dual_max_num_f32 v9, v42, v27
	v_min_num_f32_e32 v27, v42, v27
	s_delay_alu instid0(VALU_DEP_2) | instskip(NEXT) | instid1(VALU_DEP_3)
	v_pk_add_f32 v[40:41], v[28:29], v[38:39]
	v_frexp_mant_f32_e32 v22, v9
	v_frexp_exp_i32_f32_e32 v9, v9
	s_delay_alu instid0(VALU_DEP_3) | instskip(NEXT) | instid1(VALU_DEP_3)
	v_dual_mov_b32 v46, v29 :: v_dual_mov_b32 v31, v41
	v_rcp_f32_e32 v38, v22
	s_delay_alu instid0(VALU_DEP_1) | instskip(SKIP_2) | instid1(VALU_DEP_2)
	v_pk_add_f32 v[42:43], v[36:37], v[30:31]
	v_frexp_exp_i32_f32_e32 v42, v27
	v_frexp_mant_f32_e32 v27, v27
	v_dual_mov_b32 v22, v43 :: v_dual_sub_nc_u32 v9, v42, v9
	s_delay_alu instid0(TRANS32_DEP_1) | instid1(VALU_DEP_2)
	v_dual_mul_f32 v27, v27, v38 :: v_dual_mov_b32 v42, v41
	v_pk_add_f32 v[30:31], v[36:37], v[30:31] neg_lo:[0,1] neg_hi:[0,1]
	s_delay_alu instid0(VALU_DEP_3) | instskip(SKIP_1) | instid1(VALU_DEP_4)
	v_pk_add_f32 v[44:45], v[22:23], v[28:29] neg_lo:[0,1] neg_hi:[0,1]
	v_mov_b32_e32 v29, v28
	v_ldexp_f32 v27, v27, v9
	s_delay_alu instid0(VALU_DEP_3) | instskip(NEXT) | instid1(VALU_DEP_2)
	v_dual_mov_b32 v28, v39 :: v_dual_mov_b32 v9, v44
	v_dual_mov_b32 v47, v44 :: v_dual_mul_f32 v44, v27, v27
	s_delay_alu instid0(VALU_DEP_2) | instskip(NEXT) | instid1(VALU_DEP_2)
	v_pk_add_f32 v[38:39], v[40:41], v[8:9] neg_lo:[0,1] neg_hi:[0,1]
	v_pk_add_f32 v[36:37], v[42:43], v[46:47] neg_lo:[0,1] neg_hi:[0,1]
	v_mov_b32_e32 v38, v30
	s_delay_alu instid0(VALU_DEP_2) | instskip(NEXT) | instid1(VALU_DEP_1)
	v_pk_add_f32 v[28:29], v[28:29], v[36:37] neg_lo:[0,1] neg_hi:[0,1]
	v_pk_add_f32 v[36:37], v[38:39], v[28:29]
	s_delay_alu instid0(VALU_DEP_1) | instskip(NEXT) | instid1(VALU_DEP_1)
	v_dual_fmaak_f32 v9, s29, v44, 0xbc7a590c :: v_dual_mov_b32 v38, v37
	v_pk_add_f32 v[38:39], v[36:37], v[38:39]
	s_delay_alu instid0(VALU_DEP_1) | instskip(NEXT) | instid1(VALU_DEP_1)
	v_pk_add_f32 v[40:41], v[22:23], v[38:39]
	v_dual_mov_b32 v31, v43 :: v_dual_mov_b32 v37, v40
	s_delay_alu instid0(VALU_DEP_1) | instskip(NEXT) | instid1(VALU_DEP_1)
	v_pk_add_f32 v[42:43], v[36:37], v[30:31] neg_lo:[0,1] neg_hi:[0,1]
	v_dual_mov_b32 v29, v38 :: v_dual_sub_f32 v22, v36, v42
	v_fmaak_f32 v9, v44, v9, 0x3d29fb3f
	s_delay_alu instid0(VALU_DEP_2) | instskip(NEXT) | instid1(VALU_DEP_2)
	v_pk_add_f32 v[28:29], v[28:29], v[42:43] neg_lo:[0,1] neg_hi:[0,1]
	v_dual_sub_f32 v22, v30, v22 :: v_dual_fmaak_f32 v9, v44, v9, 0xbd97d4d7
	s_delay_alu instid0(VALU_DEP_1) | instskip(NEXT) | instid1(VALU_DEP_1)
	v_fmaak_f32 v9, v44, v9, 0x3dd931b2
	v_fmaak_f32 v9, v44, v9, 0xbe1160e6
	s_delay_alu instid0(VALU_DEP_1) | instskip(NEXT) | instid1(VALU_DEP_1)
	v_fmaak_f32 v9, v44, v9, 0x3e4cb8bf
	v_fmaak_f32 v9, v44, v9, 0xbeaaaa62
	s_delay_alu instid0(VALU_DEP_1) | instskip(NEXT) | instid1(VALU_DEP_1)
	v_mul_f32_e32 v9, v44, v9
	v_dual_fmac_f32 v27, v27, v9 :: v_dual_add_f32 v9, v28, v22
	s_delay_alu instid0(VALU_DEP_1) | instskip(NEXT) | instid1(VALU_DEP_1)
	v_dual_sub_f32 v22, 0x3fc90fdb, v27 :: v_dual_add_f32 v9, v9, v29
	v_cndmask_b32_e64 v22, v27, v22, s6
	v_cndmask_b32_e64 v27, 0, 0x40490fdb, vcc_lo
	s_delay_alu instid0(VALU_DEP_3) | instskip(SKIP_1) | instid1(VALU_DEP_4)
	v_add_f32_e32 v9, v40, v9
	v_cmp_gt_f32_e32 vcc_lo, 0, v16
	v_sub_f32_e32 v28, 0x40490fdb, v22
	s_delay_alu instid0(VALU_DEP_3) | instskip(SKIP_1) | instid1(VALU_DEP_3)
	v_cndmask_b32_e64 v9, 0x7f800000, v9, s7
	v_cmp_class_f32_e64 s7, v17, 0x204
	v_cndmask_b32_e32 v16, v22, v28, vcc_lo
	v_cndmask_b32_e32 v28, 0x3f490fdb, v32, vcc_lo
	v_cmp_gt_f32_e64 vcc_lo, 0x33800000, |v26|
	v_cndmask_b32_e32 v9, v9, v26, vcc_lo
	v_cmp_eq_f32_e32 vcc_lo, 0, v17
                                        ; implicit-def: $vgpr26
	v_cndmask_b32_e32 v16, v16, v27, vcc_lo
	s_and_b32 vcc_lo, s7, s10
	s_delay_alu instid0(VALU_DEP_1) | instid1(SALU_CYCLE_1)
	v_dual_mul_f32 v22, 0.5, v9 :: v_dual_cndmask_b32 v36, v16, v28, vcc_lo
.LBB186_101:                            ;   in Loop: Header=BB186_4 Depth=1
	s_and_not1_saveexec_b32 s9, s9
	s_cbranch_execz .LBB186_103
; %bb.102:                              ;   in Loop: Header=BB186_4 Depth=1
	v_max_num_f32_e64 v9, |v17|, |v17|
	v_max_num_f32_e64 v22, |v16|, |v16|
	v_cmp_eq_f32_e64 s7, 0, v17
	v_cmp_gt_i32_e32 vcc_lo, 0, v16
	v_cmp_class_f32_e64 s10, v16, 0x204
	v_cmp_class_f32_e64 s11, v17, 0x204
	v_dual_max_num_f32 v27, v22, v9 :: v_dual_min_num_f32 v9, v22, v9
	s_delay_alu instid0(VALU_DEP_1) | instskip(SKIP_1) | instid1(VALU_DEP_2)
	v_frexp_mant_f32_e32 v28, v27
	v_frexp_exp_i32_f32_e32 v22, v27
	v_rcp_f32_e32 v27, v28
	v_nop
	v_frexp_exp_i32_f32_e32 v28, v9
	v_frexp_mant_f32_e32 v9, v9
	s_delay_alu instid0(TRANS32_DEP_1) | instid1(VALU_DEP_1)
	v_dual_mul_f32 v9, v9, v27 :: v_dual_sub_nc_u32 v22, v28, v22
	s_delay_alu instid0(VALU_DEP_1) | instskip(NEXT) | instid1(VALU_DEP_1)
	v_ldexp_f32 v9, v9, v22
	v_mul_f32_e32 v22, v9, v9
	s_delay_alu instid0(VALU_DEP_1) | instskip(NEXT) | instid1(VALU_DEP_1)
	v_fmaak_f32 v27, s29, v22, 0xbc7a590c
	v_fmaak_f32 v27, v22, v27, 0x3d29fb3f
	s_delay_alu instid0(VALU_DEP_1) | instskip(NEXT) | instid1(VALU_DEP_1)
	v_fmaak_f32 v27, v22, v27, 0xbd97d4d7
	v_fmaak_f32 v27, v22, v27, 0x3dd931b2
	s_delay_alu instid0(VALU_DEP_1) | instskip(NEXT) | instid1(VALU_DEP_1)
	v_fmaak_f32 v27, v22, v27, 0xbe1160e6
	v_fmaak_f32 v27, v22, v27, 0x3e4cb8bf
	s_delay_alu instid0(VALU_DEP_1) | instskip(NEXT) | instid1(VALU_DEP_1)
	v_fmaak_f32 v27, v22, v27, 0xbeaaaa62
	v_mul_f32_e32 v22, v22, v27
	v_cndmask_b32_e64 v27, 0, 0x40490fdb, vcc_lo
	v_cmp_gt_f32_e32 vcc_lo, 0, v16
	s_delay_alu instid0(VALU_DEP_3) | instskip(NEXT) | instid1(VALU_DEP_1)
	v_dual_fmac_f32 v9, v9, v22 :: v_dual_cndmask_b32 v16, 0x3f490fdb, v32
	v_sub_f32_e32 v22, 0x3fc90fdb, v9
	s_delay_alu instid0(VALU_DEP_1) | instskip(NEXT) | instid1(VALU_DEP_1)
	v_cndmask_b32_e64 v9, v9, v22, s6
	v_sub_f32_e32 v22, 0x40490fdb, v9
	s_delay_alu instid0(VALU_DEP_1) | instskip(SKIP_2) | instid1(VALU_DEP_1)
	v_cndmask_b32_e32 v9, v9, v22, vcc_lo
	v_mul_f32_e32 v22, 0.5, v26
	s_and_b32 vcc_lo, s11, s10
	v_dual_cndmask_b32 v9, v9, v27, s7 :: v_dual_mul_f32 v22, v26, v22
	s_delay_alu instid0(VALU_DEP_1)
	v_cndmask_b32_e32 v36, v9, v16, vcc_lo
.LBB186_103:                            ;   in Loop: Header=BB186_4 Depth=1
	s_or_b32 exec_lo, exec_lo, s9
.LBB186_104:                            ;   in Loop: Header=BB186_4 Depth=1
	s_delay_alu instid0(SALU_CYCLE_1)
	s_or_b32 exec_lo, exec_lo, s8
.LBB186_105:                            ;   in Loop: Header=BB186_4 Depth=1
	s_and_not1_saveexec_b32 s8, s31
	s_cbranch_execz .LBB186_107
; %bb.106:                              ;   in Loop: Header=BB186_4 Depth=1
	v_div_scale_f32 v9, null, 0x402df854, 0x402df854, v16
	v_div_scale_f32 v22, null, 0x402df854, 0x402df854, v17
	v_div_scale_f32 v30, vcc_lo, v16, 0x402df854, v16
	s_delay_alu instid0(VALU_DEP_3) | instskip(NEXT) | instid1(VALU_DEP_2)
	v_rcp_f32_e32 v26, v9
	v_rcp_f32_e32 v27, v22
	v_cmp_class_f32_e64 s9, v17, 0x204
	s_delay_alu instid0(TRANS32_DEP_2) | instskip(NEXT) | instid1(TRANS32_DEP_1)
	v_fma_f32 v28, -v9, v26, 1.0
	v_fma_f32 v29, -v22, v27, 1.0
	s_delay_alu instid0(VALU_DEP_1) | instskip(SKIP_1) | instid1(VALU_DEP_1)
	v_dual_fmac_f32 v26, v28, v26 :: v_dual_fmac_f32 v27, v29, v27
	v_div_scale_f32 v28, s7, v17, 0x402df854, v17
	v_dual_mul_f32 v29, v30, v26 :: v_dual_mul_f32 v31, v28, v27
	s_delay_alu instid0(VALU_DEP_1) | instskip(NEXT) | instid1(VALU_DEP_1)
	v_dual_fma_f32 v36, -v9, v29, v30 :: v_dual_fma_f32 v37, -v22, v31, v28
	v_dual_fmac_f32 v29, v36, v26 :: v_dual_fmac_f32 v31, v37, v27
	s_delay_alu instid0(VALU_DEP_1) | instskip(NEXT) | instid1(VALU_DEP_1)
	v_dual_fma_f32 v9, -v9, v29, v30 :: v_dual_fma_f32 v22, -v22, v31, v28
	v_div_fmas_f32 v9, v9, v26, v29
	s_mov_b32 vcc_lo, s7
	v_max_num_f32_e64 v29, |v16|, |v16|
	s_delay_alu instid0(VALU_DEP_3) | instskip(SKIP_2) | instid1(VALU_DEP_3)
	v_div_fmas_f32 v22, v22, v27, v31
	v_cmp_class_f32_e64 s7, v16, 0x204
	v_div_fixup_f32 v9, v9, 0x402df854, v16
	v_div_fixup_f32 v22, v22, 0x402df854, v17
	s_delay_alu instid0(VALU_DEP_1) | instskip(NEXT) | instid1(VALU_DEP_1)
	v_max_num_f32_e64 v28, |v9|, |v22|
	v_cvt_f64_f32_e32 v[26:27], v28
	v_cmp_neq_f32_e32 vcc_lo, 0x7f800000, v28
	s_delay_alu instid0(VALU_DEP_2) | instskip(SKIP_1) | instid1(VALU_DEP_1)
	v_frexp_exp_i32_f64_e32 v26, v[26:27]
	v_max_num_f32_e64 v27, |v17|, |v17|
	v_dual_max_num_f32 v30, v29, v27 :: v_dual_min_num_f32 v27, v29, v27
	s_delay_alu instid0(VALU_DEP_1) | instskip(SKIP_1) | instid1(VALU_DEP_2)
	v_frexp_mant_f32_e32 v31, v30
	v_frexp_exp_i32_f32_e32 v29, v30
	v_rcp_f32_e32 v30, v31
	v_nop
	v_frexp_exp_i32_f32_e32 v31, v27
	v_frexp_mant_f32_e32 v27, v27
	s_delay_alu instid0(VALU_DEP_2)
	v_sub_nc_u32_e32 v29, v31, v29
	s_delay_alu instid0(TRANS32_DEP_1) | instid1(VALU_DEP_2)
	v_mul_f32_e32 v27, v27, v30
	v_sub_nc_u32_e32 v30, 0, v26
	s_delay_alu instid0(VALU_DEP_2) | instskip(NEXT) | instid1(VALU_DEP_2)
	v_ldexp_f32 v27, v27, v29
	v_ldexp_f32 v22, |v22|, v30
	s_delay_alu instid0(VALU_DEP_2) | instskip(SKIP_1) | instid1(VALU_DEP_3)
	v_mul_f32_e32 v29, v27, v27
	v_ldexp_f32 v9, |v9|, v30
	v_mul_f32_e32 v22, v22, v22
	s_delay_alu instid0(VALU_DEP_3) | instskip(NEXT) | instid1(VALU_DEP_2)
	v_fmaak_f32 v30, s29, v29, 0xbc7a590c
	v_fmac_f32_e32 v22, v9, v9
	s_delay_alu instid0(VALU_DEP_2) | instskip(NEXT) | instid1(VALU_DEP_1)
	v_fmaak_f32 v9, v29, v30, 0x3d29fb3f
	v_fmaak_f32 v9, v29, v9, 0xbd97d4d7
	s_delay_alu instid0(VALU_DEP_1) | instskip(NEXT) | instid1(VALU_DEP_1)
	v_fmaak_f32 v9, v29, v9, 0x3dd931b2
	v_fmaak_f32 v9, v29, v9, 0xbe1160e6
	s_delay_alu instid0(VALU_DEP_1) | instskip(NEXT) | instid1(VALU_DEP_1)
	;; [unrolled: 3-line block ×3, first 2 shown]
	v_mul_f32_e32 v9, v29, v9
	v_fmac_f32_e32 v27, v27, v9
	v_sqrt_f32_e32 v22, v22
	v_nop
	s_delay_alu instid0(TRANS32_DEP_1) | instskip(NEXT) | instid1(VALU_DEP_1)
	v_ldexp_f32 v22, v22, v26
	v_cndmask_b32_e32 v22, 0x7f800000, v22, vcc_lo
	s_delay_alu instid0(VALU_DEP_1) | instskip(SKIP_2) | instid1(VALU_DEP_2)
	v_cmp_gt_f32_e32 vcc_lo, 0x800000, v22
	v_cndmask_b32_e64 v26, 0, 32, vcc_lo
	v_cndmask_b32_e64 v29, 0, 0x41b17218, vcc_lo
	v_ldexp_f32 v22, v22, v26
	s_delay_alu instid0(VALU_DEP_1) | instskip(SKIP_1) | instid1(TRANS32_DEP_1)
	v_log_f32_e32 v22, v22
	v_nop
	v_mul_f32_e32 v26, 0x3f317217, v22
	v_cmp_gt_f32_e64 vcc_lo, 0x7f800000, |v22|
	s_delay_alu instid0(VALU_DEP_2) | instskip(NEXT) | instid1(VALU_DEP_1)
	v_fma_f32 v9, 0x3f317217, v22, -v26
	v_fmac_f32_e32 v9, 0x3377d1cf, v22
	s_delay_alu instid0(VALU_DEP_1) | instskip(NEXT) | instid1(VALU_DEP_1)
	v_fmac_f32_e32 v9, 0x3f317217, v22
	v_dual_sub_f32 v26, 0x3fc90fdb, v27 :: v_dual_cndmask_b32 v9, v22, v9
	v_cmp_eq_f32_e32 vcc_lo, 0, v17
	s_delay_alu instid0(VALU_DEP_2) | instskip(SKIP_1) | instid1(VALU_DEP_2)
	v_dual_sub_f32 v9, v9, v29 :: v_dual_cndmask_b32 v26, v27, v26, s6
	v_cmp_gt_i32_e64 s6, 0, v16
	v_add_f32_e32 v22, 1.0, v9
	s_delay_alu instid0(VALU_DEP_3) | instskip(NEXT) | instid1(VALU_DEP_3)
	v_sub_f32_e32 v28, 0x40490fdb, v26
	v_cndmask_b32_e64 v27, 0, 0x40490fdb, s6
	v_cmp_gt_f32_e64 s6, 0, v16
	s_delay_alu instid0(VALU_DEP_1) | instskip(SKIP_1) | instid1(VALU_DEP_2)
	v_cndmask_b32_e64 v16, v26, v28, s6
	v_cndmask_b32_e64 v26, 0x3f490fdb, v32, s6
	v_cndmask_b32_e32 v16, v16, v27, vcc_lo
	s_and_b32 vcc_lo, s9, s7
	s_delay_alu instid0(VALU_DEP_1)
	v_cndmask_b32_e32 v36, v16, v26, vcc_lo
.LBB186_107:                            ;   in Loop: Header=BB186_4 Depth=1
	s_or_b32 exec_lo, exec_lo, s8
.LBB186_108:                            ;   in Loop: Header=BB186_4 Depth=1
	s_and_not1_saveexec_b32 s6, s30
	s_cbranch_execz .LBB186_114
; %bb.109:                              ;   in Loop: Header=BB186_4 Depth=1
	v_cmp_ngt_f32_e64 s7, 0x20000000, |v16|
	v_cmp_ngt_f32_e64 s8, 0x20000000, |v17|
                                        ; implicit-def: $vgpr9
	s_or_b32 s7, s8, s7
	s_delay_alu instid0(SALU_CYCLE_1) | instskip(NEXT) | instid1(SALU_CYCLE_1)
	s_and_saveexec_b32 s8, s7
	s_xor_b32 s7, exec_lo, s8
; %bb.110:                              ;   in Loop: Header=BB186_4 Depth=1
	v_pk_mul_f32 v[26:27], v[16:17], v[16:17]
	s_delay_alu instid0(VALU_DEP_1)
	v_add_f32_e32 v9, v27, v26
; %bb.111:                              ;   in Loop: Header=BB186_4 Depth=1
	s_and_not1_saveexec_b32 s7, s7
; %bb.112:                              ;   in Loop: Header=BB186_4 Depth=1
	v_pk_mul_f32 v[26:27], v[16:17], 4.0 op_sel_hi:[1,0]
	s_delay_alu instid0(VALU_DEP_1) | instskip(NEXT) | instid1(VALU_DEP_1)
	v_pk_mul_f32 v[26:27], v[26:27], v[26:27]
	v_add_f32_e32 v9, v27, v26
	s_delay_alu instid0(VALU_DEP_1)
	v_mul_f32_e32 v9, 0x3d800000, v9
; %bb.113:                              ;   in Loop: Header=BB186_4 Depth=1
	s_or_b32 exec_lo, exec_lo, s7
	s_delay_alu instid0(VALU_DEP_1) | instskip(SKIP_3) | instid1(VALU_DEP_2)
	v_cmp_gt_f32_e32 vcc_lo, 0x800000, v9
	v_mov_b32_e32 v36, 0x7fc00000
	v_cndmask_b32_e64 v16, 0, 32, vcc_lo
	v_cndmask_b32_e64 v22, 0, 0x41b17218, vcc_lo
	v_ldexp_f32 v9, v9, v16
	s_delay_alu instid0(VALU_DEP_1) | instskip(SKIP_1) | instid1(TRANS32_DEP_1)
	v_log_f32_e32 v9, v9
	v_nop
	v_mul_f32_e32 v16, 0x3f317217, v9
	v_cmp_gt_f32_e64 vcc_lo, 0x7f800000, |v9|
	s_delay_alu instid0(VALU_DEP_2) | instskip(NEXT) | instid1(VALU_DEP_1)
	v_fma_f32 v16, 0x3f317217, v9, -v16
	v_fmac_f32_e32 v16, 0x3377d1cf, v9
	s_delay_alu instid0(VALU_DEP_1) | instskip(NEXT) | instid1(VALU_DEP_1)
	v_fmac_f32_e32 v16, 0x3f317217, v9
	v_cndmask_b32_e32 v9, v9, v16, vcc_lo
	s_delay_alu instid0(VALU_DEP_1)
	v_sub_f32_e32 v22, v9, v22
.LBB186_114:                            ;   in Loop: Header=BB186_4 Depth=1
	s_or_b32 exec_lo, exec_lo, s6
                                        ; implicit-def: $vgpr9
                                        ; implicit-def: $vgpr16
	s_delay_alu instid0(SALU_CYCLE_1)
	s_mov_b32 s6, exec_lo
	v_cmpx_o_f32_e32 v15, v14
	s_xor_b32 s30, exec_lo, s6
	s_cbranch_execnz .LBB186_120
; %bb.115:                              ;   in Loop: Header=BB186_4 Depth=1
	s_and_not1_saveexec_b32 s6, s30
	s_cbranch_execnz .LBB186_147
.LBB186_116:                            ;   in Loop: Header=BB186_4 Depth=1
	s_or_b32 exec_lo, exec_lo, s6
	s_and_saveexec_b32 s6, s5
	s_delay_alu instid0(SALU_CYCLE_1)
	s_xor_b32 s6, exec_lo, s6
	s_cbranch_execnz .LBB186_152
.LBB186_117:                            ;   in Loop: Header=BB186_4 Depth=1
	s_or_b32 exec_lo, exec_lo, s6
	s_and_saveexec_b32 s5, s4
	s_cbranch_execnz .LBB186_153
.LBB186_118:                            ;   in Loop: Header=BB186_4 Depth=1
	s_or_b32 exec_lo, exec_lo, s5
	s_and_saveexec_b32 s4, s3
	s_cbranch_execnz .LBB186_154
.LBB186_119:                            ;   in Loop: Header=BB186_4 Depth=1
	s_or_b32 exec_lo, exec_lo, s4
	s_and_saveexec_b32 s3, s2
	s_cbranch_execz .LBB186_3
	s_branch .LBB186_155
.LBB186_120:                            ;   in Loop: Header=BB186_4 Depth=1
	v_cmp_lt_f32_e64 s6, |v14|, |v15|
                                        ; implicit-def: $vgpr9
                                        ; implicit-def: $vgpr16
	s_mov_b32 s8, exec_lo
	v_cndmask_b32_e64 v26, v15, v14, s6
	s_delay_alu instid0(VALU_DEP_1)
	v_cmpx_nlt_f32_e64 0x77f684df, |v26|
	s_xor_b32 s31, exec_lo, s8
	s_cbranch_execz .LBB186_144
; %bb.121:                              ;   in Loop: Header=BB186_4 Depth=1
	v_cndmask_b32_e64 v9, v14, v15, s6
	v_and_b32_e32 v26, 0x7fffffff, v26
                                        ; implicit-def: $vgpr16
	s_mov_b32 s7, exec_lo
	s_delay_alu instid0(VALU_DEP_2) | instskip(NEXT) | instid1(VALU_DEP_1)
	v_and_b32_e32 v27, 0x7fffffff, v9
                                        ; implicit-def: $vgpr9
	v_cmpx_neq_f32_e32 1.0, v27
	s_xor_b32 s33, exec_lo, s7
	s_cbranch_execz .LBB186_137
; %bb.122:                              ;   in Loop: Header=BB186_4 Depth=1
	v_dual_max_num_f32 v9, v26, v26 :: v_dual_max_num_f32 v16, v27, v27
	s_delay_alu instid0(VALU_DEP_1) | instskip(NEXT) | instid1(VALU_DEP_1)
	v_dual_min_num_f32 v28, v16, v9 :: v_dual_max_num_f32 v9, v16, v9
                                        ; implicit-def: $vgpr16
	v_cmp_ngt_f32_e32 vcc_lo, 0x358637bd, v28
	s_delay_alu instid0(VALU_DEP_2) | instskip(SKIP_1) | instid1(SALU_CYCLE_1)
	v_cmp_nlt_f32_e64 s7, 0x49742400, v9
                                        ; implicit-def: $vgpr9
	s_and_b32 s7, s7, vcc_lo
	s_and_saveexec_b32 s8, s7
	s_delay_alu instid0(SALU_CYCLE_1)
	s_xor_b32 s34, exec_lo, s8
	s_cbranch_execz .LBB186_134
; %bb.123:                              ;   in Loop: Header=BB186_4 Depth=1
                                        ; implicit-def: $vgpr9
                                        ; implicit-def: $vgpr16
	s_mov_b32 s7, exec_lo
	v_cmpx_le_f32_e32 1.0, v27
	s_xor_b32 s8, exec_lo, s7
	s_cbranch_execz .LBB186_125
; %bb.124:                              ;   in Loop: Header=BB186_4 Depth=1
	v_pk_add_f32 v[28:29], v[26:27], v[6:7] op_sel:[1,0]
	v_mov_b32_e32 v30, v26
	v_cmp_class_f32_e64 s9, v14, 0x204
	s_delay_alu instid0(VALU_DEP_3) | instskip(SKIP_1) | instid1(VALU_DEP_1)
	v_dual_mov_b32 v27, v28 :: v_dual_mov_b32 v31, v29
	v_mul_f32_e32 v16, v28, v29
	v_pk_fma_f32 v[26:27], v[26:27], v[30:31], v[16:17] op_sel_hi:[1,1,0]
	s_delay_alu instid0(VALU_DEP_1) | instskip(SKIP_1) | instid1(VALU_DEP_2)
	v_add_f32_e32 v29, 1.0, v26
	v_cmp_neq_f32_e64 s7, -1.0, v26
	v_add_f32_e32 v27, -1.0, v29
	s_delay_alu instid0(VALU_DEP_1) | instskip(SKIP_2) | instid1(VALU_DEP_1)
	v_mov_b32_e32 v28, v27
	v_cvt_f64_f32_e32 v[30:31], v29
	v_frexp_mant_f32_e32 v16, v29
	v_cmp_gt_f32_e32 vcc_lo, 0x3f2aaaab, v16
	s_delay_alu instid0(VALU_DEP_3) | instskip(SKIP_1) | instid1(VALU_DEP_1)
	v_frexp_exp_i32_f64_e32 v9, v[30:31]
	v_pk_add_f32 v[30:31], v[26:27], v[28:29] neg_lo:[0,1] neg_hi:[0,1]
	v_add_f32_e32 v28, 1.0, v31
	s_delay_alu instid0(VALU_DEP_3) | instskip(SKIP_1) | instid1(VALU_DEP_2)
	v_subrev_co_ci_u32_e64 v9, null, 0, v9, vcc_lo
	v_cmp_neq_f32_e32 vcc_lo, 0x7f800000, v26
	v_sub_nc_u32_e32 v16, 0, v9
	s_delay_alu instid0(VALU_DEP_1) | instskip(NEXT) | instid1(VALU_DEP_1)
	v_ldexp_f32 v27, v29, v16
	v_dual_add_f32 v31, 1.0, v27 :: v_dual_add_f32 v28, v30, v28
	s_delay_alu instid0(VALU_DEP_1) | instskip(SKIP_1) | instid1(VALU_DEP_3)
	v_add_f32_e32 v29, -1.0, v31
	v_add_f32_e32 v37, -1.0, v27
	v_ldexp_f32 v16, v28, v16
	s_delay_alu instid0(VALU_DEP_3) | instskip(NEXT) | instid1(VALU_DEP_1)
	v_sub_f32_e32 v28, v27, v29
	v_dual_add_f32 v29, 1.0, v37 :: v_dual_add_f32 v28, v16, v28
	s_delay_alu instid0(VALU_DEP_1) | instskip(NEXT) | instid1(VALU_DEP_1)
	v_sub_f32_e32 v27, v27, v29
	v_dual_add_f32 v40, v31, v28 :: v_dual_add_f32 v16, v16, v27
	s_delay_alu instid0(VALU_DEP_1) | instskip(NEXT) | instid1(VALU_DEP_1)
	v_rcp_f32_e32 v27, v40
	v_add_f32_e32 v29, v37, v16
	s_delay_alu instid0(TRANS32_DEP_1) | instid1(VALU_DEP_1)
	v_dual_sub_f32 v37, v29, v37 :: v_dual_mul_f32 v41, v29, v27
	v_sub_f32_e32 v31, v40, v31
	s_delay_alu instid0(VALU_DEP_2) | instskip(NEXT) | instid1(VALU_DEP_3)
	v_sub_f32_e32 v16, v16, v37
	v_mul_f32_e32 v30, v40, v41
	s_delay_alu instid0(VALU_DEP_1) | instskip(NEXT) | instid1(VALU_DEP_1)
	v_dual_sub_f32 v42, v28, v31 :: v_dual_fma_f32 v38, v41, v40, -v30
	v_fmac_f32_e32 v38, v41, v42
	s_delay_alu instid0(VALU_DEP_1) | instskip(NEXT) | instid1(VALU_DEP_1)
	v_add_f32_e32 v28, v30, v38
	v_dual_sub_f32 v31, v29, v28 :: v_dual_mov_b32 v39, v28
	s_delay_alu instid0(VALU_DEP_1) | instskip(NEXT) | instid1(VALU_DEP_1)
	v_pk_add_f32 v[28:29], v[28:29], v[30:31] neg_lo:[0,1] neg_hi:[0,1]
	v_pk_add_f32 v[28:29], v[28:29], v[38:39] neg_lo:[0,1] neg_hi:[0,1]
	s_delay_alu instid0(VALU_DEP_1) | instskip(NEXT) | instid1(VALU_DEP_1)
	v_add_f32_e32 v16, v16, v29
	v_add_f32_e32 v16, v28, v16
	s_delay_alu instid0(VALU_DEP_1) | instskip(NEXT) | instid1(VALU_DEP_1)
	v_add_f32_e32 v29, v31, v16
	v_mul_f32_e32 v37, v27, v29
	s_delay_alu instid0(VALU_DEP_1) | instskip(NEXT) | instid1(VALU_DEP_1)
	v_mul_f32_e32 v38, v40, v37
	v_dual_fma_f32 v30, v37, v40, -v38 :: v_dual_sub_f32 v40, v31, v29
	s_delay_alu instid0(VALU_DEP_1) | instskip(NEXT) | instid1(VALU_DEP_1)
	v_dual_fmac_f32 v30, v37, v42 :: v_dual_add_f32 v16, v16, v40
	v_dual_add_f32 v40, v41, v37 :: v_dual_add_f32 v28, v38, v30
	s_delay_alu instid0(VALU_DEP_1) | instskip(NEXT) | instid1(VALU_DEP_1)
	v_dual_sub_f32 v39, v29, v28 :: v_dual_mov_b32 v31, v28
	v_pk_add_f32 v[28:29], v[28:29], v[38:39] neg_lo:[0,1] neg_hi:[0,1]
	s_delay_alu instid0(VALU_DEP_1) | instskip(NEXT) | instid1(VALU_DEP_1)
	v_pk_add_f32 v[28:29], v[28:29], v[30:31] neg_lo:[0,1] neg_hi:[0,1]
	v_add_f32_e32 v16, v16, v29
	s_delay_alu instid0(VALU_DEP_1) | instskip(NEXT) | instid1(VALU_DEP_1)
	v_add_f32_e32 v16, v28, v16
	v_dual_sub_f32 v28, v40, v41 :: v_dual_add_f32 v16, v39, v16
	s_delay_alu instid0(VALU_DEP_1) | instskip(NEXT) | instid1(VALU_DEP_2)
	v_sub_f32_e32 v28, v37, v28
	v_mul_f32_e32 v16, v27, v16
	s_delay_alu instid0(VALU_DEP_1) | instskip(SKIP_1) | instid1(VALU_DEP_2)
	v_add_f32_e32 v16, v28, v16
	v_cvt_f32_i32_e32 v28, v9
	v_add_f32_e32 v27, v40, v16
	s_delay_alu instid0(VALU_DEP_1) | instskip(SKIP_1) | instid1(VALU_DEP_2)
	v_mul_f32_e32 v30, v27, v27
	v_ldexp_f32 v39, v27, 1
	v_fmaak_f32 v31, s28, v30, 0x3ecc95a3
	v_mul_f32_e32 v29, v27, v30
	s_delay_alu instid0(VALU_DEP_2) | instskip(NEXT) | instid1(VALU_DEP_1)
	v_fmaak_f32 v9, v30, v31, 0x3f2aaada
	v_pk_mul_f32 v[30:31], v[28:29], v[8:9]
	s_delay_alu instid0(VALU_DEP_1) | instskip(SKIP_1) | instid1(VALU_DEP_1)
	v_dual_sub_f32 v9, v27, v40 :: v_dual_mov_b32 v40, v30
	v_fma_f32 v38, 0x3f317218, v28, -v30
	v_dual_sub_f32 v9, v16, v9 :: v_dual_fmac_f32 v38, 0xb102e308, v28
	s_delay_alu instid0(VALU_DEP_1) | instskip(NEXT) | instid1(VALU_DEP_2)
	v_ldexp_f32 v9, v9, 1
	v_pk_add_f32 v[28:29], v[30:31], v[38:39]
	s_delay_alu instid0(VALU_DEP_1) | instskip(NEXT) | instid1(VALU_DEP_1)
	v_dual_sub_f32 v16, v29, v39 :: v_dual_mov_b32 v39, v28
	v_dual_mov_b32 v48, v29 :: v_dual_sub_f32 v16, v31, v16
	v_pk_add_f32 v[30:31], v[28:29], v[30:31] neg_lo:[0,1] neg_hi:[0,1]
	s_delay_alu instid0(VALU_DEP_2) | instskip(SKIP_2) | instid1(VALU_DEP_3)
	v_add_f32_e32 v41, v9, v16
	v_max_num_f32_e64 v9, |v15|, |v15|
	v_max_num_f32_e64 v16, |v14|, |v14|
	v_pk_add_f32 v[42:43], v[28:29], v[40:41]
	s_delay_alu instid0(VALU_DEP_1) | instskip(NEXT) | instid1(VALU_DEP_1)
	v_dual_max_num_f32 v27, v16, v9 :: v_dual_mov_b32 v31, v43
	v_frexp_exp_i32_f32_e32 v37, v27
	v_frexp_mant_f32_e32 v27, v27
	s_delay_alu instid0(VALU_DEP_3) | instskip(SKIP_2) | instid1(VALU_DEP_4)
	v_pk_add_f32 v[44:45], v[38:39], v[30:31]
	v_min_num_f32_e32 v9, v16, v9
	v_pk_add_f32 v[30:31], v[38:39], v[30:31] neg_lo:[0,1] neg_hi:[0,1]
	v_rcp_f32_e32 v27, v27
	s_delay_alu instid0(VALU_DEP_3) | instskip(NEXT) | instid1(VALU_DEP_3)
	v_mov_b32_e32 v16, v45
	v_frexp_exp_i32_f32_e32 v40, v9
	v_frexp_mant_f32_e32 v50, v9
	s_delay_alu instid0(VALU_DEP_3) | instskip(NEXT) | instid1(VALU_DEP_3)
	v_pk_add_f32 v[46:47], v[16:17], v[28:29] neg_lo:[0,1] neg_hi:[0,1]
	v_dual_mov_b32 v44, v43 :: v_dual_sub_nc_u32 v37, v40, v37
	v_dual_mov_b32 v29, v28 :: v_dual_mov_b32 v28, v41
	s_delay_alu instid0(VALU_DEP_3) | instskip(NEXT) | instid1(VALU_DEP_1)
	v_dual_mov_b32 v49, v46 :: v_dual_mov_b32 v9, v46
	v_pk_add_f32 v[38:39], v[44:45], v[48:49] neg_lo:[0,1] neg_hi:[0,1]
	s_delay_alu instid0(VALU_DEP_2) | instskip(SKIP_1) | instid1(VALU_DEP_3)
	v_pk_add_f32 v[40:41], v[42:43], v[8:9] neg_lo:[0,1] neg_hi:[0,1]
	v_mov_b32_e32 v40, v30
	v_pk_add_f32 v[28:29], v[28:29], v[38:39] neg_lo:[0,1] neg_hi:[0,1]
	s_delay_alu instid0(VALU_DEP_1) | instskip(NEXT) | instid1(VALU_DEP_1)
	v_pk_add_f32 v[38:39], v[40:41], v[28:29]
	v_dual_mul_f32 v27, v50, v27 :: v_dual_mov_b32 v40, v39
	s_delay_alu instid0(VALU_DEP_1) | instskip(NEXT) | instid1(VALU_DEP_2)
	v_ldexp_f32 v9, v27, v37
	v_pk_add_f32 v[40:41], v[38:39], v[40:41]
	s_delay_alu instid0(VALU_DEP_1) | instskip(NEXT) | instid1(VALU_DEP_1)
	v_pk_add_f32 v[42:43], v[16:17], v[40:41]
	v_dual_mul_f32 v27, v9, v9 :: v_dual_mov_b32 v39, v42
	v_mov_b32_e32 v31, v45
	s_delay_alu instid0(VALU_DEP_1) | instskip(NEXT) | instid1(VALU_DEP_1)
	v_pk_add_f32 v[44:45], v[38:39], v[30:31] neg_lo:[0,1] neg_hi:[0,1]
	v_sub_f32_e32 v31, v38, v44
	s_delay_alu instid0(VALU_DEP_1) | instskip(SKIP_1) | instid1(VALU_DEP_1)
	v_sub_f32_e32 v30, v30, v31
	v_fmaak_f32 v29, s29, v27, 0xbc7a590c
	v_fmaak_f32 v29, v27, v29, 0x3d29fb3f
	s_delay_alu instid0(VALU_DEP_1) | instskip(NEXT) | instid1(VALU_DEP_1)
	v_dual_fmaak_f32 v16, v27, v29, 0xbd97d4d7 :: v_dual_mov_b32 v29, v40
	v_fmaak_f32 v16, v27, v16, 0x3dd931b2
	s_delay_alu instid0(VALU_DEP_2) | instskip(NEXT) | instid1(VALU_DEP_1)
	v_pk_add_f32 v[28:29], v[28:29], v[44:45] neg_lo:[0,1] neg_hi:[0,1]
	v_add_f32_e32 v28, v28, v30
	s_delay_alu instid0(VALU_DEP_3) | instskip(NEXT) | instid1(VALU_DEP_1)
	v_fmaak_f32 v16, v27, v16, 0xbe1160e6
	v_fmaak_f32 v16, v27, v16, 0x3e4cb8bf
	s_delay_alu instid0(VALU_DEP_1) | instskip(NEXT) | instid1(VALU_DEP_1)
	v_fmaak_f32 v16, v27, v16, 0xbeaaaa62
	v_dual_mul_f32 v16, v27, v16 :: v_dual_add_f32 v27, v28, v29
	s_delay_alu instid0(VALU_DEP_1) | instskip(NEXT) | instid1(VALU_DEP_1)
	v_dual_fmac_f32 v9, v9, v16 :: v_dual_add_f32 v16, v42, v27
	v_sub_f32_e32 v27, 0x3fc90fdb, v9
	s_delay_alu instid0(VALU_DEP_2) | instskip(SKIP_1) | instid1(VALU_DEP_3)
	v_cndmask_b32_e32 v16, 0x7f800000, v16, vcc_lo
	v_cmp_gt_i32_e32 vcc_lo, 0, v14
	v_cndmask_b32_e64 v9, v9, v27, s6
	v_cndmask_b32_e64 v27, 0, 0x40490fdb, vcc_lo
	v_cmp_ngt_f32_e32 vcc_lo, -1.0, v26
	s_delay_alu instid0(VALU_DEP_3) | instskip(SKIP_2) | instid1(VALU_DEP_2)
	v_sub_f32_e32 v28, 0x40490fdb, v9
	v_cndmask_b32_e32 v16, 0x7fc00000, v16, vcc_lo
	v_cmp_gt_f32_e32 vcc_lo, 0, v14
	v_cndmask_b32_e64 v14, 0xff800000, v16, s7
	s_delay_alu instid0(VALU_DEP_4)
	v_cndmask_b32_e32 v9, v9, v28, vcc_lo
	v_cndmask_b32_e32 v16, 0x3f490fdb, v32, vcc_lo
	v_cmp_gt_f32_e64 vcc_lo, 0x33800000, |v26|
	v_cmp_class_f32_e64 s7, v15, 0x204
	v_cndmask_b32_e32 v14, v14, v26, vcc_lo
	v_cmp_eq_f32_e32 vcc_lo, 0, v15
	v_cndmask_b32_e32 v26, v9, v27, vcc_lo
	s_and_b32 vcc_lo, s7, s9
	s_delay_alu instid0(VALU_DEP_1)
	v_dual_mul_f32 v9, 0.5, v14 :: v_dual_cndmask_b32 v16, v26, v16
                                        ; implicit-def: $vgpr26_vgpr27
.LBB186_125:                            ;   in Loop: Header=BB186_4 Depth=1
	s_and_not1_saveexec_b32 s35, s8
	s_cbranch_execz .LBB186_133
; %bb.126:                              ;   in Loop: Header=BB186_4 Depth=1
	v_pk_mul_f32 v[28:29], v[26:27], v[26:27]
                                        ; implicit-def: $vgpr9
                                        ; implicit-def: $vgpr16
	s_mov_b32 s7, exec_lo
	s_delay_alu instid0(VALU_DEP_1) | instskip(NEXT) | instid1(VALU_DEP_1)
	v_add_f32_e32 v28, v29, v28
	v_cmpx_ge_f32_e32 0x3f333333, v28
	s_xor_b32 s8, exec_lo, s7
	s_cbranch_execz .LBB186_128
; %bb.127:                              ;   in Loop: Header=BB186_4 Depth=1
	v_max_num_f32_e64 v9, |v15|, |v15|
	v_max_num_f32_e64 v16, |v14|, |v14|
	v_cmp_gt_f32_e32 vcc_lo, 0x800000, v28
	v_cmp_gt_i32_e64 s7, 0, v14
	v_cmp_class_f32_e64 s9, v14, 0x204
	v_cmp_class_f32_e64 s10, v15, 0x204
	v_dual_max_num_f32 v26, v16, v9 :: v_dual_min_num_f32 v9, v16, v9
	v_cndmask_b32_e64 v29, 0, 0x41b17218, vcc_lo
	s_delay_alu instid0(VALU_DEP_2) | instskip(SKIP_1) | instid1(VALU_DEP_2)
	v_frexp_mant_f32_e32 v27, v26
	v_frexp_exp_i32_f32_e32 v16, v26
	v_rcp_f32_e32 v26, v27
	v_nop
	v_frexp_exp_i32_f32_e32 v27, v9
	v_frexp_mant_f32_e32 v9, v9
	s_delay_alu instid0(TRANS32_DEP_1) | instid1(VALU_DEP_1)
	v_dual_mul_f32 v9, v9, v26 :: v_dual_sub_nc_u32 v16, v27, v16
	v_cndmask_b32_e64 v27, 0, 32, vcc_lo
	s_delay_alu instid0(VALU_DEP_2) | instskip(NEXT) | instid1(VALU_DEP_2)
	v_ldexp_f32 v9, v9, v16
	v_ldexp_f32 v27, v28, v27
	s_delay_alu instid0(VALU_DEP_2) | instskip(NEXT) | instid1(VALU_DEP_2)
	v_mul_f32_e32 v16, v9, v9
	v_log_f32_e32 v27, v27
	s_delay_alu instid0(VALU_DEP_1) | instskip(NEXT) | instid1(TRANS32_DEP_1)
	v_fmaak_f32 v26, s29, v16, 0xbc7a590c
	v_cmp_gt_f32_e64 vcc_lo, 0x7f800000, |v27|
	s_delay_alu instid0(VALU_DEP_2) | instskip(NEXT) | instid1(VALU_DEP_1)
	v_fmaak_f32 v26, v16, v26, 0x3d29fb3f
	v_fmaak_f32 v26, v16, v26, 0xbd97d4d7
	s_delay_alu instid0(VALU_DEP_1) | instskip(NEXT) | instid1(VALU_DEP_1)
	v_fmaak_f32 v26, v16, v26, 0x3dd931b2
	v_fmaak_f32 v26, v16, v26, 0xbe1160e6
	s_delay_alu instid0(VALU_DEP_1) | instskip(NEXT) | instid1(VALU_DEP_1)
	;; [unrolled: 3-line block ×3, first 2 shown]
	v_mul_f32_e32 v16, v16, v26
	v_dual_mul_f32 v26, 0x3f317217, v27 :: v_dual_fmac_f32 v9, v9, v16
	s_delay_alu instid0(VALU_DEP_1) | instskip(NEXT) | instid1(VALU_DEP_2)
	v_fma_f32 v16, 0x3f317217, v27, -v26
	v_sub_f32_e32 v26, 0x3fc90fdb, v9
	s_delay_alu instid0(VALU_DEP_2) | instskip(NEXT) | instid1(VALU_DEP_2)
	v_fmac_f32_e32 v16, 0x3377d1cf, v27
	v_cndmask_b32_e64 v9, v9, v26, s6
	s_delay_alu instid0(VALU_DEP_2) | instskip(SKIP_2) | instid1(VALU_DEP_4)
	v_fmac_f32_e32 v16, 0x3f317217, v27
	v_cndmask_b32_e64 v26, 0, 0x40490fdb, s7
	v_cmp_eq_f32_e64 s7, 0, v15
	v_sub_f32_e32 v28, 0x40490fdb, v9
	s_delay_alu instid0(VALU_DEP_4) | instskip(SKIP_1) | instid1(VALU_DEP_2)
	v_cndmask_b32_e32 v16, v27, v16, vcc_lo
	v_cmp_gt_f32_e32 vcc_lo, 0, v14
	v_dual_cndmask_b32 v9, v9, v28 :: v_dual_sub_f32 v14, v16, v29
	s_delay_alu instid0(VALU_DEP_1) | instskip(SKIP_2) | instid1(VALU_DEP_3)
	v_cndmask_b32_e64 v16, v9, v26, s7
	v_cndmask_b32_e32 v26, 0x3f490fdb, v32, vcc_lo
	s_and_b32 vcc_lo, s10, s9
	v_mul_f32_e32 v9, 0.5, v14
	s_delay_alu instid0(VALU_DEP_2)
	v_cndmask_b32_e32 v16, v16, v26, vcc_lo
                                        ; implicit-def: $vgpr26
.LBB186_128:                            ;   in Loop: Header=BB186_4 Depth=1
	s_and_not1_saveexec_b32 s36, s8
	s_cbranch_execz .LBB186_132
; %bb.129:                              ;   in Loop: Header=BB186_4 Depth=1
	v_and_b32_e32 v29, 0x7fff0000, v26
	v_and_b32_e32 v28, 0x7fff0000, v27
	s_mov_b32 s37, 0
	s_delay_alu instid0(VALU_DEP_1) | instskip(SKIP_2) | instid1(VALU_DEP_2)
	v_dual_add_f32 v39, v29, v29 :: v_dual_add_f32 v16, v28, v28
	v_pk_add_f32 v[30:31], v[26:27], v[28:29] op_sel:[1,0] op_sel_hi:[0,1] neg_lo:[0,1] neg_hi:[0,1]
	v_pk_mul_f32 v[26:27], v[28:29], v[28:29]
	v_and_b32_e32 v41, 0xffff0000, v31
	s_delay_alu instid0(VALU_DEP_3) | instskip(NEXT) | instid1(VALU_DEP_1)
	v_and_b32_e32 v40, 0xffff0000, v30
	v_dual_add_f32 v43, v41, v41 :: v_dual_add_f32 v42, v40, v40
	v_pk_add_f32 v[28:29], v[30:31], v[40:41] neg_lo:[0,1] neg_hi:[0,1]
	v_dual_mul_f32 v9, v16, v40 :: v_dual_mul_f32 v38, v39, v41
	v_pk_mul_f32 v[30:31], v[40:41], v[40:41]
	s_delay_alu instid0(VALU_DEP_3)
	v_dual_mul_f32 v37, v16, v28 :: v_dual_mul_f32 v40, v39, v29
	v_dual_mul_f32 v16, v42, v28 :: v_dual_mul_f32 v39, v43, v29
	v_pk_mul_f32 v[28:29], v[28:29], v[28:29]
.LBB186_130:                            ;   Parent Loop BB186_4 Depth=1
                                        ; =>  This Inner Loop Header: Depth=2
	v_cmp_nlt_f32_e32 vcc_lo, v26, v27
	v_dual_cndmask_b32 v41, v26, v27 :: v_dual_cndmask_b32 v26, v27, v26
	s_delay_alu instid0(VALU_DEP_1) | instskip(NEXT) | instid1(VALU_DEP_1)
	v_cmp_nlt_f32_e64 s7, v41, v9
	v_cndmask_b32_e64 v42, v41, v9, s7
	v_cndmask_b32_e64 v27, v9, v41, s7
	s_and_b32 s7, vcc_lo, s7
	s_delay_alu instid0(VALU_DEP_2) | instskip(NEXT) | instid1(VALU_DEP_1)
	v_cmp_nlt_f32_e64 s8, v42, v38
	v_cndmask_b32_e64 v43, v42, v38, s8
	s_delay_alu instid0(VALU_DEP_1) | instskip(NEXT) | instid1(VALU_DEP_1)
	v_cmp_nlt_f32_e64 s9, v43, v30
	v_cndmask_b32_e64 v41, v43, v30, s9
	s_and_b32 s38, s8, s9
	s_delay_alu instid0(VALU_DEP_1) | instskip(SKIP_2) | instid1(VALU_DEP_3)
	v_cmp_nlt_f32_e64 s10, v41, v31
	v_cndmask_b32_e64 v9, v38, v42, s8
	v_cndmask_b32_e64 v38, v30, v43, s9
	;; [unrolled: 1-line block ×3, first 2 shown]
	s_delay_alu instid0(VALU_DEP_1) | instskip(NEXT) | instid1(VALU_DEP_1)
	v_cmp_nlt_f32_e64 s11, v42, v37
	v_dual_cndmask_b32 v30, v31, v41, s10 :: v_dual_cndmask_b32 v31, v37, v42, s11
	v_cndmask_b32_e64 v44, v42, v37, s11
	s_and_b32 s10, s10, s11
	s_delay_alu instid0(VALU_DEP_1) | instskip(NEXT) | instid1(VALU_DEP_1)
	v_cmp_nlt_f32_e64 s12, v44, v40
	v_cndmask_b32_e64 v45, v44, v40, s12
	s_and_b32 s10, s10, s12
	s_delay_alu instid0(VALU_DEP_1) | instskip(NEXT) | instid1(VALU_DEP_1)
	v_cmp_nlt_f32_e64 s13, v45, v16
	v_cndmask_b32_e64 v43, v45, v16, s13
	s_and_b32 s11, s10, s13
	v_cndmask_b32_e64 v37, v40, v44, s12
	v_cndmask_b32_e64 v40, v16, v45, s13
	s_delay_alu instid0(VALU_DEP_3) | instskip(NEXT) | instid1(VALU_DEP_1)
	v_cmp_nlt_f32_e64 s8, v43, v39
	v_cndmask_b32_e64 v41, v43, v39, s8
	s_delay_alu instid0(VALU_DEP_1)
	v_cmp_nlt_f32_e64 s9, v41, v28
	v_cndmask_b32_e64 v16, v39, v43, s8
	s_and_b32 s8, s11, s8
	v_cndmask_b32_e64 v42, v41, v28, s9
	s_and_b32 s8, s8, s9
	v_cndmask_b32_e64 v39, v28, v41, s9
	s_delay_alu instid0(VALU_DEP_2) | instskip(SKIP_3) | instid1(SALU_CYCLE_1)
	v_cmp_nlt_f32_e64 s10, v42, v29
	s_and_b32 s8, s8, s10
	v_dual_cndmask_b32 v28, v29, v42, s10 :: v_dual_cndmask_b32 v29, v42, v29, s10
	s_and_b32 s8, s8, s38
	s_and_b32 s7, s8, s7
	s_delay_alu instid0(SALU_CYCLE_1) | instskip(NEXT) | instid1(SALU_CYCLE_1)
	s_and_b32 s7, exec_lo, s7
	s_or_b32 s37, s7, s37
	s_delay_alu instid0(SALU_CYCLE_1)
	s_and_not1_b32 exec_lo, exec_lo, s37
	s_cbranch_execnz .LBB186_130
; %bb.131:                              ;   in Loop: Header=BB186_4 Depth=1
	s_or_b32 exec_lo, exec_lo, s37
	v_add_f32_e32 v26, -1.0, v26
	v_cmp_class_f32_e64 s8, v14, 0x204
	s_delay_alu instid0(VALU_DEP_2) | instskip(NEXT) | instid1(VALU_DEP_1)
	v_add_f32_e32 v26, v26, v27
	v_add_f32_e32 v9, v26, v9
	s_delay_alu instid0(VALU_DEP_1) | instskip(NEXT) | instid1(VALU_DEP_1)
	v_add_f32_e32 v9, v9, v38
	v_add_f32_e32 v9, v9, v30
	s_delay_alu instid0(VALU_DEP_1) | instskip(NEXT) | instid1(VALU_DEP_1)
	;; [unrolled: 3-line block ×5, first 2 shown]
	v_add_f32_e32 v26, v29, v9
	v_add_f32_e32 v29, 1.0, v26
	s_delay_alu instid0(VALU_DEP_1) | instskip(SKIP_2) | instid1(VALU_DEP_2)
	v_cvt_f64_f32_e32 v[30:31], v29
	v_frexp_mant_f32_e32 v16, v29
	v_add_f32_e32 v27, -1.0, v29
	v_cmp_gt_f32_e32 vcc_lo, 0x3f2aaaab, v16
	s_delay_alu instid0(VALU_DEP_2) | instskip(SKIP_1) | instid1(VALU_DEP_1)
	v_mov_b32_e32 v28, v27
	v_frexp_exp_i32_f64_e32 v9, v[30:31]
	v_subrev_co_ci_u32_e64 v9, null, 0, v9, vcc_lo
	s_delay_alu instid0(VALU_DEP_1) | instskip(NEXT) | instid1(VALU_DEP_4)
	v_sub_nc_u32_e32 v16, 0, v9
	v_pk_add_f32 v[30:31], v[26:27], v[28:29] neg_lo:[0,1] neg_hi:[0,1]
	v_cmp_neq_f32_e32 vcc_lo, 0x7f800000, v26
	v_cmp_neq_f32_e64 s7, -1.0, v26
	s_delay_alu instid0(VALU_DEP_4) | instskip(NEXT) | instid1(VALU_DEP_4)
	v_ldexp_f32 v27, v29, v16
	v_add_f32_e32 v28, 1.0, v31
	s_delay_alu instid0(VALU_DEP_1) | instskip(NEXT) | instid1(VALU_DEP_1)
	v_dual_add_f32 v31, 1.0, v27 :: v_dual_add_f32 v28, v30, v28
	v_add_f32_e32 v29, -1.0, v31
	v_add_f32_e32 v37, -1.0, v27
	s_delay_alu instid0(VALU_DEP_3) | instskip(NEXT) | instid1(VALU_DEP_3)
	v_ldexp_f32 v16, v28, v16
	v_sub_f32_e32 v28, v27, v29
	s_delay_alu instid0(VALU_DEP_1) | instskip(NEXT) | instid1(VALU_DEP_1)
	v_dual_add_f32 v29, 1.0, v37 :: v_dual_add_f32 v28, v16, v28
	v_sub_f32_e32 v27, v27, v29
	s_delay_alu instid0(VALU_DEP_1) | instskip(NEXT) | instid1(VALU_DEP_1)
	v_dual_add_f32 v40, v31, v28 :: v_dual_add_f32 v16, v16, v27
	v_rcp_f32_e32 v27, v40
	s_delay_alu instid0(VALU_DEP_1)
	v_add_f32_e32 v29, v37, v16
	s_delay_alu instid0(TRANS32_DEP_1) | instid1(VALU_DEP_1)
	v_dual_sub_f32 v37, v29, v37 :: v_dual_mul_f32 v41, v29, v27
	v_sub_f32_e32 v31, v40, v31
	s_delay_alu instid0(VALU_DEP_2) | instskip(NEXT) | instid1(VALU_DEP_3)
	v_sub_f32_e32 v16, v16, v37
	v_mul_f32_e32 v30, v40, v41
	s_delay_alu instid0(VALU_DEP_1) | instskip(NEXT) | instid1(VALU_DEP_1)
	v_dual_sub_f32 v42, v28, v31 :: v_dual_fma_f32 v38, v41, v40, -v30
	v_fmac_f32_e32 v38, v41, v42
	s_delay_alu instid0(VALU_DEP_1) | instskip(NEXT) | instid1(VALU_DEP_1)
	v_add_f32_e32 v28, v30, v38
	v_dual_sub_f32 v31, v29, v28 :: v_dual_mov_b32 v39, v28
	s_delay_alu instid0(VALU_DEP_1) | instskip(NEXT) | instid1(VALU_DEP_1)
	v_pk_add_f32 v[28:29], v[28:29], v[30:31] neg_lo:[0,1] neg_hi:[0,1]
	v_pk_add_f32 v[28:29], v[28:29], v[38:39] neg_lo:[0,1] neg_hi:[0,1]
	s_delay_alu instid0(VALU_DEP_1) | instskip(NEXT) | instid1(VALU_DEP_1)
	v_add_f32_e32 v16, v16, v29
	v_add_f32_e32 v16, v28, v16
	s_delay_alu instid0(VALU_DEP_1) | instskip(NEXT) | instid1(VALU_DEP_1)
	v_add_f32_e32 v29, v31, v16
	v_mul_f32_e32 v37, v27, v29
	s_delay_alu instid0(VALU_DEP_1) | instskip(NEXT) | instid1(VALU_DEP_1)
	v_mul_f32_e32 v38, v40, v37
	v_dual_fma_f32 v30, v37, v40, -v38 :: v_dual_sub_f32 v40, v31, v29
	s_delay_alu instid0(VALU_DEP_1) | instskip(NEXT) | instid1(VALU_DEP_1)
	v_dual_fmac_f32 v30, v37, v42 :: v_dual_add_f32 v16, v16, v40
	v_dual_add_f32 v40, v41, v37 :: v_dual_add_f32 v28, v38, v30
	s_delay_alu instid0(VALU_DEP_1) | instskip(NEXT) | instid1(VALU_DEP_1)
	v_dual_sub_f32 v39, v29, v28 :: v_dual_mov_b32 v31, v28
	v_pk_add_f32 v[28:29], v[28:29], v[38:39] neg_lo:[0,1] neg_hi:[0,1]
	s_delay_alu instid0(VALU_DEP_1) | instskip(NEXT) | instid1(VALU_DEP_1)
	v_pk_add_f32 v[28:29], v[28:29], v[30:31] neg_lo:[0,1] neg_hi:[0,1]
	v_add_f32_e32 v16, v16, v29
	s_delay_alu instid0(VALU_DEP_1) | instskip(NEXT) | instid1(VALU_DEP_1)
	v_add_f32_e32 v16, v28, v16
	v_dual_sub_f32 v28, v40, v41 :: v_dual_add_f32 v16, v39, v16
	s_delay_alu instid0(VALU_DEP_1) | instskip(NEXT) | instid1(VALU_DEP_2)
	v_sub_f32_e32 v28, v37, v28
	v_mul_f32_e32 v16, v27, v16
	s_delay_alu instid0(VALU_DEP_1) | instskip(SKIP_1) | instid1(VALU_DEP_2)
	v_add_f32_e32 v16, v28, v16
	v_cvt_f32_i32_e32 v28, v9
	v_add_f32_e32 v27, v40, v16
	s_delay_alu instid0(VALU_DEP_1) | instskip(SKIP_1) | instid1(VALU_DEP_2)
	v_mul_f32_e32 v30, v27, v27
	v_ldexp_f32 v39, v27, 1
	v_fmaak_f32 v31, s28, v30, 0x3ecc95a3
	v_mul_f32_e32 v29, v27, v30
	s_delay_alu instid0(VALU_DEP_2) | instskip(NEXT) | instid1(VALU_DEP_1)
	v_fmaak_f32 v9, v30, v31, 0x3f2aaada
	v_pk_mul_f32 v[30:31], v[28:29], v[8:9]
	s_delay_alu instid0(VALU_DEP_1) | instskip(SKIP_1) | instid1(VALU_DEP_1)
	v_dual_sub_f32 v9, v27, v40 :: v_dual_mov_b32 v40, v30
	v_fma_f32 v38, 0x3f317218, v28, -v30
	v_dual_sub_f32 v9, v16, v9 :: v_dual_fmac_f32 v38, 0xb102e308, v28
	s_delay_alu instid0(VALU_DEP_1) | instskip(NEXT) | instid1(VALU_DEP_2)
	v_ldexp_f32 v9, v9, 1
	v_pk_add_f32 v[28:29], v[30:31], v[38:39]
	s_delay_alu instid0(VALU_DEP_1) | instskip(NEXT) | instid1(VALU_DEP_1)
	v_dual_sub_f32 v16, v29, v39 :: v_dual_mov_b32 v39, v28
	v_dual_mov_b32 v48, v29 :: v_dual_sub_f32 v16, v31, v16
	v_pk_add_f32 v[30:31], v[28:29], v[30:31] neg_lo:[0,1] neg_hi:[0,1]
	s_delay_alu instid0(VALU_DEP_2) | instskip(SKIP_2) | instid1(VALU_DEP_3)
	v_add_f32_e32 v41, v9, v16
	v_max_num_f32_e64 v9, |v15|, |v15|
	v_max_num_f32_e64 v16, |v14|, |v14|
	v_pk_add_f32 v[42:43], v[28:29], v[40:41]
	s_delay_alu instid0(VALU_DEP_1) | instskip(NEXT) | instid1(VALU_DEP_1)
	v_dual_max_num_f32 v27, v16, v9 :: v_dual_mov_b32 v31, v43
	v_frexp_exp_i32_f32_e32 v37, v27
	v_frexp_mant_f32_e32 v27, v27
	s_delay_alu instid0(VALU_DEP_3) | instskip(SKIP_2) | instid1(VALU_DEP_4)
	v_pk_add_f32 v[44:45], v[38:39], v[30:31]
	v_min_num_f32_e32 v9, v16, v9
	v_pk_add_f32 v[30:31], v[38:39], v[30:31] neg_lo:[0,1] neg_hi:[0,1]
	v_rcp_f32_e32 v27, v27
	s_delay_alu instid0(VALU_DEP_3) | instskip(NEXT) | instid1(VALU_DEP_3)
	v_mov_b32_e32 v16, v45
	v_frexp_exp_i32_f32_e32 v40, v9
	v_frexp_mant_f32_e32 v50, v9
	s_delay_alu instid0(VALU_DEP_3) | instskip(NEXT) | instid1(VALU_DEP_3)
	v_pk_add_f32 v[46:47], v[16:17], v[28:29] neg_lo:[0,1] neg_hi:[0,1]
	v_dual_mov_b32 v44, v43 :: v_dual_sub_nc_u32 v37, v40, v37
	v_dual_mov_b32 v29, v28 :: v_dual_mov_b32 v28, v41
	s_delay_alu instid0(VALU_DEP_3) | instskip(NEXT) | instid1(VALU_DEP_1)
	v_dual_mov_b32 v49, v46 :: v_dual_mov_b32 v9, v46
	v_pk_add_f32 v[38:39], v[44:45], v[48:49] neg_lo:[0,1] neg_hi:[0,1]
	s_delay_alu instid0(VALU_DEP_2) | instskip(SKIP_1) | instid1(VALU_DEP_3)
	v_pk_add_f32 v[40:41], v[42:43], v[8:9] neg_lo:[0,1] neg_hi:[0,1]
	v_mov_b32_e32 v40, v30
	v_pk_add_f32 v[28:29], v[28:29], v[38:39] neg_lo:[0,1] neg_hi:[0,1]
	s_delay_alu instid0(VALU_DEP_1) | instskip(NEXT) | instid1(VALU_DEP_1)
	v_pk_add_f32 v[38:39], v[40:41], v[28:29]
	v_dual_mul_f32 v27, v50, v27 :: v_dual_mov_b32 v40, v39
	s_delay_alu instid0(VALU_DEP_1) | instskip(NEXT) | instid1(VALU_DEP_2)
	v_ldexp_f32 v9, v27, v37
	v_pk_add_f32 v[40:41], v[38:39], v[40:41]
	s_delay_alu instid0(VALU_DEP_1) | instskip(NEXT) | instid1(VALU_DEP_1)
	v_pk_add_f32 v[42:43], v[16:17], v[40:41]
	v_dual_mul_f32 v27, v9, v9 :: v_dual_mov_b32 v39, v42
	v_mov_b32_e32 v31, v45
	s_delay_alu instid0(VALU_DEP_1) | instskip(NEXT) | instid1(VALU_DEP_1)
	v_pk_add_f32 v[44:45], v[38:39], v[30:31] neg_lo:[0,1] neg_hi:[0,1]
	v_sub_f32_e32 v31, v38, v44
	s_delay_alu instid0(VALU_DEP_1) | instskip(SKIP_1) | instid1(VALU_DEP_1)
	v_sub_f32_e32 v30, v30, v31
	v_fmaak_f32 v29, s29, v27, 0xbc7a590c
	v_fmaak_f32 v29, v27, v29, 0x3d29fb3f
	s_delay_alu instid0(VALU_DEP_1) | instskip(NEXT) | instid1(VALU_DEP_1)
	v_dual_fmaak_f32 v16, v27, v29, 0xbd97d4d7 :: v_dual_mov_b32 v29, v40
	v_fmaak_f32 v16, v27, v16, 0x3dd931b2
	s_delay_alu instid0(VALU_DEP_2) | instskip(NEXT) | instid1(VALU_DEP_1)
	v_pk_add_f32 v[28:29], v[28:29], v[44:45] neg_lo:[0,1] neg_hi:[0,1]
	v_add_f32_e32 v28, v28, v30
	s_delay_alu instid0(VALU_DEP_3) | instskip(NEXT) | instid1(VALU_DEP_1)
	v_fmaak_f32 v16, v27, v16, 0xbe1160e6
	v_fmaak_f32 v16, v27, v16, 0x3e4cb8bf
	s_delay_alu instid0(VALU_DEP_1) | instskip(NEXT) | instid1(VALU_DEP_1)
	v_fmaak_f32 v16, v27, v16, 0xbeaaaa62
	v_dual_mul_f32 v16, v27, v16 :: v_dual_add_f32 v27, v28, v29
	s_delay_alu instid0(VALU_DEP_1) | instskip(NEXT) | instid1(VALU_DEP_1)
	v_dual_fmac_f32 v9, v9, v16 :: v_dual_add_f32 v16, v42, v27
	v_sub_f32_e32 v27, 0x3fc90fdb, v9
	s_delay_alu instid0(VALU_DEP_2) | instskip(SKIP_1) | instid1(VALU_DEP_3)
	v_cndmask_b32_e32 v16, 0x7f800000, v16, vcc_lo
	v_cmp_gt_i32_e32 vcc_lo, 0, v14
	v_cndmask_b32_e64 v9, v9, v27, s6
	v_cndmask_b32_e64 v27, 0, 0x40490fdb, vcc_lo
	v_cmp_ngt_f32_e32 vcc_lo, -1.0, v26
	s_delay_alu instid0(VALU_DEP_3) | instskip(SKIP_2) | instid1(VALU_DEP_2)
	v_sub_f32_e32 v28, 0x40490fdb, v9
	v_cndmask_b32_e32 v16, 0x7fc00000, v16, vcc_lo
	v_cmp_gt_f32_e32 vcc_lo, 0, v14
	v_cndmask_b32_e64 v14, 0xff800000, v16, s7
	s_delay_alu instid0(VALU_DEP_4)
	v_cndmask_b32_e32 v9, v9, v28, vcc_lo
	v_cndmask_b32_e32 v16, 0x3f490fdb, v32, vcc_lo
	v_cmp_gt_f32_e64 vcc_lo, 0x33800000, |v26|
	v_cmp_class_f32_e64 s7, v15, 0x204
	v_cndmask_b32_e32 v14, v14, v26, vcc_lo
	v_cmp_eq_f32_e32 vcc_lo, 0, v15
	v_cndmask_b32_e32 v26, v9, v27, vcc_lo
	s_and_b32 vcc_lo, s7, s8
	s_delay_alu instid0(VALU_DEP_1)
	v_dual_mul_f32 v9, 0.5, v14 :: v_dual_cndmask_b32 v16, v26, v16
.LBB186_132:                            ;   in Loop: Header=BB186_4 Depth=1
	s_or_b32 exec_lo, exec_lo, s36
.LBB186_133:                            ;   in Loop: Header=BB186_4 Depth=1
	s_delay_alu instid0(SALU_CYCLE_1)
	s_or_b32 exec_lo, exec_lo, s35
.LBB186_134:                            ;   in Loop: Header=BB186_4 Depth=1
	s_and_not1_saveexec_b32 s8, s34
	s_cbranch_execz .LBB186_136
; %bb.135:                              ;   in Loop: Header=BB186_4 Depth=1
	v_max_num_f32_e64 v9, |v15|, |v15|
	v_max_num_f32_e64 v16, |v14|, |v14|
	v_cmp_gt_i32_e64 s7, 0, v14
	v_cmp_class_f32_e64 s9, v14, 0x204
	v_cmp_class_f32_e64 s10, v15, 0x204
	s_delay_alu instid0(VALU_DEP_4) | instskip(NEXT) | instid1(VALU_DEP_1)
	v_dual_max_num_f32 v28, v16, v9 :: v_dual_min_num_f32 v9, v16, v9
	v_cvt_f64_f32_e32 v[26:27], v28
	v_frexp_exp_i32_f32_e32 v16, v28
	s_delay_alu instid0(VALU_DEP_3) | instskip(SKIP_2) | instid1(VALU_DEP_3)
	v_frexp_exp_i32_f32_e32 v29, v9
	v_frexp_mant_f32_e32 v9, v9
	v_cmp_neq_f32_e32 vcc_lo, 0x7f800000, v28
	v_sub_nc_u32_e32 v16, v29, v16
	v_frexp_exp_i32_f64_e32 v26, v[26:27]
	v_frexp_mant_f32_e32 v27, v28
	s_delay_alu instid0(VALU_DEP_1) | instskip(SKIP_1) | instid1(TRANS32_DEP_1)
	v_rcp_f32_e32 v27, v27
	v_nop
	v_mul_f32_e32 v9, v9, v27
	s_delay_alu instid0(VALU_DEP_1) | instskip(SKIP_1) | instid1(VALU_DEP_1)
	v_ldexp_f32 v9, v9, v16
	v_sub_nc_u32_e32 v16, 0, v26
	v_ldexp_f32 v29, |v15|, v16
	v_ldexp_f32 v16, |v14|, v16
	s_delay_alu instid0(VALU_DEP_2) | instskip(NEXT) | instid1(VALU_DEP_1)
	v_mul_f32_e32 v29, v29, v29
	v_dual_mul_f32 v27, v9, v9 :: v_dual_fmac_f32 v29, v16, v16
	s_delay_alu instid0(VALU_DEP_1) | instskip(NEXT) | instid1(VALU_DEP_2)
	v_fmaak_f32 v30, s29, v27, 0xbc7a590c
	v_sqrt_f32_e32 v29, v29
	s_delay_alu instid0(VALU_DEP_1) | instskip(NEXT) | instid1(VALU_DEP_1)
	v_fmaak_f32 v30, v27, v30, 0x3d29fb3f
	v_fmaak_f32 v16, v27, v30, 0xbd97d4d7
	s_delay_alu instid0(TRANS32_DEP_1) | instskip(NEXT) | instid1(VALU_DEP_2)
	v_ldexp_f32 v26, v29, v26
	v_fmaak_f32 v16, v27, v16, 0x3dd931b2
	s_delay_alu instid0(VALU_DEP_2) | instskip(NEXT) | instid1(VALU_DEP_2)
	v_cndmask_b32_e32 v26, 0x7f800000, v26, vcc_lo
	v_fmaak_f32 v16, v27, v16, 0xbe1160e6
	s_delay_alu instid0(VALU_DEP_2) | instskip(NEXT) | instid1(VALU_DEP_2)
	v_cmp_gt_f32_e32 vcc_lo, 0x800000, v26
	v_fmaak_f32 v16, v27, v16, 0x3e4cb8bf
	v_cndmask_b32_e64 v28, 0, 32, vcc_lo
	s_delay_alu instid0(VALU_DEP_2) | instskip(NEXT) | instid1(VALU_DEP_2)
	v_fmaak_f32 v16, v27, v16, 0xbeaaaa62
	v_ldexp_f32 v26, v26, v28
	s_delay_alu instid0(VALU_DEP_2) | instskip(NEXT) | instid1(VALU_DEP_2)
	v_mul_f32_e32 v16, v27, v16
	v_log_f32_e32 v26, v26
	v_nop
	s_delay_alu instid0(TRANS32_DEP_1) | instskip(NEXT) | instid1(VALU_DEP_1)
	v_dual_fmac_f32 v9, v9, v16 :: v_dual_mul_f32 v16, 0x3f317217, v26
	v_sub_f32_e32 v27, 0x3fc90fdb, v9
	s_delay_alu instid0(VALU_DEP_2) | instskip(NEXT) | instid1(VALU_DEP_1)
	v_fma_f32 v16, 0x3f317217, v26, -v16
	v_fmac_f32_e32 v16, 0x3377d1cf, v26
	s_delay_alu instid0(VALU_DEP_1) | instskip(NEXT) | instid1(VALU_DEP_4)
	v_fmac_f32_e32 v16, 0x3f317217, v26
	v_cndmask_b32_e64 v9, v9, v27, s6
	v_cndmask_b32_e64 v27, 0, 0x40490fdb, s7
	v_cmp_gt_f32_e64 s7, 0, v14
	s_delay_alu instid0(VALU_DEP_3) | instskip(NEXT) | instid1(VALU_DEP_2)
	v_sub_f32_e32 v28, 0x40490fdb, v9
	v_cndmask_b32_e64 v14, 0x3f490fdb, v32, s7
	s_delay_alu instid0(VALU_DEP_2)
	v_cndmask_b32_e64 v9, v9, v28, s7
	v_cndmask_b32_e64 v28, 0, 0x41b17218, vcc_lo
	v_cmp_gt_f32_e64 vcc_lo, 0x7f800000, |v26|
	v_cndmask_b32_e32 v16, v26, v16, vcc_lo
	v_cmp_eq_f32_e32 vcc_lo, 0, v15
	v_cndmask_b32_e32 v26, v9, v27, vcc_lo
	s_and_b32 vcc_lo, s10, s9
	s_delay_alu instid0(VALU_DEP_1)
	v_dual_sub_f32 v9, v16, v28 :: v_dual_cndmask_b32 v16, v26, v14
.LBB186_136:                            ;   in Loop: Header=BB186_4 Depth=1
	s_or_b32 exec_lo, exec_lo, s8
                                        ; implicit-def: $vgpr26
.LBB186_137:                            ;   in Loop: Header=BB186_4 Depth=1
	s_and_not1_saveexec_b32 s8, s33
	s_cbranch_execz .LBB186_143
; %bb.138:                              ;   in Loop: Header=BB186_4 Depth=1
                                        ; implicit-def: $vgpr9
                                        ; implicit-def: $vgpr16
	s_mov_b32 s7, exec_lo
	v_cmpx_ngt_f32_e32 0x1fec1e4a, v26
	s_xor_b32 s9, exec_lo, s7
	s_cbranch_execz .LBB186_140
; %bb.139:                              ;   in Loop: Header=BB186_4 Depth=1
	v_pk_mul_f32 v[26:27], v[26:27], v[26:27]
	v_cmp_class_f32_e64 s10, v14, 0x204
	s_delay_alu instid0(VALU_DEP_2) | instskip(SKIP_1) | instid1(VALU_DEP_2)
	v_add_f32_e32 v29, 1.0, v26
	v_cmp_neq_f32_e64 s7, 0x7f800000, v26
	v_add_f32_e32 v27, -1.0, v29
	s_delay_alu instid0(VALU_DEP_1) | instskip(SKIP_2) | instid1(VALU_DEP_1)
	v_mov_b32_e32 v28, v27
	v_cvt_f64_f32_e32 v[30:31], v29
	v_frexp_mant_f32_e32 v16, v29
	v_cmp_gt_f32_e32 vcc_lo, 0x3f2aaaab, v16
	s_delay_alu instid0(VALU_DEP_3) | instskip(SKIP_1) | instid1(VALU_DEP_1)
	v_frexp_exp_i32_f64_e32 v9, v[30:31]
	v_pk_add_f32 v[30:31], v[26:27], v[28:29] neg_lo:[0,1] neg_hi:[0,1]
	v_add_f32_e32 v28, 1.0, v31
	s_delay_alu instid0(VALU_DEP_3) | instskip(SKIP_1) | instid1(VALU_DEP_2)
	v_subrev_co_ci_u32_e64 v9, null, 0, v9, vcc_lo
	v_cmp_gt_i32_e32 vcc_lo, 0, v14
	v_sub_nc_u32_e32 v16, 0, v9
	s_delay_alu instid0(VALU_DEP_1) | instskip(NEXT) | instid1(VALU_DEP_1)
	v_ldexp_f32 v27, v29, v16
	v_dual_add_f32 v31, 1.0, v27 :: v_dual_add_f32 v28, v30, v28
	s_delay_alu instid0(VALU_DEP_1) | instskip(SKIP_1) | instid1(VALU_DEP_3)
	v_add_f32_e32 v29, -1.0, v31
	v_add_f32_e32 v37, -1.0, v27
	v_ldexp_f32 v16, v28, v16
	s_delay_alu instid0(VALU_DEP_3) | instskip(NEXT) | instid1(VALU_DEP_1)
	v_sub_f32_e32 v28, v27, v29
	v_dual_add_f32 v29, 1.0, v37 :: v_dual_add_f32 v28, v16, v28
	s_delay_alu instid0(VALU_DEP_1) | instskip(NEXT) | instid1(VALU_DEP_1)
	v_sub_f32_e32 v27, v27, v29
	v_dual_add_f32 v40, v31, v28 :: v_dual_add_f32 v16, v16, v27
	s_delay_alu instid0(VALU_DEP_1) | instskip(NEXT) | instid1(VALU_DEP_1)
	v_rcp_f32_e32 v27, v40
	v_add_f32_e32 v29, v37, v16
	s_delay_alu instid0(VALU_DEP_1) | instskip(NEXT) | instid1(TRANS32_DEP_1)
	v_dual_sub_f32 v31, v31, v40 :: v_dual_sub_f32 v37, v37, v29
	v_mul_f32_e32 v41, v29, v27
	s_delay_alu instid0(VALU_DEP_2) | instskip(NEXT) | instid1(VALU_DEP_3)
	v_add_f32_e32 v42, v28, v31
	v_add_f32_e32 v16, v16, v37
	s_delay_alu instid0(VALU_DEP_3) | instskip(NEXT) | instid1(VALU_DEP_1)
	v_mul_f32_e32 v30, v40, v41
	v_fma_f32 v38, v41, v40, -v30
	s_delay_alu instid0(VALU_DEP_1) | instskip(NEXT) | instid1(VALU_DEP_1)
	v_fmac_f32_e32 v38, v41, v42
	v_add_f32_e32 v28, v30, v38
	s_delay_alu instid0(VALU_DEP_1) | instskip(NEXT) | instid1(VALU_DEP_1)
	v_dual_sub_f32 v31, v29, v28 :: v_dual_mov_b32 v39, v28
	v_pk_add_f32 v[28:29], v[28:29], v[30:31] neg_lo:[0,1] neg_hi:[0,1]
	s_delay_alu instid0(VALU_DEP_1) | instskip(NEXT) | instid1(VALU_DEP_1)
	v_pk_add_f32 v[28:29], v[28:29], v[38:39] neg_lo:[0,1] neg_hi:[0,1]
	v_add_f32_e32 v16, v16, v29
	s_delay_alu instid0(VALU_DEP_1) | instskip(NEXT) | instid1(VALU_DEP_1)
	v_add_f32_e32 v16, v28, v16
	v_add_f32_e32 v29, v31, v16
	s_delay_alu instid0(VALU_DEP_1) | instskip(NEXT) | instid1(VALU_DEP_1)
	v_mul_f32_e32 v37, v27, v29
	v_mul_f32_e32 v38, v40, v37
	s_delay_alu instid0(VALU_DEP_1) | instskip(NEXT) | instid1(VALU_DEP_1)
	v_dual_fma_f32 v30, v37, v40, -v38 :: v_dual_sub_f32 v40, v31, v29
	v_dual_fmac_f32 v30, v37, v42 :: v_dual_add_f32 v16, v16, v40
	s_delay_alu instid0(VALU_DEP_1) | instskip(NEXT) | instid1(VALU_DEP_1)
	v_dual_add_f32 v40, v41, v37 :: v_dual_add_f32 v28, v38, v30
	v_dual_sub_f32 v39, v29, v28 :: v_dual_mov_b32 v31, v28
	s_delay_alu instid0(VALU_DEP_1) | instskip(NEXT) | instid1(VALU_DEP_1)
	v_pk_add_f32 v[28:29], v[28:29], v[38:39] neg_lo:[0,1] neg_hi:[0,1]
	v_pk_add_f32 v[28:29], v[28:29], v[30:31] neg_lo:[0,1] neg_hi:[0,1]
	s_delay_alu instid0(VALU_DEP_1) | instskip(NEXT) | instid1(VALU_DEP_1)
	v_add_f32_e32 v16, v16, v29
	v_add_f32_e32 v16, v28, v16
	s_delay_alu instid0(VALU_DEP_1) | instskip(NEXT) | instid1(VALU_DEP_1)
	v_dual_sub_f32 v28, v40, v41 :: v_dual_add_f32 v16, v39, v16
	v_sub_f32_e32 v28, v37, v28
	v_max_num_f32_e64 v37, |v14|, |v14|
	s_delay_alu instid0(VALU_DEP_3) | instskip(NEXT) | instid1(VALU_DEP_1)
	v_mul_f32_e32 v16, v27, v16
	v_add_f32_e32 v16, v28, v16
	v_cvt_f32_i32_e32 v28, v9
	s_delay_alu instid0(VALU_DEP_2) | instskip(NEXT) | instid1(VALU_DEP_1)
	v_add_f32_e32 v27, v40, v16
	v_mul_f32_e32 v30, v27, v27
	v_ldexp_f32 v39, v27, 1
	s_delay_alu instid0(VALU_DEP_2) | instskip(SKIP_1) | instid1(VALU_DEP_2)
	v_fmaak_f32 v31, s28, v30, 0x3ecc95a3
	v_mul_f32_e32 v29, v27, v30
	v_fmaak_f32 v9, v30, v31, 0x3f2aaada
	s_delay_alu instid0(VALU_DEP_1) | instskip(SKIP_2) | instid1(VALU_DEP_3)
	v_pk_mul_f32 v[30:31], v[28:29], v[8:9]
	v_sub_f32_e32 v9, v27, v40
	v_max_num_f32_e64 v27, |v15|, |v15|
	v_fma_f32 v38, 0x3f317218, v28, -v30
	s_delay_alu instid0(VALU_DEP_3) | instskip(NEXT) | instid1(VALU_DEP_2)
	v_dual_mov_b32 v40, v30 :: v_dual_sub_f32 v9, v16, v9
	v_fmac_f32_e32 v38, 0xb102e308, v28
	s_delay_alu instid0(VALU_DEP_2) | instskip(NEXT) | instid1(VALU_DEP_2)
	v_ldexp_f32 v9, v9, 1
	v_pk_add_f32 v[28:29], v[30:31], v[38:39]
	s_delay_alu instid0(VALU_DEP_1) | instskip(NEXT) | instid1(VALU_DEP_1)
	v_dual_sub_f32 v16, v29, v39 :: v_dual_mov_b32 v39, v28
	v_sub_f32_e32 v16, v31, v16
	v_pk_add_f32 v[30:31], v[28:29], v[30:31] neg_lo:[0,1] neg_hi:[0,1]
	s_delay_alu instid0(VALU_DEP_2) | instskip(NEXT) | instid1(VALU_DEP_1)
	v_add_f32_e32 v41, v9, v16
	v_pk_add_f32 v[42:43], v[28:29], v[40:41]
	v_max_num_f32_e32 v9, v37, v27
	s_delay_alu instid0(VALU_DEP_2) | instskip(NEXT) | instid1(VALU_DEP_2)
	v_dual_mov_b32 v48, v29 :: v_dual_mov_b32 v31, v43
	v_frexp_mant_f32_e32 v16, v9
	v_frexp_exp_i32_f32_e32 v9, v9
	v_min_num_f32_e32 v27, v37, v27
	s_delay_alu instid0(VALU_DEP_4) | instskip(NEXT) | instid1(VALU_DEP_4)
	v_pk_add_f32 v[44:45], v[38:39], v[30:31]
	v_rcp_f32_e32 v37, v16
	v_mov_b32_e32 v44, v43
	s_delay_alu instid0(VALU_DEP_3) | instskip(SKIP_1) | instid1(VALU_DEP_2)
	v_frexp_exp_i32_f32_e32 v40, v27
	v_pk_add_f32 v[30:31], v[38:39], v[30:31] neg_lo:[0,1] neg_hi:[0,1]
	v_sub_nc_u32_e32 v9, v40, v9
	v_frexp_mant_f32_e32 v27, v27
	s_delay_alu instid0(TRANS32_DEP_1) | instid1(VALU_DEP_1)
	v_dual_mov_b32 v16, v45 :: v_dual_mul_f32 v27, v27, v37
	s_delay_alu instid0(VALU_DEP_1) | instskip(SKIP_1) | instid1(VALU_DEP_3)
	v_pk_add_f32 v[46:47], v[16:17], v[28:29] neg_lo:[0,1] neg_hi:[0,1]
	v_dual_mov_b32 v29, v28 :: v_dual_mov_b32 v28, v41
	v_ldexp_f32 v27, v27, v9
	s_delay_alu instid0(VALU_DEP_3) | instskip(NEXT) | instid1(VALU_DEP_2)
	v_dual_mov_b32 v49, v46 :: v_dual_mov_b32 v9, v46
	v_mul_f32_e32 v37, v27, v27
	s_delay_alu instid0(VALU_DEP_2) | instskip(NEXT) | instid1(VALU_DEP_3)
	v_pk_add_f32 v[38:39], v[44:45], v[48:49] neg_lo:[0,1] neg_hi:[0,1]
	v_pk_add_f32 v[40:41], v[42:43], v[8:9] neg_lo:[0,1] neg_hi:[0,1]
	v_mov_b32_e32 v40, v30
	s_delay_alu instid0(VALU_DEP_3) | instskip(NEXT) | instid1(VALU_DEP_1)
	v_pk_add_f32 v[28:29], v[28:29], v[38:39] neg_lo:[0,1] neg_hi:[0,1]
	v_pk_add_f32 v[38:39], v[40:41], v[28:29]
	s_delay_alu instid0(VALU_DEP_1) | instskip(NEXT) | instid1(VALU_DEP_1)
	v_dual_fmaak_f32 v9, s29, v37, 0xbc7a590c :: v_dual_mov_b32 v40, v39
	v_pk_add_f32 v[40:41], v[38:39], v[40:41]
	s_delay_alu instid0(VALU_DEP_1) | instskip(NEXT) | instid1(VALU_DEP_1)
	v_pk_add_f32 v[42:43], v[16:17], v[40:41]
	v_dual_mov_b32 v31, v45 :: v_dual_mov_b32 v39, v42
	s_delay_alu instid0(VALU_DEP_1) | instskip(NEXT) | instid1(VALU_DEP_1)
	v_pk_add_f32 v[44:45], v[38:39], v[30:31] neg_lo:[0,1] neg_hi:[0,1]
	v_dual_fmaak_f32 v9, v37, v9, 0x3d29fb3f :: v_dual_sub_f32 v16, v38, v44
	s_delay_alu instid0(VALU_DEP_1) | instskip(NEXT) | instid1(VALU_DEP_1)
	v_dual_fmaak_f32 v9, v37, v9, 0xbd97d4d7 :: v_dual_sub_f32 v16, v30, v16
	v_fmaak_f32 v9, v37, v9, 0x3dd931b2
	s_delay_alu instid0(VALU_DEP_1) | instskip(NEXT) | instid1(VALU_DEP_1)
	v_fmaak_f32 v9, v37, v9, 0xbe1160e6
	v_fmaak_f32 v9, v37, v9, 0x3e4cb8bf
	s_delay_alu instid0(VALU_DEP_1) | instskip(NEXT) | instid1(VALU_DEP_1)
	v_fmaak_f32 v9, v37, v9, 0xbeaaaa62
	v_dual_mov_b32 v29, v40 :: v_dual_mul_f32 v9, v37, v9
	s_delay_alu instid0(VALU_DEP_1) | instskip(NEXT) | instid1(VALU_DEP_1)
	v_pk_add_f32 v[28:29], v[28:29], v[44:45] neg_lo:[0,1] neg_hi:[0,1]
	v_dual_fmac_f32 v27, v27, v9 :: v_dual_add_f32 v9, v28, v16
	s_delay_alu instid0(VALU_DEP_1) | instskip(NEXT) | instid1(VALU_DEP_1)
	v_dual_sub_f32 v16, 0x3fc90fdb, v27 :: v_dual_add_f32 v9, v9, v29
	v_dual_cndmask_b32 v16, v27, v16, s6 :: v_dual_add_f32 v9, v42, v9
	v_cndmask_b32_e64 v27, 0, 0x40490fdb, vcc_lo
	v_cmp_gt_f32_e32 vcc_lo, 0, v14
	s_delay_alu instid0(VALU_DEP_3) | instskip(NEXT) | instid1(VALU_DEP_4)
	v_cndmask_b32_e64 v9, 0x7f800000, v9, s7
	v_sub_f32_e32 v28, 0x40490fdb, v16
	v_cmp_class_f32_e64 s7, v15, 0x204
	s_delay_alu instid0(VALU_DEP_2) | instskip(SKIP_4) | instid1(VALU_DEP_2)
	v_cndmask_b32_e32 v14, v16, v28, vcc_lo
	v_cndmask_b32_e32 v16, 0x3f490fdb, v32, vcc_lo
	v_cmp_gt_f32_e64 vcc_lo, 0x33800000, |v26|
	v_cndmask_b32_e32 v9, v9, v26, vcc_lo
	v_cmp_eq_f32_e32 vcc_lo, 0, v15
                                        ; implicit-def: $vgpr26
	v_dual_mul_f32 v9, 0.5, v9 :: v_dual_cndmask_b32 v14, v14, v27
	s_and_b32 vcc_lo, s7, s10
	s_delay_alu instid0(VALU_DEP_1)
	v_cndmask_b32_e32 v16, v14, v16, vcc_lo
.LBB186_140:                            ;   in Loop: Header=BB186_4 Depth=1
	s_and_not1_saveexec_b32 s9, s9
	s_cbranch_execz .LBB186_142
; %bb.141:                              ;   in Loop: Header=BB186_4 Depth=1
	v_max_num_f32_e64 v9, |v15|, |v15|
	v_max_num_f32_e64 v16, |v14|, |v14|
	v_cmp_eq_f32_e64 s7, 0, v15
	v_cmp_gt_i32_e32 vcc_lo, 0, v14
	v_cmp_class_f32_e64 s10, v14, 0x204
	v_cmp_class_f32_e64 s11, v15, 0x204
	v_dual_max_num_f32 v27, v16, v9 :: v_dual_min_num_f32 v9, v16, v9
	s_delay_alu instid0(VALU_DEP_1) | instskip(SKIP_1) | instid1(VALU_DEP_2)
	v_frexp_mant_f32_e32 v28, v27
	v_frexp_exp_i32_f32_e32 v16, v27
	v_rcp_f32_e32 v27, v28
	v_nop
	v_frexp_exp_i32_f32_e32 v28, v9
	v_frexp_mant_f32_e32 v9, v9
	s_delay_alu instid0(TRANS32_DEP_1) | instid1(VALU_DEP_1)
	v_dual_mul_f32 v9, v9, v27 :: v_dual_sub_nc_u32 v16, v28, v16
	s_delay_alu instid0(VALU_DEP_1) | instskip(NEXT) | instid1(VALU_DEP_1)
	v_ldexp_f32 v9, v9, v16
	v_mul_f32_e32 v16, v9, v9
	s_delay_alu instid0(VALU_DEP_1) | instskip(NEXT) | instid1(VALU_DEP_1)
	v_fmaak_f32 v27, s29, v16, 0xbc7a590c
	v_fmaak_f32 v27, v16, v27, 0x3d29fb3f
	s_delay_alu instid0(VALU_DEP_1) | instskip(NEXT) | instid1(VALU_DEP_1)
	v_fmaak_f32 v27, v16, v27, 0xbd97d4d7
	v_fmaak_f32 v27, v16, v27, 0x3dd931b2
	;; [unrolled: 3-line block ×3, first 2 shown]
	s_delay_alu instid0(VALU_DEP_1) | instskip(NEXT) | instid1(VALU_DEP_1)
	v_fmaak_f32 v27, v16, v27, 0xbeaaaa62
	v_mul_f32_e32 v16, v16, v27
	v_cndmask_b32_e64 v27, 0, 0x40490fdb, vcc_lo
	v_cmp_gt_f32_e32 vcc_lo, 0, v14
	s_delay_alu instid0(VALU_DEP_3) | instskip(NEXT) | instid1(VALU_DEP_1)
	v_fmac_f32_e32 v9, v9, v16
	v_sub_f32_e32 v16, 0x3fc90fdb, v9
	s_delay_alu instid0(VALU_DEP_1) | instskip(NEXT) | instid1(VALU_DEP_1)
	v_cndmask_b32_e64 v9, v9, v16, s6
	v_sub_f32_e32 v16, 0x40490fdb, v9
	s_delay_alu instid0(VALU_DEP_1) | instskip(NEXT) | instid1(VALU_DEP_1)
	v_dual_cndmask_b32 v9, v9, v16 :: v_dual_mul_f32 v16, 0.5, v26
	v_cndmask_b32_e64 v14, v9, v27, s7
	v_cndmask_b32_e32 v27, 0x3f490fdb, v32, vcc_lo
	s_and_b32 vcc_lo, s11, s10
	s_delay_alu instid0(VALU_DEP_3) | instskip(NEXT) | instid1(VALU_DEP_2)
	v_mul_f32_e32 v9, v26, v16
	v_cndmask_b32_e32 v16, v14, v27, vcc_lo
.LBB186_142:                            ;   in Loop: Header=BB186_4 Depth=1
	s_or_b32 exec_lo, exec_lo, s9
.LBB186_143:                            ;   in Loop: Header=BB186_4 Depth=1
	s_delay_alu instid0(SALU_CYCLE_1)
	s_or_b32 exec_lo, exec_lo, s8
.LBB186_144:                            ;   in Loop: Header=BB186_4 Depth=1
	s_and_not1_saveexec_b32 s8, s31
	s_cbranch_execz .LBB186_146
; %bb.145:                              ;   in Loop: Header=BB186_4 Depth=1
	v_div_scale_f32 v9, null, 0x402df854, 0x402df854, v14
	v_div_scale_f32 v16, null, 0x402df854, 0x402df854, v15
	v_div_scale_f32 v30, vcc_lo, v14, 0x402df854, v14
	s_delay_alu instid0(VALU_DEP_3) | instskip(NEXT) | instid1(VALU_DEP_2)
	v_rcp_f32_e32 v26, v9
	v_rcp_f32_e32 v27, v16
	v_cmp_class_f32_e64 s9, v15, 0x204
	s_delay_alu instid0(TRANS32_DEP_2) | instskip(NEXT) | instid1(TRANS32_DEP_1)
	v_fma_f32 v28, -v9, v26, 1.0
	v_fma_f32 v29, -v16, v27, 1.0
	s_delay_alu instid0(VALU_DEP_1) | instskip(SKIP_1) | instid1(VALU_DEP_1)
	v_dual_fmac_f32 v26, v28, v26 :: v_dual_fmac_f32 v27, v29, v27
	v_div_scale_f32 v28, s7, v15, 0x402df854, v15
	v_dual_mul_f32 v29, v30, v26 :: v_dual_mul_f32 v31, v28, v27
	s_delay_alu instid0(VALU_DEP_1) | instskip(NEXT) | instid1(VALU_DEP_1)
	v_dual_fma_f32 v37, -v9, v29, v30 :: v_dual_fma_f32 v38, -v16, v31, v28
	v_dual_fmac_f32 v29, v37, v26 :: v_dual_fmac_f32 v31, v38, v27
	s_delay_alu instid0(VALU_DEP_1) | instskip(NEXT) | instid1(VALU_DEP_1)
	v_dual_fma_f32 v9, -v9, v29, v30 :: v_dual_fma_f32 v16, -v16, v31, v28
	v_div_fmas_f32 v9, v9, v26, v29
	s_mov_b32 vcc_lo, s7
	v_max_num_f32_e64 v29, |v14|, |v14|
	s_delay_alu instid0(VALU_DEP_3) | instskip(SKIP_2) | instid1(VALU_DEP_3)
	v_div_fmas_f32 v16, v16, v27, v31
	v_cmp_class_f32_e64 s7, v14, 0x204
	v_div_fixup_f32 v9, v9, 0x402df854, v14
	v_div_fixup_f32 v16, v16, 0x402df854, v15
	s_delay_alu instid0(VALU_DEP_1) | instskip(NEXT) | instid1(VALU_DEP_1)
	v_max_num_f32_e64 v28, |v9|, |v16|
	v_cvt_f64_f32_e32 v[26:27], v28
	v_cmp_neq_f32_e32 vcc_lo, 0x7f800000, v28
	s_delay_alu instid0(VALU_DEP_2) | instskip(SKIP_1) | instid1(VALU_DEP_1)
	v_frexp_exp_i32_f64_e32 v26, v[26:27]
	v_max_num_f32_e64 v27, |v15|, |v15|
	v_dual_max_num_f32 v30, v29, v27 :: v_dual_min_num_f32 v27, v29, v27
	s_delay_alu instid0(VALU_DEP_1) | instskip(SKIP_1) | instid1(VALU_DEP_2)
	v_frexp_mant_f32_e32 v31, v30
	v_frexp_exp_i32_f32_e32 v29, v30
	v_rcp_f32_e32 v30, v31
	v_nop
	v_frexp_exp_i32_f32_e32 v31, v27
	v_frexp_mant_f32_e32 v27, v27
	s_delay_alu instid0(VALU_DEP_2)
	v_sub_nc_u32_e32 v29, v31, v29
	s_delay_alu instid0(TRANS32_DEP_1) | instid1(VALU_DEP_2)
	v_mul_f32_e32 v27, v27, v30
	v_sub_nc_u32_e32 v30, 0, v26
	s_delay_alu instid0(VALU_DEP_1) | instskip(SKIP_1) | instid1(VALU_DEP_2)
	v_ldexp_f32 v16, |v16|, v30
	v_ldexp_f32 v9, |v9|, v30
	v_mul_f32_e32 v16, v16, v16
	v_ldexp_f32 v27, v27, v29
	s_delay_alu instid0(VALU_DEP_1) | instskip(NEXT) | instid1(VALU_DEP_1)
	v_dual_fmac_f32 v16, v9, v9 :: v_dual_mul_f32 v29, v27, v27
	v_sqrt_f32_e32 v16, v16
	s_delay_alu instid0(VALU_DEP_1) | instskip(NEXT) | instid1(VALU_DEP_1)
	v_fmaak_f32 v30, s29, v29, 0xbc7a590c
	v_fmaak_f32 v9, v29, v30, 0x3d29fb3f
	s_delay_alu instid0(TRANS32_DEP_1) | instskip(NEXT) | instid1(VALU_DEP_2)
	v_ldexp_f32 v16, v16, v26
	v_fmaak_f32 v9, v29, v9, 0xbd97d4d7
	s_delay_alu instid0(VALU_DEP_1) | instskip(NEXT) | instid1(VALU_DEP_1)
	v_fmaak_f32 v9, v29, v9, 0x3dd931b2
	v_fmaak_f32 v9, v29, v9, 0xbe1160e6
	s_delay_alu instid0(VALU_DEP_1) | instskip(NEXT) | instid1(VALU_DEP_1)
	v_fmaak_f32 v9, v29, v9, 0x3e4cb8bf
	v_fmaak_f32 v9, v29, v9, 0xbeaaaa62
	s_delay_alu instid0(VALU_DEP_1) | instskip(NEXT) | instid1(VALU_DEP_1)
	v_dual_cndmask_b32 v16, 0x7f800000, v16 :: v_dual_mul_f32 v9, v29, v9
	v_cmp_gt_f32_e32 vcc_lo, 0x800000, v16
	s_delay_alu instid0(VALU_DEP_2) | instskip(SKIP_2) | instid1(VALU_DEP_2)
	v_fmac_f32_e32 v27, v27, v9
	v_cndmask_b32_e64 v26, 0, 32, vcc_lo
	v_cndmask_b32_e64 v29, 0, 0x41b17218, vcc_lo
	v_ldexp_f32 v16, v16, v26
	s_delay_alu instid0(VALU_DEP_1) | instskip(SKIP_1) | instid1(TRANS32_DEP_1)
	v_log_f32_e32 v16, v16
	v_nop
	v_mul_f32_e32 v26, 0x3f317217, v16
	v_cmp_gt_f32_e64 vcc_lo, 0x7f800000, |v16|
	s_delay_alu instid0(VALU_DEP_2) | instskip(NEXT) | instid1(VALU_DEP_1)
	v_fma_f32 v9, 0x3f317217, v16, -v26
	v_fmac_f32_e32 v9, 0x3377d1cf, v16
	s_delay_alu instid0(VALU_DEP_1) | instskip(NEXT) | instid1(VALU_DEP_1)
	v_fmac_f32_e32 v9, 0x3f317217, v16
	v_dual_sub_f32 v26, 0x3fc90fdb, v27 :: v_dual_cndmask_b32 v9, v16, v9
	v_cmp_eq_f32_e32 vcc_lo, 0, v15
	s_delay_alu instid0(VALU_DEP_2) | instskip(SKIP_1) | instid1(VALU_DEP_2)
	v_dual_sub_f32 v9, v9, v29 :: v_dual_cndmask_b32 v26, v27, v26, s6
	v_cmp_gt_i32_e64 s6, 0, v14
	v_dual_add_f32 v9, 1.0, v9 :: v_dual_sub_f32 v28, 0x40490fdb, v26
	s_delay_alu instid0(VALU_DEP_2) | instskip(SKIP_1) | instid1(VALU_DEP_1)
	v_cndmask_b32_e64 v27, 0, 0x40490fdb, s6
	v_cmp_gt_f32_e64 s6, 0, v14
	v_cndmask_b32_e64 v14, v26, v28, s6
	v_cndmask_b32_e64 v16, 0x3f490fdb, v32, s6
	s_delay_alu instid0(VALU_DEP_2) | instskip(SKIP_1) | instid1(VALU_DEP_1)
	v_cndmask_b32_e32 v14, v14, v27, vcc_lo
	s_and_b32 vcc_lo, s9, s7
	v_cndmask_b32_e32 v16, v14, v16, vcc_lo
.LBB186_146:                            ;   in Loop: Header=BB186_4 Depth=1
	s_or_b32 exec_lo, exec_lo, s8
	s_and_not1_saveexec_b32 s6, s30
	s_cbranch_execz .LBB186_116
.LBB186_147:                            ;   in Loop: Header=BB186_4 Depth=1
	v_cmp_ngt_f32_e64 s7, 0x20000000, |v14|
	v_cmp_ngt_f32_e64 s8, 0x20000000, |v15|
                                        ; implicit-def: $vgpr9
	s_or_b32 s7, s8, s7
	s_delay_alu instid0(SALU_CYCLE_1) | instskip(NEXT) | instid1(SALU_CYCLE_1)
	s_and_saveexec_b32 s8, s7
	s_xor_b32 s7, exec_lo, s8
; %bb.148:                              ;   in Loop: Header=BB186_4 Depth=1
	v_pk_mul_f32 v[26:27], v[14:15], v[14:15]
	s_delay_alu instid0(VALU_DEP_1)
	v_add_f32_e32 v9, v27, v26
; %bb.149:                              ;   in Loop: Header=BB186_4 Depth=1
	s_and_not1_saveexec_b32 s7, s7
; %bb.150:                              ;   in Loop: Header=BB186_4 Depth=1
	v_pk_mul_f32 v[26:27], v[14:15], 4.0 op_sel_hi:[1,0]
	s_delay_alu instid0(VALU_DEP_1) | instskip(NEXT) | instid1(VALU_DEP_1)
	v_pk_mul_f32 v[26:27], v[26:27], v[26:27]
	v_add_f32_e32 v9, v27, v26
	s_delay_alu instid0(VALU_DEP_1)
	v_mul_f32_e32 v9, 0x3d800000, v9
; %bb.151:                              ;   in Loop: Header=BB186_4 Depth=1
	s_or_b32 exec_lo, exec_lo, s7
	s_delay_alu instid0(VALU_DEP_1) | instskip(SKIP_2) | instid1(VALU_DEP_2)
	v_cmp_gt_f32_e32 vcc_lo, 0x800000, v9
	v_cndmask_b32_e64 v14, 0, 32, vcc_lo
	v_cndmask_b32_e64 v16, 0, 0x41b17218, vcc_lo
	v_ldexp_f32 v9, v9, v14
	s_delay_alu instid0(VALU_DEP_1) | instskip(SKIP_1) | instid1(TRANS32_DEP_1)
	v_log_f32_e32 v9, v9
	v_nop
	v_mul_f32_e32 v14, 0x3f317217, v9
	v_cmp_gt_f32_e64 vcc_lo, 0x7f800000, |v9|
	s_delay_alu instid0(VALU_DEP_2) | instskip(NEXT) | instid1(VALU_DEP_1)
	v_fma_f32 v14, 0x3f317217, v9, -v14
	v_fmac_f32_e32 v14, 0x3377d1cf, v9
	s_delay_alu instid0(VALU_DEP_1) | instskip(NEXT) | instid1(VALU_DEP_1)
	v_fmac_f32_e32 v14, 0x3f317217, v9
	v_cndmask_b32_e32 v9, v9, v14, vcc_lo
	s_delay_alu instid0(VALU_DEP_1) | instskip(SKIP_2) | instid1(SALU_CYCLE_1)
	v_dual_sub_f32 v9, v9, v16 :: v_dual_mov_b32 v16, 0x7fc00000
	s_or_b32 exec_lo, exec_lo, s6
	s_and_saveexec_b32 s6, s5
	s_xor_b32 s6, exec_lo, s6
	s_cbranch_execz .LBB186_117
.LBB186_152:                            ;   in Loop: Header=BB186_4 Depth=1
	v_bfi_b32 v14, 0x7fffffff, v34, v25
	v_div_scale_f32 v26, null, 0x40135d8e, 0x40135d8e, v33
	s_delay_alu instid0(VALU_DEP_2) | instskip(NEXT) | instid1(VALU_DEP_2)
	v_div_scale_f32 v25, null, 0x40135d8e, 0x40135d8e, v14
	v_rcp_f32_e32 v28, v26
	v_div_scale_f32 v31, vcc_lo, v14, 0x40135d8e, v14
	s_delay_alu instid0(VALU_DEP_2) | instskip(NEXT) | instid1(TRANS32_DEP_2)
	v_rcp_f32_e32 v27, v25
	v_fma_f32 v30, -v26, v28, 1.0
	s_delay_alu instid0(TRANS32_DEP_1) | instskip(NEXT) | instid1(VALU_DEP_1)
	v_fma_f32 v29, -v25, v27, 1.0
	v_dual_fmac_f32 v28, v30, v28 :: v_dual_fmac_f32 v27, v29, v27
	v_div_scale_f32 v29, s5, v33, 0x40135d8e, v33
	s_delay_alu instid0(VALU_DEP_1) | instskip(NEXT) | instid1(VALU_DEP_1)
	v_dual_mul_f32 v30, v31, v27 :: v_dual_mul_f32 v34, v29, v28
	v_fma_f32 v38, -v26, v34, v29
	s_delay_alu instid0(VALU_DEP_1) | instskip(NEXT) | instid1(VALU_DEP_1)
	v_dual_fma_f32 v37, -v25, v30, v31 :: v_dual_fmac_f32 v34, v38, v28
	v_dual_fmac_f32 v30, v37, v27 :: v_dual_fma_f32 v26, -v26, v34, v29
	s_delay_alu instid0(VALU_DEP_1) | instskip(NEXT) | instid1(VALU_DEP_1)
	v_fma_f32 v25, -v25, v30, v31
	v_div_fmas_f32 v25, v25, v27, v30
	s_mov_b32 vcc_lo, s5
	s_delay_alu instid0(VALU_DEP_3) | instskip(NEXT) | instid1(VALU_DEP_2)
	v_div_fmas_f32 v26, v26, v28, v34
	v_div_fixup_f32 v27, v25, 0x40135d8e, v14
	s_delay_alu instid0(VALU_DEP_2)
	v_div_fixup_f32 v26, v26, 0x40135d8e, v33
	global_store_b64 v[20:21], v[26:27], off
	s_wait_xcnt 0x0
	s_or_b32 exec_lo, exec_lo, s6
	s_and_saveexec_b32 s5, s4
	s_cbranch_execz .LBB186_118
.LBB186_153:                            ;   in Loop: Header=BB186_4 Depth=1
	v_bfi_b32 v14, 0x7fffffff, v35, v23
	v_div_scale_f32 v21, null, 0x40135d8e, 0x40135d8e, v24
	s_delay_alu instid0(VALU_DEP_2) | instskip(NEXT) | instid1(VALU_DEP_2)
	v_div_scale_f32 v20, null, 0x40135d8e, 0x40135d8e, v14
	v_rcp_f32_e32 v25, v21
	v_div_scale_f32 v28, vcc_lo, v14, 0x40135d8e, v14
	s_delay_alu instid0(VALU_DEP_2) | instskip(NEXT) | instid1(TRANS32_DEP_2)
	v_rcp_f32_e32 v23, v20
	v_fma_f32 v27, -v21, v25, 1.0
	s_delay_alu instid0(TRANS32_DEP_1) | instskip(NEXT) | instid1(VALU_DEP_1)
	v_fma_f32 v26, -v20, v23, 1.0
	v_dual_fmac_f32 v25, v27, v25 :: v_dual_fmac_f32 v23, v26, v23
	v_div_scale_f32 v26, s4, v24, 0x40135d8e, v24
	s_delay_alu instid0(VALU_DEP_1) | instskip(NEXT) | instid1(VALU_DEP_1)
	v_dual_mul_f32 v27, v28, v23 :: v_dual_mul_f32 v29, v26, v25
	v_dual_fma_f32 v30, -v20, v27, v28 :: v_dual_fma_f32 v31, -v21, v29, v26
	s_delay_alu instid0(VALU_DEP_1) | instskip(NEXT) | instid1(VALU_DEP_1)
	v_dual_fmac_f32 v27, v30, v23 :: v_dual_fmac_f32 v29, v31, v25
	v_dual_fma_f32 v20, -v20, v27, v28 :: v_dual_fma_f32 v21, -v21, v29, v26
	s_delay_alu instid0(VALU_DEP_1) | instskip(SKIP_1) | instid1(VALU_DEP_2)
	v_div_fmas_f32 v20, v20, v23, v27
	s_mov_b32 vcc_lo, s4
	v_div_fmas_f32 v23, v21, v25, v29
	s_delay_alu instid0(VALU_DEP_2) | instskip(NEXT) | instid1(VALU_DEP_2)
	v_div_fixup_f32 v21, v20, 0x40135d8e, v14
	v_div_fixup_f32 v20, v23, 0x40135d8e, v24
	global_store_b64 v[18:19], v[20:21], off
	s_wait_xcnt 0x0
	s_or_b32 exec_lo, exec_lo, s5
	s_and_saveexec_b32 s4, s3
	s_cbranch_execz .LBB186_119
.LBB186_154:                            ;   in Loop: Header=BB186_4 Depth=1
	v_bfi_b32 v14, 0x7fffffff, v36, v17
	v_div_scale_f32 v18, null, 0x40135d8e, 0x40135d8e, v22
	s_delay_alu instid0(VALU_DEP_2) | instskip(NEXT) | instid1(VALU_DEP_2)
	v_div_scale_f32 v17, null, 0x40135d8e, 0x40135d8e, v14
	v_rcp_f32_e32 v20, v18
	v_div_scale_f32 v24, vcc_lo, v14, 0x40135d8e, v14
	s_delay_alu instid0(VALU_DEP_2) | instskip(NEXT) | instid1(TRANS32_DEP_2)
	v_rcp_f32_e32 v19, v17
	v_fma_f32 v23, -v18, v20, 1.0
	s_delay_alu instid0(TRANS32_DEP_1) | instskip(NEXT) | instid1(VALU_DEP_1)
	v_fma_f32 v21, -v17, v19, 1.0
	v_dual_fmac_f32 v20, v23, v20 :: v_dual_fmac_f32 v19, v21, v19
	v_div_scale_f32 v21, s3, v22, 0x40135d8e, v22
	s_delay_alu instid0(VALU_DEP_1) | instskip(NEXT) | instid1(VALU_DEP_1)
	v_dual_mul_f32 v23, v24, v19 :: v_dual_mul_f32 v25, v21, v20
	v_dual_fma_f32 v26, -v17, v23, v24 :: v_dual_fma_f32 v27, -v18, v25, v21
	s_delay_alu instid0(VALU_DEP_1) | instskip(NEXT) | instid1(VALU_DEP_1)
	v_dual_fmac_f32 v23, v26, v19 :: v_dual_fmac_f32 v25, v27, v20
	v_dual_fma_f32 v17, -v17, v23, v24 :: v_dual_fma_f32 v18, -v18, v25, v21
	s_delay_alu instid0(VALU_DEP_1) | instskip(SKIP_1) | instid1(VALU_DEP_2)
	v_div_fmas_f32 v17, v17, v19, v23
	s_mov_b32 vcc_lo, s3
	v_div_fmas_f32 v18, v18, v20, v25
	s_delay_alu instid0(VALU_DEP_2) | instskip(NEXT) | instid1(VALU_DEP_2)
	v_div_fixup_f32 v19, v17, 0x40135d8e, v14
	v_div_fixup_f32 v18, v18, 0x40135d8e, v22
	global_store_b64 v[12:13], v[18:19], off
	s_wait_xcnt 0x0
	s_or_b32 exec_lo, exec_lo, s4
	s_and_saveexec_b32 s3, s2
	s_cbranch_execz .LBB186_3
.LBB186_155:                            ;   in Loop: Header=BB186_4 Depth=1
	v_bfi_b32 v12, 0x7fffffff, v16, v15
	v_div_scale_f32 v14, null, 0x40135d8e, 0x40135d8e, v9
	s_delay_alu instid0(VALU_DEP_2) | instskip(NEXT) | instid1(VALU_DEP_2)
	v_div_scale_f32 v13, null, 0x40135d8e, 0x40135d8e, v12
	v_rcp_f32_e32 v16, v14
	v_div_scale_f32 v19, vcc_lo, v12, 0x40135d8e, v12
	s_delay_alu instid0(VALU_DEP_2) | instskip(NEXT) | instid1(TRANS32_DEP_2)
	v_rcp_f32_e32 v15, v13
	v_fma_f32 v18, -v14, v16, 1.0
	s_delay_alu instid0(TRANS32_DEP_1) | instskip(NEXT) | instid1(VALU_DEP_1)
	v_fma_f32 v17, -v13, v15, 1.0
	v_dual_fmac_f32 v16, v18, v16 :: v_dual_fmac_f32 v15, v17, v15
	v_div_scale_f32 v17, s2, v9, 0x40135d8e, v9
	s_delay_alu instid0(VALU_DEP_1) | instskip(NEXT) | instid1(VALU_DEP_1)
	v_dual_mul_f32 v18, v19, v15 :: v_dual_mul_f32 v20, v17, v16
	v_dual_fma_f32 v21, -v13, v18, v19 :: v_dual_fma_f32 v22, -v14, v20, v17
	s_delay_alu instid0(VALU_DEP_1) | instskip(NEXT) | instid1(VALU_DEP_1)
	v_dual_fmac_f32 v18, v21, v15 :: v_dual_fmac_f32 v20, v22, v16
	v_dual_fma_f32 v13, -v13, v18, v19 :: v_dual_fma_f32 v14, -v14, v20, v17
	s_delay_alu instid0(VALU_DEP_1) | instskip(SKIP_1) | instid1(VALU_DEP_2)
	v_div_fmas_f32 v13, v13, v15, v18
	s_mov_b32 vcc_lo, s2
	v_div_fmas_f32 v14, v14, v16, v20
	s_delay_alu instid0(VALU_DEP_2) | instskip(NEXT) | instid1(VALU_DEP_2)
	v_div_fixup_f32 v13, v13, 0x40135d8e, v12
	v_div_fixup_f32 v12, v14, 0x40135d8e, v9
	global_store_b64 v[10:11], v[12:13], off
	s_branch .LBB186_3
.LBB186_156:
	s_cbranch_execz .LBB186_158
	s_branch .LBB186_297
.LBB186_157:
.LBB186_158:
	v_min_i64 v[10:11], 0x10000, s[16:17]
	v_dual_mov_b32 v3, 0 :: v_dual_lshlrev_b32 v2, 2, v0
	s_mov_b32 s2, exec_lo
	s_delay_alu instid0(VALU_DEP_1)
	v_cmpx_lt_i64_e64 v[2:3], v[10:11]
	s_cbranch_execz .LBB186_297
; %bb.159:
	s_load_b32 s0, s[0:1], 0xd3c
	v_mov_b64_e32 v[12:13], 0x3f800000bf800000
	v_dual_mov_b32 v1, v3 :: v_dual_mov_b32 v14, 0x3f317218
	v_mov_b32_e32 v24, 0x4016cbe4
	s_mov_b32 s9, 0
	s_mov_b32 s10, 0x3e9b6dac
	;; [unrolled: 1-line block ×4, first 2 shown]
	s_wait_kmcnt 0x0
	s_and_b32 s8, s0, 0xffff
	s_branch .LBB186_162
.LBB186_160:                            ;   in Loop: Header=BB186_162 Depth=1
	s_or_b32 exec_lo, exec_lo, s1
	s_delay_alu instid0(VALU_DEP_1) | instskip(SKIP_2) | instid1(VALU_DEP_2)
	v_cmp_gt_f32_e32 vcc_lo, 0x800000, v2
	v_cndmask_b32_e64 v4, 0, 32, vcc_lo
	v_cndmask_b32_e64 v15, 0, 0x41b17218, vcc_lo
	v_ldexp_f32 v2, v2, v4
	s_delay_alu instid0(VALU_DEP_1) | instskip(SKIP_1) | instid1(TRANS32_DEP_1)
	v_log_f32_e32 v2, v2
	v_nop
	v_mul_f32_e32 v4, 0x3f317217, v2
	v_cmp_gt_f32_e64 vcc_lo, 0x7f800000, |v2|
	s_delay_alu instid0(VALU_DEP_2) | instskip(NEXT) | instid1(VALU_DEP_1)
	v_fma_f32 v4, 0x3f317217, v2, -v4
	v_fmac_f32_e32 v4, 0x3377d1cf, v2
	s_delay_alu instid0(VALU_DEP_1) | instskip(NEXT) | instid1(VALU_DEP_1)
	v_fmac_f32_e32 v4, 0x3f317217, v2
	v_cndmask_b32_e32 v2, v2, v4, vcc_lo
	s_delay_alu instid0(VALU_DEP_1)
	v_dual_sub_f32 v2, v2, v15 :: v_dual_mov_b32 v15, 0x7fc00000
.LBB186_161:                            ;   in Loop: Header=BB186_162 Depth=1
	s_or_b32 exec_lo, exec_lo, s0
	v_bfi_b32 v3, 0x7fffffff, v28, v3
	v_bfi_b32 v9, 0x7fffffff, v27, v9
	v_div_scale_f32 v4, null, 0x40135d8e, 0x40135d8e, v8
	v_div_scale_f32 v22, s0, v8, 0x40135d8e, v8
	s_delay_alu instid0(VALU_DEP_4) | instskip(NEXT) | instid1(VALU_DEP_4)
	v_div_scale_f32 v18, null, 0x40135d8e, 0x40135d8e, v3
	v_div_scale_f32 v19, null, 0x40135d8e, 0x40135d8e, v9
	s_delay_alu instid0(VALU_DEP_4) | instskip(NEXT) | instid1(VALU_DEP_2)
	v_rcp_f32_e32 v20, v4
	v_rcp_f32_e32 v21, v18
	v_div_scale_f32 v30, vcc_lo, v3, 0x40135d8e, v3
	s_delay_alu instid0(VALU_DEP_2) | instskip(SKIP_1) | instid1(TRANS32_DEP_3)
	v_rcp_f32_e32 v23, v19
	v_div_scale_f32 v27, null, 0x40135d8e, 0x40135d8e, v6
	v_fma_f32 v28, -v4, v20, 1.0
	s_delay_alu instid0(TRANS32_DEP_2) | instskip(SKIP_2) | instid1(TRANS32_DEP_1)
	v_fma_f32 v29, -v18, v21, 1.0
	v_bfi_b32 v26, 0x7fffffff, v26, v7
	v_add_nc_u64_e32 v[0:1], s[8:9], v[0:1]
	v_fma_f32 v31, -v19, v23, 1.0
	s_delay_alu instid0(VALU_DEP_4) | instskip(SKIP_1) | instid1(VALU_DEP_2)
	v_dual_fmac_f32 v20, v28, v20 :: v_dual_fmac_f32 v21, v29, v21
	v_div_scale_f32 v28, s1, v9, 0x40135d8e, v9
	v_dual_fmac_f32 v23, v31, v23 :: v_dual_mul_f32 v31, v22, v20
	s_delay_alu instid0(VALU_DEP_3) | instskip(SKIP_1) | instid1(VALU_DEP_2)
	v_mul_f32_e32 v32, v30, v21
	v_rcp_f32_e32 v29, v27
	v_mul_f32_e32 v33, v28, v23
	s_delay_alu instid0(VALU_DEP_1) | instskip(NEXT) | instid1(VALU_DEP_3)
	v_dual_fma_f32 v34, -v4, v31, v22 :: v_dual_fma_f32 v36, -v19, v33, v28
	v_fma_f32 v35, -v18, v32, v30
	s_delay_alu instid0(TRANS32_DEP_1) | instskip(NEXT) | instid1(VALU_DEP_3)
	v_fma_f32 v7, -v27, v29, 1.0
	v_dual_fmac_f32 v33, v36, v23 :: v_dual_fmac_f32 v31, v34, v20
	s_delay_alu instid0(VALU_DEP_3) | instskip(SKIP_1) | instid1(VALU_DEP_3)
	v_fmac_f32_e32 v32, v35, v21
	v_div_scale_f32 v34, null, 0x40135d8e, 0x40135d8e, v26
	v_dual_fmac_f32 v29, v7, v29 :: v_dual_fma_f32 v4, -v4, v31, v22
	s_delay_alu instid0(VALU_DEP_3) | instskip(NEXT) | instid1(VALU_DEP_3)
	v_dual_fma_f32 v7, -v18, v32, v30 :: v_dual_fma_f32 v18, -v19, v33, v28
	v_rcp_f32_e32 v28, v34
	v_div_scale_f32 v22, s2, v6, 0x40135d8e, v6
	s_delay_alu instid0(VALU_DEP_2) | instskip(SKIP_3) | instid1(VALU_DEP_2)
	v_div_fmas_f32 v7, v7, v21, v32
	s_mov_b32 vcc_lo, s0
	v_div_fmas_f32 v4, v4, v20, v31
	s_mov_b32 vcc_lo, s1
	v_div_fixup_f32 v19, v7, 0x40135d8e, v3
	v_div_fmas_f32 v21, v18, v23, v33
	v_fma_f32 v3, -v34, v28, 1.0
	v_div_fixup_f32 v18, v4, 0x40135d8e, v8
	v_div_scale_f32 v4, null, 0x40135d8e, 0x40135d8e, v25
	v_bfi_b32 v8, 0x7fffffff, v15, v5
	s_delay_alu instid0(VALU_DEP_4) | instskip(SKIP_1) | instid1(VALU_DEP_4)
	v_dual_mul_f32 v20, v22, v29 :: v_dual_fmac_f32 v28, v3, v28
	v_div_fixup_f32 v7, v21, 0x40135d8e, v9
	v_rcp_f32_e32 v3, v4
	s_delay_alu instid0(VALU_DEP_3) | instskip(SKIP_2) | instid1(VALU_DEP_3)
	v_div_scale_f32 v9, null, 0x40135d8e, 0x40135d8e, v8
	v_div_scale_f32 v21, null, 0x40135d8e, 0x40135d8e, v2
	v_fma_f32 v5, -v27, v20, v22
	v_rcp_f32_e32 v30, v9
	v_div_scale_f32 v15, s0, v26, 0x40135d8e, v26
	s_delay_alu instid0(TRANS32_DEP_2) | instskip(SKIP_1) | instid1(VALU_DEP_2)
	v_fma_f32 v23, -v4, v3, 1.0
	v_rcp_f32_e32 v31, v21
	v_dual_fmac_f32 v20, v5, v29 :: v_dual_mul_f32 v5, v15, v28
	s_delay_alu instid0(TRANS32_DEP_2) | instskip(NEXT) | instid1(VALU_DEP_3)
	v_fma_f32 v32, -v9, v30, 1.0
	v_fmac_f32_e32 v3, v23, v3
	v_div_scale_f32 v23, s1, v25, 0x40135d8e, v25
	s_delay_alu instid0(TRANS32_DEP_1) | instskip(SKIP_2) | instid1(VALU_DEP_4)
	v_fma_f32 v33, -v21, v31, 1.0
	v_fma_f32 v22, -v27, v20, v22
	v_dual_fmac_f32 v30, v32, v30 :: v_dual_fma_f32 v27, -v34, v5, v15
	v_mul_f32_e32 v35, v23, v3
	v_div_scale_f32 v32, s3, v8, 0x40135d8e, v8
	s_delay_alu instid0(VALU_DEP_3)
	v_dual_fmac_f32 v31, v33, v31 :: v_dual_fmac_f32 v5, v27, v28
	v_div_scale_f32 v33, s4, v2, 0x40135d8e, v2
	s_mov_b32 vcc_lo, s2
	v_mul_f32_e32 v27, v32, v30
	v_div_fmas_f32 v20, v22, v29, v20
	v_fma_f32 v22, -v4, v35, v23
	v_dual_mul_f32 v29, v33, v31 :: v_dual_fma_f32 v15, -v34, v5, v15
	s_mov_b32 vcc_lo, s0
	s_delay_alu instid0(VALU_DEP_3) | instskip(NEXT) | instid1(VALU_DEP_2)
	v_div_fixup_f32 v6, v20, 0x40135d8e, v6
	v_dual_fmac_f32 v35, v22, v3 :: v_dual_fma_f32 v22, -v21, v29, v33
	v_fma_f32 v20, -v9, v27, v32
	v_div_fmas_f32 v15, v15, v28, v5
	s_mov_b32 vcc_lo, s1
	s_delay_alu instid0(VALU_DEP_3) | instskip(NEXT) | instid1(VALU_DEP_3)
	v_fma_f32 v4, -v4, v35, v23
	v_dual_fmac_f32 v29, v22, v31 :: v_dual_fmac_f32 v27, v20, v30
	s_delay_alu instid0(VALU_DEP_2) | instskip(SKIP_1) | instid1(VALU_DEP_3)
	v_div_fmas_f32 v3, v4, v3, v35
	v_lshlrev_b64_e32 v[4:5], 2, v[0:1]
	v_fma_f32 v9, -v9, v27, v32
	s_delay_alu instid0(VALU_DEP_4) | instskip(SKIP_1) | instid1(VALU_DEP_2)
	v_fma_f32 v20, -v21, v29, v33
	s_mov_b32 vcc_lo, s3
	v_div_fmas_f32 v9, v9, v30, v27
	s_mov_b32 vcc_lo, s4
	s_delay_alu instid0(VALU_DEP_2)
	v_div_fmas_f32 v20, v20, v31, v29
	v_cmp_ge_i64_e32 vcc_lo, v[4:5], v[10:11]
	v_div_fixup_f32 v5, v15, 0x40135d8e, v26
	v_div_fixup_f32 v4, v3, 0x40135d8e, v25
	;; [unrolled: 1-line block ×4, first 2 shown]
	s_clause 0x1
	global_store_b128 v[16:17], v[4:7], off
	global_store_b128 v[16:17], v[18:21], off offset:16
	s_or_b32 s12, vcc_lo, s12
	s_wait_xcnt 0x0
	s_and_not1_b32 exec_lo, exec_lo, s12
	s_cbranch_execz .LBB186_297
.LBB186_162:                            ; =>This Loop Header: Depth=1
                                        ;     Child Loop BB186_173 Depth 2
                                        ;     Child Loop BB186_207 Depth 2
	;; [unrolled: 1-line block ×4, first 2 shown]
	v_lshlrev_b64_e32 v[2:3], 5, v[0:1]
                                        ; implicit-def: $vgpr25
                                        ; implicit-def: $vgpr26
	s_mov_b32 s0, exec_lo
	s_delay_alu instid0(VALU_DEP_1)
	v_add_nc_u64_e32 v[16:17], s[14:15], v[2:3]
	s_clause 0x1
	global_load_b128 v[6:9], v[16:17], off
	global_load_b128 v[2:5], v[16:17], off offset:16
	s_wait_loadcnt 0x1
	s_wait_xcnt 0x0
	v_cmpx_o_f32_e32 v7, v6
	s_xor_b32 s13, exec_lo, s0
	s_cbranch_execz .LBB186_190
; %bb.163:                              ;   in Loop: Header=BB186_162 Depth=1
	v_cmp_lt_f32_e64 s0, |v6|, |v7|
                                        ; implicit-def: $vgpr25
                                        ; implicit-def: $vgpr26
	s_mov_b32 s2, exec_lo
	v_cndmask_b32_e64 v15, v7, v6, s0
	s_delay_alu instid0(VALU_DEP_1)
	v_cmpx_nlt_f32_e64 0x77f684df, |v15|
	s_xor_b32 s16, exec_lo, s2
	s_cbranch_execz .LBB186_187
; %bb.164:                              ;   in Loop: Header=BB186_162 Depth=1
	v_cndmask_b32_e64 v18, v6, v7, s0
                                        ; implicit-def: $vgpr25
                                        ; implicit-def: $vgpr26
	s_mov_b32 s1, exec_lo
	s_delay_alu instid0(VALU_DEP_1) | instskip(SKIP_1) | instid1(VALU_DEP_2)
	v_and_b32_e32 v19, 0x7fffffff, v18
	v_and_b32_e32 v18, 0x7fffffff, v15
	v_cmpx_neq_f32_e32 1.0, v19
	s_xor_b32 s17, exec_lo, s1
	s_cbranch_execz .LBB186_180
; %bb.165:                              ;   in Loop: Header=BB186_162 Depth=1
	s_delay_alu instid0(VALU_DEP_2) | instskip(NEXT) | instid1(VALU_DEP_1)
	v_dual_max_num_f32 v15, v18, v18 :: v_dual_max_num_f32 v20, v19, v19
                                        ; implicit-def: $vgpr25
                                        ; implicit-def: $vgpr26
	v_dual_min_num_f32 v21, v20, v15 :: v_dual_max_num_f32 v15, v20, v15
	s_delay_alu instid0(VALU_DEP_1) | instskip(NEXT) | instid1(VALU_DEP_2)
	v_cmp_ngt_f32_e32 vcc_lo, 0x358637bd, v21
	v_cmp_nlt_f32_e64 s1, 0x49742400, v15
	s_and_b32 s1, s1, vcc_lo
	s_delay_alu instid0(SALU_CYCLE_1) | instskip(NEXT) | instid1(SALU_CYCLE_1)
	s_and_saveexec_b32 s2, s1
	s_xor_b32 s18, exec_lo, s2
	s_cbranch_execz .LBB186_177
; %bb.166:                              ;   in Loop: Header=BB186_162 Depth=1
                                        ; implicit-def: $vgpr25
                                        ; implicit-def: $vgpr26
	s_mov_b32 s1, exec_lo
	v_cmpx_le_f32_e32 1.0, v19
	s_xor_b32 s2, exec_lo, s1
	s_cbranch_execz .LBB186_168
; %bb.167:                              ;   in Loop: Header=BB186_162 Depth=1
	v_pk_add_f32 v[20:21], v[18:19], v[12:13] op_sel:[1,0]
	v_mov_b32_e32 v22, v18
	v_cmp_class_f32_e64 s3, v6, 0x204
	s_delay_alu instid0(VALU_DEP_3) | instskip(SKIP_1) | instid1(VALU_DEP_1)
	v_dual_mov_b32 v19, v20 :: v_dual_mov_b32 v23, v21
	v_mul_f32_e32 v20, v20, v21
	v_pk_fma_f32 v[18:19], v[18:19], v[22:23], v[20:21] op_sel_hi:[1,1,0]
	s_delay_alu instid0(VALU_DEP_1) | instskip(SKIP_1) | instid1(VALU_DEP_2)
	v_add_f32_e32 v21, 1.0, v18
	v_cmp_neq_f32_e64 s1, -1.0, v18
	v_frexp_mant_f32_e32 v20, v21
	v_add_f32_e32 v19, -1.0, v21
	s_delay_alu instid0(VALU_DEP_2) | instskip(NEXT) | instid1(VALU_DEP_2)
	v_cmp_gt_f32_e32 vcc_lo, 0x3f2aaaab, v20
	v_mov_b32_e32 v20, v19
	v_cvt_f64_f32_e32 v[22:23], v21
	s_delay_alu instid0(VALU_DEP_1) | instskip(NEXT) | instid1(VALU_DEP_1)
	v_frexp_exp_i32_f64_e32 v15, v[22:23]
	v_subrev_co_ci_u32_e64 v15, null, 0, v15, vcc_lo
	v_cmp_neq_f32_e32 vcc_lo, 0x7f800000, v18
	s_delay_alu instid0(VALU_DEP_2) | instskip(SKIP_1) | instid1(VALU_DEP_2)
	v_sub_nc_u32_e32 v25, 0, v15
	v_pk_add_f32 v[22:23], v[18:19], v[20:21] neg_lo:[0,1] neg_hi:[0,1]
	v_ldexp_f32 v19, v21, v25
	s_delay_alu instid0(VALU_DEP_2) | instskip(NEXT) | instid1(VALU_DEP_2)
	v_add_f32_e32 v20, 1.0, v23
	v_add_f32_e32 v23, 1.0, v19
	s_delay_alu instid0(VALU_DEP_1) | instskip(NEXT) | instid1(VALU_DEP_1)
	v_dual_add_f32 v21, -1.0, v23 :: v_dual_add_f32 v20, v22, v20
	v_dual_add_f32 v27, -1.0, v19 :: v_dual_sub_f32 v21, v19, v21
	s_delay_alu instid0(VALU_DEP_2) | instskip(NEXT) | instid1(VALU_DEP_1)
	v_ldexp_f32 v20, v20, v25
	v_dual_add_f32 v22, 1.0, v27 :: v_dual_add_f32 v25, v20, v21
	s_delay_alu instid0(VALU_DEP_1) | instskip(NEXT) | instid1(VALU_DEP_1)
	v_add_f32_e32 v28, v23, v25
	v_rcp_f32_e32 v29, v28
	s_delay_alu instid0(VALU_DEP_2) | instskip(NEXT) | instid1(VALU_DEP_1)
	v_sub_f32_e32 v19, v19, v22
	v_add_f32_e32 v19, v20, v19
	s_delay_alu instid0(VALU_DEP_1)
	v_add_f32_e32 v21, v27, v19
	s_delay_alu instid0(TRANS32_DEP_1) | instid1(VALU_DEP_1)
	v_mul_f32_e32 v30, v21, v29
	s_delay_alu instid0(VALU_DEP_1) | instskip(NEXT) | instid1(VALU_DEP_1)
	v_dual_mul_f32 v22, v28, v30 :: v_dual_sub_f32 v20, v28, v23
	v_fma_f32 v26, v30, v28, -v22
	s_delay_alu instid0(VALU_DEP_2) | instskip(NEXT) | instid1(VALU_DEP_1)
	v_sub_f32_e32 v25, v25, v20
	v_fmac_f32_e32 v26, v30, v25
	s_delay_alu instid0(VALU_DEP_1) | instskip(NEXT) | instid1(VALU_DEP_1)
	v_dual_add_f32 v20, v22, v26 :: v_dual_sub_f32 v31, v21, v27
	v_dual_mov_b32 v27, v20 :: v_dual_sub_f32 v23, v21, v20
	s_delay_alu instid0(VALU_DEP_2) | instskip(NEXT) | instid1(VALU_DEP_2)
	v_sub_f32_e32 v19, v19, v31
	v_pk_add_f32 v[20:21], v[20:21], v[22:23] neg_lo:[0,1] neg_hi:[0,1]
	s_delay_alu instid0(VALU_DEP_1) | instskip(NEXT) | instid1(VALU_DEP_1)
	v_pk_add_f32 v[20:21], v[20:21], v[26:27] neg_lo:[0,1] neg_hi:[0,1]
	v_add_f32_e32 v19, v19, v21
	s_delay_alu instid0(VALU_DEP_1) | instskip(NEXT) | instid1(VALU_DEP_1)
	v_add_f32_e32 v19, v20, v19
	v_add_f32_e32 v21, v23, v19
	s_delay_alu instid0(VALU_DEP_1) | instskip(NEXT) | instid1(VALU_DEP_1)
	v_mul_f32_e32 v31, v29, v21
	v_mul_f32_e32 v26, v28, v31
	s_delay_alu instid0(VALU_DEP_1) | instskip(NEXT) | instid1(VALU_DEP_1)
	v_fma_f32 v22, v31, v28, -v26
	v_fmac_f32_e32 v22, v31, v25
	s_delay_alu instid0(VALU_DEP_1) | instskip(NEXT) | instid1(VALU_DEP_1)
	v_dual_add_f32 v20, v26, v22 :: v_dual_sub_f32 v25, v23, v21
	v_dual_mov_b32 v23, v20 :: v_dual_sub_f32 v27, v21, v20
	s_delay_alu instid0(VALU_DEP_2) | instskip(NEXT) | instid1(VALU_DEP_2)
	v_dual_add_f32 v19, v19, v25 :: v_dual_add_f32 v25, v30, v31
	v_pk_add_f32 v[20:21], v[20:21], v[26:27] neg_lo:[0,1] neg_hi:[0,1]
	s_delay_alu instid0(VALU_DEP_1) | instskip(NEXT) | instid1(VALU_DEP_1)
	v_pk_add_f32 v[20:21], v[20:21], v[22:23] neg_lo:[0,1] neg_hi:[0,1]
	v_add_f32_e32 v19, v19, v21
	s_delay_alu instid0(VALU_DEP_1) | instskip(NEXT) | instid1(VALU_DEP_1)
	v_dual_add_f32 v19, v20, v19 :: v_dual_sub_f32 v20, v25, v30
	v_sub_f32_e32 v20, v31, v20
	s_delay_alu instid0(VALU_DEP_2) | instskip(NEXT) | instid1(VALU_DEP_1)
	v_add_f32_e32 v19, v27, v19
	v_mul_f32_e32 v19, v29, v19
	s_delay_alu instid0(VALU_DEP_1) | instskip(SKIP_1) | instid1(VALU_DEP_2)
	v_add_f32_e32 v19, v20, v19
	v_cvt_f32_i32_e32 v20, v15
	v_add_f32_e32 v28, v25, v19
	s_delay_alu instid0(VALU_DEP_1) | instskip(NEXT) | instid1(VALU_DEP_1)
	v_mul_f32_e32 v22, v28, v28
	v_fmaak_f32 v23, s10, v22, 0x3ecc95a3
	v_mul_f32_e32 v21, v28, v22
	v_ldexp_f32 v27, v28, 1
	s_delay_alu instid0(VALU_DEP_3) | instskip(NEXT) | instid1(VALU_DEP_1)
	v_fmaak_f32 v15, v22, v23, 0x3f2aaada
	v_pk_mul_f32 v[22:23], v[20:21], v[14:15]
	s_delay_alu instid0(VALU_DEP_1) | instskip(NEXT) | instid1(VALU_DEP_1)
	v_fma_f32 v26, 0x3f317218, v20, -v22
	v_fmac_f32_e32 v26, 0xb102e308, v20
	s_delay_alu instid0(VALU_DEP_1) | instskip(SKIP_1) | instid1(VALU_DEP_1)
	v_pk_add_f32 v[20:21], v[22:23], v[26:27]
	v_dual_sub_f32 v15, v28, v25 :: v_dual_mov_b32 v28, v22
	v_dual_mov_b32 v36, v21 :: v_dual_sub_f32 v15, v19, v15
	s_delay_alu instid0(VALU_DEP_3) | instskip(NEXT) | instid1(VALU_DEP_2)
	v_dual_sub_f32 v19, v21, v27 :: v_dual_mov_b32 v27, v20
	v_ldexp_f32 v15, v15, 1
	s_delay_alu instid0(VALU_DEP_2) | instskip(SKIP_1) | instid1(VALU_DEP_2)
	v_sub_f32_e32 v19, v23, v19
	v_pk_add_f32 v[22:23], v[20:21], v[22:23] neg_lo:[0,1] neg_hi:[0,1]
	v_add_f32_e32 v29, v15, v19
	v_max_num_f32_e64 v15, |v7|, |v7|
	v_max_num_f32_e64 v19, |v6|, |v6|
	s_delay_alu instid0(VALU_DEP_3) | instskip(NEXT) | instid1(VALU_DEP_2)
	v_pk_add_f32 v[30:31], v[20:21], v[28:29]
	v_dual_max_num_f32 v25, v19, v15 :: v_dual_min_num_f32 v15, v19, v15
	s_delay_alu instid0(VALU_DEP_2) | instskip(NEXT) | instid1(VALU_DEP_2)
	v_mov_b32_e32 v23, v31
	v_frexp_exp_i32_f32_e32 v19, v25
	v_frexp_mant_f32_e32 v25, v25
	s_delay_alu instid0(VALU_DEP_4) | instskip(NEXT) | instid1(VALU_DEP_4)
	v_frexp_mant_f32_e32 v38, v15
	v_pk_add_f32 v[32:33], v[26:27], v[22:23]
	v_frexp_exp_i32_f32_e32 v32, v15
	v_pk_add_f32 v[22:23], v[26:27], v[22:23] neg_lo:[0,1] neg_hi:[0,1]
	v_rcp_f32_e32 v25, v25
	s_delay_alu instid0(VALU_DEP_2) | instskip(NEXT) | instid1(VALU_DEP_1)
	v_dual_mov_b32 v28, v33 :: v_dual_sub_nc_u32 v19, v32, v19
	v_pk_add_f32 v[34:35], v[28:29], v[20:21] neg_lo:[0,1] neg_hi:[0,1]
	v_dual_mov_b32 v32, v31 :: v_dual_mov_b32 v21, v20
	s_delay_alu instid0(TRANS32_DEP_1) | instskip(NEXT) | instid1(VALU_DEP_3)
	v_dual_mov_b32 v20, v29 :: v_dual_mul_f32 v23, v38, v25
	v_dual_mov_b32 v37, v34 :: v_dual_mov_b32 v15, v34
	s_delay_alu instid0(VALU_DEP_1) | instskip(NEXT) | instid1(VALU_DEP_2)
	v_pk_add_f32 v[26:27], v[32:33], v[36:37] neg_lo:[0,1] neg_hi:[0,1]
	v_pk_add_f32 v[30:31], v[30:31], v[14:15] neg_lo:[0,1] neg_hi:[0,1]
	v_mov_b32_e32 v30, v22
	v_ldexp_f32 v15, v23, v19
	s_delay_alu instid0(VALU_DEP_4) | instskip(NEXT) | instid1(VALU_DEP_2)
	v_pk_add_f32 v[20:21], v[20:21], v[26:27] neg_lo:[0,1] neg_hi:[0,1]
	v_mul_f32_e32 v19, v15, v15
	s_delay_alu instid0(VALU_DEP_2) | instskip(NEXT) | instid1(VALU_DEP_1)
	v_pk_add_f32 v[26:27], v[30:31], v[20:21]
	v_dual_fmaak_f32 v21, s11, v19, 0xbc7a590c :: v_dual_mov_b32 v30, v27
	s_delay_alu instid0(VALU_DEP_1) | instskip(NEXT) | instid1(VALU_DEP_1)
	v_pk_add_f32 v[30:31], v[26:27], v[30:31]
	v_pk_add_f32 v[28:29], v[28:29], v[30:31]
	s_delay_alu instid0(VALU_DEP_1) | instskip(NEXT) | instid1(VALU_DEP_1)
	v_dual_mov_b32 v23, v33 :: v_dual_mov_b32 v27, v28
	v_pk_add_f32 v[32:33], v[26:27], v[22:23] neg_lo:[0,1] neg_hi:[0,1]
	s_delay_alu instid0(VALU_DEP_1) | instskip(NEXT) | instid1(VALU_DEP_1)
	v_sub_f32_e32 v25, v26, v32
	v_sub_f32_e32 v22, v22, v25
	v_fmaak_f32 v21, v19, v21, 0x3d29fb3f
	s_delay_alu instid0(VALU_DEP_1) | instskip(NEXT) | instid1(VALU_DEP_1)
	v_fmaak_f32 v21, v19, v21, 0xbd97d4d7
	v_fmaak_f32 v21, v19, v21, 0x3dd931b2
	s_delay_alu instid0(VALU_DEP_1) | instskip(SKIP_1) | instid1(VALU_DEP_1)
	v_fmaak_f32 v23, v19, v21, 0xbe1160e6
	v_mov_b32_e32 v21, v30
	v_pk_add_f32 v[20:21], v[20:21], v[32:33] neg_lo:[0,1] neg_hi:[0,1]
	s_delay_alu instid0(VALU_DEP_1) | instskip(NEXT) | instid1(VALU_DEP_1)
	v_add_f32_e32 v20, v20, v22
	v_dual_add_f32 v20, v20, v21 :: v_dual_fmaak_f32 v23, v19, v23, 0x3e4cb8bf
	s_delay_alu instid0(VALU_DEP_1) | instskip(NEXT) | instid1(VALU_DEP_1)
	v_fmaak_f32 v23, v19, v23, 0xbeaaaa62
	v_mul_f32_e32 v19, v19, v23
	s_delay_alu instid0(VALU_DEP_1) | instskip(NEXT) | instid1(VALU_DEP_1)
	v_dual_fmac_f32 v15, v15, v19 :: v_dual_add_f32 v19, v28, v20
	v_sub_f32_e32 v20, 0x3fc90fdb, v15
	s_delay_alu instid0(VALU_DEP_2) | instskip(SKIP_1) | instid1(VALU_DEP_3)
	v_cndmask_b32_e32 v19, 0x7f800000, v19, vcc_lo
	v_cmp_gt_i32_e32 vcc_lo, 0, v6
	v_cndmask_b32_e64 v15, v15, v20, s0
	v_cndmask_b32_e64 v20, 0, 0x40490fdb, vcc_lo
	v_cmp_ngt_f32_e32 vcc_lo, -1.0, v18
	s_delay_alu instid0(VALU_DEP_3) | instskip(SKIP_2) | instid1(VALU_DEP_2)
	v_sub_f32_e32 v21, 0x40490fdb, v15
	v_cndmask_b32_e32 v19, 0x7fc00000, v19, vcc_lo
	v_cmp_gt_f32_e32 vcc_lo, 0, v6
	v_cndmask_b32_e64 v19, 0xff800000, v19, s1
	s_delay_alu instid0(VALU_DEP_4)
	v_cndmask_b32_e32 v15, v15, v21, vcc_lo
	v_cndmask_b32_e32 v21, 0x3f490fdb, v24, vcc_lo
	v_cmp_gt_f32_e64 vcc_lo, 0x33800000, |v18|
	v_cmp_class_f32_e64 s1, v7, 0x204
	v_cndmask_b32_e32 v18, v19, v18, vcc_lo
	v_cmp_eq_f32_e32 vcc_lo, 0, v7
	s_delay_alu instid0(VALU_DEP_2) | instskip(SKIP_1) | instid1(VALU_DEP_1)
	v_dual_mul_f32 v25, 0.5, v18 :: v_dual_cndmask_b32 v15, v15, v20, vcc_lo
	s_and_b32 vcc_lo, s3, s1
                                        ; implicit-def: $vgpr18_vgpr19
	v_cndmask_b32_e32 v26, v15, v21, vcc_lo
.LBB186_168:                            ;   in Loop: Header=BB186_162 Depth=1
	s_and_not1_saveexec_b32 s19, s2
	s_cbranch_execz .LBB186_176
; %bb.169:                              ;   in Loop: Header=BB186_162 Depth=1
	v_pk_mul_f32 v[20:21], v[18:19], v[18:19]
                                        ; implicit-def: $vgpr25
                                        ; implicit-def: $vgpr26
	s_mov_b32 s1, exec_lo
	s_delay_alu instid0(VALU_DEP_1) | instskip(NEXT) | instid1(VALU_DEP_1)
	v_add_f32_e32 v15, v21, v20
	v_cmpx_ge_f32_e32 0x3f333333, v15
	s_xor_b32 s2, exec_lo, s1
	s_cbranch_execz .LBB186_171
; %bb.170:                              ;   in Loop: Header=BB186_162 Depth=1
	v_max_num_f32_e64 v18, |v7|, |v7|
	v_max_num_f32_e64 v19, |v6|, |v6|
	v_cmp_gt_f32_e32 vcc_lo, 0x800000, v15
	v_cmp_gt_i32_e64 s1, 0, v6
	v_cmp_class_f32_e64 s3, v6, 0x204
	v_cmp_class_f32_e64 s4, v7, 0x204
	v_dual_max_num_f32 v20, v19, v18 :: v_dual_min_num_f32 v18, v19, v18
	v_cndmask_b32_e64 v22, 0, 0x41b17218, vcc_lo
	s_delay_alu instid0(VALU_DEP_2) | instskip(SKIP_1) | instid1(VALU_DEP_2)
	v_frexp_mant_f32_e32 v21, v20
	v_frexp_exp_i32_f32_e32 v19, v20
	v_rcp_f32_e32 v20, v21
	v_nop
	v_frexp_exp_i32_f32_e32 v21, v18
	v_frexp_mant_f32_e32 v18, v18
	s_delay_alu instid0(TRANS32_DEP_1) | instid1(VALU_DEP_1)
	v_dual_mul_f32 v18, v18, v20 :: v_dual_sub_nc_u32 v19, v21, v19
	v_cndmask_b32_e64 v21, 0, 32, vcc_lo
	s_delay_alu instid0(VALU_DEP_2) | instskip(NEXT) | instid1(VALU_DEP_2)
	v_ldexp_f32 v18, v18, v19
	v_ldexp_f32 v15, v15, v21
	s_delay_alu instid0(VALU_DEP_1) | instskip(NEXT) | instid1(VALU_DEP_2)
	v_log_f32_e32 v15, v15
	v_mul_f32_e32 v19, v18, v18
	s_delay_alu instid0(VALU_DEP_1) | instskip(NEXT) | instid1(TRANS32_DEP_1)
	v_fmaak_f32 v20, s11, v19, 0xbc7a590c
	v_cmp_gt_f32_e64 vcc_lo, 0x7f800000, |v15|
	s_delay_alu instid0(VALU_DEP_2) | instskip(NEXT) | instid1(VALU_DEP_1)
	v_fmaak_f32 v20, v19, v20, 0x3d29fb3f
	v_fmaak_f32 v20, v19, v20, 0xbd97d4d7
	s_delay_alu instid0(VALU_DEP_1) | instskip(NEXT) | instid1(VALU_DEP_1)
	v_fmaak_f32 v20, v19, v20, 0x3dd931b2
	v_fmaak_f32 v20, v19, v20, 0xbe1160e6
	s_delay_alu instid0(VALU_DEP_1) | instskip(NEXT) | instid1(VALU_DEP_1)
	;; [unrolled: 3-line block ×3, first 2 shown]
	v_dual_mul_f32 v19, v19, v20 :: v_dual_mul_f32 v20, 0x3f317217, v15
	v_fmac_f32_e32 v18, v18, v19
	s_delay_alu instid0(VALU_DEP_2) | instskip(NEXT) | instid1(VALU_DEP_1)
	v_fma_f32 v19, 0x3f317217, v15, -v20
	v_fmac_f32_e32 v19, 0x3377d1cf, v15
	s_delay_alu instid0(VALU_DEP_1) | instskip(NEXT) | instid1(VALU_DEP_1)
	v_fmac_f32_e32 v19, 0x3f317217, v15
	v_dual_cndmask_b32 v15, v15, v19 :: v_dual_sub_f32 v20, 0x3fc90fdb, v18
	v_cmp_gt_f32_e32 vcc_lo, 0, v6
	s_delay_alu instid0(VALU_DEP_2) | instskip(SKIP_3) | instid1(VALU_DEP_4)
	v_dual_sub_f32 v15, v15, v22 :: v_dual_cndmask_b32 v18, v18, v20, s0
	v_cndmask_b32_e32 v19, 0x3f490fdb, v24, vcc_lo
	v_cndmask_b32_e64 v20, 0, 0x40490fdb, s1
	v_cmp_eq_f32_e64 s1, 0, v7
	v_mul_f32_e32 v25, 0.5, v15
	v_sub_f32_e32 v21, 0x40490fdb, v18
	s_delay_alu instid0(VALU_DEP_1) | instskip(SKIP_1) | instid1(VALU_DEP_1)
	v_cndmask_b32_e32 v18, v18, v21, vcc_lo
	s_and_b32 vcc_lo, s3, s4
	v_cndmask_b32_e64 v18, v18, v20, s1
	s_delay_alu instid0(VALU_DEP_1)
	v_cndmask_b32_e32 v26, v18, v19, vcc_lo
                                        ; implicit-def: $vgpr18
.LBB186_171:                            ;   in Loop: Header=BB186_162 Depth=1
	s_and_not1_saveexec_b32 s20, s2
	s_cbranch_execz .LBB186_175
; %bb.172:                              ;   in Loop: Header=BB186_162 Depth=1
	v_and_b32_e32 v21, 0x7fff0000, v18
	v_and_b32_e32 v20, 0x7fff0000, v19
	s_mov_b32 s21, 0
	s_delay_alu instid0(VALU_DEP_1) | instskip(SKIP_2) | instid1(VALU_DEP_2)
	v_dual_add_f32 v30, v21, v21 :: v_dual_add_f32 v25, v20, v20
	v_pk_add_f32 v[22:23], v[18:19], v[20:21] op_sel:[1,0] op_sel_hi:[0,1] neg_lo:[0,1] neg_hi:[0,1]
	v_pk_mul_f32 v[18:19], v[20:21], v[20:21]
	v_and_b32_e32 v29, 0xffff0000, v23
	s_delay_alu instid0(VALU_DEP_3) | instskip(NEXT) | instid1(VALU_DEP_1)
	v_and_b32_e32 v28, 0xffff0000, v22
	v_dual_add_f32 v32, v29, v29 :: v_dual_add_f32 v31, v28, v28
	v_pk_add_f32 v[20:21], v[22:23], v[28:29] neg_lo:[0,1] neg_hi:[0,1]
	v_dual_mul_f32 v15, v25, v28 :: v_dual_mul_f32 v27, v30, v29
	v_pk_mul_f32 v[22:23], v[28:29], v[28:29]
	s_delay_alu instid0(VALU_DEP_3)
	v_dual_mul_f32 v26, v25, v20 :: v_dual_mul_f32 v29, v30, v21
	v_dual_mul_f32 v25, v31, v20 :: v_dual_mul_f32 v28, v32, v21
	v_pk_mul_f32 v[20:21], v[20:21], v[20:21]
.LBB186_173:                            ;   Parent Loop BB186_162 Depth=1
                                        ; =>  This Inner Loop Header: Depth=2
	v_cmp_nlt_f32_e32 vcc_lo, v18, v19
	v_dual_cndmask_b32 v30, v18, v19, vcc_lo :: v_dual_cndmask_b32 v18, v19, v18, vcc_lo
	s_delay_alu instid0(VALU_DEP_1) | instskip(NEXT) | instid1(VALU_DEP_1)
	v_cmp_nlt_f32_e64 s1, v30, v15
	v_dual_cndmask_b32 v31, v30, v15, s1 :: v_dual_cndmask_b32 v19, v15, v30, s1
	s_and_b32 s1, vcc_lo, s1
	s_delay_alu instid0(VALU_DEP_1) | instskip(NEXT) | instid1(VALU_DEP_1)
	v_cmp_nlt_f32_e64 s2, v31, v27
	v_cndmask_b32_e64 v32, v31, v27, s2
	v_cndmask_b32_e64 v15, v27, v31, s2
	s_delay_alu instid0(VALU_DEP_2) | instskip(NEXT) | instid1(VALU_DEP_1)
	v_cmp_nlt_f32_e64 s3, v32, v22
	v_cndmask_b32_e64 v30, v32, v22, s3
	s_and_b32 s22, s2, s3
	s_delay_alu instid0(VALU_DEP_1) | instskip(NEXT) | instid1(VALU_DEP_1)
	v_cmp_nlt_f32_e64 s4, v30, v23
	v_cndmask_b32_e64 v31, v30, v23, s4
	s_delay_alu instid0(VALU_DEP_1) | instskip(NEXT) | instid1(VALU_DEP_1)
	v_cmp_nlt_f32_e64 s5, v31, v26
	v_dual_cndmask_b32 v33, v31, v26, s5 :: v_dual_cndmask_b32 v27, v22, v32, s3
	v_cndmask_b32_e64 v22, v23, v30, s4
	s_and_b32 s4, s4, s5
	s_delay_alu instid0(VALU_DEP_2) | instskip(NEXT) | instid1(VALU_DEP_1)
	v_cmp_nlt_f32_e64 s6, v33, v29
	v_dual_cndmask_b32 v34, v33, v29, s6 :: v_dual_cndmask_b32 v23, v26, v31, s5
	v_cndmask_b32_e64 v26, v29, v33, s6
	s_and_b32 s4, s4, s6
	s_delay_alu instid0(VALU_DEP_2) | instskip(NEXT) | instid1(VALU_DEP_1)
	v_cmp_nlt_f32_e64 s7, v34, v25
	v_dual_cndmask_b32 v32, v34, v25, s7 :: v_dual_cndmask_b32 v29, v25, v34, s7
	s_and_b32 s5, s4, s7
	s_delay_alu instid0(VALU_DEP_1) | instskip(NEXT) | instid1(VALU_DEP_1)
	v_cmp_nlt_f32_e64 s2, v32, v28
	v_cndmask_b32_e64 v30, v32, v28, s2
	s_delay_alu instid0(VALU_DEP_1) | instskip(NEXT) | instid1(VALU_DEP_1)
	v_cmp_nlt_f32_e64 s3, v30, v20
	v_cndmask_b32_e64 v31, v30, v20, s3
	v_cndmask_b32_e64 v25, v28, v32, s2
	;; [unrolled: 1-line block ×3, first 2 shown]
	s_and_b32 s2, s5, s2
	s_delay_alu instid0(SALU_CYCLE_1)
	s_and_b32 s2, s2, s3
	v_cmp_nlt_f32_e64 s4, v31, v21
	s_and_b32 s2, s2, s4
	v_cndmask_b32_e64 v20, v21, v31, s4
	s_and_b32 s2, s2, s22
	v_cndmask_b32_e64 v21, v31, v21, s4
	s_and_b32 s1, s2, s1
	s_delay_alu instid0(SALU_CYCLE_1) | instskip(NEXT) | instid1(SALU_CYCLE_1)
	s_and_b32 s1, exec_lo, s1
	s_or_b32 s21, s1, s21
	s_delay_alu instid0(SALU_CYCLE_1)
	s_and_not1_b32 exec_lo, exec_lo, s21
	s_cbranch_execnz .LBB186_173
; %bb.174:                              ;   in Loop: Header=BB186_162 Depth=1
	s_or_b32 exec_lo, exec_lo, s21
	v_add_f32_e32 v18, -1.0, v18
	v_cmp_class_f32_e64 s2, v6, 0x204
	s_delay_alu instid0(VALU_DEP_2) | instskip(NEXT) | instid1(VALU_DEP_1)
	v_add_f32_e32 v18, v18, v19
	v_add_f32_e32 v15, v18, v15
	s_delay_alu instid0(VALU_DEP_1) | instskip(NEXT) | instid1(VALU_DEP_1)
	v_add_f32_e32 v15, v15, v27
	v_add_f32_e32 v15, v15, v22
	s_delay_alu instid0(VALU_DEP_1) | instskip(NEXT) | instid1(VALU_DEP_1)
	;; [unrolled: 3-line block ×5, first 2 shown]
	v_add_f32_e32 v18, v21, v15
	v_add_f32_e32 v21, 1.0, v18
	s_delay_alu instid0(VALU_DEP_1) | instskip(SKIP_2) | instid1(VALU_DEP_2)
	v_cvt_f64_f32_e32 v[22:23], v21
	v_frexp_mant_f32_e32 v20, v21
	v_add_f32_e32 v19, -1.0, v21
	v_cmp_gt_f32_e32 vcc_lo, 0x3f2aaaab, v20
	s_delay_alu instid0(VALU_DEP_2) | instskip(SKIP_2) | instid1(VALU_DEP_3)
	v_mov_b32_e32 v20, v19
	v_cmp_neq_f32_e64 s1, -1.0, v18
	v_frexp_exp_i32_f64_e32 v15, v[22:23]
	v_pk_add_f32 v[22:23], v[18:19], v[20:21] neg_lo:[0,1] neg_hi:[0,1]
	s_delay_alu instid0(VALU_DEP_1) | instskip(NEXT) | instid1(VALU_DEP_1)
	v_add_f32_e32 v20, 1.0, v23
	v_add_f32_e32 v20, v22, v20
	s_delay_alu instid0(VALU_DEP_4) | instskip(SKIP_1) | instid1(VALU_DEP_2)
	v_subrev_co_ci_u32_e64 v15, null, 0, v15, vcc_lo
	v_cmp_neq_f32_e32 vcc_lo, 0x7f800000, v18
	v_sub_nc_u32_e32 v25, 0, v15
	s_delay_alu instid0(VALU_DEP_1) | instskip(NEXT) | instid1(VALU_DEP_1)
	v_ldexp_f32 v19, v21, v25
	v_dual_add_f32 v23, 1.0, v19 :: v_dual_add_f32 v27, -1.0, v19
	s_delay_alu instid0(VALU_DEP_1) | instskip(NEXT) | instid1(VALU_DEP_1)
	v_add_f32_e32 v21, -1.0, v23
	v_sub_f32_e32 v21, v19, v21
	v_ldexp_f32 v20, v20, v25
	s_delay_alu instid0(VALU_DEP_1) | instskip(NEXT) | instid1(VALU_DEP_1)
	v_dual_add_f32 v22, 1.0, v27 :: v_dual_add_f32 v25, v20, v21
	v_add_f32_e32 v28, v23, v25
	s_delay_alu instid0(VALU_DEP_1) | instskip(NEXT) | instid1(VALU_DEP_2)
	v_rcp_f32_e32 v29, v28
	v_sub_f32_e32 v19, v19, v22
	s_delay_alu instid0(VALU_DEP_1) | instskip(NEXT) | instid1(VALU_DEP_1)
	v_add_f32_e32 v19, v20, v19
	v_add_f32_e32 v21, v27, v19
	s_delay_alu instid0(TRANS32_DEP_1) | instid1(VALU_DEP_1)
	v_mul_f32_e32 v30, v21, v29
	s_delay_alu instid0(VALU_DEP_1) | instskip(NEXT) | instid1(VALU_DEP_1)
	v_dual_mul_f32 v22, v28, v30 :: v_dual_sub_f32 v20, v28, v23
	v_fma_f32 v26, v30, v28, -v22
	s_delay_alu instid0(VALU_DEP_2) | instskip(NEXT) | instid1(VALU_DEP_1)
	v_sub_f32_e32 v25, v25, v20
	v_fmac_f32_e32 v26, v30, v25
	s_delay_alu instid0(VALU_DEP_1) | instskip(NEXT) | instid1(VALU_DEP_1)
	v_dual_add_f32 v20, v22, v26 :: v_dual_sub_f32 v31, v21, v27
	v_dual_mov_b32 v27, v20 :: v_dual_sub_f32 v23, v21, v20
	s_delay_alu instid0(VALU_DEP_2) | instskip(NEXT) | instid1(VALU_DEP_2)
	v_sub_f32_e32 v19, v19, v31
	v_pk_add_f32 v[20:21], v[20:21], v[22:23] neg_lo:[0,1] neg_hi:[0,1]
	s_delay_alu instid0(VALU_DEP_1) | instskip(NEXT) | instid1(VALU_DEP_1)
	v_pk_add_f32 v[20:21], v[20:21], v[26:27] neg_lo:[0,1] neg_hi:[0,1]
	v_add_f32_e32 v19, v19, v21
	s_delay_alu instid0(VALU_DEP_1) | instskip(NEXT) | instid1(VALU_DEP_1)
	v_add_f32_e32 v19, v20, v19
	v_add_f32_e32 v21, v23, v19
	s_delay_alu instid0(VALU_DEP_1) | instskip(NEXT) | instid1(VALU_DEP_1)
	v_mul_f32_e32 v31, v29, v21
	v_mul_f32_e32 v26, v28, v31
	s_delay_alu instid0(VALU_DEP_1) | instskip(NEXT) | instid1(VALU_DEP_1)
	v_fma_f32 v22, v31, v28, -v26
	v_fmac_f32_e32 v22, v31, v25
	s_delay_alu instid0(VALU_DEP_1) | instskip(NEXT) | instid1(VALU_DEP_1)
	v_dual_add_f32 v20, v26, v22 :: v_dual_sub_f32 v25, v23, v21
	v_dual_mov_b32 v23, v20 :: v_dual_sub_f32 v27, v21, v20
	s_delay_alu instid0(VALU_DEP_2) | instskip(NEXT) | instid1(VALU_DEP_2)
	v_dual_add_f32 v19, v19, v25 :: v_dual_add_f32 v25, v30, v31
	v_pk_add_f32 v[20:21], v[20:21], v[26:27] neg_lo:[0,1] neg_hi:[0,1]
	s_delay_alu instid0(VALU_DEP_1) | instskip(NEXT) | instid1(VALU_DEP_1)
	v_pk_add_f32 v[20:21], v[20:21], v[22:23] neg_lo:[0,1] neg_hi:[0,1]
	v_add_f32_e32 v19, v19, v21
	s_delay_alu instid0(VALU_DEP_1) | instskip(NEXT) | instid1(VALU_DEP_1)
	v_dual_add_f32 v19, v20, v19 :: v_dual_sub_f32 v20, v25, v30
	v_sub_f32_e32 v20, v31, v20
	s_delay_alu instid0(VALU_DEP_2) | instskip(NEXT) | instid1(VALU_DEP_1)
	v_add_f32_e32 v19, v27, v19
	v_mul_f32_e32 v19, v29, v19
	s_delay_alu instid0(VALU_DEP_1) | instskip(SKIP_1) | instid1(VALU_DEP_2)
	v_add_f32_e32 v19, v20, v19
	v_cvt_f32_i32_e32 v20, v15
	v_add_f32_e32 v28, v25, v19
	s_delay_alu instid0(VALU_DEP_1) | instskip(NEXT) | instid1(VALU_DEP_1)
	v_mul_f32_e32 v22, v28, v28
	v_fmaak_f32 v23, s10, v22, 0x3ecc95a3
	v_mul_f32_e32 v21, v28, v22
	v_ldexp_f32 v27, v28, 1
	s_delay_alu instid0(VALU_DEP_3) | instskip(NEXT) | instid1(VALU_DEP_1)
	v_fmaak_f32 v15, v22, v23, 0x3f2aaada
	v_pk_mul_f32 v[22:23], v[20:21], v[14:15]
	s_delay_alu instid0(VALU_DEP_1) | instskip(NEXT) | instid1(VALU_DEP_1)
	v_fma_f32 v26, 0x3f317218, v20, -v22
	v_fmac_f32_e32 v26, 0xb102e308, v20
	s_delay_alu instid0(VALU_DEP_1) | instskip(SKIP_1) | instid1(VALU_DEP_1)
	v_pk_add_f32 v[20:21], v[22:23], v[26:27]
	v_dual_sub_f32 v15, v28, v25 :: v_dual_mov_b32 v28, v22
	v_dual_mov_b32 v36, v21 :: v_dual_sub_f32 v15, v19, v15
	s_delay_alu instid0(VALU_DEP_3) | instskip(NEXT) | instid1(VALU_DEP_2)
	v_dual_sub_f32 v19, v21, v27 :: v_dual_mov_b32 v27, v20
	v_ldexp_f32 v15, v15, 1
	s_delay_alu instid0(VALU_DEP_2) | instskip(SKIP_1) | instid1(VALU_DEP_2)
	v_sub_f32_e32 v19, v23, v19
	v_pk_add_f32 v[22:23], v[20:21], v[22:23] neg_lo:[0,1] neg_hi:[0,1]
	v_add_f32_e32 v29, v15, v19
	v_max_num_f32_e64 v15, |v7|, |v7|
	v_max_num_f32_e64 v19, |v6|, |v6|
	s_delay_alu instid0(VALU_DEP_3) | instskip(NEXT) | instid1(VALU_DEP_2)
	v_pk_add_f32 v[30:31], v[20:21], v[28:29]
	v_dual_max_num_f32 v25, v19, v15 :: v_dual_min_num_f32 v15, v19, v15
	s_delay_alu instid0(VALU_DEP_2) | instskip(NEXT) | instid1(VALU_DEP_2)
	v_mov_b32_e32 v23, v31
	v_frexp_exp_i32_f32_e32 v19, v25
	v_frexp_mant_f32_e32 v25, v25
	s_delay_alu instid0(VALU_DEP_4) | instskip(NEXT) | instid1(VALU_DEP_4)
	v_frexp_mant_f32_e32 v38, v15
	v_pk_add_f32 v[32:33], v[26:27], v[22:23]
	v_frexp_exp_i32_f32_e32 v32, v15
	v_pk_add_f32 v[22:23], v[26:27], v[22:23] neg_lo:[0,1] neg_hi:[0,1]
	v_rcp_f32_e32 v25, v25
	s_delay_alu instid0(VALU_DEP_2) | instskip(NEXT) | instid1(VALU_DEP_1)
	v_dual_mov_b32 v28, v33 :: v_dual_sub_nc_u32 v19, v32, v19
	v_pk_add_f32 v[34:35], v[28:29], v[20:21] neg_lo:[0,1] neg_hi:[0,1]
	v_dual_mov_b32 v32, v31 :: v_dual_mov_b32 v21, v20
	s_delay_alu instid0(TRANS32_DEP_1) | instskip(NEXT) | instid1(VALU_DEP_3)
	v_dual_mov_b32 v20, v29 :: v_dual_mul_f32 v23, v38, v25
	v_dual_mov_b32 v37, v34 :: v_dual_mov_b32 v15, v34
	s_delay_alu instid0(VALU_DEP_1) | instskip(NEXT) | instid1(VALU_DEP_2)
	v_pk_add_f32 v[26:27], v[32:33], v[36:37] neg_lo:[0,1] neg_hi:[0,1]
	v_pk_add_f32 v[30:31], v[30:31], v[14:15] neg_lo:[0,1] neg_hi:[0,1]
	v_mov_b32_e32 v30, v22
	v_ldexp_f32 v15, v23, v19
	s_delay_alu instid0(VALU_DEP_4) | instskip(NEXT) | instid1(VALU_DEP_2)
	v_pk_add_f32 v[20:21], v[20:21], v[26:27] neg_lo:[0,1] neg_hi:[0,1]
	v_mul_f32_e32 v19, v15, v15
	s_delay_alu instid0(VALU_DEP_2) | instskip(NEXT) | instid1(VALU_DEP_1)
	v_pk_add_f32 v[26:27], v[30:31], v[20:21]
	v_dual_fmaak_f32 v21, s11, v19, 0xbc7a590c :: v_dual_mov_b32 v30, v27
	s_delay_alu instid0(VALU_DEP_1) | instskip(NEXT) | instid1(VALU_DEP_1)
	v_pk_add_f32 v[30:31], v[26:27], v[30:31]
	v_pk_add_f32 v[28:29], v[28:29], v[30:31]
	s_delay_alu instid0(VALU_DEP_1) | instskip(NEXT) | instid1(VALU_DEP_1)
	v_dual_mov_b32 v23, v33 :: v_dual_mov_b32 v27, v28
	v_pk_add_f32 v[32:33], v[26:27], v[22:23] neg_lo:[0,1] neg_hi:[0,1]
	s_delay_alu instid0(VALU_DEP_1) | instskip(NEXT) | instid1(VALU_DEP_1)
	v_sub_f32_e32 v25, v26, v32
	v_sub_f32_e32 v22, v22, v25
	v_fmaak_f32 v21, v19, v21, 0x3d29fb3f
	s_delay_alu instid0(VALU_DEP_1) | instskip(NEXT) | instid1(VALU_DEP_1)
	v_fmaak_f32 v21, v19, v21, 0xbd97d4d7
	v_fmaak_f32 v21, v19, v21, 0x3dd931b2
	s_delay_alu instid0(VALU_DEP_1) | instskip(SKIP_1) | instid1(VALU_DEP_1)
	v_fmaak_f32 v23, v19, v21, 0xbe1160e6
	v_mov_b32_e32 v21, v30
	v_pk_add_f32 v[20:21], v[20:21], v[32:33] neg_lo:[0,1] neg_hi:[0,1]
	s_delay_alu instid0(VALU_DEP_1) | instskip(NEXT) | instid1(VALU_DEP_1)
	v_add_f32_e32 v20, v20, v22
	v_dual_add_f32 v20, v20, v21 :: v_dual_fmaak_f32 v23, v19, v23, 0x3e4cb8bf
	s_delay_alu instid0(VALU_DEP_1) | instskip(NEXT) | instid1(VALU_DEP_1)
	v_fmaak_f32 v23, v19, v23, 0xbeaaaa62
	v_mul_f32_e32 v19, v19, v23
	s_delay_alu instid0(VALU_DEP_1) | instskip(NEXT) | instid1(VALU_DEP_1)
	v_dual_fmac_f32 v15, v15, v19 :: v_dual_add_f32 v19, v28, v20
	v_sub_f32_e32 v20, 0x3fc90fdb, v15
	s_delay_alu instid0(VALU_DEP_2) | instskip(SKIP_1) | instid1(VALU_DEP_3)
	v_cndmask_b32_e32 v19, 0x7f800000, v19, vcc_lo
	v_cmp_gt_i32_e32 vcc_lo, 0, v6
	v_cndmask_b32_e64 v15, v15, v20, s0
	v_cndmask_b32_e64 v20, 0, 0x40490fdb, vcc_lo
	v_cmp_ngt_f32_e32 vcc_lo, -1.0, v18
	s_delay_alu instid0(VALU_DEP_3) | instskip(SKIP_2) | instid1(VALU_DEP_2)
	v_sub_f32_e32 v21, 0x40490fdb, v15
	v_cndmask_b32_e32 v19, 0x7fc00000, v19, vcc_lo
	v_cmp_gt_f32_e32 vcc_lo, 0, v6
	v_cndmask_b32_e64 v19, 0xff800000, v19, s1
	s_delay_alu instid0(VALU_DEP_4)
	v_cndmask_b32_e32 v15, v15, v21, vcc_lo
	v_cndmask_b32_e32 v21, 0x3f490fdb, v24, vcc_lo
	v_cmp_gt_f32_e64 vcc_lo, 0x33800000, |v18|
	v_cmp_class_f32_e64 s1, v7, 0x204
	v_cndmask_b32_e32 v18, v19, v18, vcc_lo
	v_cmp_eq_f32_e32 vcc_lo, 0, v7
	s_delay_alu instid0(VALU_DEP_2) | instskip(SKIP_1) | instid1(VALU_DEP_1)
	v_dual_mul_f32 v25, 0.5, v18 :: v_dual_cndmask_b32 v15, v15, v20, vcc_lo
	s_and_b32 vcc_lo, s2, s1
	v_cndmask_b32_e32 v26, v15, v21, vcc_lo
.LBB186_175:                            ;   in Loop: Header=BB186_162 Depth=1
	s_or_b32 exec_lo, exec_lo, s20
.LBB186_176:                            ;   in Loop: Header=BB186_162 Depth=1
	s_delay_alu instid0(SALU_CYCLE_1)
	s_or_b32 exec_lo, exec_lo, s19
.LBB186_177:                            ;   in Loop: Header=BB186_162 Depth=1
	s_and_not1_saveexec_b32 s2, s18
	s_cbranch_execz .LBB186_179
; %bb.178:                              ;   in Loop: Header=BB186_162 Depth=1
	v_max_num_f32_e64 v15, |v7|, |v7|
	v_max_num_f32_e64 v20, |v6|, |v6|
	v_cmp_gt_i32_e64 s1, 0, v6
	v_cmp_class_f32_e64 s3, v6, 0x204
	v_cmp_class_f32_e64 s4, v7, 0x204
	s_delay_alu instid0(VALU_DEP_4) | instskip(NEXT) | instid1(VALU_DEP_1)
	v_dual_max_num_f32 v21, v20, v15 :: v_dual_min_num_f32 v15, v20, v15
	v_cvt_f64_f32_e32 v[18:19], v21
	v_frexp_exp_i32_f32_e32 v20, v21
	s_delay_alu instid0(VALU_DEP_3) | instskip(SKIP_4) | instid1(VALU_DEP_1)
	v_frexp_exp_i32_f32_e32 v22, v15
	v_frexp_mant_f32_e32 v15, v15
	v_cmp_neq_f32_e32 vcc_lo, 0x7f800000, v21
	v_frexp_exp_i32_f64_e32 v18, v[18:19]
	v_frexp_mant_f32_e32 v19, v21
	v_rcp_f32_e32 v19, v19
	v_nop
	s_delay_alu instid0(TRANS32_DEP_1) | instskip(NEXT) | instid1(VALU_DEP_1)
	v_dual_mul_f32 v15, v15, v19 :: v_dual_sub_nc_u32 v20, v22, v20
	v_ldexp_f32 v15, v15, v20
	s_delay_alu instid0(VALU_DEP_1) | instskip(NEXT) | instid1(VALU_DEP_1)
	v_dual_mul_f32 v20, v15, v15 :: v_dual_sub_nc_u32 v19, 0, v18
	v_ldexp_f32 v22, |v7|, v19
	s_delay_alu instid0(VALU_DEP_2) | instskip(SKIP_1) | instid1(VALU_DEP_2)
	v_fmaak_f32 v23, s11, v20, 0xbc7a590c
	v_ldexp_f32 v19, |v6|, v19
	v_dual_mul_f32 v22, v22, v22 :: v_dual_fmaak_f32 v23, v20, v23, 0x3d29fb3f
	s_delay_alu instid0(VALU_DEP_1) | instskip(NEXT) | instid1(VALU_DEP_2)
	v_fmac_f32_e32 v22, v19, v19
	v_fmaak_f32 v19, v20, v23, 0xbd97d4d7
	s_delay_alu instid0(VALU_DEP_1) | instskip(NEXT) | instid1(VALU_DEP_3)
	v_fmaak_f32 v19, v20, v19, 0x3dd931b2
	v_sqrt_f32_e32 v22, v22
	s_delay_alu instid0(VALU_DEP_1) | instskip(NEXT) | instid1(TRANS32_DEP_1)
	v_fmaak_f32 v19, v20, v19, 0xbe1160e6
	v_ldexp_f32 v18, v22, v18
	s_delay_alu instid0(VALU_DEP_2) | instskip(NEXT) | instid1(VALU_DEP_1)
	v_fmaak_f32 v19, v20, v19, 0x3e4cb8bf
	v_fmaak_f32 v19, v20, v19, 0xbeaaaa62
	s_delay_alu instid0(VALU_DEP_1) | instskip(NEXT) | instid1(VALU_DEP_1)
	v_dual_cndmask_b32 v18, 0x7f800000, v18 :: v_dual_mul_f32 v19, v20, v19
	v_cmp_gt_f32_e32 vcc_lo, 0x800000, v18
	v_cndmask_b32_e64 v21, 0, 32, vcc_lo
	v_cndmask_b32_e64 v22, 0, 0x41b17218, vcc_lo
	s_delay_alu instid0(VALU_DEP_2) | instskip(NEXT) | instid1(VALU_DEP_1)
	v_ldexp_f32 v18, v18, v21
	v_log_f32_e32 v18, v18
	v_nop
	s_delay_alu instid0(TRANS32_DEP_1) | instskip(SKIP_2) | instid1(VALU_DEP_1)
	v_cmp_gt_f32_e64 vcc_lo, 0x7f800000, |v18|
	v_fmac_f32_e32 v15, v15, v19
	v_mul_f32_e32 v19, 0x3f317217, v18
	v_fma_f32 v19, 0x3f317217, v18, -v19
	s_delay_alu instid0(VALU_DEP_1) | instskip(NEXT) | instid1(VALU_DEP_1)
	v_fmac_f32_e32 v19, 0x3377d1cf, v18
	v_fmac_f32_e32 v19, 0x3f317217, v18
	s_delay_alu instid0(VALU_DEP_1) | instskip(SKIP_2) | instid1(VALU_DEP_2)
	v_cndmask_b32_e32 v18, v18, v19, vcc_lo
	v_sub_f32_e32 v20, 0x3fc90fdb, v15
	v_cmp_eq_f32_e32 vcc_lo, 0, v7
	v_dual_sub_f32 v25, v18, v22 :: v_dual_cndmask_b32 v15, v15, v20, s0
	v_cndmask_b32_e64 v20, 0, 0x40490fdb, s1
	v_cmp_gt_f32_e64 s1, 0, v6
	s_delay_alu instid0(VALU_DEP_3) | instskip(NEXT) | instid1(VALU_DEP_1)
	v_sub_f32_e32 v21, 0x40490fdb, v15
	v_cndmask_b32_e64 v15, v15, v21, s1
	v_cndmask_b32_e64 v21, 0x3f490fdb, v24, s1
	s_delay_alu instid0(VALU_DEP_2) | instskip(SKIP_1) | instid1(VALU_DEP_1)
	v_cndmask_b32_e32 v15, v15, v20, vcc_lo
	s_and_b32 vcc_lo, s3, s4
	v_cndmask_b32_e32 v26, v15, v21, vcc_lo
.LBB186_179:                            ;   in Loop: Header=BB186_162 Depth=1
	s_or_b32 exec_lo, exec_lo, s2
                                        ; implicit-def: $vgpr18
.LBB186_180:                            ;   in Loop: Header=BB186_162 Depth=1
	s_and_not1_saveexec_b32 s2, s17
	s_cbranch_execz .LBB186_186
; %bb.181:                              ;   in Loop: Header=BB186_162 Depth=1
                                        ; implicit-def: $vgpr25
                                        ; implicit-def: $vgpr26
	s_mov_b32 s1, exec_lo
	v_cmpx_ngt_f32_e32 0x1fec1e4a, v18
	s_xor_b32 s3, exec_lo, s1
	s_cbranch_execz .LBB186_183
; %bb.182:                              ;   in Loop: Header=BB186_162 Depth=1
	v_pk_mul_f32 v[18:19], v[18:19], v[18:19]
	v_max_num_f32_e64 v32, |v6|, |v6|
	v_cmp_class_f32_e64 s4, v6, 0x204
	s_delay_alu instid0(VALU_DEP_3) | instskip(SKIP_1) | instid1(VALU_DEP_2)
	v_add_f32_e32 v21, 1.0, v18
	v_cmp_neq_f32_e64 s1, 0x7f800000, v18
	v_frexp_mant_f32_e32 v20, v21
	v_add_f32_e32 v19, -1.0, v21
	s_delay_alu instid0(VALU_DEP_2) | instskip(NEXT) | instid1(VALU_DEP_2)
	v_cmp_gt_f32_e32 vcc_lo, 0x3f2aaaab, v20
	v_mov_b32_e32 v20, v19
	v_cvt_f64_f32_e32 v[22:23], v21
	s_delay_alu instid0(VALU_DEP_1) | instskip(NEXT) | instid1(VALU_DEP_1)
	v_frexp_exp_i32_f64_e32 v15, v[22:23]
	v_subrev_co_ci_u32_e64 v15, null, 0, v15, vcc_lo
	v_cmp_gt_i32_e32 vcc_lo, 0, v6
	s_delay_alu instid0(VALU_DEP_2) | instskip(SKIP_1) | instid1(VALU_DEP_2)
	v_sub_nc_u32_e32 v25, 0, v15
	v_pk_add_f32 v[22:23], v[18:19], v[20:21] neg_lo:[0,1] neg_hi:[0,1]
	v_ldexp_f32 v19, v21, v25
	s_delay_alu instid0(VALU_DEP_2) | instskip(NEXT) | instid1(VALU_DEP_2)
	v_add_f32_e32 v20, 1.0, v23
	v_add_f32_e32 v23, 1.0, v19
	s_delay_alu instid0(VALU_DEP_1) | instskip(NEXT) | instid1(VALU_DEP_1)
	v_dual_add_f32 v21, -1.0, v23 :: v_dual_add_f32 v20, v22, v20
	v_dual_add_f32 v27, -1.0, v19 :: v_dual_sub_f32 v21, v19, v21
	s_delay_alu instid0(VALU_DEP_2) | instskip(NEXT) | instid1(VALU_DEP_1)
	v_ldexp_f32 v20, v20, v25
	v_dual_add_f32 v22, 1.0, v27 :: v_dual_add_f32 v25, v20, v21
	s_delay_alu instid0(VALU_DEP_1) | instskip(NEXT) | instid1(VALU_DEP_1)
	v_add_f32_e32 v28, v23, v25
	v_rcp_f32_e32 v29, v28
	s_delay_alu instid0(VALU_DEP_2) | instskip(NEXT) | instid1(VALU_DEP_1)
	v_sub_f32_e32 v19, v19, v22
	v_add_f32_e32 v19, v20, v19
	s_delay_alu instid0(VALU_DEP_1)
	v_add_f32_e32 v21, v27, v19
	s_delay_alu instid0(TRANS32_DEP_1) | instid1(VALU_DEP_1)
	v_mul_f32_e32 v30, v21, v29
	s_delay_alu instid0(VALU_DEP_1) | instskip(NEXT) | instid1(VALU_DEP_1)
	v_dual_mul_f32 v22, v28, v30 :: v_dual_sub_f32 v20, v23, v28
	v_fma_f32 v26, v30, v28, -v22
	s_delay_alu instid0(VALU_DEP_2) | instskip(NEXT) | instid1(VALU_DEP_1)
	v_add_f32_e32 v25, v25, v20
	v_fmac_f32_e32 v26, v30, v25
	s_delay_alu instid0(VALU_DEP_1) | instskip(NEXT) | instid1(VALU_DEP_1)
	v_dual_add_f32 v20, v22, v26 :: v_dual_sub_f32 v31, v27, v21
	v_dual_mov_b32 v27, v20 :: v_dual_sub_f32 v23, v21, v20
	s_delay_alu instid0(VALU_DEP_2) | instskip(NEXT) | instid1(VALU_DEP_2)
	v_add_f32_e32 v19, v19, v31
	v_pk_add_f32 v[20:21], v[20:21], v[22:23] neg_lo:[0,1] neg_hi:[0,1]
	s_delay_alu instid0(VALU_DEP_1) | instskip(NEXT) | instid1(VALU_DEP_1)
	v_pk_add_f32 v[20:21], v[20:21], v[26:27] neg_lo:[0,1] neg_hi:[0,1]
	v_add_f32_e32 v19, v19, v21
	s_delay_alu instid0(VALU_DEP_1) | instskip(NEXT) | instid1(VALU_DEP_1)
	v_add_f32_e32 v19, v20, v19
	v_add_f32_e32 v21, v23, v19
	s_delay_alu instid0(VALU_DEP_1) | instskip(NEXT) | instid1(VALU_DEP_1)
	v_mul_f32_e32 v31, v29, v21
	v_mul_f32_e32 v26, v28, v31
	s_delay_alu instid0(VALU_DEP_1) | instskip(NEXT) | instid1(VALU_DEP_1)
	v_fma_f32 v22, v31, v28, -v26
	v_fmac_f32_e32 v22, v31, v25
	s_delay_alu instid0(VALU_DEP_1) | instskip(NEXT) | instid1(VALU_DEP_1)
	v_dual_add_f32 v20, v26, v22 :: v_dual_sub_f32 v25, v23, v21
	v_dual_mov_b32 v23, v20 :: v_dual_sub_f32 v27, v21, v20
	s_delay_alu instid0(VALU_DEP_2) | instskip(NEXT) | instid1(VALU_DEP_2)
	v_dual_add_f32 v19, v19, v25 :: v_dual_add_f32 v25, v30, v31
	v_pk_add_f32 v[20:21], v[20:21], v[26:27] neg_lo:[0,1] neg_hi:[0,1]
	s_delay_alu instid0(VALU_DEP_1) | instskip(NEXT) | instid1(VALU_DEP_1)
	v_pk_add_f32 v[20:21], v[20:21], v[22:23] neg_lo:[0,1] neg_hi:[0,1]
	v_add_f32_e32 v19, v19, v21
	s_delay_alu instid0(VALU_DEP_1) | instskip(NEXT) | instid1(VALU_DEP_1)
	v_dual_add_f32 v19, v20, v19 :: v_dual_sub_f32 v20, v25, v30
	v_sub_f32_e32 v20, v31, v20
	s_delay_alu instid0(VALU_DEP_2) | instskip(NEXT) | instid1(VALU_DEP_1)
	v_add_f32_e32 v19, v27, v19
	v_mul_f32_e32 v19, v29, v19
	s_delay_alu instid0(VALU_DEP_1) | instskip(SKIP_1) | instid1(VALU_DEP_2)
	v_add_f32_e32 v19, v20, v19
	v_cvt_f32_i32_e32 v20, v15
	v_add_f32_e32 v28, v25, v19
	s_delay_alu instid0(VALU_DEP_1) | instskip(NEXT) | instid1(VALU_DEP_1)
	v_mul_f32_e32 v22, v28, v28
	v_fmaak_f32 v23, s10, v22, 0x3ecc95a3
	v_mul_f32_e32 v21, v28, v22
	v_ldexp_f32 v27, v28, 1
	s_delay_alu instid0(VALU_DEP_3) | instskip(NEXT) | instid1(VALU_DEP_1)
	v_fmaak_f32 v15, v22, v23, 0x3f2aaada
	v_pk_mul_f32 v[22:23], v[20:21], v[14:15]
	s_delay_alu instid0(VALU_DEP_1) | instskip(NEXT) | instid1(VALU_DEP_1)
	v_fma_f32 v26, 0x3f317218, v20, -v22
	v_fmac_f32_e32 v26, 0xb102e308, v20
	s_delay_alu instid0(VALU_DEP_1) | instskip(SKIP_2) | instid1(VALU_DEP_3)
	v_pk_add_f32 v[20:21], v[22:23], v[26:27]
	v_sub_f32_e32 v15, v28, v25
	v_max_num_f32_e64 v25, |v7|, |v7|
	v_dual_mov_b32 v28, v22 :: v_dual_mov_b32 v36, v21
	s_delay_alu instid0(VALU_DEP_3) | instskip(SKIP_1) | instid1(VALU_DEP_2)
	v_sub_f32_e32 v15, v19, v15
	v_dual_sub_f32 v19, v21, v27 :: v_dual_mov_b32 v27, v20
	v_ldexp_f32 v15, v15, 1
	s_delay_alu instid0(VALU_DEP_2) | instskip(SKIP_1) | instid1(VALU_DEP_2)
	v_sub_f32_e32 v19, v23, v19
	v_pk_add_f32 v[22:23], v[20:21], v[22:23] neg_lo:[0,1] neg_hi:[0,1]
	v_dual_add_f32 v29, v15, v19 :: v_dual_max_num_f32 v15, v32, v25
	v_min_num_f32_e32 v25, v32, v25
	s_delay_alu instid0(VALU_DEP_2) | instskip(NEXT) | instid1(VALU_DEP_3)
	v_pk_add_f32 v[30:31], v[20:21], v[28:29]
	v_frexp_mant_f32_e32 v19, v15
	v_frexp_exp_i32_f32_e32 v15, v15
	s_delay_alu instid0(VALU_DEP_3) | instskip(NEXT) | instid1(VALU_DEP_3)
	v_mov_b32_e32 v23, v31
	v_rcp_f32_e32 v19, v19
	s_delay_alu instid0(VALU_DEP_1) | instskip(SKIP_2) | instid1(VALU_DEP_2)
	v_pk_add_f32 v[32:33], v[26:27], v[22:23]
	v_frexp_exp_i32_f32_e32 v32, v25
	v_frexp_mant_f32_e32 v25, v25
	v_dual_mov_b32 v28, v33 :: v_dual_sub_nc_u32 v15, v32, v15
	s_delay_alu instid0(TRANS32_DEP_1) | instid1(VALU_DEP_2)
	v_dual_mul_f32 v19, v25, v19 :: v_dual_mov_b32 v32, v31
	v_pk_add_f32 v[22:23], v[26:27], v[22:23] neg_lo:[0,1] neg_hi:[0,1]
	s_delay_alu instid0(VALU_DEP_3) | instskip(SKIP_1) | instid1(VALU_DEP_4)
	v_pk_add_f32 v[34:35], v[28:29], v[20:21] neg_lo:[0,1] neg_hi:[0,1]
	v_mov_b32_e32 v21, v20
	v_ldexp_f32 v19, v19, v15
	s_delay_alu instid0(VALU_DEP_3) | instskip(NEXT) | instid1(VALU_DEP_2)
	v_dual_mov_b32 v20, v29 :: v_dual_mov_b32 v15, v34
	v_dual_mov_b32 v37, v34 :: v_dual_mul_f32 v25, v19, v19
	s_delay_alu instid0(VALU_DEP_2) | instskip(NEXT) | instid1(VALU_DEP_2)
	v_pk_add_f32 v[30:31], v[30:31], v[14:15] neg_lo:[0,1] neg_hi:[0,1]
	v_pk_add_f32 v[26:27], v[32:33], v[36:37] neg_lo:[0,1] neg_hi:[0,1]
	v_mov_b32_e32 v30, v22
	s_delay_alu instid0(VALU_DEP_2) | instskip(NEXT) | instid1(VALU_DEP_1)
	v_pk_add_f32 v[20:21], v[20:21], v[26:27] neg_lo:[0,1] neg_hi:[0,1]
	v_pk_add_f32 v[26:27], v[30:31], v[20:21]
	s_delay_alu instid0(VALU_DEP_1) | instskip(NEXT) | instid1(VALU_DEP_1)
	v_dual_fmaak_f32 v15, s11, v25, 0xbc7a590c :: v_dual_mov_b32 v30, v27
	v_fmaak_f32 v15, v25, v15, 0x3d29fb3f
	s_delay_alu instid0(VALU_DEP_2) | instskip(NEXT) | instid1(VALU_DEP_2)
	v_pk_add_f32 v[30:31], v[26:27], v[30:31]
	v_fmaak_f32 v15, v25, v15, 0xbd97d4d7
	s_delay_alu instid0(VALU_DEP_2) | instskip(NEXT) | instid1(VALU_DEP_2)
	v_pk_add_f32 v[28:29], v[28:29], v[30:31]
	v_fmaak_f32 v15, v25, v15, 0x3dd931b2
	s_delay_alu instid0(VALU_DEP_2) | instskip(NEXT) | instid1(VALU_DEP_2)
	v_dual_mov_b32 v23, v33 :: v_dual_mov_b32 v27, v28
	v_fmaak_f32 v15, v25, v15, 0xbe1160e6
	s_delay_alu instid0(VALU_DEP_2) | instskip(NEXT) | instid1(VALU_DEP_2)
	v_pk_add_f32 v[32:33], v[26:27], v[22:23] neg_lo:[0,1] neg_hi:[0,1]
	v_fmaak_f32 v15, v25, v15, 0x3e4cb8bf
	s_delay_alu instid0(VALU_DEP_1) | instskip(NEXT) | instid1(VALU_DEP_1)
	v_fmaak_f32 v15, v25, v15, 0xbeaaaa62
	v_dual_mov_b32 v21, v30 :: v_dual_mul_f32 v15, v25, v15
	s_delay_alu instid0(VALU_DEP_4) | instskip(NEXT) | instid1(VALU_DEP_2)
	v_sub_f32_e32 v23, v26, v32
	v_pk_add_f32 v[20:21], v[20:21], v[32:33] neg_lo:[0,1] neg_hi:[0,1]
	s_delay_alu instid0(VALU_DEP_3) | instskip(NEXT) | instid1(VALU_DEP_3)
	v_fmac_f32_e32 v19, v19, v15
	v_sub_f32_e32 v22, v22, v23
	s_delay_alu instid0(VALU_DEP_1) | instskip(NEXT) | instid1(VALU_DEP_1)
	v_dual_add_f32 v15, v20, v22 :: v_dual_sub_f32 v20, 0x3fc90fdb, v19
	v_add_f32_e32 v15, v15, v21
	s_delay_alu instid0(VALU_DEP_2) | instskip(SKIP_2) | instid1(VALU_DEP_4)
	v_cndmask_b32_e64 v19, v19, v20, s0
	v_cndmask_b32_e64 v20, 0, 0x40490fdb, vcc_lo
	v_cmp_gt_f32_e32 vcc_lo, 0, v6
	v_add_f32_e32 v15, v28, v15
	s_delay_alu instid0(VALU_DEP_4) | instskip(NEXT) | instid1(VALU_DEP_2)
	v_sub_f32_e32 v21, 0x40490fdb, v19
	v_cndmask_b32_e64 v15, 0x7f800000, v15, s1
	s_delay_alu instid0(VALU_DEP_2)
	v_cndmask_b32_e32 v19, v19, v21, vcc_lo
	v_cndmask_b32_e32 v21, 0x3f490fdb, v24, vcc_lo
	v_cmp_gt_f32_e64 vcc_lo, 0x33800000, |v18|
	v_cmp_class_f32_e64 s1, v7, 0x204
	v_cndmask_b32_e32 v15, v15, v18, vcc_lo
	v_cmp_eq_f32_e32 vcc_lo, 0, v7
	s_delay_alu instid0(VALU_DEP_2) | instskip(SKIP_1) | instid1(VALU_DEP_1)
	v_dual_mul_f32 v25, 0.5, v15 :: v_dual_cndmask_b32 v18, v19, v20
	s_and_b32 vcc_lo, s4, s1
	v_cndmask_b32_e32 v26, v18, v21, vcc_lo
                                        ; implicit-def: $vgpr18
.LBB186_183:                            ;   in Loop: Header=BB186_162 Depth=1
	s_and_not1_saveexec_b32 s3, s3
	s_cbranch_execz .LBB186_185
; %bb.184:                              ;   in Loop: Header=BB186_162 Depth=1
	v_max_num_f32_e64 v15, |v7|, |v7|
	v_max_num_f32_e64 v19, |v6|, |v6|
	v_cmp_eq_f32_e64 s1, 0, v7
	v_cmp_gt_i32_e32 vcc_lo, 0, v6
	v_cmp_class_f32_e64 s4, v6, 0x204
	v_cmp_class_f32_e64 s5, v7, 0x204
	v_dual_max_num_f32 v20, v19, v15 :: v_dual_min_num_f32 v15, v19, v15
	s_delay_alu instid0(VALU_DEP_1) | instskip(SKIP_1) | instid1(VALU_DEP_2)
	v_frexp_mant_f32_e32 v21, v20
	v_frexp_exp_i32_f32_e32 v19, v20
	v_rcp_f32_e32 v20, v21
	v_nop
	v_frexp_exp_i32_f32_e32 v21, v15
	v_frexp_mant_f32_e32 v15, v15
	s_delay_alu instid0(TRANS32_DEP_1) | instid1(VALU_DEP_1)
	v_dual_sub_nc_u32 v19, v21, v19 :: v_dual_mul_f32 v15, v15, v20
	s_delay_alu instid0(VALU_DEP_1) | instskip(NEXT) | instid1(VALU_DEP_1)
	v_ldexp_f32 v15, v15, v19
	v_mul_f32_e32 v19, v15, v15
	s_delay_alu instid0(VALU_DEP_1) | instskip(NEXT) | instid1(VALU_DEP_1)
	v_fmaak_f32 v20, s11, v19, 0xbc7a590c
	v_fmaak_f32 v20, v19, v20, 0x3d29fb3f
	s_delay_alu instid0(VALU_DEP_1) | instskip(NEXT) | instid1(VALU_DEP_1)
	v_fmaak_f32 v20, v19, v20, 0xbd97d4d7
	v_fmaak_f32 v20, v19, v20, 0x3dd931b2
	;; [unrolled: 3-line block ×3, first 2 shown]
	s_delay_alu instid0(VALU_DEP_1) | instskip(NEXT) | instid1(VALU_DEP_1)
	v_fmaak_f32 v20, v19, v20, 0xbeaaaa62
	v_mul_f32_e32 v19, v19, v20
	v_cndmask_b32_e64 v20, 0, 0x40490fdb, vcc_lo
	v_cmp_gt_f32_e32 vcc_lo, 0, v6
	s_delay_alu instid0(VALU_DEP_3) | instskip(NEXT) | instid1(VALU_DEP_1)
	v_fmac_f32_e32 v15, v15, v19
	v_sub_f32_e32 v19, 0x3fc90fdb, v15
	s_delay_alu instid0(VALU_DEP_1) | instskip(NEXT) | instid1(VALU_DEP_1)
	v_cndmask_b32_e64 v15, v15, v19, s0
	v_sub_f32_e32 v19, 0x40490fdb, v15
	s_delay_alu instid0(VALU_DEP_1) | instskip(NEXT) | instid1(VALU_DEP_1)
	v_dual_cndmask_b32 v15, v15, v19, vcc_lo :: v_dual_mul_f32 v19, 0.5, v18
	v_cndmask_b32_e64 v15, v15, v20, s1
	v_cndmask_b32_e32 v20, 0x3f490fdb, v24, vcc_lo
	s_and_b32 vcc_lo, s4, s5
	s_delay_alu instid0(VALU_DEP_1)
	v_dual_mul_f32 v25, v18, v19 :: v_dual_cndmask_b32 v26, v15, v20
.LBB186_185:                            ;   in Loop: Header=BB186_162 Depth=1
	s_or_b32 exec_lo, exec_lo, s3
.LBB186_186:                            ;   in Loop: Header=BB186_162 Depth=1
	s_delay_alu instid0(SALU_CYCLE_1)
	s_or_b32 exec_lo, exec_lo, s2
.LBB186_187:                            ;   in Loop: Header=BB186_162 Depth=1
	s_and_not1_saveexec_b32 s2, s16
	s_cbranch_execz .LBB186_189
; %bb.188:                              ;   in Loop: Header=BB186_162 Depth=1
	v_div_scale_f32 v15, null, 0x402df854, 0x402df854, v6
	v_div_scale_f32 v18, null, 0x402df854, 0x402df854, v7
	v_div_scale_f32 v23, vcc_lo, v6, 0x402df854, v6
	s_delay_alu instid0(VALU_DEP_3) | instskip(NEXT) | instid1(VALU_DEP_2)
	v_rcp_f32_e32 v19, v15
	v_rcp_f32_e32 v20, v18
	v_cmp_class_f32_e64 s3, v7, 0x204
	s_delay_alu instid0(TRANS32_DEP_2) | instskip(NEXT) | instid1(TRANS32_DEP_1)
	v_fma_f32 v21, -v15, v19, 1.0
	v_fma_f32 v22, -v18, v20, 1.0
	s_delay_alu instid0(VALU_DEP_1) | instskip(SKIP_1) | instid1(VALU_DEP_1)
	v_dual_fmac_f32 v19, v21, v19 :: v_dual_fmac_f32 v20, v22, v20
	v_div_scale_f32 v21, s1, v7, 0x402df854, v7
	v_dual_mul_f32 v22, v23, v19 :: v_dual_mul_f32 v25, v21, v20
	s_delay_alu instid0(VALU_DEP_1) | instskip(NEXT) | instid1(VALU_DEP_1)
	v_dual_fma_f32 v26, -v15, v22, v23 :: v_dual_fma_f32 v27, -v18, v25, v21
	v_dual_fmac_f32 v22, v26, v19 :: v_dual_fmac_f32 v25, v27, v20
	s_delay_alu instid0(VALU_DEP_1) | instskip(NEXT) | instid1(VALU_DEP_1)
	v_dual_fma_f32 v15, -v15, v22, v23 :: v_dual_fma_f32 v18, -v18, v25, v21
	v_div_fmas_f32 v15, v15, v19, v22
	s_mov_b32 vcc_lo, s1
	v_max_num_f32_e64 v22, |v6|, |v6|
	s_delay_alu instid0(VALU_DEP_3) | instskip(SKIP_2) | instid1(VALU_DEP_3)
	v_div_fmas_f32 v18, v18, v20, v25
	v_cmp_class_f32_e64 s1, v6, 0x204
	v_div_fixup_f32 v15, v15, 0x402df854, v6
	v_div_fixup_f32 v20, v18, 0x402df854, v7
	s_delay_alu instid0(VALU_DEP_1) | instskip(NEXT) | instid1(VALU_DEP_1)
	v_max_num_f32_e64 v21, |v15|, |v20|
	v_cvt_f64_f32_e32 v[18:19], v21
	v_cmp_neq_f32_e32 vcc_lo, 0x7f800000, v21
	s_delay_alu instid0(VALU_DEP_2) | instskip(SKIP_1) | instid1(VALU_DEP_1)
	v_frexp_exp_i32_f64_e32 v18, v[18:19]
	v_max_num_f32_e64 v19, |v7|, |v7|
	v_dual_max_num_f32 v23, v22, v19 :: v_dual_min_num_f32 v19, v22, v19
	s_delay_alu instid0(VALU_DEP_1) | instskip(SKIP_1) | instid1(VALU_DEP_2)
	v_frexp_mant_f32_e32 v25, v23
	v_frexp_exp_i32_f32_e32 v22, v23
	v_rcp_f32_e32 v23, v25
	v_nop
	v_frexp_exp_i32_f32_e32 v25, v19
	v_frexp_mant_f32_e32 v19, v19
	s_delay_alu instid0(TRANS32_DEP_1) | instid1(VALU_DEP_1)
	v_dual_mul_f32 v19, v19, v23 :: v_dual_sub_nc_u32 v22, v25, v22
	s_delay_alu instid0(VALU_DEP_1) | instskip(NEXT) | instid1(VALU_DEP_1)
	v_ldexp_f32 v19, v19, v22
	v_dual_mul_f32 v22, v19, v19 :: v_dual_sub_nc_u32 v23, 0, v18
	s_delay_alu instid0(VALU_DEP_1) | instskip(SKIP_1) | instid1(VALU_DEP_2)
	v_ldexp_f32 v20, |v20|, v23
	v_ldexp_f32 v15, |v15|, v23
	v_dual_fmaak_f32 v23, s11, v22, 0xbc7a590c :: v_dual_mul_f32 v20, v20, v20
	s_delay_alu instid0(VALU_DEP_1) | instskip(NEXT) | instid1(VALU_DEP_2)
	v_fmac_f32_e32 v20, v15, v15
	v_fmaak_f32 v15, v22, v23, 0x3d29fb3f
	s_delay_alu instid0(VALU_DEP_1) | instskip(NEXT) | instid1(VALU_DEP_3)
	v_fmaak_f32 v15, v22, v15, 0xbd97d4d7
	v_sqrt_f32_e32 v20, v20
	s_delay_alu instid0(VALU_DEP_1) | instskip(NEXT) | instid1(TRANS32_DEP_1)
	v_fmaak_f32 v15, v22, v15, 0x3dd931b2
	v_ldexp_f32 v18, v20, v18
	s_delay_alu instid0(VALU_DEP_2) | instskip(NEXT) | instid1(VALU_DEP_1)
	v_fmaak_f32 v15, v22, v15, 0xbe1160e6
	v_fmaak_f32 v15, v22, v15, 0x3e4cb8bf
	s_delay_alu instid0(VALU_DEP_1) | instskip(NEXT) | instid1(VALU_DEP_1)
	v_fmaak_f32 v15, v22, v15, 0xbeaaaa62
	v_dual_cndmask_b32 v18, 0x7f800000, v18 :: v_dual_mul_f32 v15, v22, v15
	s_delay_alu instid0(VALU_DEP_1) | instskip(NEXT) | instid1(VALU_DEP_2)
	v_cmp_gt_f32_e32 vcc_lo, 0x800000, v18
	v_fmac_f32_e32 v19, v19, v15
	v_cndmask_b32_e64 v20, 0, 32, vcc_lo
	v_cndmask_b32_e64 v22, 0, 0x41b17218, vcc_lo
	s_delay_alu instid0(VALU_DEP_2) | instskip(NEXT) | instid1(VALU_DEP_1)
	v_ldexp_f32 v18, v18, v20
	v_log_f32_e32 v18, v18
	v_nop
	s_delay_alu instid0(TRANS32_DEP_1) | instskip(SKIP_1) | instid1(VALU_DEP_2)
	v_mul_f32_e32 v20, 0x3f317217, v18
	v_cmp_gt_f32_e64 vcc_lo, 0x7f800000, |v18|
	v_fma_f32 v15, 0x3f317217, v18, -v20
	s_delay_alu instid0(VALU_DEP_1) | instskip(NEXT) | instid1(VALU_DEP_1)
	v_fmac_f32_e32 v15, 0x3377d1cf, v18
	v_fmac_f32_e32 v15, 0x3f317217, v18
	s_delay_alu instid0(VALU_DEP_1) | instskip(SKIP_2) | instid1(VALU_DEP_3)
	v_cndmask_b32_e32 v15, v18, v15, vcc_lo
	v_sub_f32_e32 v20, 0x3fc90fdb, v19
	v_cmp_eq_f32_e32 vcc_lo, 0, v7
	v_sub_f32_e32 v15, v15, v22
	s_delay_alu instid0(VALU_DEP_3) | instskip(SKIP_1) | instid1(VALU_DEP_3)
	v_cndmask_b32_e64 v19, v19, v20, s0
	v_cmp_gt_i32_e64 s0, 0, v6
	v_add_f32_e32 v25, 1.0, v15
	s_delay_alu instid0(VALU_DEP_3) | instskip(NEXT) | instid1(VALU_DEP_3)
	v_sub_f32_e32 v21, 0x40490fdb, v19
	v_cndmask_b32_e64 v20, 0, 0x40490fdb, s0
	v_cmp_gt_f32_e64 s0, 0, v6
	s_delay_alu instid0(VALU_DEP_1) | instskip(SKIP_1) | instid1(VALU_DEP_2)
	v_cndmask_b32_e64 v18, v19, v21, s0
	v_cndmask_b32_e64 v19, 0x3f490fdb, v24, s0
	v_cndmask_b32_e32 v18, v18, v20, vcc_lo
	s_and_b32 vcc_lo, s1, s3
	s_delay_alu instid0(VALU_DEP_1)
	v_cndmask_b32_e32 v26, v18, v19, vcc_lo
.LBB186_189:                            ;   in Loop: Header=BB186_162 Depth=1
	s_or_b32 exec_lo, exec_lo, s2
.LBB186_190:                            ;   in Loop: Header=BB186_162 Depth=1
	s_and_not1_saveexec_b32 s0, s13
	s_cbranch_execz .LBB186_196
; %bb.191:                              ;   in Loop: Header=BB186_162 Depth=1
	v_cmp_ngt_f32_e64 s1, 0x20000000, |v6|
	v_cmp_ngt_f32_e64 s2, 0x20000000, |v7|
                                        ; implicit-def: $vgpr15
	s_or_b32 s1, s1, s2
	s_delay_alu instid0(SALU_CYCLE_1) | instskip(NEXT) | instid1(SALU_CYCLE_1)
	s_and_saveexec_b32 s2, s1
	s_xor_b32 s1, exec_lo, s2
; %bb.192:                              ;   in Loop: Header=BB186_162 Depth=1
	v_pk_mul_f32 v[18:19], v[6:7], v[6:7]
	s_delay_alu instid0(VALU_DEP_1)
	v_add_f32_e32 v15, v18, v19
; %bb.193:                              ;   in Loop: Header=BB186_162 Depth=1
	s_and_not1_saveexec_b32 s1, s1
; %bb.194:                              ;   in Loop: Header=BB186_162 Depth=1
	v_pk_mul_f32 v[18:19], v[6:7], 4.0 op_sel_hi:[1,0]
	s_delay_alu instid0(VALU_DEP_1) | instskip(NEXT) | instid1(VALU_DEP_1)
	v_pk_mul_f32 v[18:19], v[18:19], v[18:19]
	v_add_f32_e32 v6, v18, v19
	s_delay_alu instid0(VALU_DEP_1)
	v_mul_f32_e32 v15, 0x3d800000, v6
; %bb.195:                              ;   in Loop: Header=BB186_162 Depth=1
	s_or_b32 exec_lo, exec_lo, s1
	s_delay_alu instid0(VALU_DEP_1) | instskip(SKIP_3) | instid1(VALU_DEP_2)
	v_cmp_gt_f32_e32 vcc_lo, 0x800000, v15
	v_mov_b32_e32 v26, 0x7fc00000
	v_cndmask_b32_e64 v6, 0, 32, vcc_lo
	v_cndmask_b32_e64 v18, 0, 0x41b17218, vcc_lo
	v_ldexp_f32 v6, v15, v6
	s_delay_alu instid0(VALU_DEP_1) | instskip(SKIP_1) | instid1(TRANS32_DEP_1)
	v_log_f32_e32 v6, v6
	v_nop
	v_mul_f32_e32 v15, 0x3f317217, v6
	v_cmp_gt_f32_e64 vcc_lo, 0x7f800000, |v6|
	s_delay_alu instid0(VALU_DEP_2) | instskip(NEXT) | instid1(VALU_DEP_1)
	v_fma_f32 v15, 0x3f317217, v6, -v15
	v_fmac_f32_e32 v15, 0x3377d1cf, v6
	s_delay_alu instid0(VALU_DEP_1) | instskip(NEXT) | instid1(VALU_DEP_1)
	v_fmac_f32_e32 v15, 0x3f317217, v6
	v_cndmask_b32_e32 v6, v6, v15, vcc_lo
	s_delay_alu instid0(VALU_DEP_1)
	v_sub_f32_e32 v25, v6, v18
.LBB186_196:                            ;   in Loop: Header=BB186_162 Depth=1
	s_or_b32 exec_lo, exec_lo, s0
                                        ; implicit-def: $vgpr6
                                        ; implicit-def: $vgpr27
	s_delay_alu instid0(SALU_CYCLE_1)
	s_mov_b32 s0, exec_lo
	v_cmpx_o_f32_e32 v9, v8
	s_xor_b32 s13, exec_lo, s0
	s_cbranch_execz .LBB186_224
; %bb.197:                              ;   in Loop: Header=BB186_162 Depth=1
	v_cmp_lt_f32_e64 s0, |v8|, |v9|
                                        ; implicit-def: $vgpr6
                                        ; implicit-def: $vgpr27
	s_mov_b32 s2, exec_lo
	v_cndmask_b32_e64 v15, v9, v8, s0
	s_delay_alu instid0(VALU_DEP_1)
	v_cmpx_nlt_f32_e64 0x77f684df, |v15|
	s_xor_b32 s16, exec_lo, s2
	s_cbranch_execz .LBB186_221
; %bb.198:                              ;   in Loop: Header=BB186_162 Depth=1
	v_cndmask_b32_e64 v6, v8, v9, s0
	v_and_b32_e32 v18, 0x7fffffff, v15
                                        ; implicit-def: $vgpr27
	s_mov_b32 s1, exec_lo
	s_delay_alu instid0(VALU_DEP_2) | instskip(NEXT) | instid1(VALU_DEP_1)
	v_and_b32_e32 v19, 0x7fffffff, v6
                                        ; implicit-def: $vgpr6
	v_cmpx_neq_f32_e32 1.0, v19
	s_xor_b32 s17, exec_lo, s1
	s_cbranch_execz .LBB186_214
; %bb.199:                              ;   in Loop: Header=BB186_162 Depth=1
	v_dual_max_num_f32 v6, v18, v18 :: v_dual_max_num_f32 v15, v19, v19
                                        ; implicit-def: $vgpr27
	s_delay_alu instid0(VALU_DEP_1) | instskip(NEXT) | instid1(VALU_DEP_1)
	v_dual_min_num_f32 v20, v15, v6 :: v_dual_max_num_f32 v6, v15, v6
	v_cmp_ngt_f32_e32 vcc_lo, 0x358637bd, v20
	s_delay_alu instid0(VALU_DEP_2) | instskip(SKIP_1) | instid1(SALU_CYCLE_1)
	v_cmp_nlt_f32_e64 s1, 0x49742400, v6
                                        ; implicit-def: $vgpr6
	s_and_b32 s1, s1, vcc_lo
	s_and_saveexec_b32 s2, s1
	s_delay_alu instid0(SALU_CYCLE_1)
	s_xor_b32 s18, exec_lo, s2
	s_cbranch_execz .LBB186_211
; %bb.200:                              ;   in Loop: Header=BB186_162 Depth=1
                                        ; implicit-def: $vgpr6
                                        ; implicit-def: $vgpr27
	s_mov_b32 s1, exec_lo
	v_cmpx_le_f32_e32 1.0, v19
	s_xor_b32 s2, exec_lo, s1
	s_cbranch_execz .LBB186_202
; %bb.201:                              ;   in Loop: Header=BB186_162 Depth=1
	v_pk_add_f32 v[20:21], v[18:19], v[12:13] op_sel:[1,0]
	v_mov_b32_e32 v22, v18
	v_cmp_class_f32_e64 s3, v8, 0x204
	s_delay_alu instid0(VALU_DEP_3) | instskip(SKIP_1) | instid1(VALU_DEP_1)
	v_dual_mov_b32 v19, v20 :: v_dual_mov_b32 v23, v21
	v_mul_f32_e32 v6, v20, v21
	v_pk_fma_f32 v[18:19], v[18:19], v[22:23], v[6:7] op_sel_hi:[1,1,0]
	s_delay_alu instid0(VALU_DEP_1) | instskip(SKIP_1) | instid1(VALU_DEP_2)
	v_add_f32_e32 v21, 1.0, v18
	v_cmp_neq_f32_e64 s1, -1.0, v18
	v_add_f32_e32 v19, -1.0, v21
	s_delay_alu instid0(VALU_DEP_1) | instskip(SKIP_2) | instid1(VALU_DEP_1)
	v_mov_b32_e32 v20, v19
	v_cvt_f64_f32_e32 v[22:23], v21
	v_frexp_mant_f32_e32 v15, v21
	v_cmp_gt_f32_e32 vcc_lo, 0x3f2aaaab, v15
	s_delay_alu instid0(VALU_DEP_3) | instskip(NEXT) | instid1(VALU_DEP_1)
	v_frexp_exp_i32_f64_e32 v6, v[22:23]
	v_subrev_co_ci_u32_e64 v6, null, 0, v6, vcc_lo
	v_cmp_neq_f32_e32 vcc_lo, 0x7f800000, v18
	s_delay_alu instid0(VALU_DEP_2) | instskip(SKIP_1) | instid1(VALU_DEP_2)
	v_sub_nc_u32_e32 v15, 0, v6
	v_pk_add_f32 v[22:23], v[18:19], v[20:21] neg_lo:[0,1] neg_hi:[0,1]
	v_ldexp_f32 v19, v21, v15
	s_delay_alu instid0(VALU_DEP_2) | instskip(NEXT) | instid1(VALU_DEP_2)
	v_add_f32_e32 v20, 1.0, v23
	v_add_f32_e32 v23, 1.0, v19
	s_delay_alu instid0(VALU_DEP_1) | instskip(SKIP_1) | instid1(VALU_DEP_2)
	v_dual_add_f32 v21, -1.0, v23 :: v_dual_add_f32 v20, v22, v20
	v_add_f32_e32 v27, -1.0, v19
	v_ldexp_f32 v15, v20, v15
	s_delay_alu instid0(VALU_DEP_2) | instskip(NEXT) | instid1(VALU_DEP_1)
	v_dual_sub_f32 v20, v19, v21 :: v_dual_add_f32 v21, 1.0, v27
	v_add_f32_e32 v20, v15, v20
	s_delay_alu instid0(VALU_DEP_1) | instskip(NEXT) | instid1(VALU_DEP_1)
	v_add_f32_e32 v30, v23, v20
	v_dual_sub_f32 v19, v19, v21 :: v_dual_sub_f32 v23, v30, v23
	s_delay_alu instid0(VALU_DEP_1) | instskip(SKIP_1) | instid1(VALU_DEP_1)
	v_add_f32_e32 v15, v15, v19
	v_rcp_f32_e32 v19, v30
	v_add_f32_e32 v21, v27, v15
	s_delay_alu instid0(TRANS32_DEP_1) | instid1(VALU_DEP_1)
	v_mul_f32_e32 v31, v21, v19
	v_sub_f32_e32 v32, v20, v23
	s_delay_alu instid0(VALU_DEP_2) | instskip(NEXT) | instid1(VALU_DEP_1)
	v_mul_f32_e32 v22, v30, v31
	v_fma_f32 v28, v31, v30, -v22
	s_delay_alu instid0(VALU_DEP_1) | instskip(NEXT) | instid1(VALU_DEP_1)
	v_fmac_f32_e32 v28, v31, v32
	v_add_f32_e32 v20, v22, v28
	s_delay_alu instid0(VALU_DEP_1) | instskip(SKIP_1) | instid1(VALU_DEP_2)
	v_dual_mov_b32 v29, v20 :: v_dual_sub_f32 v23, v21, v20
	v_sub_f32_e32 v27, v21, v27
	v_pk_add_f32 v[20:21], v[20:21], v[22:23] neg_lo:[0,1] neg_hi:[0,1]
	s_delay_alu instid0(VALU_DEP_2) | instskip(NEXT) | instid1(VALU_DEP_2)
	v_sub_f32_e32 v15, v15, v27
	v_pk_add_f32 v[20:21], v[20:21], v[28:29] neg_lo:[0,1] neg_hi:[0,1]
	s_delay_alu instid0(VALU_DEP_1) | instskip(NEXT) | instid1(VALU_DEP_1)
	v_add_f32_e32 v15, v15, v21
	v_add_f32_e32 v15, v20, v15
	s_delay_alu instid0(VALU_DEP_1) | instskip(NEXT) | instid1(VALU_DEP_1)
	v_add_f32_e32 v21, v23, v15
	v_mul_f32_e32 v27, v19, v21
	s_delay_alu instid0(VALU_DEP_1) | instskip(NEXT) | instid1(VALU_DEP_1)
	v_mul_f32_e32 v28, v30, v27
	v_fma_f32 v22, v27, v30, -v28
	v_sub_f32_e32 v30, v23, v21
	s_delay_alu instid0(VALU_DEP_2) | instskip(NEXT) | instid1(VALU_DEP_2)
	v_fmac_f32_e32 v22, v27, v32
	v_add_f32_e32 v15, v15, v30
	s_delay_alu instid0(VALU_DEP_2) | instskip(NEXT) | instid1(VALU_DEP_1)
	v_dual_add_f32 v30, v31, v27 :: v_dual_add_f32 v20, v28, v22
	v_dual_mov_b32 v23, v20 :: v_dual_sub_f32 v29, v21, v20
	s_delay_alu instid0(VALU_DEP_1) | instskip(NEXT) | instid1(VALU_DEP_1)
	v_pk_add_f32 v[20:21], v[20:21], v[28:29] neg_lo:[0,1] neg_hi:[0,1]
	v_pk_add_f32 v[20:21], v[20:21], v[22:23] neg_lo:[0,1] neg_hi:[0,1]
	s_delay_alu instid0(VALU_DEP_1) | instskip(NEXT) | instid1(VALU_DEP_1)
	v_add_f32_e32 v15, v15, v21
	v_add_f32_e32 v15, v20, v15
	v_sub_f32_e32 v20, v30, v31
	s_delay_alu instid0(VALU_DEP_1) | instskip(NEXT) | instid1(VALU_DEP_1)
	v_dual_add_f32 v15, v29, v15 :: v_dual_sub_f32 v20, v27, v20
	v_mul_f32_e32 v15, v19, v15
	s_delay_alu instid0(VALU_DEP_1) | instskip(SKIP_1) | instid1(VALU_DEP_2)
	v_add_f32_e32 v19, v20, v15
	v_cvt_f32_i32_e32 v20, v6
	v_add_f32_e32 v27, v30, v19
	s_delay_alu instid0(VALU_DEP_1) | instskip(SKIP_1) | instid1(VALU_DEP_2)
	v_mul_f32_e32 v15, v27, v27
	v_ldexp_f32 v29, v27, 1
	v_dual_fmaak_f32 v22, s10, v15, 0x3ecc95a3 :: v_dual_mul_f32 v21, v27, v15
	s_delay_alu instid0(VALU_DEP_1) | instskip(NEXT) | instid1(VALU_DEP_1)
	v_fmaak_f32 v15, v15, v22, 0x3f2aaada
	v_pk_mul_f32 v[22:23], v[20:21], v[14:15]
	s_delay_alu instid0(VALU_DEP_1) | instskip(NEXT) | instid1(VALU_DEP_1)
	v_fma_f32 v28, 0x3f317218, v20, -v22
	v_fmac_f32_e32 v28, 0xb102e308, v20
	s_delay_alu instid0(VALU_DEP_1) | instskip(NEXT) | instid1(VALU_DEP_1)
	v_pk_add_f32 v[20:21], v[22:23], v[28:29]
	v_dual_sub_f32 v15, v21, v29 :: v_dual_sub_f32 v6, v27, v30
	s_delay_alu instid0(VALU_DEP_2) | instskip(NEXT) | instid1(VALU_DEP_2)
	v_dual_mov_b32 v29, v20 :: v_dual_mov_b32 v30, v22
	v_dual_mov_b32 v38, v21 :: v_dual_sub_f32 v15, v23, v15
	s_delay_alu instid0(VALU_DEP_3) | instskip(SKIP_1) | instid1(VALU_DEP_2)
	v_sub_f32_e32 v6, v19, v6
	v_pk_add_f32 v[22:23], v[20:21], v[22:23] neg_lo:[0,1] neg_hi:[0,1]
	v_ldexp_f32 v6, v6, 1
	s_delay_alu instid0(VALU_DEP_1) | instskip(SKIP_2) | instid1(VALU_DEP_1)
	v_add_f32_e32 v31, v6, v15
	v_max_num_f32_e64 v6, |v9|, |v9|
	v_max_num_f32_e64 v15, |v8|, |v8|
	v_max_num_f32_e32 v19, v15, v6
	s_delay_alu instid0(VALU_DEP_4) | instskip(NEXT) | instid1(VALU_DEP_2)
	v_pk_add_f32 v[32:33], v[20:21], v[30:31]
	v_frexp_exp_i32_f32_e32 v27, v19
	s_delay_alu instid0(VALU_DEP_2) | instskip(SKIP_1) | instid1(VALU_DEP_2)
	v_dual_mov_b32 v23, v33 :: v_dual_min_num_f32 v15, v15, v6
	v_frexp_mant_f32_e32 v19, v19
	v_pk_add_f32 v[34:35], v[28:29], v[22:23]
	s_delay_alu instid0(VALU_DEP_3) | instskip(SKIP_1) | instid1(VALU_DEP_4)
	v_frexp_exp_i32_f32_e32 v30, v15
	v_pk_add_f32 v[22:23], v[28:29], v[22:23] neg_lo:[0,1] neg_hi:[0,1]
	v_rcp_f32_e32 v19, v19
	s_delay_alu instid0(VALU_DEP_2) | instskip(SKIP_2) | instid1(VALU_DEP_3)
	v_dual_mov_b32 v6, v35 :: v_dual_sub_nc_u32 v27, v30, v27
	v_frexp_mant_f32_e32 v40, v15
	v_mov_b32_e32 v23, v35
	v_pk_add_f32 v[36:37], v[6:7], v[20:21] neg_lo:[0,1] neg_hi:[0,1]
	v_dual_mov_b32 v34, v33 :: v_dual_mov_b32 v21, v20
	s_delay_alu instid0(VALU_DEP_2) | instskip(SKIP_1) | instid1(VALU_DEP_2)
	v_dual_mov_b32 v20, v31 :: v_dual_mov_b32 v39, v36
	v_mov_b32_e32 v15, v36
	v_pk_add_f32 v[28:29], v[34:35], v[38:39] neg_lo:[0,1] neg_hi:[0,1]
	s_delay_alu instid0(VALU_DEP_2) | instskip(SKIP_1) | instid1(VALU_DEP_3)
	v_pk_add_f32 v[30:31], v[32:33], v[14:15] neg_lo:[0,1] neg_hi:[0,1]
	v_mov_b32_e32 v30, v22
	v_pk_add_f32 v[20:21], v[20:21], v[28:29] neg_lo:[0,1] neg_hi:[0,1]
	s_delay_alu instid0(VALU_DEP_1) | instskip(NEXT) | instid1(VALU_DEP_1)
	v_pk_add_f32 v[28:29], v[30:31], v[20:21]
	v_dual_mul_f32 v19, v40, v19 :: v_dual_mov_b32 v30, v29
	s_delay_alu instid0(VALU_DEP_1) | instskip(NEXT) | instid1(VALU_DEP_2)
	v_ldexp_f32 v15, v19, v27
	v_pk_add_f32 v[30:31], v[28:29], v[30:31]
	s_delay_alu instid0(VALU_DEP_1) | instskip(NEXT) | instid1(VALU_DEP_1)
	v_pk_add_f32 v[32:33], v[6:7], v[30:31]
	v_dual_mul_f32 v19, v15, v15 :: v_dual_mov_b32 v29, v32
	s_delay_alu instid0(VALU_DEP_1) | instskip(NEXT) | instid1(VALU_DEP_1)
	v_pk_add_f32 v[34:35], v[28:29], v[22:23] neg_lo:[0,1] neg_hi:[0,1]
	v_sub_f32_e32 v23, v28, v34
	s_delay_alu instid0(VALU_DEP_1) | instskip(NEXT) | instid1(VALU_DEP_4)
	v_sub_f32_e32 v22, v22, v23
	v_fmaak_f32 v21, s11, v19, 0xbc7a590c
	s_delay_alu instid0(VALU_DEP_1) | instskip(NEXT) | instid1(VALU_DEP_1)
	v_fmaak_f32 v21, v19, v21, 0x3d29fb3f
	v_dual_fmaak_f32 v6, v19, v21, 0xbd97d4d7 :: v_dual_mov_b32 v21, v30
	s_delay_alu instid0(VALU_DEP_1) | instskip(NEXT) | instid1(VALU_DEP_2)
	v_fmaak_f32 v6, v19, v6, 0x3dd931b2
	v_pk_add_f32 v[20:21], v[20:21], v[34:35] neg_lo:[0,1] neg_hi:[0,1]
	s_delay_alu instid0(VALU_DEP_2) | instskip(NEXT) | instid1(VALU_DEP_1)
	v_fmaak_f32 v6, v19, v6, 0xbe1160e6
	v_fmaak_f32 v6, v19, v6, 0x3e4cb8bf
	s_delay_alu instid0(VALU_DEP_1) | instskip(NEXT) | instid1(VALU_DEP_1)
	v_fmaak_f32 v6, v19, v6, 0xbeaaaa62
	v_mul_f32_e32 v6, v19, v6
	s_delay_alu instid0(VALU_DEP_1) | instskip(SKIP_1) | instid1(VALU_DEP_1)
	v_fmac_f32_e32 v15, v15, v6
	v_add_f32_e32 v20, v20, v22
	v_add_f32_e32 v19, v20, v21
	s_delay_alu instid0(VALU_DEP_1) | instskip(NEXT) | instid1(VALU_DEP_4)
	v_add_f32_e32 v6, v32, v19
	v_sub_f32_e32 v19, 0x3fc90fdb, v15
	s_delay_alu instid0(VALU_DEP_2) | instskip(SKIP_1) | instid1(VALU_DEP_3)
	v_cndmask_b32_e32 v6, 0x7f800000, v6, vcc_lo
	v_cmp_gt_i32_e32 vcc_lo, 0, v8
	v_cndmask_b32_e64 v15, v15, v19, s0
	v_cndmask_b32_e64 v19, 0, 0x40490fdb, vcc_lo
	v_cmp_ngt_f32_e32 vcc_lo, -1.0, v18
	s_delay_alu instid0(VALU_DEP_3) | instskip(SKIP_2) | instid1(VALU_DEP_2)
	v_sub_f32_e32 v20, 0x40490fdb, v15
	v_cndmask_b32_e32 v6, 0x7fc00000, v6, vcc_lo
	v_cmp_gt_f32_e32 vcc_lo, 0, v8
	v_cndmask_b32_e64 v6, 0xff800000, v6, s1
	s_delay_alu instid0(VALU_DEP_4)
	v_cndmask_b32_e32 v15, v15, v20, vcc_lo
	v_cndmask_b32_e32 v20, 0x3f490fdb, v24, vcc_lo
	v_cmp_gt_f32_e64 vcc_lo, 0x33800000, |v18|
	v_cmp_class_f32_e64 s1, v9, 0x204
	v_cndmask_b32_e32 v6, v6, v18, vcc_lo
	v_cmp_eq_f32_e32 vcc_lo, 0, v9
	s_delay_alu instid0(VALU_DEP_2) | instskip(SKIP_1) | instid1(VALU_DEP_1)
	v_dual_mul_f32 v6, 0.5, v6 :: v_dual_cndmask_b32 v15, v15, v19
	s_and_b32 vcc_lo, s3, s1
                                        ; implicit-def: $vgpr18_vgpr19
	v_cndmask_b32_e32 v27, v15, v20, vcc_lo
.LBB186_202:                            ;   in Loop: Header=BB186_162 Depth=1
	s_and_not1_saveexec_b32 s19, s2
	s_cbranch_execz .LBB186_210
; %bb.203:                              ;   in Loop: Header=BB186_162 Depth=1
	v_pk_mul_f32 v[20:21], v[18:19], v[18:19]
                                        ; implicit-def: $vgpr6
                                        ; implicit-def: $vgpr27
	s_mov_b32 s1, exec_lo
	s_delay_alu instid0(VALU_DEP_1) | instskip(NEXT) | instid1(VALU_DEP_1)
	v_add_f32_e32 v15, v21, v20
	v_cmpx_ge_f32_e32 0x3f333333, v15
	s_xor_b32 s2, exec_lo, s1
	s_cbranch_execz .LBB186_205
; %bb.204:                              ;   in Loop: Header=BB186_162 Depth=1
	v_max_num_f32_e64 v6, |v9|, |v9|
	v_max_num_f32_e64 v18, |v8|, |v8|
	v_cmp_gt_f32_e32 vcc_lo, 0x800000, v15
	v_cmp_gt_i32_e64 s1, 0, v8
	v_cmp_class_f32_e64 s3, v8, 0x204
	v_cmp_class_f32_e64 s4, v9, 0x204
	v_dual_max_num_f32 v19, v18, v6 :: v_dual_min_num_f32 v6, v18, v6
	v_cndmask_b32_e64 v21, 0, 0x41b17218, vcc_lo
	s_delay_alu instid0(VALU_DEP_2) | instskip(SKIP_1) | instid1(VALU_DEP_2)
	v_frexp_mant_f32_e32 v20, v19
	v_frexp_exp_i32_f32_e32 v18, v19
	v_rcp_f32_e32 v19, v20
	v_nop
	v_frexp_exp_i32_f32_e32 v20, v6
	v_frexp_mant_f32_e32 v6, v6
	s_delay_alu instid0(TRANS32_DEP_1) | instid1(VALU_DEP_1)
	v_dual_sub_nc_u32 v18, v20, v18 :: v_dual_mul_f32 v6, v6, v19
	v_cndmask_b32_e64 v20, 0, 32, vcc_lo
	s_delay_alu instid0(VALU_DEP_2) | instskip(NEXT) | instid1(VALU_DEP_2)
	v_ldexp_f32 v6, v6, v18
	v_ldexp_f32 v15, v15, v20
	s_delay_alu instid0(VALU_DEP_1) | instskip(NEXT) | instid1(VALU_DEP_2)
	v_log_f32_e32 v15, v15
	v_mul_f32_e32 v18, v6, v6
	s_delay_alu instid0(VALU_DEP_1) | instskip(NEXT) | instid1(TRANS32_DEP_1)
	v_fmaak_f32 v19, s11, v18, 0xbc7a590c
	v_cmp_gt_f32_e64 vcc_lo, 0x7f800000, |v15|
	s_delay_alu instid0(VALU_DEP_2) | instskip(NEXT) | instid1(VALU_DEP_1)
	v_fmaak_f32 v19, v18, v19, 0x3d29fb3f
	v_fmaak_f32 v19, v18, v19, 0xbd97d4d7
	s_delay_alu instid0(VALU_DEP_1) | instskip(NEXT) | instid1(VALU_DEP_1)
	v_fmaak_f32 v19, v18, v19, 0x3dd931b2
	v_fmaak_f32 v19, v18, v19, 0xbe1160e6
	s_delay_alu instid0(VALU_DEP_1) | instskip(NEXT) | instid1(VALU_DEP_1)
	;; [unrolled: 3-line block ×3, first 2 shown]
	v_mul_f32_e32 v18, v18, v19
	v_dual_mul_f32 v19, 0x3f317217, v15 :: v_dual_fmac_f32 v6, v6, v18
	s_delay_alu instid0(VALU_DEP_1) | instskip(NEXT) | instid1(VALU_DEP_2)
	v_fma_f32 v18, 0x3f317217, v15, -v19
	v_sub_f32_e32 v19, 0x3fc90fdb, v6
	s_delay_alu instid0(VALU_DEP_2) | instskip(NEXT) | instid1(VALU_DEP_1)
	v_fmac_f32_e32 v18, 0x3377d1cf, v15
	v_fmac_f32_e32 v18, 0x3f317217, v15
	s_delay_alu instid0(VALU_DEP_3) | instskip(SKIP_2) | instid1(VALU_DEP_4)
	v_cndmask_b32_e64 v6, v6, v19, s0
	v_cndmask_b32_e64 v19, 0, 0x40490fdb, s1
	v_cmp_eq_f32_e64 s1, 0, v9
	v_cndmask_b32_e32 v15, v15, v18, vcc_lo
	s_delay_alu instid0(VALU_DEP_4) | instskip(SKIP_1) | instid1(VALU_DEP_2)
	v_sub_f32_e32 v20, 0x40490fdb, v6
	v_cmp_gt_f32_e32 vcc_lo, 0, v8
	v_dual_sub_f32 v15, v15, v21 :: v_dual_cndmask_b32 v6, v6, v20
	s_delay_alu instid0(VALU_DEP_1) | instskip(NEXT) | instid1(VALU_DEP_2)
	v_cndmask_b32_e64 v18, v6, v19, s1
	v_dual_cndmask_b32 v19, 0x3f490fdb, v24 :: v_dual_mul_f32 v6, 0.5, v15
	s_and_b32 vcc_lo, s3, s4
	s_delay_alu instid0(VALU_DEP_1)
	v_cndmask_b32_e32 v27, v18, v19, vcc_lo
                                        ; implicit-def: $vgpr18
.LBB186_205:                            ;   in Loop: Header=BB186_162 Depth=1
	s_and_not1_saveexec_b32 s20, s2
	s_cbranch_execz .LBB186_209
; %bb.206:                              ;   in Loop: Header=BB186_162 Depth=1
	v_and_b32_e32 v21, 0x7fff0000, v18
	v_and_b32_e32 v20, 0x7fff0000, v19
	s_mov_b32 s21, 0
	s_delay_alu instid0(VALU_DEP_1) | instskip(SKIP_2) | instid1(VALU_DEP_2)
	v_dual_add_f32 v29, v21, v21 :: v_dual_add_f32 v15, v20, v20
	v_pk_add_f32 v[22:23], v[18:19], v[20:21] op_sel:[1,0] op_sel_hi:[0,1] neg_lo:[0,1] neg_hi:[0,1]
	v_pk_mul_f32 v[18:19], v[20:21], v[20:21]
	v_and_b32_e32 v31, 0xffff0000, v23
	s_delay_alu instid0(VALU_DEP_3) | instskip(NEXT) | instid1(VALU_DEP_1)
	v_and_b32_e32 v30, 0xffff0000, v22
	v_dual_add_f32 v33, v31, v31 :: v_dual_add_f32 v32, v30, v30
	v_pk_add_f32 v[20:21], v[22:23], v[30:31] neg_lo:[0,1] neg_hi:[0,1]
	v_dual_mul_f32 v6, v15, v30 :: v_dual_mul_f32 v28, v29, v31
	v_pk_mul_f32 v[22:23], v[30:31], v[30:31]
	s_delay_alu instid0(VALU_DEP_3)
	v_dual_mul_f32 v27, v15, v20 :: v_dual_mul_f32 v30, v29, v21
	v_dual_mul_f32 v15, v32, v20 :: v_dual_mul_f32 v29, v33, v21
	v_pk_mul_f32 v[20:21], v[20:21], v[20:21]
.LBB186_207:                            ;   Parent Loop BB186_162 Depth=1
                                        ; =>  This Inner Loop Header: Depth=2
	v_cmp_nlt_f32_e32 vcc_lo, v18, v19
	v_dual_cndmask_b32 v31, v18, v19 :: v_dual_cndmask_b32 v18, v19, v18
	s_delay_alu instid0(VALU_DEP_1) | instskip(NEXT) | instid1(VALU_DEP_1)
	v_cmp_nlt_f32_e64 s1, v31, v6
	v_dual_cndmask_b32 v32, v31, v6, s1 :: v_dual_cndmask_b32 v19, v6, v31, s1
	s_and_b32 s1, vcc_lo, s1
	s_delay_alu instid0(VALU_DEP_1) | instskip(NEXT) | instid1(VALU_DEP_1)
	v_cmp_nlt_f32_e64 s2, v32, v28
	v_cndmask_b32_e64 v33, v32, v28, s2
	v_cndmask_b32_e64 v6, v28, v32, s2
	s_delay_alu instid0(VALU_DEP_2) | instskip(NEXT) | instid1(VALU_DEP_1)
	v_cmp_nlt_f32_e64 s3, v33, v22
	v_cndmask_b32_e64 v31, v33, v22, s3
	s_and_b32 s22, s2, s3
	s_delay_alu instid0(VALU_DEP_1) | instskip(NEXT) | instid1(VALU_DEP_1)
	v_cmp_nlt_f32_e64 s4, v31, v23
	v_dual_cndmask_b32 v32, v31, v23, s4 :: v_dual_cndmask_b32 v28, v22, v33, s3
	v_cndmask_b32_e64 v22, v23, v31, s4
	s_delay_alu instid0(VALU_DEP_2) | instskip(NEXT) | instid1(VALU_DEP_1)
	v_cmp_nlt_f32_e64 s5, v32, v27
	v_cndmask_b32_e64 v34, v32, v27, s5
	s_and_b32 s4, s4, s5
	s_delay_alu instid0(VALU_DEP_1) | instskip(NEXT) | instid1(VALU_DEP_1)
	v_cmp_nlt_f32_e64 s6, v34, v30
	v_cndmask_b32_e64 v35, v34, v30, s6
	s_and_b32 s4, s4, s6
	s_delay_alu instid0(VALU_DEP_1) | instskip(NEXT) | instid1(VALU_DEP_1)
	v_cmp_nlt_f32_e64 s7, v35, v15
	v_cndmask_b32_e64 v33, v35, v15, s7
	v_dual_cndmask_b32 v23, v27, v32, s5 :: v_dual_cndmask_b32 v27, v30, v34, s6
	s_and_b32 s5, s4, s7
	v_cndmask_b32_e64 v30, v15, v35, s7
	s_delay_alu instid0(VALU_DEP_3) | instskip(NEXT) | instid1(VALU_DEP_1)
	v_cmp_nlt_f32_e64 s2, v33, v29
	v_cndmask_b32_e64 v31, v33, v29, s2
	v_cndmask_b32_e64 v15, v29, v33, s2
	s_and_b32 s2, s5, s2
	s_delay_alu instid0(VALU_DEP_2) | instskip(NEXT) | instid1(VALU_DEP_1)
	v_cmp_nlt_f32_e64 s3, v31, v20
	v_dual_cndmask_b32 v32, v31, v20, s3 :: v_dual_cndmask_b32 v29, v20, v31, s3
	s_and_b32 s2, s2, s3
	s_delay_alu instid0(VALU_DEP_1) | instskip(SKIP_3) | instid1(SALU_CYCLE_1)
	v_cmp_nlt_f32_e64 s4, v32, v21
	s_and_b32 s2, s2, s4
	v_dual_cndmask_b32 v20, v21, v32, s4 :: v_dual_cndmask_b32 v21, v32, v21, s4
	s_and_b32 s2, s2, s22
	s_and_b32 s1, s2, s1
	s_delay_alu instid0(SALU_CYCLE_1) | instskip(NEXT) | instid1(SALU_CYCLE_1)
	s_and_b32 s1, exec_lo, s1
	s_or_b32 s21, s1, s21
	s_delay_alu instid0(SALU_CYCLE_1)
	s_and_not1_b32 exec_lo, exec_lo, s21
	s_cbranch_execnz .LBB186_207
; %bb.208:                              ;   in Loop: Header=BB186_162 Depth=1
	s_or_b32 exec_lo, exec_lo, s21
	v_add_f32_e32 v18, -1.0, v18
	v_cmp_class_f32_e64 s2, v8, 0x204
	s_delay_alu instid0(VALU_DEP_2) | instskip(NEXT) | instid1(VALU_DEP_1)
	v_add_f32_e32 v18, v18, v19
	v_add_f32_e32 v6, v18, v6
	s_delay_alu instid0(VALU_DEP_1) | instskip(NEXT) | instid1(VALU_DEP_1)
	v_add_f32_e32 v6, v6, v28
	v_add_f32_e32 v6, v6, v22
	s_delay_alu instid0(VALU_DEP_1) | instskip(NEXT) | instid1(VALU_DEP_1)
	;; [unrolled: 3-line block ×5, first 2 shown]
	v_add_f32_e32 v18, v21, v6
	v_add_f32_e32 v21, 1.0, v18
	s_delay_alu instid0(VALU_DEP_1) | instskip(SKIP_2) | instid1(VALU_DEP_2)
	v_cvt_f64_f32_e32 v[22:23], v21
	v_frexp_mant_f32_e32 v15, v21
	v_add_f32_e32 v19, -1.0, v21
	v_cmp_gt_f32_e32 vcc_lo, 0x3f2aaaab, v15
	s_delay_alu instid0(VALU_DEP_2) | instskip(SKIP_1) | instid1(VALU_DEP_1)
	v_mov_b32_e32 v20, v19
	v_frexp_exp_i32_f64_e32 v6, v[22:23]
	v_subrev_co_ci_u32_e64 v6, null, 0, v6, vcc_lo
	s_delay_alu instid0(VALU_DEP_1) | instskip(NEXT) | instid1(VALU_DEP_4)
	v_sub_nc_u32_e32 v15, 0, v6
	v_pk_add_f32 v[22:23], v[18:19], v[20:21] neg_lo:[0,1] neg_hi:[0,1]
	v_cmp_neq_f32_e32 vcc_lo, 0x7f800000, v18
	v_cmp_neq_f32_e64 s1, -1.0, v18
	s_delay_alu instid0(VALU_DEP_4) | instskip(NEXT) | instid1(VALU_DEP_4)
	v_ldexp_f32 v19, v21, v15
	v_add_f32_e32 v20, 1.0, v23
	s_delay_alu instid0(VALU_DEP_2) | instskip(NEXT) | instid1(VALU_DEP_1)
	v_dual_add_f32 v23, 1.0, v19 :: v_dual_add_f32 v27, -1.0, v19
	v_dual_add_f32 v20, v22, v20 :: v_dual_add_f32 v21, -1.0, v23
	s_delay_alu instid0(VALU_DEP_1) | instskip(NEXT) | instid1(VALU_DEP_2)
	v_ldexp_f32 v15, v20, v15
	v_dual_sub_f32 v20, v19, v21 :: v_dual_add_f32 v21, 1.0, v27
	s_delay_alu instid0(VALU_DEP_1) | instskip(NEXT) | instid1(VALU_DEP_1)
	v_add_f32_e32 v20, v15, v20
	v_add_f32_e32 v30, v23, v20
	s_delay_alu instid0(VALU_DEP_1) | instskip(NEXT) | instid1(VALU_DEP_1)
	v_dual_sub_f32 v19, v19, v21 :: v_dual_sub_f32 v23, v30, v23
	v_add_f32_e32 v15, v15, v19
	v_rcp_f32_e32 v19, v30
	s_delay_alu instid0(VALU_DEP_1)
	v_add_f32_e32 v21, v27, v15
	s_delay_alu instid0(TRANS32_DEP_1) | instid1(VALU_DEP_1)
	v_mul_f32_e32 v31, v21, v19
	v_sub_f32_e32 v32, v20, v23
	s_delay_alu instid0(VALU_DEP_2) | instskip(NEXT) | instid1(VALU_DEP_1)
	v_mul_f32_e32 v22, v30, v31
	v_fma_f32 v28, v31, v30, -v22
	s_delay_alu instid0(VALU_DEP_1) | instskip(NEXT) | instid1(VALU_DEP_1)
	v_fmac_f32_e32 v28, v31, v32
	v_add_f32_e32 v20, v22, v28
	s_delay_alu instid0(VALU_DEP_1) | instskip(SKIP_1) | instid1(VALU_DEP_2)
	v_dual_mov_b32 v29, v20 :: v_dual_sub_f32 v23, v21, v20
	v_sub_f32_e32 v27, v21, v27
	v_pk_add_f32 v[20:21], v[20:21], v[22:23] neg_lo:[0,1] neg_hi:[0,1]
	s_delay_alu instid0(VALU_DEP_2) | instskip(NEXT) | instid1(VALU_DEP_2)
	v_sub_f32_e32 v15, v15, v27
	v_pk_add_f32 v[20:21], v[20:21], v[28:29] neg_lo:[0,1] neg_hi:[0,1]
	s_delay_alu instid0(VALU_DEP_1) | instskip(NEXT) | instid1(VALU_DEP_1)
	v_add_f32_e32 v15, v15, v21
	v_add_f32_e32 v15, v20, v15
	s_delay_alu instid0(VALU_DEP_1) | instskip(NEXT) | instid1(VALU_DEP_1)
	v_add_f32_e32 v21, v23, v15
	v_mul_f32_e32 v27, v19, v21
	s_delay_alu instid0(VALU_DEP_1) | instskip(NEXT) | instid1(VALU_DEP_1)
	v_mul_f32_e32 v28, v30, v27
	v_fma_f32 v22, v27, v30, -v28
	v_sub_f32_e32 v30, v23, v21
	s_delay_alu instid0(VALU_DEP_2) | instskip(NEXT) | instid1(VALU_DEP_2)
	v_fmac_f32_e32 v22, v27, v32
	v_add_f32_e32 v15, v15, v30
	s_delay_alu instid0(VALU_DEP_2) | instskip(NEXT) | instid1(VALU_DEP_1)
	v_dual_add_f32 v30, v31, v27 :: v_dual_add_f32 v20, v28, v22
	v_dual_mov_b32 v23, v20 :: v_dual_sub_f32 v29, v21, v20
	s_delay_alu instid0(VALU_DEP_1) | instskip(NEXT) | instid1(VALU_DEP_1)
	v_pk_add_f32 v[20:21], v[20:21], v[28:29] neg_lo:[0,1] neg_hi:[0,1]
	v_pk_add_f32 v[20:21], v[20:21], v[22:23] neg_lo:[0,1] neg_hi:[0,1]
	s_delay_alu instid0(VALU_DEP_1) | instskip(NEXT) | instid1(VALU_DEP_1)
	v_add_f32_e32 v15, v15, v21
	v_add_f32_e32 v15, v20, v15
	v_sub_f32_e32 v20, v30, v31
	s_delay_alu instid0(VALU_DEP_1) | instskip(NEXT) | instid1(VALU_DEP_1)
	v_dual_add_f32 v15, v29, v15 :: v_dual_sub_f32 v20, v27, v20
	v_mul_f32_e32 v15, v19, v15
	s_delay_alu instid0(VALU_DEP_1) | instskip(SKIP_1) | instid1(VALU_DEP_2)
	v_add_f32_e32 v19, v20, v15
	v_cvt_f32_i32_e32 v20, v6
	v_add_f32_e32 v27, v30, v19
	s_delay_alu instid0(VALU_DEP_1) | instskip(SKIP_1) | instid1(VALU_DEP_2)
	v_mul_f32_e32 v15, v27, v27
	v_ldexp_f32 v29, v27, 1
	v_dual_fmaak_f32 v22, s10, v15, 0x3ecc95a3 :: v_dual_mul_f32 v21, v27, v15
	s_delay_alu instid0(VALU_DEP_1) | instskip(NEXT) | instid1(VALU_DEP_1)
	v_fmaak_f32 v15, v15, v22, 0x3f2aaada
	v_pk_mul_f32 v[22:23], v[20:21], v[14:15]
	s_delay_alu instid0(VALU_DEP_1) | instskip(NEXT) | instid1(VALU_DEP_1)
	v_fma_f32 v28, 0x3f317218, v20, -v22
	v_fmac_f32_e32 v28, 0xb102e308, v20
	s_delay_alu instid0(VALU_DEP_1) | instskip(NEXT) | instid1(VALU_DEP_1)
	v_pk_add_f32 v[20:21], v[22:23], v[28:29]
	v_dual_sub_f32 v15, v21, v29 :: v_dual_sub_f32 v6, v27, v30
	s_delay_alu instid0(VALU_DEP_2) | instskip(NEXT) | instid1(VALU_DEP_2)
	v_dual_mov_b32 v29, v20 :: v_dual_mov_b32 v30, v22
	v_dual_mov_b32 v38, v21 :: v_dual_sub_f32 v15, v23, v15
	s_delay_alu instid0(VALU_DEP_3) | instskip(SKIP_1) | instid1(VALU_DEP_2)
	v_sub_f32_e32 v6, v19, v6
	v_pk_add_f32 v[22:23], v[20:21], v[22:23] neg_lo:[0,1] neg_hi:[0,1]
	v_ldexp_f32 v6, v6, 1
	s_delay_alu instid0(VALU_DEP_1) | instskip(SKIP_2) | instid1(VALU_DEP_1)
	v_add_f32_e32 v31, v6, v15
	v_max_num_f32_e64 v6, |v9|, |v9|
	v_max_num_f32_e64 v15, |v8|, |v8|
	v_max_num_f32_e32 v19, v15, v6
	s_delay_alu instid0(VALU_DEP_4) | instskip(NEXT) | instid1(VALU_DEP_2)
	v_pk_add_f32 v[32:33], v[20:21], v[30:31]
	v_frexp_exp_i32_f32_e32 v27, v19
	s_delay_alu instid0(VALU_DEP_2) | instskip(SKIP_1) | instid1(VALU_DEP_2)
	v_dual_mov_b32 v23, v33 :: v_dual_min_num_f32 v15, v15, v6
	v_frexp_mant_f32_e32 v19, v19
	v_pk_add_f32 v[34:35], v[28:29], v[22:23]
	s_delay_alu instid0(VALU_DEP_3) | instskip(SKIP_1) | instid1(VALU_DEP_4)
	v_frexp_exp_i32_f32_e32 v30, v15
	v_pk_add_f32 v[22:23], v[28:29], v[22:23] neg_lo:[0,1] neg_hi:[0,1]
	v_rcp_f32_e32 v19, v19
	s_delay_alu instid0(VALU_DEP_2) | instskip(SKIP_2) | instid1(VALU_DEP_3)
	v_dual_mov_b32 v6, v35 :: v_dual_sub_nc_u32 v27, v30, v27
	v_frexp_mant_f32_e32 v40, v15
	v_mov_b32_e32 v23, v35
	v_pk_add_f32 v[36:37], v[6:7], v[20:21] neg_lo:[0,1] neg_hi:[0,1]
	v_dual_mov_b32 v34, v33 :: v_dual_mov_b32 v21, v20
	s_delay_alu instid0(VALU_DEP_2) | instskip(SKIP_1) | instid1(VALU_DEP_2)
	v_dual_mov_b32 v20, v31 :: v_dual_mov_b32 v39, v36
	v_mov_b32_e32 v15, v36
	v_pk_add_f32 v[28:29], v[34:35], v[38:39] neg_lo:[0,1] neg_hi:[0,1]
	s_delay_alu instid0(VALU_DEP_2) | instskip(SKIP_1) | instid1(VALU_DEP_3)
	v_pk_add_f32 v[30:31], v[32:33], v[14:15] neg_lo:[0,1] neg_hi:[0,1]
	v_mov_b32_e32 v30, v22
	v_pk_add_f32 v[20:21], v[20:21], v[28:29] neg_lo:[0,1] neg_hi:[0,1]
	s_delay_alu instid0(VALU_DEP_1) | instskip(NEXT) | instid1(VALU_DEP_1)
	v_pk_add_f32 v[28:29], v[30:31], v[20:21]
	v_dual_mul_f32 v19, v40, v19 :: v_dual_mov_b32 v30, v29
	s_delay_alu instid0(VALU_DEP_1) | instskip(NEXT) | instid1(VALU_DEP_2)
	v_ldexp_f32 v15, v19, v27
	v_pk_add_f32 v[30:31], v[28:29], v[30:31]
	s_delay_alu instid0(VALU_DEP_1) | instskip(NEXT) | instid1(VALU_DEP_1)
	v_pk_add_f32 v[32:33], v[6:7], v[30:31]
	v_dual_mul_f32 v19, v15, v15 :: v_dual_mov_b32 v29, v32
	s_delay_alu instid0(VALU_DEP_1) | instskip(NEXT) | instid1(VALU_DEP_1)
	v_pk_add_f32 v[34:35], v[28:29], v[22:23] neg_lo:[0,1] neg_hi:[0,1]
	v_sub_f32_e32 v23, v28, v34
	s_delay_alu instid0(VALU_DEP_1) | instskip(NEXT) | instid1(VALU_DEP_4)
	v_sub_f32_e32 v22, v22, v23
	v_fmaak_f32 v21, s11, v19, 0xbc7a590c
	s_delay_alu instid0(VALU_DEP_1) | instskip(NEXT) | instid1(VALU_DEP_1)
	v_fmaak_f32 v21, v19, v21, 0x3d29fb3f
	v_dual_fmaak_f32 v6, v19, v21, 0xbd97d4d7 :: v_dual_mov_b32 v21, v30
	s_delay_alu instid0(VALU_DEP_1) | instskip(NEXT) | instid1(VALU_DEP_2)
	v_fmaak_f32 v6, v19, v6, 0x3dd931b2
	v_pk_add_f32 v[20:21], v[20:21], v[34:35] neg_lo:[0,1] neg_hi:[0,1]
	s_delay_alu instid0(VALU_DEP_2) | instskip(NEXT) | instid1(VALU_DEP_1)
	v_fmaak_f32 v6, v19, v6, 0xbe1160e6
	v_fmaak_f32 v6, v19, v6, 0x3e4cb8bf
	s_delay_alu instid0(VALU_DEP_1) | instskip(NEXT) | instid1(VALU_DEP_1)
	v_fmaak_f32 v6, v19, v6, 0xbeaaaa62
	v_mul_f32_e32 v6, v19, v6
	s_delay_alu instid0(VALU_DEP_1) | instskip(SKIP_1) | instid1(VALU_DEP_1)
	v_fmac_f32_e32 v15, v15, v6
	v_add_f32_e32 v20, v20, v22
	v_add_f32_e32 v19, v20, v21
	s_delay_alu instid0(VALU_DEP_1) | instskip(NEXT) | instid1(VALU_DEP_4)
	v_add_f32_e32 v6, v32, v19
	v_sub_f32_e32 v19, 0x3fc90fdb, v15
	s_delay_alu instid0(VALU_DEP_2) | instskip(SKIP_1) | instid1(VALU_DEP_3)
	v_cndmask_b32_e32 v6, 0x7f800000, v6, vcc_lo
	v_cmp_gt_i32_e32 vcc_lo, 0, v8
	v_cndmask_b32_e64 v15, v15, v19, s0
	v_cndmask_b32_e64 v19, 0, 0x40490fdb, vcc_lo
	v_cmp_ngt_f32_e32 vcc_lo, -1.0, v18
	s_delay_alu instid0(VALU_DEP_3) | instskip(SKIP_2) | instid1(VALU_DEP_2)
	v_sub_f32_e32 v20, 0x40490fdb, v15
	v_cndmask_b32_e32 v6, 0x7fc00000, v6, vcc_lo
	v_cmp_gt_f32_e32 vcc_lo, 0, v8
	v_cndmask_b32_e64 v6, 0xff800000, v6, s1
	s_delay_alu instid0(VALU_DEP_4)
	v_cndmask_b32_e32 v15, v15, v20, vcc_lo
	v_cndmask_b32_e32 v20, 0x3f490fdb, v24, vcc_lo
	v_cmp_gt_f32_e64 vcc_lo, 0x33800000, |v18|
	v_cmp_class_f32_e64 s1, v9, 0x204
	v_cndmask_b32_e32 v6, v6, v18, vcc_lo
	v_cmp_eq_f32_e32 vcc_lo, 0, v9
	s_delay_alu instid0(VALU_DEP_2) | instskip(SKIP_1) | instid1(VALU_DEP_1)
	v_dual_mul_f32 v6, 0.5, v6 :: v_dual_cndmask_b32 v15, v15, v19
	s_and_b32 vcc_lo, s2, s1
	v_cndmask_b32_e32 v27, v15, v20, vcc_lo
.LBB186_209:                            ;   in Loop: Header=BB186_162 Depth=1
	s_or_b32 exec_lo, exec_lo, s20
.LBB186_210:                            ;   in Loop: Header=BB186_162 Depth=1
	s_delay_alu instid0(SALU_CYCLE_1)
	s_or_b32 exec_lo, exec_lo, s19
.LBB186_211:                            ;   in Loop: Header=BB186_162 Depth=1
	s_and_not1_saveexec_b32 s2, s18
	s_cbranch_execz .LBB186_213
; %bb.212:                              ;   in Loop: Header=BB186_162 Depth=1
	v_max_num_f32_e64 v6, |v9|, |v9|
	v_max_num_f32_e64 v15, |v8|, |v8|
	v_cmp_gt_i32_e64 s1, 0, v8
	v_cmp_class_f32_e64 s3, v8, 0x204
	v_cmp_class_f32_e64 s4, v9, 0x204
	s_delay_alu instid0(VALU_DEP_4) | instskip(NEXT) | instid1(VALU_DEP_1)
	v_dual_max_num_f32 v20, v15, v6 :: v_dual_min_num_f32 v6, v15, v6
	v_cvt_f64_f32_e32 v[18:19], v20
	v_frexp_exp_i32_f32_e32 v15, v20
	s_delay_alu instid0(VALU_DEP_3) | instskip(SKIP_2) | instid1(VALU_DEP_3)
	v_frexp_exp_i32_f32_e32 v21, v6
	v_frexp_mant_f32_e32 v6, v6
	v_cmp_neq_f32_e32 vcc_lo, 0x7f800000, v20
	v_sub_nc_u32_e32 v15, v21, v15
	v_frexp_exp_i32_f64_e32 v18, v[18:19]
	v_frexp_mant_f32_e32 v19, v20
	s_delay_alu instid0(VALU_DEP_1) | instskip(SKIP_1) | instid1(TRANS32_DEP_1)
	v_rcp_f32_e32 v19, v19
	v_nop
	v_mul_f32_e32 v6, v6, v19
	s_delay_alu instid0(VALU_DEP_1) | instskip(NEXT) | instid1(VALU_DEP_1)
	v_ldexp_f32 v6, v6, v15
	v_mul_f32_e32 v19, v6, v6
	v_sub_nc_u32_e32 v15, 0, v18
	s_delay_alu instid0(VALU_DEP_1) | instskip(NEXT) | instid1(VALU_DEP_3)
	v_ldexp_f32 v21, |v9|, v15
	v_fmaak_f32 v22, s11, v19, 0xbc7a590c
	v_ldexp_f32 v15, |v8|, v15
	s_delay_alu instid0(VALU_DEP_2) | instskip(NEXT) | instid1(VALU_DEP_1)
	v_dual_mul_f32 v21, v21, v21 :: v_dual_fmaak_f32 v22, v19, v22, 0x3d29fb3f
	v_fmac_f32_e32 v21, v15, v15
	s_delay_alu instid0(VALU_DEP_2) | instskip(NEXT) | instid1(VALU_DEP_2)
	v_fmaak_f32 v15, v19, v22, 0xbd97d4d7
	v_sqrt_f32_e32 v21, v21
	s_delay_alu instid0(VALU_DEP_1) | instskip(NEXT) | instid1(VALU_DEP_1)
	v_fmaak_f32 v15, v19, v15, 0x3dd931b2
	v_fmaak_f32 v15, v19, v15, 0xbe1160e6
	s_delay_alu instid0(TRANS32_DEP_1) | instskip(NEXT) | instid1(VALU_DEP_2)
	v_ldexp_f32 v18, v21, v18
	v_fmaak_f32 v15, v19, v15, 0x3e4cb8bf
	s_delay_alu instid0(VALU_DEP_2) | instskip(NEXT) | instid1(VALU_DEP_2)
	v_cndmask_b32_e32 v18, 0x7f800000, v18, vcc_lo
	v_fmaak_f32 v15, v19, v15, 0xbeaaaa62
	s_delay_alu instid0(VALU_DEP_2) | instskip(NEXT) | instid1(VALU_DEP_2)
	v_cmp_gt_f32_e32 vcc_lo, 0x800000, v18
	v_mul_f32_e32 v15, v19, v15
	v_cndmask_b32_e64 v20, 0, 32, vcc_lo
	v_cndmask_b32_e64 v21, 0, 0x41b17218, vcc_lo
	s_delay_alu instid0(VALU_DEP_2) | instskip(NEXT) | instid1(VALU_DEP_1)
	v_ldexp_f32 v18, v18, v20
	v_log_f32_e32 v18, v18
	v_nop
	s_delay_alu instid0(TRANS32_DEP_1) | instskip(SKIP_1) | instid1(VALU_DEP_2)
	v_dual_fmac_f32 v6, v6, v15 :: v_dual_mul_f32 v15, 0x3f317217, v18
	v_cmp_gt_f32_e64 vcc_lo, 0x7f800000, |v18|
	v_fma_f32 v15, 0x3f317217, v18, -v15
	s_delay_alu instid0(VALU_DEP_1) | instskip(NEXT) | instid1(VALU_DEP_1)
	v_fmac_f32_e32 v15, 0x3377d1cf, v18
	v_fmac_f32_e32 v15, 0x3f317217, v18
	s_delay_alu instid0(VALU_DEP_1) | instskip(SKIP_2) | instid1(VALU_DEP_2)
	v_cndmask_b32_e32 v15, v18, v15, vcc_lo
	v_sub_f32_e32 v19, 0x3fc90fdb, v6
	v_cmp_eq_f32_e32 vcc_lo, 0, v9
	v_cndmask_b32_e64 v6, v6, v19, s0
	v_cndmask_b32_e64 v19, 0, 0x40490fdb, s1
	v_cmp_gt_f32_e64 s1, 0, v8
	s_delay_alu instid0(VALU_DEP_3) | instskip(NEXT) | instid1(VALU_DEP_1)
	v_sub_f32_e32 v20, 0x40490fdb, v6
	v_cndmask_b32_e64 v6, v6, v20, s1
	v_cndmask_b32_e64 v20, 0x3f490fdb, v24, s1
	s_delay_alu instid0(VALU_DEP_2) | instskip(SKIP_1) | instid1(VALU_DEP_1)
	v_cndmask_b32_e32 v18, v6, v19, vcc_lo
	s_and_b32 vcc_lo, s3, s4
	v_dual_cndmask_b32 v27, v18, v20 :: v_dual_sub_f32 v6, v15, v21
.LBB186_213:                            ;   in Loop: Header=BB186_162 Depth=1
	s_or_b32 exec_lo, exec_lo, s2
                                        ; implicit-def: $vgpr18
.LBB186_214:                            ;   in Loop: Header=BB186_162 Depth=1
	s_and_not1_saveexec_b32 s2, s17
	s_cbranch_execz .LBB186_220
; %bb.215:                              ;   in Loop: Header=BB186_162 Depth=1
                                        ; implicit-def: $vgpr6
                                        ; implicit-def: $vgpr27
	s_mov_b32 s1, exec_lo
	v_cmpx_ngt_f32_e32 0x1fec1e4a, v18
	s_xor_b32 s3, exec_lo, s1
	s_cbranch_execz .LBB186_217
; %bb.216:                              ;   in Loop: Header=BB186_162 Depth=1
	v_pk_mul_f32 v[18:19], v[18:19], v[18:19]
	v_cmp_class_f32_e64 s4, v8, 0x204
	s_delay_alu instid0(VALU_DEP_2) | instskip(SKIP_1) | instid1(VALU_DEP_2)
	v_add_f32_e32 v21, 1.0, v18
	v_cmp_neq_f32_e64 s1, 0x7f800000, v18
	v_add_f32_e32 v19, -1.0, v21
	s_delay_alu instid0(VALU_DEP_1) | instskip(SKIP_2) | instid1(VALU_DEP_1)
	v_mov_b32_e32 v20, v19
	v_cvt_f64_f32_e32 v[22:23], v21
	v_frexp_mant_f32_e32 v15, v21
	v_cmp_gt_f32_e32 vcc_lo, 0x3f2aaaab, v15
	s_delay_alu instid0(VALU_DEP_3) | instskip(NEXT) | instid1(VALU_DEP_1)
	v_frexp_exp_i32_f64_e32 v6, v[22:23]
	v_subrev_co_ci_u32_e64 v6, null, 0, v6, vcc_lo
	v_cmp_gt_i32_e32 vcc_lo, 0, v8
	s_delay_alu instid0(VALU_DEP_2) | instskip(SKIP_1) | instid1(VALU_DEP_2)
	v_sub_nc_u32_e32 v15, 0, v6
	v_pk_add_f32 v[22:23], v[18:19], v[20:21] neg_lo:[0,1] neg_hi:[0,1]
	v_ldexp_f32 v19, v21, v15
	s_delay_alu instid0(VALU_DEP_2) | instskip(NEXT) | instid1(VALU_DEP_2)
	v_add_f32_e32 v20, 1.0, v23
	v_add_f32_e32 v23, 1.0, v19
	s_delay_alu instid0(VALU_DEP_1) | instskip(SKIP_1) | instid1(VALU_DEP_2)
	v_dual_add_f32 v21, -1.0, v23 :: v_dual_add_f32 v20, v22, v20
	v_add_f32_e32 v27, -1.0, v19
	v_ldexp_f32 v15, v20, v15
	s_delay_alu instid0(VALU_DEP_2) | instskip(NEXT) | instid1(VALU_DEP_1)
	v_dual_sub_f32 v20, v19, v21 :: v_dual_add_f32 v21, 1.0, v27
	v_add_f32_e32 v20, v15, v20
	s_delay_alu instid0(VALU_DEP_1) | instskip(NEXT) | instid1(VALU_DEP_3)
	v_add_f32_e32 v30, v23, v20
	v_sub_f32_e32 v19, v19, v21
	s_delay_alu instid0(VALU_DEP_1) | instskip(NEXT) | instid1(VALU_DEP_3)
	v_add_f32_e32 v15, v15, v19
	v_rcp_f32_e32 v19, v30
	s_delay_alu instid0(VALU_DEP_1)
	v_add_f32_e32 v21, v27, v15
	s_delay_alu instid0(TRANS32_DEP_1) | instid1(VALU_DEP_1)
	v_dual_mul_f32 v31, v21, v19 :: v_dual_sub_f32 v23, v23, v30
	s_delay_alu instid0(VALU_DEP_1) | instskip(NEXT) | instid1(VALU_DEP_1)
	v_mul_f32_e32 v22, v30, v31
	v_dual_add_f32 v32, v20, v23 :: v_dual_fma_f32 v28, v31, v30, -v22
	s_delay_alu instid0(VALU_DEP_1) | instskip(NEXT) | instid1(VALU_DEP_1)
	v_fmac_f32_e32 v28, v31, v32
	v_add_f32_e32 v20, v22, v28
	s_delay_alu instid0(VALU_DEP_1) | instskip(SKIP_1) | instid1(VALU_DEP_2)
	v_dual_mov_b32 v29, v20 :: v_dual_sub_f32 v23, v21, v20
	v_sub_f32_e32 v27, v27, v21
	v_pk_add_f32 v[20:21], v[20:21], v[22:23] neg_lo:[0,1] neg_hi:[0,1]
	s_delay_alu instid0(VALU_DEP_2) | instskip(NEXT) | instid1(VALU_DEP_2)
	v_add_f32_e32 v15, v15, v27
	v_pk_add_f32 v[20:21], v[20:21], v[28:29] neg_lo:[0,1] neg_hi:[0,1]
	s_delay_alu instid0(VALU_DEP_1) | instskip(NEXT) | instid1(VALU_DEP_1)
	v_add_f32_e32 v15, v15, v21
	v_add_f32_e32 v15, v20, v15
	s_delay_alu instid0(VALU_DEP_1) | instskip(NEXT) | instid1(VALU_DEP_1)
	v_add_f32_e32 v21, v23, v15
	v_mul_f32_e32 v27, v19, v21
	s_delay_alu instid0(VALU_DEP_1) | instskip(NEXT) | instid1(VALU_DEP_1)
	v_mul_f32_e32 v28, v30, v27
	v_fma_f32 v22, v27, v30, -v28
	v_sub_f32_e32 v30, v23, v21
	s_delay_alu instid0(VALU_DEP_2) | instskip(NEXT) | instid1(VALU_DEP_2)
	v_fmac_f32_e32 v22, v27, v32
	v_add_f32_e32 v15, v15, v30
	s_delay_alu instid0(VALU_DEP_2) | instskip(NEXT) | instid1(VALU_DEP_1)
	v_add_f32_e32 v20, v28, v22
	v_dual_sub_f32 v29, v21, v20 :: v_dual_mov_b32 v23, v20
	v_add_f32_e32 v30, v31, v27
	s_delay_alu instid0(VALU_DEP_2) | instskip(NEXT) | instid1(VALU_DEP_1)
	v_pk_add_f32 v[20:21], v[20:21], v[28:29] neg_lo:[0,1] neg_hi:[0,1]
	v_pk_add_f32 v[20:21], v[20:21], v[22:23] neg_lo:[0,1] neg_hi:[0,1]
	s_delay_alu instid0(VALU_DEP_1) | instskip(NEXT) | instid1(VALU_DEP_1)
	v_add_f32_e32 v15, v15, v21
	v_add_f32_e32 v15, v20, v15
	v_sub_f32_e32 v20, v30, v31
	s_delay_alu instid0(VALU_DEP_1) | instskip(NEXT) | instid1(VALU_DEP_1)
	v_dual_add_f32 v15, v29, v15 :: v_dual_sub_f32 v20, v27, v20
	v_mul_f32_e32 v15, v19, v15
	s_delay_alu instid0(VALU_DEP_1) | instskip(SKIP_1) | instid1(VALU_DEP_2)
	v_add_f32_e32 v19, v20, v15
	v_cvt_f32_i32_e32 v20, v6
	v_add_f32_e32 v27, v30, v19
	s_delay_alu instid0(VALU_DEP_1) | instskip(SKIP_1) | instid1(VALU_DEP_2)
	v_mul_f32_e32 v15, v27, v27
	v_ldexp_f32 v29, v27, 1
	v_dual_fmaak_f32 v22, s10, v15, 0x3ecc95a3 :: v_dual_mul_f32 v21, v27, v15
	s_delay_alu instid0(VALU_DEP_1) | instskip(NEXT) | instid1(VALU_DEP_1)
	v_fmaak_f32 v15, v15, v22, 0x3f2aaada
	v_pk_mul_f32 v[22:23], v[20:21], v[14:15]
	s_delay_alu instid0(VALU_DEP_1) | instskip(NEXT) | instid1(VALU_DEP_1)
	v_fma_f32 v28, 0x3f317218, v20, -v22
	v_fmac_f32_e32 v28, 0xb102e308, v20
	s_delay_alu instid0(VALU_DEP_1) | instskip(NEXT) | instid1(VALU_DEP_1)
	v_pk_add_f32 v[20:21], v[22:23], v[28:29]
	v_dual_sub_f32 v15, v21, v29 :: v_dual_sub_f32 v6, v27, v30
	s_delay_alu instid0(VALU_DEP_2) | instskip(SKIP_1) | instid1(VALU_DEP_3)
	v_dual_mov_b32 v29, v20 :: v_dual_mov_b32 v30, v22
	v_max_num_f32_e64 v27, |v8|, |v8|
	v_sub_f32_e32 v15, v23, v15
	s_delay_alu instid0(VALU_DEP_4) | instskip(SKIP_3) | instid1(VALU_DEP_4)
	v_sub_f32_e32 v6, v19, v6
	v_max_num_f32_e64 v19, |v9|, |v9|
	v_pk_add_f32 v[22:23], v[20:21], v[22:23] neg_lo:[0,1] neg_hi:[0,1]
	v_mov_b32_e32 v38, v21
	v_ldexp_f32 v6, v6, 1
	s_delay_alu instid0(VALU_DEP_1) | instskip(SKIP_1) | instid1(VALU_DEP_2)
	v_add_f32_e32 v31, v6, v15
	v_dual_max_num_f32 v6, v27, v19 :: v_dual_min_num_f32 v19, v27, v19
	v_pk_add_f32 v[32:33], v[20:21], v[30:31]
	s_delay_alu instid0(VALU_DEP_2) | instskip(SKIP_1) | instid1(VALU_DEP_4)
	v_frexp_mant_f32_e32 v15, v6
	v_frexp_exp_i32_f32_e32 v27, v6
	v_frexp_exp_i32_f32_e32 v30, v19
	v_frexp_mant_f32_e32 v19, v19
	v_mov_b32_e32 v23, v33
	v_rcp_f32_e32 v15, v15
	s_delay_alu instid0(VALU_DEP_3) | instskip(NEXT) | instid1(VALU_DEP_2)
	v_sub_nc_u32_e32 v27, v30, v27
	v_pk_add_f32 v[34:35], v[28:29], v[22:23]
	v_mov_b32_e32 v34, v33
	v_pk_add_f32 v[22:23], v[28:29], v[22:23] neg_lo:[0,1] neg_hi:[0,1]
	s_delay_alu instid0(TRANS32_DEP_1) | instskip(NEXT) | instid1(VALU_DEP_4)
	v_mul_f32_e32 v15, v19, v15
	v_mov_b32_e32 v6, v35
	s_delay_alu instid0(VALU_DEP_2) | instskip(NEXT) | instid1(VALU_DEP_2)
	v_ldexp_f32 v19, v15, v27
	v_pk_add_f32 v[36:37], v[6:7], v[20:21] neg_lo:[0,1] neg_hi:[0,1]
	v_dual_mov_b32 v21, v20 :: v_dual_mov_b32 v20, v31
	s_delay_alu instid0(VALU_DEP_2) | instskip(SKIP_1) | instid1(VALU_DEP_2)
	v_dual_mul_f32 v27, v19, v19 :: v_dual_mov_b32 v39, v36
	v_mov_b32_e32 v15, v36
	v_pk_add_f32 v[28:29], v[34:35], v[38:39] neg_lo:[0,1] neg_hi:[0,1]
	s_delay_alu instid0(VALU_DEP_2) | instskip(SKIP_1) | instid1(VALU_DEP_3)
	v_pk_add_f32 v[30:31], v[32:33], v[14:15] neg_lo:[0,1] neg_hi:[0,1]
	v_mov_b32_e32 v30, v22
	v_pk_add_f32 v[20:21], v[20:21], v[28:29] neg_lo:[0,1] neg_hi:[0,1]
	s_delay_alu instid0(VALU_DEP_1) | instskip(NEXT) | instid1(VALU_DEP_1)
	v_pk_add_f32 v[28:29], v[30:31], v[20:21]
	v_dual_fmaak_f32 v15, s11, v27, 0xbc7a590c :: v_dual_mov_b32 v30, v29
	s_delay_alu instid0(VALU_DEP_1) | instskip(NEXT) | instid1(VALU_DEP_2)
	v_fmaak_f32 v15, v27, v15, 0x3d29fb3f
	v_pk_add_f32 v[30:31], v[28:29], v[30:31]
	s_delay_alu instid0(VALU_DEP_1) | instskip(SKIP_1) | instid1(VALU_DEP_2)
	v_pk_add_f32 v[32:33], v[6:7], v[30:31]
	v_dual_mov_b32 v23, v35 :: v_dual_mov_b32 v21, v30
	v_mov_b32_e32 v29, v32
	s_delay_alu instid0(VALU_DEP_1) | instskip(NEXT) | instid1(VALU_DEP_1)
	v_pk_add_f32 v[34:35], v[28:29], v[22:23] neg_lo:[0,1] neg_hi:[0,1]
	v_pk_add_f32 v[20:21], v[20:21], v[34:35] neg_lo:[0,1] neg_hi:[0,1]
	v_fmaak_f32 v15, v27, v15, 0xbd97d4d7
	s_delay_alu instid0(VALU_DEP_1) | instskip(NEXT) | instid1(VALU_DEP_1)
	v_fmaak_f32 v15, v27, v15, 0x3dd931b2
	v_dual_fmaak_f32 v6, v27, v15, 0xbe1160e6 :: v_dual_sub_f32 v15, v28, v34
	s_delay_alu instid0(VALU_DEP_1) | instskip(NEXT) | instid1(VALU_DEP_1)
	v_dual_fmaak_f32 v6, v27, v6, 0x3e4cb8bf :: v_dual_sub_f32 v15, v22, v15
	v_fmaak_f32 v6, v27, v6, 0xbeaaaa62
	s_delay_alu instid0(VALU_DEP_1) | instskip(NEXT) | instid1(VALU_DEP_1)
	v_mul_f32_e32 v6, v27, v6
	v_dual_fmac_f32 v19, v19, v6 :: v_dual_add_f32 v6, v20, v15
	s_delay_alu instid0(VALU_DEP_1) | instskip(NEXT) | instid1(VALU_DEP_1)
	v_sub_f32_e32 v15, 0x3fc90fdb, v19
	v_dual_cndmask_b32 v15, v19, v15, s0 :: v_dual_add_f32 v6, v6, v21
	v_cndmask_b32_e64 v19, 0, 0x40490fdb, vcc_lo
	v_cmp_gt_f32_e32 vcc_lo, 0, v8
	s_delay_alu instid0(VALU_DEP_3) | instskip(NEXT) | instid1(VALU_DEP_1)
	v_sub_f32_e32 v20, 0x40490fdb, v15
	v_dual_add_f32 v6, v32, v6 :: v_dual_cndmask_b32 v15, v15, v20
	s_delay_alu instid0(VALU_DEP_1) | instskip(SKIP_3) | instid1(VALU_DEP_4)
	v_cndmask_b32_e64 v6, 0x7f800000, v6, s1
	v_cndmask_b32_e32 v20, 0x3f490fdb, v24, vcc_lo
	v_cmp_gt_f32_e64 vcc_lo, 0x33800000, |v18|
	v_cmp_class_f32_e64 s1, v9, 0x204
	v_cndmask_b32_e32 v6, v6, v18, vcc_lo
	v_cmp_eq_f32_e32 vcc_lo, 0, v9
                                        ; implicit-def: $vgpr18
	s_delay_alu instid0(VALU_DEP_2) | instskip(SKIP_1) | instid1(VALU_DEP_1)
	v_dual_mul_f32 v6, 0.5, v6 :: v_dual_cndmask_b32 v15, v15, v19
	s_and_b32 vcc_lo, s4, s1
	v_cndmask_b32_e32 v27, v15, v20, vcc_lo
.LBB186_217:                            ;   in Loop: Header=BB186_162 Depth=1
	s_and_not1_saveexec_b32 s3, s3
	s_cbranch_execz .LBB186_219
; %bb.218:                              ;   in Loop: Header=BB186_162 Depth=1
	v_max_num_f32_e64 v6, |v9|, |v9|
	v_max_num_f32_e64 v15, |v8|, |v8|
	v_cmp_eq_f32_e64 s1, 0, v9
	v_cmp_gt_i32_e32 vcc_lo, 0, v8
	v_cmp_class_f32_e64 s4, v8, 0x204
	v_cmp_class_f32_e64 s5, v9, 0x204
	v_dual_max_num_f32 v19, v15, v6 :: v_dual_min_num_f32 v6, v15, v6
	s_delay_alu instid0(VALU_DEP_1) | instskip(SKIP_1) | instid1(VALU_DEP_2)
	v_frexp_mant_f32_e32 v20, v19
	v_frexp_exp_i32_f32_e32 v15, v19
	v_rcp_f32_e32 v19, v20
	v_nop
	v_frexp_exp_i32_f32_e32 v20, v6
	v_frexp_mant_f32_e32 v6, v6
	s_delay_alu instid0(VALU_DEP_2)
	v_sub_nc_u32_e32 v15, v20, v15
	s_delay_alu instid0(TRANS32_DEP_1) | instid1(VALU_DEP_2)
	v_mul_f32_e32 v6, v6, v19
	s_delay_alu instid0(VALU_DEP_1) | instskip(NEXT) | instid1(VALU_DEP_1)
	v_ldexp_f32 v6, v6, v15
	v_mul_f32_e32 v15, v6, v6
	s_delay_alu instid0(VALU_DEP_1) | instskip(NEXT) | instid1(VALU_DEP_1)
	v_fmaak_f32 v19, s11, v15, 0xbc7a590c
	v_fmaak_f32 v19, v15, v19, 0x3d29fb3f
	s_delay_alu instid0(VALU_DEP_1) | instskip(NEXT) | instid1(VALU_DEP_1)
	v_fmaak_f32 v19, v15, v19, 0xbd97d4d7
	v_fmaak_f32 v19, v15, v19, 0x3dd931b2
	s_delay_alu instid0(VALU_DEP_1) | instskip(NEXT) | instid1(VALU_DEP_1)
	v_fmaak_f32 v19, v15, v19, 0xbe1160e6
	v_fmaak_f32 v19, v15, v19, 0x3e4cb8bf
	s_delay_alu instid0(VALU_DEP_1) | instskip(NEXT) | instid1(VALU_DEP_1)
	v_fmaak_f32 v19, v15, v19, 0xbeaaaa62
	v_mul_f32_e32 v15, v15, v19
	v_cndmask_b32_e64 v19, 0, 0x40490fdb, vcc_lo
	v_cmp_gt_f32_e32 vcc_lo, 0, v8
	s_delay_alu instid0(VALU_DEP_3) | instskip(SKIP_1) | instid1(VALU_DEP_2)
	v_fmac_f32_e32 v6, v6, v15
	v_cndmask_b32_e32 v20, 0x3f490fdb, v24, vcc_lo
	v_sub_f32_e32 v15, 0x3fc90fdb, v6
	s_delay_alu instid0(VALU_DEP_1) | instskip(NEXT) | instid1(VALU_DEP_1)
	v_cndmask_b32_e64 v6, v6, v15, s0
	v_sub_f32_e32 v15, 0x40490fdb, v6
	s_delay_alu instid0(VALU_DEP_1) | instskip(SKIP_1) | instid1(VALU_DEP_1)
	v_dual_cndmask_b32 v6, v6, v15 :: v_dual_mul_f32 v15, 0.5, v18
	s_and_b32 vcc_lo, s4, s5
	v_cndmask_b32_e64 v19, v6, v19, s1
	s_delay_alu instid0(VALU_DEP_1)
	v_dual_mul_f32 v6, v18, v15 :: v_dual_cndmask_b32 v27, v19, v20
.LBB186_219:                            ;   in Loop: Header=BB186_162 Depth=1
	s_or_b32 exec_lo, exec_lo, s3
.LBB186_220:                            ;   in Loop: Header=BB186_162 Depth=1
	s_delay_alu instid0(SALU_CYCLE_1)
	s_or_b32 exec_lo, exec_lo, s2
.LBB186_221:                            ;   in Loop: Header=BB186_162 Depth=1
	s_and_not1_saveexec_b32 s2, s16
	s_cbranch_execz .LBB186_223
; %bb.222:                              ;   in Loop: Header=BB186_162 Depth=1
	v_div_scale_f32 v6, null, 0x402df854, 0x402df854, v8
	v_div_scale_f32 v15, null, 0x402df854, 0x402df854, v9
	v_div_scale_f32 v22, vcc_lo, v8, 0x402df854, v8
	s_delay_alu instid0(VALU_DEP_3) | instskip(NEXT) | instid1(VALU_DEP_2)
	v_rcp_f32_e32 v18, v6
	v_rcp_f32_e32 v19, v15
	v_cmp_class_f32_e64 s3, v9, 0x204
	s_delay_alu instid0(TRANS32_DEP_2) | instskip(NEXT) | instid1(TRANS32_DEP_1)
	v_fma_f32 v20, -v6, v18, 1.0
	v_fma_f32 v21, -v15, v19, 1.0
	s_delay_alu instid0(VALU_DEP_1) | instskip(SKIP_1) | instid1(VALU_DEP_1)
	v_dual_fmac_f32 v18, v20, v18 :: v_dual_fmac_f32 v19, v21, v19
	v_div_scale_f32 v20, s1, v9, 0x402df854, v9
	v_dual_mul_f32 v21, v22, v18 :: v_dual_mul_f32 v23, v20, v19
	s_delay_alu instid0(VALU_DEP_1) | instskip(NEXT) | instid1(VALU_DEP_1)
	v_dual_fma_f32 v27, -v6, v21, v22 :: v_dual_fma_f32 v28, -v15, v23, v20
	v_dual_fmac_f32 v21, v27, v18 :: v_dual_fmac_f32 v23, v28, v19
	s_delay_alu instid0(VALU_DEP_1) | instskip(NEXT) | instid1(VALU_DEP_1)
	v_dual_fma_f32 v6, -v6, v21, v22 :: v_dual_fma_f32 v15, -v15, v23, v20
	v_div_fmas_f32 v6, v6, v18, v21
	s_mov_b32 vcc_lo, s1
	v_max_num_f32_e64 v21, |v8|, |v8|
	s_delay_alu instid0(VALU_DEP_3) | instskip(SKIP_2) | instid1(VALU_DEP_3)
	v_div_fmas_f32 v15, v15, v19, v23
	v_cmp_class_f32_e64 s1, v8, 0x204
	v_div_fixup_f32 v6, v6, 0x402df854, v8
	v_div_fixup_f32 v15, v15, 0x402df854, v9
	s_delay_alu instid0(VALU_DEP_1) | instskip(NEXT) | instid1(VALU_DEP_1)
	v_max_num_f32_e64 v20, |v6|, |v15|
	v_cvt_f64_f32_e32 v[18:19], v20
	v_cmp_neq_f32_e32 vcc_lo, 0x7f800000, v20
	s_delay_alu instid0(VALU_DEP_2) | instskip(SKIP_1) | instid1(VALU_DEP_1)
	v_frexp_exp_i32_f64_e32 v18, v[18:19]
	v_max_num_f32_e64 v19, |v9|, |v9|
	v_dual_max_num_f32 v22, v21, v19 :: v_dual_min_num_f32 v19, v21, v19
	s_delay_alu instid0(VALU_DEP_1) | instskip(SKIP_1) | instid1(VALU_DEP_2)
	v_frexp_mant_f32_e32 v23, v22
	v_frexp_exp_i32_f32_e32 v21, v22
	v_rcp_f32_e32 v22, v23
	v_nop
	v_frexp_exp_i32_f32_e32 v23, v19
	v_frexp_mant_f32_e32 v19, v19
	s_delay_alu instid0(VALU_DEP_2)
	v_sub_nc_u32_e32 v21, v23, v21
	s_delay_alu instid0(TRANS32_DEP_1) | instid1(VALU_DEP_2)
	v_mul_f32_e32 v19, v19, v22
	v_sub_nc_u32_e32 v22, 0, v18
	s_delay_alu instid0(VALU_DEP_2) | instskip(NEXT) | instid1(VALU_DEP_2)
	v_ldexp_f32 v19, v19, v21
	v_ldexp_f32 v15, |v15|, v22
	v_ldexp_f32 v6, |v6|, v22
	s_delay_alu instid0(VALU_DEP_2) | instskip(NEXT) | instid1(VALU_DEP_1)
	v_mul_f32_e32 v15, v15, v15
	v_dual_mul_f32 v21, v19, v19 :: v_dual_fmac_f32 v15, v6, v6
	s_delay_alu instid0(VALU_DEP_1) | instskip(NEXT) | instid1(VALU_DEP_2)
	v_fmaak_f32 v22, s11, v21, 0xbc7a590c
	v_sqrt_f32_e32 v15, v15
	s_delay_alu instid0(VALU_DEP_1) | instskip(NEXT) | instid1(VALU_DEP_1)
	v_fmaak_f32 v6, v21, v22, 0x3d29fb3f
	v_fmaak_f32 v6, v21, v6, 0xbd97d4d7
	s_delay_alu instid0(TRANS32_DEP_1) | instskip(NEXT) | instid1(VALU_DEP_2)
	v_ldexp_f32 v15, v15, v18
	v_fmaak_f32 v6, v21, v6, 0x3dd931b2
	s_delay_alu instid0(VALU_DEP_1) | instskip(NEXT) | instid1(VALU_DEP_1)
	v_fmaak_f32 v6, v21, v6, 0xbe1160e6
	v_fmaak_f32 v6, v21, v6, 0x3e4cb8bf
	s_delay_alu instid0(VALU_DEP_1) | instskip(NEXT) | instid1(VALU_DEP_1)
	v_fmaak_f32 v6, v21, v6, 0xbeaaaa62
	v_dual_cndmask_b32 v15, 0x7f800000, v15 :: v_dual_mul_f32 v6, v21, v6
	s_delay_alu instid0(VALU_DEP_1) | instskip(NEXT) | instid1(VALU_DEP_2)
	v_cmp_gt_f32_e32 vcc_lo, 0x800000, v15
	v_fmac_f32_e32 v19, v19, v6
	v_cndmask_b32_e64 v18, 0, 32, vcc_lo
	v_cndmask_b32_e64 v21, 0, 0x41b17218, vcc_lo
	s_delay_alu instid0(VALU_DEP_2) | instskip(NEXT) | instid1(VALU_DEP_1)
	v_ldexp_f32 v15, v15, v18
	v_log_f32_e32 v15, v15
	v_nop
	s_delay_alu instid0(TRANS32_DEP_1) | instskip(SKIP_1) | instid1(VALU_DEP_2)
	v_mul_f32_e32 v18, 0x3f317217, v15
	v_cmp_gt_f32_e64 vcc_lo, 0x7f800000, |v15|
	v_fma_f32 v6, 0x3f317217, v15, -v18
	v_sub_f32_e32 v18, 0x3fc90fdb, v19
	s_delay_alu instid0(VALU_DEP_2) | instskip(NEXT) | instid1(VALU_DEP_1)
	v_fmac_f32_e32 v6, 0x3377d1cf, v15
	v_fmac_f32_e32 v6, 0x3f317217, v15
	s_delay_alu instid0(VALU_DEP_1) | instskip(NEXT) | instid1(VALU_DEP_4)
	v_cndmask_b32_e32 v6, v15, v6, vcc_lo
	v_cndmask_b32_e64 v18, v19, v18, s0
	v_cmp_gt_i32_e64 s0, 0, v8
	v_cmp_eq_f32_e32 vcc_lo, 0, v9
	s_delay_alu instid0(VALU_DEP_4) | instskip(NEXT) | instid1(VALU_DEP_4)
	v_sub_f32_e32 v6, v6, v21
	v_sub_f32_e32 v20, 0x40490fdb, v18
	s_delay_alu instid0(VALU_DEP_4) | instskip(SKIP_1) | instid1(VALU_DEP_1)
	v_cndmask_b32_e64 v19, 0, 0x40490fdb, s0
	v_cmp_gt_f32_e64 s0, 0, v8
	v_dual_add_f32 v6, 1.0, v6 :: v_dual_cndmask_b32 v15, v18, v20, s0
	v_cndmask_b32_e64 v18, 0x3f490fdb, v24, s0
	s_delay_alu instid0(VALU_DEP_2) | instskip(SKIP_1) | instid1(VALU_DEP_1)
	v_cndmask_b32_e32 v15, v15, v19, vcc_lo
	s_and_b32 vcc_lo, s1, s3
	v_cndmask_b32_e32 v27, v15, v18, vcc_lo
.LBB186_223:                            ;   in Loop: Header=BB186_162 Depth=1
	s_or_b32 exec_lo, exec_lo, s2
.LBB186_224:                            ;   in Loop: Header=BB186_162 Depth=1
	s_and_not1_saveexec_b32 s0, s13
	s_cbranch_execz .LBB186_230
; %bb.225:                              ;   in Loop: Header=BB186_162 Depth=1
	v_cmp_ngt_f32_e64 s1, 0x20000000, |v8|
	v_cmp_ngt_f32_e64 s2, 0x20000000, |v9|
                                        ; implicit-def: $vgpr6
	s_or_b32 s1, s1, s2
	s_delay_alu instid0(SALU_CYCLE_1) | instskip(NEXT) | instid1(SALU_CYCLE_1)
	s_and_saveexec_b32 s2, s1
	s_xor_b32 s1, exec_lo, s2
; %bb.226:                              ;   in Loop: Header=BB186_162 Depth=1
	v_pk_mul_f32 v[18:19], v[8:9], v[8:9]
	s_delay_alu instid0(VALU_DEP_1)
	v_add_f32_e32 v6, v18, v19
; %bb.227:                              ;   in Loop: Header=BB186_162 Depth=1
	s_and_not1_saveexec_b32 s1, s1
; %bb.228:                              ;   in Loop: Header=BB186_162 Depth=1
	v_pk_mul_f32 v[18:19], v[8:9], 4.0 op_sel_hi:[1,0]
	s_delay_alu instid0(VALU_DEP_1) | instskip(NEXT) | instid1(VALU_DEP_1)
	v_pk_mul_f32 v[18:19], v[18:19], v[18:19]
	v_add_f32_e32 v6, v18, v19
	s_delay_alu instid0(VALU_DEP_1)
	v_mul_f32_e32 v6, 0x3d800000, v6
; %bb.229:                              ;   in Loop: Header=BB186_162 Depth=1
	s_or_b32 exec_lo, exec_lo, s1
	s_delay_alu instid0(VALU_DEP_1) | instskip(SKIP_3) | instid1(VALU_DEP_2)
	v_cmp_gt_f32_e32 vcc_lo, 0x800000, v6
	v_mov_b32_e32 v27, 0x7fc00000
	v_cndmask_b32_e64 v8, 0, 32, vcc_lo
	v_cndmask_b32_e64 v15, 0, 0x41b17218, vcc_lo
	v_ldexp_f32 v6, v6, v8
	s_delay_alu instid0(VALU_DEP_1) | instskip(SKIP_1) | instid1(TRANS32_DEP_1)
	v_log_f32_e32 v6, v6
	v_nop
	v_mul_f32_e32 v8, 0x3f317217, v6
	v_cmp_gt_f32_e64 vcc_lo, 0x7f800000, |v6|
	s_delay_alu instid0(VALU_DEP_2) | instskip(NEXT) | instid1(VALU_DEP_1)
	v_fma_f32 v8, 0x3f317217, v6, -v8
	v_fmac_f32_e32 v8, 0x3377d1cf, v6
	s_delay_alu instid0(VALU_DEP_1) | instskip(NEXT) | instid1(VALU_DEP_1)
	v_fmac_f32_e32 v8, 0x3f317217, v6
	v_cndmask_b32_e32 v6, v6, v8, vcc_lo
	s_delay_alu instid0(VALU_DEP_1)
	v_sub_f32_e32 v6, v6, v15
.LBB186_230:                            ;   in Loop: Header=BB186_162 Depth=1
	s_or_b32 exec_lo, exec_lo, s0
                                        ; implicit-def: $vgpr8
                                        ; implicit-def: $vgpr28
	s_delay_alu instid0(SALU_CYCLE_1)
	s_mov_b32 s0, exec_lo
	s_wait_loadcnt 0x0
	v_cmpx_o_f32_e32 v3, v2
	s_xor_b32 s13, exec_lo, s0
	s_cbranch_execz .LBB186_258
; %bb.231:                              ;   in Loop: Header=BB186_162 Depth=1
	v_cmp_lt_f32_e64 s0, |v2|, |v3|
                                        ; implicit-def: $vgpr8
                                        ; implicit-def: $vgpr28
	s_mov_b32 s2, exec_lo
	v_cndmask_b32_e64 v15, v3, v2, s0
	s_delay_alu instid0(VALU_DEP_1)
	v_cmpx_nlt_f32_e64 0x77f684df, |v15|
	s_xor_b32 s16, exec_lo, s2
	s_cbranch_execz .LBB186_255
; %bb.232:                              ;   in Loop: Header=BB186_162 Depth=1
	v_cndmask_b32_e64 v8, v2, v3, s0
	v_and_b32_e32 v18, 0x7fffffff, v15
                                        ; implicit-def: $vgpr28
	s_mov_b32 s1, exec_lo
	s_delay_alu instid0(VALU_DEP_2) | instskip(NEXT) | instid1(VALU_DEP_1)
	v_and_b32_e32 v19, 0x7fffffff, v8
                                        ; implicit-def: $vgpr8
	v_cmpx_neq_f32_e32 1.0, v19
	s_xor_b32 s17, exec_lo, s1
	s_cbranch_execz .LBB186_248
; %bb.233:                              ;   in Loop: Header=BB186_162 Depth=1
	v_dual_max_num_f32 v8, v18, v18 :: v_dual_max_num_f32 v15, v19, v19
                                        ; implicit-def: $vgpr28
	s_delay_alu instid0(VALU_DEP_1) | instskip(NEXT) | instid1(VALU_DEP_1)
	v_dual_min_num_f32 v20, v15, v8 :: v_dual_max_num_f32 v8, v15, v8
	v_cmp_ngt_f32_e32 vcc_lo, 0x358637bd, v20
	s_delay_alu instid0(VALU_DEP_2) | instskip(SKIP_1) | instid1(SALU_CYCLE_1)
	v_cmp_nlt_f32_e64 s1, 0x49742400, v8
                                        ; implicit-def: $vgpr8
	s_and_b32 s1, s1, vcc_lo
	s_and_saveexec_b32 s2, s1
	s_delay_alu instid0(SALU_CYCLE_1)
	s_xor_b32 s18, exec_lo, s2
	s_cbranch_execz .LBB186_245
; %bb.234:                              ;   in Loop: Header=BB186_162 Depth=1
                                        ; implicit-def: $vgpr8
                                        ; implicit-def: $vgpr28
	s_mov_b32 s1, exec_lo
	v_cmpx_le_f32_e32 1.0, v19
	s_xor_b32 s2, exec_lo, s1
	s_cbranch_execz .LBB186_236
; %bb.235:                              ;   in Loop: Header=BB186_162 Depth=1
	v_pk_add_f32 v[20:21], v[18:19], v[12:13] op_sel:[1,0]
	v_mov_b32_e32 v22, v18
	v_cmp_class_f32_e64 s3, v2, 0x204
	s_delay_alu instid0(VALU_DEP_3) | instskip(SKIP_1) | instid1(VALU_DEP_1)
	v_dual_mov_b32 v19, v20 :: v_dual_mov_b32 v23, v21
	v_mul_f32_e32 v8, v20, v21
	v_pk_fma_f32 v[18:19], v[18:19], v[22:23], v[8:9] op_sel_hi:[1,1,0]
	s_delay_alu instid0(VALU_DEP_1) | instskip(SKIP_1) | instid1(VALU_DEP_2)
	v_add_f32_e32 v21, 1.0, v18
	v_cmp_neq_f32_e64 s1, -1.0, v18
	v_add_f32_e32 v19, -1.0, v21
	s_delay_alu instid0(VALU_DEP_1) | instskip(SKIP_2) | instid1(VALU_DEP_1)
	v_mov_b32_e32 v20, v19
	v_cvt_f64_f32_e32 v[22:23], v21
	v_frexp_mant_f32_e32 v15, v21
	v_cmp_gt_f32_e32 vcc_lo, 0x3f2aaaab, v15
	s_delay_alu instid0(VALU_DEP_3) | instskip(NEXT) | instid1(VALU_DEP_1)
	v_frexp_exp_i32_f64_e32 v8, v[22:23]
	v_subrev_co_ci_u32_e64 v8, null, 0, v8, vcc_lo
	v_cmp_neq_f32_e32 vcc_lo, 0x7f800000, v18
	s_delay_alu instid0(VALU_DEP_2) | instskip(SKIP_1) | instid1(VALU_DEP_2)
	v_sub_nc_u32_e32 v15, 0, v8
	v_pk_add_f32 v[22:23], v[18:19], v[20:21] neg_lo:[0,1] neg_hi:[0,1]
	v_ldexp_f32 v19, v21, v15
	s_delay_alu instid0(VALU_DEP_2) | instskip(NEXT) | instid1(VALU_DEP_2)
	v_add_f32_e32 v20, 1.0, v23
	v_add_f32_e32 v23, 1.0, v19
	s_delay_alu instid0(VALU_DEP_1) | instskip(SKIP_1) | instid1(VALU_DEP_2)
	v_dual_add_f32 v21, -1.0, v23 :: v_dual_add_f32 v20, v22, v20
	v_add_f32_e32 v29, -1.0, v19
	v_ldexp_f32 v15, v20, v15
	s_delay_alu instid0(VALU_DEP_3) | instskip(NEXT) | instid1(VALU_DEP_1)
	v_sub_f32_e32 v20, v19, v21
	v_dual_add_f32 v21, 1.0, v29 :: v_dual_add_f32 v20, v15, v20
	s_delay_alu instid0(VALU_DEP_1) | instskip(NEXT) | instid1(VALU_DEP_1)
	v_sub_f32_e32 v19, v19, v21
	v_add_f32_e32 v15, v15, v19
	s_delay_alu instid0(VALU_DEP_1) | instskip(NEXT) | instid1(VALU_DEP_1)
	v_dual_add_f32 v21, v29, v15 :: v_dual_add_f32 v30, v23, v20
	v_rcp_f32_e32 v19, v30
	v_nop
	s_delay_alu instid0(TRANS32_DEP_1) | instskip(NEXT) | instid1(VALU_DEP_1)
	v_mul_f32_e32 v31, v21, v19
	v_mul_f32_e32 v22, v30, v31
	s_delay_alu instid0(VALU_DEP_1) | instskip(NEXT) | instid1(VALU_DEP_1)
	v_dual_sub_f32 v23, v30, v23 :: v_dual_fma_f32 v28, v31, v30, -v22
	v_sub_f32_e32 v32, v20, v23
	s_delay_alu instid0(VALU_DEP_1) | instskip(NEXT) | instid1(VALU_DEP_1)
	v_fmac_f32_e32 v28, v31, v32
	v_dual_add_f32 v20, v22, v28 :: v_dual_sub_f32 v33, v21, v29
	s_delay_alu instid0(VALU_DEP_1) | instskip(NEXT) | instid1(VALU_DEP_2)
	v_dual_mov_b32 v29, v20 :: v_dual_sub_f32 v23, v21, v20
	v_sub_f32_e32 v15, v15, v33
	s_delay_alu instid0(VALU_DEP_2) | instskip(NEXT) | instid1(VALU_DEP_1)
	v_pk_add_f32 v[20:21], v[20:21], v[22:23] neg_lo:[0,1] neg_hi:[0,1]
	v_pk_add_f32 v[20:21], v[20:21], v[28:29] neg_lo:[0,1] neg_hi:[0,1]
	s_delay_alu instid0(VALU_DEP_1) | instskip(NEXT) | instid1(VALU_DEP_1)
	v_add_f32_e32 v15, v15, v21
	v_add_f32_e32 v15, v20, v15
	s_delay_alu instid0(VALU_DEP_1) | instskip(NEXT) | instid1(VALU_DEP_1)
	v_add_f32_e32 v21, v23, v15
	v_mul_f32_e32 v33, v19, v21
	s_delay_alu instid0(VALU_DEP_1) | instskip(NEXT) | instid1(VALU_DEP_1)
	v_mul_f32_e32 v28, v30, v33
	v_fma_f32 v22, v33, v30, -v28
	s_delay_alu instid0(VALU_DEP_1) | instskip(NEXT) | instid1(VALU_DEP_1)
	v_dual_fmac_f32 v22, v33, v32 :: v_dual_sub_f32 v30, v23, v21
	v_add_f32_e32 v20, v28, v22
	s_delay_alu instid0(VALU_DEP_1) | instskip(SKIP_1) | instid1(VALU_DEP_2)
	v_dual_add_f32 v15, v15, v30 :: v_dual_sub_f32 v29, v21, v20
	v_mov_b32_e32 v23, v20
	v_pk_add_f32 v[20:21], v[20:21], v[28:29] neg_lo:[0,1] neg_hi:[0,1]
	s_delay_alu instid0(VALU_DEP_1) | instskip(NEXT) | instid1(VALU_DEP_1)
	v_pk_add_f32 v[20:21], v[20:21], v[22:23] neg_lo:[0,1] neg_hi:[0,1]
	v_add_f32_e32 v15, v15, v21
	s_delay_alu instid0(VALU_DEP_1) | instskip(NEXT) | instid1(VALU_DEP_1)
	v_dual_add_f32 v30, v31, v33 :: v_dual_add_f32 v15, v20, v15
	v_sub_f32_e32 v20, v30, v31
	s_delay_alu instid0(VALU_DEP_2) | instskip(NEXT) | instid1(VALU_DEP_1)
	v_add_f32_e32 v15, v29, v15
	v_dual_sub_f32 v20, v33, v20 :: v_dual_mul_f32 v15, v19, v15
	s_delay_alu instid0(VALU_DEP_1) | instskip(SKIP_1) | instid1(VALU_DEP_2)
	v_add_f32_e32 v19, v20, v15
	v_cvt_f32_i32_e32 v20, v8
	v_add_f32_e32 v31, v30, v19
	s_delay_alu instid0(VALU_DEP_1) | instskip(SKIP_1) | instid1(VALU_DEP_2)
	v_mul_f32_e32 v15, v31, v31
	v_ldexp_f32 v29, v31, 1
	v_dual_fmaak_f32 v22, s10, v15, 0x3ecc95a3 :: v_dual_mul_f32 v21, v31, v15
	s_delay_alu instid0(VALU_DEP_1) | instskip(NEXT) | instid1(VALU_DEP_1)
	v_fmaak_f32 v15, v15, v22, 0x3f2aaada
	v_pk_mul_f32 v[22:23], v[20:21], v[14:15]
	s_delay_alu instid0(VALU_DEP_1) | instskip(NEXT) | instid1(VALU_DEP_1)
	v_fma_f32 v28, 0x3f317218, v20, -v22
	v_fmac_f32_e32 v28, 0xb102e308, v20
	s_delay_alu instid0(VALU_DEP_1) | instskip(NEXT) | instid1(VALU_DEP_1)
	v_pk_add_f32 v[20:21], v[22:23], v[28:29]
	v_dual_sub_f32 v15, v21, v29 :: v_dual_sub_f32 v8, v31, v30
	s_delay_alu instid0(VALU_DEP_2) | instskip(NEXT) | instid1(VALU_DEP_2)
	v_dual_mov_b32 v30, v22 :: v_dual_mov_b32 v29, v20
	v_dual_mov_b32 v38, v21 :: v_dual_sub_f32 v15, v23, v15
	s_delay_alu instid0(VALU_DEP_3) | instskip(SKIP_1) | instid1(VALU_DEP_2)
	v_sub_f32_e32 v8, v19, v8
	v_pk_add_f32 v[22:23], v[20:21], v[22:23] neg_lo:[0,1] neg_hi:[0,1]
	v_ldexp_f32 v8, v8, 1
	s_delay_alu instid0(VALU_DEP_1) | instskip(SKIP_2) | instid1(VALU_DEP_3)
	v_add_f32_e32 v31, v8, v15
	v_max_num_f32_e64 v8, |v3|, |v3|
	v_max_num_f32_e64 v15, |v2|, |v2|
	v_pk_add_f32 v[32:33], v[20:21], v[30:31]
	s_delay_alu instid0(VALU_DEP_2) | instskip(NEXT) | instid1(VALU_DEP_2)
	v_dual_max_num_f32 v19, v15, v8 :: v_dual_min_num_f32 v15, v15, v8
	v_mov_b32_e32 v23, v33
	s_delay_alu instid0(VALU_DEP_2) | instskip(NEXT) | instid1(VALU_DEP_3)
	v_frexp_exp_i32_f32_e32 v30, v19
	v_frexp_mant_f32_e32 v40, v15
	v_frexp_mant_f32_e32 v19, v19
	s_delay_alu instid0(VALU_DEP_4) | instskip(SKIP_2) | instid1(VALU_DEP_4)
	v_pk_add_f32 v[34:35], v[28:29], v[22:23]
	v_frexp_exp_i32_f32_e32 v34, v15
	v_pk_add_f32 v[22:23], v[28:29], v[22:23] neg_lo:[0,1] neg_hi:[0,1]
	v_rcp_f32_e32 v19, v19
	s_delay_alu instid0(VALU_DEP_3) | instskip(NEXT) | instid1(VALU_DEP_1)
	v_dual_mov_b32 v8, v35 :: v_dual_mov_b32 v23, v35
	v_pk_add_f32 v[36:37], v[8:9], v[20:21] neg_lo:[0,1] neg_hi:[0,1]
	v_dual_mov_b32 v34, v33 :: v_dual_sub_nc_u32 v37, v34, v30
	v_dual_mov_b32 v21, v20 :: v_dual_mov_b32 v20, v31
	s_delay_alu instid0(VALU_DEP_3) | instskip(NEXT) | instid1(VALU_DEP_1)
	v_dual_mov_b32 v39, v36 :: v_dual_mov_b32 v15, v36
	v_pk_add_f32 v[28:29], v[34:35], v[38:39] neg_lo:[0,1] neg_hi:[0,1]
	s_delay_alu instid0(VALU_DEP_2) | instskip(SKIP_1) | instid1(VALU_DEP_3)
	v_pk_add_f32 v[30:31], v[32:33], v[14:15] neg_lo:[0,1] neg_hi:[0,1]
	v_mov_b32_e32 v30, v22
	v_pk_add_f32 v[20:21], v[20:21], v[28:29] neg_lo:[0,1] neg_hi:[0,1]
	s_delay_alu instid0(VALU_DEP_1) | instskip(NEXT) | instid1(VALU_DEP_1)
	v_pk_add_f32 v[28:29], v[30:31], v[20:21]
	v_dual_mul_f32 v19, v40, v19 :: v_dual_mov_b32 v30, v29
	s_delay_alu instid0(VALU_DEP_1) | instskip(NEXT) | instid1(VALU_DEP_2)
	v_ldexp_f32 v15, v19, v37
	v_pk_add_f32 v[30:31], v[28:29], v[30:31]
	s_delay_alu instid0(VALU_DEP_1) | instskip(NEXT) | instid1(VALU_DEP_1)
	v_pk_add_f32 v[32:33], v[8:9], v[30:31]
	v_dual_mul_f32 v19, v15, v15 :: v_dual_mov_b32 v29, v32
	s_delay_alu instid0(VALU_DEP_1) | instskip(NEXT) | instid1(VALU_DEP_1)
	v_pk_add_f32 v[34:35], v[28:29], v[22:23] neg_lo:[0,1] neg_hi:[0,1]
	v_sub_f32_e32 v23, v28, v34
	s_delay_alu instid0(VALU_DEP_1) | instskip(NEXT) | instid1(VALU_DEP_4)
	v_sub_f32_e32 v22, v22, v23
	v_fmaak_f32 v21, s11, v19, 0xbc7a590c
	s_delay_alu instid0(VALU_DEP_1) | instskip(NEXT) | instid1(VALU_DEP_1)
	v_fmaak_f32 v21, v19, v21, 0x3d29fb3f
	v_dual_fmaak_f32 v8, v19, v21, 0xbd97d4d7 :: v_dual_mov_b32 v21, v30
	s_delay_alu instid0(VALU_DEP_1) | instskip(NEXT) | instid1(VALU_DEP_2)
	v_fmaak_f32 v8, v19, v8, 0x3dd931b2
	v_pk_add_f32 v[20:21], v[20:21], v[34:35] neg_lo:[0,1] neg_hi:[0,1]
	s_delay_alu instid0(VALU_DEP_2) | instskip(NEXT) | instid1(VALU_DEP_1)
	v_fmaak_f32 v8, v19, v8, 0xbe1160e6
	v_fmaak_f32 v8, v19, v8, 0x3e4cb8bf
	s_delay_alu instid0(VALU_DEP_1) | instskip(NEXT) | instid1(VALU_DEP_1)
	v_fmaak_f32 v8, v19, v8, 0xbeaaaa62
	v_mul_f32_e32 v8, v19, v8
	s_delay_alu instid0(VALU_DEP_1) | instskip(NEXT) | instid1(VALU_DEP_1)
	v_dual_fmac_f32 v15, v15, v8 :: v_dual_add_f32 v20, v20, v22
	v_add_f32_e32 v19, v20, v21
	s_delay_alu instid0(VALU_DEP_1) | instskip(NEXT) | instid1(VALU_DEP_3)
	v_add_f32_e32 v8, v32, v19
	v_sub_f32_e32 v19, 0x3fc90fdb, v15
	s_delay_alu instid0(VALU_DEP_1) | instskip(NEXT) | instid1(VALU_DEP_3)
	v_cndmask_b32_e64 v15, v15, v19, s0
	v_cndmask_b32_e32 v8, 0x7f800000, v8, vcc_lo
	v_cmp_gt_i32_e32 vcc_lo, 0, v2
	s_delay_alu instid0(VALU_DEP_3) | instskip(SKIP_4) | instid1(VALU_DEP_2)
	v_sub_f32_e32 v20, 0x40490fdb, v15
	v_cndmask_b32_e64 v19, 0, 0x40490fdb, vcc_lo
	v_cmp_ngt_f32_e32 vcc_lo, -1.0, v18
	v_cndmask_b32_e32 v8, 0x7fc00000, v8, vcc_lo
	v_cmp_gt_f32_e32 vcc_lo, 0, v2
	v_cndmask_b32_e64 v8, 0xff800000, v8, s1
	v_cndmask_b32_e32 v15, v15, v20, vcc_lo
	v_cndmask_b32_e32 v20, 0x3f490fdb, v24, vcc_lo
	v_cmp_gt_f32_e64 vcc_lo, 0x33800000, |v18|
	v_cmp_class_f32_e64 s1, v3, 0x204
	v_cndmask_b32_e32 v8, v8, v18, vcc_lo
	v_cmp_eq_f32_e32 vcc_lo, 0, v3
	s_delay_alu instid0(VALU_DEP_2) | instskip(SKIP_1) | instid1(VALU_DEP_1)
	v_dual_mul_f32 v8, 0.5, v8 :: v_dual_cndmask_b32 v15, v15, v19
	s_and_b32 vcc_lo, s3, s1
                                        ; implicit-def: $vgpr18_vgpr19
	v_cndmask_b32_e32 v28, v15, v20, vcc_lo
.LBB186_236:                            ;   in Loop: Header=BB186_162 Depth=1
	s_and_not1_saveexec_b32 s19, s2
	s_cbranch_execz .LBB186_244
; %bb.237:                              ;   in Loop: Header=BB186_162 Depth=1
	v_pk_mul_f32 v[20:21], v[18:19], v[18:19]
                                        ; implicit-def: $vgpr8
                                        ; implicit-def: $vgpr28
	s_mov_b32 s1, exec_lo
	s_delay_alu instid0(VALU_DEP_1) | instskip(NEXT) | instid1(VALU_DEP_1)
	v_add_f32_e32 v15, v21, v20
	v_cmpx_ge_f32_e32 0x3f333333, v15
	s_xor_b32 s2, exec_lo, s1
	s_cbranch_execz .LBB186_239
; %bb.238:                              ;   in Loop: Header=BB186_162 Depth=1
	v_max_num_f32_e64 v8, |v3|, |v3|
	v_max_num_f32_e64 v18, |v2|, |v2|
	v_cmp_gt_f32_e32 vcc_lo, 0x800000, v15
	v_cmp_gt_i32_e64 s1, 0, v2
	v_cmp_class_f32_e64 s3, v2, 0x204
	v_cmp_class_f32_e64 s4, v3, 0x204
	v_dual_max_num_f32 v19, v18, v8 :: v_dual_min_num_f32 v8, v18, v8
	v_cndmask_b32_e64 v21, 0, 0x41b17218, vcc_lo
	s_delay_alu instid0(VALU_DEP_2) | instskip(SKIP_1) | instid1(VALU_DEP_2)
	v_frexp_mant_f32_e32 v20, v19
	v_frexp_exp_i32_f32_e32 v18, v19
	v_rcp_f32_e32 v19, v20
	v_nop
	v_frexp_exp_i32_f32_e32 v20, v8
	v_frexp_mant_f32_e32 v8, v8
	s_delay_alu instid0(VALU_DEP_2)
	v_sub_nc_u32_e32 v18, v20, v18
	s_delay_alu instid0(TRANS32_DEP_1) | instid1(VALU_DEP_2)
	v_mul_f32_e32 v8, v8, v19
	v_cndmask_b32_e64 v20, 0, 32, vcc_lo
	s_delay_alu instid0(VALU_DEP_2) | instskip(NEXT) | instid1(VALU_DEP_2)
	v_ldexp_f32 v8, v8, v18
	v_ldexp_f32 v15, v15, v20
	s_delay_alu instid0(VALU_DEP_2) | instskip(NEXT) | instid1(VALU_DEP_2)
	v_mul_f32_e32 v18, v8, v8
	v_log_f32_e32 v15, v15
	s_delay_alu instid0(VALU_DEP_1) | instskip(NEXT) | instid1(TRANS32_DEP_1)
	v_fmaak_f32 v19, s11, v18, 0xbc7a590c
	v_cmp_gt_f32_e64 vcc_lo, 0x7f800000, |v15|
	s_delay_alu instid0(VALU_DEP_2) | instskip(NEXT) | instid1(VALU_DEP_1)
	v_fmaak_f32 v19, v18, v19, 0x3d29fb3f
	v_fmaak_f32 v19, v18, v19, 0xbd97d4d7
	s_delay_alu instid0(VALU_DEP_1) | instskip(NEXT) | instid1(VALU_DEP_1)
	v_fmaak_f32 v19, v18, v19, 0x3dd931b2
	v_fmaak_f32 v19, v18, v19, 0xbe1160e6
	s_delay_alu instid0(VALU_DEP_1) | instskip(NEXT) | instid1(VALU_DEP_1)
	;; [unrolled: 3-line block ×3, first 2 shown]
	v_mul_f32_e32 v18, v18, v19
	v_dual_mul_f32 v19, 0x3f317217, v15 :: v_dual_fmac_f32 v8, v8, v18
	s_delay_alu instid0(VALU_DEP_1) | instskip(NEXT) | instid1(VALU_DEP_2)
	v_fma_f32 v18, 0x3f317217, v15, -v19
	v_sub_f32_e32 v19, 0x3fc90fdb, v8
	s_delay_alu instid0(VALU_DEP_2) | instskip(NEXT) | instid1(VALU_DEP_2)
	v_fmac_f32_e32 v18, 0x3377d1cf, v15
	v_cndmask_b32_e64 v8, v8, v19, s0
	s_delay_alu instid0(VALU_DEP_2) | instskip(SKIP_2) | instid1(VALU_DEP_3)
	v_fmac_f32_e32 v18, 0x3f317217, v15
	v_cndmask_b32_e64 v19, 0, 0x40490fdb, s1
	v_cmp_eq_f32_e64 s1, 0, v3
	v_dual_sub_f32 v20, 0x40490fdb, v8 :: v_dual_cndmask_b32 v15, v15, v18
	v_cmp_gt_f32_e32 vcc_lo, 0, v2
	s_delay_alu instid0(VALU_DEP_2) | instskip(NEXT) | instid1(VALU_DEP_1)
	v_dual_sub_f32 v15, v15, v21 :: v_dual_cndmask_b32 v8, v8, v20
	v_cndmask_b32_e64 v18, v8, v19, s1
	s_delay_alu instid0(VALU_DEP_2) | instskip(SKIP_1) | instid1(VALU_DEP_1)
	v_dual_cndmask_b32 v19, 0x3f490fdb, v24 :: v_dual_mul_f32 v8, 0.5, v15
	s_and_b32 vcc_lo, s3, s4
	v_cndmask_b32_e32 v28, v18, v19, vcc_lo
                                        ; implicit-def: $vgpr18
.LBB186_239:                            ;   in Loop: Header=BB186_162 Depth=1
	s_and_not1_saveexec_b32 s20, s2
	s_cbranch_execz .LBB186_243
; %bb.240:                              ;   in Loop: Header=BB186_162 Depth=1
	v_and_b32_e32 v21, 0x7fff0000, v18
	v_and_b32_e32 v20, 0x7fff0000, v19
	s_mov_b32 s21, 0
	s_delay_alu instid0(VALU_DEP_1) | instskip(SKIP_2) | instid1(VALU_DEP_2)
	v_dual_add_f32 v32, v21, v21 :: v_dual_add_f32 v15, v20, v20
	v_pk_add_f32 v[22:23], v[18:19], v[20:21] op_sel:[1,0] op_sel_hi:[0,1] neg_lo:[0,1] neg_hi:[0,1]
	v_pk_mul_f32 v[18:19], v[20:21], v[20:21]
	v_and_b32_e32 v31, 0xffff0000, v23
	s_delay_alu instid0(VALU_DEP_3) | instskip(NEXT) | instid1(VALU_DEP_1)
	v_and_b32_e32 v30, 0xffff0000, v22
	v_dual_add_f32 v34, v31, v31 :: v_dual_add_f32 v33, v30, v30
	v_pk_add_f32 v[20:21], v[22:23], v[30:31] neg_lo:[0,1] neg_hi:[0,1]
	v_dual_mul_f32 v8, v15, v30 :: v_dual_mul_f32 v29, v32, v31
	v_pk_mul_f32 v[22:23], v[30:31], v[30:31]
	s_delay_alu instid0(VALU_DEP_3)
	v_dual_mul_f32 v28, v15, v20 :: v_dual_mul_f32 v31, v32, v21
	v_dual_mul_f32 v15, v33, v20 :: v_dual_mul_f32 v30, v34, v21
	v_pk_mul_f32 v[20:21], v[20:21], v[20:21]
.LBB186_241:                            ;   Parent Loop BB186_162 Depth=1
                                        ; =>  This Inner Loop Header: Depth=2
	v_cmp_nlt_f32_e32 vcc_lo, v18, v19
	v_dual_cndmask_b32 v32, v18, v19, vcc_lo :: v_dual_cndmask_b32 v18, v19, v18, vcc_lo
	s_delay_alu instid0(VALU_DEP_1) | instskip(NEXT) | instid1(VALU_DEP_1)
	v_cmp_nlt_f32_e64 s1, v32, v8
	v_cndmask_b32_e64 v33, v32, v8, s1
	v_cndmask_b32_e64 v19, v8, v32, s1
	s_and_b32 s1, vcc_lo, s1
	s_delay_alu instid0(VALU_DEP_2) | instskip(NEXT) | instid1(VALU_DEP_1)
	v_cmp_nlt_f32_e64 s2, v33, v29
	v_cndmask_b32_e64 v34, v33, v29, s2
	s_delay_alu instid0(VALU_DEP_1) | instskip(NEXT) | instid1(VALU_DEP_1)
	v_cmp_nlt_f32_e64 s3, v34, v22
	v_cndmask_b32_e64 v32, v34, v22, s3
	s_and_b32 s22, s2, s3
	s_delay_alu instid0(VALU_DEP_1) | instskip(SKIP_1) | instid1(VALU_DEP_2)
	v_cmp_nlt_f32_e64 s4, v32, v23
	v_dual_cndmask_b32 v8, v29, v33, s2 :: v_dual_cndmask_b32 v29, v22, v34, s3
	v_dual_cndmask_b32 v33, v32, v23, s4 :: v_dual_cndmask_b32 v22, v23, v32, s4
	s_delay_alu instid0(VALU_DEP_1) | instskip(NEXT) | instid1(VALU_DEP_1)
	v_cmp_nlt_f32_e64 s5, v33, v28
	v_cndmask_b32_e64 v35, v33, v28, s5
	s_and_b32 s4, s4, s5
	s_delay_alu instid0(VALU_DEP_1) | instskip(NEXT) | instid1(VALU_DEP_1)
	v_cmp_nlt_f32_e64 s6, v35, v31
	v_dual_cndmask_b32 v23, v28, v33, s5 :: v_dual_cndmask_b32 v28, v31, v35, s6
	v_cndmask_b32_e64 v36, v35, v31, s6
	s_and_b32 s4, s4, s6
	s_delay_alu instid0(VALU_DEP_1) | instskip(NEXT) | instid1(VALU_DEP_1)
	v_cmp_nlt_f32_e64 s7, v36, v15
	v_cndmask_b32_e64 v34, v36, v15, s7
	s_and_b32 s5, s4, s7
	s_delay_alu instid0(VALU_DEP_1) | instskip(NEXT) | instid1(VALU_DEP_1)
	v_cmp_nlt_f32_e64 s2, v34, v30
	v_cndmask_b32_e64 v32, v34, v30, s2
	s_delay_alu instid0(VALU_DEP_1) | instskip(NEXT) | instid1(VALU_DEP_1)
	v_cmp_nlt_f32_e64 s3, v32, v20
	v_cndmask_b32_e64 v33, v32, v20, s3
	v_dual_cndmask_b32 v31, v15, v36, s7 :: v_dual_cndmask_b32 v15, v30, v34, s2
	s_and_b32 s2, s5, s2
	s_delay_alu instid0(VALU_DEP_2)
	v_cmp_nlt_f32_e64 s4, v33, v21
	s_and_b32 s2, s2, s3
	v_cndmask_b32_e64 v30, v20, v32, s3
	s_and_b32 s2, s2, s4
	v_cndmask_b32_e64 v20, v21, v33, s4
	;; [unrolled: 2-line block ×3, first 2 shown]
	s_and_b32 s1, s2, s1
	s_delay_alu instid0(SALU_CYCLE_1) | instskip(NEXT) | instid1(SALU_CYCLE_1)
	s_and_b32 s1, exec_lo, s1
	s_or_b32 s21, s1, s21
	s_delay_alu instid0(SALU_CYCLE_1)
	s_and_not1_b32 exec_lo, exec_lo, s21
	s_cbranch_execnz .LBB186_241
; %bb.242:                              ;   in Loop: Header=BB186_162 Depth=1
	s_or_b32 exec_lo, exec_lo, s21
	v_add_f32_e32 v18, -1.0, v18
	v_cmp_class_f32_e64 s2, v2, 0x204
	s_delay_alu instid0(VALU_DEP_2) | instskip(NEXT) | instid1(VALU_DEP_1)
	v_add_f32_e32 v18, v18, v19
	v_add_f32_e32 v8, v18, v8
	s_delay_alu instid0(VALU_DEP_1) | instskip(NEXT) | instid1(VALU_DEP_1)
	v_add_f32_e32 v8, v8, v29
	v_add_f32_e32 v8, v8, v22
	s_delay_alu instid0(VALU_DEP_1) | instskip(NEXT) | instid1(VALU_DEP_1)
	;; [unrolled: 3-line block ×5, first 2 shown]
	v_add_f32_e32 v18, v21, v8
	v_add_f32_e32 v21, 1.0, v18
	s_delay_alu instid0(VALU_DEP_1) | instskip(SKIP_2) | instid1(VALU_DEP_2)
	v_cvt_f64_f32_e32 v[22:23], v21
	v_frexp_mant_f32_e32 v15, v21
	v_add_f32_e32 v19, -1.0, v21
	v_cmp_gt_f32_e32 vcc_lo, 0x3f2aaaab, v15
	s_delay_alu instid0(VALU_DEP_2) | instskip(SKIP_1) | instid1(VALU_DEP_1)
	v_mov_b32_e32 v20, v19
	v_frexp_exp_i32_f64_e32 v8, v[22:23]
	v_subrev_co_ci_u32_e64 v8, null, 0, v8, vcc_lo
	s_delay_alu instid0(VALU_DEP_1) | instskip(NEXT) | instid1(VALU_DEP_4)
	v_sub_nc_u32_e32 v15, 0, v8
	v_pk_add_f32 v[22:23], v[18:19], v[20:21] neg_lo:[0,1] neg_hi:[0,1]
	v_cmp_neq_f32_e32 vcc_lo, 0x7f800000, v18
	v_cmp_neq_f32_e64 s1, -1.0, v18
	s_delay_alu instid0(VALU_DEP_4) | instskip(NEXT) | instid1(VALU_DEP_4)
	v_ldexp_f32 v19, v21, v15
	v_add_f32_e32 v20, 1.0, v23
	s_delay_alu instid0(VALU_DEP_1) | instskip(SKIP_1) | instid1(VALU_DEP_2)
	v_dual_add_f32 v23, 1.0, v19 :: v_dual_add_f32 v20, v22, v20
	v_add_f32_e32 v29, -1.0, v19
	v_ldexp_f32 v15, v20, v15
	s_delay_alu instid0(VALU_DEP_3) | instskip(NEXT) | instid1(VALU_DEP_1)
	v_add_f32_e32 v21, -1.0, v23
	v_sub_f32_e32 v20, v19, v21
	s_delay_alu instid0(VALU_DEP_1) | instskip(NEXT) | instid1(VALU_DEP_1)
	v_dual_add_f32 v20, v15, v20 :: v_dual_add_f32 v21, 1.0, v29
	v_add_f32_e32 v30, v23, v20
	s_delay_alu instid0(VALU_DEP_2) | instskip(NEXT) | instid1(VALU_DEP_1)
	v_sub_f32_e32 v19, v19, v21
	v_add_f32_e32 v15, v15, v19
	s_delay_alu instid0(VALU_DEP_3) | instskip(NEXT) | instid1(VALU_DEP_1)
	v_rcp_f32_e32 v19, v30
	v_add_f32_e32 v21, v29, v15
	s_delay_alu instid0(TRANS32_DEP_1) | instid1(VALU_DEP_1)
	v_mul_f32_e32 v31, v21, v19
	s_delay_alu instid0(VALU_DEP_1) | instskip(NEXT) | instid1(VALU_DEP_1)
	v_mul_f32_e32 v22, v30, v31
	v_dual_fma_f32 v28, v31, v30, -v22 :: v_dual_sub_f32 v23, v30, v23
	s_delay_alu instid0(VALU_DEP_1) | instskip(NEXT) | instid1(VALU_DEP_1)
	v_sub_f32_e32 v32, v20, v23
	v_fmac_f32_e32 v28, v31, v32
	s_delay_alu instid0(VALU_DEP_1) | instskip(NEXT) | instid1(VALU_DEP_1)
	v_dual_add_f32 v20, v22, v28 :: v_dual_sub_f32 v33, v21, v29
	v_dual_mov_b32 v29, v20 :: v_dual_sub_f32 v23, v21, v20
	s_delay_alu instid0(VALU_DEP_2) | instskip(NEXT) | instid1(VALU_DEP_2)
	v_sub_f32_e32 v15, v15, v33
	v_pk_add_f32 v[20:21], v[20:21], v[22:23] neg_lo:[0,1] neg_hi:[0,1]
	s_delay_alu instid0(VALU_DEP_1) | instskip(NEXT) | instid1(VALU_DEP_1)
	v_pk_add_f32 v[20:21], v[20:21], v[28:29] neg_lo:[0,1] neg_hi:[0,1]
	v_add_f32_e32 v15, v15, v21
	s_delay_alu instid0(VALU_DEP_1) | instskip(NEXT) | instid1(VALU_DEP_1)
	v_add_f32_e32 v15, v20, v15
	v_add_f32_e32 v21, v23, v15
	s_delay_alu instid0(VALU_DEP_1) | instskip(NEXT) | instid1(VALU_DEP_1)
	v_mul_f32_e32 v33, v19, v21
	v_mul_f32_e32 v28, v30, v33
	s_delay_alu instid0(VALU_DEP_1) | instskip(NEXT) | instid1(VALU_DEP_1)
	v_fma_f32 v22, v33, v30, -v28
	v_dual_fmac_f32 v22, v33, v32 :: v_dual_sub_f32 v30, v23, v21
	s_delay_alu instid0(VALU_DEP_1) | instskip(NEXT) | instid1(VALU_DEP_1)
	v_add_f32_e32 v20, v28, v22
	v_dual_add_f32 v15, v15, v30 :: v_dual_sub_f32 v29, v21, v20
	v_mov_b32_e32 v23, v20
	s_delay_alu instid0(VALU_DEP_2) | instskip(NEXT) | instid1(VALU_DEP_1)
	v_pk_add_f32 v[20:21], v[20:21], v[28:29] neg_lo:[0,1] neg_hi:[0,1]
	v_pk_add_f32 v[20:21], v[20:21], v[22:23] neg_lo:[0,1] neg_hi:[0,1]
	s_delay_alu instid0(VALU_DEP_1) | instskip(NEXT) | instid1(VALU_DEP_1)
	v_add_f32_e32 v15, v15, v21
	v_dual_add_f32 v30, v31, v33 :: v_dual_add_f32 v15, v20, v15
	s_delay_alu instid0(VALU_DEP_1) | instskip(NEXT) | instid1(VALU_DEP_2)
	v_sub_f32_e32 v20, v30, v31
	v_add_f32_e32 v15, v29, v15
	s_delay_alu instid0(VALU_DEP_1) | instskip(NEXT) | instid1(VALU_DEP_1)
	v_dual_sub_f32 v20, v33, v20 :: v_dual_mul_f32 v15, v19, v15
	v_add_f32_e32 v19, v20, v15
	v_cvt_f32_i32_e32 v20, v8
	s_delay_alu instid0(VALU_DEP_2) | instskip(NEXT) | instid1(VALU_DEP_1)
	v_add_f32_e32 v31, v30, v19
	v_mul_f32_e32 v15, v31, v31
	v_ldexp_f32 v29, v31, 1
	s_delay_alu instid0(VALU_DEP_2) | instskip(NEXT) | instid1(VALU_DEP_1)
	v_dual_fmaak_f32 v22, s10, v15, 0x3ecc95a3 :: v_dual_mul_f32 v21, v31, v15
	v_fmaak_f32 v15, v15, v22, 0x3f2aaada
	s_delay_alu instid0(VALU_DEP_1) | instskip(NEXT) | instid1(VALU_DEP_1)
	v_pk_mul_f32 v[22:23], v[20:21], v[14:15]
	v_fma_f32 v28, 0x3f317218, v20, -v22
	s_delay_alu instid0(VALU_DEP_1) | instskip(NEXT) | instid1(VALU_DEP_1)
	v_fmac_f32_e32 v28, 0xb102e308, v20
	v_pk_add_f32 v[20:21], v[22:23], v[28:29]
	s_delay_alu instid0(VALU_DEP_1) | instskip(NEXT) | instid1(VALU_DEP_2)
	v_dual_sub_f32 v15, v21, v29 :: v_dual_sub_f32 v8, v31, v30
	v_dual_mov_b32 v30, v22 :: v_dual_mov_b32 v29, v20
	s_delay_alu instid0(VALU_DEP_2) | instskip(NEXT) | instid1(VALU_DEP_3)
	v_dual_mov_b32 v38, v21 :: v_dual_sub_f32 v15, v23, v15
	v_sub_f32_e32 v8, v19, v8
	v_pk_add_f32 v[22:23], v[20:21], v[22:23] neg_lo:[0,1] neg_hi:[0,1]
	s_delay_alu instid0(VALU_DEP_2) | instskip(NEXT) | instid1(VALU_DEP_1)
	v_ldexp_f32 v8, v8, 1
	v_add_f32_e32 v31, v8, v15
	v_max_num_f32_e64 v8, |v3|, |v3|
	v_max_num_f32_e64 v15, |v2|, |v2|
	s_delay_alu instid0(VALU_DEP_3) | instskip(NEXT) | instid1(VALU_DEP_2)
	v_pk_add_f32 v[32:33], v[20:21], v[30:31]
	v_dual_max_num_f32 v19, v15, v8 :: v_dual_min_num_f32 v15, v15, v8
	s_delay_alu instid0(VALU_DEP_2) | instskip(NEXT) | instid1(VALU_DEP_2)
	v_mov_b32_e32 v23, v33
	v_frexp_exp_i32_f32_e32 v30, v19
	s_delay_alu instid0(VALU_DEP_3) | instskip(SKIP_1) | instid1(VALU_DEP_4)
	v_frexp_mant_f32_e32 v40, v15
	v_frexp_mant_f32_e32 v19, v19
	v_pk_add_f32 v[34:35], v[28:29], v[22:23]
	v_frexp_exp_i32_f32_e32 v34, v15
	v_pk_add_f32 v[22:23], v[28:29], v[22:23] neg_lo:[0,1] neg_hi:[0,1]
	s_delay_alu instid0(VALU_DEP_4) | instskip(NEXT) | instid1(VALU_DEP_3)
	v_rcp_f32_e32 v19, v19
	v_dual_mov_b32 v8, v35 :: v_dual_mov_b32 v23, v35
	s_delay_alu instid0(VALU_DEP_1) | instskip(SKIP_2) | instid1(VALU_DEP_3)
	v_pk_add_f32 v[36:37], v[8:9], v[20:21] neg_lo:[0,1] neg_hi:[0,1]
	v_dual_mov_b32 v34, v33 :: v_dual_sub_nc_u32 v37, v34, v30
	v_dual_mov_b32 v21, v20 :: v_dual_mov_b32 v20, v31
	v_dual_mov_b32 v39, v36 :: v_dual_mov_b32 v15, v36
	s_delay_alu instid0(VALU_DEP_1) | instskip(NEXT) | instid1(VALU_DEP_2)
	v_pk_add_f32 v[28:29], v[34:35], v[38:39] neg_lo:[0,1] neg_hi:[0,1]
	v_pk_add_f32 v[30:31], v[32:33], v[14:15] neg_lo:[0,1] neg_hi:[0,1]
	v_mov_b32_e32 v30, v22
	s_delay_alu instid0(VALU_DEP_3) | instskip(NEXT) | instid1(VALU_DEP_1)
	v_pk_add_f32 v[20:21], v[20:21], v[28:29] neg_lo:[0,1] neg_hi:[0,1]
	v_pk_add_f32 v[28:29], v[30:31], v[20:21]
	s_delay_alu instid0(VALU_DEP_1) | instskip(NEXT) | instid1(VALU_DEP_1)
	v_dual_mul_f32 v19, v40, v19 :: v_dual_mov_b32 v30, v29
	v_ldexp_f32 v15, v19, v37
	s_delay_alu instid0(VALU_DEP_2) | instskip(NEXT) | instid1(VALU_DEP_1)
	v_pk_add_f32 v[30:31], v[28:29], v[30:31]
	v_pk_add_f32 v[32:33], v[8:9], v[30:31]
	s_delay_alu instid0(VALU_DEP_1) | instskip(NEXT) | instid1(VALU_DEP_1)
	v_dual_mul_f32 v19, v15, v15 :: v_dual_mov_b32 v29, v32
	v_pk_add_f32 v[34:35], v[28:29], v[22:23] neg_lo:[0,1] neg_hi:[0,1]
	s_delay_alu instid0(VALU_DEP_1) | instskip(NEXT) | instid1(VALU_DEP_1)
	v_sub_f32_e32 v23, v28, v34
	v_sub_f32_e32 v22, v22, v23
	s_delay_alu instid0(VALU_DEP_4) | instskip(NEXT) | instid1(VALU_DEP_1)
	v_fmaak_f32 v21, s11, v19, 0xbc7a590c
	v_fmaak_f32 v21, v19, v21, 0x3d29fb3f
	s_delay_alu instid0(VALU_DEP_1) | instskip(NEXT) | instid1(VALU_DEP_1)
	v_dual_fmaak_f32 v8, v19, v21, 0xbd97d4d7 :: v_dual_mov_b32 v21, v30
	v_fmaak_f32 v8, v19, v8, 0x3dd931b2
	s_delay_alu instid0(VALU_DEP_2) | instskip(NEXT) | instid1(VALU_DEP_2)
	v_pk_add_f32 v[20:21], v[20:21], v[34:35] neg_lo:[0,1] neg_hi:[0,1]
	v_fmaak_f32 v8, v19, v8, 0xbe1160e6
	s_delay_alu instid0(VALU_DEP_1) | instskip(NEXT) | instid1(VALU_DEP_1)
	v_fmaak_f32 v8, v19, v8, 0x3e4cb8bf
	v_fmaak_f32 v8, v19, v8, 0xbeaaaa62
	s_delay_alu instid0(VALU_DEP_1) | instskip(NEXT) | instid1(VALU_DEP_1)
	v_mul_f32_e32 v8, v19, v8
	v_dual_fmac_f32 v15, v15, v8 :: v_dual_add_f32 v20, v20, v22
	s_delay_alu instid0(VALU_DEP_1) | instskip(NEXT) | instid1(VALU_DEP_1)
	v_add_f32_e32 v19, v20, v21
	v_add_f32_e32 v8, v32, v19
	s_delay_alu instid0(VALU_DEP_3) | instskip(NEXT) | instid1(VALU_DEP_1)
	v_sub_f32_e32 v19, 0x3fc90fdb, v15
	v_cndmask_b32_e64 v15, v15, v19, s0
	s_delay_alu instid0(VALU_DEP_3) | instskip(SKIP_1) | instid1(VALU_DEP_3)
	v_cndmask_b32_e32 v8, 0x7f800000, v8, vcc_lo
	v_cmp_gt_i32_e32 vcc_lo, 0, v2
	v_sub_f32_e32 v20, 0x40490fdb, v15
	v_cndmask_b32_e64 v19, 0, 0x40490fdb, vcc_lo
	v_cmp_ngt_f32_e32 vcc_lo, -1.0, v18
	v_cndmask_b32_e32 v8, 0x7fc00000, v8, vcc_lo
	v_cmp_gt_f32_e32 vcc_lo, 0, v2
	s_delay_alu instid0(VALU_DEP_2)
	v_cndmask_b32_e64 v8, 0xff800000, v8, s1
	v_cndmask_b32_e32 v15, v15, v20, vcc_lo
	v_cndmask_b32_e32 v20, 0x3f490fdb, v24, vcc_lo
	v_cmp_gt_f32_e64 vcc_lo, 0x33800000, |v18|
	v_cmp_class_f32_e64 s1, v3, 0x204
	v_cndmask_b32_e32 v8, v8, v18, vcc_lo
	v_cmp_eq_f32_e32 vcc_lo, 0, v3
	s_delay_alu instid0(VALU_DEP_2) | instskip(SKIP_1) | instid1(VALU_DEP_1)
	v_dual_mul_f32 v8, 0.5, v8 :: v_dual_cndmask_b32 v15, v15, v19
	s_and_b32 vcc_lo, s2, s1
	v_cndmask_b32_e32 v28, v15, v20, vcc_lo
.LBB186_243:                            ;   in Loop: Header=BB186_162 Depth=1
	s_or_b32 exec_lo, exec_lo, s20
.LBB186_244:                            ;   in Loop: Header=BB186_162 Depth=1
	s_delay_alu instid0(SALU_CYCLE_1)
	s_or_b32 exec_lo, exec_lo, s19
.LBB186_245:                            ;   in Loop: Header=BB186_162 Depth=1
	s_and_not1_saveexec_b32 s2, s18
	s_cbranch_execz .LBB186_247
; %bb.246:                              ;   in Loop: Header=BB186_162 Depth=1
	v_max_num_f32_e64 v8, |v3|, |v3|
	v_max_num_f32_e64 v15, |v2|, |v2|
	v_cmp_gt_i32_e64 s1, 0, v2
	v_cmp_class_f32_e64 s3, v2, 0x204
	v_cmp_class_f32_e64 s4, v3, 0x204
	s_delay_alu instid0(VALU_DEP_4) | instskip(NEXT) | instid1(VALU_DEP_1)
	v_dual_max_num_f32 v20, v15, v8 :: v_dual_min_num_f32 v8, v15, v8
	v_cvt_f64_f32_e32 v[18:19], v20
	v_frexp_exp_i32_f32_e32 v15, v20
	s_delay_alu instid0(VALU_DEP_3) | instskip(SKIP_2) | instid1(VALU_DEP_3)
	v_frexp_exp_i32_f32_e32 v21, v8
	v_frexp_mant_f32_e32 v8, v8
	v_cmp_neq_f32_e32 vcc_lo, 0x7f800000, v20
	v_sub_nc_u32_e32 v15, v21, v15
	v_frexp_exp_i32_f64_e32 v18, v[18:19]
	v_frexp_mant_f32_e32 v19, v20
	s_delay_alu instid0(VALU_DEP_1) | instskip(SKIP_1) | instid1(TRANS32_DEP_1)
	v_rcp_f32_e32 v19, v19
	v_nop
	v_mul_f32_e32 v8, v8, v19
	s_delay_alu instid0(VALU_DEP_1) | instskip(NEXT) | instid1(VALU_DEP_1)
	v_ldexp_f32 v8, v8, v15
	v_dual_mul_f32 v19, v8, v8 :: v_dual_sub_nc_u32 v15, 0, v18
	s_delay_alu instid0(VALU_DEP_1) | instskip(NEXT) | instid1(VALU_DEP_2)
	v_ldexp_f32 v21, |v3|, v15
	v_fmaak_f32 v22, s11, v19, 0xbc7a590c
	v_ldexp_f32 v15, |v2|, v15
	s_delay_alu instid0(VALU_DEP_2) | instskip(NEXT) | instid1(VALU_DEP_1)
	v_dual_mul_f32 v21, v21, v21 :: v_dual_fmaak_f32 v22, v19, v22, 0x3d29fb3f
	v_fmac_f32_e32 v21, v15, v15
	s_delay_alu instid0(VALU_DEP_2) | instskip(NEXT) | instid1(VALU_DEP_2)
	v_fmaak_f32 v15, v19, v22, 0xbd97d4d7
	v_sqrt_f32_e32 v21, v21
	s_delay_alu instid0(VALU_DEP_1) | instskip(NEXT) | instid1(VALU_DEP_1)
	v_fmaak_f32 v15, v19, v15, 0x3dd931b2
	v_fmaak_f32 v15, v19, v15, 0xbe1160e6
	s_delay_alu instid0(TRANS32_DEP_1) | instskip(NEXT) | instid1(VALU_DEP_2)
	v_ldexp_f32 v18, v21, v18
	v_fmaak_f32 v15, v19, v15, 0x3e4cb8bf
	s_delay_alu instid0(VALU_DEP_2) | instskip(NEXT) | instid1(VALU_DEP_2)
	v_cndmask_b32_e32 v18, 0x7f800000, v18, vcc_lo
	v_fmaak_f32 v15, v19, v15, 0xbeaaaa62
	s_delay_alu instid0(VALU_DEP_2) | instskip(NEXT) | instid1(VALU_DEP_2)
	v_cmp_gt_f32_e32 vcc_lo, 0x800000, v18
	v_mul_f32_e32 v15, v19, v15
	v_cndmask_b32_e64 v20, 0, 32, vcc_lo
	v_cndmask_b32_e64 v21, 0, 0x41b17218, vcc_lo
	s_delay_alu instid0(VALU_DEP_2) | instskip(NEXT) | instid1(VALU_DEP_1)
	v_ldexp_f32 v18, v18, v20
	v_log_f32_e32 v18, v18
	v_nop
	s_delay_alu instid0(TRANS32_DEP_1) | instskip(SKIP_1) | instid1(VALU_DEP_2)
	v_dual_fmac_f32 v8, v8, v15 :: v_dual_mul_f32 v15, 0x3f317217, v18
	v_cmp_gt_f32_e64 vcc_lo, 0x7f800000, |v18|
	v_fma_f32 v15, 0x3f317217, v18, -v15
	s_delay_alu instid0(VALU_DEP_1) | instskip(NEXT) | instid1(VALU_DEP_1)
	v_fmac_f32_e32 v15, 0x3377d1cf, v18
	v_fmac_f32_e32 v15, 0x3f317217, v18
	s_delay_alu instid0(VALU_DEP_1) | instskip(SKIP_2) | instid1(VALU_DEP_2)
	v_cndmask_b32_e32 v15, v18, v15, vcc_lo
	v_sub_f32_e32 v19, 0x3fc90fdb, v8
	v_cmp_eq_f32_e32 vcc_lo, 0, v3
	v_cndmask_b32_e64 v8, v8, v19, s0
	v_cndmask_b32_e64 v19, 0, 0x40490fdb, s1
	v_cmp_gt_f32_e64 s1, 0, v2
	s_delay_alu instid0(VALU_DEP_3) | instskip(NEXT) | instid1(VALU_DEP_1)
	v_sub_f32_e32 v20, 0x40490fdb, v8
	v_cndmask_b32_e64 v8, v8, v20, s1
	v_cndmask_b32_e64 v20, 0x3f490fdb, v24, s1
	s_delay_alu instid0(VALU_DEP_2)
	v_cndmask_b32_e32 v18, v8, v19, vcc_lo
	s_and_b32 vcc_lo, s3, s4
	s_delay_alu instid0(VALU_DEP_1) | instid1(SALU_CYCLE_1)
	v_dual_sub_f32 v8, v15, v21 :: v_dual_cndmask_b32 v28, v18, v20, vcc_lo
.LBB186_247:                            ;   in Loop: Header=BB186_162 Depth=1
	s_or_b32 exec_lo, exec_lo, s2
                                        ; implicit-def: $vgpr18
.LBB186_248:                            ;   in Loop: Header=BB186_162 Depth=1
	s_and_not1_saveexec_b32 s2, s17
	s_cbranch_execz .LBB186_254
; %bb.249:                              ;   in Loop: Header=BB186_162 Depth=1
                                        ; implicit-def: $vgpr8
                                        ; implicit-def: $vgpr28
	s_mov_b32 s1, exec_lo
	v_cmpx_ngt_f32_e32 0x1fec1e4a, v18
	s_xor_b32 s3, exec_lo, s1
	s_cbranch_execz .LBB186_251
; %bb.250:                              ;   in Loop: Header=BB186_162 Depth=1
	v_pk_mul_f32 v[18:19], v[18:19], v[18:19]
	v_max_num_f32_e64 v34, |v2|, |v2|
	v_cmp_class_f32_e64 s4, v2, 0x204
	s_delay_alu instid0(VALU_DEP_3) | instskip(SKIP_1) | instid1(VALU_DEP_2)
	v_add_f32_e32 v21, 1.0, v18
	v_cmp_neq_f32_e64 s1, 0x7f800000, v18
	v_add_f32_e32 v19, -1.0, v21
	s_delay_alu instid0(VALU_DEP_1) | instskip(SKIP_2) | instid1(VALU_DEP_1)
	v_mov_b32_e32 v20, v19
	v_cvt_f64_f32_e32 v[22:23], v21
	v_frexp_mant_f32_e32 v15, v21
	v_cmp_gt_f32_e32 vcc_lo, 0x3f2aaaab, v15
	s_delay_alu instid0(VALU_DEP_3) | instskip(NEXT) | instid1(VALU_DEP_1)
	v_frexp_exp_i32_f64_e32 v8, v[22:23]
	v_subrev_co_ci_u32_e64 v8, null, 0, v8, vcc_lo
	v_cmp_gt_i32_e32 vcc_lo, 0, v2
	s_delay_alu instid0(VALU_DEP_2) | instskip(SKIP_1) | instid1(VALU_DEP_2)
	v_sub_nc_u32_e32 v15, 0, v8
	v_pk_add_f32 v[22:23], v[18:19], v[20:21] neg_lo:[0,1] neg_hi:[0,1]
	v_ldexp_f32 v19, v21, v15
	s_delay_alu instid0(VALU_DEP_2) | instskip(NEXT) | instid1(VALU_DEP_2)
	v_add_f32_e32 v20, 1.0, v23
	v_add_f32_e32 v23, 1.0, v19
	s_delay_alu instid0(VALU_DEP_1) | instskip(SKIP_1) | instid1(VALU_DEP_2)
	v_dual_add_f32 v21, -1.0, v23 :: v_dual_add_f32 v20, v22, v20
	v_add_f32_e32 v29, -1.0, v19
	v_ldexp_f32 v15, v20, v15
	s_delay_alu instid0(VALU_DEP_3) | instskip(NEXT) | instid1(VALU_DEP_1)
	v_sub_f32_e32 v20, v19, v21
	v_dual_add_f32 v21, 1.0, v29 :: v_dual_add_f32 v20, v15, v20
	s_delay_alu instid0(VALU_DEP_1) | instskip(NEXT) | instid1(VALU_DEP_1)
	v_sub_f32_e32 v19, v19, v21
	v_add_f32_e32 v15, v15, v19
	s_delay_alu instid0(VALU_DEP_1) | instskip(NEXT) | instid1(VALU_DEP_1)
	v_dual_add_f32 v21, v29, v15 :: v_dual_add_f32 v30, v23, v20
	v_sub_f32_e32 v33, v29, v21
	s_delay_alu instid0(VALU_DEP_2) | instskip(SKIP_1) | instid1(TRANS32_DEP_1)
	v_rcp_f32_e32 v19, v30
	v_nop
	v_dual_mul_f32 v31, v21, v19 :: v_dual_sub_f32 v23, v23, v30
	s_delay_alu instid0(VALU_DEP_1) | instskip(NEXT) | instid1(VALU_DEP_1)
	v_mul_f32_e32 v22, v30, v31
	v_dual_add_f32 v32, v20, v23 :: v_dual_fma_f32 v28, v31, v30, -v22
	s_delay_alu instid0(VALU_DEP_1) | instskip(NEXT) | instid1(VALU_DEP_1)
	v_fmac_f32_e32 v28, v31, v32
	v_dual_add_f32 v20, v22, v28 :: v_dual_add_f32 v15, v15, v33
	s_delay_alu instid0(VALU_DEP_1) | instskip(NEXT) | instid1(VALU_DEP_1)
	v_dual_sub_f32 v23, v21, v20 :: v_dual_mov_b32 v29, v20
	v_pk_add_f32 v[20:21], v[20:21], v[22:23] neg_lo:[0,1] neg_hi:[0,1]
	s_delay_alu instid0(VALU_DEP_1) | instskip(NEXT) | instid1(VALU_DEP_1)
	v_pk_add_f32 v[20:21], v[20:21], v[28:29] neg_lo:[0,1] neg_hi:[0,1]
	v_add_f32_e32 v15, v15, v21
	s_delay_alu instid0(VALU_DEP_1) | instskip(NEXT) | instid1(VALU_DEP_1)
	v_add_f32_e32 v15, v20, v15
	v_add_f32_e32 v21, v23, v15
	s_delay_alu instid0(VALU_DEP_1) | instskip(NEXT) | instid1(VALU_DEP_1)
	v_mul_f32_e32 v33, v19, v21
	v_mul_f32_e32 v28, v30, v33
	s_delay_alu instid0(VALU_DEP_1) | instskip(NEXT) | instid1(VALU_DEP_1)
	v_fma_f32 v22, v33, v30, -v28
	v_dual_fmac_f32 v22, v33, v32 :: v_dual_sub_f32 v30, v23, v21
	s_delay_alu instid0(VALU_DEP_1) | instskip(NEXT) | instid1(VALU_DEP_1)
	v_add_f32_e32 v20, v28, v22
	v_dual_add_f32 v15, v15, v30 :: v_dual_sub_f32 v29, v21, v20
	v_mov_b32_e32 v23, v20
	s_delay_alu instid0(VALU_DEP_2) | instskip(NEXT) | instid1(VALU_DEP_1)
	v_pk_add_f32 v[20:21], v[20:21], v[28:29] neg_lo:[0,1] neg_hi:[0,1]
	v_pk_add_f32 v[20:21], v[20:21], v[22:23] neg_lo:[0,1] neg_hi:[0,1]
	s_delay_alu instid0(VALU_DEP_1) | instskip(NEXT) | instid1(VALU_DEP_1)
	v_add_f32_e32 v15, v15, v21
	v_dual_add_f32 v30, v31, v33 :: v_dual_add_f32 v15, v20, v15
	s_delay_alu instid0(VALU_DEP_1) | instskip(NEXT) | instid1(VALU_DEP_2)
	v_sub_f32_e32 v20, v30, v31
	v_add_f32_e32 v15, v29, v15
	s_delay_alu instid0(VALU_DEP_1) | instskip(NEXT) | instid1(VALU_DEP_1)
	v_dual_sub_f32 v20, v33, v20 :: v_dual_mul_f32 v15, v19, v15
	v_add_f32_e32 v19, v20, v15
	v_cvt_f32_i32_e32 v20, v8
	s_delay_alu instid0(VALU_DEP_2) | instskip(NEXT) | instid1(VALU_DEP_1)
	v_add_f32_e32 v31, v30, v19
	v_mul_f32_e32 v15, v31, v31
	v_ldexp_f32 v29, v31, 1
	s_delay_alu instid0(VALU_DEP_2) | instskip(NEXT) | instid1(VALU_DEP_1)
	v_dual_fmaak_f32 v22, s10, v15, 0x3ecc95a3 :: v_dual_mul_f32 v21, v31, v15
	v_fmaak_f32 v15, v15, v22, 0x3f2aaada
	s_delay_alu instid0(VALU_DEP_1) | instskip(NEXT) | instid1(VALU_DEP_1)
	v_pk_mul_f32 v[22:23], v[20:21], v[14:15]
	v_fma_f32 v28, 0x3f317218, v20, -v22
	s_delay_alu instid0(VALU_DEP_1) | instskip(NEXT) | instid1(VALU_DEP_1)
	v_fmac_f32_e32 v28, 0xb102e308, v20
	v_pk_add_f32 v[20:21], v[22:23], v[28:29]
	s_delay_alu instid0(VALU_DEP_1) | instskip(NEXT) | instid1(VALU_DEP_2)
	v_dual_sub_f32 v15, v21, v29 :: v_dual_sub_f32 v8, v31, v30
	v_dual_mov_b32 v30, v22 :: v_dual_mov_b32 v29, v20
	s_delay_alu instid0(VALU_DEP_2) | instskip(NEXT) | instid1(VALU_DEP_3)
	v_sub_f32_e32 v15, v23, v15
	v_sub_f32_e32 v8, v19, v8
	v_max_num_f32_e64 v19, |v3|, |v3|
	v_pk_add_f32 v[22:23], v[20:21], v[22:23] neg_lo:[0,1] neg_hi:[0,1]
	s_delay_alu instid0(VALU_DEP_3) | instskip(NEXT) | instid1(VALU_DEP_1)
	v_ldexp_f32 v8, v8, 1
	v_add_f32_e32 v31, v8, v15
	s_delay_alu instid0(VALU_DEP_4) | instskip(NEXT) | instid1(VALU_DEP_2)
	v_dual_max_num_f32 v8, v34, v19 :: v_dual_min_num_f32 v19, v34, v19
	v_pk_add_f32 v[32:33], v[20:21], v[30:31]
	s_delay_alu instid0(VALU_DEP_2) | instskip(SKIP_1) | instid1(VALU_DEP_3)
	v_frexp_mant_f32_e32 v15, v8
	v_frexp_exp_i32_f32_e32 v30, v8
	v_dual_mov_b32 v38, v21 :: v_dual_mov_b32 v23, v33
	s_delay_alu instid0(VALU_DEP_3) | instskip(NEXT) | instid1(VALU_DEP_1)
	v_rcp_f32_e32 v15, v15
	v_pk_add_f32 v[34:35], v[28:29], v[22:23]
	v_pk_add_f32 v[22:23], v[28:29], v[22:23] neg_lo:[0,1] neg_hi:[0,1]
	s_delay_alu instid0(VALU_DEP_2) | instskip(SKIP_3) | instid1(VALU_DEP_4)
	v_mov_b32_e32 v8, v35
	v_frexp_exp_i32_f32_e32 v34, v19
	v_frexp_mant_f32_e32 v19, v19
	v_mov_b32_e32 v23, v35
	v_pk_add_f32 v[36:37], v[8:9], v[20:21] neg_lo:[0,1] neg_hi:[0,1]
	s_delay_alu instid0(VALU_DEP_3) | instskip(SKIP_1) | instid1(VALU_DEP_3)
	v_dual_mul_f32 v15, v19, v15 :: v_dual_sub_nc_u32 v30, v34, v30
	v_dual_mov_b32 v34, v33 :: v_dual_mov_b32 v21, v20
	v_dual_mov_b32 v39, v36 :: v_dual_mov_b32 v20, v31
	s_delay_alu instid0(VALU_DEP_3) | instskip(SKIP_1) | instid1(VALU_DEP_3)
	v_ldexp_f32 v19, v15, v30
	v_mov_b32_e32 v15, v36
	v_pk_add_f32 v[28:29], v[34:35], v[38:39] neg_lo:[0,1] neg_hi:[0,1]
	s_delay_alu instid0(VALU_DEP_3) | instskip(NEXT) | instid1(VALU_DEP_3)
	v_mul_f32_e32 v36, v19, v19
	v_pk_add_f32 v[30:31], v[32:33], v[14:15] neg_lo:[0,1] neg_hi:[0,1]
	v_mov_b32_e32 v30, v22
	s_delay_alu instid0(VALU_DEP_4) | instskip(NEXT) | instid1(VALU_DEP_1)
	v_pk_add_f32 v[20:21], v[20:21], v[28:29] neg_lo:[0,1] neg_hi:[0,1]
	v_pk_add_f32 v[28:29], v[30:31], v[20:21]
	s_delay_alu instid0(VALU_DEP_1) | instskip(NEXT) | instid1(VALU_DEP_1)
	v_dual_fmaak_f32 v15, s11, v36, 0xbc7a590c :: v_dual_mov_b32 v30, v29
	v_fmaak_f32 v15, v36, v15, 0x3d29fb3f
	s_delay_alu instid0(VALU_DEP_2) | instskip(NEXT) | instid1(VALU_DEP_2)
	v_pk_add_f32 v[30:31], v[28:29], v[30:31]
	v_fmaak_f32 v15, v36, v15, 0xbd97d4d7
	s_delay_alu instid0(VALU_DEP_2) | instskip(NEXT) | instid1(VALU_DEP_2)
	v_pk_add_f32 v[32:33], v[8:9], v[30:31]
	v_fmaak_f32 v15, v36, v15, 0x3dd931b2
	s_delay_alu instid0(VALU_DEP_2) | instskip(NEXT) | instid1(VALU_DEP_2)
	v_dual_mov_b32 v21, v30 :: v_dual_mov_b32 v29, v32
	v_fmaak_f32 v8, v36, v15, 0xbe1160e6
	s_delay_alu instid0(VALU_DEP_2) | instskip(NEXT) | instid1(VALU_DEP_1)
	v_pk_add_f32 v[34:35], v[28:29], v[22:23] neg_lo:[0,1] neg_hi:[0,1]
	v_sub_f32_e32 v15, v28, v34
	s_delay_alu instid0(VALU_DEP_3) | instskip(NEXT) | instid1(VALU_DEP_3)
	v_fmaak_f32 v8, v36, v8, 0x3e4cb8bf
	v_pk_add_f32 v[20:21], v[20:21], v[34:35] neg_lo:[0,1] neg_hi:[0,1]
	s_delay_alu instid0(VALU_DEP_2) | instskip(NEXT) | instid1(VALU_DEP_1)
	v_dual_sub_f32 v15, v22, v15 :: v_dual_fmaak_f32 v8, v36, v8, 0xbeaaaa62
	v_mul_f32_e32 v8, v36, v8
	s_delay_alu instid0(VALU_DEP_1) | instskip(NEXT) | instid1(VALU_DEP_1)
	v_dual_fmac_f32 v19, v19, v8 :: v_dual_add_f32 v8, v20, v15
	v_sub_f32_e32 v15, 0x3fc90fdb, v19
	s_delay_alu instid0(VALU_DEP_1) | instskip(SKIP_2) | instid1(VALU_DEP_3)
	v_dual_cndmask_b32 v15, v19, v15, s0 :: v_dual_add_f32 v8, v8, v21
	v_cndmask_b32_e64 v19, 0, 0x40490fdb, vcc_lo
	v_cmp_gt_f32_e32 vcc_lo, 0, v2
	v_sub_f32_e32 v20, 0x40490fdb, v15
	s_delay_alu instid0(VALU_DEP_4) | instskip(NEXT) | instid1(VALU_DEP_1)
	v_add_f32_e32 v8, v32, v8
	v_cndmask_b32_e64 v8, 0x7f800000, v8, s1
	s_delay_alu instid0(VALU_DEP_3)
	v_cndmask_b32_e32 v15, v15, v20, vcc_lo
	v_cndmask_b32_e32 v20, 0x3f490fdb, v24, vcc_lo
	v_cmp_gt_f32_e64 vcc_lo, 0x33800000, |v18|
	v_cmp_class_f32_e64 s1, v3, 0x204
	v_cndmask_b32_e32 v8, v8, v18, vcc_lo
	v_cmp_eq_f32_e32 vcc_lo, 0, v3
                                        ; implicit-def: $vgpr18
	s_delay_alu instid0(VALU_DEP_2) | instskip(SKIP_1) | instid1(VALU_DEP_1)
	v_dual_mul_f32 v8, 0.5, v8 :: v_dual_cndmask_b32 v15, v15, v19
	s_and_b32 vcc_lo, s4, s1
	v_cndmask_b32_e32 v28, v15, v20, vcc_lo
.LBB186_251:                            ;   in Loop: Header=BB186_162 Depth=1
	s_and_not1_saveexec_b32 s3, s3
	s_cbranch_execz .LBB186_253
; %bb.252:                              ;   in Loop: Header=BB186_162 Depth=1
	v_max_num_f32_e64 v8, |v3|, |v3|
	v_max_num_f32_e64 v15, |v2|, |v2|
	v_cmp_eq_f32_e64 s1, 0, v3
	v_cmp_gt_i32_e32 vcc_lo, 0, v2
	v_cmp_class_f32_e64 s4, v2, 0x204
	v_cmp_class_f32_e64 s5, v3, 0x204
	v_dual_max_num_f32 v19, v15, v8 :: v_dual_min_num_f32 v8, v15, v8
	s_delay_alu instid0(VALU_DEP_1) | instskip(SKIP_1) | instid1(VALU_DEP_2)
	v_frexp_mant_f32_e32 v20, v19
	v_frexp_exp_i32_f32_e32 v15, v19
	v_rcp_f32_e32 v19, v20
	v_nop
	v_frexp_exp_i32_f32_e32 v20, v8
	v_frexp_mant_f32_e32 v8, v8
	s_delay_alu instid0(VALU_DEP_2)
	v_sub_nc_u32_e32 v15, v20, v15
	s_delay_alu instid0(TRANS32_DEP_1) | instid1(VALU_DEP_2)
	v_mul_f32_e32 v8, v8, v19
	s_delay_alu instid0(VALU_DEP_1) | instskip(NEXT) | instid1(VALU_DEP_1)
	v_ldexp_f32 v8, v8, v15
	v_mul_f32_e32 v15, v8, v8
	s_delay_alu instid0(VALU_DEP_1) | instskip(NEXT) | instid1(VALU_DEP_1)
	v_fmaak_f32 v19, s11, v15, 0xbc7a590c
	v_fmaak_f32 v19, v15, v19, 0x3d29fb3f
	s_delay_alu instid0(VALU_DEP_1) | instskip(NEXT) | instid1(VALU_DEP_1)
	v_fmaak_f32 v19, v15, v19, 0xbd97d4d7
	v_fmaak_f32 v19, v15, v19, 0x3dd931b2
	;; [unrolled: 3-line block ×3, first 2 shown]
	s_delay_alu instid0(VALU_DEP_1) | instskip(NEXT) | instid1(VALU_DEP_1)
	v_fmaak_f32 v19, v15, v19, 0xbeaaaa62
	v_mul_f32_e32 v15, v15, v19
	v_cndmask_b32_e64 v19, 0, 0x40490fdb, vcc_lo
	v_cmp_gt_f32_e32 vcc_lo, 0, v2
	s_delay_alu instid0(VALU_DEP_3) | instskip(SKIP_1) | instid1(VALU_DEP_2)
	v_fmac_f32_e32 v8, v8, v15
	v_cndmask_b32_e32 v20, 0x3f490fdb, v24, vcc_lo
	v_sub_f32_e32 v15, 0x3fc90fdb, v8
	s_delay_alu instid0(VALU_DEP_1) | instskip(NEXT) | instid1(VALU_DEP_1)
	v_cndmask_b32_e64 v8, v8, v15, s0
	v_sub_f32_e32 v15, 0x40490fdb, v8
	s_delay_alu instid0(VALU_DEP_1) | instskip(SKIP_1) | instid1(VALU_DEP_1)
	v_dual_cndmask_b32 v8, v8, v15 :: v_dual_mul_f32 v15, 0.5, v18
	s_and_b32 vcc_lo, s4, s5
	v_cndmask_b32_e64 v19, v8, v19, s1
	s_delay_alu instid0(VALU_DEP_1)
	v_dual_mul_f32 v8, v18, v15 :: v_dual_cndmask_b32 v28, v19, v20, vcc_lo
.LBB186_253:                            ;   in Loop: Header=BB186_162 Depth=1
	s_or_b32 exec_lo, exec_lo, s3
.LBB186_254:                            ;   in Loop: Header=BB186_162 Depth=1
	s_delay_alu instid0(SALU_CYCLE_1)
	s_or_b32 exec_lo, exec_lo, s2
.LBB186_255:                            ;   in Loop: Header=BB186_162 Depth=1
	s_and_not1_saveexec_b32 s2, s16
	s_cbranch_execz .LBB186_257
; %bb.256:                              ;   in Loop: Header=BB186_162 Depth=1
	v_div_scale_f32 v8, null, 0x402df854, 0x402df854, v2
	v_div_scale_f32 v15, null, 0x402df854, 0x402df854, v3
	v_div_scale_f32 v22, vcc_lo, v2, 0x402df854, v2
	s_delay_alu instid0(VALU_DEP_3) | instskip(NEXT) | instid1(VALU_DEP_2)
	v_rcp_f32_e32 v18, v8
	v_rcp_f32_e32 v19, v15
	v_cmp_class_f32_e64 s3, v3, 0x204
	s_delay_alu instid0(TRANS32_DEP_2) | instskip(NEXT) | instid1(TRANS32_DEP_1)
	v_fma_f32 v20, -v8, v18, 1.0
	v_fma_f32 v21, -v15, v19, 1.0
	s_delay_alu instid0(VALU_DEP_1) | instskip(SKIP_1) | instid1(VALU_DEP_1)
	v_dual_fmac_f32 v18, v20, v18 :: v_dual_fmac_f32 v19, v21, v19
	v_div_scale_f32 v20, s1, v3, 0x402df854, v3
	v_dual_mul_f32 v21, v22, v18 :: v_dual_mul_f32 v23, v20, v19
	s_delay_alu instid0(VALU_DEP_1) | instskip(NEXT) | instid1(VALU_DEP_1)
	v_dual_fma_f32 v28, -v8, v21, v22 :: v_dual_fma_f32 v29, -v15, v23, v20
	v_dual_fmac_f32 v21, v28, v18 :: v_dual_fmac_f32 v23, v29, v19
	s_delay_alu instid0(VALU_DEP_1) | instskip(NEXT) | instid1(VALU_DEP_1)
	v_dual_fma_f32 v8, -v8, v21, v22 :: v_dual_fma_f32 v15, -v15, v23, v20
	v_div_fmas_f32 v8, v8, v18, v21
	s_mov_b32 vcc_lo, s1
	v_max_num_f32_e64 v21, |v2|, |v2|
	s_delay_alu instid0(VALU_DEP_3) | instskip(SKIP_2) | instid1(VALU_DEP_3)
	v_div_fmas_f32 v15, v15, v19, v23
	v_cmp_class_f32_e64 s1, v2, 0x204
	v_div_fixup_f32 v8, v8, 0x402df854, v2
	v_div_fixup_f32 v15, v15, 0x402df854, v3
	s_delay_alu instid0(VALU_DEP_1) | instskip(NEXT) | instid1(VALU_DEP_1)
	v_max_num_f32_e64 v20, |v8|, |v15|
	v_cvt_f64_f32_e32 v[18:19], v20
	v_cmp_neq_f32_e32 vcc_lo, 0x7f800000, v20
	s_delay_alu instid0(VALU_DEP_2) | instskip(SKIP_1) | instid1(VALU_DEP_1)
	v_frexp_exp_i32_f64_e32 v18, v[18:19]
	v_max_num_f32_e64 v19, |v3|, |v3|
	v_dual_max_num_f32 v22, v21, v19 :: v_dual_min_num_f32 v19, v21, v19
	s_delay_alu instid0(VALU_DEP_1) | instskip(SKIP_1) | instid1(VALU_DEP_2)
	v_frexp_mant_f32_e32 v23, v22
	v_frexp_exp_i32_f32_e32 v21, v22
	v_rcp_f32_e32 v22, v23
	v_nop
	v_frexp_exp_i32_f32_e32 v23, v19
	v_frexp_mant_f32_e32 v19, v19
	s_delay_alu instid0(VALU_DEP_2)
	v_sub_nc_u32_e32 v21, v23, v21
	s_delay_alu instid0(TRANS32_DEP_1) | instid1(VALU_DEP_2)
	v_mul_f32_e32 v19, v19, v22
	v_sub_nc_u32_e32 v22, 0, v18
	s_delay_alu instid0(VALU_DEP_2) | instskip(NEXT) | instid1(VALU_DEP_2)
	v_ldexp_f32 v19, v19, v21
	v_ldexp_f32 v15, |v15|, v22
	v_ldexp_f32 v8, |v8|, v22
	s_delay_alu instid0(VALU_DEP_2) | instskip(NEXT) | instid1(VALU_DEP_1)
	v_mul_f32_e32 v15, v15, v15
	v_dual_mul_f32 v21, v19, v19 :: v_dual_fmac_f32 v15, v8, v8
	s_delay_alu instid0(VALU_DEP_1) | instskip(NEXT) | instid1(VALU_DEP_2)
	v_fmaak_f32 v22, s11, v21, 0xbc7a590c
	v_sqrt_f32_e32 v15, v15
	s_delay_alu instid0(VALU_DEP_1) | instskip(NEXT) | instid1(VALU_DEP_1)
	v_fmaak_f32 v8, v21, v22, 0x3d29fb3f
	v_fmaak_f32 v8, v21, v8, 0xbd97d4d7
	s_delay_alu instid0(TRANS32_DEP_1) | instskip(NEXT) | instid1(VALU_DEP_2)
	v_ldexp_f32 v15, v15, v18
	v_fmaak_f32 v8, v21, v8, 0x3dd931b2
	s_delay_alu instid0(VALU_DEP_1) | instskip(NEXT) | instid1(VALU_DEP_1)
	v_fmaak_f32 v8, v21, v8, 0xbe1160e6
	v_fmaak_f32 v8, v21, v8, 0x3e4cb8bf
	s_delay_alu instid0(VALU_DEP_1) | instskip(NEXT) | instid1(VALU_DEP_1)
	v_fmaak_f32 v8, v21, v8, 0xbeaaaa62
	v_dual_cndmask_b32 v15, 0x7f800000, v15 :: v_dual_mul_f32 v8, v21, v8
	s_delay_alu instid0(VALU_DEP_1) | instskip(NEXT) | instid1(VALU_DEP_2)
	v_cmp_gt_f32_e32 vcc_lo, 0x800000, v15
	v_fmac_f32_e32 v19, v19, v8
	v_cndmask_b32_e64 v18, 0, 32, vcc_lo
	v_cndmask_b32_e64 v21, 0, 0x41b17218, vcc_lo
	s_delay_alu instid0(VALU_DEP_2) | instskip(NEXT) | instid1(VALU_DEP_1)
	v_ldexp_f32 v15, v15, v18
	v_log_f32_e32 v15, v15
	v_nop
	s_delay_alu instid0(TRANS32_DEP_1) | instskip(SKIP_1) | instid1(VALU_DEP_2)
	v_mul_f32_e32 v18, 0x3f317217, v15
	v_cmp_gt_f32_e64 vcc_lo, 0x7f800000, |v15|
	v_fma_f32 v8, 0x3f317217, v15, -v18
	v_sub_f32_e32 v18, 0x3fc90fdb, v19
	s_delay_alu instid0(VALU_DEP_2) | instskip(NEXT) | instid1(VALU_DEP_1)
	v_fmac_f32_e32 v8, 0x3377d1cf, v15
	v_fmac_f32_e32 v8, 0x3f317217, v15
	s_delay_alu instid0(VALU_DEP_1) | instskip(NEXT) | instid1(VALU_DEP_4)
	v_cndmask_b32_e32 v8, v15, v8, vcc_lo
	v_cndmask_b32_e64 v18, v19, v18, s0
	v_cmp_gt_i32_e64 s0, 0, v2
	v_cmp_eq_f32_e32 vcc_lo, 0, v3
	s_delay_alu instid0(VALU_DEP_4) | instskip(NEXT) | instid1(VALU_DEP_4)
	v_sub_f32_e32 v8, v8, v21
	v_sub_f32_e32 v20, 0x40490fdb, v18
	s_delay_alu instid0(VALU_DEP_4) | instskip(SKIP_1) | instid1(VALU_DEP_4)
	v_cndmask_b32_e64 v19, 0, 0x40490fdb, s0
	v_cmp_gt_f32_e64 s0, 0, v2
	v_add_f32_e32 v8, 1.0, v8
	s_delay_alu instid0(VALU_DEP_2) | instskip(SKIP_1) | instid1(VALU_DEP_2)
	v_cndmask_b32_e64 v15, v18, v20, s0
	v_cndmask_b32_e64 v18, 0x3f490fdb, v24, s0
	v_cndmask_b32_e32 v15, v15, v19, vcc_lo
	s_and_b32 vcc_lo, s1, s3
	s_delay_alu instid0(VALU_DEP_1)
	v_cndmask_b32_e32 v28, v15, v18, vcc_lo
.LBB186_257:                            ;   in Loop: Header=BB186_162 Depth=1
	s_or_b32 exec_lo, exec_lo, s2
.LBB186_258:                            ;   in Loop: Header=BB186_162 Depth=1
	s_and_not1_saveexec_b32 s0, s13
	s_cbranch_execz .LBB186_264
; %bb.259:                              ;   in Loop: Header=BB186_162 Depth=1
	v_cmp_ngt_f32_e64 s1, 0x20000000, |v2|
	v_cmp_ngt_f32_e64 s2, 0x20000000, |v3|
                                        ; implicit-def: $vgpr8
	s_or_b32 s1, s1, s2
	s_delay_alu instid0(SALU_CYCLE_1) | instskip(NEXT) | instid1(SALU_CYCLE_1)
	s_and_saveexec_b32 s2, s1
	s_xor_b32 s1, exec_lo, s2
; %bb.260:                              ;   in Loop: Header=BB186_162 Depth=1
	v_pk_mul_f32 v[18:19], v[2:3], v[2:3]
	s_delay_alu instid0(VALU_DEP_1)
	v_add_f32_e32 v8, v18, v19
; %bb.261:                              ;   in Loop: Header=BB186_162 Depth=1
	s_and_not1_saveexec_b32 s1, s1
; %bb.262:                              ;   in Loop: Header=BB186_162 Depth=1
	v_pk_mul_f32 v[18:19], v[2:3], 4.0 op_sel_hi:[1,0]
	s_delay_alu instid0(VALU_DEP_1) | instskip(NEXT) | instid1(VALU_DEP_1)
	v_pk_mul_f32 v[18:19], v[18:19], v[18:19]
	v_add_f32_e32 v2, v18, v19
	s_delay_alu instid0(VALU_DEP_1)
	v_mul_f32_e32 v8, 0x3d800000, v2
; %bb.263:                              ;   in Loop: Header=BB186_162 Depth=1
	s_or_b32 exec_lo, exec_lo, s1
	s_delay_alu instid0(VALU_DEP_1) | instskip(SKIP_3) | instid1(VALU_DEP_2)
	v_cmp_gt_f32_e32 vcc_lo, 0x800000, v8
	v_mov_b32_e32 v28, 0x7fc00000
	v_cndmask_b32_e64 v2, 0, 32, vcc_lo
	v_cndmask_b32_e64 v15, 0, 0x41b17218, vcc_lo
	v_ldexp_f32 v2, v8, v2
	s_delay_alu instid0(VALU_DEP_1) | instskip(SKIP_1) | instid1(TRANS32_DEP_1)
	v_log_f32_e32 v2, v2
	v_nop
	v_mul_f32_e32 v8, 0x3f317217, v2
	v_cmp_gt_f32_e64 vcc_lo, 0x7f800000, |v2|
	s_delay_alu instid0(VALU_DEP_2) | instskip(NEXT) | instid1(VALU_DEP_1)
	v_fma_f32 v8, 0x3f317217, v2, -v8
	v_fmac_f32_e32 v8, 0x3377d1cf, v2
	s_delay_alu instid0(VALU_DEP_1) | instskip(NEXT) | instid1(VALU_DEP_1)
	v_fmac_f32_e32 v8, 0x3f317217, v2
	v_cndmask_b32_e32 v2, v2, v8, vcc_lo
	s_delay_alu instid0(VALU_DEP_1)
	v_sub_f32_e32 v8, v2, v15
.LBB186_264:                            ;   in Loop: Header=BB186_162 Depth=1
	s_or_b32 exec_lo, exec_lo, s0
                                        ; implicit-def: $vgpr2
                                        ; implicit-def: $vgpr15
	s_delay_alu instid0(SALU_CYCLE_1)
	s_mov_b32 s0, exec_lo
	v_cmpx_o_f32_e32 v5, v4
	s_xor_b32 s13, exec_lo, s0
	s_cbranch_execz .LBB186_292
; %bb.265:                              ;   in Loop: Header=BB186_162 Depth=1
	v_cmp_lt_f32_e64 s0, |v4|, |v5|
                                        ; implicit-def: $vgpr2
                                        ; implicit-def: $vgpr15
	s_mov_b32 s2, exec_lo
	v_cndmask_b32_e64 v18, v5, v4, s0
	s_delay_alu instid0(VALU_DEP_1)
	v_cmpx_nlt_f32_e64 0x77f684df, |v18|
	s_xor_b32 s16, exec_lo, s2
	s_cbranch_execz .LBB186_289
; %bb.266:                              ;   in Loop: Header=BB186_162 Depth=1
	v_cndmask_b32_e64 v2, v4, v5, s0
	v_and_b32_e32 v18, 0x7fffffff, v18
                                        ; implicit-def: $vgpr15
	s_mov_b32 s1, exec_lo
	s_delay_alu instid0(VALU_DEP_2) | instskip(NEXT) | instid1(VALU_DEP_1)
	v_and_b32_e32 v19, 0x7fffffff, v2
                                        ; implicit-def: $vgpr2
	v_cmpx_neq_f32_e32 1.0, v19
	s_xor_b32 s17, exec_lo, s1
	s_cbranch_execz .LBB186_282
; %bb.267:                              ;   in Loop: Header=BB186_162 Depth=1
	v_dual_max_num_f32 v2, v18, v18 :: v_dual_max_num_f32 v15, v19, v19
	s_delay_alu instid0(VALU_DEP_1) | instskip(NEXT) | instid1(VALU_DEP_1)
	v_dual_min_num_f32 v20, v15, v2 :: v_dual_max_num_f32 v2, v15, v2
                                        ; implicit-def: $vgpr15
	v_cmp_ngt_f32_e32 vcc_lo, 0x358637bd, v20
	s_delay_alu instid0(VALU_DEP_2) | instskip(SKIP_1) | instid1(SALU_CYCLE_1)
	v_cmp_nlt_f32_e64 s1, 0x49742400, v2
                                        ; implicit-def: $vgpr2
	s_and_b32 s1, s1, vcc_lo
	s_and_saveexec_b32 s2, s1
	s_delay_alu instid0(SALU_CYCLE_1)
	s_xor_b32 s18, exec_lo, s2
	s_cbranch_execz .LBB186_279
; %bb.268:                              ;   in Loop: Header=BB186_162 Depth=1
                                        ; implicit-def: $vgpr2
                                        ; implicit-def: $vgpr15
	s_mov_b32 s1, exec_lo
	v_cmpx_le_f32_e32 1.0, v19
	s_xor_b32 s2, exec_lo, s1
	s_cbranch_execz .LBB186_270
; %bb.269:                              ;   in Loop: Header=BB186_162 Depth=1
	v_pk_add_f32 v[20:21], v[18:19], v[12:13] op_sel:[1,0]
	v_mov_b32_e32 v22, v18
	v_cmp_class_f32_e64 s3, v4, 0x204
	s_delay_alu instid0(VALU_DEP_3) | instskip(SKIP_1) | instid1(VALU_DEP_1)
	v_dual_mov_b32 v19, v20 :: v_dual_mov_b32 v23, v21
	v_mul_f32_e32 v2, v20, v21
	v_pk_fma_f32 v[18:19], v[18:19], v[22:23], v[2:3] op_sel_hi:[1,1,0]
	s_delay_alu instid0(VALU_DEP_1) | instskip(SKIP_1) | instid1(VALU_DEP_2)
	v_add_f32_e32 v21, 1.0, v18
	v_cmp_neq_f32_e64 s1, -1.0, v18
	v_add_f32_e32 v19, -1.0, v21
	s_delay_alu instid0(VALU_DEP_1) | instskip(SKIP_2) | instid1(VALU_DEP_1)
	v_mov_b32_e32 v20, v19
	v_cvt_f64_f32_e32 v[22:23], v21
	v_frexp_mant_f32_e32 v15, v21
	v_cmp_gt_f32_e32 vcc_lo, 0x3f2aaaab, v15
	s_delay_alu instid0(VALU_DEP_3) | instskip(NEXT) | instid1(VALU_DEP_1)
	v_frexp_exp_i32_f64_e32 v2, v[22:23]
	v_subrev_co_ci_u32_e64 v2, null, 0, v2, vcc_lo
	v_cmp_neq_f32_e32 vcc_lo, 0x7f800000, v18
	s_delay_alu instid0(VALU_DEP_2) | instskip(SKIP_1) | instid1(VALU_DEP_2)
	v_sub_nc_u32_e32 v15, 0, v2
	v_pk_add_f32 v[22:23], v[18:19], v[20:21] neg_lo:[0,1] neg_hi:[0,1]
	v_ldexp_f32 v19, v21, v15
	s_delay_alu instid0(VALU_DEP_2) | instskip(NEXT) | instid1(VALU_DEP_2)
	v_add_f32_e32 v20, 1.0, v23
	v_add_f32_e32 v23, 1.0, v19
	s_delay_alu instid0(VALU_DEP_1) | instskip(SKIP_1) | instid1(VALU_DEP_2)
	v_dual_add_f32 v21, -1.0, v23 :: v_dual_add_f32 v20, v22, v20
	v_add_f32_e32 v29, -1.0, v19
	v_ldexp_f32 v15, v20, v15
	s_delay_alu instid0(VALU_DEP_3) | instskip(NEXT) | instid1(VALU_DEP_1)
	v_sub_f32_e32 v20, v19, v21
	v_dual_add_f32 v21, 1.0, v29 :: v_dual_add_f32 v20, v15, v20
	s_delay_alu instid0(VALU_DEP_1) | instskip(NEXT) | instid1(VALU_DEP_1)
	v_sub_f32_e32 v19, v19, v21
	v_add_f32_e32 v15, v15, v19
	s_delay_alu instid0(VALU_DEP_1) | instskip(NEXT) | instid1(VALU_DEP_1)
	v_dual_add_f32 v21, v29, v15 :: v_dual_add_f32 v32, v23, v20
	v_sub_f32_e32 v29, v21, v29
	s_delay_alu instid0(VALU_DEP_2) | instskip(SKIP_1) | instid1(TRANS32_DEP_1)
	v_rcp_f32_e32 v19, v32
	v_nop
	v_mul_f32_e32 v33, v21, v19
	s_delay_alu instid0(VALU_DEP_1) | instskip(NEXT) | instid1(VALU_DEP_1)
	v_dual_mul_f32 v22, v32, v33 :: v_dual_sub_f32 v23, v32, v23
	v_dual_sub_f32 v15, v15, v29 :: v_dual_fma_f32 v30, v33, v32, -v22
	s_delay_alu instid0(VALU_DEP_2) | instskip(NEXT) | instid1(VALU_DEP_1)
	v_sub_f32_e32 v34, v20, v23
	v_fmac_f32_e32 v30, v33, v34
	s_delay_alu instid0(VALU_DEP_1) | instskip(NEXT) | instid1(VALU_DEP_1)
	v_add_f32_e32 v20, v22, v30
	v_dual_sub_f32 v23, v21, v20 :: v_dual_mov_b32 v31, v20
	s_delay_alu instid0(VALU_DEP_1) | instskip(NEXT) | instid1(VALU_DEP_1)
	v_pk_add_f32 v[20:21], v[20:21], v[22:23] neg_lo:[0,1] neg_hi:[0,1]
	v_pk_add_f32 v[20:21], v[20:21], v[30:31] neg_lo:[0,1] neg_hi:[0,1]
	s_delay_alu instid0(VALU_DEP_1) | instskip(NEXT) | instid1(VALU_DEP_1)
	v_add_f32_e32 v15, v15, v21
	v_add_f32_e32 v15, v20, v15
	s_delay_alu instid0(VALU_DEP_1) | instskip(NEXT) | instid1(VALU_DEP_1)
	v_add_f32_e32 v21, v23, v15
	v_mul_f32_e32 v29, v19, v21
	s_delay_alu instid0(VALU_DEP_1) | instskip(NEXT) | instid1(VALU_DEP_1)
	v_mul_f32_e32 v30, v32, v29
	v_fma_f32 v22, v29, v32, -v30
	s_delay_alu instid0(VALU_DEP_1) | instskip(NEXT) | instid1(VALU_DEP_1)
	v_dual_fmac_f32 v22, v29, v34 :: v_dual_sub_f32 v32, v23, v21
	v_dual_add_f32 v20, v30, v22 :: v_dual_add_f32 v15, v15, v32
	v_add_f32_e32 v32, v33, v29
	s_delay_alu instid0(VALU_DEP_2) | instskip(NEXT) | instid1(VALU_DEP_1)
	v_dual_sub_f32 v31, v21, v20 :: v_dual_mov_b32 v23, v20
	v_pk_add_f32 v[20:21], v[20:21], v[30:31] neg_lo:[0,1] neg_hi:[0,1]
	s_delay_alu instid0(VALU_DEP_1) | instskip(NEXT) | instid1(VALU_DEP_1)
	v_pk_add_f32 v[20:21], v[20:21], v[22:23] neg_lo:[0,1] neg_hi:[0,1]
	v_add_f32_e32 v15, v15, v21
	s_delay_alu instid0(VALU_DEP_1) | instskip(NEXT) | instid1(VALU_DEP_1)
	v_add_f32_e32 v15, v20, v15
	v_dual_sub_f32 v20, v32, v33 :: v_dual_add_f32 v15, v31, v15
	s_delay_alu instid0(VALU_DEP_1) | instskip(NEXT) | instid1(VALU_DEP_1)
	v_dual_sub_f32 v20, v29, v20 :: v_dual_mul_f32 v15, v19, v15
	v_add_f32_e32 v19, v20, v15
	v_cvt_f32_i32_e32 v20, v2
	s_delay_alu instid0(VALU_DEP_2) | instskip(NEXT) | instid1(VALU_DEP_1)
	v_add_f32_e32 v29, v32, v19
	v_dual_mul_f32 v15, v29, v29 :: v_dual_sub_f32 v2, v29, v32
	s_delay_alu instid0(VALU_DEP_1) | instskip(NEXT) | instid1(VALU_DEP_2)
	v_sub_f32_e32 v2, v19, v2
	v_dual_fmaak_f32 v22, s10, v15, 0x3ecc95a3 :: v_dual_mul_f32 v21, v29, v15
	v_ldexp_f32 v31, v29, 1
	s_delay_alu instid0(VALU_DEP_3) | instskip(NEXT) | instid1(VALU_DEP_3)
	v_ldexp_f32 v2, v2, 1
	v_fmaak_f32 v15, v15, v22, 0x3f2aaada
	s_delay_alu instid0(VALU_DEP_1) | instskip(NEXT) | instid1(VALU_DEP_1)
	v_pk_mul_f32 v[22:23], v[20:21], v[14:15]
	v_fma_f32 v30, 0x3f317218, v20, -v22
	v_mov_b32_e32 v32, v22
	s_delay_alu instid0(VALU_DEP_2) | instskip(NEXT) | instid1(VALU_DEP_1)
	v_fmac_f32_e32 v30, 0xb102e308, v20
	v_pk_add_f32 v[20:21], v[22:23], v[30:31]
	s_delay_alu instid0(VALU_DEP_1) | instskip(NEXT) | instid1(VALU_DEP_1)
	v_dual_sub_f32 v15, v21, v31 :: v_dual_mov_b32 v31, v20
	v_dual_mov_b32 v40, v21 :: v_dual_sub_f32 v15, v23, v15
	v_pk_add_f32 v[22:23], v[20:21], v[22:23] neg_lo:[0,1] neg_hi:[0,1]
	s_delay_alu instid0(VALU_DEP_2) | instskip(SKIP_2) | instid1(VALU_DEP_3)
	v_add_f32_e32 v33, v2, v15
	v_max_num_f32_e64 v2, |v5|, |v5|
	v_max_num_f32_e64 v15, |v4|, |v4|
	v_pk_add_f32 v[34:35], v[20:21], v[32:33]
	s_delay_alu instid0(VALU_DEP_2) | instskip(NEXT) | instid1(VALU_DEP_2)
	v_dual_max_num_f32 v19, v15, v2 :: v_dual_min_num_f32 v15, v15, v2
	v_mov_b32_e32 v23, v35
	s_delay_alu instid0(VALU_DEP_2) | instskip(NEXT) | instid1(VALU_DEP_3)
	v_frexp_exp_i32_f32_e32 v29, v19
	v_frexp_exp_i32_f32_e32 v32, v15
	v_frexp_mant_f32_e32 v42, v15
	s_delay_alu instid0(VALU_DEP_4) | instskip(SKIP_2) | instid1(VALU_DEP_3)
	v_pk_add_f32 v[36:37], v[30:31], v[22:23]
	v_pk_add_f32 v[22:23], v[30:31], v[22:23] neg_lo:[0,1] neg_hi:[0,1]
	v_frexp_mant_f32_e32 v19, v19
	v_dual_mov_b32 v2, v37 :: v_dual_sub_nc_u32 v29, v32, v29
	v_mov_b32_e32 v23, v37
	s_delay_alu instid0(VALU_DEP_3) | instskip(NEXT) | instid1(VALU_DEP_2)
	v_rcp_f32_e32 v19, v19
	v_pk_add_f32 v[38:39], v[2:3], v[20:21] neg_lo:[0,1] neg_hi:[0,1]
	v_dual_mov_b32 v36, v35 :: v_dual_mov_b32 v21, v20
	s_delay_alu instid0(VALU_DEP_2) | instskip(SKIP_1) | instid1(VALU_DEP_2)
	v_dual_mov_b32 v20, v33 :: v_dual_mov_b32 v41, v38
	v_mov_b32_e32 v15, v38
	v_pk_add_f32 v[30:31], v[36:37], v[40:41] neg_lo:[0,1] neg_hi:[0,1]
	s_delay_alu instid0(VALU_DEP_2) | instskip(SKIP_1) | instid1(VALU_DEP_3)
	v_pk_add_f32 v[32:33], v[34:35], v[14:15] neg_lo:[0,1] neg_hi:[0,1]
	v_mov_b32_e32 v32, v22
	v_pk_add_f32 v[20:21], v[20:21], v[30:31] neg_lo:[0,1] neg_hi:[0,1]
	s_delay_alu instid0(VALU_DEP_1) | instskip(NEXT) | instid1(VALU_DEP_1)
	v_pk_add_f32 v[30:31], v[32:33], v[20:21]
	v_dual_mul_f32 v19, v42, v19 :: v_dual_mov_b32 v32, v31
	s_delay_alu instid0(VALU_DEP_1) | instskip(NEXT) | instid1(VALU_DEP_2)
	v_ldexp_f32 v15, v19, v29
	v_pk_add_f32 v[32:33], v[30:31], v[32:33]
	s_delay_alu instid0(VALU_DEP_2) | instskip(NEXT) | instid1(VALU_DEP_2)
	v_mul_f32_e32 v19, v15, v15
	v_pk_add_f32 v[34:35], v[2:3], v[32:33]
	s_delay_alu instid0(VALU_DEP_1) | instskip(NEXT) | instid1(VALU_DEP_1)
	v_mov_b32_e32 v31, v34
	v_pk_add_f32 v[36:37], v[30:31], v[22:23] neg_lo:[0,1] neg_hi:[0,1]
	s_delay_alu instid0(VALU_DEP_1) | instskip(NEXT) | instid1(VALU_DEP_1)
	v_sub_f32_e32 v23, v30, v36
	v_sub_f32_e32 v22, v22, v23
	v_fmaak_f32 v21, s11, v19, 0xbc7a590c
	s_delay_alu instid0(VALU_DEP_1) | instskip(NEXT) | instid1(VALU_DEP_1)
	v_fmaak_f32 v21, v19, v21, 0x3d29fb3f
	v_dual_fmaak_f32 v2, v19, v21, 0xbd97d4d7 :: v_dual_mov_b32 v21, v32
	s_delay_alu instid0(VALU_DEP_1) | instskip(NEXT) | instid1(VALU_DEP_2)
	v_fmaak_f32 v2, v19, v2, 0x3dd931b2
	v_pk_add_f32 v[20:21], v[20:21], v[36:37] neg_lo:[0,1] neg_hi:[0,1]
	s_delay_alu instid0(VALU_DEP_1) | instskip(NEXT) | instid1(VALU_DEP_3)
	v_add_f32_e32 v20, v20, v22
	v_fmaak_f32 v2, v19, v2, 0xbe1160e6
	s_delay_alu instid0(VALU_DEP_1) | instskip(NEXT) | instid1(VALU_DEP_1)
	v_fmaak_f32 v2, v19, v2, 0x3e4cb8bf
	v_fmaak_f32 v2, v19, v2, 0xbeaaaa62
	s_delay_alu instid0(VALU_DEP_1) | instskip(NEXT) | instid1(VALU_DEP_1)
	v_dual_mul_f32 v2, v19, v2 :: v_dual_add_f32 v19, v20, v21
	v_dual_fmac_f32 v15, v15, v2 :: v_dual_add_f32 v2, v34, v19
	s_delay_alu instid0(VALU_DEP_1) | instskip(NEXT) | instid1(VALU_DEP_1)
	v_sub_f32_e32 v19, 0x3fc90fdb, v15
	v_cndmask_b32_e64 v15, v15, v19, s0
	s_delay_alu instid0(VALU_DEP_3) | instskip(SKIP_1) | instid1(VALU_DEP_3)
	v_cndmask_b32_e32 v2, 0x7f800000, v2, vcc_lo
	v_cmp_gt_i32_e32 vcc_lo, 0, v4
	v_sub_f32_e32 v20, 0x40490fdb, v15
	v_cndmask_b32_e64 v19, 0, 0x40490fdb, vcc_lo
	v_cmp_ngt_f32_e32 vcc_lo, -1.0, v18
	v_cndmask_b32_e32 v2, 0x7fc00000, v2, vcc_lo
	v_cmp_gt_f32_e32 vcc_lo, 0, v4
	s_delay_alu instid0(VALU_DEP_2)
	v_cndmask_b32_e64 v2, 0xff800000, v2, s1
	v_cndmask_b32_e32 v15, v15, v20, vcc_lo
	v_cndmask_b32_e32 v20, 0x3f490fdb, v24, vcc_lo
	v_cmp_gt_f32_e64 vcc_lo, 0x33800000, |v18|
	v_cmp_class_f32_e64 s1, v5, 0x204
	v_cndmask_b32_e32 v2, v2, v18, vcc_lo
	v_cmp_eq_f32_e32 vcc_lo, 0, v5
	s_delay_alu instid0(VALU_DEP_2) | instskip(SKIP_1) | instid1(VALU_DEP_1)
	v_dual_mul_f32 v2, 0.5, v2 :: v_dual_cndmask_b32 v15, v15, v19
	s_and_b32 vcc_lo, s3, s1
                                        ; implicit-def: $vgpr18_vgpr19
	v_cndmask_b32_e32 v15, v15, v20, vcc_lo
.LBB186_270:                            ;   in Loop: Header=BB186_162 Depth=1
	s_and_not1_saveexec_b32 s19, s2
	s_cbranch_execz .LBB186_278
; %bb.271:                              ;   in Loop: Header=BB186_162 Depth=1
	v_pk_mul_f32 v[20:21], v[18:19], v[18:19]
                                        ; implicit-def: $vgpr2
                                        ; implicit-def: $vgpr15
	s_mov_b32 s1, exec_lo
	s_delay_alu instid0(VALU_DEP_1) | instskip(NEXT) | instid1(VALU_DEP_1)
	v_add_f32_e32 v20, v21, v20
	v_cmpx_ge_f32_e32 0x3f333333, v20
	s_xor_b32 s2, exec_lo, s1
	s_cbranch_execz .LBB186_273
; %bb.272:                              ;   in Loop: Header=BB186_162 Depth=1
	v_max_num_f32_e64 v2, |v5|, |v5|
	v_max_num_f32_e64 v15, |v4|, |v4|
	v_cmp_gt_f32_e32 vcc_lo, 0x800000, v20
	v_cmp_gt_i32_e64 s1, 0, v4
	v_cmp_class_f32_e64 s3, v4, 0x204
	v_cmp_class_f32_e64 s4, v5, 0x204
	v_dual_max_num_f32 v18, v15, v2 :: v_dual_min_num_f32 v2, v15, v2
	v_cndmask_b32_e64 v21, 0, 0x41b17218, vcc_lo
	s_delay_alu instid0(VALU_DEP_2) | instskip(SKIP_1) | instid1(VALU_DEP_2)
	v_frexp_mant_f32_e32 v19, v18
	v_frexp_exp_i32_f32_e32 v15, v18
	v_rcp_f32_e32 v18, v19
	v_nop
	v_frexp_exp_i32_f32_e32 v19, v2
	v_frexp_mant_f32_e32 v2, v2
	s_delay_alu instid0(TRANS32_DEP_1) | instid1(VALU_DEP_1)
	v_dual_mul_f32 v2, v2, v18 :: v_dual_sub_nc_u32 v15, v19, v15
	v_cndmask_b32_e64 v19, 0, 32, vcc_lo
	s_delay_alu instid0(VALU_DEP_2) | instskip(NEXT) | instid1(VALU_DEP_2)
	v_ldexp_f32 v2, v2, v15
	v_ldexp_f32 v19, v20, v19
	s_delay_alu instid0(VALU_DEP_1) | instskip(NEXT) | instid1(VALU_DEP_2)
	v_log_f32_e32 v19, v19
	v_mul_f32_e32 v15, v2, v2
	s_delay_alu instid0(VALU_DEP_1) | instskip(NEXT) | instid1(TRANS32_DEP_1)
	v_fmaak_f32 v18, s11, v15, 0xbc7a590c
	v_cmp_gt_f32_e64 vcc_lo, 0x7f800000, |v19|
	s_delay_alu instid0(VALU_DEP_2) | instskip(NEXT) | instid1(VALU_DEP_1)
	v_fmaak_f32 v18, v15, v18, 0x3d29fb3f
	v_fmaak_f32 v18, v15, v18, 0xbd97d4d7
	s_delay_alu instid0(VALU_DEP_1) | instskip(NEXT) | instid1(VALU_DEP_1)
	v_fmaak_f32 v18, v15, v18, 0x3dd931b2
	v_fmaak_f32 v18, v15, v18, 0xbe1160e6
	s_delay_alu instid0(VALU_DEP_1) | instskip(NEXT) | instid1(VALU_DEP_1)
	v_fmaak_f32 v18, v15, v18, 0x3e4cb8bf
	v_fmaak_f32 v18, v15, v18, 0xbeaaaa62
	s_delay_alu instid0(VALU_DEP_1) | instskip(NEXT) | instid1(VALU_DEP_1)
	v_dual_mul_f32 v15, v15, v18 :: v_dual_mul_f32 v18, 0x3f317217, v19
	v_fmac_f32_e32 v2, v2, v15
	s_delay_alu instid0(VALU_DEP_2) | instskip(NEXT) | instid1(VALU_DEP_1)
	v_fma_f32 v15, 0x3f317217, v19, -v18
	v_fmac_f32_e32 v15, 0x3377d1cf, v19
	s_delay_alu instid0(VALU_DEP_1) | instskip(NEXT) | instid1(VALU_DEP_1)
	v_fmac_f32_e32 v15, 0x3f317217, v19
	v_dual_cndmask_b32 v15, v19, v15 :: v_dual_sub_f32 v18, 0x3fc90fdb, v2
	v_cmp_gt_f32_e32 vcc_lo, 0, v4
	s_delay_alu instid0(VALU_DEP_2) | instskip(SKIP_3) | instid1(VALU_DEP_4)
	v_dual_sub_f32 v15, v15, v21 :: v_dual_cndmask_b32 v2, v2, v18, s0
	v_cndmask_b32_e32 v19, 0x3f490fdb, v24, vcc_lo
	v_cndmask_b32_e64 v18, 0, 0x40490fdb, s1
	v_cmp_eq_f32_e64 s1, 0, v5
	v_sub_f32_e32 v20, 0x40490fdb, v2
	s_delay_alu instid0(VALU_DEP_1) | instskip(SKIP_1) | instid1(VALU_DEP_1)
	v_cndmask_b32_e32 v2, v2, v20, vcc_lo
	s_and_b32 vcc_lo, s3, s4
	v_dual_cndmask_b32 v18, v2, v18, s1 :: v_dual_mul_f32 v2, 0.5, v15
	s_delay_alu instid0(VALU_DEP_1)
	v_cndmask_b32_e32 v15, v18, v19, vcc_lo
                                        ; implicit-def: $vgpr18
.LBB186_273:                            ;   in Loop: Header=BB186_162 Depth=1
	s_and_not1_saveexec_b32 s20, s2
	s_cbranch_execz .LBB186_277
; %bb.274:                              ;   in Loop: Header=BB186_162 Depth=1
	v_and_b32_e32 v21, 0x7fff0000, v18
	v_and_b32_e32 v20, 0x7fff0000, v19
	s_mov_b32 s21, 0
	s_delay_alu instid0(VALU_DEP_1) | instskip(SKIP_2) | instid1(VALU_DEP_2)
	v_dual_add_f32 v31, v21, v21 :: v_dual_add_f32 v15, v20, v20
	v_pk_add_f32 v[22:23], v[18:19], v[20:21] op_sel:[1,0] op_sel_hi:[0,1] neg_lo:[0,1] neg_hi:[0,1]
	v_pk_mul_f32 v[18:19], v[20:21], v[20:21]
	v_and_b32_e32 v33, 0xffff0000, v23
	s_delay_alu instid0(VALU_DEP_3) | instskip(NEXT) | instid1(VALU_DEP_2)
	v_and_b32_e32 v32, 0xffff0000, v22
	v_dual_mul_f32 v30, v31, v33 :: v_dual_add_f32 v35, v33, v33
	s_delay_alu instid0(VALU_DEP_2) | instskip(SKIP_2) | instid1(VALU_DEP_3)
	v_pk_add_f32 v[20:21], v[22:23], v[32:33] neg_lo:[0,1] neg_hi:[0,1]
	v_dual_mul_f32 v2, v15, v32 :: v_dual_add_f32 v34, v32, v32
	v_pk_mul_f32 v[22:23], v[32:33], v[32:33]
	v_mul_f32_e32 v29, v15, v20
	s_delay_alu instid0(VALU_DEP_3)
	v_dual_mul_f32 v32, v31, v21 :: v_dual_mul_f32 v15, v34, v20
	v_mul_f32_e32 v31, v35, v21
	v_pk_mul_f32 v[20:21], v[20:21], v[20:21]
.LBB186_275:                            ;   Parent Loop BB186_162 Depth=1
                                        ; =>  This Inner Loop Header: Depth=2
	v_cmp_nlt_f32_e32 vcc_lo, v18, v19
	v_dual_cndmask_b32 v33, v18, v19 :: v_dual_cndmask_b32 v18, v19, v18
	s_delay_alu instid0(VALU_DEP_1) | instskip(NEXT) | instid1(VALU_DEP_1)
	v_cmp_nlt_f32_e64 s1, v33, v2
	v_dual_cndmask_b32 v34, v33, v2, s1 :: v_dual_cndmask_b32 v19, v2, v33, s1
	s_and_b32 s1, vcc_lo, s1
	s_delay_alu instid0(VALU_DEP_1) | instskip(NEXT) | instid1(VALU_DEP_1)
	v_cmp_nlt_f32_e64 s2, v34, v30
	v_cndmask_b32_e64 v35, v34, v30, s2
	v_cndmask_b32_e64 v2, v30, v34, s2
	s_delay_alu instid0(VALU_DEP_2) | instskip(NEXT) | instid1(VALU_DEP_1)
	v_cmp_nlt_f32_e64 s3, v35, v22
	v_cndmask_b32_e64 v33, v35, v22, s3
	s_and_b32 s22, s2, s3
	s_delay_alu instid0(VALU_DEP_1) | instskip(NEXT) | instid1(VALU_DEP_1)
	v_cmp_nlt_f32_e64 s4, v33, v23
	v_cndmask_b32_e64 v34, v33, v23, s4
	s_delay_alu instid0(VALU_DEP_1) | instskip(NEXT) | instid1(VALU_DEP_1)
	v_cmp_nlt_f32_e64 s5, v34, v29
	v_cndmask_b32_e64 v36, v34, v29, s5
	v_dual_cndmask_b32 v30, v22, v35, s3 :: v_dual_cndmask_b32 v22, v23, v33, s4
	s_and_b32 s4, s4, s5
	s_delay_alu instid0(VALU_DEP_2) | instskip(NEXT) | instid1(VALU_DEP_1)
	v_cmp_nlt_f32_e64 s6, v36, v32
	v_cndmask_b32_e64 v37, v36, v32, s6
	s_and_b32 s4, s4, s6
	s_delay_alu instid0(VALU_DEP_1) | instskip(SKIP_1) | instid1(VALU_DEP_2)
	v_cmp_nlt_f32_e64 s7, v37, v15
	v_dual_cndmask_b32 v23, v29, v34, s5 :: v_dual_cndmask_b32 v29, v32, v36, s6
	v_cndmask_b32_e64 v35, v37, v15, s7
	s_and_b32 s5, s4, s7
	v_cndmask_b32_e64 v32, v15, v37, s7
	s_delay_alu instid0(VALU_DEP_2) | instskip(NEXT) | instid1(VALU_DEP_1)
	v_cmp_nlt_f32_e64 s2, v35, v31
	v_cndmask_b32_e64 v33, v35, v31, s2
	v_cndmask_b32_e64 v15, v31, v35, s2
	s_and_b32 s2, s5, s2
	s_delay_alu instid0(VALU_DEP_2) | instskip(NEXT) | instid1(VALU_DEP_1)
	v_cmp_nlt_f32_e64 s3, v33, v20
	v_dual_cndmask_b32 v34, v33, v20, s3 :: v_dual_cndmask_b32 v31, v20, v33, s3
	s_and_b32 s2, s2, s3
	s_delay_alu instid0(VALU_DEP_1)
	v_cmp_nlt_f32_e64 s4, v34, v21
	s_and_b32 s2, s2, s4
	v_cndmask_b32_e64 v20, v21, v34, s4
	s_and_b32 s2, s2, s22
	v_cndmask_b32_e64 v21, v34, v21, s4
	s_and_b32 s1, s2, s1
	s_delay_alu instid0(SALU_CYCLE_1) | instskip(NEXT) | instid1(SALU_CYCLE_1)
	s_and_b32 s1, exec_lo, s1
	s_or_b32 s21, s1, s21
	s_delay_alu instid0(SALU_CYCLE_1)
	s_and_not1_b32 exec_lo, exec_lo, s21
	s_cbranch_execnz .LBB186_275
; %bb.276:                              ;   in Loop: Header=BB186_162 Depth=1
	s_or_b32 exec_lo, exec_lo, s21
	v_add_f32_e32 v18, -1.0, v18
	v_cmp_class_f32_e64 s2, v4, 0x204
	s_delay_alu instid0(VALU_DEP_2) | instskip(NEXT) | instid1(VALU_DEP_1)
	v_add_f32_e32 v18, v18, v19
	v_add_f32_e32 v2, v18, v2
	s_delay_alu instid0(VALU_DEP_1) | instskip(NEXT) | instid1(VALU_DEP_1)
	v_add_f32_e32 v2, v2, v30
	v_add_f32_e32 v2, v2, v22
	s_delay_alu instid0(VALU_DEP_1) | instskip(NEXT) | instid1(VALU_DEP_1)
	v_add_f32_e32 v2, v2, v23
	v_add_f32_e32 v2, v2, v29
	s_delay_alu instid0(VALU_DEP_1) | instskip(NEXT) | instid1(VALU_DEP_1)
	v_add_f32_e32 v2, v2, v32
	v_add_f32_e32 v2, v2, v15
	s_delay_alu instid0(VALU_DEP_1) | instskip(NEXT) | instid1(VALU_DEP_1)
	v_add_f32_e32 v2, v2, v31
	v_add_f32_e32 v2, v2, v20
	s_delay_alu instid0(VALU_DEP_1) | instskip(NEXT) | instid1(VALU_DEP_1)
	v_add_f32_e32 v18, v21, v2
	v_add_f32_e32 v21, 1.0, v18
	s_delay_alu instid0(VALU_DEP_1) | instskip(SKIP_2) | instid1(VALU_DEP_2)
	v_cvt_f64_f32_e32 v[22:23], v21
	v_frexp_mant_f32_e32 v15, v21
	v_add_f32_e32 v19, -1.0, v21
	v_cmp_gt_f32_e32 vcc_lo, 0x3f2aaaab, v15
	s_delay_alu instid0(VALU_DEP_2) | instskip(SKIP_1) | instid1(VALU_DEP_1)
	v_mov_b32_e32 v20, v19
	v_frexp_exp_i32_f64_e32 v2, v[22:23]
	v_subrev_co_ci_u32_e64 v2, null, 0, v2, vcc_lo
	s_delay_alu instid0(VALU_DEP_1) | instskip(NEXT) | instid1(VALU_DEP_4)
	v_sub_nc_u32_e32 v15, 0, v2
	v_pk_add_f32 v[22:23], v[18:19], v[20:21] neg_lo:[0,1] neg_hi:[0,1]
	v_cmp_neq_f32_e32 vcc_lo, 0x7f800000, v18
	v_cmp_neq_f32_e64 s1, -1.0, v18
	s_delay_alu instid0(VALU_DEP_4) | instskip(NEXT) | instid1(VALU_DEP_4)
	v_ldexp_f32 v19, v21, v15
	v_add_f32_e32 v20, 1.0, v23
	s_delay_alu instid0(VALU_DEP_1) | instskip(SKIP_1) | instid1(VALU_DEP_2)
	v_dual_add_f32 v23, 1.0, v19 :: v_dual_add_f32 v20, v22, v20
	v_add_f32_e32 v29, -1.0, v19
	v_add_f32_e32 v21, -1.0, v23
	s_delay_alu instid0(VALU_DEP_3) | instskip(NEXT) | instid1(VALU_DEP_2)
	v_ldexp_f32 v15, v20, v15
	v_sub_f32_e32 v20, v19, v21
	s_delay_alu instid0(VALU_DEP_4) | instskip(NEXT) | instid1(VALU_DEP_1)
	v_add_f32_e32 v21, 1.0, v29
	v_sub_f32_e32 v19, v19, v21
	s_delay_alu instid0(VALU_DEP_1) | instskip(NEXT) | instid1(VALU_DEP_1)
	v_dual_add_f32 v20, v15, v20 :: v_dual_add_f32 v15, v15, v19
	v_dual_add_f32 v32, v23, v20 :: v_dual_add_f32 v21, v29, v15
	s_delay_alu instid0(VALU_DEP_1) | instskip(SKIP_1) | instid1(TRANS32_DEP_1)
	v_rcp_f32_e32 v19, v32
	v_nop
	v_dual_sub_f32 v29, v21, v29 :: v_dual_mul_f32 v33, v21, v19
	s_delay_alu instid0(VALU_DEP_1) | instskip(NEXT) | instid1(VALU_DEP_2)
	v_dual_sub_f32 v23, v32, v23 :: v_dual_sub_f32 v15, v15, v29
	v_mul_f32_e32 v22, v32, v33
	s_delay_alu instid0(VALU_DEP_1) | instskip(NEXT) | instid1(VALU_DEP_1)
	v_dual_sub_f32 v34, v20, v23 :: v_dual_fma_f32 v30, v33, v32, -v22
	v_fmac_f32_e32 v30, v33, v34
	s_delay_alu instid0(VALU_DEP_1) | instskip(NEXT) | instid1(VALU_DEP_1)
	v_add_f32_e32 v20, v22, v30
	v_dual_sub_f32 v23, v21, v20 :: v_dual_mov_b32 v31, v20
	s_delay_alu instid0(VALU_DEP_1) | instskip(NEXT) | instid1(VALU_DEP_1)
	v_pk_add_f32 v[20:21], v[20:21], v[22:23] neg_lo:[0,1] neg_hi:[0,1]
	v_pk_add_f32 v[20:21], v[20:21], v[30:31] neg_lo:[0,1] neg_hi:[0,1]
	s_delay_alu instid0(VALU_DEP_1) | instskip(NEXT) | instid1(VALU_DEP_1)
	v_add_f32_e32 v15, v15, v21
	v_add_f32_e32 v15, v20, v15
	s_delay_alu instid0(VALU_DEP_1) | instskip(NEXT) | instid1(VALU_DEP_1)
	v_add_f32_e32 v21, v23, v15
	v_mul_f32_e32 v29, v19, v21
	s_delay_alu instid0(VALU_DEP_1) | instskip(NEXT) | instid1(VALU_DEP_1)
	v_mul_f32_e32 v30, v32, v29
	v_fma_f32 v22, v29, v32, -v30
	s_delay_alu instid0(VALU_DEP_1) | instskip(NEXT) | instid1(VALU_DEP_1)
	v_dual_fmac_f32 v22, v29, v34 :: v_dual_sub_f32 v32, v23, v21
	v_dual_add_f32 v20, v30, v22 :: v_dual_add_f32 v15, v15, v32
	v_add_f32_e32 v32, v33, v29
	s_delay_alu instid0(VALU_DEP_2) | instskip(NEXT) | instid1(VALU_DEP_1)
	v_dual_sub_f32 v31, v21, v20 :: v_dual_mov_b32 v23, v20
	v_pk_add_f32 v[20:21], v[20:21], v[30:31] neg_lo:[0,1] neg_hi:[0,1]
	s_delay_alu instid0(VALU_DEP_1) | instskip(NEXT) | instid1(VALU_DEP_1)
	v_pk_add_f32 v[20:21], v[20:21], v[22:23] neg_lo:[0,1] neg_hi:[0,1]
	v_add_f32_e32 v15, v15, v21
	s_delay_alu instid0(VALU_DEP_1) | instskip(NEXT) | instid1(VALU_DEP_1)
	v_add_f32_e32 v15, v20, v15
	v_dual_sub_f32 v20, v32, v33 :: v_dual_add_f32 v15, v31, v15
	s_delay_alu instid0(VALU_DEP_1) | instskip(NEXT) | instid1(VALU_DEP_1)
	v_dual_sub_f32 v20, v29, v20 :: v_dual_mul_f32 v15, v19, v15
	v_add_f32_e32 v19, v20, v15
	v_cvt_f32_i32_e32 v20, v2
	s_delay_alu instid0(VALU_DEP_2) | instskip(NEXT) | instid1(VALU_DEP_1)
	v_add_f32_e32 v29, v32, v19
	v_dual_mul_f32 v15, v29, v29 :: v_dual_sub_f32 v2, v29, v32
	s_delay_alu instid0(VALU_DEP_1) | instskip(NEXT) | instid1(VALU_DEP_2)
	v_sub_f32_e32 v2, v19, v2
	v_dual_fmaak_f32 v22, s10, v15, 0x3ecc95a3 :: v_dual_mul_f32 v21, v29, v15
	v_ldexp_f32 v31, v29, 1
	s_delay_alu instid0(VALU_DEP_3) | instskip(NEXT) | instid1(VALU_DEP_3)
	v_ldexp_f32 v2, v2, 1
	v_fmaak_f32 v15, v15, v22, 0x3f2aaada
	s_delay_alu instid0(VALU_DEP_1) | instskip(NEXT) | instid1(VALU_DEP_1)
	v_pk_mul_f32 v[22:23], v[20:21], v[14:15]
	v_fma_f32 v30, 0x3f317218, v20, -v22
	v_mov_b32_e32 v32, v22
	s_delay_alu instid0(VALU_DEP_2) | instskip(NEXT) | instid1(VALU_DEP_1)
	v_fmac_f32_e32 v30, 0xb102e308, v20
	v_pk_add_f32 v[20:21], v[22:23], v[30:31]
	s_delay_alu instid0(VALU_DEP_1) | instskip(NEXT) | instid1(VALU_DEP_1)
	v_dual_sub_f32 v15, v21, v31 :: v_dual_mov_b32 v31, v20
	v_dual_mov_b32 v40, v21 :: v_dual_sub_f32 v15, v23, v15
	v_pk_add_f32 v[22:23], v[20:21], v[22:23] neg_lo:[0,1] neg_hi:[0,1]
	s_delay_alu instid0(VALU_DEP_2) | instskip(SKIP_2) | instid1(VALU_DEP_3)
	v_add_f32_e32 v33, v2, v15
	v_max_num_f32_e64 v2, |v5|, |v5|
	v_max_num_f32_e64 v15, |v4|, |v4|
	v_pk_add_f32 v[34:35], v[20:21], v[32:33]
	s_delay_alu instid0(VALU_DEP_2) | instskip(NEXT) | instid1(VALU_DEP_2)
	v_dual_max_num_f32 v19, v15, v2 :: v_dual_min_num_f32 v15, v15, v2
	v_mov_b32_e32 v23, v35
	s_delay_alu instid0(VALU_DEP_2) | instskip(NEXT) | instid1(VALU_DEP_3)
	v_frexp_exp_i32_f32_e32 v29, v19
	v_frexp_exp_i32_f32_e32 v32, v15
	v_frexp_mant_f32_e32 v42, v15
	s_delay_alu instid0(VALU_DEP_4) | instskip(SKIP_2) | instid1(VALU_DEP_3)
	v_pk_add_f32 v[36:37], v[30:31], v[22:23]
	v_pk_add_f32 v[22:23], v[30:31], v[22:23] neg_lo:[0,1] neg_hi:[0,1]
	v_frexp_mant_f32_e32 v19, v19
	v_dual_mov_b32 v2, v37 :: v_dual_sub_nc_u32 v29, v32, v29
	v_mov_b32_e32 v23, v37
	s_delay_alu instid0(VALU_DEP_3) | instskip(NEXT) | instid1(VALU_DEP_2)
	v_rcp_f32_e32 v19, v19
	v_pk_add_f32 v[38:39], v[2:3], v[20:21] neg_lo:[0,1] neg_hi:[0,1]
	v_dual_mov_b32 v36, v35 :: v_dual_mov_b32 v21, v20
	s_delay_alu instid0(VALU_DEP_2) | instskip(SKIP_1) | instid1(VALU_DEP_2)
	v_dual_mov_b32 v20, v33 :: v_dual_mov_b32 v41, v38
	v_mov_b32_e32 v15, v38
	v_pk_add_f32 v[30:31], v[36:37], v[40:41] neg_lo:[0,1] neg_hi:[0,1]
	s_delay_alu instid0(VALU_DEP_2) | instskip(SKIP_1) | instid1(VALU_DEP_3)
	v_pk_add_f32 v[32:33], v[34:35], v[14:15] neg_lo:[0,1] neg_hi:[0,1]
	v_mov_b32_e32 v32, v22
	v_pk_add_f32 v[20:21], v[20:21], v[30:31] neg_lo:[0,1] neg_hi:[0,1]
	s_delay_alu instid0(VALU_DEP_1) | instskip(NEXT) | instid1(VALU_DEP_1)
	v_pk_add_f32 v[30:31], v[32:33], v[20:21]
	v_dual_mul_f32 v19, v42, v19 :: v_dual_mov_b32 v32, v31
	s_delay_alu instid0(VALU_DEP_1) | instskip(NEXT) | instid1(VALU_DEP_2)
	v_ldexp_f32 v15, v19, v29
	v_pk_add_f32 v[32:33], v[30:31], v[32:33]
	s_delay_alu instid0(VALU_DEP_2) | instskip(NEXT) | instid1(VALU_DEP_2)
	v_mul_f32_e32 v19, v15, v15
	v_pk_add_f32 v[34:35], v[2:3], v[32:33]
	s_delay_alu instid0(VALU_DEP_1) | instskip(NEXT) | instid1(VALU_DEP_1)
	v_mov_b32_e32 v31, v34
	v_pk_add_f32 v[36:37], v[30:31], v[22:23] neg_lo:[0,1] neg_hi:[0,1]
	s_delay_alu instid0(VALU_DEP_1) | instskip(NEXT) | instid1(VALU_DEP_1)
	v_sub_f32_e32 v23, v30, v36
	v_sub_f32_e32 v22, v22, v23
	v_fmaak_f32 v21, s11, v19, 0xbc7a590c
	s_delay_alu instid0(VALU_DEP_1) | instskip(NEXT) | instid1(VALU_DEP_1)
	v_fmaak_f32 v21, v19, v21, 0x3d29fb3f
	v_dual_fmaak_f32 v2, v19, v21, 0xbd97d4d7 :: v_dual_mov_b32 v21, v32
	s_delay_alu instid0(VALU_DEP_1) | instskip(NEXT) | instid1(VALU_DEP_2)
	v_fmaak_f32 v2, v19, v2, 0x3dd931b2
	v_pk_add_f32 v[20:21], v[20:21], v[36:37] neg_lo:[0,1] neg_hi:[0,1]
	s_delay_alu instid0(VALU_DEP_1) | instskip(NEXT) | instid1(VALU_DEP_3)
	v_add_f32_e32 v20, v20, v22
	v_fmaak_f32 v2, v19, v2, 0xbe1160e6
	s_delay_alu instid0(VALU_DEP_1) | instskip(NEXT) | instid1(VALU_DEP_1)
	v_fmaak_f32 v2, v19, v2, 0x3e4cb8bf
	v_fmaak_f32 v2, v19, v2, 0xbeaaaa62
	s_delay_alu instid0(VALU_DEP_1) | instskip(NEXT) | instid1(VALU_DEP_1)
	v_dual_mul_f32 v2, v19, v2 :: v_dual_add_f32 v19, v20, v21
	v_dual_fmac_f32 v15, v15, v2 :: v_dual_add_f32 v2, v34, v19
	s_delay_alu instid0(VALU_DEP_1) | instskip(NEXT) | instid1(VALU_DEP_1)
	v_sub_f32_e32 v19, 0x3fc90fdb, v15
	v_cndmask_b32_e64 v15, v15, v19, s0
	s_delay_alu instid0(VALU_DEP_3) | instskip(SKIP_1) | instid1(VALU_DEP_3)
	v_cndmask_b32_e32 v2, 0x7f800000, v2, vcc_lo
	v_cmp_gt_i32_e32 vcc_lo, 0, v4
	v_sub_f32_e32 v20, 0x40490fdb, v15
	v_cndmask_b32_e64 v19, 0, 0x40490fdb, vcc_lo
	v_cmp_ngt_f32_e32 vcc_lo, -1.0, v18
	v_cndmask_b32_e32 v2, 0x7fc00000, v2, vcc_lo
	v_cmp_gt_f32_e32 vcc_lo, 0, v4
	s_delay_alu instid0(VALU_DEP_2)
	v_cndmask_b32_e64 v2, 0xff800000, v2, s1
	v_cndmask_b32_e32 v15, v15, v20, vcc_lo
	v_cndmask_b32_e32 v20, 0x3f490fdb, v24, vcc_lo
	v_cmp_gt_f32_e64 vcc_lo, 0x33800000, |v18|
	v_cmp_class_f32_e64 s1, v5, 0x204
	v_cndmask_b32_e32 v2, v2, v18, vcc_lo
	v_cmp_eq_f32_e32 vcc_lo, 0, v5
	s_delay_alu instid0(VALU_DEP_2) | instskip(SKIP_1) | instid1(VALU_DEP_1)
	v_dual_mul_f32 v2, 0.5, v2 :: v_dual_cndmask_b32 v15, v15, v19
	s_and_b32 vcc_lo, s2, s1
	v_cndmask_b32_e32 v15, v15, v20, vcc_lo
.LBB186_277:                            ;   in Loop: Header=BB186_162 Depth=1
	s_or_b32 exec_lo, exec_lo, s20
.LBB186_278:                            ;   in Loop: Header=BB186_162 Depth=1
	s_delay_alu instid0(SALU_CYCLE_1)
	s_or_b32 exec_lo, exec_lo, s19
.LBB186_279:                            ;   in Loop: Header=BB186_162 Depth=1
	s_and_not1_saveexec_b32 s2, s18
	s_cbranch_execz .LBB186_281
; %bb.280:                              ;   in Loop: Header=BB186_162 Depth=1
	v_max_num_f32_e64 v2, |v5|, |v5|
	v_max_num_f32_e64 v15, |v4|, |v4|
	v_cmp_gt_i32_e64 s1, 0, v4
	v_cmp_class_f32_e64 s3, v4, 0x204
	v_cmp_class_f32_e64 s4, v5, 0x204
	s_delay_alu instid0(VALU_DEP_4) | instskip(NEXT) | instid1(VALU_DEP_1)
	v_dual_max_num_f32 v20, v15, v2 :: v_dual_min_num_f32 v2, v15, v2
	v_cvt_f64_f32_e32 v[18:19], v20
	v_frexp_exp_i32_f32_e32 v15, v20
	s_delay_alu instid0(VALU_DEP_3) | instskip(SKIP_2) | instid1(VALU_DEP_3)
	v_frexp_exp_i32_f32_e32 v21, v2
	v_frexp_mant_f32_e32 v2, v2
	v_cmp_neq_f32_e32 vcc_lo, 0x7f800000, v20
	v_sub_nc_u32_e32 v15, v21, v15
	v_frexp_exp_i32_f64_e32 v18, v[18:19]
	v_frexp_mant_f32_e32 v19, v20
	s_delay_alu instid0(VALU_DEP_1) | instskip(SKIP_1) | instid1(TRANS32_DEP_1)
	v_rcp_f32_e32 v19, v19
	v_nop
	v_mul_f32_e32 v2, v2, v19
	s_delay_alu instid0(VALU_DEP_1) | instskip(NEXT) | instid1(VALU_DEP_1)
	v_ldexp_f32 v2, v2, v15
	v_mul_f32_e32 v19, v2, v2
	v_sub_nc_u32_e32 v15, 0, v18
	s_delay_alu instid0(VALU_DEP_1) | instskip(NEXT) | instid1(VALU_DEP_3)
	v_ldexp_f32 v21, |v5|, v15
	v_fmaak_f32 v22, s11, v19, 0xbc7a590c
	v_ldexp_f32 v15, |v4|, v15
	s_delay_alu instid0(VALU_DEP_2) | instskip(NEXT) | instid1(VALU_DEP_1)
	v_dual_mul_f32 v21, v21, v21 :: v_dual_fmaak_f32 v22, v19, v22, 0x3d29fb3f
	v_fmac_f32_e32 v21, v15, v15
	s_delay_alu instid0(VALU_DEP_2) | instskip(NEXT) | instid1(VALU_DEP_2)
	v_fmaak_f32 v15, v19, v22, 0xbd97d4d7
	v_sqrt_f32_e32 v21, v21
	s_delay_alu instid0(VALU_DEP_1) | instskip(NEXT) | instid1(VALU_DEP_1)
	v_fmaak_f32 v15, v19, v15, 0x3dd931b2
	v_fmaak_f32 v15, v19, v15, 0xbe1160e6
	s_delay_alu instid0(TRANS32_DEP_1) | instskip(NEXT) | instid1(VALU_DEP_2)
	v_ldexp_f32 v18, v21, v18
	v_fmaak_f32 v15, v19, v15, 0x3e4cb8bf
	s_delay_alu instid0(VALU_DEP_2) | instskip(NEXT) | instid1(VALU_DEP_2)
	v_cndmask_b32_e32 v18, 0x7f800000, v18, vcc_lo
	v_fmaak_f32 v15, v19, v15, 0xbeaaaa62
	s_delay_alu instid0(VALU_DEP_2) | instskip(NEXT) | instid1(VALU_DEP_2)
	v_cmp_gt_f32_e32 vcc_lo, 0x800000, v18
	v_mul_f32_e32 v15, v19, v15
	v_cndmask_b32_e64 v20, 0, 32, vcc_lo
	v_cndmask_b32_e64 v21, 0, 0x41b17218, vcc_lo
	s_delay_alu instid0(VALU_DEP_2) | instskip(NEXT) | instid1(VALU_DEP_1)
	v_ldexp_f32 v18, v18, v20
	v_log_f32_e32 v18, v18
	v_nop
	s_delay_alu instid0(TRANS32_DEP_1) | instskip(SKIP_1) | instid1(VALU_DEP_2)
	v_dual_fmac_f32 v2, v2, v15 :: v_dual_mul_f32 v15, 0x3f317217, v18
	v_cmp_gt_f32_e64 vcc_lo, 0x7f800000, |v18|
	v_fma_f32 v15, 0x3f317217, v18, -v15
	s_delay_alu instid0(VALU_DEP_1) | instskip(NEXT) | instid1(VALU_DEP_1)
	v_fmac_f32_e32 v15, 0x3377d1cf, v18
	v_fmac_f32_e32 v15, 0x3f317217, v18
	s_delay_alu instid0(VALU_DEP_1) | instskip(SKIP_2) | instid1(VALU_DEP_2)
	v_cndmask_b32_e32 v15, v18, v15, vcc_lo
	v_sub_f32_e32 v19, 0x3fc90fdb, v2
	v_cmp_eq_f32_e32 vcc_lo, 0, v5
	v_cndmask_b32_e64 v2, v2, v19, s0
	v_cndmask_b32_e64 v19, 0, 0x40490fdb, s1
	v_cmp_gt_f32_e64 s1, 0, v4
	s_delay_alu instid0(VALU_DEP_3) | instskip(NEXT) | instid1(VALU_DEP_1)
	v_sub_f32_e32 v20, 0x40490fdb, v2
	v_cndmask_b32_e64 v2, v2, v20, s1
	v_cndmask_b32_e64 v20, 0x3f490fdb, v24, s1
	s_delay_alu instid0(VALU_DEP_2) | instskip(SKIP_1) | instid1(VALU_DEP_1)
	v_cndmask_b32_e32 v18, v2, v19, vcc_lo
	s_and_b32 vcc_lo, s3, s4
	v_dual_sub_f32 v2, v15, v21 :: v_dual_cndmask_b32 v15, v18, v20
.LBB186_281:                            ;   in Loop: Header=BB186_162 Depth=1
	s_or_b32 exec_lo, exec_lo, s2
                                        ; implicit-def: $vgpr18
.LBB186_282:                            ;   in Loop: Header=BB186_162 Depth=1
	s_and_not1_saveexec_b32 s2, s17
	s_cbranch_execz .LBB186_288
; %bb.283:                              ;   in Loop: Header=BB186_162 Depth=1
                                        ; implicit-def: $vgpr2
                                        ; implicit-def: $vgpr15
	s_mov_b32 s1, exec_lo
	v_cmpx_ngt_f32_e32 0x1fec1e4a, v18
	s_xor_b32 s3, exec_lo, s1
	s_cbranch_execz .LBB186_285
; %bb.284:                              ;   in Loop: Header=BB186_162 Depth=1
	v_pk_mul_f32 v[18:19], v[18:19], v[18:19]
	v_cmp_class_f32_e64 s4, v4, 0x204
	s_delay_alu instid0(VALU_DEP_2) | instskip(SKIP_1) | instid1(VALU_DEP_2)
	v_add_f32_e32 v21, 1.0, v18
	v_cmp_neq_f32_e64 s1, 0x7f800000, v18
	v_add_f32_e32 v19, -1.0, v21
	s_delay_alu instid0(VALU_DEP_1) | instskip(SKIP_2) | instid1(VALU_DEP_1)
	v_mov_b32_e32 v20, v19
	v_cvt_f64_f32_e32 v[22:23], v21
	v_frexp_mant_f32_e32 v15, v21
	v_cmp_gt_f32_e32 vcc_lo, 0x3f2aaaab, v15
	s_delay_alu instid0(VALU_DEP_3) | instskip(NEXT) | instid1(VALU_DEP_1)
	v_frexp_exp_i32_f64_e32 v2, v[22:23]
	v_subrev_co_ci_u32_e64 v2, null, 0, v2, vcc_lo
	v_cmp_gt_i32_e32 vcc_lo, 0, v4
	s_delay_alu instid0(VALU_DEP_2) | instskip(SKIP_1) | instid1(VALU_DEP_2)
	v_sub_nc_u32_e32 v15, 0, v2
	v_pk_add_f32 v[22:23], v[18:19], v[20:21] neg_lo:[0,1] neg_hi:[0,1]
	v_ldexp_f32 v19, v21, v15
	s_delay_alu instid0(VALU_DEP_2) | instskip(NEXT) | instid1(VALU_DEP_2)
	v_add_f32_e32 v20, 1.0, v23
	v_add_f32_e32 v23, 1.0, v19
	s_delay_alu instid0(VALU_DEP_1) | instskip(SKIP_1) | instid1(VALU_DEP_2)
	v_dual_add_f32 v21, -1.0, v23 :: v_dual_add_f32 v20, v22, v20
	v_add_f32_e32 v29, -1.0, v19
	v_ldexp_f32 v15, v20, v15
	s_delay_alu instid0(VALU_DEP_3) | instskip(NEXT) | instid1(VALU_DEP_1)
	v_sub_f32_e32 v20, v19, v21
	v_dual_add_f32 v21, 1.0, v29 :: v_dual_add_f32 v20, v15, v20
	s_delay_alu instid0(VALU_DEP_1) | instskip(NEXT) | instid1(VALU_DEP_1)
	v_sub_f32_e32 v19, v19, v21
	v_add_f32_e32 v15, v15, v19
	s_delay_alu instid0(VALU_DEP_1) | instskip(NEXT) | instid1(VALU_DEP_1)
	v_dual_add_f32 v21, v29, v15 :: v_dual_add_f32 v32, v23, v20
	v_sub_f32_e32 v29, v29, v21
	s_delay_alu instid0(VALU_DEP_2) | instskip(SKIP_1) | instid1(TRANS32_DEP_1)
	v_rcp_f32_e32 v19, v32
	v_nop
	v_mul_f32_e32 v33, v21, v19
	s_delay_alu instid0(VALU_DEP_1) | instskip(NEXT) | instid1(VALU_DEP_1)
	v_dual_mul_f32 v22, v32, v33 :: v_dual_sub_f32 v23, v23, v32
	v_dual_add_f32 v15, v15, v29 :: v_dual_fma_f32 v30, v33, v32, -v22
	s_delay_alu instid0(VALU_DEP_2) | instskip(NEXT) | instid1(VALU_DEP_1)
	v_add_f32_e32 v34, v20, v23
	v_fmac_f32_e32 v30, v33, v34
	s_delay_alu instid0(VALU_DEP_1) | instskip(NEXT) | instid1(VALU_DEP_1)
	v_add_f32_e32 v20, v22, v30
	v_dual_sub_f32 v23, v21, v20 :: v_dual_mov_b32 v31, v20
	s_delay_alu instid0(VALU_DEP_1) | instskip(NEXT) | instid1(VALU_DEP_1)
	v_pk_add_f32 v[20:21], v[20:21], v[22:23] neg_lo:[0,1] neg_hi:[0,1]
	v_pk_add_f32 v[20:21], v[20:21], v[30:31] neg_lo:[0,1] neg_hi:[0,1]
	s_delay_alu instid0(VALU_DEP_1) | instskip(NEXT) | instid1(VALU_DEP_1)
	v_add_f32_e32 v15, v15, v21
	v_add_f32_e32 v15, v20, v15
	s_delay_alu instid0(VALU_DEP_1) | instskip(NEXT) | instid1(VALU_DEP_1)
	v_add_f32_e32 v21, v23, v15
	v_mul_f32_e32 v29, v19, v21
	s_delay_alu instid0(VALU_DEP_1) | instskip(NEXT) | instid1(VALU_DEP_1)
	v_mul_f32_e32 v30, v32, v29
	v_dual_fma_f32 v22, v29, v32, -v30 :: v_dual_sub_f32 v32, v23, v21
	s_delay_alu instid0(VALU_DEP_1) | instskip(NEXT) | instid1(VALU_DEP_1)
	v_dual_fmac_f32 v22, v29, v34 :: v_dual_add_f32 v15, v15, v32
	v_add_f32_e32 v20, v30, v22
	s_delay_alu instid0(VALU_DEP_1) | instskip(NEXT) | instid1(VALU_DEP_1)
	v_dual_sub_f32 v31, v21, v20 :: v_dual_mov_b32 v23, v20
	v_pk_add_f32 v[20:21], v[20:21], v[30:31] neg_lo:[0,1] neg_hi:[0,1]
	s_delay_alu instid0(VALU_DEP_1) | instskip(NEXT) | instid1(VALU_DEP_1)
	v_pk_add_f32 v[20:21], v[20:21], v[22:23] neg_lo:[0,1] neg_hi:[0,1]
	v_add_f32_e32 v15, v15, v21
	s_delay_alu instid0(VALU_DEP_1) | instskip(NEXT) | instid1(VALU_DEP_1)
	v_dual_add_f32 v32, v33, v29 :: v_dual_add_f32 v15, v20, v15
	v_dual_sub_f32 v20, v32, v33 :: v_dual_add_f32 v15, v31, v15
	s_delay_alu instid0(VALU_DEP_1) | instskip(NEXT) | instid1(VALU_DEP_1)
	v_dual_sub_f32 v20, v29, v20 :: v_dual_mul_f32 v15, v19, v15
	v_add_f32_e32 v19, v20, v15
	v_cvt_f32_i32_e32 v20, v2
	s_delay_alu instid0(VALU_DEP_2) | instskip(NEXT) | instid1(VALU_DEP_1)
	v_add_f32_e32 v29, v32, v19
	v_mul_f32_e32 v15, v29, v29
	s_delay_alu instid0(VALU_DEP_1) | instskip(NEXT) | instid1(VALU_DEP_1)
	v_dual_fmaak_f32 v22, s10, v15, 0x3ecc95a3 :: v_dual_mul_f32 v21, v29, v15
	v_fmaak_f32 v15, v15, v22, 0x3f2aaada
	s_delay_alu instid0(VALU_DEP_1) | instskip(NEXT) | instid1(VALU_DEP_1)
	v_pk_mul_f32 v[22:23], v[20:21], v[14:15]
	v_fma_f32 v30, 0x3f317218, v20, -v22
	s_delay_alu instid0(VALU_DEP_1) | instskip(SKIP_4) | instid1(VALU_DEP_4)
	v_fmac_f32_e32 v30, 0xb102e308, v20
	v_ldexp_f32 v31, v29, 1
	v_sub_f32_e32 v2, v29, v32
	v_max_num_f32_e64 v29, |v4|, |v4|
	v_mov_b32_e32 v32, v22
	v_pk_add_f32 v[20:21], v[22:23], v[30:31]
	s_delay_alu instid0(VALU_DEP_4) | instskip(SKIP_1) | instid1(VALU_DEP_3)
	v_sub_f32_e32 v2, v19, v2
	v_max_num_f32_e64 v19, |v5|, |v5|
	v_sub_f32_e32 v15, v21, v31
	s_delay_alu instid0(VALU_DEP_3) | instskip(NEXT) | instid1(VALU_DEP_2)
	v_ldexp_f32 v2, v2, 1
	v_dual_mov_b32 v31, v20 :: v_dual_sub_f32 v15, v23, v15
	v_pk_add_f32 v[22:23], v[20:21], v[22:23] neg_lo:[0,1] neg_hi:[0,1]
	s_delay_alu instid0(VALU_DEP_2) | instskip(NEXT) | instid1(VALU_DEP_1)
	v_add_f32_e32 v33, v2, v15
	v_pk_add_f32 v[34:35], v[20:21], v[32:33]
	v_dual_max_num_f32 v2, v29, v19 :: v_dual_min_num_f32 v19, v29, v19
	s_delay_alu instid0(VALU_DEP_2) | instskip(NEXT) | instid1(VALU_DEP_2)
	v_dual_mov_b32 v40, v21 :: v_dual_mov_b32 v23, v35
	v_frexp_mant_f32_e32 v15, v2
	v_frexp_exp_i32_f32_e32 v29, v2
	s_delay_alu instid0(VALU_DEP_4) | instskip(NEXT) | instid1(VALU_DEP_4)
	v_frexp_exp_i32_f32_e32 v32, v19
	v_pk_add_f32 v[36:37], v[30:31], v[22:23]
	s_delay_alu instid0(VALU_DEP_4) | instskip(NEXT) | instid1(VALU_DEP_2)
	v_rcp_f32_e32 v15, v15
	v_dual_mov_b32 v36, v35 :: v_dual_sub_nc_u32 v29, v32, v29
	v_frexp_mant_f32_e32 v19, v19
	s_delay_alu instid0(VALU_DEP_3)
	v_mov_b32_e32 v2, v37
	v_pk_add_f32 v[22:23], v[30:31], v[22:23] neg_lo:[0,1] neg_hi:[0,1]
	s_delay_alu instid0(TRANS32_DEP_1) | instid1(VALU_DEP_3)
	v_mul_f32_e32 v15, v19, v15
	s_delay_alu instid0(VALU_DEP_3) | instskip(SKIP_1) | instid1(VALU_DEP_3)
	v_pk_add_f32 v[38:39], v[2:3], v[20:21] neg_lo:[0,1] neg_hi:[0,1]
	v_dual_mov_b32 v21, v20 :: v_dual_mov_b32 v20, v33
	v_ldexp_f32 v19, v15, v29
	s_delay_alu instid0(VALU_DEP_3) | instskip(NEXT) | instid1(VALU_DEP_2)
	v_dual_mov_b32 v41, v38 :: v_dual_mov_b32 v15, v38
	v_mul_f32_e32 v29, v19, v19
	s_delay_alu instid0(VALU_DEP_2) | instskip(NEXT) | instid1(VALU_DEP_3)
	v_pk_add_f32 v[30:31], v[36:37], v[40:41] neg_lo:[0,1] neg_hi:[0,1]
	v_pk_add_f32 v[32:33], v[34:35], v[14:15] neg_lo:[0,1] neg_hi:[0,1]
	v_mov_b32_e32 v32, v22
	s_delay_alu instid0(VALU_DEP_3) | instskip(NEXT) | instid1(VALU_DEP_1)
	v_pk_add_f32 v[20:21], v[20:21], v[30:31] neg_lo:[0,1] neg_hi:[0,1]
	v_pk_add_f32 v[30:31], v[32:33], v[20:21]
	s_delay_alu instid0(VALU_DEP_1) | instskip(NEXT) | instid1(VALU_DEP_1)
	v_dual_fmaak_f32 v15, s11, v29, 0xbc7a590c :: v_dual_mov_b32 v32, v31
	v_fmaak_f32 v15, v29, v15, 0x3d29fb3f
	s_delay_alu instid0(VALU_DEP_2) | instskip(NEXT) | instid1(VALU_DEP_1)
	v_pk_add_f32 v[32:33], v[30:31], v[32:33]
	v_pk_add_f32 v[34:35], v[2:3], v[32:33]
	v_dual_mov_b32 v23, v37 :: v_dual_mov_b32 v21, v32
	s_delay_alu instid0(VALU_DEP_2) | instskip(NEXT) | instid1(VALU_DEP_1)
	v_mov_b32_e32 v31, v34
	v_pk_add_f32 v[36:37], v[30:31], v[22:23] neg_lo:[0,1] neg_hi:[0,1]
	s_delay_alu instid0(VALU_DEP_1) | instskip(SKIP_1) | instid1(VALU_DEP_1)
	v_pk_add_f32 v[20:21], v[20:21], v[36:37] neg_lo:[0,1] neg_hi:[0,1]
	v_fmaak_f32 v15, v29, v15, 0xbd97d4d7
	v_fmaak_f32 v15, v29, v15, 0x3dd931b2
	s_delay_alu instid0(VALU_DEP_1) | instskip(NEXT) | instid1(VALU_DEP_1)
	v_dual_fmaak_f32 v2, v29, v15, 0xbe1160e6 :: v_dual_sub_f32 v15, v30, v36
	v_dual_fmaak_f32 v2, v29, v2, 0x3e4cb8bf :: v_dual_sub_f32 v15, v22, v15
	s_delay_alu instid0(VALU_DEP_1) | instskip(NEXT) | instid1(VALU_DEP_1)
	v_fmaak_f32 v2, v29, v2, 0xbeaaaa62
	v_mul_f32_e32 v2, v29, v2
	s_delay_alu instid0(VALU_DEP_1) | instskip(NEXT) | instid1(VALU_DEP_1)
	v_dual_fmac_f32 v19, v19, v2 :: v_dual_add_f32 v2, v20, v15
	v_sub_f32_e32 v15, 0x3fc90fdb, v19
	s_delay_alu instid0(VALU_DEP_1) | instskip(SKIP_2) | instid1(VALU_DEP_3)
	v_dual_cndmask_b32 v15, v19, v15, s0 :: v_dual_add_f32 v2, v2, v21
	v_cndmask_b32_e64 v19, 0, 0x40490fdb, vcc_lo
	v_cmp_gt_f32_e32 vcc_lo, 0, v4
	v_sub_f32_e32 v20, 0x40490fdb, v15
	s_delay_alu instid0(VALU_DEP_1) | instskip(NEXT) | instid1(VALU_DEP_1)
	v_dual_add_f32 v2, v34, v2 :: v_dual_cndmask_b32 v15, v15, v20
	v_cndmask_b32_e64 v2, 0x7f800000, v2, s1
	v_cndmask_b32_e32 v20, 0x3f490fdb, v24, vcc_lo
	v_cmp_gt_f32_e64 vcc_lo, 0x33800000, |v18|
	v_cmp_class_f32_e64 s1, v5, 0x204
	s_delay_alu instid0(VALU_DEP_4) | instskip(SKIP_1) | instid1(VALU_DEP_2)
	v_cndmask_b32_e32 v2, v2, v18, vcc_lo
	v_cmp_eq_f32_e32 vcc_lo, 0, v5
                                        ; implicit-def: $vgpr18
	v_dual_mul_f32 v2, 0.5, v2 :: v_dual_cndmask_b32 v15, v15, v19
	s_and_b32 vcc_lo, s4, s1
	s_delay_alu instid0(VALU_DEP_1)
	v_cndmask_b32_e32 v15, v15, v20, vcc_lo
.LBB186_285:                            ;   in Loop: Header=BB186_162 Depth=1
	s_and_not1_saveexec_b32 s3, s3
	s_cbranch_execz .LBB186_287
; %bb.286:                              ;   in Loop: Header=BB186_162 Depth=1
	v_max_num_f32_e64 v2, |v5|, |v5|
	v_max_num_f32_e64 v15, |v4|, |v4|
	v_cmp_eq_f32_e64 s1, 0, v5
	v_cmp_gt_i32_e32 vcc_lo, 0, v4
	v_cmp_class_f32_e64 s4, v4, 0x204
	v_cmp_class_f32_e64 s5, v5, 0x204
	v_dual_max_num_f32 v19, v15, v2 :: v_dual_min_num_f32 v2, v15, v2
	s_delay_alu instid0(VALU_DEP_1) | instskip(SKIP_1) | instid1(VALU_DEP_2)
	v_frexp_mant_f32_e32 v20, v19
	v_frexp_exp_i32_f32_e32 v15, v19
	v_rcp_f32_e32 v19, v20
	v_nop
	v_frexp_exp_i32_f32_e32 v20, v2
	v_frexp_mant_f32_e32 v2, v2
	s_delay_alu instid0(VALU_DEP_2)
	v_sub_nc_u32_e32 v15, v20, v15
	s_delay_alu instid0(TRANS32_DEP_1) | instid1(VALU_DEP_2)
	v_mul_f32_e32 v2, v2, v19
	s_delay_alu instid0(VALU_DEP_1) | instskip(NEXT) | instid1(VALU_DEP_1)
	v_ldexp_f32 v2, v2, v15
	v_mul_f32_e32 v15, v2, v2
	s_delay_alu instid0(VALU_DEP_1) | instskip(NEXT) | instid1(VALU_DEP_1)
	v_fmaak_f32 v19, s11, v15, 0xbc7a590c
	v_fmaak_f32 v19, v15, v19, 0x3d29fb3f
	s_delay_alu instid0(VALU_DEP_1) | instskip(NEXT) | instid1(VALU_DEP_1)
	v_fmaak_f32 v19, v15, v19, 0xbd97d4d7
	v_fmaak_f32 v19, v15, v19, 0x3dd931b2
	;; [unrolled: 3-line block ×3, first 2 shown]
	s_delay_alu instid0(VALU_DEP_1) | instskip(NEXT) | instid1(VALU_DEP_1)
	v_fmaak_f32 v19, v15, v19, 0xbeaaaa62
	v_mul_f32_e32 v15, v15, v19
	v_cndmask_b32_e64 v19, 0, 0x40490fdb, vcc_lo
	v_cmp_gt_f32_e32 vcc_lo, 0, v4
	s_delay_alu instid0(VALU_DEP_3) | instskip(SKIP_1) | instid1(VALU_DEP_2)
	v_fmac_f32_e32 v2, v2, v15
	v_cndmask_b32_e32 v20, 0x3f490fdb, v24, vcc_lo
	v_sub_f32_e32 v15, 0x3fc90fdb, v2
	s_delay_alu instid0(VALU_DEP_1) | instskip(NEXT) | instid1(VALU_DEP_1)
	v_cndmask_b32_e64 v2, v2, v15, s0
	v_sub_f32_e32 v15, 0x40490fdb, v2
	s_delay_alu instid0(VALU_DEP_1) | instskip(SKIP_1) | instid1(VALU_DEP_1)
	v_dual_cndmask_b32 v2, v2, v15 :: v_dual_mul_f32 v15, 0.5, v18
	s_and_b32 vcc_lo, s4, s5
	v_cndmask_b32_e64 v19, v2, v19, s1
	s_delay_alu instid0(VALU_DEP_1)
	v_dual_mul_f32 v2, v18, v15 :: v_dual_cndmask_b32 v15, v19, v20
.LBB186_287:                            ;   in Loop: Header=BB186_162 Depth=1
	s_or_b32 exec_lo, exec_lo, s3
.LBB186_288:                            ;   in Loop: Header=BB186_162 Depth=1
	s_delay_alu instid0(SALU_CYCLE_1)
	s_or_b32 exec_lo, exec_lo, s2
.LBB186_289:                            ;   in Loop: Header=BB186_162 Depth=1
	s_and_not1_saveexec_b32 s2, s16
	s_cbranch_execz .LBB186_291
; %bb.290:                              ;   in Loop: Header=BB186_162 Depth=1
	v_div_scale_f32 v2, null, 0x402df854, 0x402df854, v4
	v_div_scale_f32 v15, null, 0x402df854, 0x402df854, v5
	v_div_scale_f32 v22, vcc_lo, v4, 0x402df854, v4
	s_delay_alu instid0(VALU_DEP_3) | instskip(NEXT) | instid1(VALU_DEP_2)
	v_rcp_f32_e32 v18, v2
	v_rcp_f32_e32 v19, v15
	v_cmp_class_f32_e64 s3, v5, 0x204
	s_delay_alu instid0(TRANS32_DEP_2) | instskip(NEXT) | instid1(TRANS32_DEP_1)
	v_fma_f32 v20, -v2, v18, 1.0
	v_fma_f32 v21, -v15, v19, 1.0
	s_delay_alu instid0(VALU_DEP_1) | instskip(SKIP_1) | instid1(VALU_DEP_1)
	v_dual_fmac_f32 v18, v20, v18 :: v_dual_fmac_f32 v19, v21, v19
	v_div_scale_f32 v20, s1, v5, 0x402df854, v5
	v_dual_mul_f32 v21, v22, v18 :: v_dual_mul_f32 v23, v20, v19
	s_delay_alu instid0(VALU_DEP_1) | instskip(NEXT) | instid1(VALU_DEP_1)
	v_dual_fma_f32 v29, -v2, v21, v22 :: v_dual_fma_f32 v30, -v15, v23, v20
	v_dual_fmac_f32 v21, v29, v18 :: v_dual_fmac_f32 v23, v30, v19
	s_delay_alu instid0(VALU_DEP_1) | instskip(NEXT) | instid1(VALU_DEP_1)
	v_dual_fma_f32 v2, -v2, v21, v22 :: v_dual_fma_f32 v15, -v15, v23, v20
	v_div_fmas_f32 v2, v2, v18, v21
	s_mov_b32 vcc_lo, s1
	v_max_num_f32_e64 v21, |v4|, |v4|
	s_delay_alu instid0(VALU_DEP_3) | instskip(SKIP_2) | instid1(VALU_DEP_3)
	v_div_fmas_f32 v15, v15, v19, v23
	v_cmp_class_f32_e64 s1, v4, 0x204
	v_div_fixup_f32 v2, v2, 0x402df854, v4
	v_div_fixup_f32 v15, v15, 0x402df854, v5
	s_delay_alu instid0(VALU_DEP_1) | instskip(NEXT) | instid1(VALU_DEP_1)
	v_max_num_f32_e64 v20, |v2|, |v15|
	v_cvt_f64_f32_e32 v[18:19], v20
	v_cmp_neq_f32_e32 vcc_lo, 0x7f800000, v20
	s_delay_alu instid0(VALU_DEP_2) | instskip(SKIP_1) | instid1(VALU_DEP_1)
	v_frexp_exp_i32_f64_e32 v18, v[18:19]
	v_max_num_f32_e64 v19, |v5|, |v5|
	v_dual_max_num_f32 v22, v21, v19 :: v_dual_min_num_f32 v19, v21, v19
	s_delay_alu instid0(VALU_DEP_1) | instskip(SKIP_1) | instid1(VALU_DEP_2)
	v_frexp_mant_f32_e32 v23, v22
	v_frexp_exp_i32_f32_e32 v21, v22
	v_rcp_f32_e32 v22, v23
	v_nop
	v_frexp_exp_i32_f32_e32 v23, v19
	v_frexp_mant_f32_e32 v19, v19
	s_delay_alu instid0(VALU_DEP_2)
	v_sub_nc_u32_e32 v21, v23, v21
	s_delay_alu instid0(TRANS32_DEP_1) | instid1(VALU_DEP_2)
	v_mul_f32_e32 v19, v19, v22
	v_sub_nc_u32_e32 v22, 0, v18
	s_delay_alu instid0(VALU_DEP_2) | instskip(NEXT) | instid1(VALU_DEP_2)
	v_ldexp_f32 v19, v19, v21
	v_ldexp_f32 v15, |v15|, v22
	v_ldexp_f32 v2, |v2|, v22
	s_delay_alu instid0(VALU_DEP_2) | instskip(NEXT) | instid1(VALU_DEP_1)
	v_mul_f32_e32 v15, v15, v15
	v_dual_mul_f32 v21, v19, v19 :: v_dual_fmac_f32 v15, v2, v2
	s_delay_alu instid0(VALU_DEP_1) | instskip(NEXT) | instid1(VALU_DEP_2)
	v_fmaak_f32 v22, s11, v21, 0xbc7a590c
	v_sqrt_f32_e32 v15, v15
	s_delay_alu instid0(VALU_DEP_1) | instskip(NEXT) | instid1(VALU_DEP_1)
	v_fmaak_f32 v2, v21, v22, 0x3d29fb3f
	v_fmaak_f32 v2, v21, v2, 0xbd97d4d7
	s_delay_alu instid0(TRANS32_DEP_1) | instskip(NEXT) | instid1(VALU_DEP_2)
	v_ldexp_f32 v15, v15, v18
	v_fmaak_f32 v2, v21, v2, 0x3dd931b2
	s_delay_alu instid0(VALU_DEP_1) | instskip(NEXT) | instid1(VALU_DEP_1)
	v_fmaak_f32 v2, v21, v2, 0xbe1160e6
	v_fmaak_f32 v2, v21, v2, 0x3e4cb8bf
	s_delay_alu instid0(VALU_DEP_1) | instskip(NEXT) | instid1(VALU_DEP_1)
	v_fmaak_f32 v2, v21, v2, 0xbeaaaa62
	v_dual_cndmask_b32 v15, 0x7f800000, v15 :: v_dual_mul_f32 v2, v21, v2
	s_delay_alu instid0(VALU_DEP_1) | instskip(NEXT) | instid1(VALU_DEP_2)
	v_cmp_gt_f32_e32 vcc_lo, 0x800000, v15
	v_fmac_f32_e32 v19, v19, v2
	v_cndmask_b32_e64 v18, 0, 32, vcc_lo
	v_cndmask_b32_e64 v21, 0, 0x41b17218, vcc_lo
	s_delay_alu instid0(VALU_DEP_2) | instskip(NEXT) | instid1(VALU_DEP_1)
	v_ldexp_f32 v15, v15, v18
	v_log_f32_e32 v15, v15
	v_nop
	s_delay_alu instid0(TRANS32_DEP_1) | instskip(SKIP_1) | instid1(VALU_DEP_2)
	v_mul_f32_e32 v18, 0x3f317217, v15
	v_cmp_gt_f32_e64 vcc_lo, 0x7f800000, |v15|
	v_fma_f32 v2, 0x3f317217, v15, -v18
	v_sub_f32_e32 v18, 0x3fc90fdb, v19
	s_delay_alu instid0(VALU_DEP_2) | instskip(NEXT) | instid1(VALU_DEP_1)
	v_fmac_f32_e32 v2, 0x3377d1cf, v15
	v_fmac_f32_e32 v2, 0x3f317217, v15
	s_delay_alu instid0(VALU_DEP_1) | instskip(NEXT) | instid1(VALU_DEP_4)
	v_cndmask_b32_e32 v2, v15, v2, vcc_lo
	v_cndmask_b32_e64 v18, v19, v18, s0
	v_cmp_gt_i32_e64 s0, 0, v4
	v_cmp_eq_f32_e32 vcc_lo, 0, v5
	s_delay_alu instid0(VALU_DEP_4) | instskip(NEXT) | instid1(VALU_DEP_4)
	v_sub_f32_e32 v2, v2, v21
	v_sub_f32_e32 v20, 0x40490fdb, v18
	s_delay_alu instid0(VALU_DEP_4) | instskip(SKIP_1) | instid1(VALU_DEP_1)
	v_cndmask_b32_e64 v19, 0, 0x40490fdb, s0
	v_cmp_gt_f32_e64 s0, 0, v4
	v_dual_add_f32 v2, 1.0, v2 :: v_dual_cndmask_b32 v15, v18, v20, s0
	v_cndmask_b32_e64 v18, 0x3f490fdb, v24, s0
	s_delay_alu instid0(VALU_DEP_2) | instskip(SKIP_1) | instid1(VALU_DEP_1)
	v_cndmask_b32_e32 v15, v15, v19, vcc_lo
	s_and_b32 vcc_lo, s1, s3
	v_cndmask_b32_e32 v15, v15, v18, vcc_lo
.LBB186_291:                            ;   in Loop: Header=BB186_162 Depth=1
	s_or_b32 exec_lo, exec_lo, s2
.LBB186_292:                            ;   in Loop: Header=BB186_162 Depth=1
	s_and_not1_saveexec_b32 s0, s13
	s_cbranch_execz .LBB186_161
; %bb.293:                              ;   in Loop: Header=BB186_162 Depth=1
	v_cmp_ngt_f32_e64 s1, 0x20000000, |v4|
	v_cmp_ngt_f32_e64 s2, 0x20000000, |v5|
                                        ; implicit-def: $vgpr2
	s_or_b32 s1, s1, s2
	s_delay_alu instid0(SALU_CYCLE_1) | instskip(NEXT) | instid1(SALU_CYCLE_1)
	s_and_saveexec_b32 s2, s1
	s_xor_b32 s1, exec_lo, s2
; %bb.294:                              ;   in Loop: Header=BB186_162 Depth=1
	v_pk_mul_f32 v[18:19], v[4:5], v[4:5]
	s_delay_alu instid0(VALU_DEP_1)
	v_add_f32_e32 v2, v18, v19
; %bb.295:                              ;   in Loop: Header=BB186_162 Depth=1
	s_and_not1_saveexec_b32 s1, s1
	s_cbranch_execz .LBB186_160
; %bb.296:                              ;   in Loop: Header=BB186_162 Depth=1
	v_pk_mul_f32 v[18:19], v[4:5], 4.0 op_sel_hi:[1,0]
	s_delay_alu instid0(VALU_DEP_1) | instskip(NEXT) | instid1(VALU_DEP_1)
	v_pk_mul_f32 v[18:19], v[18:19], v[18:19]
	v_add_f32_e32 v2, v18, v19
	s_delay_alu instid0(VALU_DEP_1)
	v_mul_f32_e32 v2, 0x3d800000, v2
	s_branch .LBB186_160
.LBB186_297:
	s_endpgm
	.section	.rodata,"a",@progbits
	.p2align	6, 0x0
	.amdhsa_kernel _ZN2at6native12_GLOBAL__N_125multi_tensor_apply_kernelINS1_18TensorListMetadataILi1EEENS1_14UnaryOpFunctorIN3c107complexIfEELi1ELi1ELi0EEEJNS0_5Log10IS8_EEEEEvT_T0_DpT1_
		.amdhsa_group_segment_fixed_size 0
		.amdhsa_private_segment_fixed_size 0
		.amdhsa_kernarg_size 3632
		.amdhsa_user_sgpr_count 2
		.amdhsa_user_sgpr_dispatch_ptr 0
		.amdhsa_user_sgpr_queue_ptr 0
		.amdhsa_user_sgpr_kernarg_segment_ptr 1
		.amdhsa_user_sgpr_dispatch_id 0
		.amdhsa_user_sgpr_kernarg_preload_length 0
		.amdhsa_user_sgpr_kernarg_preload_offset 0
		.amdhsa_user_sgpr_private_segment_size 0
		.amdhsa_wavefront_size32 1
		.amdhsa_uses_dynamic_stack 0
		.amdhsa_enable_private_segment 0
		.amdhsa_system_sgpr_workgroup_id_x 1
		.amdhsa_system_sgpr_workgroup_id_y 0
		.amdhsa_system_sgpr_workgroup_id_z 0
		.amdhsa_system_sgpr_workgroup_info 0
		.amdhsa_system_vgpr_workitem_id 0
		.amdhsa_next_free_vgpr 51
		.amdhsa_next_free_sgpr 39
		.amdhsa_named_barrier_count 0
		.amdhsa_reserve_vcc 1
		.amdhsa_float_round_mode_32 0
		.amdhsa_float_round_mode_16_64 0
		.amdhsa_float_denorm_mode_32 3
		.amdhsa_float_denorm_mode_16_64 3
		.amdhsa_fp16_overflow 0
		.amdhsa_memory_ordered 1
		.amdhsa_forward_progress 1
		.amdhsa_inst_pref_size 255
		.amdhsa_round_robin_scheduling 0
		.amdhsa_exception_fp_ieee_invalid_op 0
		.amdhsa_exception_fp_denorm_src 0
		.amdhsa_exception_fp_ieee_div_zero 0
		.amdhsa_exception_fp_ieee_overflow 0
		.amdhsa_exception_fp_ieee_underflow 0
		.amdhsa_exception_fp_ieee_inexact 0
		.amdhsa_exception_int_div_zero 0
	.end_amdhsa_kernel
	.section	.text._ZN2at6native12_GLOBAL__N_125multi_tensor_apply_kernelINS1_18TensorListMetadataILi1EEENS1_14UnaryOpFunctorIN3c107complexIfEELi1ELi1ELi0EEEJNS0_5Log10IS8_EEEEEvT_T0_DpT1_,"axG",@progbits,_ZN2at6native12_GLOBAL__N_125multi_tensor_apply_kernelINS1_18TensorListMetadataILi1EEENS1_14UnaryOpFunctorIN3c107complexIfEELi1ELi1ELi0EEEJNS0_5Log10IS8_EEEEEvT_T0_DpT1_,comdat
.Lfunc_end186:
	.size	_ZN2at6native12_GLOBAL__N_125multi_tensor_apply_kernelINS1_18TensorListMetadataILi1EEENS1_14UnaryOpFunctorIN3c107complexIfEELi1ELi1ELi0EEEJNS0_5Log10IS8_EEEEEvT_T0_DpT1_, .Lfunc_end186-_ZN2at6native12_GLOBAL__N_125multi_tensor_apply_kernelINS1_18TensorListMetadataILi1EEENS1_14UnaryOpFunctorIN3c107complexIfEELi1ELi1ELi0EEEJNS0_5Log10IS8_EEEEEvT_T0_DpT1_
                                        ; -- End function
	.set _ZN2at6native12_GLOBAL__N_125multi_tensor_apply_kernelINS1_18TensorListMetadataILi1EEENS1_14UnaryOpFunctorIN3c107complexIfEELi1ELi1ELi0EEEJNS0_5Log10IS8_EEEEEvT_T0_DpT1_.num_vgpr, 51
	.set _ZN2at6native12_GLOBAL__N_125multi_tensor_apply_kernelINS1_18TensorListMetadataILi1EEENS1_14UnaryOpFunctorIN3c107complexIfEELi1ELi1ELi0EEEJNS0_5Log10IS8_EEEEEvT_T0_DpT1_.num_agpr, 0
	.set _ZN2at6native12_GLOBAL__N_125multi_tensor_apply_kernelINS1_18TensorListMetadataILi1EEENS1_14UnaryOpFunctorIN3c107complexIfEELi1ELi1ELi0EEEJNS0_5Log10IS8_EEEEEvT_T0_DpT1_.numbered_sgpr, 39
	.set _ZN2at6native12_GLOBAL__N_125multi_tensor_apply_kernelINS1_18TensorListMetadataILi1EEENS1_14UnaryOpFunctorIN3c107complexIfEELi1ELi1ELi0EEEJNS0_5Log10IS8_EEEEEvT_T0_DpT1_.num_named_barrier, 0
	.set _ZN2at6native12_GLOBAL__N_125multi_tensor_apply_kernelINS1_18TensorListMetadataILi1EEENS1_14UnaryOpFunctorIN3c107complexIfEELi1ELi1ELi0EEEJNS0_5Log10IS8_EEEEEvT_T0_DpT1_.private_seg_size, 0
	.set _ZN2at6native12_GLOBAL__N_125multi_tensor_apply_kernelINS1_18TensorListMetadataILi1EEENS1_14UnaryOpFunctorIN3c107complexIfEELi1ELi1ELi0EEEJNS0_5Log10IS8_EEEEEvT_T0_DpT1_.uses_vcc, 1
	.set _ZN2at6native12_GLOBAL__N_125multi_tensor_apply_kernelINS1_18TensorListMetadataILi1EEENS1_14UnaryOpFunctorIN3c107complexIfEELi1ELi1ELi0EEEJNS0_5Log10IS8_EEEEEvT_T0_DpT1_.uses_flat_scratch, 0
	.set _ZN2at6native12_GLOBAL__N_125multi_tensor_apply_kernelINS1_18TensorListMetadataILi1EEENS1_14UnaryOpFunctorIN3c107complexIfEELi1ELi1ELi0EEEJNS0_5Log10IS8_EEEEEvT_T0_DpT1_.has_dyn_sized_stack, 0
	.set _ZN2at6native12_GLOBAL__N_125multi_tensor_apply_kernelINS1_18TensorListMetadataILi1EEENS1_14UnaryOpFunctorIN3c107complexIfEELi1ELi1ELi0EEEJNS0_5Log10IS8_EEEEEvT_T0_DpT1_.has_recursion, 0
	.set _ZN2at6native12_GLOBAL__N_125multi_tensor_apply_kernelINS1_18TensorListMetadataILi1EEENS1_14UnaryOpFunctorIN3c107complexIfEELi1ELi1ELi0EEEJNS0_5Log10IS8_EEEEEvT_T0_DpT1_.has_indirect_call, 0
	.section	.AMDGPU.csdata,"",@progbits
; Kernel info:
; codeLenInByte = 53168
; TotalNumSgprs: 41
; NumVgprs: 51
; ScratchSize: 0
; MemoryBound: 1
; FloatMode: 240
; IeeeMode: 1
; LDSByteSize: 0 bytes/workgroup (compile time only)
; SGPRBlocks: 0
; VGPRBlocks: 3
; NumSGPRsForWavesPerEU: 41
; NumVGPRsForWavesPerEU: 51
; NamedBarCnt: 0
; Occupancy: 16
; WaveLimiterHint : 0
; COMPUTE_PGM_RSRC2:SCRATCH_EN: 0
; COMPUTE_PGM_RSRC2:USER_SGPR: 2
; COMPUTE_PGM_RSRC2:TRAP_HANDLER: 0
; COMPUTE_PGM_RSRC2:TGID_X_EN: 1
; COMPUTE_PGM_RSRC2:TGID_Y_EN: 0
; COMPUTE_PGM_RSRC2:TGID_Z_EN: 0
; COMPUTE_PGM_RSRC2:TIDIG_COMP_CNT: 0
	.section	.text._ZN2at6native12_GLOBAL__N_125multi_tensor_apply_kernelINS1_18TensorListMetadataILi1EEENS1_14UnaryOpFunctorIN3c104HalfELi1ELi1ELi0EEEJNS0_5Log10IfEEEEEvT_T0_DpT1_,"axG",@progbits,_ZN2at6native12_GLOBAL__N_125multi_tensor_apply_kernelINS1_18TensorListMetadataILi1EEENS1_14UnaryOpFunctorIN3c104HalfELi1ELi1ELi0EEEJNS0_5Log10IfEEEEEvT_T0_DpT1_,comdat
	.globl	_ZN2at6native12_GLOBAL__N_125multi_tensor_apply_kernelINS1_18TensorListMetadataILi1EEENS1_14UnaryOpFunctorIN3c104HalfELi1ELi1ELi0EEEJNS0_5Log10IfEEEEEvT_T0_DpT1_ ; -- Begin function _ZN2at6native12_GLOBAL__N_125multi_tensor_apply_kernelINS1_18TensorListMetadataILi1EEENS1_14UnaryOpFunctorIN3c104HalfELi1ELi1ELi0EEEJNS0_5Log10IfEEEEEvT_T0_DpT1_
	.p2align	8
	.type	_ZN2at6native12_GLOBAL__N_125multi_tensor_apply_kernelINS1_18TensorListMetadataILi1EEENS1_14UnaryOpFunctorIN3c104HalfELi1ELi1ELi0EEEJNS0_5Log10IfEEEEEvT_T0_DpT1_,@function
_ZN2at6native12_GLOBAL__N_125multi_tensor_apply_kernelINS1_18TensorListMetadataILi1EEENS1_14UnaryOpFunctorIN3c104HalfELi1ELi1ELi0EEEJNS0_5Log10IfEEEEEvT_T0_DpT1_: ; @_ZN2at6native12_GLOBAL__N_125multi_tensor_apply_kernelINS1_18TensorListMetadataILi1EEENS1_14UnaryOpFunctorIN3c104HalfELi1ELi1ELi0EEEJNS0_5Log10IfEEEEEvT_T0_DpT1_
; %bb.0:
	s_bfe_u32 s2, ttmp6, 0x4000c
	s_and_b32 s3, ttmp6, 15
	s_add_co_i32 s2, s2, 1
	s_getreg_b32 s4, hwreg(HW_REG_IB_STS2, 6, 4)
	s_mul_i32 s2, ttmp9, s2
	s_delay_alu instid0(SALU_CYCLE_1)
	s_add_co_i32 s3, s3, s2
	s_cmp_eq_u32 s4, 0
	s_cselect_b32 s2, ttmp9, s3
	s_mov_b32 s3, 0
	s_load_u8 s8, s[0:1], s2 offset:0x6e0
	s_add_nc_u64 s[4:5], s[0:1], s[2:3]
	s_mul_u64 s[6:7], s[2:3], 3
	s_delay_alu instid0(SALU_CYCLE_1)
	s_add_nc_u64 s[4:5], s[4:5], s[6:7]
	s_load_b32 s10, s[4:5], 0x820
	s_wait_kmcnt 0x0
	s_clause 0x1
	s_load_b64 s[6:7], s[0:1], s8 offset:0x0 scale_offset
	s_load_b64 s[12:13], s[0:1], s8 offset:0x370 scale_offset
	s_ashr_i32 s11, s10, 31
	s_wait_kmcnt 0x0
	s_and_b64 s[4:5], s[6:7], 7
	s_and_b32 s2, s12, 3
	s_lshl_b64 s[8:9], s[10:11], 17
	s_or_b64 s[2:3], s[4:5], s[2:3]
	s_lshl_b64 s[4:5], s[10:11], 16
	s_cmp_eq_u64 s[2:3], 0
	s_sub_nc_u64 s[10:11], s[12:13], s[4:5]
	s_cbranch_scc1 .LBB187_21
; %bb.1:
	v_cmp_lt_i64_e64 s2, s[10:11], 1
	s_and_b32 vcc_lo, exec_lo, s2
	s_cbranch_vccnz .LBB187_20
; %bb.2:
	s_load_b32 s2, s[0:1], 0xd3c
	v_min_i64 v[2:3], 0x10000, s[10:11]
	v_min_u64 v[4:5], 0x10000, s[10:11]
	v_dual_mov_b32 v1, 0 :: v_dual_lshlrev_b32 v8, 1, v0
	s_mov_b32 s3, 0
	s_add_nc_u64 s[4:5], s[6:7], s[8:9]
	s_mov_b32 s15, s3
	s_delay_alu instid0(VALU_DEP_1)
	v_mov_b32_e32 v15, v1
	s_mov_b32 s17, s3
	s_mov_b32 s13, s3
	s_mov_b64 s[18:19], 0
	s_wait_kmcnt 0x0
	s_and_b32 s2, s2, 0xffff
	s_delay_alu instid0(SALU_CYCLE_1)
	v_add_nc_u64_e32 v[6:7], s[2:3], v[0:1]
	v_mov_b32_e32 v9, v1
	s_lshl_b32 s14, s2, 1
	s_mul_i32 s16, s2, 3
	v_add_nc_u64_e32 v[12:13], s[14:15], v[0:1]
	v_add_nc_u64_e32 v[10:11], s[16:17], v[0:1]
	s_lshl_b32 s12, s2, 2
	v_lshlrev_b32_e32 v14, 1, v6
	v_add_nc_u64_e32 v[8:9], s[4:5], v[8:9]
	s_lshl_b32 s14, s2, 3
	s_mul_u64 s[16:17], s[2:3], 6
	s_delay_alu instid0(VALU_DEP_2)
	v_add_nc_u64_e32 v[14:15], s[4:5], v[14:15]
	s_branch .LBB187_4
.LBB187_3:                              ;   in Loop: Header=BB187_4 Depth=1
	s_wait_xcnt 0x0
	s_or_b32 exec_lo, exec_lo, s3
	s_add_nc_u64 s[18:19], s[18:19], s[12:13]
	v_add_nc_u64_e32 v[8:9], s[14:15], v[8:9]
	v_cmp_lt_i64_e32 vcc_lo, s[18:19], v[2:3]
	v_add_nc_u64_e32 v[14:15], s[14:15], v[14:15]
	s_cbranch_vccz .LBB187_20
.LBB187_4:                              ; =>This Inner Loop Header: Depth=1
	v_add_nc_u64_e32 v[16:17], s[18:19], v[0:1]
	v_mov_b32_e32 v23, 0
	s_delay_alu instid0(VALU_DEP_2)
	v_cmp_lt_u64_e64 s4, v[16:17], v[4:5]
	s_and_saveexec_b32 s2, s4
	s_cbranch_execz .LBB187_6
; %bb.5:                                ;   in Loop: Header=BB187_4 Depth=1
	global_load_u16 v16, v[8:9], off
	s_wait_loadcnt 0x0
	v_cvt_f32_f16_e32 v23, v16
.LBB187_6:                              ;   in Loop: Header=BB187_4 Depth=1
	s_wait_xcnt 0x0
	s_or_b32 exec_lo, exec_lo, s2
	v_add_nc_u64_e32 v[16:17], s[18:19], v[6:7]
	v_dual_mov_b32 v20, 0 :: v_dual_mov_b32 v22, 0
	s_delay_alu instid0(VALU_DEP_2)
	v_cmp_lt_u64_e64 s3, v[16:17], v[4:5]
	s_and_saveexec_b32 s2, s3
	s_cbranch_execz .LBB187_8
; %bb.7:                                ;   in Loop: Header=BB187_4 Depth=1
	global_load_u16 v16, v[14:15], off
	s_wait_loadcnt 0x0
	v_cvt_f32_f16_e32 v22, v16
.LBB187_8:                              ;   in Loop: Header=BB187_4 Depth=1
	s_wait_xcnt 0x0
	s_or_b32 exec_lo, exec_lo, s2
	v_add_nc_u64_e32 v[16:17], s[18:19], v[12:13]
	v_add_nc_u64_e32 v[18:19], s[12:13], v[8:9]
	s_delay_alu instid0(VALU_DEP_2)
	v_cmp_lt_u64_e64 s2, v[16:17], v[4:5]
	s_and_saveexec_b32 s5, s2
	s_cbranch_execz .LBB187_10
; %bb.9:                                ;   in Loop: Header=BB187_4 Depth=1
	global_load_u16 v16, v[18:19], off
	s_wait_loadcnt 0x0
	v_cvt_f32_f16_e32 v20, v16
.LBB187_10:                             ;   in Loop: Header=BB187_4 Depth=1
	s_wait_xcnt 0x0
	s_or_b32 exec_lo, exec_lo, s5
	v_add_nc_u64_e32 v[16:17], s[18:19], v[10:11]
	v_mov_b32_e32 v21, 0
	s_delay_alu instid0(VALU_DEP_2)
	v_cmp_lt_u64_e32 vcc_lo, v[16:17], v[4:5]
	v_add_nc_u64_e32 v[16:17], s[16:17], v[8:9]
	s_and_saveexec_b32 s5, vcc_lo
	s_cbranch_execnz .LBB187_15
; %bb.11:                               ;   in Loop: Header=BB187_4 Depth=1
	s_or_b32 exec_lo, exec_lo, s5
	s_and_saveexec_b32 s20, s4
	s_cbranch_execnz .LBB187_16
.LBB187_12:                             ;   in Loop: Header=BB187_4 Depth=1
	s_or_b32 exec_lo, exec_lo, s20
	s_and_saveexec_b32 s5, s3
	s_cbranch_execnz .LBB187_17
.LBB187_13:                             ;   in Loop: Header=BB187_4 Depth=1
	s_or_b32 exec_lo, exec_lo, s5
	s_and_saveexec_b32 s4, s2
	s_cbranch_execnz .LBB187_18
.LBB187_14:                             ;   in Loop: Header=BB187_4 Depth=1
	s_or_b32 exec_lo, exec_lo, s4
	s_and_saveexec_b32 s3, vcc_lo
	s_cbranch_execz .LBB187_3
	s_branch .LBB187_19
.LBB187_15:                             ;   in Loop: Header=BB187_4 Depth=1
	global_load_u16 v21, v[16:17], off
	s_wait_loadcnt 0x0
	v_cvt_f32_f16_e32 v21, v21
	s_wait_xcnt 0x0
	s_or_b32 exec_lo, exec_lo, s5
	s_and_saveexec_b32 s20, s4
	s_cbranch_execz .LBB187_12
.LBB187_16:                             ;   in Loop: Header=BB187_4 Depth=1
	v_cmp_gt_f32_e64 s4, 0x800000, v23
	s_delay_alu instid0(VALU_DEP_1) | instskip(NEXT) | instid1(VALU_DEP_1)
	v_cndmask_b32_e64 v24, 0, 32, s4
	v_ldexp_f32 v23, v23, v24
	s_delay_alu instid0(VALU_DEP_1) | instskip(SKIP_1) | instid1(TRANS32_DEP_1)
	v_log_f32_e32 v23, v23
	v_nop
	v_mul_f32_e32 v24, 0x3e9a209a, v23
	v_cmp_gt_f32_e64 s5, 0x7f800000, |v23|
	s_delay_alu instid0(VALU_DEP_2) | instskip(NEXT) | instid1(VALU_DEP_1)
	v_fma_f32 v24, 0x3e9a209a, v23, -v24
	v_fmac_f32_e32 v24, 0x3284fbcf, v23
	s_delay_alu instid0(VALU_DEP_1) | instskip(NEXT) | instid1(VALU_DEP_1)
	v_fmac_f32_e32 v24, 0x3e9a209a, v23
	v_cndmask_b32_e64 v23, v23, v24, s5
	v_cndmask_b32_e64 v24, 0, 0x411a209b, s4
	s_delay_alu instid0(VALU_DEP_1) | instskip(NEXT) | instid1(VALU_DEP_1)
	v_sub_f32_e32 v23, v23, v24
	v_cvt_f16_f32_e32 v23, v23
	global_store_b16 v[8:9], v23, off
	s_wait_xcnt 0x0
	s_or_b32 exec_lo, exec_lo, s20
	s_and_saveexec_b32 s5, s3
	s_cbranch_execz .LBB187_13
.LBB187_17:                             ;   in Loop: Header=BB187_4 Depth=1
	v_cmp_gt_f32_e64 s3, 0x800000, v22
	s_delay_alu instid0(VALU_DEP_1) | instskip(NEXT) | instid1(VALU_DEP_1)
	v_cndmask_b32_e64 v23, 0, 32, s3
	v_ldexp_f32 v22, v22, v23
	s_delay_alu instid0(VALU_DEP_1) | instskip(SKIP_1) | instid1(TRANS32_DEP_1)
	v_log_f32_e32 v22, v22
	v_nop
	v_mul_f32_e32 v23, 0x3e9a209a, v22
	v_cmp_gt_f32_e64 s4, 0x7f800000, |v22|
	s_delay_alu instid0(VALU_DEP_2) | instskip(NEXT) | instid1(VALU_DEP_1)
	v_fma_f32 v23, 0x3e9a209a, v22, -v23
	v_fmac_f32_e32 v23, 0x3284fbcf, v22
	s_delay_alu instid0(VALU_DEP_1) | instskip(NEXT) | instid1(VALU_DEP_1)
	v_fmac_f32_e32 v23, 0x3e9a209a, v22
	v_cndmask_b32_e64 v22, v22, v23, s4
	v_cndmask_b32_e64 v23, 0, 0x411a209b, s3
	s_delay_alu instid0(VALU_DEP_1) | instskip(NEXT) | instid1(VALU_DEP_1)
	v_sub_f32_e32 v22, v22, v23
	v_cvt_f16_f32_e32 v22, v22
	global_store_b16 v[14:15], v22, off
	s_wait_xcnt 0x0
	s_or_b32 exec_lo, exec_lo, s5
	s_and_saveexec_b32 s4, s2
	s_cbranch_execz .LBB187_14
.LBB187_18:                             ;   in Loop: Header=BB187_4 Depth=1
	v_cmp_gt_f32_e64 s2, 0x800000, v20
	s_delay_alu instid0(VALU_DEP_1) | instskip(NEXT) | instid1(VALU_DEP_1)
	v_cndmask_b32_e64 v22, 0, 32, s2
	v_ldexp_f32 v20, v20, v22
	s_delay_alu instid0(VALU_DEP_1) | instskip(SKIP_1) | instid1(TRANS32_DEP_1)
	v_log_f32_e32 v20, v20
	v_nop
	v_mul_f32_e32 v22, 0x3e9a209a, v20
	v_cmp_gt_f32_e64 s3, 0x7f800000, |v20|
	s_delay_alu instid0(VALU_DEP_2) | instskip(NEXT) | instid1(VALU_DEP_1)
	v_fma_f32 v22, 0x3e9a209a, v20, -v22
	v_fmac_f32_e32 v22, 0x3284fbcf, v20
	s_delay_alu instid0(VALU_DEP_1) | instskip(NEXT) | instid1(VALU_DEP_1)
	v_fmac_f32_e32 v22, 0x3e9a209a, v20
	v_cndmask_b32_e64 v20, v20, v22, s3
	v_cndmask_b32_e64 v22, 0, 0x411a209b, s2
	s_delay_alu instid0(VALU_DEP_1) | instskip(NEXT) | instid1(VALU_DEP_1)
	v_sub_f32_e32 v20, v20, v22
	v_cvt_f16_f32_e32 v20, v20
	global_store_b16 v[18:19], v20, off
	s_wait_xcnt 0x0
	s_or_b32 exec_lo, exec_lo, s4
	s_and_saveexec_b32 s3, vcc_lo
	s_cbranch_execz .LBB187_3
.LBB187_19:                             ;   in Loop: Header=BB187_4 Depth=1
	v_cmp_gt_f32_e32 vcc_lo, 0x800000, v21
	v_cndmask_b32_e64 v18, 0, 32, vcc_lo
	s_delay_alu instid0(VALU_DEP_1) | instskip(NEXT) | instid1(VALU_DEP_1)
	v_ldexp_f32 v18, v21, v18
	v_log_f32_e32 v18, v18
	v_nop
	s_delay_alu instid0(TRANS32_DEP_1) | instskip(SKIP_1) | instid1(VALU_DEP_2)
	v_mul_f32_e32 v19, 0x3e9a209a, v18
	v_cmp_gt_f32_e64 s2, 0x7f800000, |v18|
	v_fma_f32 v19, 0x3e9a209a, v18, -v19
	s_delay_alu instid0(VALU_DEP_1) | instskip(NEXT) | instid1(VALU_DEP_1)
	v_fmac_f32_e32 v19, 0x3284fbcf, v18
	v_fmac_f32_e32 v19, 0x3e9a209a, v18
	s_delay_alu instid0(VALU_DEP_1) | instskip(SKIP_1) | instid1(VALU_DEP_1)
	v_cndmask_b32_e64 v18, v18, v19, s2
	v_cndmask_b32_e64 v19, 0, 0x411a209b, vcc_lo
	v_sub_f32_e32 v18, v18, v19
	s_delay_alu instid0(VALU_DEP_1)
	v_cvt_f16_f32_e32 v18, v18
	global_store_b16 v[16:17], v18, off
	s_branch .LBB187_3
.LBB187_20:
	s_cbranch_execz .LBB187_22
	s_branch .LBB187_25
.LBB187_21:
.LBB187_22:
	v_min_i64 v[2:3], 0x10000, s[10:11]
	v_dual_mov_b32 v5, 0 :: v_dual_lshlrev_b32 v4, 2, v0
	s_mov_b32 s2, exec_lo
	s_delay_alu instid0(VALU_DEP_1)
	v_cmpx_lt_i64_e64 v[4:5], v[2:3]
	s_cbranch_execz .LBB187_25
; %bb.23:
	s_load_b32 s2, s[0:1], 0xd3c
	v_dual_mov_b32 v1, v5 :: v_dual_lshlrev_b32 v4, 3, v0
	s_wait_xcnt 0x0
	s_add_nc_u64 s[0:1], s[6:7], s[8:9]
	s_delay_alu instid0(VALU_DEP_1) | instid1(SALU_CYCLE_1)
	v_add_nc_u64_e32 v[6:7], s[0:1], v[4:5]
	s_mov_b32 s1, 0
	s_delay_alu instid0(SALU_CYCLE_1) | instskip(SKIP_1) | instid1(VALU_DEP_1)
	s_mov_b32 s3, s1
	s_mov_b32 s4, s1
	v_add_nc_u64_e32 v[4:5], 4, v[6:7]
	s_wait_kmcnt 0x0
	s_and_b32 s0, s2, 0xffff
	s_delay_alu instid0(SALU_CYCLE_1)
	s_lshl_b32 s2, s0, 3
.LBB187_24:                             ; =>This Inner Loop Header: Depth=1
	global_load_b64 v[6:7], v[4:5], off offset:-4
	v_add_nc_u64_e32 v[0:1], s[0:1], v[0:1]
	s_wait_loadcnt 0x0
	v_cvt_f32_f16_e32 v8, v6
	v_dual_lshrrev_b32 v6, 16, v6 :: v_dual_lshrrev_b32 v9, 16, v7
	v_cvt_f32_f16_e32 v7, v7
	s_delay_alu instid0(VALU_DEP_3) | instskip(NEXT) | instid1(VALU_DEP_2)
	v_log_f32_e32 v8, v8
	v_cvt_f32_f16_e32 v6, v6
	s_delay_alu instid0(VALU_DEP_3) | instskip(NEXT) | instid1(VALU_DEP_3)
	v_cvt_f32_f16_e32 v9, v9
	v_log_f32_e32 v7, v7
	s_delay_alu instid0(VALU_DEP_2) | instskip(NEXT) | instid1(TRANS32_DEP_3)
	v_log_f32_e32 v6, v6
	v_mul_f32_e32 v10, 0x3e9a209a, v8
	s_delay_alu instid0(VALU_DEP_2) | instskip(SKIP_1) | instid1(TRANS32_DEP_3)
	v_log_f32_e32 v9, v9
	v_cmp_gt_f32_e64 vcc_lo, 0x7f800000, |v8|
	v_mul_f32_e32 v11, 0x3e9a209a, v7
	s_delay_alu instid0(VALU_DEP_3) | instskip(NEXT) | instid1(TRANS32_DEP_1)
	v_fma_f32 v10, 0x3e9a209a, v8, -v10
	v_dual_mul_f32 v13, 0x3e9a209a, v6 :: v_dual_mul_f32 v12, 0x3e9a209a, v9
	s_delay_alu instid0(VALU_DEP_3) | instskip(NEXT) | instid1(VALU_DEP_3)
	v_fma_f32 v11, 0x3e9a209a, v7, -v11
	v_fmac_f32_e32 v10, 0x3284fbcf, v8
	s_delay_alu instid0(VALU_DEP_3) | instskip(NEXT) | instid1(VALU_DEP_4)
	v_fma_f32 v13, 0x3e9a209a, v6, -v13
	v_fma_f32 v12, 0x3e9a209a, v9, -v12
	s_delay_alu instid0(VALU_DEP_4) | instskip(NEXT) | instid1(VALU_DEP_4)
	v_fmac_f32_e32 v11, 0x3284fbcf, v7
	v_fmac_f32_e32 v10, 0x3e9a209a, v8
	s_delay_alu instid0(VALU_DEP_3) | instskip(NEXT) | instid1(VALU_DEP_2)
	v_dual_fmac_f32 v13, 0x3284fbcf, v6 :: v_dual_fmac_f32 v12, 0x3284fbcf, v9
	v_dual_fmac_f32 v11, 0x3e9a209a, v7 :: v_dual_cndmask_b32 v8, v8, v10
	v_cmp_gt_f32_e64 vcc_lo, 0x7f800000, |v7|
	s_delay_alu instid0(VALU_DEP_3) | instskip(NEXT) | instid1(VALU_DEP_3)
	v_dual_fmac_f32 v13, 0x3e9a209a, v6 :: v_dual_fmac_f32 v12, 0x3e9a209a, v9
	v_cndmask_b32_e32 v10, v7, v11, vcc_lo
	v_cmp_gt_f32_e64 vcc_lo, 0x7f800000, |v9|
	s_delay_alu instid0(VALU_DEP_3) | instskip(SKIP_3) | instid1(VALU_DEP_4)
	v_cndmask_b32_e32 v9, v9, v12, vcc_lo
	v_cmp_gt_f32_e64 vcc_lo, 0x7f800000, |v6|
	v_cndmask_b32_e32 v11, v6, v13, vcc_lo
	v_lshlrev_b64_e32 v[6:7], 2, v[0:1]
	v_cvt_pk_f16_f32 v9, v10, v9
	s_delay_alu instid0(VALU_DEP_3) | instskip(NEXT) | instid1(VALU_DEP_3)
	v_cvt_pk_f16_f32 v8, v8, v11
	v_cmp_ge_i64_e32 vcc_lo, v[6:7], v[2:3]
	global_store_b64 v[4:5], v[8:9], off offset:-4
	s_wait_xcnt 0x0
	v_add_nc_u64_e32 v[4:5], s[2:3], v[4:5]
	s_or_b32 s4, vcc_lo, s4
	s_delay_alu instid0(SALU_CYCLE_1)
	s_and_not1_b32 exec_lo, exec_lo, s4
	s_cbranch_execnz .LBB187_24
.LBB187_25:
	s_endpgm
	.section	.rodata,"a",@progbits
	.p2align	6, 0x0
	.amdhsa_kernel _ZN2at6native12_GLOBAL__N_125multi_tensor_apply_kernelINS1_18TensorListMetadataILi1EEENS1_14UnaryOpFunctorIN3c104HalfELi1ELi1ELi0EEEJNS0_5Log10IfEEEEEvT_T0_DpT1_
		.amdhsa_group_segment_fixed_size 0
		.amdhsa_private_segment_fixed_size 0
		.amdhsa_kernarg_size 3632
		.amdhsa_user_sgpr_count 2
		.amdhsa_user_sgpr_dispatch_ptr 0
		.amdhsa_user_sgpr_queue_ptr 0
		.amdhsa_user_sgpr_kernarg_segment_ptr 1
		.amdhsa_user_sgpr_dispatch_id 0
		.amdhsa_user_sgpr_kernarg_preload_length 0
		.amdhsa_user_sgpr_kernarg_preload_offset 0
		.amdhsa_user_sgpr_private_segment_size 0
		.amdhsa_wavefront_size32 1
		.amdhsa_uses_dynamic_stack 0
		.amdhsa_enable_private_segment 0
		.amdhsa_system_sgpr_workgroup_id_x 1
		.amdhsa_system_sgpr_workgroup_id_y 0
		.amdhsa_system_sgpr_workgroup_id_z 0
		.amdhsa_system_sgpr_workgroup_info 0
		.amdhsa_system_vgpr_workitem_id 0
		.amdhsa_next_free_vgpr 25
		.amdhsa_next_free_sgpr 21
		.amdhsa_named_barrier_count 0
		.amdhsa_reserve_vcc 1
		.amdhsa_float_round_mode_32 0
		.amdhsa_float_round_mode_16_64 0
		.amdhsa_float_denorm_mode_32 3
		.amdhsa_float_denorm_mode_16_64 3
		.amdhsa_fp16_overflow 0
		.amdhsa_memory_ordered 1
		.amdhsa_forward_progress 1
		.amdhsa_inst_pref_size 14
		.amdhsa_round_robin_scheduling 0
		.amdhsa_exception_fp_ieee_invalid_op 0
		.amdhsa_exception_fp_denorm_src 0
		.amdhsa_exception_fp_ieee_div_zero 0
		.amdhsa_exception_fp_ieee_overflow 0
		.amdhsa_exception_fp_ieee_underflow 0
		.amdhsa_exception_fp_ieee_inexact 0
		.amdhsa_exception_int_div_zero 0
	.end_amdhsa_kernel
	.section	.text._ZN2at6native12_GLOBAL__N_125multi_tensor_apply_kernelINS1_18TensorListMetadataILi1EEENS1_14UnaryOpFunctorIN3c104HalfELi1ELi1ELi0EEEJNS0_5Log10IfEEEEEvT_T0_DpT1_,"axG",@progbits,_ZN2at6native12_GLOBAL__N_125multi_tensor_apply_kernelINS1_18TensorListMetadataILi1EEENS1_14UnaryOpFunctorIN3c104HalfELi1ELi1ELi0EEEJNS0_5Log10IfEEEEEvT_T0_DpT1_,comdat
.Lfunc_end187:
	.size	_ZN2at6native12_GLOBAL__N_125multi_tensor_apply_kernelINS1_18TensorListMetadataILi1EEENS1_14UnaryOpFunctorIN3c104HalfELi1ELi1ELi0EEEJNS0_5Log10IfEEEEEvT_T0_DpT1_, .Lfunc_end187-_ZN2at6native12_GLOBAL__N_125multi_tensor_apply_kernelINS1_18TensorListMetadataILi1EEENS1_14UnaryOpFunctorIN3c104HalfELi1ELi1ELi0EEEJNS0_5Log10IfEEEEEvT_T0_DpT1_
                                        ; -- End function
	.set _ZN2at6native12_GLOBAL__N_125multi_tensor_apply_kernelINS1_18TensorListMetadataILi1EEENS1_14UnaryOpFunctorIN3c104HalfELi1ELi1ELi0EEEJNS0_5Log10IfEEEEEvT_T0_DpT1_.num_vgpr, 25
	.set _ZN2at6native12_GLOBAL__N_125multi_tensor_apply_kernelINS1_18TensorListMetadataILi1EEENS1_14UnaryOpFunctorIN3c104HalfELi1ELi1ELi0EEEJNS0_5Log10IfEEEEEvT_T0_DpT1_.num_agpr, 0
	.set _ZN2at6native12_GLOBAL__N_125multi_tensor_apply_kernelINS1_18TensorListMetadataILi1EEENS1_14UnaryOpFunctorIN3c104HalfELi1ELi1ELi0EEEJNS0_5Log10IfEEEEEvT_T0_DpT1_.numbered_sgpr, 21
	.set _ZN2at6native12_GLOBAL__N_125multi_tensor_apply_kernelINS1_18TensorListMetadataILi1EEENS1_14UnaryOpFunctorIN3c104HalfELi1ELi1ELi0EEEJNS0_5Log10IfEEEEEvT_T0_DpT1_.num_named_barrier, 0
	.set _ZN2at6native12_GLOBAL__N_125multi_tensor_apply_kernelINS1_18TensorListMetadataILi1EEENS1_14UnaryOpFunctorIN3c104HalfELi1ELi1ELi0EEEJNS0_5Log10IfEEEEEvT_T0_DpT1_.private_seg_size, 0
	.set _ZN2at6native12_GLOBAL__N_125multi_tensor_apply_kernelINS1_18TensorListMetadataILi1EEENS1_14UnaryOpFunctorIN3c104HalfELi1ELi1ELi0EEEJNS0_5Log10IfEEEEEvT_T0_DpT1_.uses_vcc, 1
	.set _ZN2at6native12_GLOBAL__N_125multi_tensor_apply_kernelINS1_18TensorListMetadataILi1EEENS1_14UnaryOpFunctorIN3c104HalfELi1ELi1ELi0EEEJNS0_5Log10IfEEEEEvT_T0_DpT1_.uses_flat_scratch, 0
	.set _ZN2at6native12_GLOBAL__N_125multi_tensor_apply_kernelINS1_18TensorListMetadataILi1EEENS1_14UnaryOpFunctorIN3c104HalfELi1ELi1ELi0EEEJNS0_5Log10IfEEEEEvT_T0_DpT1_.has_dyn_sized_stack, 0
	.set _ZN2at6native12_GLOBAL__N_125multi_tensor_apply_kernelINS1_18TensorListMetadataILi1EEENS1_14UnaryOpFunctorIN3c104HalfELi1ELi1ELi0EEEJNS0_5Log10IfEEEEEvT_T0_DpT1_.has_recursion, 0
	.set _ZN2at6native12_GLOBAL__N_125multi_tensor_apply_kernelINS1_18TensorListMetadataILi1EEENS1_14UnaryOpFunctorIN3c104HalfELi1ELi1ELi0EEEJNS0_5Log10IfEEEEEvT_T0_DpT1_.has_indirect_call, 0
	.section	.AMDGPU.csdata,"",@progbits
; Kernel info:
; codeLenInByte = 1736
; TotalNumSgprs: 23
; NumVgprs: 25
; ScratchSize: 0
; MemoryBound: 0
; FloatMode: 240
; IeeeMode: 1
; LDSByteSize: 0 bytes/workgroup (compile time only)
; SGPRBlocks: 0
; VGPRBlocks: 1
; NumSGPRsForWavesPerEU: 23
; NumVGPRsForWavesPerEU: 25
; NamedBarCnt: 0
; Occupancy: 16
; WaveLimiterHint : 0
; COMPUTE_PGM_RSRC2:SCRATCH_EN: 0
; COMPUTE_PGM_RSRC2:USER_SGPR: 2
; COMPUTE_PGM_RSRC2:TRAP_HANDLER: 0
; COMPUTE_PGM_RSRC2:TGID_X_EN: 1
; COMPUTE_PGM_RSRC2:TGID_Y_EN: 0
; COMPUTE_PGM_RSRC2:TGID_Z_EN: 0
; COMPUTE_PGM_RSRC2:TIDIG_COMP_CNT: 0
	.section	.text._ZN2at6native12_GLOBAL__N_125multi_tensor_apply_kernelINS1_18TensorListMetadataILi1EEENS1_14UnaryOpFunctorIN3c108BFloat16ELi1ELi1ELi0EEEJNS0_5Log10IfEEEEEvT_T0_DpT1_,"axG",@progbits,_ZN2at6native12_GLOBAL__N_125multi_tensor_apply_kernelINS1_18TensorListMetadataILi1EEENS1_14UnaryOpFunctorIN3c108BFloat16ELi1ELi1ELi0EEEJNS0_5Log10IfEEEEEvT_T0_DpT1_,comdat
	.globl	_ZN2at6native12_GLOBAL__N_125multi_tensor_apply_kernelINS1_18TensorListMetadataILi1EEENS1_14UnaryOpFunctorIN3c108BFloat16ELi1ELi1ELi0EEEJNS0_5Log10IfEEEEEvT_T0_DpT1_ ; -- Begin function _ZN2at6native12_GLOBAL__N_125multi_tensor_apply_kernelINS1_18TensorListMetadataILi1EEENS1_14UnaryOpFunctorIN3c108BFloat16ELi1ELi1ELi0EEEJNS0_5Log10IfEEEEEvT_T0_DpT1_
	.p2align	8
	.type	_ZN2at6native12_GLOBAL__N_125multi_tensor_apply_kernelINS1_18TensorListMetadataILi1EEENS1_14UnaryOpFunctorIN3c108BFloat16ELi1ELi1ELi0EEEJNS0_5Log10IfEEEEEvT_T0_DpT1_,@function
_ZN2at6native12_GLOBAL__N_125multi_tensor_apply_kernelINS1_18TensorListMetadataILi1EEENS1_14UnaryOpFunctorIN3c108BFloat16ELi1ELi1ELi0EEEJNS0_5Log10IfEEEEEvT_T0_DpT1_: ; @_ZN2at6native12_GLOBAL__N_125multi_tensor_apply_kernelINS1_18TensorListMetadataILi1EEENS1_14UnaryOpFunctorIN3c108BFloat16ELi1ELi1ELi0EEEJNS0_5Log10IfEEEEEvT_T0_DpT1_
; %bb.0:
	s_bfe_u32 s2, ttmp6, 0x4000c
	s_and_b32 s3, ttmp6, 15
	s_add_co_i32 s2, s2, 1
	s_getreg_b32 s4, hwreg(HW_REG_IB_STS2, 6, 4)
	s_mul_i32 s2, ttmp9, s2
	s_delay_alu instid0(SALU_CYCLE_1)
	s_add_co_i32 s3, s3, s2
	s_cmp_eq_u32 s4, 0
	s_cselect_b32 s2, ttmp9, s3
	s_mov_b32 s3, 0
	s_load_u8 s8, s[0:1], s2 offset:0x6e0
	s_add_nc_u64 s[4:5], s[0:1], s[2:3]
	s_mul_u64 s[6:7], s[2:3], 3
	s_delay_alu instid0(SALU_CYCLE_1)
	s_add_nc_u64 s[4:5], s[4:5], s[6:7]
	s_load_b32 s10, s[4:5], 0x820
	s_wait_kmcnt 0x0
	s_clause 0x1
	s_load_b64 s[6:7], s[0:1], s8 offset:0x0 scale_offset
	s_load_b64 s[12:13], s[0:1], s8 offset:0x370 scale_offset
	s_ashr_i32 s11, s10, 31
	s_wait_kmcnt 0x0
	s_and_b64 s[4:5], s[6:7], 7
	s_and_b32 s2, s12, 3
	s_lshl_b64 s[8:9], s[10:11], 17
	s_or_b64 s[2:3], s[4:5], s[2:3]
	s_lshl_b64 s[4:5], s[10:11], 16
	s_cmp_eq_u64 s[2:3], 0
	s_sub_nc_u64 s[10:11], s[12:13], s[4:5]
	s_cbranch_scc1 .LBB188_21
; %bb.1:
	v_cmp_lt_i64_e64 s2, s[10:11], 1
	s_and_b32 vcc_lo, exec_lo, s2
	s_cbranch_vccnz .LBB188_20
; %bb.2:
	s_load_b32 s2, s[0:1], 0xd3c
	v_min_i64 v[2:3], 0x10000, s[10:11]
	v_min_u64 v[4:5], 0x10000, s[10:11]
	v_dual_mov_b32 v1, 0 :: v_dual_lshlrev_b32 v8, 1, v0
	s_mov_b32 s3, 0
	s_add_nc_u64 s[4:5], s[6:7], s[8:9]
	s_mov_b32 s15, s3
	s_delay_alu instid0(VALU_DEP_1)
	v_mov_b32_e32 v15, v1
	s_mov_b32 s17, s3
	s_mov_b32 s13, s3
	s_mov_b64 s[18:19], 0
	s_wait_kmcnt 0x0
	s_and_b32 s2, s2, 0xffff
	s_delay_alu instid0(SALU_CYCLE_1)
	v_add_nc_u64_e32 v[6:7], s[2:3], v[0:1]
	v_mov_b32_e32 v9, v1
	s_lshl_b32 s14, s2, 1
	s_mul_i32 s16, s2, 3
	v_add_nc_u64_e32 v[12:13], s[14:15], v[0:1]
	v_add_nc_u64_e32 v[10:11], s[16:17], v[0:1]
	s_lshl_b32 s12, s2, 2
	v_lshlrev_b32_e32 v14, 1, v6
	v_add_nc_u64_e32 v[8:9], s[4:5], v[8:9]
	s_lshl_b32 s14, s2, 3
	s_mul_u64 s[16:17], s[2:3], 6
	s_delay_alu instid0(VALU_DEP_2)
	v_add_nc_u64_e32 v[14:15], s[4:5], v[14:15]
	s_branch .LBB188_4
.LBB188_3:                              ;   in Loop: Header=BB188_4 Depth=1
	s_wait_xcnt 0x0
	s_or_b32 exec_lo, exec_lo, s3
	s_add_nc_u64 s[18:19], s[18:19], s[12:13]
	v_add_nc_u64_e32 v[8:9], s[14:15], v[8:9]
	v_cmp_lt_i64_e32 vcc_lo, s[18:19], v[2:3]
	v_add_nc_u64_e32 v[14:15], s[14:15], v[14:15]
	s_cbranch_vccz .LBB188_20
.LBB188_4:                              ; =>This Inner Loop Header: Depth=1
	v_add_nc_u64_e32 v[16:17], s[18:19], v[0:1]
	v_mov_b32_e32 v23, 0
	s_delay_alu instid0(VALU_DEP_2)
	v_cmp_lt_u64_e64 s4, v[16:17], v[4:5]
	s_and_saveexec_b32 s2, s4
	s_cbranch_execz .LBB188_6
; %bb.5:                                ;   in Loop: Header=BB188_4 Depth=1
	global_load_u16 v16, v[8:9], off
	s_wait_loadcnt 0x0
	v_lshlrev_b32_e32 v23, 16, v16
.LBB188_6:                              ;   in Loop: Header=BB188_4 Depth=1
	s_wait_xcnt 0x0
	s_or_b32 exec_lo, exec_lo, s2
	v_add_nc_u64_e32 v[16:17], s[18:19], v[6:7]
	v_dual_mov_b32 v20, 0 :: v_dual_mov_b32 v22, 0
	s_delay_alu instid0(VALU_DEP_2)
	v_cmp_lt_u64_e64 s3, v[16:17], v[4:5]
	s_and_saveexec_b32 s2, s3
	s_cbranch_execz .LBB188_8
; %bb.7:                                ;   in Loop: Header=BB188_4 Depth=1
	global_load_u16 v16, v[14:15], off
	s_wait_loadcnt 0x0
	v_lshlrev_b32_e32 v22, 16, v16
.LBB188_8:                              ;   in Loop: Header=BB188_4 Depth=1
	s_wait_xcnt 0x0
	s_or_b32 exec_lo, exec_lo, s2
	v_add_nc_u64_e32 v[16:17], s[18:19], v[12:13]
	v_add_nc_u64_e32 v[18:19], s[12:13], v[8:9]
	s_delay_alu instid0(VALU_DEP_2)
	v_cmp_lt_u64_e64 s2, v[16:17], v[4:5]
	s_and_saveexec_b32 s5, s2
	s_cbranch_execz .LBB188_10
; %bb.9:                                ;   in Loop: Header=BB188_4 Depth=1
	global_load_u16 v16, v[18:19], off
	s_wait_loadcnt 0x0
	v_lshlrev_b32_e32 v20, 16, v16
.LBB188_10:                             ;   in Loop: Header=BB188_4 Depth=1
	s_wait_xcnt 0x0
	s_or_b32 exec_lo, exec_lo, s5
	v_add_nc_u64_e32 v[16:17], s[18:19], v[10:11]
	v_mov_b32_e32 v21, 0
	s_delay_alu instid0(VALU_DEP_2)
	v_cmp_lt_u64_e32 vcc_lo, v[16:17], v[4:5]
	v_add_nc_u64_e32 v[16:17], s[16:17], v[8:9]
	s_and_saveexec_b32 s5, vcc_lo
	s_cbranch_execnz .LBB188_15
; %bb.11:                               ;   in Loop: Header=BB188_4 Depth=1
	s_or_b32 exec_lo, exec_lo, s5
	s_and_saveexec_b32 s20, s4
	s_cbranch_execnz .LBB188_16
.LBB188_12:                             ;   in Loop: Header=BB188_4 Depth=1
	s_or_b32 exec_lo, exec_lo, s20
	s_and_saveexec_b32 s5, s3
	s_cbranch_execnz .LBB188_17
.LBB188_13:                             ;   in Loop: Header=BB188_4 Depth=1
	s_or_b32 exec_lo, exec_lo, s5
	s_and_saveexec_b32 s4, s2
	s_cbranch_execnz .LBB188_18
.LBB188_14:                             ;   in Loop: Header=BB188_4 Depth=1
	s_or_b32 exec_lo, exec_lo, s4
	s_and_saveexec_b32 s3, vcc_lo
	s_cbranch_execz .LBB188_3
	s_branch .LBB188_19
.LBB188_15:                             ;   in Loop: Header=BB188_4 Depth=1
	global_load_u16 v21, v[16:17], off
	s_wait_loadcnt 0x0
	v_lshlrev_b32_e32 v21, 16, v21
	s_wait_xcnt 0x0
	s_or_b32 exec_lo, exec_lo, s5
	s_and_saveexec_b32 s20, s4
	s_cbranch_execz .LBB188_12
.LBB188_16:                             ;   in Loop: Header=BB188_4 Depth=1
	v_cmp_gt_f32_e64 s4, 0x800000, v23
	s_delay_alu instid0(VALU_DEP_1) | instskip(NEXT) | instid1(VALU_DEP_1)
	v_cndmask_b32_e64 v24, 0, 32, s4
	v_ldexp_f32 v23, v23, v24
	s_delay_alu instid0(VALU_DEP_1) | instskip(SKIP_1) | instid1(TRANS32_DEP_1)
	v_log_f32_e32 v23, v23
	v_nop
	v_mul_f32_e32 v24, 0x3e9a209a, v23
	v_cmp_gt_f32_e64 s5, 0x7f800000, |v23|
	s_delay_alu instid0(VALU_DEP_2) | instskip(NEXT) | instid1(VALU_DEP_1)
	v_fma_f32 v24, 0x3e9a209a, v23, -v24
	v_fmac_f32_e32 v24, 0x3284fbcf, v23
	s_delay_alu instid0(VALU_DEP_1) | instskip(NEXT) | instid1(VALU_DEP_1)
	v_fmac_f32_e32 v24, 0x3e9a209a, v23
	v_cndmask_b32_e64 v23, v23, v24, s5
	v_cndmask_b32_e64 v24, 0, 0x411a209b, s4
	s_delay_alu instid0(VALU_DEP_1) | instskip(NEXT) | instid1(VALU_DEP_1)
	v_sub_f32_e32 v23, v23, v24
	v_bfe_u32 v24, v23, 16, 1
	v_cmp_o_f32_e64 s4, v23, v23
	s_delay_alu instid0(VALU_DEP_2) | instskip(NEXT) | instid1(VALU_DEP_1)
	v_add3_u32 v24, v23, v24, 0x7fff
	v_lshrrev_b32_e32 v24, 16, v24
	s_delay_alu instid0(VALU_DEP_1)
	v_cndmask_b32_e64 v23, 0x7fc0, v24, s4
	global_store_b16 v[8:9], v23, off
	s_wait_xcnt 0x0
	s_or_b32 exec_lo, exec_lo, s20
	s_and_saveexec_b32 s5, s3
	s_cbranch_execz .LBB188_13
.LBB188_17:                             ;   in Loop: Header=BB188_4 Depth=1
	v_cmp_gt_f32_e64 s3, 0x800000, v22
	s_delay_alu instid0(VALU_DEP_1) | instskip(NEXT) | instid1(VALU_DEP_1)
	v_cndmask_b32_e64 v23, 0, 32, s3
	v_ldexp_f32 v22, v22, v23
	s_delay_alu instid0(VALU_DEP_1) | instskip(SKIP_1) | instid1(TRANS32_DEP_1)
	v_log_f32_e32 v22, v22
	v_nop
	v_mul_f32_e32 v23, 0x3e9a209a, v22
	v_cmp_gt_f32_e64 s4, 0x7f800000, |v22|
	s_delay_alu instid0(VALU_DEP_2) | instskip(NEXT) | instid1(VALU_DEP_1)
	v_fma_f32 v23, 0x3e9a209a, v22, -v23
	v_fmac_f32_e32 v23, 0x3284fbcf, v22
	s_delay_alu instid0(VALU_DEP_1) | instskip(NEXT) | instid1(VALU_DEP_1)
	v_fmac_f32_e32 v23, 0x3e9a209a, v22
	v_cndmask_b32_e64 v22, v22, v23, s4
	v_cndmask_b32_e64 v23, 0, 0x411a209b, s3
	s_delay_alu instid0(VALU_DEP_1) | instskip(NEXT) | instid1(VALU_DEP_1)
	v_sub_f32_e32 v22, v22, v23
	v_bfe_u32 v23, v22, 16, 1
	v_cmp_o_f32_e64 s3, v22, v22
	s_delay_alu instid0(VALU_DEP_2) | instskip(NEXT) | instid1(VALU_DEP_1)
	v_add3_u32 v23, v22, v23, 0x7fff
	v_lshrrev_b32_e32 v23, 16, v23
	s_delay_alu instid0(VALU_DEP_1)
	v_cndmask_b32_e64 v22, 0x7fc0, v23, s3
	global_store_b16 v[14:15], v22, off
	s_wait_xcnt 0x0
	s_or_b32 exec_lo, exec_lo, s5
	s_and_saveexec_b32 s4, s2
	s_cbranch_execz .LBB188_14
.LBB188_18:                             ;   in Loop: Header=BB188_4 Depth=1
	v_cmp_gt_f32_e64 s2, 0x800000, v20
	s_delay_alu instid0(VALU_DEP_1) | instskip(NEXT) | instid1(VALU_DEP_1)
	v_cndmask_b32_e64 v22, 0, 32, s2
	v_ldexp_f32 v20, v20, v22
	s_delay_alu instid0(VALU_DEP_1) | instskip(SKIP_1) | instid1(TRANS32_DEP_1)
	v_log_f32_e32 v20, v20
	v_nop
	v_mul_f32_e32 v22, 0x3e9a209a, v20
	v_cmp_gt_f32_e64 s3, 0x7f800000, |v20|
	s_delay_alu instid0(VALU_DEP_2) | instskip(NEXT) | instid1(VALU_DEP_1)
	v_fma_f32 v22, 0x3e9a209a, v20, -v22
	v_fmac_f32_e32 v22, 0x3284fbcf, v20
	s_delay_alu instid0(VALU_DEP_1) | instskip(NEXT) | instid1(VALU_DEP_1)
	v_fmac_f32_e32 v22, 0x3e9a209a, v20
	v_cndmask_b32_e64 v20, v20, v22, s3
	v_cndmask_b32_e64 v22, 0, 0x411a209b, s2
	s_delay_alu instid0(VALU_DEP_1) | instskip(NEXT) | instid1(VALU_DEP_1)
	v_sub_f32_e32 v20, v20, v22
	v_bfe_u32 v22, v20, 16, 1
	v_cmp_o_f32_e64 s2, v20, v20
	s_delay_alu instid0(VALU_DEP_2) | instskip(NEXT) | instid1(VALU_DEP_1)
	v_add3_u32 v22, v20, v22, 0x7fff
	v_lshrrev_b32_e32 v22, 16, v22
	s_delay_alu instid0(VALU_DEP_1)
	v_cndmask_b32_e64 v20, 0x7fc0, v22, s2
	global_store_b16 v[18:19], v20, off
	s_wait_xcnt 0x0
	s_or_b32 exec_lo, exec_lo, s4
	s_and_saveexec_b32 s3, vcc_lo
	s_cbranch_execz .LBB188_3
.LBB188_19:                             ;   in Loop: Header=BB188_4 Depth=1
	v_cmp_gt_f32_e32 vcc_lo, 0x800000, v21
	v_cndmask_b32_e64 v18, 0, 32, vcc_lo
	s_delay_alu instid0(VALU_DEP_1) | instskip(NEXT) | instid1(VALU_DEP_1)
	v_ldexp_f32 v18, v21, v18
	v_log_f32_e32 v18, v18
	v_nop
	s_delay_alu instid0(TRANS32_DEP_1) | instskip(SKIP_1) | instid1(VALU_DEP_2)
	v_mul_f32_e32 v19, 0x3e9a209a, v18
	v_cmp_gt_f32_e64 s2, 0x7f800000, |v18|
	v_fma_f32 v19, 0x3e9a209a, v18, -v19
	s_delay_alu instid0(VALU_DEP_1) | instskip(NEXT) | instid1(VALU_DEP_1)
	v_fmac_f32_e32 v19, 0x3284fbcf, v18
	v_fmac_f32_e32 v19, 0x3e9a209a, v18
	s_delay_alu instid0(VALU_DEP_1) | instskip(SKIP_1) | instid1(VALU_DEP_1)
	v_cndmask_b32_e64 v18, v18, v19, s2
	v_cndmask_b32_e64 v19, 0, 0x411a209b, vcc_lo
	v_sub_f32_e32 v18, v18, v19
	s_delay_alu instid0(VALU_DEP_1) | instskip(SKIP_1) | instid1(VALU_DEP_2)
	v_bfe_u32 v19, v18, 16, 1
	v_cmp_o_f32_e32 vcc_lo, v18, v18
	v_add3_u32 v19, v18, v19, 0x7fff
	s_delay_alu instid0(VALU_DEP_1) | instskip(NEXT) | instid1(VALU_DEP_1)
	v_lshrrev_b32_e32 v19, 16, v19
	v_cndmask_b32_e32 v18, 0x7fc0, v19, vcc_lo
	global_store_b16 v[16:17], v18, off
	s_branch .LBB188_3
.LBB188_20:
	s_cbranch_execz .LBB188_22
	s_branch .LBB188_25
.LBB188_21:
.LBB188_22:
	v_min_i64 v[2:3], 0x10000, s[10:11]
	v_dual_mov_b32 v5, 0 :: v_dual_lshlrev_b32 v4, 2, v0
	s_mov_b32 s2, exec_lo
	s_delay_alu instid0(VALU_DEP_1)
	v_cmpx_lt_i64_e64 v[4:5], v[2:3]
	s_cbranch_execz .LBB188_25
; %bb.23:
	s_load_b32 s2, s[0:1], 0xd3c
	v_dual_mov_b32 v1, v5 :: v_dual_lshlrev_b32 v4, 3, v0
	s_wait_xcnt 0x0
	s_add_nc_u64 s[0:1], s[6:7], s[8:9]
	s_mov_b32 s5, 0
	s_delay_alu instid0(VALU_DEP_1) | instskip(SKIP_4) | instid1(SALU_CYCLE_1)
	v_add_nc_u64_e32 v[4:5], s[0:1], v[4:5]
	s_mov_b32 s7, s5
	s_mov_b32 s3, s5
	s_wait_kmcnt 0x0
	s_and_b32 s4, s2, 0xffff
	s_lshl_b32 s6, s4, 3
.LBB188_24:                             ; =>This Inner Loop Header: Depth=1
	global_load_b64 v[6:7], v[4:5], off
	v_add_nc_u64_e32 v[0:1], s[4:5], v[0:1]
	s_wait_loadcnt 0x0
	v_alignbit_b32 v9, v7, v6, 16
	v_and_b32_e32 v7, 0xffff0000, v7
	s_delay_alu instid0(VALU_DEP_2) | instskip(NEXT) | instid1(VALU_DEP_2)
	v_and_b32_e32 v9, 0xffff0000, v9
	v_cmp_gt_f32_e64 s1, 0x800000, v7
	s_delay_alu instid0(VALU_DEP_2) | instskip(NEXT) | instid1(VALU_DEP_2)
	v_cmp_gt_f32_e64 s2, 0x800000, v9
	v_cndmask_b32_e64 v12, 0, 32, s1
	v_cndmask_b32_e64 v16, 0, 0x411a209b, s1
	s_delay_alu instid0(VALU_DEP_3) | instskip(NEXT) | instid1(VALU_DEP_3)
	v_cndmask_b32_e64 v17, 0, 0x411a209b, s2
	v_ldexp_f32 v7, v7, v12
	s_delay_alu instid0(VALU_DEP_1) | instskip(SKIP_2) | instid1(VALU_DEP_1)
	v_log_f32_e32 v7, v7
	v_lshlrev_b32_e32 v8, 16, v6
	v_and_b32_e32 v6, 0xffff0000, v6
	v_cmp_gt_f32_e64 s0, 0x800000, v6
	s_delay_alu instid0(TRANS32_DEP_1) | instskip(NEXT) | instid1(VALU_DEP_4)
	v_mul_f32_e32 v13, 0x3e9a209a, v7
	v_cmp_gt_f32_e32 vcc_lo, 0x800000, v8
	s_delay_alu instid0(VALU_DEP_3) | instskip(NEXT) | instid1(VALU_DEP_3)
	v_cndmask_b32_e64 v11, 0, 32, s0
	v_fma_f32 v13, 0x3e9a209a, v7, -v13
	v_cndmask_b32_e64 v10, 0, 32, vcc_lo
	v_cndmask_b32_e64 v14, 0, 0x411a209b, s0
	s_delay_alu instid0(VALU_DEP_4) | instskip(SKIP_1) | instid1(VALU_DEP_4)
	v_ldexp_f32 v6, v6, v11
	v_cndmask_b32_e64 v11, 0, 0x411a209b, vcc_lo
	v_ldexp_f32 v8, v8, v10
	v_cndmask_b32_e64 v10, 0, 32, s2
	v_fmac_f32_e32 v13, 0x3284fbcf, v7
	v_log_f32_e32 v6, v6
	s_delay_alu instid0(VALU_DEP_3) | instskip(NEXT) | instid1(VALU_DEP_2)
	v_log_f32_e32 v8, v8
	v_ldexp_f32 v9, v9, v10
	s_delay_alu instid0(TRANS32_DEP_2) | instskip(NEXT) | instid1(VALU_DEP_2)
	v_dual_fmac_f32 v13, 0x3e9a209a, v7 :: v_dual_mul_f32 v12, 0x3e9a209a, v6
	v_log_f32_e32 v9, v9
	s_delay_alu instid0(TRANS32_DEP_2) | instskip(SKIP_1) | instid1(VALU_DEP_3)
	v_mul_f32_e32 v10, 0x3e9a209a, v8
	v_cmp_gt_f32_e64 vcc_lo, 0x7f800000, |v8|
	v_fma_f32 v12, 0x3e9a209a, v6, -v12
	s_delay_alu instid0(TRANS32_DEP_1) | instskip(NEXT) | instid1(VALU_DEP_4)
	v_mul_f32_e32 v15, 0x3e9a209a, v9
	v_fma_f32 v10, 0x3e9a209a, v8, -v10
	s_delay_alu instid0(VALU_DEP_2) | instskip(NEXT) | instid1(VALU_DEP_2)
	v_fma_f32 v15, 0x3e9a209a, v9, -v15
	v_fmac_f32_e32 v10, 0x3284fbcf, v8
	s_delay_alu instid0(VALU_DEP_2) | instskip(NEXT) | instid1(VALU_DEP_2)
	v_dual_fmac_f32 v12, 0x3284fbcf, v6 :: v_dual_fmac_f32 v15, 0x3284fbcf, v9
	v_fmac_f32_e32 v10, 0x3e9a209a, v8
	s_delay_alu instid0(VALU_DEP_2) | instskip(NEXT) | instid1(VALU_DEP_2)
	v_dual_fmac_f32 v12, 0x3e9a209a, v6 :: v_dual_fmac_f32 v15, 0x3e9a209a, v9
	v_cndmask_b32_e32 v8, v8, v10, vcc_lo
	v_cmp_gt_f32_e64 vcc_lo, 0x7f800000, |v6|
	s_delay_alu instid0(VALU_DEP_3) | instskip(SKIP_1) | instid1(VALU_DEP_2)
	v_cndmask_b32_e32 v6, v6, v12, vcc_lo
	v_cmp_gt_f32_e64 vcc_lo, 0x7f800000, |v7|
	v_dual_sub_f32 v6, v6, v14 :: v_dual_cndmask_b32 v7, v7, v13
	v_cmp_gt_f32_e64 vcc_lo, 0x7f800000, |v9|
	v_sub_f32_e32 v8, v8, v11
	s_delay_alu instid0(VALU_DEP_3) | instskip(NEXT) | instid1(VALU_DEP_3)
	v_bfe_u32 v10, v6, 16, 1
	v_dual_sub_f32 v7, v7, v16 :: v_dual_cndmask_b32 v9, v9, v15, vcc_lo
	s_delay_alu instid0(VALU_DEP_3) | instskip(SKIP_1) | instid1(VALU_DEP_4)
	v_bfe_u32 v11, v8, 16, 1
	v_cmp_o_f32_e32 vcc_lo, v6, v6
	v_add3_u32 v10, v6, v10, 0x7fff
	s_delay_alu instid0(VALU_DEP_4) | instskip(NEXT) | instid1(VALU_DEP_4)
	v_bfe_u32 v12, v7, 16, 1
	v_add3_u32 v11, v8, v11, 0x7fff
	v_sub_f32_e32 v9, v9, v17
	s_delay_alu instid0(VALU_DEP_4) | instskip(NEXT) | instid1(VALU_DEP_4)
	v_and_b32_e32 v10, 0xffff0000, v10
	v_add3_u32 v12, v7, v12, 0x7fff
	s_delay_alu instid0(VALU_DEP_4) | instskip(NEXT) | instid1(VALU_DEP_4)
	v_lshrrev_b32_e32 v11, 16, v11
	v_bfe_u32 v13, v9, 16, 1
	s_delay_alu instid0(VALU_DEP_4) | instskip(SKIP_2) | instid1(VALU_DEP_4)
	v_cndmask_b32_e32 v6, 0x7fc00000, v10, vcc_lo
	v_cmp_o_f32_e32 vcc_lo, v8, v8
	v_and_b32_e32 v12, 0xffff0000, v12
	v_add3_u32 v13, v9, v13, 0x7fff
	v_cndmask_b32_e32 v8, 0x7fc0, v11, vcc_lo
	v_cmp_o_f32_e32 vcc_lo, v7, v7
	s_delay_alu instid0(VALU_DEP_2) | instskip(SKIP_3) | instid1(VALU_DEP_4)
	v_dual_lshrrev_b32 v13, 16, v13 :: v_dual_bitop2_b32 v8, v8, v6 bitop3:0x54
	v_cndmask_b32_e32 v10, 0x7fc00000, v12, vcc_lo
	v_cmp_o_f32_e32 vcc_lo, v9, v9
	v_lshlrev_b64_e32 v[6:7], 2, v[0:1]
	v_or3_b32 v8, v8, 0, 0
	v_cndmask_b32_e32 v9, 0x7fc0, v13, vcc_lo
	s_delay_alu instid0(VALU_DEP_3) | instskip(NEXT) | instid1(VALU_DEP_2)
	v_cmp_ge_i64_e32 vcc_lo, v[6:7], v[2:3]
	v_or3_b32 v9, 0, v9, v10
	s_or_b32 s3, vcc_lo, s3
	global_store_b64 v[4:5], v[8:9], off
	s_wait_xcnt 0x0
	v_add_nc_u64_e32 v[4:5], s[6:7], v[4:5]
	s_and_not1_b32 exec_lo, exec_lo, s3
	s_cbranch_execnz .LBB188_24
.LBB188_25:
	s_endpgm
	.section	.rodata,"a",@progbits
	.p2align	6, 0x0
	.amdhsa_kernel _ZN2at6native12_GLOBAL__N_125multi_tensor_apply_kernelINS1_18TensorListMetadataILi1EEENS1_14UnaryOpFunctorIN3c108BFloat16ELi1ELi1ELi0EEEJNS0_5Log10IfEEEEEvT_T0_DpT1_
		.amdhsa_group_segment_fixed_size 0
		.amdhsa_private_segment_fixed_size 0
		.amdhsa_kernarg_size 3632
		.amdhsa_user_sgpr_count 2
		.amdhsa_user_sgpr_dispatch_ptr 0
		.amdhsa_user_sgpr_queue_ptr 0
		.amdhsa_user_sgpr_kernarg_segment_ptr 1
		.amdhsa_user_sgpr_dispatch_id 0
		.amdhsa_user_sgpr_kernarg_preload_length 0
		.amdhsa_user_sgpr_kernarg_preload_offset 0
		.amdhsa_user_sgpr_private_segment_size 0
		.amdhsa_wavefront_size32 1
		.amdhsa_uses_dynamic_stack 0
		.amdhsa_enable_private_segment 0
		.amdhsa_system_sgpr_workgroup_id_x 1
		.amdhsa_system_sgpr_workgroup_id_y 0
		.amdhsa_system_sgpr_workgroup_id_z 0
		.amdhsa_system_sgpr_workgroup_info 0
		.amdhsa_system_vgpr_workitem_id 0
		.amdhsa_next_free_vgpr 25
		.amdhsa_next_free_sgpr 21
		.amdhsa_named_barrier_count 0
		.amdhsa_reserve_vcc 1
		.amdhsa_float_round_mode_32 0
		.amdhsa_float_round_mode_16_64 0
		.amdhsa_float_denorm_mode_32 3
		.amdhsa_float_denorm_mode_16_64 3
		.amdhsa_fp16_overflow 0
		.amdhsa_memory_ordered 1
		.amdhsa_forward_progress 1
		.amdhsa_inst_pref_size 18
		.amdhsa_round_robin_scheduling 0
		.amdhsa_exception_fp_ieee_invalid_op 0
		.amdhsa_exception_fp_denorm_src 0
		.amdhsa_exception_fp_ieee_div_zero 0
		.amdhsa_exception_fp_ieee_overflow 0
		.amdhsa_exception_fp_ieee_underflow 0
		.amdhsa_exception_fp_ieee_inexact 0
		.amdhsa_exception_int_div_zero 0
	.end_amdhsa_kernel
	.section	.text._ZN2at6native12_GLOBAL__N_125multi_tensor_apply_kernelINS1_18TensorListMetadataILi1EEENS1_14UnaryOpFunctorIN3c108BFloat16ELi1ELi1ELi0EEEJNS0_5Log10IfEEEEEvT_T0_DpT1_,"axG",@progbits,_ZN2at6native12_GLOBAL__N_125multi_tensor_apply_kernelINS1_18TensorListMetadataILi1EEENS1_14UnaryOpFunctorIN3c108BFloat16ELi1ELi1ELi0EEEJNS0_5Log10IfEEEEEvT_T0_DpT1_,comdat
.Lfunc_end188:
	.size	_ZN2at6native12_GLOBAL__N_125multi_tensor_apply_kernelINS1_18TensorListMetadataILi1EEENS1_14UnaryOpFunctorIN3c108BFloat16ELi1ELi1ELi0EEEJNS0_5Log10IfEEEEEvT_T0_DpT1_, .Lfunc_end188-_ZN2at6native12_GLOBAL__N_125multi_tensor_apply_kernelINS1_18TensorListMetadataILi1EEENS1_14UnaryOpFunctorIN3c108BFloat16ELi1ELi1ELi0EEEJNS0_5Log10IfEEEEEvT_T0_DpT1_
                                        ; -- End function
	.set _ZN2at6native12_GLOBAL__N_125multi_tensor_apply_kernelINS1_18TensorListMetadataILi1EEENS1_14UnaryOpFunctorIN3c108BFloat16ELi1ELi1ELi0EEEJNS0_5Log10IfEEEEEvT_T0_DpT1_.num_vgpr, 25
	.set _ZN2at6native12_GLOBAL__N_125multi_tensor_apply_kernelINS1_18TensorListMetadataILi1EEENS1_14UnaryOpFunctorIN3c108BFloat16ELi1ELi1ELi0EEEJNS0_5Log10IfEEEEEvT_T0_DpT1_.num_agpr, 0
	.set _ZN2at6native12_GLOBAL__N_125multi_tensor_apply_kernelINS1_18TensorListMetadataILi1EEENS1_14UnaryOpFunctorIN3c108BFloat16ELi1ELi1ELi0EEEJNS0_5Log10IfEEEEEvT_T0_DpT1_.numbered_sgpr, 21
	.set _ZN2at6native12_GLOBAL__N_125multi_tensor_apply_kernelINS1_18TensorListMetadataILi1EEENS1_14UnaryOpFunctorIN3c108BFloat16ELi1ELi1ELi0EEEJNS0_5Log10IfEEEEEvT_T0_DpT1_.num_named_barrier, 0
	.set _ZN2at6native12_GLOBAL__N_125multi_tensor_apply_kernelINS1_18TensorListMetadataILi1EEENS1_14UnaryOpFunctorIN3c108BFloat16ELi1ELi1ELi0EEEJNS0_5Log10IfEEEEEvT_T0_DpT1_.private_seg_size, 0
	.set _ZN2at6native12_GLOBAL__N_125multi_tensor_apply_kernelINS1_18TensorListMetadataILi1EEENS1_14UnaryOpFunctorIN3c108BFloat16ELi1ELi1ELi0EEEJNS0_5Log10IfEEEEEvT_T0_DpT1_.uses_vcc, 1
	.set _ZN2at6native12_GLOBAL__N_125multi_tensor_apply_kernelINS1_18TensorListMetadataILi1EEENS1_14UnaryOpFunctorIN3c108BFloat16ELi1ELi1ELi0EEEJNS0_5Log10IfEEEEEvT_T0_DpT1_.uses_flat_scratch, 0
	.set _ZN2at6native12_GLOBAL__N_125multi_tensor_apply_kernelINS1_18TensorListMetadataILi1EEENS1_14UnaryOpFunctorIN3c108BFloat16ELi1ELi1ELi0EEEJNS0_5Log10IfEEEEEvT_T0_DpT1_.has_dyn_sized_stack, 0
	.set _ZN2at6native12_GLOBAL__N_125multi_tensor_apply_kernelINS1_18TensorListMetadataILi1EEENS1_14UnaryOpFunctorIN3c108BFloat16ELi1ELi1ELi0EEEJNS0_5Log10IfEEEEEvT_T0_DpT1_.has_recursion, 0
	.set _ZN2at6native12_GLOBAL__N_125multi_tensor_apply_kernelINS1_18TensorListMetadataILi1EEENS1_14UnaryOpFunctorIN3c108BFloat16ELi1ELi1ELi0EEEJNS0_5Log10IfEEEEEvT_T0_DpT1_.has_indirect_call, 0
	.section	.AMDGPU.csdata,"",@progbits
; Kernel info:
; codeLenInByte = 2288
; TotalNumSgprs: 23
; NumVgprs: 25
; ScratchSize: 0
; MemoryBound: 0
; FloatMode: 240
; IeeeMode: 1
; LDSByteSize: 0 bytes/workgroup (compile time only)
; SGPRBlocks: 0
; VGPRBlocks: 1
; NumSGPRsForWavesPerEU: 23
; NumVGPRsForWavesPerEU: 25
; NamedBarCnt: 0
; Occupancy: 16
; WaveLimiterHint : 0
; COMPUTE_PGM_RSRC2:SCRATCH_EN: 0
; COMPUTE_PGM_RSRC2:USER_SGPR: 2
; COMPUTE_PGM_RSRC2:TRAP_HANDLER: 0
; COMPUTE_PGM_RSRC2:TGID_X_EN: 1
; COMPUTE_PGM_RSRC2:TGID_Y_EN: 0
; COMPUTE_PGM_RSRC2:TGID_Z_EN: 0
; COMPUTE_PGM_RSRC2:TIDIG_COMP_CNT: 0
	.section	.text._ZN2at6native12_GLOBAL__N_125multi_tensor_apply_kernelINS1_18TensorListMetadataILi2EEENS1_14UnaryOpFunctorIdLi2ELi1ELi1EEEJNS0_4Log2IdEEEEEvT_T0_DpT1_,"axG",@progbits,_ZN2at6native12_GLOBAL__N_125multi_tensor_apply_kernelINS1_18TensorListMetadataILi2EEENS1_14UnaryOpFunctorIdLi2ELi1ELi1EEEJNS0_4Log2IdEEEEEvT_T0_DpT1_,comdat
	.globl	_ZN2at6native12_GLOBAL__N_125multi_tensor_apply_kernelINS1_18TensorListMetadataILi2EEENS1_14UnaryOpFunctorIdLi2ELi1ELi1EEEJNS0_4Log2IdEEEEEvT_T0_DpT1_ ; -- Begin function _ZN2at6native12_GLOBAL__N_125multi_tensor_apply_kernelINS1_18TensorListMetadataILi2EEENS1_14UnaryOpFunctorIdLi2ELi1ELi1EEEJNS0_4Log2IdEEEEEvT_T0_DpT1_
	.p2align	8
	.type	_ZN2at6native12_GLOBAL__N_125multi_tensor_apply_kernelINS1_18TensorListMetadataILi2EEENS1_14UnaryOpFunctorIdLi2ELi1ELi1EEEJNS0_4Log2IdEEEEEvT_T0_DpT1_,@function
_ZN2at6native12_GLOBAL__N_125multi_tensor_apply_kernelINS1_18TensorListMetadataILi2EEENS1_14UnaryOpFunctorIdLi2ELi1ELi1EEEJNS0_4Log2IdEEEEEvT_T0_DpT1_: ; @_ZN2at6native12_GLOBAL__N_125multi_tensor_apply_kernelINS1_18TensorListMetadataILi2EEENS1_14UnaryOpFunctorIdLi2ELi1ELi1EEEJNS0_4Log2IdEEEEEvT_T0_DpT1_
; %bb.0:
	s_bfe_u32 s2, ttmp6, 0x4000c
	s_and_b32 s3, ttmp6, 15
	s_add_co_i32 s2, s2, 1
	s_getreg_b32 s4, hwreg(HW_REG_IB_STS2, 6, 4)
	s_mul_i32 s2, ttmp9, s2
	s_delay_alu instid0(SALU_CYCLE_1)
	s_add_co_i32 s3, s3, s2
	s_cmp_eq_u32 s4, 0
	s_cselect_b32 s2, ttmp9, s3
	s_mov_b32 s3, 0
	s_load_u8 s10, s[0:1], s2 offset:0x600
	s_add_nc_u64 s[4:5], s[0:1], s[2:3]
	s_mul_u64 s[6:7], s[2:3], 3
	s_delay_alu instid0(SALU_CYCLE_1)
	s_add_nc_u64 s[4:5], s[4:5], s[6:7]
	s_load_b32 s6, s[4:5], 0x740
	s_wait_kmcnt 0x0
	s_clause 0x2
	s_load_b64 s[12:13], s[0:1], s10 offset:0x0 scale_offset
	s_load_b64 s[14:15], s[0:1], s10 offset:0x200 scale_offset
	;; [unrolled: 1-line block ×3, first 2 shown]
	s_mov_b32 s5, s3
	s_ashr_i32 s7, s6, 31
	s_wait_xcnt 0x0
	s_lshl_b64 s[10:11], s[6:7], 19
	s_wait_kmcnt 0x0
	s_and_b64 s[18:19], s[14:15], 31
	s_add_nc_u64 s[16:17], s[12:13], s[10:11]
	s_and_b32 s4, s8, 3
	s_and_b32 s2, s16, 31
	s_or_b64 s[4:5], s[18:19], s[4:5]
	s_lshl_b64 s[6:7], s[6:7], 16
	s_or_b64 s[2:3], s[4:5], s[2:3]
	s_sub_nc_u64 s[16:17], s[8:9], s[6:7]
	s_cmp_eq_u64 s[2:3], 0
	s_mov_b32 s2, -1
	s_cbranch_scc0 .LBB189_5
; %bb.1:
	v_min_i64 v[10:11], 0x10000, s[16:17]
	v_dual_mov_b32 v3, 0 :: v_dual_lshlrev_b32 v2, 2, v0
	s_mov_b32 s26, exec_lo
	s_delay_alu instid0(VALU_DEP_1)
	v_cmpx_lt_i64_e64 v[2:3], v[10:11]
	s_cbranch_execz .LBB189_4
; %bb.2:
	s_load_b32 s2, s[0:1], 0xc5c
	v_dual_mov_b32 v1, v3 :: v_dual_lshlrev_b32 v2, 5, v0
	v_mov_b64_e32 v[12:13], 0x3fc385386b47b09a
	s_mov_b32 s19, 0
	s_mov_b64 s[20:21], 0x3fe5555555555555
	s_delay_alu instid0(VALU_DEP_2)
	v_mov_b64_e32 v[16:17], v[0:1]
	v_add_nc_u64_e32 v[14:15], s[10:11], v[2:3]
	s_mov_b64 s[22:23], 0x3ff71547652b82fe
	s_mov_b32 s25, s19
	s_mov_b32 s27, s19
                                        ; implicit-def: $vgpr2_vgpr3
                                        ; implicit-def: $vgpr2_vgpr3
	;; [unrolled: 1-line block ×5, first 2 shown]
	s_wait_kmcnt 0x0
	s_and_b32 s18, s2, 0xffff
	s_delay_alu instid0(SALU_CYCLE_1)
	s_lshl_b32 s24, s18, 5
.LBB189_3:                              ; =>This Inner Loop Header: Depth=1
	v_add_nc_u64_e32 v[18:19], s[12:13], v[14:15]
	v_add_nc_u64_e32 v[16:17], s[18:19], v[16:17]
	s_clause 0x1
	global_load_b128 v[2:5], v[18:19], off
	global_load_b128 v[6:9], v[18:19], off offset:16
	s_wait_loadcnt 0x1
	s_wait_xcnt 0x0
	v_frexp_mant_f64_e32 v[18:19], v[2:3]
	v_frexp_mant_f64_e32 v[20:21], v[4:5]
	v_frexp_exp_i32_f64_e32 v60, v[4:5]
	s_wait_loadcnt 0x0
	v_frexp_mant_f64_e32 v[22:23], v[6:7]
	v_frexp_mant_f64_e32 v[24:25], v[8:9]
	v_frexp_exp_i32_f64_e32 v1, v[2:3]
	v_cmp_nge_f64_e64 s6, 0, v[4:5]
	v_cmp_nge_f64_e64 s7, 0, v[6:7]
	;; [unrolled: 1-line block ×3, first 2 shown]
	v_cmp_ngt_f64_e64 s9, 0, v[2:3]
	v_cmp_gt_f64_e32 vcc_lo, s[20:21], v[18:19]
	v_cmp_gt_f64_e64 s2, s[20:21], v[20:21]
	v_cmp_gt_f64_e64 s3, s[20:21], v[22:23]
	;; [unrolled: 1-line block ×3, first 2 shown]
	v_cndmask_b32_e64 v26, 0, 1, vcc_lo
	s_delay_alu instid0(VALU_DEP_4) | instskip(SKIP_2) | instid1(VALU_DEP_4)
	v_cndmask_b32_e64 v27, 0, 1, s2
	v_subrev_co_ci_u32_e64 v60, null, 0, v60, s2
	v_cmp_class_f64_e64 s2, v[4:5], 0x204
	v_ldexp_f64 v[18:19], v[18:19], v26
	s_delay_alu instid0(VALU_DEP_4) | instskip(SKIP_4) | instid1(VALU_DEP_4)
	v_ldexp_f64 v[20:21], v[20:21], v27
	v_cndmask_b32_e64 v28, 0, 1, s3
	v_cndmask_b32_e64 v29, 0, 1, s4
	v_subrev_co_ci_u32_e64 v1, null, 0, v1, vcc_lo
	v_cmp_class_f64_e64 vcc_lo, v[2:3], 0x204
	v_ldexp_f64 v[22:23], v[22:23], v28
	s_delay_alu instid0(VALU_DEP_4)
	v_ldexp_f64 v[24:25], v[24:25], v29
	v_add_f64_e32 v[26:27], 1.0, v[18:19]
	v_add_f64_e32 v[28:29], 1.0, v[20:21]
	v_add_f64_e32 v[34:35], -1.0, v[18:19]
	v_add_f64_e32 v[36:37], -1.0, v[20:21]
	v_add_f64_e32 v[30:31], 1.0, v[22:23]
	v_add_f64_e32 v[32:33], 1.0, v[24:25]
	v_add_f64_e32 v[38:39], -1.0, v[22:23]
	v_add_f64_e32 v[40:41], -1.0, v[24:25]
	v_rcp_f64_e32 v[42:43], v[26:27]
	v_add_f64_e32 v[44:45], -1.0, v[26:27]
	v_rcp_f64_e32 v[52:53], v[28:29]
	;; [unrolled: 2-line block ×4, first 2 shown]
	v_add_f64_e32 v[50:51], -1.0, v[32:33]
	s_delay_alu instid0(VALU_DEP_4) | instskip(NEXT) | instid1(VALU_DEP_4)
	v_add_f64_e64 v[18:19], v[18:19], -v[44:45]
	v_add_f64_e64 v[20:21], v[20:21], -v[46:47]
	v_fma_f64 v[44:45], -v[26:27], v[42:43], 1.0
	s_delay_alu instid0(TRANS32_DEP_3) | instskip(SKIP_2) | instid1(TRANS32_DEP_2)
	v_fma_f64 v[46:47], -v[28:29], v[52:53], 1.0
	v_add_f64_e64 v[22:23], v[22:23], -v[48:49]
	v_add_f64_e64 v[24:25], v[24:25], -v[50:51]
	v_fma_f64 v[48:49], -v[30:31], v[54:55], 1.0
	s_delay_alu instid0(TRANS32_DEP_1) | instskip(SKIP_2) | instid1(VALU_DEP_4)
	v_fma_f64 v[50:51], -v[32:33], v[56:57], 1.0
	v_fmac_f64_e32 v[42:43], v[44:45], v[42:43]
	v_fmac_f64_e32 v[52:53], v[46:47], v[52:53]
	;; [unrolled: 1-line block ×3, first 2 shown]
	s_delay_alu instid0(VALU_DEP_4) | instskip(NEXT) | instid1(VALU_DEP_4)
	v_fmac_f64_e32 v[56:57], v[50:51], v[56:57]
	v_fma_f64 v[44:45], -v[26:27], v[42:43], 1.0
	s_delay_alu instid0(VALU_DEP_4) | instskip(NEXT) | instid1(VALU_DEP_4)
	v_fma_f64 v[46:47], -v[28:29], v[52:53], 1.0
	v_fma_f64 v[48:49], -v[30:31], v[54:55], 1.0
	s_delay_alu instid0(VALU_DEP_4) | instskip(NEXT) | instid1(VALU_DEP_4)
	v_fma_f64 v[50:51], -v[32:33], v[56:57], 1.0
	v_fmac_f64_e32 v[42:43], v[44:45], v[42:43]
	s_delay_alu instid0(VALU_DEP_4) | instskip(NEXT) | instid1(VALU_DEP_4)
	v_fmac_f64_e32 v[52:53], v[46:47], v[52:53]
	v_fmac_f64_e32 v[54:55], v[48:49], v[54:55]
	s_delay_alu instid0(VALU_DEP_4) | instskip(NEXT) | instid1(VALU_DEP_4)
	v_fmac_f64_e32 v[56:57], v[50:51], v[56:57]
	v_mul_f64_e32 v[44:45], v[34:35], v[42:43]
	s_delay_alu instid0(VALU_DEP_4) | instskip(NEXT) | instid1(VALU_DEP_4)
	v_mul_f64_e32 v[46:47], v[36:37], v[52:53]
	v_mul_f64_e32 v[48:49], v[38:39], v[54:55]
	s_delay_alu instid0(VALU_DEP_4) | instskip(NEXT) | instid1(VALU_DEP_4)
	v_mul_f64_e32 v[50:51], v[40:41], v[56:57]
	v_mul_f64_e32 v[58:59], v[26:27], v[44:45]
	s_delay_alu instid0(VALU_DEP_1) | instskip(NEXT) | instid1(VALU_DEP_1)
	v_fma_f64 v[26:27], v[44:45], v[26:27], -v[58:59]
	v_fmac_f64_e32 v[26:27], v[44:45], v[18:19]
	v_mul_f64_e32 v[18:19], v[28:29], v[46:47]
	s_delay_alu instid0(VALU_DEP_1) | instskip(NEXT) | instid1(VALU_DEP_1)
	v_fma_f64 v[28:29], v[46:47], v[28:29], -v[18:19]
	v_fmac_f64_e32 v[28:29], v[46:47], v[20:21]
	;; [unrolled: 4-line block ×4, first 2 shown]
	v_add_f64_e32 v[24:25], v[58:59], v[26:27]
	s_delay_alu instid0(VALU_DEP_1) | instskip(NEXT) | instid1(VALU_DEP_1)
	v_add_f64_e64 v[58:59], v[24:25], -v[58:59]
	v_add_f64_e64 v[26:27], v[58:59], -v[26:27]
	v_add_f64_e32 v[58:59], v[18:19], v[28:29]
	s_delay_alu instid0(VALU_DEP_1) | instskip(NEXT) | instid1(VALU_DEP_1)
	v_add_f64_e64 v[18:19], v[58:59], -v[18:19]
	v_add_f64_e64 v[18:19], v[18:19], -v[28:29]
	;; [unrolled: 4-line block ×4, first 2 shown]
	v_add_f64_e64 v[32:33], v[34:35], -v[24:25]
	s_delay_alu instid0(VALU_DEP_1) | instskip(NEXT) | instid1(VALU_DEP_1)
	v_add_f64_e64 v[34:35], v[34:35], -v[32:33]
	v_add_f64_e64 v[24:25], v[34:35], -v[24:25]
	;; [unrolled: 1-line block ×3, first 2 shown]
	s_delay_alu instid0(VALU_DEP_2) | instskip(NEXT) | instid1(VALU_DEP_2)
	v_add_f64_e32 v[24:25], v[26:27], v[24:25]
	v_add_f64_e64 v[36:37], v[36:37], -v[34:35]
	v_cvt_f64_i32_e32 v[26:27], v1
	s_delay_alu instid0(VALU_DEP_3) | instskip(NEXT) | instid1(VALU_DEP_3)
	v_add_f64_e32 v[24:25], v[32:33], v[24:25]
	v_add_f64_e64 v[36:37], v[36:37], -v[58:59]
	v_add_f64_e64 v[58:59], v[38:39], -v[28:29]
	s_delay_alu instid0(VALU_DEP_3) | instskip(NEXT) | instid1(VALU_DEP_3)
	v_mul_f64_e32 v[24:25], v[42:43], v[24:25]
	v_add_f64_e32 v[18:19], v[18:19], v[36:37]
	s_delay_alu instid0(VALU_DEP_3) | instskip(NEXT) | instid1(VALU_DEP_2)
	v_add_f64_e64 v[38:39], v[38:39], -v[58:59]
	v_add_f64_e32 v[18:19], v[34:35], v[18:19]
	s_delay_alu instid0(VALU_DEP_2) | instskip(SKIP_1) | instid1(VALU_DEP_3)
	v_add_f64_e64 v[28:29], v[38:39], -v[28:29]
	v_add_f64_e64 v[38:39], v[40:41], -v[30:31]
	v_mul_f64_e32 v[18:19], v[52:53], v[18:19]
	s_delay_alu instid0(VALU_DEP_3) | instskip(NEXT) | instid1(VALU_DEP_3)
	v_add_f64_e32 v[20:21], v[20:21], v[28:29]
	v_add_f64_e64 v[40:41], v[40:41], -v[38:39]
	v_add_f64_e32 v[28:29], v[44:45], v[24:25]
	s_delay_alu instid0(VALU_DEP_3) | instskip(NEXT) | instid1(VALU_DEP_3)
	v_add_f64_e32 v[20:21], v[58:59], v[20:21]
	v_add_f64_e64 v[30:31], v[40:41], -v[30:31]
	s_delay_alu instid0(VALU_DEP_3)
	v_ldexp_f64 v[52:53], v[28:29], 1
	v_frexp_exp_i32_f64_e32 v40, v[6:7]
	v_frexp_exp_i32_f64_e32 v41, v[8:9]
	v_mul_f64_e32 v[20:21], v[54:55], v[20:21]
	v_add_f64_e32 v[22:23], v[22:23], v[30:31]
	v_add_f64_e32 v[30:31], v[46:47], v[18:19]
	v_subrev_co_ci_u32_e64 v61, null, 0, v40, s3
	v_subrev_co_ci_u32_e64 v62, null, 0, v41, s4
	v_cvt_f64_i32_e32 v[40:41], v60
	s_delay_alu instid0(VALU_DEP_3) | instskip(SKIP_1) | instid1(VALU_DEP_4)
	v_cvt_f64_i32_e32 v[36:37], v61
	v_cmp_class_f64_e64 s3, v[6:7], 0x204
	v_cvt_f64_i32_e32 v[60:61], v62
	v_cmp_class_f64_e64 s4, v[8:9], 0x204
	v_add_f64_e32 v[32:33], v[48:49], v[20:21]
	v_add_f64_e32 v[22:23], v[38:39], v[22:23]
	v_add_f64_e64 v[38:39], v[28:29], -v[44:45]
	v_add_f64_e64 v[42:43], v[30:31], -v[46:47]
	v_mul_f64_e32 v[46:47], v[28:29], v[28:29]
	v_ldexp_f64 v[54:55], v[30:31], 1
	v_add_f64_e64 v[44:45], v[32:33], -v[48:49]
	v_mul_f64_e32 v[22:23], v[56:57], v[22:23]
	v_add_f64_e64 v[24:25], v[24:25], -v[38:39]
	v_mul_f64_e32 v[56:57], v[32:33], v[32:33]
	v_mul_f64_e32 v[28:29], v[28:29], v[46:47]
	v_add_f64_e64 v[18:19], v[18:19], -v[42:43]
	v_ldexp_f64 v[58:59], v[32:33], 1
	v_add_f64_e64 v[20:21], v[20:21], -v[44:45]
	v_add_f64_e32 v[34:35], v[50:51], v[22:23]
	v_fmamk_f64 v[44:45], v[46:47], 0x3fc3ab76bf559e2b, v[12:13]
	v_mul_f64_e32 v[32:33], v[32:33], v[56:57]
	v_ldexp_f64 v[24:25], v[24:25], 1
	v_ldexp_f64 v[18:19], v[18:19], 1
	s_delay_alu instid0(VALU_DEP_4) | instskip(NEXT) | instid1(VALU_DEP_1)
	v_fmaak_f64 v[44:45], v[46:47], v[44:45], 0x3fc7474dd7f4df2e
	v_fmaak_f64 v[44:45], v[46:47], v[44:45], 0x3fcc71c016291751
	s_delay_alu instid0(VALU_DEP_1) | instskip(NEXT) | instid1(VALU_DEP_1)
	v_fmaak_f64 v[44:45], v[46:47], v[44:45], 0x3fd249249b27acf1
	v_fmaak_f64 v[44:45], v[46:47], v[44:45], 0x3fd99999998ef7b6
	v_ldexp_f64 v[20:21], v[20:21], 1
	v_add_f64_e64 v[48:49], v[34:35], -v[50:51]
	v_mul_f64_e32 v[50:51], v[30:31], v[30:31]
	v_mul_f64_e32 v[38:39], v[34:35], v[34:35]
	v_ldexp_f64 v[42:43], v[34:35], 1
	v_fmaak_f64 v[44:45], v[46:47], v[44:45], 0x3fe5555555555780
	v_fmamk_f64 v[46:47], v[56:57], 0x3fc3ab76bf559e2b, v[12:13]
	s_delay_alu instid0(VALU_DEP_2) | instskip(NEXT) | instid1(VALU_DEP_2)
	v_mul_f64_e32 v[28:29], v[28:29], v[44:45]
	v_fmaak_f64 v[46:47], v[56:57], v[46:47], 0x3fc7474dd7f4df2e
	s_delay_alu instid0(VALU_DEP_1) | instskip(NEXT) | instid1(VALU_DEP_1)
	v_fmaak_f64 v[46:47], v[56:57], v[46:47], 0x3fcc71c016291751
	v_fmaak_f64 v[46:47], v[56:57], v[46:47], 0x3fd249249b27acf1
	v_add_f64_e64 v[22:23], v[22:23], -v[48:49]
	v_fmamk_f64 v[48:49], v[50:51], 0x3fc3ab76bf559e2b, v[12:13]
	v_mul_f64_e32 v[30:31], v[30:31], v[50:51]
	v_mul_f64_e32 v[34:35], v[34:35], v[38:39]
	v_fmaak_f64 v[46:47], v[56:57], v[46:47], 0x3fd99999998ef7b6
	s_delay_alu instid0(VALU_DEP_4) | instskip(NEXT) | instid1(VALU_DEP_2)
	v_fmaak_f64 v[48:49], v[50:51], v[48:49], 0x3fc7474dd7f4df2e
	v_fmaak_f64 v[46:47], v[56:57], v[46:47], 0x3fe5555555555780
	s_delay_alu instid0(VALU_DEP_2) | instskip(NEXT) | instid1(VALU_DEP_2)
	v_fmaak_f64 v[48:49], v[50:51], v[48:49], 0x3fcc71c016291751
	v_mul_f64_e32 v[32:33], v[32:33], v[46:47]
	s_delay_alu instid0(VALU_DEP_2) | instskip(NEXT) | instid1(VALU_DEP_1)
	v_fmaak_f64 v[48:49], v[50:51], v[48:49], 0x3fd249249b27acf1
	v_fmaak_f64 v[48:49], v[50:51], v[48:49], 0x3fd99999998ef7b6
	v_ldexp_f64 v[22:23], v[22:23], 1
	s_delay_alu instid0(VALU_DEP_2) | instskip(SKIP_1) | instid1(VALU_DEP_2)
	v_fmaak_f64 v[48:49], v[50:51], v[48:49], 0x3fe5555555555780
	v_fmamk_f64 v[50:51], v[38:39], 0x3fc3ab76bf559e2b, v[12:13]
	v_mul_f64_e32 v[30:31], v[30:31], v[48:49]
	s_delay_alu instid0(VALU_DEP_2) | instskip(SKIP_1) | instid1(VALU_DEP_2)
	v_fmaak_f64 v[50:51], v[38:39], v[50:51], 0x3fc7474dd7f4df2e
	v_add_f64_e32 v[46:47], v[58:59], v[32:33]
	v_fmaak_f64 v[50:51], v[38:39], v[50:51], 0x3fcc71c016291751
	s_delay_alu instid0(VALU_DEP_1) | instskip(NEXT) | instid1(VALU_DEP_1)
	v_fmaak_f64 v[50:51], v[38:39], v[50:51], 0x3fd249249b27acf1
	v_fmaak_f64 v[50:51], v[38:39], v[50:51], 0x3fd99999998ef7b6
	s_delay_alu instid0(VALU_DEP_1) | instskip(SKIP_1) | instid1(VALU_DEP_2)
	v_fmaak_f64 v[38:39], v[38:39], v[50:51], 0x3fe5555555555780
	v_add_f64_e32 v[44:45], v[54:55], v[30:31]
	v_mul_f64_e32 v[34:35], v[34:35], v[38:39]
	v_add_f64_e32 v[38:39], v[52:53], v[28:29]
	s_delay_alu instid0(VALU_DEP_2) | instskip(NEXT) | instid1(VALU_DEP_2)
	v_add_f64_e32 v[48:49], v[42:43], v[34:35]
	v_add_f64_e64 v[50:51], v[38:39], -v[52:53]
	v_add_f64_e64 v[52:53], v[44:45], -v[54:55]
	;; [unrolled: 1-line block ×3, first 2 shown]
	s_delay_alu instid0(VALU_DEP_4) | instskip(NEXT) | instid1(VALU_DEP_4)
	v_add_f64_e64 v[42:43], v[48:49], -v[42:43]
	v_add_f64_e64 v[28:29], v[28:29], -v[50:51]
	s_delay_alu instid0(VALU_DEP_4) | instskip(NEXT) | instid1(VALU_DEP_4)
	v_add_f64_e64 v[30:31], v[30:31], -v[52:53]
	v_add_f64_e64 v[32:33], v[32:33], -v[54:55]
	s_delay_alu instid0(VALU_DEP_4) | instskip(NEXT) | instid1(VALU_DEP_4)
	v_add_f64_e64 v[34:35], v[34:35], -v[42:43]
	v_add_f64_e32 v[24:25], v[24:25], v[28:29]
	s_delay_alu instid0(VALU_DEP_4) | instskip(NEXT) | instid1(VALU_DEP_4)
	v_add_f64_e32 v[18:19], v[18:19], v[30:31]
	v_add_f64_e32 v[20:21], v[20:21], v[32:33]
	s_delay_alu instid0(VALU_DEP_4) | instskip(NEXT) | instid1(VALU_DEP_4)
	v_add_f64_e32 v[22:23], v[22:23], v[34:35]
	;; [unrolled: 3-line block ×4, first 2 shown]
	v_add_f64_e64 v[38:39], v[28:29], -v[38:39]
	v_mul_f64_e32 v[42:43], 0x3ff71547652b82fe, v[28:29]
	v_add_f64_e64 v[44:45], v[30:31], -v[44:45]
	v_mul_f64_e32 v[50:51], 0x3ff71547652b82fe, v[30:31]
	;; [unrolled: 2-line block ×3, first 2 shown]
	v_add_f64_e64 v[48:49], v[34:35], -v[48:49]
	v_add_f64_e64 v[24:25], v[24:25], -v[38:39]
	v_fma_f64 v[38:39], v[28:29], s[22:23], -v[42:43]
	v_add_f64_e64 v[18:19], v[18:19], -v[44:45]
	v_fma_f64 v[44:45], v[30:31], s[22:23], -v[50:51]
	v_mul_f64_e32 v[54:55], 0x3ff71547652b82fe, v[34:35]
	v_add_f64_e64 v[20:21], v[20:21], -v[46:47]
	v_fma_f64 v[46:47], v[32:33], s[22:23], -v[52:53]
	v_add_f64_e64 v[22:23], v[22:23], -v[48:49]
	v_fmac_f64_e32 v[38:39], 0x3ff71547652b82fe, v[24:25]
	v_fmac_f64_e32 v[44:45], 0x3ff71547652b82fe, v[18:19]
	v_fma_f64 v[48:49], v[34:35], s[22:23], -v[54:55]
	v_fmac_f64_e32 v[46:47], 0x3ff71547652b82fe, v[20:21]
	s_delay_alu instid0(VALU_DEP_4) | instskip(NEXT) | instid1(VALU_DEP_4)
	v_fmac_f64_e32 v[38:39], 0x3c7777d0ffda0d24, v[28:29]
	v_fmac_f64_e32 v[44:45], 0x3c7777d0ffda0d24, v[30:31]
	s_delay_alu instid0(VALU_DEP_4) | instskip(NEXT) | instid1(VALU_DEP_4)
	v_fmac_f64_e32 v[48:49], 0x3ff71547652b82fe, v[22:23]
	v_fmac_f64_e32 v[46:47], 0x3c7777d0ffda0d24, v[32:33]
	s_delay_alu instid0(VALU_DEP_4) | instskip(NEXT) | instid1(VALU_DEP_4)
	v_add_f64_e32 v[18:19], v[42:43], v[38:39]
	v_add_f64_e32 v[20:21], v[50:51], v[44:45]
	s_delay_alu instid0(VALU_DEP_4) | instskip(NEXT) | instid1(VALU_DEP_4)
	v_fmac_f64_e32 v[48:49], 0x3c7777d0ffda0d24, v[34:35]
	v_add_f64_e32 v[22:23], v[52:53], v[46:47]
	s_delay_alu instid0(VALU_DEP_4)
	v_add_f64_e32 v[28:29], v[18:19], v[26:27]
	v_add_f64_e64 v[30:31], v[18:19], -v[42:43]
	v_add_f64_e32 v[34:35], v[20:21], v[40:41]
	v_add_f64_e32 v[24:25], v[54:55], v[48:49]
	v_add_f64_e64 v[32:33], v[20:21], -v[50:51]
	v_add_f64_e32 v[42:43], v[22:23], v[36:37]
	v_add_f64_e64 v[52:53], v[22:23], -v[52:53]
	v_add_f64_e64 v[56:57], v[28:29], -v[26:27]
	;; [unrolled: 1-line block ×4, first 2 shown]
	v_add_f64_e32 v[50:51], v[24:25], v[60:61]
	v_add_f64_e64 v[54:55], v[24:25], -v[54:55]
	v_add_f64_e64 v[32:33], v[44:45], -v[32:33]
	;; [unrolled: 1-line block ×8, first 2 shown]
	s_delay_alu instid0(VALU_DEP_4) | instskip(SKIP_1) | instid1(VALU_DEP_4)
	v_add_f64_e32 v[26:27], v[56:57], v[26:27]
	v_add_f64_e64 v[56:57], v[42:43], -v[36:37]
	v_add_f64_e32 v[40:41], v[58:59], v[40:41]
	v_add_f64_e64 v[58:59], v[50:51], -v[60:61]
	s_delay_alu instid0(VALU_DEP_4) | instskip(NEXT) | instid1(VALU_DEP_4)
	v_add_f64_e32 v[18:19], v[18:19], v[26:27]
	v_add_f64_e64 v[22:23], v[22:23], -v[56:57]
	v_add_f64_e64 v[56:57], v[56:57], -v[42:43]
	s_delay_alu instid0(VALU_DEP_4)
	v_add_f64_e64 v[24:25], v[24:25], -v[58:59]
	v_add_f64_e64 v[58:59], v[58:59], -v[50:51]
	v_add_f64_e32 v[20:21], v[20:21], v[40:41]
	v_add_nc_u64_e32 v[26:27], s[14:15], v[14:15]
	v_add_nc_u64_e32 v[14:15], s[24:25], v[14:15]
	v_add_f64_e32 v[18:19], v[30:31], v[18:19]
	v_add_f64_e32 v[36:37], v[56:57], v[36:37]
	;; [unrolled: 1-line block ×4, first 2 shown]
	s_delay_alu instid0(VALU_DEP_4) | instskip(SKIP_4) | instid1(VALU_DEP_4)
	v_add_f64_e32 v[18:19], v[28:29], v[18:19]
	v_lshlrev_b64_e32 v[28:29], 2, v[16:17]
	v_add_f64_e32 v[22:23], v[22:23], v[36:37]
	v_add_f64_e32 v[24:25], v[24:25], v[56:57]
	;; [unrolled: 1-line block ×3, first 2 shown]
	v_cmp_ge_i64_e64 s5, v[28:29], v[10:11]
	s_or_b32 s27, s5, s27
	v_dual_cndmask_b32 v1, v18, v2 :: v_dual_cndmask_b32 v18, v19, v3
	v_add_f64_e32 v[22:23], v[38:39], v[22:23]
	v_cmp_nge_f64_e32 vcc_lo, 0, v[2:3]
	v_add_f64_e32 v[24:25], v[44:45], v[24:25]
	v_dual_cndmask_b32 v19, v20, v4, s2 :: v_dual_cndmask_b32 v20, v21, v5, s2
	v_cmp_ngt_f64_e64 s2, 0, v[4:5]
	v_add_f64_e32 v[22:23], v[42:43], v[22:23]
	s_delay_alu instid0(VALU_DEP_4) | instskip(NEXT) | instid1(VALU_DEP_2)
	v_add_f64_e32 v[24:25], v[50:51], v[24:25]
	v_dual_cndmask_b32 v21, v22, v6, s3 :: v_dual_cndmask_b32 v22, v23, v7, s3
	s_delay_alu instid0(VALU_DEP_2)
	v_dual_cndmask_b32 v23, v24, v8, s4 :: v_dual_cndmask_b32 v24, v25, v9, s4
	v_cmp_ngt_f64_e64 s4, 0, v[8:9]
	v_cmp_ngt_f64_e64 s3, 0, v[6:7]
	v_cndmask_b32_e64 v25, 0x7ff80000, v18, s9
	v_cndmask_b32_e32 v18, 0, v1, vcc_lo
	v_cndmask_b32_e64 v1, 0x7ff80000, v20, s2
	v_cmp_neq_f64_e32 vcc_lo, 0, v[4:5]
	v_cmp_neq_f64_e64 s2, 0, v[6:7]
	v_dual_cndmask_b32 v20, 0, v19, s6 :: v_dual_cndmask_b32 v4, 0, v21, s7
	v_cndmask_b32_e64 v6, 0, v23, s8
	v_cndmask_b32_e64 v7, 0x7ff80000, v24, s4
	v_cmp_neq_f64_e64 s4, 0, v[2:3]
	v_cndmask_b32_e64 v5, 0x7ff80000, v22, s3
	v_cmp_neq_f64_e64 s3, 0, v[8:9]
	v_cndmask_b32_e32 v21, 0xfff00000, v1, vcc_lo
	s_delay_alu instid0(VALU_DEP_3) | instskip(SKIP_1) | instid1(VALU_DEP_4)
	v_cndmask_b32_e64 v5, 0xfff00000, v5, s2
	v_cndmask_b32_e64 v19, 0xfff00000, v25, s4
	;; [unrolled: 1-line block ×3, first 2 shown]
	s_clause 0x1
	global_store_b128 v[26:27], v[18:21], off
	global_store_b128 v[26:27], v[4:7], off offset:16
	s_wait_xcnt 0x0
	s_and_not1_b32 exec_lo, exec_lo, s27
	s_cbranch_execnz .LBB189_3
.LBB189_4:
	s_or_b32 exec_lo, exec_lo, s26
	s_mov_b32 s2, 0
.LBB189_5:
	s_delay_alu instid0(SALU_CYCLE_1)
	s_and_not1_b32 vcc_lo, exec_lo, s2
	s_cbranch_vccnz .LBB189_25
; %bb.6:
	v_cmp_lt_i64_e64 s2, s[16:17], 1
	s_and_b32 vcc_lo, exec_lo, s2
	s_cbranch_vccnz .LBB189_25
; %bb.7:
	s_load_b32 s0, s[0:1], 0xc5c
	v_min_i64 v[2:3], 0x10000, s[16:17]
	v_min_u64 v[4:5], 0x10000, s[16:17]
	v_dual_mov_b32 v1, 0 :: v_dual_lshlrev_b32 v12, 3, v0
	s_wait_xcnt 0x0
	s_mov_b32 s1, 0
	v_mov_b64_e32 v[6:7], 0x3fc385386b47b09a
	s_mov_b32 s9, s1
	v_dual_mov_b32 v13, v1 :: v_dual_mov_b32 v29, v1
	s_mov_b32 s3, s1
	s_mov_b32 s7, s1
	s_mov_b64 s[4:5], 0x3fe5555555555555
	s_delay_alu instid0(VALU_DEP_1) | instskip(SKIP_2) | instid1(SALU_CYCLE_1)
	v_add_nc_u64_e32 v[8:9], s[12:13], v[12:13]
                                        ; implicit-def: $vgpr30_vgpr31
                                        ; implicit-def: $vgpr30_vgpr31
	;; [unrolled: 1-line block ×5, first 2 shown]
	s_wait_kmcnt 0x0
	s_and_b32 s0, s0, 0xffff
	v_add_nc_u64_e32 v[10:11], s[0:1], v[0:1]
	v_mad_nc_u64_u32 v[24:25], s0, 24, v[12:13]
	s_lshl_b32 s8, s0, 4
	s_mul_i32 s6, s0, 3
	v_add_nc_u64_e32 v[20:21], s[8:9], v[12:13]
	s_lshl_b32 s2, s0, 1
	v_add_nc_u64_e32 v[12:13], s[14:15], v[12:13]
	v_lshlrev_b32_e32 v28, 3, v10
	v_add_nc_u64_e32 v[14:15], s[6:7], v[0:1]
	v_add_nc_u64_e32 v[16:17], s[2:3], v[0:1]
	s_mov_b64 s[6:7], 0x3ff71547652b82fe
	v_add_nc_u64_e32 v[18:19], s[12:13], v[20:21]
	v_add_nc_u64_e32 v[20:21], s[14:15], v[20:21]
	;; [unrolled: 1-line block ×6, first 2 shown]
	s_lshl_b32 s8, s0, 2
	s_lshl_b32 s12, s0, 5
	s_mov_b32 s13, s1
	s_mov_b64 s[14:15], 0
	s_branch .LBB189_9
.LBB189_8:                              ;   in Loop: Header=BB189_9 Depth=1
	s_wait_xcnt 0x0
	s_or_b32 exec_lo, exec_lo, s0
	s_add_nc_u64 s[14:15], s[14:15], s[8:9]
	v_add_nc_u64_e32 v[8:9], s[12:13], v[8:9]
	v_cmp_ge_i64_e32 vcc_lo, s[14:15], v[2:3]
	v_add_nc_u64_e32 v[12:13], s[12:13], v[12:13]
	v_add_nc_u64_e32 v[22:23], s[12:13], v[22:23]
	;; [unrolled: 1-line block ×7, first 2 shown]
	s_cbranch_vccnz .LBB189_25
.LBB189_9:                              ; =>This Inner Loop Header: Depth=1
	s_wait_loadcnt 0x0
	v_add_nc_u64_e32 v[30:31], s[14:15], v[0:1]
	v_mov_b64_e32 v[34:35], 0
	v_mov_b64_e32 v[36:37], 0
	s_delay_alu instid0(VALU_DEP_3)
	v_cmp_lt_u64_e64 s2, v[30:31], v[4:5]
	s_and_saveexec_b32 s0, s2
	s_cbranch_execz .LBB189_11
; %bb.10:                               ;   in Loop: Header=BB189_9 Depth=1
	v_add_nc_u64_e32 v[30:31], s[10:11], v[8:9]
	global_load_b64 v[36:37], v[30:31], off
.LBB189_11:                             ;   in Loop: Header=BB189_9 Depth=1
	s_wait_xcnt 0x0
	s_or_b32 exec_lo, exec_lo, s0
	v_add_nc_u64_e32 v[30:31], s[14:15], v[10:11]
	s_delay_alu instid0(VALU_DEP_1)
	v_cmp_lt_u64_e64 s1, v[30:31], v[4:5]
	s_and_saveexec_b32 s0, s1
	s_cbranch_execz .LBB189_13
; %bb.12:                               ;   in Loop: Header=BB189_9 Depth=1
	v_add_nc_u64_e32 v[30:31], s[10:11], v[26:27]
	global_load_b64 v[34:35], v[30:31], off
.LBB189_13:                             ;   in Loop: Header=BB189_9 Depth=1
	s_wait_xcnt 0x0
	s_or_b32 exec_lo, exec_lo, s0
	v_add_nc_u64_e32 v[32:33], s[14:15], v[16:17]
	v_mov_b64_e32 v[30:31], 0
	s_delay_alu instid0(VALU_DEP_2)
	v_cmp_lt_u64_e64 s0, v[32:33], v[4:5]
	v_mov_b64_e32 v[32:33], 0
	s_and_saveexec_b32 s3, s0
	s_cbranch_execz .LBB189_15
; %bb.14:                               ;   in Loop: Header=BB189_9 Depth=1
	v_add_nc_u64_e32 v[32:33], s[10:11], v[18:19]
	global_load_b64 v[32:33], v[32:33], off
.LBB189_15:                             ;   in Loop: Header=BB189_9 Depth=1
	s_wait_xcnt 0x0
	s_or_b32 exec_lo, exec_lo, s3
	v_add_nc_u64_e32 v[38:39], s[14:15], v[14:15]
	s_delay_alu instid0(VALU_DEP_1)
	v_cmp_lt_u64_e32 vcc_lo, v[38:39], v[4:5]
	s_and_saveexec_b32 s3, vcc_lo
	s_cbranch_execnz .LBB189_20
; %bb.16:                               ;   in Loop: Header=BB189_9 Depth=1
	s_or_b32 exec_lo, exec_lo, s3
	s_and_saveexec_b32 s3, s2
	s_cbranch_execnz .LBB189_21
.LBB189_17:                             ;   in Loop: Header=BB189_9 Depth=1
	s_or_b32 exec_lo, exec_lo, s3
	s_and_saveexec_b32 s2, s1
	s_cbranch_execnz .LBB189_22
.LBB189_18:                             ;   in Loop: Header=BB189_9 Depth=1
	s_or_b32 exec_lo, exec_lo, s2
	s_and_saveexec_b32 s1, s0
	s_cbranch_execnz .LBB189_23
.LBB189_19:                             ;   in Loop: Header=BB189_9 Depth=1
	s_or_b32 exec_lo, exec_lo, s1
	s_and_saveexec_b32 s0, vcc_lo
	s_cbranch_execz .LBB189_8
	s_branch .LBB189_24
.LBB189_20:                             ;   in Loop: Header=BB189_9 Depth=1
	v_add_nc_u64_e32 v[30:31], s[10:11], v[22:23]
	global_load_b64 v[30:31], v[30:31], off
	s_wait_xcnt 0x0
	s_or_b32 exec_lo, exec_lo, s3
	s_and_saveexec_b32 s3, s2
	s_cbranch_execz .LBB189_17
.LBB189_21:                             ;   in Loop: Header=BB189_9 Depth=1
	s_wait_loadcnt 0x0
	v_frexp_mant_f64_e32 v[38:39], v[36:37]
	s_delay_alu instid0(VALU_DEP_1) | instskip(NEXT) | instid1(VALU_DEP_1)
	v_cmp_gt_f64_e64 s2, s[4:5], v[38:39]
	v_cndmask_b32_e64 v40, 0, 1, s2
	s_delay_alu instid0(VALU_DEP_1) | instskip(NEXT) | instid1(VALU_DEP_1)
	v_ldexp_f64 v[38:39], v[38:39], v40
	v_add_f64_e32 v[40:41], 1.0, v[38:39]
	v_add_f64_e32 v[46:47], -1.0, v[38:39]
	s_delay_alu instid0(VALU_DEP_2) | instskip(SKIP_1) | instid1(VALU_DEP_1)
	v_rcp_f64_e32 v[42:43], v[40:41]
	v_add_f64_e32 v[48:49], -1.0, v[40:41]
	v_add_f64_e64 v[38:39], v[38:39], -v[48:49]
	s_delay_alu instid0(TRANS32_DEP_1) | instskip(NEXT) | instid1(VALU_DEP_1)
	v_fma_f64 v[44:45], -v[40:41], v[42:43], 1.0
	v_fmac_f64_e32 v[42:43], v[44:45], v[42:43]
	s_delay_alu instid0(VALU_DEP_1) | instskip(NEXT) | instid1(VALU_DEP_1)
	v_fma_f64 v[44:45], -v[40:41], v[42:43], 1.0
	v_fmac_f64_e32 v[42:43], v[44:45], v[42:43]
	s_delay_alu instid0(VALU_DEP_1) | instskip(NEXT) | instid1(VALU_DEP_1)
	v_mul_f64_e32 v[44:45], v[46:47], v[42:43]
	v_mul_f64_e32 v[50:51], v[40:41], v[44:45]
	s_delay_alu instid0(VALU_DEP_1) | instskip(NEXT) | instid1(VALU_DEP_1)
	v_fma_f64 v[40:41], v[44:45], v[40:41], -v[50:51]
	v_fmac_f64_e32 v[40:41], v[44:45], v[38:39]
	s_delay_alu instid0(VALU_DEP_1) | instskip(NEXT) | instid1(VALU_DEP_1)
	v_add_f64_e32 v[38:39], v[50:51], v[40:41]
	v_add_f64_e64 v[48:49], v[46:47], -v[38:39]
	v_add_f64_e64 v[50:51], v[38:39], -v[50:51]
	s_delay_alu instid0(VALU_DEP_2) | instskip(NEXT) | instid1(VALU_DEP_2)
	v_add_f64_e64 v[46:47], v[46:47], -v[48:49]
	v_add_f64_e64 v[40:41], v[50:51], -v[40:41]
	s_delay_alu instid0(VALU_DEP_2) | instskip(NEXT) | instid1(VALU_DEP_1)
	v_add_f64_e64 v[38:39], v[46:47], -v[38:39]
	v_add_f64_e32 v[38:39], v[40:41], v[38:39]
	s_delay_alu instid0(VALU_DEP_1) | instskip(NEXT) | instid1(VALU_DEP_1)
	v_add_f64_e32 v[38:39], v[48:49], v[38:39]
	v_mul_f64_e32 v[38:39], v[42:43], v[38:39]
	s_delay_alu instid0(VALU_DEP_1) | instskip(NEXT) | instid1(VALU_DEP_1)
	v_add_f64_e32 v[40:41], v[44:45], v[38:39]
	v_mul_f64_e32 v[42:43], v[40:41], v[40:41]
	s_delay_alu instid0(VALU_DEP_1) | instskip(SKIP_1) | instid1(VALU_DEP_2)
	v_fmamk_f64 v[46:47], v[42:43], 0x3fc3ab76bf559e2b, v[6:7]
	v_mul_f64_e32 v[48:49], v[40:41], v[42:43]
	v_fmaak_f64 v[46:47], v[42:43], v[46:47], 0x3fc7474dd7f4df2e
	s_delay_alu instid0(VALU_DEP_1) | instskip(NEXT) | instid1(VALU_DEP_1)
	v_fmaak_f64 v[46:47], v[42:43], v[46:47], 0x3fcc71c016291751
	v_fmaak_f64 v[46:47], v[42:43], v[46:47], 0x3fd249249b27acf1
	s_delay_alu instid0(VALU_DEP_1) | instskip(NEXT) | instid1(VALU_DEP_1)
	v_fmaak_f64 v[46:47], v[42:43], v[46:47], 0x3fd99999998ef7b6
	v_fmaak_f64 v[42:43], v[42:43], v[46:47], 0x3fe5555555555780
	v_ldexp_f64 v[46:47], v[40:41], 1
	v_add_f64_e64 v[40:41], v[40:41], -v[44:45]
	s_delay_alu instid0(VALU_DEP_3) | instskip(NEXT) | instid1(VALU_DEP_2)
	v_mul_f64_e32 v[42:43], v[48:49], v[42:43]
	v_add_f64_e64 v[38:39], v[38:39], -v[40:41]
	s_delay_alu instid0(VALU_DEP_2) | instskip(NEXT) | instid1(VALU_DEP_2)
	v_add_f64_e32 v[44:45], v[46:47], v[42:43]
	v_ldexp_f64 v[38:39], v[38:39], 1
	s_delay_alu instid0(VALU_DEP_2) | instskip(NEXT) | instid1(VALU_DEP_1)
	v_add_f64_e64 v[40:41], v[44:45], -v[46:47]
	v_add_f64_e64 v[40:41], v[42:43], -v[40:41]
	s_delay_alu instid0(VALU_DEP_1) | instskip(NEXT) | instid1(VALU_DEP_1)
	v_add_f64_e32 v[38:39], v[38:39], v[40:41]
	v_add_f64_e32 v[40:41], v[44:45], v[38:39]
	s_delay_alu instid0(VALU_DEP_1) | instskip(SKIP_1) | instid1(VALU_DEP_2)
	v_add_f64_e64 v[42:43], v[40:41], -v[44:45]
	v_mul_f64_e32 v[44:45], 0x3ff71547652b82fe, v[40:41]
	v_add_f64_e64 v[38:39], v[38:39], -v[42:43]
	s_delay_alu instid0(VALU_DEP_2) | instskip(NEXT) | instid1(VALU_DEP_1)
	v_fma_f64 v[42:43], v[40:41], s[6:7], -v[44:45]
	v_fmac_f64_e32 v[42:43], 0x3ff71547652b82fe, v[38:39]
	v_frexp_exp_i32_f64_e32 v38, v[36:37]
	s_delay_alu instid0(VALU_DEP_2) | instskip(NEXT) | instid1(VALU_DEP_2)
	v_fmac_f64_e32 v[42:43], 0x3c7777d0ffda0d24, v[40:41]
	v_subrev_co_ci_u32_e64 v38, null, 0, v38, s2
	v_cmp_class_f64_e64 s2, v[36:37], 0x204
	s_delay_alu instid0(VALU_DEP_2) | instskip(NEXT) | instid1(VALU_DEP_4)
	v_cvt_f64_i32_e32 v[38:39], v38
	v_add_f64_e32 v[40:41], v[44:45], v[42:43]
	s_delay_alu instid0(VALU_DEP_1) | instskip(SKIP_1) | instid1(VALU_DEP_2)
	v_add_f64_e32 v[46:47], v[40:41], v[38:39]
	v_add_f64_e64 v[44:45], v[40:41], -v[44:45]
	v_add_f64_e64 v[48:49], v[46:47], -v[38:39]
	s_delay_alu instid0(VALU_DEP_2) | instskip(NEXT) | instid1(VALU_DEP_2)
	v_add_f64_e64 v[42:43], v[42:43], -v[44:45]
	v_add_f64_e64 v[50:51], v[48:49], -v[46:47]
	;; [unrolled: 1-line block ×3, first 2 shown]
	s_delay_alu instid0(VALU_DEP_2) | instskip(NEXT) | instid1(VALU_DEP_1)
	v_add_f64_e32 v[38:39], v[50:51], v[38:39]
	v_add_f64_e32 v[38:39], v[40:41], v[38:39]
	v_add_nc_u64_e32 v[40:41], s[10:11], v[12:13]
	s_delay_alu instid0(VALU_DEP_2) | instskip(NEXT) | instid1(VALU_DEP_1)
	v_add_f64_e32 v[38:39], v[42:43], v[38:39]
	v_add_f64_e32 v[38:39], v[46:47], v[38:39]
	s_delay_alu instid0(VALU_DEP_1) | instskip(SKIP_1) | instid1(VALU_DEP_1)
	v_dual_cndmask_b32 v38, v38, v36, s2 :: v_dual_cndmask_b32 v39, v39, v37, s2
	v_cmp_ngt_f64_e64 s2, 0, v[36:37]
	v_cndmask_b32_e64 v39, 0x7ff80000, v39, s2
	v_cmp_nge_f64_e64 s2, 0, v[36:37]
	s_delay_alu instid0(VALU_DEP_1) | instskip(SKIP_1) | instid1(VALU_DEP_1)
	v_cndmask_b32_e64 v38, 0, v38, s2
	v_cmp_neq_f64_e64 s2, 0, v[36:37]
	v_cndmask_b32_e64 v39, 0xfff00000, v39, s2
	global_store_b64 v[40:41], v[38:39], off
	s_wait_xcnt 0x0
	s_or_b32 exec_lo, exec_lo, s3
	s_and_saveexec_b32 s2, s1
	s_cbranch_execz .LBB189_18
.LBB189_22:                             ;   in Loop: Header=BB189_9 Depth=1
	s_wait_loadcnt 0x0
	v_frexp_mant_f64_e32 v[36:37], v[34:35]
	s_delay_alu instid0(VALU_DEP_1) | instskip(NEXT) | instid1(VALU_DEP_1)
	v_cmp_gt_f64_e64 s1, s[4:5], v[36:37]
	v_cndmask_b32_e64 v38, 0, 1, s1
	s_delay_alu instid0(VALU_DEP_1) | instskip(NEXT) | instid1(VALU_DEP_1)
	v_ldexp_f64 v[36:37], v[36:37], v38
	v_add_f64_e32 v[38:39], 1.0, v[36:37]
	v_add_f64_e32 v[44:45], -1.0, v[36:37]
	s_delay_alu instid0(VALU_DEP_2) | instskip(SKIP_1) | instid1(VALU_DEP_1)
	v_rcp_f64_e32 v[40:41], v[38:39]
	v_add_f64_e32 v[46:47], -1.0, v[38:39]
	v_add_f64_e64 v[36:37], v[36:37], -v[46:47]
	s_delay_alu instid0(TRANS32_DEP_1) | instskip(NEXT) | instid1(VALU_DEP_1)
	v_fma_f64 v[42:43], -v[38:39], v[40:41], 1.0
	v_fmac_f64_e32 v[40:41], v[42:43], v[40:41]
	s_delay_alu instid0(VALU_DEP_1) | instskip(NEXT) | instid1(VALU_DEP_1)
	v_fma_f64 v[42:43], -v[38:39], v[40:41], 1.0
	v_fmac_f64_e32 v[40:41], v[42:43], v[40:41]
	s_delay_alu instid0(VALU_DEP_1) | instskip(NEXT) | instid1(VALU_DEP_1)
	v_mul_f64_e32 v[42:43], v[44:45], v[40:41]
	v_mul_f64_e32 v[48:49], v[38:39], v[42:43]
	s_delay_alu instid0(VALU_DEP_1) | instskip(NEXT) | instid1(VALU_DEP_1)
	v_fma_f64 v[38:39], v[42:43], v[38:39], -v[48:49]
	v_fmac_f64_e32 v[38:39], v[42:43], v[36:37]
	s_delay_alu instid0(VALU_DEP_1) | instskip(NEXT) | instid1(VALU_DEP_1)
	v_add_f64_e32 v[36:37], v[48:49], v[38:39]
	v_add_f64_e64 v[46:47], v[44:45], -v[36:37]
	v_add_f64_e64 v[48:49], v[36:37], -v[48:49]
	s_delay_alu instid0(VALU_DEP_2) | instskip(NEXT) | instid1(VALU_DEP_2)
	v_add_f64_e64 v[44:45], v[44:45], -v[46:47]
	v_add_f64_e64 v[38:39], v[48:49], -v[38:39]
	s_delay_alu instid0(VALU_DEP_2) | instskip(NEXT) | instid1(VALU_DEP_1)
	v_add_f64_e64 v[36:37], v[44:45], -v[36:37]
	v_add_f64_e32 v[36:37], v[38:39], v[36:37]
	s_delay_alu instid0(VALU_DEP_1) | instskip(NEXT) | instid1(VALU_DEP_1)
	v_add_f64_e32 v[36:37], v[46:47], v[36:37]
	v_mul_f64_e32 v[36:37], v[40:41], v[36:37]
	s_delay_alu instid0(VALU_DEP_1) | instskip(NEXT) | instid1(VALU_DEP_1)
	v_add_f64_e32 v[38:39], v[42:43], v[36:37]
	v_mul_f64_e32 v[40:41], v[38:39], v[38:39]
	s_delay_alu instid0(VALU_DEP_1) | instskip(SKIP_1) | instid1(VALU_DEP_2)
	v_fmamk_f64 v[44:45], v[40:41], 0x3fc3ab76bf559e2b, v[6:7]
	v_mul_f64_e32 v[46:47], v[38:39], v[40:41]
	v_fmaak_f64 v[44:45], v[40:41], v[44:45], 0x3fc7474dd7f4df2e
	s_delay_alu instid0(VALU_DEP_1) | instskip(NEXT) | instid1(VALU_DEP_1)
	v_fmaak_f64 v[44:45], v[40:41], v[44:45], 0x3fcc71c016291751
	v_fmaak_f64 v[44:45], v[40:41], v[44:45], 0x3fd249249b27acf1
	s_delay_alu instid0(VALU_DEP_1) | instskip(NEXT) | instid1(VALU_DEP_1)
	v_fmaak_f64 v[44:45], v[40:41], v[44:45], 0x3fd99999998ef7b6
	v_fmaak_f64 v[40:41], v[40:41], v[44:45], 0x3fe5555555555780
	v_ldexp_f64 v[44:45], v[38:39], 1
	v_add_f64_e64 v[38:39], v[38:39], -v[42:43]
	s_delay_alu instid0(VALU_DEP_3) | instskip(NEXT) | instid1(VALU_DEP_2)
	v_mul_f64_e32 v[40:41], v[46:47], v[40:41]
	v_add_f64_e64 v[36:37], v[36:37], -v[38:39]
	s_delay_alu instid0(VALU_DEP_2) | instskip(NEXT) | instid1(VALU_DEP_2)
	v_add_f64_e32 v[42:43], v[44:45], v[40:41]
	v_ldexp_f64 v[36:37], v[36:37], 1
	s_delay_alu instid0(VALU_DEP_2) | instskip(NEXT) | instid1(VALU_DEP_1)
	v_add_f64_e64 v[38:39], v[42:43], -v[44:45]
	v_add_f64_e64 v[38:39], v[40:41], -v[38:39]
	s_delay_alu instid0(VALU_DEP_1) | instskip(NEXT) | instid1(VALU_DEP_1)
	v_add_f64_e32 v[36:37], v[36:37], v[38:39]
	v_add_f64_e32 v[38:39], v[42:43], v[36:37]
	s_delay_alu instid0(VALU_DEP_1) | instskip(SKIP_1) | instid1(VALU_DEP_2)
	v_add_f64_e64 v[40:41], v[38:39], -v[42:43]
	v_mul_f64_e32 v[42:43], 0x3ff71547652b82fe, v[38:39]
	v_add_f64_e64 v[36:37], v[36:37], -v[40:41]
	s_delay_alu instid0(VALU_DEP_2) | instskip(NEXT) | instid1(VALU_DEP_1)
	v_fma_f64 v[40:41], v[38:39], s[6:7], -v[42:43]
	v_fmac_f64_e32 v[40:41], 0x3ff71547652b82fe, v[36:37]
	v_frexp_exp_i32_f64_e32 v36, v[34:35]
	s_delay_alu instid0(VALU_DEP_2) | instskip(NEXT) | instid1(VALU_DEP_2)
	v_fmac_f64_e32 v[40:41], 0x3c7777d0ffda0d24, v[38:39]
	v_subrev_co_ci_u32_e64 v36, null, 0, v36, s1
	v_cmp_class_f64_e64 s1, v[34:35], 0x204
	s_delay_alu instid0(VALU_DEP_2) | instskip(NEXT) | instid1(VALU_DEP_4)
	v_cvt_f64_i32_e32 v[36:37], v36
	v_add_f64_e32 v[38:39], v[42:43], v[40:41]
	s_delay_alu instid0(VALU_DEP_1) | instskip(SKIP_1) | instid1(VALU_DEP_2)
	v_add_f64_e32 v[44:45], v[38:39], v[36:37]
	v_add_f64_e64 v[42:43], v[38:39], -v[42:43]
	v_add_f64_e64 v[46:47], v[44:45], -v[36:37]
	s_delay_alu instid0(VALU_DEP_2) | instskip(NEXT) | instid1(VALU_DEP_2)
	v_add_f64_e64 v[40:41], v[40:41], -v[42:43]
	v_add_f64_e64 v[48:49], v[46:47], -v[44:45]
	v_add_f64_e64 v[38:39], v[38:39], -v[46:47]
	s_delay_alu instid0(VALU_DEP_2) | instskip(NEXT) | instid1(VALU_DEP_1)
	v_add_f64_e32 v[36:37], v[48:49], v[36:37]
	v_add_f64_e32 v[36:37], v[38:39], v[36:37]
	v_add_nc_u64_e32 v[38:39], s[10:11], v[28:29]
	s_delay_alu instid0(VALU_DEP_2) | instskip(NEXT) | instid1(VALU_DEP_1)
	v_add_f64_e32 v[36:37], v[40:41], v[36:37]
	v_add_f64_e32 v[36:37], v[44:45], v[36:37]
	s_delay_alu instid0(VALU_DEP_1) | instskip(SKIP_1) | instid1(VALU_DEP_1)
	v_dual_cndmask_b32 v36, v36, v34, s1 :: v_dual_cndmask_b32 v37, v37, v35, s1
	v_cmp_ngt_f64_e64 s1, 0, v[34:35]
	v_cndmask_b32_e64 v37, 0x7ff80000, v37, s1
	v_cmp_nge_f64_e64 s1, 0, v[34:35]
	s_delay_alu instid0(VALU_DEP_1) | instskip(SKIP_1) | instid1(VALU_DEP_1)
	v_cndmask_b32_e64 v36, 0, v36, s1
	v_cmp_neq_f64_e64 s1, 0, v[34:35]
	v_cndmask_b32_e64 v37, 0xfff00000, v37, s1
	global_store_b64 v[38:39], v[36:37], off
	s_wait_xcnt 0x0
	s_or_b32 exec_lo, exec_lo, s2
	s_and_saveexec_b32 s1, s0
	s_cbranch_execz .LBB189_19
.LBB189_23:                             ;   in Loop: Header=BB189_9 Depth=1
	s_wait_loadcnt 0x0
	v_frexp_mant_f64_e32 v[34:35], v[32:33]
	s_delay_alu instid0(VALU_DEP_1) | instskip(NEXT) | instid1(VALU_DEP_1)
	v_cmp_gt_f64_e64 s0, s[4:5], v[34:35]
	v_cndmask_b32_e64 v36, 0, 1, s0
	s_delay_alu instid0(VALU_DEP_1) | instskip(NEXT) | instid1(VALU_DEP_1)
	v_ldexp_f64 v[34:35], v[34:35], v36
	v_add_f64_e32 v[36:37], 1.0, v[34:35]
	v_add_f64_e32 v[42:43], -1.0, v[34:35]
	s_delay_alu instid0(VALU_DEP_2) | instskip(SKIP_1) | instid1(VALU_DEP_1)
	v_rcp_f64_e32 v[38:39], v[36:37]
	v_add_f64_e32 v[44:45], -1.0, v[36:37]
	v_add_f64_e64 v[34:35], v[34:35], -v[44:45]
	s_delay_alu instid0(TRANS32_DEP_1) | instskip(NEXT) | instid1(VALU_DEP_1)
	v_fma_f64 v[40:41], -v[36:37], v[38:39], 1.0
	v_fmac_f64_e32 v[38:39], v[40:41], v[38:39]
	s_delay_alu instid0(VALU_DEP_1) | instskip(NEXT) | instid1(VALU_DEP_1)
	v_fma_f64 v[40:41], -v[36:37], v[38:39], 1.0
	v_fmac_f64_e32 v[38:39], v[40:41], v[38:39]
	s_delay_alu instid0(VALU_DEP_1) | instskip(NEXT) | instid1(VALU_DEP_1)
	v_mul_f64_e32 v[40:41], v[42:43], v[38:39]
	v_mul_f64_e32 v[46:47], v[36:37], v[40:41]
	s_delay_alu instid0(VALU_DEP_1) | instskip(NEXT) | instid1(VALU_DEP_1)
	v_fma_f64 v[36:37], v[40:41], v[36:37], -v[46:47]
	v_fmac_f64_e32 v[36:37], v[40:41], v[34:35]
	s_delay_alu instid0(VALU_DEP_1) | instskip(NEXT) | instid1(VALU_DEP_1)
	v_add_f64_e32 v[34:35], v[46:47], v[36:37]
	v_add_f64_e64 v[44:45], v[42:43], -v[34:35]
	v_add_f64_e64 v[46:47], v[34:35], -v[46:47]
	s_delay_alu instid0(VALU_DEP_2) | instskip(NEXT) | instid1(VALU_DEP_2)
	v_add_f64_e64 v[42:43], v[42:43], -v[44:45]
	v_add_f64_e64 v[36:37], v[46:47], -v[36:37]
	s_delay_alu instid0(VALU_DEP_2) | instskip(NEXT) | instid1(VALU_DEP_1)
	v_add_f64_e64 v[34:35], v[42:43], -v[34:35]
	v_add_f64_e32 v[34:35], v[36:37], v[34:35]
	s_delay_alu instid0(VALU_DEP_1) | instskip(NEXT) | instid1(VALU_DEP_1)
	v_add_f64_e32 v[34:35], v[44:45], v[34:35]
	v_mul_f64_e32 v[34:35], v[38:39], v[34:35]
	s_delay_alu instid0(VALU_DEP_1) | instskip(NEXT) | instid1(VALU_DEP_1)
	v_add_f64_e32 v[36:37], v[40:41], v[34:35]
	v_mul_f64_e32 v[38:39], v[36:37], v[36:37]
	s_delay_alu instid0(VALU_DEP_1) | instskip(SKIP_1) | instid1(VALU_DEP_2)
	v_fmamk_f64 v[42:43], v[38:39], 0x3fc3ab76bf559e2b, v[6:7]
	v_mul_f64_e32 v[44:45], v[36:37], v[38:39]
	v_fmaak_f64 v[42:43], v[38:39], v[42:43], 0x3fc7474dd7f4df2e
	s_delay_alu instid0(VALU_DEP_1) | instskip(NEXT) | instid1(VALU_DEP_1)
	v_fmaak_f64 v[42:43], v[38:39], v[42:43], 0x3fcc71c016291751
	v_fmaak_f64 v[42:43], v[38:39], v[42:43], 0x3fd249249b27acf1
	s_delay_alu instid0(VALU_DEP_1) | instskip(NEXT) | instid1(VALU_DEP_1)
	v_fmaak_f64 v[42:43], v[38:39], v[42:43], 0x3fd99999998ef7b6
	v_fmaak_f64 v[38:39], v[38:39], v[42:43], 0x3fe5555555555780
	v_ldexp_f64 v[42:43], v[36:37], 1
	v_add_f64_e64 v[36:37], v[36:37], -v[40:41]
	s_delay_alu instid0(VALU_DEP_3) | instskip(NEXT) | instid1(VALU_DEP_2)
	v_mul_f64_e32 v[38:39], v[44:45], v[38:39]
	v_add_f64_e64 v[34:35], v[34:35], -v[36:37]
	s_delay_alu instid0(VALU_DEP_2) | instskip(NEXT) | instid1(VALU_DEP_2)
	v_add_f64_e32 v[40:41], v[42:43], v[38:39]
	v_ldexp_f64 v[34:35], v[34:35], 1
	s_delay_alu instid0(VALU_DEP_2) | instskip(NEXT) | instid1(VALU_DEP_1)
	v_add_f64_e64 v[36:37], v[40:41], -v[42:43]
	v_add_f64_e64 v[36:37], v[38:39], -v[36:37]
	s_delay_alu instid0(VALU_DEP_1) | instskip(NEXT) | instid1(VALU_DEP_1)
	v_add_f64_e32 v[34:35], v[34:35], v[36:37]
	v_add_f64_e32 v[36:37], v[40:41], v[34:35]
	s_delay_alu instid0(VALU_DEP_1) | instskip(SKIP_1) | instid1(VALU_DEP_2)
	v_add_f64_e64 v[38:39], v[36:37], -v[40:41]
	v_mul_f64_e32 v[40:41], 0x3ff71547652b82fe, v[36:37]
	v_add_f64_e64 v[34:35], v[34:35], -v[38:39]
	s_delay_alu instid0(VALU_DEP_2) | instskip(NEXT) | instid1(VALU_DEP_1)
	v_fma_f64 v[38:39], v[36:37], s[6:7], -v[40:41]
	v_fmac_f64_e32 v[38:39], 0x3ff71547652b82fe, v[34:35]
	v_frexp_exp_i32_f64_e32 v34, v[32:33]
	s_delay_alu instid0(VALU_DEP_2) | instskip(NEXT) | instid1(VALU_DEP_2)
	v_fmac_f64_e32 v[38:39], 0x3c7777d0ffda0d24, v[36:37]
	v_subrev_co_ci_u32_e64 v34, null, 0, v34, s0
	v_cmp_class_f64_e64 s0, v[32:33], 0x204
	s_delay_alu instid0(VALU_DEP_2) | instskip(NEXT) | instid1(VALU_DEP_4)
	v_cvt_f64_i32_e32 v[34:35], v34
	v_add_f64_e32 v[36:37], v[40:41], v[38:39]
	s_delay_alu instid0(VALU_DEP_1) | instskip(SKIP_1) | instid1(VALU_DEP_2)
	v_add_f64_e32 v[42:43], v[36:37], v[34:35]
	v_add_f64_e64 v[40:41], v[36:37], -v[40:41]
	v_add_f64_e64 v[44:45], v[42:43], -v[34:35]
	s_delay_alu instid0(VALU_DEP_2) | instskip(NEXT) | instid1(VALU_DEP_2)
	v_add_f64_e64 v[38:39], v[38:39], -v[40:41]
	v_add_f64_e64 v[46:47], v[44:45], -v[42:43]
	;; [unrolled: 1-line block ×3, first 2 shown]
	s_delay_alu instid0(VALU_DEP_2) | instskip(NEXT) | instid1(VALU_DEP_1)
	v_add_f64_e32 v[34:35], v[46:47], v[34:35]
	v_add_f64_e32 v[34:35], v[36:37], v[34:35]
	v_add_nc_u64_e32 v[36:37], s[10:11], v[20:21]
	s_delay_alu instid0(VALU_DEP_2) | instskip(NEXT) | instid1(VALU_DEP_1)
	v_add_f64_e32 v[34:35], v[38:39], v[34:35]
	v_add_f64_e32 v[34:35], v[42:43], v[34:35]
	s_delay_alu instid0(VALU_DEP_1) | instskip(SKIP_1) | instid1(VALU_DEP_1)
	v_dual_cndmask_b32 v34, v34, v32, s0 :: v_dual_cndmask_b32 v35, v35, v33, s0
	v_cmp_ngt_f64_e64 s0, 0, v[32:33]
	v_cndmask_b32_e64 v35, 0x7ff80000, v35, s0
	v_cmp_nge_f64_e64 s0, 0, v[32:33]
	s_delay_alu instid0(VALU_DEP_1) | instskip(SKIP_1) | instid1(VALU_DEP_1)
	v_cndmask_b32_e64 v34, 0, v34, s0
	v_cmp_neq_f64_e64 s0, 0, v[32:33]
	v_cndmask_b32_e64 v35, 0xfff00000, v35, s0
	global_store_b64 v[36:37], v[34:35], off
	s_wait_xcnt 0x0
	s_or_b32 exec_lo, exec_lo, s1
	s_and_saveexec_b32 s0, vcc_lo
	s_cbranch_execz .LBB189_8
.LBB189_24:                             ;   in Loop: Header=BB189_9 Depth=1
	s_wait_loadcnt 0x0
	v_frexp_mant_f64_e32 v[32:33], v[30:31]
	s_delay_alu instid0(VALU_DEP_1) | instskip(SKIP_1) | instid1(VALU_DEP_1)
	v_cmp_gt_f64_e32 vcc_lo, s[4:5], v[32:33]
	v_cndmask_b32_e64 v34, 0, 1, vcc_lo
	v_ldexp_f64 v[32:33], v[32:33], v34
	s_delay_alu instid0(VALU_DEP_1) | instskip(SKIP_1) | instid1(VALU_DEP_2)
	v_add_f64_e32 v[34:35], 1.0, v[32:33]
	v_add_f64_e32 v[40:41], -1.0, v[32:33]
	v_rcp_f64_e32 v[36:37], v[34:35]
	v_add_f64_e32 v[42:43], -1.0, v[34:35]
	s_delay_alu instid0(VALU_DEP_1) | instskip(NEXT) | instid1(TRANS32_DEP_1)
	v_add_f64_e64 v[32:33], v[32:33], -v[42:43]
	v_fma_f64 v[38:39], -v[34:35], v[36:37], 1.0
	s_delay_alu instid0(VALU_DEP_1) | instskip(NEXT) | instid1(VALU_DEP_1)
	v_fmac_f64_e32 v[36:37], v[38:39], v[36:37]
	v_fma_f64 v[38:39], -v[34:35], v[36:37], 1.0
	s_delay_alu instid0(VALU_DEP_1) | instskip(NEXT) | instid1(VALU_DEP_1)
	v_fmac_f64_e32 v[36:37], v[38:39], v[36:37]
	v_mul_f64_e32 v[38:39], v[40:41], v[36:37]
	s_delay_alu instid0(VALU_DEP_1) | instskip(NEXT) | instid1(VALU_DEP_1)
	v_mul_f64_e32 v[44:45], v[34:35], v[38:39]
	v_fma_f64 v[34:35], v[38:39], v[34:35], -v[44:45]
	s_delay_alu instid0(VALU_DEP_1) | instskip(NEXT) | instid1(VALU_DEP_1)
	v_fmac_f64_e32 v[34:35], v[38:39], v[32:33]
	v_add_f64_e32 v[32:33], v[44:45], v[34:35]
	s_delay_alu instid0(VALU_DEP_1) | instskip(SKIP_1) | instid1(VALU_DEP_2)
	v_add_f64_e64 v[42:43], v[40:41], -v[32:33]
	v_add_f64_e64 v[44:45], v[32:33], -v[44:45]
	;; [unrolled: 1-line block ×3, first 2 shown]
	s_delay_alu instid0(VALU_DEP_2) | instskip(NEXT) | instid1(VALU_DEP_2)
	v_add_f64_e64 v[34:35], v[44:45], -v[34:35]
	v_add_f64_e64 v[32:33], v[40:41], -v[32:33]
	s_delay_alu instid0(VALU_DEP_1) | instskip(NEXT) | instid1(VALU_DEP_1)
	v_add_f64_e32 v[32:33], v[34:35], v[32:33]
	v_add_f64_e32 v[32:33], v[42:43], v[32:33]
	s_delay_alu instid0(VALU_DEP_1) | instskip(NEXT) | instid1(VALU_DEP_1)
	v_mul_f64_e32 v[32:33], v[36:37], v[32:33]
	v_add_f64_e32 v[34:35], v[38:39], v[32:33]
	s_delay_alu instid0(VALU_DEP_1) | instskip(NEXT) | instid1(VALU_DEP_1)
	v_mul_f64_e32 v[36:37], v[34:35], v[34:35]
	v_fmamk_f64 v[40:41], v[36:37], 0x3fc3ab76bf559e2b, v[6:7]
	v_mul_f64_e32 v[42:43], v[34:35], v[36:37]
	s_delay_alu instid0(VALU_DEP_2) | instskip(NEXT) | instid1(VALU_DEP_1)
	v_fmaak_f64 v[40:41], v[36:37], v[40:41], 0x3fc7474dd7f4df2e
	v_fmaak_f64 v[40:41], v[36:37], v[40:41], 0x3fcc71c016291751
	s_delay_alu instid0(VALU_DEP_1) | instskip(NEXT) | instid1(VALU_DEP_1)
	v_fmaak_f64 v[40:41], v[36:37], v[40:41], 0x3fd249249b27acf1
	v_fmaak_f64 v[40:41], v[36:37], v[40:41], 0x3fd99999998ef7b6
	s_delay_alu instid0(VALU_DEP_1) | instskip(SKIP_2) | instid1(VALU_DEP_3)
	v_fmaak_f64 v[36:37], v[36:37], v[40:41], 0x3fe5555555555780
	v_ldexp_f64 v[40:41], v[34:35], 1
	v_add_f64_e64 v[34:35], v[34:35], -v[38:39]
	v_mul_f64_e32 v[36:37], v[42:43], v[36:37]
	s_delay_alu instid0(VALU_DEP_2) | instskip(NEXT) | instid1(VALU_DEP_2)
	v_add_f64_e64 v[32:33], v[32:33], -v[34:35]
	v_add_f64_e32 v[38:39], v[40:41], v[36:37]
	s_delay_alu instid0(VALU_DEP_2) | instskip(NEXT) | instid1(VALU_DEP_2)
	v_ldexp_f64 v[32:33], v[32:33], 1
	v_add_f64_e64 v[34:35], v[38:39], -v[40:41]
	s_delay_alu instid0(VALU_DEP_1) | instskip(NEXT) | instid1(VALU_DEP_1)
	v_add_f64_e64 v[34:35], v[36:37], -v[34:35]
	v_add_f64_e32 v[32:33], v[32:33], v[34:35]
	s_delay_alu instid0(VALU_DEP_1) | instskip(NEXT) | instid1(VALU_DEP_1)
	v_add_f64_e32 v[34:35], v[38:39], v[32:33]
	v_add_f64_e64 v[36:37], v[34:35], -v[38:39]
	v_mul_f64_e32 v[38:39], 0x3ff71547652b82fe, v[34:35]
	s_delay_alu instid0(VALU_DEP_2) | instskip(NEXT) | instid1(VALU_DEP_2)
	v_add_f64_e64 v[32:33], v[32:33], -v[36:37]
	v_fma_f64 v[36:37], v[34:35], s[6:7], -v[38:39]
	s_delay_alu instid0(VALU_DEP_1) | instskip(SKIP_1) | instid1(VALU_DEP_2)
	v_fmac_f64_e32 v[36:37], 0x3ff71547652b82fe, v[32:33]
	v_frexp_exp_i32_f64_e32 v32, v[30:31]
	v_fmac_f64_e32 v[36:37], 0x3c7777d0ffda0d24, v[34:35]
	s_delay_alu instid0(VALU_DEP_2) | instskip(SKIP_1) | instid1(VALU_DEP_2)
	v_subrev_co_ci_u32_e64 v32, null, 0, v32, vcc_lo
	v_cmp_class_f64_e64 vcc_lo, v[30:31], 0x204
	v_cvt_f64_i32_e32 v[32:33], v32
	s_delay_alu instid0(VALU_DEP_4) | instskip(NEXT) | instid1(VALU_DEP_1)
	v_add_f64_e32 v[34:35], v[38:39], v[36:37]
	v_add_f64_e32 v[40:41], v[34:35], v[32:33]
	v_add_f64_e64 v[38:39], v[34:35], -v[38:39]
	s_delay_alu instid0(VALU_DEP_2) | instskip(NEXT) | instid1(VALU_DEP_2)
	v_add_f64_e64 v[42:43], v[40:41], -v[32:33]
	v_add_f64_e64 v[36:37], v[36:37], -v[38:39]
	s_delay_alu instid0(VALU_DEP_2) | instskip(SKIP_1) | instid1(VALU_DEP_2)
	v_add_f64_e64 v[44:45], v[42:43], -v[40:41]
	v_add_f64_e64 v[34:35], v[34:35], -v[42:43]
	v_add_f64_e32 v[32:33], v[44:45], v[32:33]
	s_delay_alu instid0(VALU_DEP_1) | instskip(SKIP_1) | instid1(VALU_DEP_2)
	v_add_f64_e32 v[32:33], v[34:35], v[32:33]
	v_add_nc_u64_e32 v[34:35], s[10:11], v[24:25]
	v_add_f64_e32 v[32:33], v[36:37], v[32:33]
	s_delay_alu instid0(VALU_DEP_1) | instskip(NEXT) | instid1(VALU_DEP_1)
	v_add_f64_e32 v[32:33], v[40:41], v[32:33]
	v_dual_cndmask_b32 v32, v32, v30 :: v_dual_cndmask_b32 v33, v33, v31
	v_cmp_ngt_f64_e32 vcc_lo, 0, v[30:31]
	s_delay_alu instid0(VALU_DEP_2) | instskip(SKIP_1) | instid1(VALU_DEP_4)
	v_cndmask_b32_e32 v33, 0x7ff80000, v33, vcc_lo
	v_cmp_nge_f64_e32 vcc_lo, 0, v[30:31]
	v_cndmask_b32_e32 v32, 0, v32, vcc_lo
	v_cmp_neq_f64_e32 vcc_lo, 0, v[30:31]
	s_delay_alu instid0(VALU_DEP_4)
	v_cndmask_b32_e32 v33, 0xfff00000, v33, vcc_lo
	global_store_b64 v[34:35], v[32:33], off
	s_branch .LBB189_8
.LBB189_25:
	s_endpgm
	.section	.rodata,"a",@progbits
	.p2align	6, 0x0
	.amdhsa_kernel _ZN2at6native12_GLOBAL__N_125multi_tensor_apply_kernelINS1_18TensorListMetadataILi2EEENS1_14UnaryOpFunctorIdLi2ELi1ELi1EEEJNS0_4Log2IdEEEEEvT_T0_DpT1_
		.amdhsa_group_segment_fixed_size 0
		.amdhsa_private_segment_fixed_size 0
		.amdhsa_kernarg_size 3408
		.amdhsa_user_sgpr_count 2
		.amdhsa_user_sgpr_dispatch_ptr 0
		.amdhsa_user_sgpr_queue_ptr 0
		.amdhsa_user_sgpr_kernarg_segment_ptr 1
		.amdhsa_user_sgpr_dispatch_id 0
		.amdhsa_user_sgpr_kernarg_preload_length 0
		.amdhsa_user_sgpr_kernarg_preload_offset 0
		.amdhsa_user_sgpr_private_segment_size 0
		.amdhsa_wavefront_size32 1
		.amdhsa_uses_dynamic_stack 0
		.amdhsa_enable_private_segment 0
		.amdhsa_system_sgpr_workgroup_id_x 1
		.amdhsa_system_sgpr_workgroup_id_y 0
		.amdhsa_system_sgpr_workgroup_id_z 0
		.amdhsa_system_sgpr_workgroup_info 0
		.amdhsa_system_vgpr_workitem_id 0
		.amdhsa_next_free_vgpr 63
		.amdhsa_next_free_sgpr 28
		.amdhsa_named_barrier_count 0
		.amdhsa_reserve_vcc 1
		.amdhsa_float_round_mode_32 0
		.amdhsa_float_round_mode_16_64 0
		.amdhsa_float_denorm_mode_32 3
		.amdhsa_float_denorm_mode_16_64 3
		.amdhsa_fp16_overflow 0
		.amdhsa_memory_ordered 1
		.amdhsa_forward_progress 1
		.amdhsa_inst_pref_size 47
		.amdhsa_round_robin_scheduling 0
		.amdhsa_exception_fp_ieee_invalid_op 0
		.amdhsa_exception_fp_denorm_src 0
		.amdhsa_exception_fp_ieee_div_zero 0
		.amdhsa_exception_fp_ieee_overflow 0
		.amdhsa_exception_fp_ieee_underflow 0
		.amdhsa_exception_fp_ieee_inexact 0
		.amdhsa_exception_int_div_zero 0
	.end_amdhsa_kernel
	.section	.text._ZN2at6native12_GLOBAL__N_125multi_tensor_apply_kernelINS1_18TensorListMetadataILi2EEENS1_14UnaryOpFunctorIdLi2ELi1ELi1EEEJNS0_4Log2IdEEEEEvT_T0_DpT1_,"axG",@progbits,_ZN2at6native12_GLOBAL__N_125multi_tensor_apply_kernelINS1_18TensorListMetadataILi2EEENS1_14UnaryOpFunctorIdLi2ELi1ELi1EEEJNS0_4Log2IdEEEEEvT_T0_DpT1_,comdat
.Lfunc_end189:
	.size	_ZN2at6native12_GLOBAL__N_125multi_tensor_apply_kernelINS1_18TensorListMetadataILi2EEENS1_14UnaryOpFunctorIdLi2ELi1ELi1EEEJNS0_4Log2IdEEEEEvT_T0_DpT1_, .Lfunc_end189-_ZN2at6native12_GLOBAL__N_125multi_tensor_apply_kernelINS1_18TensorListMetadataILi2EEENS1_14UnaryOpFunctorIdLi2ELi1ELi1EEEJNS0_4Log2IdEEEEEvT_T0_DpT1_
                                        ; -- End function
	.set _ZN2at6native12_GLOBAL__N_125multi_tensor_apply_kernelINS1_18TensorListMetadataILi2EEENS1_14UnaryOpFunctorIdLi2ELi1ELi1EEEJNS0_4Log2IdEEEEEvT_T0_DpT1_.num_vgpr, 63
	.set _ZN2at6native12_GLOBAL__N_125multi_tensor_apply_kernelINS1_18TensorListMetadataILi2EEENS1_14UnaryOpFunctorIdLi2ELi1ELi1EEEJNS0_4Log2IdEEEEEvT_T0_DpT1_.num_agpr, 0
	.set _ZN2at6native12_GLOBAL__N_125multi_tensor_apply_kernelINS1_18TensorListMetadataILi2EEENS1_14UnaryOpFunctorIdLi2ELi1ELi1EEEJNS0_4Log2IdEEEEEvT_T0_DpT1_.numbered_sgpr, 28
	.set _ZN2at6native12_GLOBAL__N_125multi_tensor_apply_kernelINS1_18TensorListMetadataILi2EEENS1_14UnaryOpFunctorIdLi2ELi1ELi1EEEJNS0_4Log2IdEEEEEvT_T0_DpT1_.num_named_barrier, 0
	.set _ZN2at6native12_GLOBAL__N_125multi_tensor_apply_kernelINS1_18TensorListMetadataILi2EEENS1_14UnaryOpFunctorIdLi2ELi1ELi1EEEJNS0_4Log2IdEEEEEvT_T0_DpT1_.private_seg_size, 0
	.set _ZN2at6native12_GLOBAL__N_125multi_tensor_apply_kernelINS1_18TensorListMetadataILi2EEENS1_14UnaryOpFunctorIdLi2ELi1ELi1EEEJNS0_4Log2IdEEEEEvT_T0_DpT1_.uses_vcc, 1
	.set _ZN2at6native12_GLOBAL__N_125multi_tensor_apply_kernelINS1_18TensorListMetadataILi2EEENS1_14UnaryOpFunctorIdLi2ELi1ELi1EEEJNS0_4Log2IdEEEEEvT_T0_DpT1_.uses_flat_scratch, 0
	.set _ZN2at6native12_GLOBAL__N_125multi_tensor_apply_kernelINS1_18TensorListMetadataILi2EEENS1_14UnaryOpFunctorIdLi2ELi1ELi1EEEJNS0_4Log2IdEEEEEvT_T0_DpT1_.has_dyn_sized_stack, 0
	.set _ZN2at6native12_GLOBAL__N_125multi_tensor_apply_kernelINS1_18TensorListMetadataILi2EEENS1_14UnaryOpFunctorIdLi2ELi1ELi1EEEJNS0_4Log2IdEEEEEvT_T0_DpT1_.has_recursion, 0
	.set _ZN2at6native12_GLOBAL__N_125multi_tensor_apply_kernelINS1_18TensorListMetadataILi2EEENS1_14UnaryOpFunctorIdLi2ELi1ELi1EEEJNS0_4Log2IdEEEEEvT_T0_DpT1_.has_indirect_call, 0
	.section	.AMDGPU.csdata,"",@progbits
; Kernel info:
; codeLenInByte = 5940
; TotalNumSgprs: 30
; NumVgprs: 63
; ScratchSize: 0
; MemoryBound: 0
; FloatMode: 240
; IeeeMode: 1
; LDSByteSize: 0 bytes/workgroup (compile time only)
; SGPRBlocks: 0
; VGPRBlocks: 3
; NumSGPRsForWavesPerEU: 30
; NumVGPRsForWavesPerEU: 63
; NamedBarCnt: 0
; Occupancy: 16
; WaveLimiterHint : 0
; COMPUTE_PGM_RSRC2:SCRATCH_EN: 0
; COMPUTE_PGM_RSRC2:USER_SGPR: 2
; COMPUTE_PGM_RSRC2:TRAP_HANDLER: 0
; COMPUTE_PGM_RSRC2:TGID_X_EN: 1
; COMPUTE_PGM_RSRC2:TGID_Y_EN: 0
; COMPUTE_PGM_RSRC2:TGID_Z_EN: 0
; COMPUTE_PGM_RSRC2:TIDIG_COMP_CNT: 0
	.section	.text._ZN2at6native12_GLOBAL__N_125multi_tensor_apply_kernelINS1_18TensorListMetadataILi2EEENS1_14UnaryOpFunctorIfLi2ELi1ELi1EEEJNS0_4Log2IfEEEEEvT_T0_DpT1_,"axG",@progbits,_ZN2at6native12_GLOBAL__N_125multi_tensor_apply_kernelINS1_18TensorListMetadataILi2EEENS1_14UnaryOpFunctorIfLi2ELi1ELi1EEEJNS0_4Log2IfEEEEEvT_T0_DpT1_,comdat
	.globl	_ZN2at6native12_GLOBAL__N_125multi_tensor_apply_kernelINS1_18TensorListMetadataILi2EEENS1_14UnaryOpFunctorIfLi2ELi1ELi1EEEJNS0_4Log2IfEEEEEvT_T0_DpT1_ ; -- Begin function _ZN2at6native12_GLOBAL__N_125multi_tensor_apply_kernelINS1_18TensorListMetadataILi2EEENS1_14UnaryOpFunctorIfLi2ELi1ELi1EEEJNS0_4Log2IfEEEEEvT_T0_DpT1_
	.p2align	8
	.type	_ZN2at6native12_GLOBAL__N_125multi_tensor_apply_kernelINS1_18TensorListMetadataILi2EEENS1_14UnaryOpFunctorIfLi2ELi1ELi1EEEJNS0_4Log2IfEEEEEvT_T0_DpT1_,@function
_ZN2at6native12_GLOBAL__N_125multi_tensor_apply_kernelINS1_18TensorListMetadataILi2EEENS1_14UnaryOpFunctorIfLi2ELi1ELi1EEEJNS0_4Log2IfEEEEEvT_T0_DpT1_: ; @_ZN2at6native12_GLOBAL__N_125multi_tensor_apply_kernelINS1_18TensorListMetadataILi2EEENS1_14UnaryOpFunctorIfLi2ELi1ELi1EEEJNS0_4Log2IfEEEEEvT_T0_DpT1_
; %bb.0:
	s_bfe_u32 s2, ttmp6, 0x4000c
	s_and_b32 s3, ttmp6, 15
	s_add_co_i32 s2, s2, 1
	s_getreg_b32 s4, hwreg(HW_REG_IB_STS2, 6, 4)
	s_mul_i32 s2, ttmp9, s2
	s_delay_alu instid0(SALU_CYCLE_1)
	s_add_co_i32 s3, s3, s2
	s_cmp_eq_u32 s4, 0
	s_cselect_b32 s2, ttmp9, s3
	s_mov_b32 s3, 0
	s_load_u8 s13, s[0:1], s2 offset:0x600
	s_add_nc_u64 s[4:5], s[0:1], s[2:3]
	s_mul_u64 s[6:7], s[2:3], 3
	s_delay_alu instid0(SALU_CYCLE_1)
	s_add_nc_u64 s[4:5], s[4:5], s[6:7]
	s_load_b32 s12, s[4:5], 0x740
	s_wait_kmcnt 0x0
	s_clause 0x2
	s_load_b64 s[8:9], s[0:1], s13 offset:0x0 scale_offset
	s_load_b64 s[10:11], s[0:1], s13 offset:0x200 scale_offset
	;; [unrolled: 1-line block ×3, first 2 shown]
	s_mov_b32 s5, s3
	s_wait_xcnt 0x0
	s_ashr_i32 s13, s12, 31
	s_delay_alu instid0(SALU_CYCLE_1)
	s_lshl_b64 s[6:7], s[12:13], 18
	s_wait_kmcnt 0x0
	s_and_b64 s[18:19], s[10:11], 15
	s_add_nc_u64 s[16:17], s[8:9], s[6:7]
	s_and_b32 s4, s14, 3
	s_and_b32 s2, s16, 15
	s_or_b64 s[4:5], s[18:19], s[4:5]
	s_lshl_b64 s[12:13], s[12:13], 16
	s_or_b64 s[2:3], s[4:5], s[2:3]
	s_sub_nc_u64 s[12:13], s[14:15], s[12:13]
	s_cmp_eq_u64 s[2:3], 0
	s_mov_b32 s2, -1
	s_cbranch_scc0 .LBB190_5
; %bb.1:
	v_min_i64 v[2:3], 0x10000, s[12:13]
	v_dual_mov_b32 v5, 0 :: v_dual_lshlrev_b32 v4, 2, v0
	s_mov_b32 s5, exec_lo
	s_delay_alu instid0(VALU_DEP_1)
	v_cmpx_lt_i64_e64 v[4:5], v[2:3]
	s_cbranch_execz .LBB190_4
; %bb.2:
	s_load_b32 s2, s[0:1], 0xc5c
	v_dual_mov_b32 v1, v5 :: v_dual_lshlrev_b32 v4, 4, v0
	s_mov_b32 s15, 0
	s_delay_alu instid0(SALU_CYCLE_1) | instskip(NEXT) | instid1(VALU_DEP_1)
	s_mov_b32 s17, s15
	v_add_nc_u64_e32 v[4:5], s[6:7], v[4:5]
	s_delay_alu instid0(VALU_DEP_2) | instskip(SKIP_3) | instid1(SALU_CYCLE_1)
	v_mov_b64_e32 v[6:7], v[0:1]
	s_mov_b32 s18, s15
	s_wait_kmcnt 0x0
	s_and_b32 s14, s2, 0xffff
	s_lshl_b32 s16, s14, 4
.LBB190_3:                              ; =>This Inner Loop Header: Depth=1
	s_delay_alu instid0(VALU_DEP_2) | instskip(NEXT) | instid1(VALU_DEP_2)
	v_add_nc_u64_e32 v[8:9], s[8:9], v[4:5]
	v_add_nc_u64_e32 v[6:7], s[14:15], v[6:7]
	;; [unrolled: 1-line block ×4, first 2 shown]
	global_load_b128 v[8:11], v[8:9], off
	v_lshlrev_b64_e32 v[14:15], 2, v[6:7]
	s_wait_loadcnt 0x0
	v_cmp_gt_f32_e32 vcc_lo, 0x800000, v8
	v_cmp_gt_f32_e64 s2, 0x800000, v9
	v_cmp_gt_f32_e64 s3, 0x800000, v10
	;; [unrolled: 1-line block ×3, first 2 shown]
	v_cndmask_b32_e64 v1, 0, 32, vcc_lo
	s_delay_alu instid0(VALU_DEP_4) | instskip(NEXT) | instid1(VALU_DEP_4)
	v_cndmask_b32_e64 v16, 0, 32, s2
	v_cndmask_b32_e64 v17, 0, 32, s3
	s_delay_alu instid0(VALU_DEP_4) | instskip(NEXT) | instid1(VALU_DEP_4)
	v_cndmask_b32_e64 v18, 0, 32, s4
	v_ldexp_f32 v1, v8, v1
	s_wait_xcnt 0x0
	v_ldexp_f32 v9, v9, v16
	v_ldexp_f32 v10, v10, v17
	;; [unrolled: 1-line block ×3, first 2 shown]
	v_cndmask_b32_e64 v8, 0, 0x42000000, vcc_lo
	v_log_f32_e32 v1, v1
	v_log_f32_e32 v9, v9
	;; [unrolled: 1-line block ×4, first 2 shown]
	v_cndmask_b32_e64 v16, 0, 0x42000000, s2
	v_cndmask_b32_e64 v17, 0, 0x42000000, s3
	;; [unrolled: 1-line block ×3, first 2 shown]
	v_cmp_ge_i64_e32 vcc_lo, v[14:15], v[2:3]
	v_sub_f32_e32 v8, v1, v8
	s_delay_alu instid0(VALU_DEP_4) | instskip(NEXT) | instid1(VALU_DEP_4)
	v_dual_sub_f32 v9, v9, v16 :: v_dual_sub_f32 v10, v10, v17
	v_sub_f32_e32 v11, v11, v18
	s_or_b32 s18, vcc_lo, s18
	global_store_b128 v[12:13], v[8:11], off
	s_wait_xcnt 0x0
	s_and_not1_b32 exec_lo, exec_lo, s18
	s_cbranch_execnz .LBB190_3
.LBB190_4:
	s_or_b32 exec_lo, exec_lo, s5
	s_mov_b32 s2, 0
.LBB190_5:
	s_delay_alu instid0(SALU_CYCLE_1)
	s_and_not1_b32 vcc_lo, exec_lo, s2
	s_cbranch_vccnz .LBB190_25
; %bb.6:
	v_cmp_lt_i64_e64 s2, s[12:13], 1
	s_and_b32 vcc_lo, exec_lo, s2
	s_cbranch_vccnz .LBB190_25
; %bb.7:
	s_load_b32 s0, s[0:1], 0xc5c
	v_min_i64 v[2:3], 0x10000, s[12:13]
	v_min_u64 v[4:5], 0x10000, s[12:13]
	v_dual_mov_b32 v1, 0 :: v_dual_lshlrev_b32 v10, 2, v0
	s_wait_xcnt 0x0
	s_mov_b32 s1, 0
	s_delay_alu instid0(SALU_CYCLE_1) | instskip(NEXT) | instid1(VALU_DEP_1)
	s_mov_b32 s13, s1
	v_dual_mov_b32 v11, v1 :: v_dual_mov_b32 v27, v1
	s_mov_b32 s3, s1
	s_mov_b32 s5, s1
	s_delay_alu instid0(VALU_DEP_1) | instskip(SKIP_2) | instid1(SALU_CYCLE_1)
	v_add_nc_u64_e32 v[6:7], s[8:9], v[10:11]
	s_wait_kmcnt 0x0
	s_and_b32 s0, s0, 0xffff
	v_add_nc_u64_e32 v[8:9], s[0:1], v[0:1]
	v_mad_nc_u64_u32 v[22:23], s0, 12, v[10:11]
	s_lshl_b32 s12, s0, 3
	s_mul_i32 s4, s0, 3
	v_add_nc_u64_e32 v[18:19], s[12:13], v[10:11]
	s_lshl_b32 s2, s0, 1
	v_add_nc_u64_e32 v[10:11], s[10:11], v[10:11]
	v_lshlrev_b32_e32 v26, 2, v8
	v_add_nc_u64_e32 v[12:13], s[4:5], v[0:1]
	v_add_nc_u64_e32 v[14:15], s[2:3], v[0:1]
	s_lshl_b32 s4, s0, 2
	v_add_nc_u64_e32 v[16:17], s[8:9], v[18:19]
	v_add_nc_u64_e32 v[18:19], s[10:11], v[18:19]
	;; [unrolled: 1-line block ×6, first 2 shown]
	s_lshl_b32 s8, s0, 4
	s_mov_b32 s9, s1
	s_mov_b64 s[10:11], 0
	s_branch .LBB190_9
.LBB190_8:                              ;   in Loop: Header=BB190_9 Depth=1
	s_wait_xcnt 0x0
	s_or_b32 exec_lo, exec_lo, s0
	s_add_nc_u64 s[10:11], s[10:11], s[4:5]
	v_add_nc_u64_e32 v[6:7], s[8:9], v[6:7]
	v_cmp_ge_i64_e32 vcc_lo, s[10:11], v[2:3]
	v_add_nc_u64_e32 v[10:11], s[8:9], v[10:11]
	v_add_nc_u64_e32 v[20:21], s[8:9], v[20:21]
	;; [unrolled: 1-line block ×7, first 2 shown]
	s_cbranch_vccnz .LBB190_25
.LBB190_9:                              ; =>This Inner Loop Header: Depth=1
	s_wait_loadcnt 0x0
	v_add_nc_u64_e32 v[28:29], s[10:11], v[0:1]
	v_mov_b32_e32 v30, 0
	s_delay_alu instid0(VALU_DEP_2)
	v_cmp_lt_u64_e64 s2, v[28:29], v[4:5]
	s_and_saveexec_b32 s0, s2
	s_cbranch_execz .LBB190_11
; %bb.10:                               ;   in Loop: Header=BB190_9 Depth=1
	v_add_nc_u64_e32 v[28:29], s[6:7], v[6:7]
	global_load_b32 v30, v[28:29], off
.LBB190_11:                             ;   in Loop: Header=BB190_9 Depth=1
	s_wait_xcnt 0x0
	s_or_b32 exec_lo, exec_lo, s0
	v_add_nc_u64_e32 v[28:29], s[10:11], v[8:9]
	v_mov_b32_e32 v31, 0
	s_delay_alu instid0(VALU_DEP_2)
	v_cmp_lt_u64_e64 s1, v[28:29], v[4:5]
	v_mov_b32_e32 v28, 0
	s_and_saveexec_b32 s0, s1
	s_cbranch_execz .LBB190_13
; %bb.12:                               ;   in Loop: Header=BB190_9 Depth=1
	v_add_nc_u64_e32 v[32:33], s[6:7], v[24:25]
	global_load_b32 v31, v[32:33], off
.LBB190_13:                             ;   in Loop: Header=BB190_9 Depth=1
	s_wait_xcnt 0x0
	s_or_b32 exec_lo, exec_lo, s0
	v_add_nc_u64_e32 v[32:33], s[10:11], v[14:15]
	s_delay_alu instid0(VALU_DEP_1)
	v_cmp_lt_u64_e64 s0, v[32:33], v[4:5]
	s_and_saveexec_b32 s3, s0
	s_cbranch_execz .LBB190_15
; %bb.14:                               ;   in Loop: Header=BB190_9 Depth=1
	v_add_nc_u64_e32 v[28:29], s[6:7], v[16:17]
	global_load_b32 v28, v[28:29], off
.LBB190_15:                             ;   in Loop: Header=BB190_9 Depth=1
	s_wait_xcnt 0x0
	s_or_b32 exec_lo, exec_lo, s3
	v_add_nc_u64_e32 v[32:33], s[10:11], v[12:13]
	v_mov_b32_e32 v29, 0
	s_delay_alu instid0(VALU_DEP_2)
	v_cmp_lt_u64_e32 vcc_lo, v[32:33], v[4:5]
	s_and_saveexec_b32 s3, vcc_lo
	s_cbranch_execnz .LBB190_20
; %bb.16:                               ;   in Loop: Header=BB190_9 Depth=1
	s_or_b32 exec_lo, exec_lo, s3
	s_and_saveexec_b32 s3, s2
	s_cbranch_execnz .LBB190_21
.LBB190_17:                             ;   in Loop: Header=BB190_9 Depth=1
	s_or_b32 exec_lo, exec_lo, s3
	s_and_saveexec_b32 s2, s1
	s_cbranch_execnz .LBB190_22
.LBB190_18:                             ;   in Loop: Header=BB190_9 Depth=1
	s_or_b32 exec_lo, exec_lo, s2
	s_and_saveexec_b32 s1, s0
	s_cbranch_execnz .LBB190_23
.LBB190_19:                             ;   in Loop: Header=BB190_9 Depth=1
	s_or_b32 exec_lo, exec_lo, s1
	s_and_saveexec_b32 s0, vcc_lo
	s_cbranch_execz .LBB190_8
	s_branch .LBB190_24
.LBB190_20:                             ;   in Loop: Header=BB190_9 Depth=1
	v_add_nc_u64_e32 v[32:33], s[6:7], v[20:21]
	global_load_b32 v29, v[32:33], off
	s_wait_xcnt 0x0
	s_or_b32 exec_lo, exec_lo, s3
	s_and_saveexec_b32 s3, s2
	s_cbranch_execz .LBB190_17
.LBB190_21:                             ;   in Loop: Header=BB190_9 Depth=1
	s_wait_loadcnt 0x0
	v_cmp_gt_f32_e64 s2, 0x800000, v30
	s_delay_alu instid0(VALU_DEP_1) | instskip(SKIP_1) | instid1(VALU_DEP_2)
	v_cndmask_b32_e64 v32, 0, 32, s2
	v_cndmask_b32_e64 v34, 0, 0x42000000, s2
	v_ldexp_f32 v30, v30, v32
	v_add_nc_u64_e32 v[32:33], s[6:7], v[10:11]
	s_delay_alu instid0(VALU_DEP_2) | instskip(SKIP_1) | instid1(TRANS32_DEP_1)
	v_log_f32_e32 v30, v30
	v_nop
	v_sub_f32_e32 v30, v30, v34
	global_store_b32 v[32:33], v30, off
	s_wait_xcnt 0x0
	s_or_b32 exec_lo, exec_lo, s3
	s_and_saveexec_b32 s2, s1
	s_cbranch_execz .LBB190_18
.LBB190_22:                             ;   in Loop: Header=BB190_9 Depth=1
	s_wait_loadcnt 0x0
	v_cmp_gt_f32_e64 s1, 0x800000, v31
	s_delay_alu instid0(VALU_DEP_1) | instskip(SKIP_1) | instid1(VALU_DEP_2)
	v_cndmask_b32_e64 v30, 0, 32, s1
	v_cndmask_b32_e64 v32, 0, 0x42000000, s1
	v_ldexp_f32 v30, v31, v30
	s_delay_alu instid0(VALU_DEP_1) | instskip(SKIP_2) | instid1(TRANS32_DEP_1)
	v_log_f32_e32 v33, v30
	v_nop
	v_add_nc_u64_e32 v[30:31], s[6:7], v[26:27]
	v_sub_f32_e32 v32, v33, v32
	global_store_b32 v[30:31], v32, off
	s_wait_xcnt 0x0
	s_or_b32 exec_lo, exec_lo, s2
	s_and_saveexec_b32 s1, s0
	s_cbranch_execz .LBB190_19
.LBB190_23:                             ;   in Loop: Header=BB190_9 Depth=1
	s_wait_loadcnt 0x0
	v_cmp_gt_f32_e64 s0, 0x800000, v28
	s_delay_alu instid0(VALU_DEP_1) | instskip(SKIP_1) | instid1(VALU_DEP_2)
	v_cndmask_b32_e64 v30, 0, 32, s0
	v_cndmask_b32_e64 v32, 0, 0x42000000, s0
	v_ldexp_f32 v28, v28, v30
	v_add_nc_u64_e32 v[30:31], s[6:7], v[18:19]
	s_delay_alu instid0(VALU_DEP_2) | instskip(SKIP_1) | instid1(TRANS32_DEP_1)
	v_log_f32_e32 v28, v28
	v_nop
	v_sub_f32_e32 v28, v28, v32
	global_store_b32 v[30:31], v28, off
	s_wait_xcnt 0x0
	s_or_b32 exec_lo, exec_lo, s1
	s_and_saveexec_b32 s0, vcc_lo
	s_cbranch_execz .LBB190_8
.LBB190_24:                             ;   in Loop: Header=BB190_9 Depth=1
	s_wait_loadcnt 0x0
	v_cmp_gt_f32_e32 vcc_lo, 0x800000, v29
	v_cndmask_b32_e64 v28, 0, 32, vcc_lo
	v_cndmask_b32_e64 v30, 0, 0x42000000, vcc_lo
	s_delay_alu instid0(VALU_DEP_2) | instskip(NEXT) | instid1(VALU_DEP_1)
	v_ldexp_f32 v28, v29, v28
	v_log_f32_e32 v31, v28
	v_nop
	v_add_nc_u64_e32 v[28:29], s[6:7], v[22:23]
	s_delay_alu instid0(TRANS32_DEP_1)
	v_sub_f32_e32 v30, v31, v30
	global_store_b32 v[28:29], v30, off
	s_branch .LBB190_8
.LBB190_25:
	s_endpgm
	.section	.rodata,"a",@progbits
	.p2align	6, 0x0
	.amdhsa_kernel _ZN2at6native12_GLOBAL__N_125multi_tensor_apply_kernelINS1_18TensorListMetadataILi2EEENS1_14UnaryOpFunctorIfLi2ELi1ELi1EEEJNS0_4Log2IfEEEEEvT_T0_DpT1_
		.amdhsa_group_segment_fixed_size 0
		.amdhsa_private_segment_fixed_size 0
		.amdhsa_kernarg_size 3408
		.amdhsa_user_sgpr_count 2
		.amdhsa_user_sgpr_dispatch_ptr 0
		.amdhsa_user_sgpr_queue_ptr 0
		.amdhsa_user_sgpr_kernarg_segment_ptr 1
		.amdhsa_user_sgpr_dispatch_id 0
		.amdhsa_user_sgpr_kernarg_preload_length 0
		.amdhsa_user_sgpr_kernarg_preload_offset 0
		.amdhsa_user_sgpr_private_segment_size 0
		.amdhsa_wavefront_size32 1
		.amdhsa_uses_dynamic_stack 0
		.amdhsa_enable_private_segment 0
		.amdhsa_system_sgpr_workgroup_id_x 1
		.amdhsa_system_sgpr_workgroup_id_y 0
		.amdhsa_system_sgpr_workgroup_id_z 0
		.amdhsa_system_sgpr_workgroup_info 0
		.amdhsa_system_vgpr_workitem_id 0
		.amdhsa_next_free_vgpr 35
		.amdhsa_next_free_sgpr 20
		.amdhsa_named_barrier_count 0
		.amdhsa_reserve_vcc 1
		.amdhsa_float_round_mode_32 0
		.amdhsa_float_round_mode_16_64 0
		.amdhsa_float_denorm_mode_32 3
		.amdhsa_float_denorm_mode_16_64 3
		.amdhsa_fp16_overflow 0
		.amdhsa_memory_ordered 1
		.amdhsa_forward_progress 1
		.amdhsa_inst_pref_size 12
		.amdhsa_round_robin_scheduling 0
		.amdhsa_exception_fp_ieee_invalid_op 0
		.amdhsa_exception_fp_denorm_src 0
		.amdhsa_exception_fp_ieee_div_zero 0
		.amdhsa_exception_fp_ieee_overflow 0
		.amdhsa_exception_fp_ieee_underflow 0
		.amdhsa_exception_fp_ieee_inexact 0
		.amdhsa_exception_int_div_zero 0
	.end_amdhsa_kernel
	.section	.text._ZN2at6native12_GLOBAL__N_125multi_tensor_apply_kernelINS1_18TensorListMetadataILi2EEENS1_14UnaryOpFunctorIfLi2ELi1ELi1EEEJNS0_4Log2IfEEEEEvT_T0_DpT1_,"axG",@progbits,_ZN2at6native12_GLOBAL__N_125multi_tensor_apply_kernelINS1_18TensorListMetadataILi2EEENS1_14UnaryOpFunctorIfLi2ELi1ELi1EEEJNS0_4Log2IfEEEEEvT_T0_DpT1_,comdat
.Lfunc_end190:
	.size	_ZN2at6native12_GLOBAL__N_125multi_tensor_apply_kernelINS1_18TensorListMetadataILi2EEENS1_14UnaryOpFunctorIfLi2ELi1ELi1EEEJNS0_4Log2IfEEEEEvT_T0_DpT1_, .Lfunc_end190-_ZN2at6native12_GLOBAL__N_125multi_tensor_apply_kernelINS1_18TensorListMetadataILi2EEENS1_14UnaryOpFunctorIfLi2ELi1ELi1EEEJNS0_4Log2IfEEEEEvT_T0_DpT1_
                                        ; -- End function
	.set _ZN2at6native12_GLOBAL__N_125multi_tensor_apply_kernelINS1_18TensorListMetadataILi2EEENS1_14UnaryOpFunctorIfLi2ELi1ELi1EEEJNS0_4Log2IfEEEEEvT_T0_DpT1_.num_vgpr, 35
	.set _ZN2at6native12_GLOBAL__N_125multi_tensor_apply_kernelINS1_18TensorListMetadataILi2EEENS1_14UnaryOpFunctorIfLi2ELi1ELi1EEEJNS0_4Log2IfEEEEEvT_T0_DpT1_.num_agpr, 0
	.set _ZN2at6native12_GLOBAL__N_125multi_tensor_apply_kernelINS1_18TensorListMetadataILi2EEENS1_14UnaryOpFunctorIfLi2ELi1ELi1EEEJNS0_4Log2IfEEEEEvT_T0_DpT1_.numbered_sgpr, 20
	.set _ZN2at6native12_GLOBAL__N_125multi_tensor_apply_kernelINS1_18TensorListMetadataILi2EEENS1_14UnaryOpFunctorIfLi2ELi1ELi1EEEJNS0_4Log2IfEEEEEvT_T0_DpT1_.num_named_barrier, 0
	.set _ZN2at6native12_GLOBAL__N_125multi_tensor_apply_kernelINS1_18TensorListMetadataILi2EEENS1_14UnaryOpFunctorIfLi2ELi1ELi1EEEJNS0_4Log2IfEEEEEvT_T0_DpT1_.private_seg_size, 0
	.set _ZN2at6native12_GLOBAL__N_125multi_tensor_apply_kernelINS1_18TensorListMetadataILi2EEENS1_14UnaryOpFunctorIfLi2ELi1ELi1EEEJNS0_4Log2IfEEEEEvT_T0_DpT1_.uses_vcc, 1
	.set _ZN2at6native12_GLOBAL__N_125multi_tensor_apply_kernelINS1_18TensorListMetadataILi2EEENS1_14UnaryOpFunctorIfLi2ELi1ELi1EEEJNS0_4Log2IfEEEEEvT_T0_DpT1_.uses_flat_scratch, 0
	.set _ZN2at6native12_GLOBAL__N_125multi_tensor_apply_kernelINS1_18TensorListMetadataILi2EEENS1_14UnaryOpFunctorIfLi2ELi1ELi1EEEJNS0_4Log2IfEEEEEvT_T0_DpT1_.has_dyn_sized_stack, 0
	.set _ZN2at6native12_GLOBAL__N_125multi_tensor_apply_kernelINS1_18TensorListMetadataILi2EEENS1_14UnaryOpFunctorIfLi2ELi1ELi1EEEJNS0_4Log2IfEEEEEvT_T0_DpT1_.has_recursion, 0
	.set _ZN2at6native12_GLOBAL__N_125multi_tensor_apply_kernelINS1_18TensorListMetadataILi2EEENS1_14UnaryOpFunctorIfLi2ELi1ELi1EEEJNS0_4Log2IfEEEEEvT_T0_DpT1_.has_indirect_call, 0
	.section	.AMDGPU.csdata,"",@progbits
; Kernel info:
; codeLenInByte = 1464
; TotalNumSgprs: 22
; NumVgprs: 35
; ScratchSize: 0
; MemoryBound: 0
; FloatMode: 240
; IeeeMode: 1
; LDSByteSize: 0 bytes/workgroup (compile time only)
; SGPRBlocks: 0
; VGPRBlocks: 2
; NumSGPRsForWavesPerEU: 22
; NumVGPRsForWavesPerEU: 35
; NamedBarCnt: 0
; Occupancy: 16
; WaveLimiterHint : 0
; COMPUTE_PGM_RSRC2:SCRATCH_EN: 0
; COMPUTE_PGM_RSRC2:USER_SGPR: 2
; COMPUTE_PGM_RSRC2:TRAP_HANDLER: 0
; COMPUTE_PGM_RSRC2:TGID_X_EN: 1
; COMPUTE_PGM_RSRC2:TGID_Y_EN: 0
; COMPUTE_PGM_RSRC2:TGID_Z_EN: 0
; COMPUTE_PGM_RSRC2:TIDIG_COMP_CNT: 0
	.section	.text._ZN2at6native12_GLOBAL__N_125multi_tensor_apply_kernelINS1_18TensorListMetadataILi2EEENS1_14UnaryOpFunctorIN3c107complexIdEELi2ELi1ELi1EEEJNS0_4Log2IS8_EEEEEvT_T0_DpT1_,"axG",@progbits,_ZN2at6native12_GLOBAL__N_125multi_tensor_apply_kernelINS1_18TensorListMetadataILi2EEENS1_14UnaryOpFunctorIN3c107complexIdEELi2ELi1ELi1EEEJNS0_4Log2IS8_EEEEEvT_T0_DpT1_,comdat
	.globl	_ZN2at6native12_GLOBAL__N_125multi_tensor_apply_kernelINS1_18TensorListMetadataILi2EEENS1_14UnaryOpFunctorIN3c107complexIdEELi2ELi1ELi1EEEJNS0_4Log2IS8_EEEEEvT_T0_DpT1_ ; -- Begin function _ZN2at6native12_GLOBAL__N_125multi_tensor_apply_kernelINS1_18TensorListMetadataILi2EEENS1_14UnaryOpFunctorIN3c107complexIdEELi2ELi1ELi1EEEJNS0_4Log2IS8_EEEEEvT_T0_DpT1_
	.p2align	8
	.type	_ZN2at6native12_GLOBAL__N_125multi_tensor_apply_kernelINS1_18TensorListMetadataILi2EEENS1_14UnaryOpFunctorIN3c107complexIdEELi2ELi1ELi1EEEJNS0_4Log2IS8_EEEEEvT_T0_DpT1_,@function
_ZN2at6native12_GLOBAL__N_125multi_tensor_apply_kernelINS1_18TensorListMetadataILi2EEENS1_14UnaryOpFunctorIN3c107complexIdEELi2ELi1ELi1EEEJNS0_4Log2IS8_EEEEEvT_T0_DpT1_: ; @_ZN2at6native12_GLOBAL__N_125multi_tensor_apply_kernelINS1_18TensorListMetadataILi2EEENS1_14UnaryOpFunctorIN3c107complexIdEELi2ELi1ELi1EEEJNS0_4Log2IS8_EEEEEvT_T0_DpT1_
; %bb.0:
	s_bfe_u32 s2, ttmp6, 0x4000c
	s_and_b32 s3, ttmp6, 15
	s_add_co_i32 s2, s2, 1
	s_getreg_b32 s4, hwreg(HW_REG_IB_STS2, 6, 4)
	s_mul_i32 s2, ttmp9, s2
	s_delay_alu instid0(SALU_CYCLE_1)
	s_add_co_i32 s3, s3, s2
	s_cmp_eq_u32 s4, 0
	s_cselect_b32 s2, ttmp9, s3
	s_mov_b32 s3, 0
	s_load_u8 s14, s[0:1], s2 offset:0x600
	s_add_nc_u64 s[4:5], s[0:1], s[2:3]
	s_mul_u64 s[6:7], s[2:3], 3
	s_delay_alu instid0(SALU_CYCLE_1)
	s_add_nc_u64 s[4:5], s[4:5], s[6:7]
	s_load_b32 s6, s[4:5], 0x740
	s_wait_kmcnt 0x0
	s_clause 0x2
	s_load_b64 s[8:9], s[0:1], s14 offset:0x0 scale_offset
	s_load_b64 s[10:11], s[0:1], s14 offset:0x200 scale_offset
	;; [unrolled: 1-line block ×3, first 2 shown]
	s_ashr_i32 s7, s6, 31
	s_delay_alu instid0(SALU_CYCLE_1)
	s_lshl_b64 s[4:5], s[6:7], 20
	s_lshl_b64 s[6:7], s[6:7], 16
	s_wait_kmcnt 0x0
	s_add_nc_u64 s[18:19], s[10:11], s[4:5]
	s_add_nc_u64 s[16:17], s[8:9], s[4:5]
	s_and_b32 s4, s12, 3
	s_and_b64 s[8:9], s[18:19], 63
	s_mov_b32 s5, s3
	s_and_b32 s2, s16, 63
	s_or_b64 s[4:5], s[8:9], s[4:5]
	s_sub_nc_u64 s[14:15], s[12:13], s[6:7]
	s_or_b64 s[2:3], s[4:5], s[2:3]
	s_delay_alu instid0(SALU_CYCLE_1)
	s_cmp_eq_u64 s[2:3], 0
	s_mov_b32 s2, -1
	s_cbranch_scc0 .LBB191_141
; %bb.1:
	v_min_i64 v[18:19], 0x10000, s[14:15]
	v_dual_mov_b32 v20, 0 :: v_dual_lshlrev_b32 v2, 2, v0
	s_mov_b32 s13, exec_lo
	s_delay_alu instid0(VALU_DEP_1) | instskip(NEXT) | instid1(VALU_DEP_1)
	v_mov_b32_e32 v3, v20
	v_cmpx_lt_i64_e64 v[2:3], v[18:19]
	s_cbranch_execz .LBB191_140
; %bb.2:
	s_load_b32 s2, s[0:1], 0xc5c
	v_dual_mov_b32 v1, v20 :: v_dual_mov_b32 v62, 0x7f3321d2
	v_mov_b64_e32 v[22:23], 0x3fc385386b47b09a
	v_mov_b64_e32 v[24:25], 0xbf23e260bd3237f4
	v_mov_b32_e32 v63, 0x4002d97c
	s_delay_alu instid0(VALU_DEP_4)
	v_mov_b64_e32 v[26:27], v[0:1]
	s_mov_b32 s43, 0
	s_mov_b64 s[20:21], 0x7fd1ccf385ebc8a0
	s_mov_b64 s[22:23], 0x358dee7a4ad4b81f
	s_mov_b64 s[24:25], 0x4a511b0ec57e649a
	s_mov_b64 s[26:27], 0x3fe5555555555555
	s_mov_b64 s[28:29], 0x3fe62e42fefa39ef
	s_mov_b64 s[30:31], 0x3ff921fb54442d18
	s_mov_b64 s[34:35], 0x400921fb54442d18
	s_mov_b64 s[36:37], 0x3fe6666666666666
	s_mov_b64 s[38:39], 0x20ca2fe76a3f9475
	s_mov_b64 s[40:41], 0x4005bf0a8b145769
	s_mov_b32 s33, s43
                                        ; implicit-def: $vgpr2_vgpr3
                                        ; implicit-def: $vgpr2_vgpr3
	;; [unrolled: 1-line block ×23, first 2 shown]
	s_wait_kmcnt 0x0
	s_and_b32 s42, s2, 0xffff
	s_branch .LBB191_5
.LBB191_3:                              ;   in Loop: Header=BB191_5 Depth=1
	s_or_b32 exec_lo, exec_lo, s3
	s_delay_alu instid0(VALU_DEP_1) | instskip(NEXT) | instid1(VALU_DEP_1)
	v_frexp_mant_f64_e32 v[2:3], v[40:41]
	v_cmp_gt_f64_e32 vcc_lo, s[26:27], v[2:3]
	v_cndmask_b32_e64 v1, 0, 1, vcc_lo
	s_delay_alu instid0(VALU_DEP_1) | instskip(SKIP_1) | instid1(VALU_DEP_1)
	v_ldexp_f64 v[2:3], v[2:3], v1
	v_frexp_exp_i32_f64_e32 v1, v[40:41]
	v_subrev_co_ci_u32_e64 v1, null, 0, v1, vcc_lo
	v_cmp_class_f64_e64 vcc_lo, v[40:41], 0x204
	s_delay_alu instid0(VALU_DEP_4) | instskip(SKIP_1) | instid1(VALU_DEP_2)
	v_add_f64_e32 v[14:15], 1.0, v[2:3]
	v_add_f64_e32 v[44:45], -1.0, v[2:3]
	v_rcp_f64_e32 v[38:39], v[14:15]
	v_add_f64_e32 v[46:47], -1.0, v[14:15]
	s_delay_alu instid0(VALU_DEP_1) | instskip(NEXT) | instid1(TRANS32_DEP_1)
	v_add_f64_e64 v[2:3], v[2:3], -v[46:47]
	v_fma_f64 v[42:43], -v[14:15], v[38:39], 1.0
	s_delay_alu instid0(VALU_DEP_1) | instskip(NEXT) | instid1(VALU_DEP_1)
	v_fmac_f64_e32 v[38:39], v[42:43], v[38:39]
	v_fma_f64 v[42:43], -v[14:15], v[38:39], 1.0
	s_delay_alu instid0(VALU_DEP_1) | instskip(NEXT) | instid1(VALU_DEP_1)
	v_fmac_f64_e32 v[38:39], v[42:43], v[38:39]
	v_mul_f64_e32 v[42:43], v[44:45], v[38:39]
	s_delay_alu instid0(VALU_DEP_1) | instskip(NEXT) | instid1(VALU_DEP_1)
	v_mul_f64_e32 v[48:49], v[14:15], v[42:43]
	v_fma_f64 v[14:15], v[42:43], v[14:15], -v[48:49]
	s_delay_alu instid0(VALU_DEP_1) | instskip(NEXT) | instid1(VALU_DEP_1)
	v_fmac_f64_e32 v[14:15], v[42:43], v[2:3]
	v_add_f64_e32 v[2:3], v[48:49], v[14:15]
	s_delay_alu instid0(VALU_DEP_1) | instskip(SKIP_1) | instid1(VALU_DEP_2)
	v_add_f64_e64 v[46:47], v[44:45], -v[2:3]
	v_add_f64_e64 v[48:49], v[2:3], -v[48:49]
	;; [unrolled: 1-line block ×3, first 2 shown]
	s_delay_alu instid0(VALU_DEP_2) | instskip(NEXT) | instid1(VALU_DEP_2)
	v_add_f64_e64 v[14:15], v[48:49], -v[14:15]
	v_add_f64_e64 v[2:3], v[44:45], -v[2:3]
	s_delay_alu instid0(VALU_DEP_1) | instskip(NEXT) | instid1(VALU_DEP_1)
	v_add_f64_e32 v[2:3], v[14:15], v[2:3]
	v_add_f64_e32 v[2:3], v[46:47], v[2:3]
	s_delay_alu instid0(VALU_DEP_1) | instskip(NEXT) | instid1(VALU_DEP_1)
	v_mul_f64_e32 v[2:3], v[38:39], v[2:3]
	v_add_f64_e32 v[14:15], v[42:43], v[2:3]
	s_delay_alu instid0(VALU_DEP_1) | instskip(NEXT) | instid1(VALU_DEP_1)
	v_mul_f64_e32 v[38:39], v[14:15], v[14:15]
	v_fmamk_f64 v[44:45], v[38:39], 0x3fc3ab76bf559e2b, v[22:23]
	v_mul_f64_e32 v[46:47], v[14:15], v[38:39]
	s_delay_alu instid0(VALU_DEP_2) | instskip(NEXT) | instid1(VALU_DEP_1)
	v_fmaak_f64 v[44:45], v[38:39], v[44:45], 0x3fc7474dd7f4df2e
	v_fmaak_f64 v[44:45], v[38:39], v[44:45], 0x3fcc71c016291751
	s_delay_alu instid0(VALU_DEP_1) | instskip(NEXT) | instid1(VALU_DEP_1)
	v_fmaak_f64 v[44:45], v[38:39], v[44:45], 0x3fd249249b27acf1
	v_fmaak_f64 v[44:45], v[38:39], v[44:45], 0x3fd99999998ef7b6
	s_delay_alu instid0(VALU_DEP_1) | instskip(SKIP_2) | instid1(VALU_DEP_3)
	v_fmaak_f64 v[38:39], v[38:39], v[44:45], 0x3fe5555555555780
	v_ldexp_f64 v[44:45], v[14:15], 1
	v_add_f64_e64 v[14:15], v[14:15], -v[42:43]
	v_mul_f64_e32 v[38:39], v[46:47], v[38:39]
	v_cvt_f64_i32_e32 v[46:47], v1
	s_delay_alu instid0(VALU_DEP_3) | instskip(NEXT) | instid1(VALU_DEP_3)
	v_add_f64_e64 v[2:3], v[2:3], -v[14:15]
	v_add_f64_e32 v[42:43], v[44:45], v[38:39]
	s_delay_alu instid0(VALU_DEP_3) | instskip(NEXT) | instid1(VALU_DEP_3)
	v_mul_f64_e32 v[48:49], 0x3fe62e42fefa39ef, v[46:47]
	v_ldexp_f64 v[2:3], v[2:3], 1
	s_delay_alu instid0(VALU_DEP_3) | instskip(NEXT) | instid1(VALU_DEP_3)
	v_add_f64_e64 v[14:15], v[42:43], -v[44:45]
	v_fma_f64 v[44:45], v[46:47], s[28:29], -v[48:49]
	s_delay_alu instid0(VALU_DEP_2) | instskip(NEXT) | instid1(VALU_DEP_2)
	v_add_f64_e64 v[14:15], v[38:39], -v[14:15]
	v_fmac_f64_e32 v[44:45], 0x3c7abc9e3b39803f, v[46:47]
	s_delay_alu instid0(VALU_DEP_2) | instskip(NEXT) | instid1(VALU_DEP_2)
	v_add_f64_e32 v[2:3], v[2:3], v[14:15]
	v_add_f64_e32 v[14:15], v[48:49], v[44:45]
	s_delay_alu instid0(VALU_DEP_2) | instskip(NEXT) | instid1(VALU_DEP_2)
	v_add_f64_e32 v[38:39], v[42:43], v[2:3]
	v_add_f64_e64 v[48:49], v[14:15], -v[48:49]
	s_delay_alu instid0(VALU_DEP_2) | instskip(SKIP_1) | instid1(VALU_DEP_3)
	v_add_f64_e32 v[46:47], v[14:15], v[38:39]
	v_add_f64_e64 v[42:43], v[38:39], -v[42:43]
	v_add_f64_e64 v[44:45], v[44:45], -v[48:49]
	s_delay_alu instid0(VALU_DEP_3) | instskip(NEXT) | instid1(VALU_DEP_3)
	v_add_f64_e64 v[50:51], v[46:47], -v[14:15]
	v_add_f64_e64 v[2:3], v[2:3], -v[42:43]
	s_delay_alu instid0(VALU_DEP_2) | instskip(SKIP_1) | instid1(VALU_DEP_3)
	v_add_f64_e64 v[52:53], v[46:47], -v[50:51]
	v_add_f64_e64 v[38:39], v[38:39], -v[50:51]
	v_add_f64_e32 v[42:43], v[44:45], v[2:3]
	s_delay_alu instid0(VALU_DEP_3) | instskip(NEXT) | instid1(VALU_DEP_1)
	v_add_f64_e64 v[14:15], v[14:15], -v[52:53]
	v_add_f64_e32 v[14:15], v[38:39], v[14:15]
	s_delay_alu instid0(VALU_DEP_3) | instskip(NEXT) | instid1(VALU_DEP_2)
	v_add_f64_e64 v[38:39], v[42:43], -v[44:45]
	v_add_f64_e32 v[14:15], v[42:43], v[14:15]
	s_delay_alu instid0(VALU_DEP_2) | instskip(SKIP_1) | instid1(VALU_DEP_3)
	v_add_f64_e64 v[42:43], v[42:43], -v[38:39]
	v_add_f64_e64 v[2:3], v[2:3], -v[38:39]
	v_add_f64_e32 v[48:49], v[46:47], v[14:15]
	s_delay_alu instid0(VALU_DEP_3) | instskip(NEXT) | instid1(VALU_DEP_2)
	v_add_f64_e64 v[38:39], v[44:45], -v[42:43]
	v_add_f64_e64 v[42:43], v[48:49], -v[46:47]
	s_delay_alu instid0(VALU_DEP_2) | instskip(SKIP_1) | instid1(VALU_DEP_3)
	v_add_f64_e32 v[2:3], v[2:3], v[38:39]
	v_mov_b64_e32 v[38:39], 0x7ff8000000000000
	v_add_f64_e64 v[14:15], v[14:15], -v[42:43]
	s_delay_alu instid0(VALU_DEP_1) | instskip(NEXT) | instid1(VALU_DEP_1)
	v_add_f64_e32 v[2:3], v[2:3], v[14:15]
	v_add_f64_e32 v[2:3], v[48:49], v[2:3]
	s_delay_alu instid0(VALU_DEP_1) | instskip(SKIP_1) | instid1(VALU_DEP_2)
	v_dual_cndmask_b32 v1, v2, v40 :: v_dual_cndmask_b32 v2, v3, v41
	v_cmp_ngt_f64_e32 vcc_lo, 0, v[40:41]
	v_cndmask_b32_e32 v2, 0x7ff80000, v2, vcc_lo
	v_cmp_nge_f64_e32 vcc_lo, 0, v[40:41]
	s_delay_alu instid0(VALU_DEP_4) | instskip(SKIP_1) | instid1(VALU_DEP_4)
	v_cndmask_b32_e32 v14, 0, v1, vcc_lo
	v_cmp_neq_f64_e32 vcc_lo, 0, v[40:41]
	v_cndmask_b32_e32 v15, 0xfff00000, v2, vcc_lo
.LBB191_4:                              ;   in Loop: Header=BB191_5 Depth=1
	s_or_b32 exec_lo, exec_lo, s2
	v_bfi_b32 v31, 0x7fffffff, v31, v9
	v_bfi_b32 v11, 0x7fffffff, v11, v17
	;; [unrolled: 1-line block ×4, first 2 shown]
	v_add_nc_u64_e32 v[26:27], s[42:43], v[26:27]
	v_fma_f64 v[12:13], 0, v[30:31], v[32:33]
	v_fmac_f64_e32 v[30:31], 0x80000000, v[32:33]
	v_fma_f64 v[2:3], 0, v[10:11], v[36:37]
	v_fmac_f64_e32 v[10:11], 0x80000000, v[36:37]
	;; [unrolled: 2-line block ×4, first 2 shown]
	v_mul_f64_e32 v[12:13], 0x3ff71547652b82fe, v[12:13]
	v_mul_f64_e32 v[14:15], 0x3ff71547652b82fe, v[30:31]
	;; [unrolled: 1-line block ×8, first 2 shown]
	v_lshlrev_b64_e32 v[6:7], 2, v[26:27]
	s_delay_alu instid0(VALU_DEP_1)
	v_cmp_ge_i64_e32 vcc_lo, v[6:7], v[18:19]
	v_add_nc_u64_e32 v[6:7], s[18:19], v[28:29]
	s_clause 0x3
	global_store_b128 v[6:7], v[12:15], off
	global_store_b128 v[6:7], v[8:11], off offset:16
	global_store_b128 v[6:7], v[2:5], off offset:32
	;; [unrolled: 1-line block ×3, first 2 shown]
	s_or_b32 s33, vcc_lo, s33
	s_wait_xcnt 0x0
	s_and_not1_b32 exec_lo, exec_lo, s33
	s_cbranch_execz .LBB191_140
.LBB191_5:                              ; =>This Loop Header: Depth=1
                                        ;     Child Loop BB191_16 Depth 2
                                        ;     Child Loop BB191_50 Depth 2
	;; [unrolled: 1-line block ×4, first 2 shown]
	v_lshlrev_b64_e32 v[28:29], 6, v[26:27]
                                        ; implicit-def: $vgpr32_vgpr33
	s_mov_b32 s2, exec_lo
	s_delay_alu instid0(VALU_DEP_1)
	v_add_nc_u64_e32 v[30:31], s[16:17], v[28:29]
	s_clause 0x3
	global_load_b128 v[6:9], v[30:31], off
	global_load_b128 v[10:13], v[30:31], off offset:16
	global_load_b128 v[2:5], v[30:31], off offset:48
	;; [unrolled: 1-line block ×3, first 2 shown]
                                        ; implicit-def: $vgpr30_vgpr31
	s_wait_loadcnt 0x3
	s_wait_xcnt 0x0
	v_cmpx_o_f64_e32 v[6:7], v[8:9]
	s_xor_b32 s44, exec_lo, s2
	s_cbranch_execz .LBB191_33
; %bb.6:                                ;   in Loop: Header=BB191_5 Depth=1
	v_cmp_lt_f64_e64 s2, |v[6:7]|, |v[8:9]|
	v_and_b32_e32 v21, 0x7fffffff, v7
	v_and_b32_e32 v1, 0x7fffffff, v9
	v_mov_b32_e32 v34, v8
                                        ; implicit-def: $vgpr32_vgpr33
                                        ; implicit-def: $vgpr30_vgpr31
	s_mov_b32 s3, exec_lo
	s_delay_alu instid0(VALU_DEP_2) | instskip(NEXT) | instid1(VALU_DEP_1)
	v_dual_cndmask_b32 v37, v1, v21, s2 :: v_dual_cndmask_b32 v36, v8, v6, s2
	v_cmpx_nlt_f64_e32 s[20:21], v[36:37]
	s_xor_b32 s45, exec_lo, s3
	s_cbranch_execz .LBB191_30
; %bb.7:                                ;   in Loop: Header=BB191_5 Depth=1
	v_dual_cndmask_b32 v39, v21, v1, s2 :: v_dual_cndmask_b32 v38, v6, v34, s2
                                        ; implicit-def: $vgpr32_vgpr33
                                        ; implicit-def: $vgpr30_vgpr31
	s_mov_b32 s3, exec_lo
	s_delay_alu instid0(VALU_DEP_1)
	v_cmpx_neq_f64_e32 1.0, v[38:39]
	s_xor_b32 s46, exec_lo, s3
	s_cbranch_execz .LBB191_23
; %bb.8:                                ;   in Loop: Header=BB191_5 Depth=1
	v_max_num_f64_e32 v[30:31], v[36:37], v[36:37]
	v_max_num_f64_e32 v[32:33], v[38:39], v[38:39]
	s_delay_alu instid0(VALU_DEP_1) | instskip(SKIP_1) | instid1(VALU_DEP_2)
	v_min_num_f64_e32 v[34:35], v[32:33], v[30:31]
	v_max_num_f64_e32 v[30:31], v[32:33], v[30:31]
                                        ; implicit-def: $vgpr32_vgpr33
	v_cmp_ngt_f64_e32 vcc_lo, s[22:23], v[34:35]
	s_delay_alu instid0(VALU_DEP_2) | instskip(SKIP_1) | instid1(SALU_CYCLE_1)
	v_cmp_nlt_f64_e64 s3, s[24:25], v[30:31]
                                        ; implicit-def: $vgpr30_vgpr31
	s_and_b32 s3, s3, vcc_lo
	s_and_saveexec_b32 s4, s3
	s_delay_alu instid0(SALU_CYCLE_1)
	s_xor_b32 s47, exec_lo, s4
	s_cbranch_execz .LBB191_20
; %bb.9:                                ;   in Loop: Header=BB191_5 Depth=1
                                        ; implicit-def: $vgpr32_vgpr33
                                        ; implicit-def: $vgpr30_vgpr31
	s_mov_b32 s3, exec_lo
	v_cmpx_le_f64_e32 1.0, v[38:39]
	s_xor_b32 s6, exec_lo, s3
	s_cbranch_execz .LBB191_11
; %bb.10:                               ;   in Loop: Header=BB191_5 Depth=1
	v_add_f64_e32 v[30:31], -1.0, v[38:39]
	v_add_f64_e32 v[32:33], 1.0, v[38:39]
	v_cmp_eq_f64_e64 s3, 0, v[8:9]
	v_cmp_class_f64_e64 s7, v[8:9], 0x204
	v_cmp_class_f64_e64 s8, v[6:7], 0x204
	s_delay_alu instid0(VALU_DEP_4) | instskip(NEXT) | instid1(VALU_DEP_1)
	v_mul_f64_e32 v[34:35], v[30:31], v[32:33]
	v_fmac_f64_e32 v[34:35], v[36:37], v[36:37]
	s_delay_alu instid0(VALU_DEP_1) | instskip(SKIP_2) | instid1(VALU_DEP_3)
	v_add_f64_e32 v[30:31], 1.0, v[34:35]
	v_cmp_nge_f64_e64 s4, -1.0, v[34:35]
	v_cmp_neq_f64_e64 s5, 0x7ff00000, v[34:35]
	v_frexp_mant_f64_e32 v[32:33], v[30:31]
	v_frexp_exp_i32_f64_e32 v1, v[30:31]
	v_add_f64_e32 v[36:37], -1.0, v[30:31]
	s_delay_alu instid0(VALU_DEP_3) | instskip(NEXT) | instid1(VALU_DEP_2)
	v_cmp_gt_f64_e32 vcc_lo, s[26:27], v[32:33]
	v_add_f64_e64 v[32:33], v[36:37], -v[30:31]
	v_add_f64_e64 v[36:37], v[34:35], -v[36:37]
	v_subrev_co_ci_u32_e64 v1, null, 0, v1, vcc_lo
	s_delay_alu instid0(VALU_DEP_3) | instskip(NEXT) | instid1(VALU_DEP_2)
	v_add_f64_e32 v[32:33], 1.0, v[32:33]
	v_sub_nc_u32_e32 v21, 0, v1
	s_delay_alu instid0(VALU_DEP_1) | instskip(NEXT) | instid1(VALU_DEP_3)
	v_ldexp_f64 v[30:31], v[30:31], v21
	v_add_f64_e32 v[32:33], v[36:37], v[32:33]
	s_delay_alu instid0(VALU_DEP_2) | instskip(SKIP_1) | instid1(VALU_DEP_3)
	v_add_f64_e32 v[38:39], 1.0, v[30:31]
	v_add_f64_e32 v[44:45], -1.0, v[30:31]
	v_ldexp_f64 v[32:33], v[32:33], v21
	s_delay_alu instid0(VALU_DEP_3) | instskip(NEXT) | instid1(VALU_DEP_3)
	v_add_f64_e32 v[36:37], -1.0, v[38:39]
	v_add_f64_e32 v[46:47], 1.0, v[44:45]
	s_delay_alu instid0(VALU_DEP_2) | instskip(NEXT) | instid1(VALU_DEP_2)
	v_add_f64_e64 v[36:37], v[30:31], -v[36:37]
	v_add_f64_e64 v[30:31], v[30:31], -v[46:47]
	s_delay_alu instid0(VALU_DEP_2) | instskip(NEXT) | instid1(VALU_DEP_2)
	v_add_f64_e32 v[36:37], v[32:33], v[36:37]
	v_add_f64_e32 v[30:31], v[32:33], v[30:31]
	s_delay_alu instid0(VALU_DEP_2) | instskip(NEXT) | instid1(VALU_DEP_2)
	v_add_f64_e32 v[40:41], v[38:39], v[36:37]
	v_add_f64_e32 v[46:47], v[44:45], v[30:31]
	s_delay_alu instid0(VALU_DEP_2) | instskip(SKIP_1) | instid1(VALU_DEP_2)
	v_rcp_f64_e32 v[42:43], v[40:41]
	v_add_f64_e64 v[38:39], v[40:41], -v[38:39]
	v_add_f64_e64 v[44:45], v[46:47], -v[44:45]
	s_delay_alu instid0(VALU_DEP_2) | instskip(NEXT) | instid1(VALU_DEP_2)
	v_add_f64_e64 v[36:37], v[36:37], -v[38:39]
	v_add_f64_e64 v[30:31], v[30:31], -v[44:45]
	s_delay_alu instid0(TRANS32_DEP_1) | instskip(NEXT) | instid1(VALU_DEP_1)
	v_fma_f64 v[48:49], -v[40:41], v[42:43], 1.0
	v_fmac_f64_e32 v[42:43], v[48:49], v[42:43]
	s_delay_alu instid0(VALU_DEP_1) | instskip(NEXT) | instid1(VALU_DEP_1)
	v_fma_f64 v[32:33], -v[40:41], v[42:43], 1.0
	v_fmac_f64_e32 v[42:43], v[32:33], v[42:43]
	s_delay_alu instid0(VALU_DEP_1) | instskip(NEXT) | instid1(VALU_DEP_1)
	v_mul_f64_e32 v[32:33], v[46:47], v[42:43]
	v_mul_f64_e32 v[48:49], v[40:41], v[32:33]
	s_delay_alu instid0(VALU_DEP_1) | instskip(NEXT) | instid1(VALU_DEP_1)
	v_fma_f64 v[38:39], v[32:33], v[40:41], -v[48:49]
	v_fmac_f64_e32 v[38:39], v[32:33], v[36:37]
	s_delay_alu instid0(VALU_DEP_1) | instskip(NEXT) | instid1(VALU_DEP_1)
	v_add_f64_e32 v[50:51], v[48:49], v[38:39]
	v_add_f64_e64 v[52:53], v[46:47], -v[50:51]
	v_add_f64_e64 v[44:45], v[50:51], -v[48:49]
	s_delay_alu instid0(VALU_DEP_2) | instskip(NEXT) | instid1(VALU_DEP_2)
	v_add_f64_e64 v[46:47], v[46:47], -v[52:53]
	v_add_f64_e64 v[38:39], v[44:45], -v[38:39]
	s_delay_alu instid0(VALU_DEP_2) | instskip(NEXT) | instid1(VALU_DEP_1)
	v_add_f64_e64 v[46:47], v[46:47], -v[50:51]
	v_add_f64_e32 v[30:31], v[30:31], v[46:47]
	s_delay_alu instid0(VALU_DEP_1) | instskip(NEXT) | instid1(VALU_DEP_1)
	v_add_f64_e32 v[30:31], v[38:39], v[30:31]
	v_add_f64_e32 v[38:39], v[52:53], v[30:31]
	s_delay_alu instid0(VALU_DEP_1) | instskip(SKIP_1) | instid1(VALU_DEP_2)
	v_mul_f64_e32 v[44:45], v[42:43], v[38:39]
	v_add_f64_e64 v[50:51], v[52:53], -v[38:39]
	v_mul_f64_e32 v[46:47], v[40:41], v[44:45]
	s_delay_alu instid0(VALU_DEP_2) | instskip(NEXT) | instid1(VALU_DEP_2)
	v_add_f64_e32 v[30:31], v[30:31], v[50:51]
	v_fma_f64 v[40:41], v[44:45], v[40:41], -v[46:47]
	s_delay_alu instid0(VALU_DEP_1) | instskip(NEXT) | instid1(VALU_DEP_1)
	v_fmac_f64_e32 v[40:41], v[44:45], v[36:37]
	v_add_f64_e32 v[36:37], v[46:47], v[40:41]
	s_delay_alu instid0(VALU_DEP_1) | instskip(SKIP_1) | instid1(VALU_DEP_2)
	v_add_f64_e64 v[48:49], v[38:39], -v[36:37]
	v_add_f64_e64 v[46:47], v[36:37], -v[46:47]
	v_add_f64_e64 v[38:39], v[38:39], -v[48:49]
	s_delay_alu instid0(VALU_DEP_1) | instskip(NEXT) | instid1(VALU_DEP_3)
	v_add_f64_e64 v[36:37], v[38:39], -v[36:37]
	v_add_f64_e64 v[38:39], v[46:47], -v[40:41]
	v_max_num_f64_e64 v[40:41], |v[6:7]|, |v[6:7]|
	s_delay_alu instid0(VALU_DEP_3) | instskip(SKIP_1) | instid1(VALU_DEP_2)
	v_add_f64_e32 v[30:31], v[30:31], v[36:37]
	v_add_f64_e32 v[36:37], v[32:33], v[44:45]
	;; [unrolled: 1-line block ×3, first 2 shown]
	s_delay_alu instid0(VALU_DEP_2) | instskip(SKIP_1) | instid1(VALU_DEP_3)
	v_add_f64_e64 v[32:33], v[36:37], -v[32:33]
	v_max_num_f64_e64 v[38:39], |v[8:9]|, |v[8:9]|
	v_add_f64_e32 v[30:31], v[48:49], v[30:31]
	s_delay_alu instid0(VALU_DEP_3) | instskip(NEXT) | instid1(VALU_DEP_2)
	v_add_f64_e64 v[32:33], v[44:45], -v[32:33]
	v_mul_f64_e32 v[30:31], v[42:43], v[30:31]
	s_delay_alu instid0(VALU_DEP_1) | instskip(SKIP_2) | instid1(VALU_DEP_3)
	v_add_f64_e32 v[30:31], v[32:33], v[30:31]
	v_max_num_f64_e32 v[32:33], v[40:41], v[38:39]
	v_min_num_f64_e32 v[38:39], v[40:41], v[38:39]
	v_add_f64_e32 v[40:41], v[36:37], v[30:31]
	s_delay_alu instid0(VALU_DEP_2) | instskip(NEXT) | instid1(VALU_DEP_2)
	v_div_scale_f64 v[42:43], null, v[32:33], v[32:33], v[38:39]
	v_mul_f64_e32 v[44:45], v[40:41], v[40:41]
	v_add_f64_e64 v[36:37], v[40:41], -v[36:37]
	s_delay_alu instid0(VALU_DEP_3) | instskip(NEXT) | instid1(VALU_DEP_2)
	v_rcp_f64_e32 v[46:47], v[42:43]
	v_fmamk_f64 v[48:49], v[44:45], 0x3fc3ab76bf559e2b, v[22:23]
	v_mul_f64_e32 v[50:51], v[40:41], v[44:45]
	s_delay_alu instid0(VALU_DEP_3) | instskip(NEXT) | instid1(VALU_DEP_3)
	v_add_f64_e64 v[30:31], v[30:31], -v[36:37]
	v_fmaak_f64 v[48:49], v[44:45], v[48:49], 0x3fc7474dd7f4df2e
	s_delay_alu instid0(TRANS32_DEP_1) | instskip(NEXT) | instid1(VALU_DEP_2)
	v_fma_f64 v[52:53], -v[42:43], v[46:47], 1.0
	v_fmaak_f64 v[48:49], v[44:45], v[48:49], 0x3fcc71c016291751
	s_delay_alu instid0(VALU_DEP_1) | instskip(NEXT) | instid1(VALU_DEP_1)
	v_fmaak_f64 v[48:49], v[44:45], v[48:49], 0x3fd249249b27acf1
	v_fmaak_f64 v[48:49], v[44:45], v[48:49], 0x3fd99999998ef7b6
	v_ldexp_f64 v[30:31], v[30:31], 1
	s_delay_alu instid0(VALU_DEP_2) | instskip(SKIP_2) | instid1(VALU_DEP_3)
	v_fmaak_f64 v[44:45], v[44:45], v[48:49], 0x3fe5555555555780
	v_ldexp_f64 v[48:49], v[40:41], 1
	v_fmac_f64_e32 v[46:47], v[46:47], v[52:53]
	v_mul_f64_e32 v[44:45], v[50:51], v[44:45]
	v_cvt_f64_i32_e32 v[50:51], v1
	v_ashrrev_i32_e32 v1, 31, v7
	s_delay_alu instid0(VALU_DEP_4) | instskip(NEXT) | instid1(VALU_DEP_4)
	v_fma_f64 v[52:53], -v[42:43], v[46:47], 1.0
	v_add_f64_e32 v[40:41], v[48:49], v[44:45]
	s_delay_alu instid0(VALU_DEP_4) | instskip(NEXT) | instid1(VALU_DEP_3)
	v_mul_f64_e32 v[54:55], 0x3fe62e42fefa39ef, v[50:51]
	v_fmac_f64_e32 v[46:47], v[46:47], v[52:53]
	s_delay_alu instid0(VALU_DEP_3) | instskip(SKIP_1) | instid1(VALU_DEP_4)
	v_add_f64_e64 v[36:37], v[40:41], -v[48:49]
	v_div_scale_f64 v[48:49], vcc_lo, v[38:39], v[32:33], v[38:39]
	v_fma_f64 v[52:53], v[50:51], s[28:29], -v[54:55]
	s_delay_alu instid0(VALU_DEP_3) | instskip(NEXT) | instid1(VALU_DEP_3)
	v_add_f64_e64 v[36:37], v[44:45], -v[36:37]
	v_mul_f64_e32 v[44:45], v[48:49], v[46:47]
	s_delay_alu instid0(VALU_DEP_3) | instskip(NEXT) | instid1(VALU_DEP_3)
	v_fmac_f64_e32 v[52:53], 0x3c7abc9e3b39803f, v[50:51]
	v_add_f64_e32 v[30:31], v[30:31], v[36:37]
	s_delay_alu instid0(VALU_DEP_3) | instskip(NEXT) | instid1(VALU_DEP_3)
	v_fma_f64 v[36:37], -v[42:43], v[44:45], v[48:49]
	v_add_f64_e32 v[42:43], v[54:55], v[52:53]
	s_delay_alu instid0(VALU_DEP_3) | instskip(NEXT) | instid1(VALU_DEP_3)
	v_add_f64_e32 v[48:49], v[40:41], v[30:31]
	v_div_fmas_f64 v[36:37], v[36:37], v[46:47], v[44:45]
	v_cmp_gt_i32_e32 vcc_lo, 0, v7
	s_delay_alu instid0(VALU_DEP_4)
	v_add_f64_e64 v[46:47], v[42:43], -v[54:55]
	v_cndmask_b32_e32 v21, 0x54442d18, v62, vcc_lo
	v_add_f64_e32 v[44:45], v[42:43], v[48:49]
	v_div_fixup_f64 v[32:33], v[36:37], v[32:33], v[38:39]
	v_add_f64_e64 v[40:41], v[48:49], -v[40:41]
	v_add_f64_e64 v[46:47], v[52:53], -v[46:47]
	s_delay_alu instid0(VALU_DEP_4) | instskip(NEXT) | instid1(VALU_DEP_4)
	v_add_f64_e64 v[36:37], v[44:45], -v[42:43]
	v_mul_f64_e32 v[38:39], v[32:33], v[32:33]
	s_delay_alu instid0(VALU_DEP_4) | instskip(NEXT) | instid1(VALU_DEP_3)
	v_add_f64_e64 v[30:31], v[30:31], -v[40:41]
	v_add_f64_e64 v[50:51], v[44:45], -v[36:37]
	s_delay_alu instid0(VALU_DEP_3) | instskip(SKIP_1) | instid1(VALU_DEP_4)
	v_fmamk_f64 v[54:55], v[38:39], 0x3eeba404b5e68a13, v[24:25]
	v_add_f64_e64 v[36:37], v[48:49], -v[36:37]
	v_add_f64_e32 v[48:49], v[46:47], v[30:31]
	s_delay_alu instid0(VALU_DEP_3) | instskip(SKIP_1) | instid1(VALU_DEP_2)
	v_fmaak_f64 v[54:55], v[38:39], v[54:55], 0x3f4b2bb069efb384
	v_add_f64_e64 v[40:41], v[42:43], -v[50:51]
	v_fmaak_f64 v[42:43], v[38:39], v[54:55], 0xbf67952daf56de9b
	s_delay_alu instid0(VALU_DEP_1) | instskip(NEXT) | instid1(VALU_DEP_1)
	v_fmaak_f64 v[42:43], v[38:39], v[42:43], 0x3f7d6d43a595c56f
	v_fmaak_f64 v[42:43], v[38:39], v[42:43], 0xbf8c6ea4a57d9582
	s_delay_alu instid0(VALU_DEP_1) | instskip(NEXT) | instid1(VALU_DEP_1)
	v_fmaak_f64 v[42:43], v[38:39], v[42:43], 0x3f967e295f08b19f
	v_fmaak_f64 v[42:43], v[38:39], v[42:43], 0xbf9e9ae6fc27006a
	v_add_f64_e32 v[36:37], v[36:37], v[40:41]
	s_delay_alu instid0(VALU_DEP_2) | instskip(SKIP_1) | instid1(VALU_DEP_2)
	v_fmaak_f64 v[40:41], v[38:39], v[42:43], 0x3fa2c15b5711927a
	v_add_f64_e64 v[42:43], v[48:49], -v[46:47]
	v_fmaak_f64 v[40:41], v[38:39], v[40:41], 0xbfa59976e82d3ff0
	s_delay_alu instid0(VALU_DEP_1) | instskip(NEXT) | instid1(VALU_DEP_1)
	v_fmaak_f64 v[40:41], v[38:39], v[40:41], 0x3fa82d5d6ef28734
	v_fmaak_f64 v[40:41], v[38:39], v[40:41], 0xbfaae5ce6a214619
	s_delay_alu instid0(VALU_DEP_1) | instskip(SKIP_3) | instid1(VALU_DEP_4)
	v_fmaak_f64 v[40:41], v[38:39], v[40:41], 0x3fae1bb48427b883
	v_add_f64_e32 v[36:37], v[48:49], v[36:37]
	v_add_f64_e64 v[48:49], v[48:49], -v[42:43]
	v_add_f64_e64 v[30:31], v[30:31], -v[42:43]
	v_fmaak_f64 v[40:41], v[38:39], v[40:41], 0xbfb110e48b207f05
	s_delay_alu instid0(VALU_DEP_1) | instskip(NEXT) | instid1(VALU_DEP_1)
	v_fmaak_f64 v[40:41], v[38:39], v[40:41], 0x3fb3b13657b87036
	v_fmaak_f64 v[40:41], v[38:39], v[40:41], 0xbfb745d119378e4f
	s_delay_alu instid0(VALU_DEP_1) | instskip(SKIP_1) | instid1(VALU_DEP_2)
	v_fmaak_f64 v[40:41], v[38:39], v[40:41], 0x3fbc71c717e1913c
	v_add_f64_e32 v[50:51], v[44:45], v[36:37]
	v_fmaak_f64 v[40:41], v[38:39], v[40:41], 0xbfc2492492376b7d
	s_delay_alu instid0(VALU_DEP_1) | instskip(NEXT) | instid1(VALU_DEP_1)
	v_fmaak_f64 v[40:41], v[38:39], v[40:41], 0x3fc99999999952cc
	v_fmaak_f64 v[40:41], v[38:39], v[40:41], 0xbfd5555555555523
	s_delay_alu instid0(VALU_DEP_1) | instskip(SKIP_2) | instid1(VALU_DEP_3)
	v_mul_f64_e32 v[38:39], v[38:39], v[40:41]
	v_add_f64_e64 v[40:41], v[46:47], -v[48:49]
	v_add_f64_e64 v[42:43], v[50:51], -v[44:45]
	v_fmac_f64_e32 v[32:33], v[32:33], v[38:39]
	s_delay_alu instid0(VALU_DEP_3) | instskip(NEXT) | instid1(VALU_DEP_3)
	v_add_f64_e32 v[30:31], v[30:31], v[40:41]
	v_add_f64_e64 v[36:37], v[36:37], -v[42:43]
	s_delay_alu instid0(VALU_DEP_3) | instskip(NEXT) | instid1(VALU_DEP_1)
	v_add_f64_e64 v[38:39], -v[32:33], s[30:31]
	v_dual_add_f64 v[30:31], v[30:31], v[36:37] :: v_dual_cndmask_b32 v33, v33, v39, s2
	s_delay_alu instid0(VALU_DEP_2) | instskip(SKIP_2) | instid1(VALU_DEP_3)
	v_cndmask_b32_e64 v32, v32, v38, s2
	v_and_b32_e32 v38, 0x54442d18, v1
	v_and_b32_e32 v1, 0x400921fb, v1
	v_add_f64_e64 v[36:37], -v[32:33], s[34:35]
	s_delay_alu instid0(VALU_DEP_1) | instskip(NEXT) | instid1(VALU_DEP_2)
	v_dual_add_f64 v[30:31], v[50:51], v[30:31] :: v_dual_cndmask_b32 v32, v32, v36, vcc_lo
	v_cndmask_b32_e32 v33, v33, v37, vcc_lo
	v_cndmask_b32_e32 v36, 0x3fe921fb, v63, vcc_lo
	s_delay_alu instid0(VALU_DEP_3) | instskip(SKIP_1) | instid1(VALU_DEP_4)
	v_mul_f64_e32 v[30:31], 0.5, v[30:31]
	v_cmp_ngt_f64_e32 vcc_lo, -1.0, v[34:35]
	v_dual_cndmask_b32 v37, v32, v38, s3 :: v_dual_cndmask_b32 v1, v33, v1, s3
	s_and_b32 s3, s4, s5
	v_bfi_b32 v36, 0x7fffffff, v36, v9
                                        ; implicit-def: $vgpr38_vgpr39
	s_delay_alu instid0(VALU_DEP_4) | instskip(SKIP_2) | instid1(VALU_DEP_1)
	v_cndmask_b32_e64 v32, 0, v30, s3
	v_cmp_neq_f64_e64 s3, -1.0, v[34:35]
	v_cndmask_b32_e64 v31, 0x7ff00000, v31, s5
	v_cndmask_b32_e32 v33, 0x7ff80000, v31, vcc_lo
	s_and_b32 vcc_lo, s8, s7
	v_cndmask_b32_e32 v31, v1, v36, vcc_lo
	v_cndmask_b32_e32 v30, v37, v21, vcc_lo
                                        ; implicit-def: $vgpr36_vgpr37
	s_delay_alu instid0(VALU_DEP_3)
	v_cndmask_b32_e64 v33, 0xfff00000, v33, s3
.LBB191_11:                             ;   in Loop: Header=BB191_5 Depth=1
	s_and_not1_saveexec_b32 s48, s6
	s_cbranch_execz .LBB191_19
; %bb.12:                               ;   in Loop: Header=BB191_5 Depth=1
	v_mul_f64_e32 v[34:35], v[36:37], v[36:37]
                                        ; implicit-def: $vgpr32_vgpr33
                                        ; implicit-def: $vgpr30_vgpr31
	s_mov_b32 s3, exec_lo
	s_delay_alu instid0(VALU_DEP_1) | instskip(NEXT) | instid1(VALU_DEP_1)
	v_fmac_f64_e32 v[34:35], v[38:39], v[38:39]
	v_cmpx_ge_f64_e32 s[36:37], v[34:35]
	s_xor_b32 s5, exec_lo, s3
	s_cbranch_execz .LBB191_14
; %bb.13:                               ;   in Loop: Header=BB191_5 Depth=1
	v_frexp_mant_f64_e32 v[30:31], v[34:35]
	v_cmp_eq_f64_e64 s3, 0, v[8:9]
	v_cmp_neq_f64_e64 s4, 0, v[34:35]
	v_cmp_class_f64_e64 s6, v[8:9], 0x204
	v_cmp_class_f64_e64 s7, v[6:7], 0x204
	v_cmp_gt_f64_e32 vcc_lo, s[26:27], v[30:31]
	v_cndmask_b32_e64 v1, 0, 1, vcc_lo
	s_delay_alu instid0(VALU_DEP_1) | instskip(SKIP_1) | instid1(VALU_DEP_2)
	v_ldexp_f64 v[30:31], v[30:31], v1
	v_frexp_exp_i32_f64_e32 v1, v[34:35]
	v_add_f64_e32 v[32:33], 1.0, v[30:31]
	v_add_f64_e32 v[40:41], -1.0, v[30:31]
	s_delay_alu instid0(VALU_DEP_3) | instskip(NEXT) | instid1(VALU_DEP_3)
	v_subrev_co_ci_u32_e64 v1, null, 0, v1, vcc_lo
	v_rcp_f64_e32 v[36:37], v[32:33]
	v_add_f64_e32 v[42:43], -1.0, v[32:33]
	s_delay_alu instid0(VALU_DEP_1) | instskip(NEXT) | instid1(TRANS32_DEP_1)
	v_add_f64_e64 v[30:31], v[30:31], -v[42:43]
	v_fma_f64 v[38:39], -v[32:33], v[36:37], 1.0
	s_delay_alu instid0(VALU_DEP_1) | instskip(NEXT) | instid1(VALU_DEP_1)
	v_fmac_f64_e32 v[36:37], v[38:39], v[36:37]
	v_fma_f64 v[38:39], -v[32:33], v[36:37], 1.0
	s_delay_alu instid0(VALU_DEP_1) | instskip(NEXT) | instid1(VALU_DEP_1)
	v_fmac_f64_e32 v[36:37], v[38:39], v[36:37]
	v_mul_f64_e32 v[38:39], v[40:41], v[36:37]
	s_delay_alu instid0(VALU_DEP_1) | instskip(NEXT) | instid1(VALU_DEP_1)
	v_mul_f64_e32 v[44:45], v[32:33], v[38:39]
	v_fma_f64 v[32:33], v[38:39], v[32:33], -v[44:45]
	s_delay_alu instid0(VALU_DEP_1) | instskip(NEXT) | instid1(VALU_DEP_1)
	v_fmac_f64_e32 v[32:33], v[38:39], v[30:31]
	v_add_f64_e32 v[30:31], v[44:45], v[32:33]
	s_delay_alu instid0(VALU_DEP_1) | instskip(SKIP_1) | instid1(VALU_DEP_2)
	v_add_f64_e64 v[42:43], v[40:41], -v[30:31]
	v_add_f64_e64 v[44:45], v[30:31], -v[44:45]
	;; [unrolled: 1-line block ×3, first 2 shown]
	s_delay_alu instid0(VALU_DEP_2) | instskip(NEXT) | instid1(VALU_DEP_2)
	v_add_f64_e64 v[32:33], v[44:45], -v[32:33]
	v_add_f64_e64 v[30:31], v[40:41], -v[30:31]
	v_max_num_f64_e64 v[40:41], |v[6:7]|, |v[6:7]|
	s_delay_alu instid0(VALU_DEP_2) | instskip(SKIP_1) | instid1(VALU_DEP_2)
	v_add_f64_e32 v[30:31], v[32:33], v[30:31]
	v_max_num_f64_e64 v[32:33], |v[8:9]|, |v[8:9]|
	v_add_f64_e32 v[30:31], v[42:43], v[30:31]
	s_delay_alu instid0(VALU_DEP_1) | instskip(NEXT) | instid1(VALU_DEP_3)
	v_mul_f64_e32 v[30:31], v[36:37], v[30:31]
	v_max_num_f64_e32 v[36:37], v[40:41], v[32:33]
	v_min_num_f64_e32 v[32:33], v[40:41], v[32:33]
	s_delay_alu instid0(VALU_DEP_3) | instskip(NEXT) | instid1(VALU_DEP_2)
	v_add_f64_e32 v[40:41], v[38:39], v[30:31]
	v_div_scale_f64 v[42:43], null, v[36:37], v[36:37], v[32:33]
	s_delay_alu instid0(VALU_DEP_2) | instskip(NEXT) | instid1(VALU_DEP_2)
	v_mul_f64_e32 v[44:45], v[40:41], v[40:41]
	v_rcp_f64_e32 v[46:47], v[42:43]
	s_delay_alu instid0(VALU_DEP_1) | instskip(SKIP_1) | instid1(VALU_DEP_2)
	v_fmamk_f64 v[48:49], v[44:45], 0x3fc3ab76bf559e2b, v[22:23]
	v_mul_f64_e32 v[50:51], v[40:41], v[44:45]
	v_fmaak_f64 v[48:49], v[44:45], v[48:49], 0x3fc7474dd7f4df2e
	s_delay_alu instid0(TRANS32_DEP_1) | instskip(NEXT) | instid1(VALU_DEP_2)
	v_fma_f64 v[52:53], -v[42:43], v[46:47], 1.0
	v_fmaak_f64 v[48:49], v[44:45], v[48:49], 0x3fcc71c016291751
	s_delay_alu instid0(VALU_DEP_1) | instskip(NEXT) | instid1(VALU_DEP_1)
	v_fmaak_f64 v[48:49], v[44:45], v[48:49], 0x3fd249249b27acf1
	v_fmaak_f64 v[48:49], v[44:45], v[48:49], 0x3fd99999998ef7b6
	s_delay_alu instid0(VALU_DEP_1) | instskip(SKIP_2) | instid1(VALU_DEP_3)
	v_fmaak_f64 v[44:45], v[44:45], v[48:49], 0x3fe5555555555780
	v_ldexp_f64 v[48:49], v[40:41], 1
	v_fmac_f64_e32 v[46:47], v[46:47], v[52:53]
	v_mul_f64_e32 v[44:45], v[50:51], v[44:45]
	v_cvt_f64_i32_e32 v[50:51], v1
	v_ashrrev_i32_e32 v1, 31, v7
	v_add_f64_e64 v[38:39], v[40:41], -v[38:39]
	v_fma_f64 v[52:53], -v[42:43], v[46:47], 1.0
	v_add_f64_e32 v[40:41], v[48:49], v[44:45]
	v_mul_f64_e32 v[54:55], 0x3fe62e42fefa39ef, v[50:51]
	s_delay_alu instid0(VALU_DEP_4) | instskip(NEXT) | instid1(VALU_DEP_4)
	v_add_f64_e64 v[30:31], v[30:31], -v[38:39]
	v_fmac_f64_e32 v[46:47], v[46:47], v[52:53]
	s_delay_alu instid0(VALU_DEP_4) | instskip(SKIP_3) | instid1(VALU_DEP_4)
	v_add_f64_e64 v[38:39], v[40:41], -v[48:49]
	v_div_scale_f64 v[48:49], vcc_lo, v[32:33], v[36:37], v[32:33]
	v_fma_f64 v[52:53], v[50:51], s[28:29], -v[54:55]
	v_ldexp_f64 v[30:31], v[30:31], 1
	v_add_f64_e64 v[38:39], v[44:45], -v[38:39]
	s_delay_alu instid0(VALU_DEP_4) | instskip(NEXT) | instid1(VALU_DEP_4)
	v_mul_f64_e32 v[44:45], v[48:49], v[46:47]
	v_fmac_f64_e32 v[52:53], 0x3c7abc9e3b39803f, v[50:51]
	s_delay_alu instid0(VALU_DEP_3) | instskip(NEXT) | instid1(VALU_DEP_3)
	v_add_f64_e32 v[30:31], v[30:31], v[38:39]
	v_fma_f64 v[38:39], -v[42:43], v[44:45], v[48:49]
	s_delay_alu instid0(VALU_DEP_3) | instskip(NEXT) | instid1(VALU_DEP_3)
	v_add_f64_e32 v[42:43], v[54:55], v[52:53]
	v_add_f64_e32 v[48:49], v[40:41], v[30:31]
	s_delay_alu instid0(VALU_DEP_3) | instskip(SKIP_1) | instid1(VALU_DEP_4)
	v_div_fmas_f64 v[38:39], v[38:39], v[46:47], v[44:45]
	v_cmp_gt_i32_e32 vcc_lo, 0, v7
	v_add_f64_e64 v[46:47], v[42:43], -v[54:55]
	v_cndmask_b32_e32 v21, 0x54442d18, v62, vcc_lo
	v_add_f64_e32 v[44:45], v[42:43], v[48:49]
	v_div_fixup_f64 v[32:33], v[38:39], v[36:37], v[32:33]
	v_add_f64_e64 v[40:41], v[48:49], -v[40:41]
	v_add_f64_e64 v[46:47], v[52:53], -v[46:47]
	s_delay_alu instid0(VALU_DEP_4) | instskip(NEXT) | instid1(VALU_DEP_4)
	v_add_f64_e64 v[36:37], v[44:45], -v[42:43]
	v_mul_f64_e32 v[38:39], v[32:33], v[32:33]
	s_delay_alu instid0(VALU_DEP_4) | instskip(NEXT) | instid1(VALU_DEP_3)
	v_add_f64_e64 v[30:31], v[30:31], -v[40:41]
	v_add_f64_e64 v[50:51], v[44:45], -v[36:37]
	s_delay_alu instid0(VALU_DEP_3) | instskip(SKIP_1) | instid1(VALU_DEP_4)
	v_fmamk_f64 v[54:55], v[38:39], 0x3eeba404b5e68a13, v[24:25]
	v_add_f64_e64 v[36:37], v[48:49], -v[36:37]
	v_add_f64_e32 v[48:49], v[46:47], v[30:31]
	s_delay_alu instid0(VALU_DEP_3) | instskip(NEXT) | instid1(VALU_DEP_1)
	v_fmaak_f64 v[54:55], v[38:39], v[54:55], 0x3f4b2bb069efb384
	v_fmaak_f64 v[54:55], v[38:39], v[54:55], 0xbf67952daf56de9b
	v_add_f64_e64 v[40:41], v[42:43], -v[50:51]
	s_delay_alu instid0(VALU_DEP_2) | instskip(NEXT) | instid1(VALU_DEP_1)
	v_fmaak_f64 v[42:43], v[38:39], v[54:55], 0x3f7d6d43a595c56f
	v_fmaak_f64 v[42:43], v[38:39], v[42:43], 0xbf8c6ea4a57d9582
	s_delay_alu instid0(VALU_DEP_1) | instskip(NEXT) | instid1(VALU_DEP_1)
	v_fmaak_f64 v[42:43], v[38:39], v[42:43], 0x3f967e295f08b19f
	v_fmaak_f64 v[42:43], v[38:39], v[42:43], 0xbf9e9ae6fc27006a
	s_delay_alu instid0(VALU_DEP_1) | instskip(SKIP_1) | instid1(VALU_DEP_2)
	v_fmaak_f64 v[42:43], v[38:39], v[42:43], 0x3fa2c15b5711927a
	v_add_f64_e32 v[36:37], v[36:37], v[40:41]
	v_fmaak_f64 v[40:41], v[38:39], v[42:43], 0xbfa59976e82d3ff0
	v_add_f64_e64 v[42:43], v[48:49], -v[46:47]
	s_delay_alu instid0(VALU_DEP_2) | instskip(NEXT) | instid1(VALU_DEP_1)
	v_fmaak_f64 v[40:41], v[38:39], v[40:41], 0x3fa82d5d6ef28734
	v_fmaak_f64 v[40:41], v[38:39], v[40:41], 0xbfaae5ce6a214619
	s_delay_alu instid0(VALU_DEP_1) | instskip(NEXT) | instid1(VALU_DEP_1)
	v_fmaak_f64 v[40:41], v[38:39], v[40:41], 0x3fae1bb48427b883
	v_fmaak_f64 v[40:41], v[38:39], v[40:41], 0xbfb110e48b207f05
	v_add_f64_e32 v[36:37], v[48:49], v[36:37]
	v_add_f64_e64 v[48:49], v[48:49], -v[42:43]
	v_add_f64_e64 v[30:31], v[30:31], -v[42:43]
	s_delay_alu instid0(VALU_DEP_4) | instskip(NEXT) | instid1(VALU_DEP_1)
	v_fmaak_f64 v[40:41], v[38:39], v[40:41], 0x3fb3b13657b87036
	v_fmaak_f64 v[40:41], v[38:39], v[40:41], 0xbfb745d119378e4f
	s_delay_alu instid0(VALU_DEP_1) | instskip(NEXT) | instid1(VALU_DEP_1)
	v_fmaak_f64 v[40:41], v[38:39], v[40:41], 0x3fbc71c717e1913c
	v_fmaak_f64 v[40:41], v[38:39], v[40:41], 0xbfc2492492376b7d
	v_add_f64_e32 v[50:51], v[44:45], v[36:37]
	s_delay_alu instid0(VALU_DEP_2) | instskip(NEXT) | instid1(VALU_DEP_1)
	v_fmaak_f64 v[40:41], v[38:39], v[40:41], 0x3fc99999999952cc
	v_fmaak_f64 v[40:41], v[38:39], v[40:41], 0xbfd5555555555523
	s_delay_alu instid0(VALU_DEP_1) | instskip(SKIP_2) | instid1(VALU_DEP_3)
	v_mul_f64_e32 v[38:39], v[38:39], v[40:41]
	v_add_f64_e64 v[40:41], v[46:47], -v[48:49]
	v_add_f64_e64 v[42:43], v[50:51], -v[44:45]
	v_fmac_f64_e32 v[32:33], v[32:33], v[38:39]
	s_delay_alu instid0(VALU_DEP_3) | instskip(SKIP_4) | instid1(VALU_DEP_1)
	v_add_f64_e32 v[30:31], v[30:31], v[40:41]
	v_and_b32_e32 v40, 0x54442d18, v1
	v_and_b32_e32 v1, 0x400921fb, v1
	v_add_f64_e64 v[36:37], v[36:37], -v[42:43]
	v_add_f64_e64 v[38:39], -v[32:33], s[30:31]
	v_dual_add_f64 v[30:31], v[30:31], v[36:37] :: v_dual_cndmask_b32 v33, v33, v39, s2
	s_delay_alu instid0(VALU_DEP_2) | instskip(NEXT) | instid1(VALU_DEP_1)
	v_cndmask_b32_e64 v32, v32, v38, s2
	v_add_f64_e64 v[36:37], -v[32:33], s[34:35]
	s_delay_alu instid0(VALU_DEP_1) | instskip(NEXT) | instid1(VALU_DEP_1)
	v_dual_add_f64 v[30:31], v[50:51], v[30:31] :: v_dual_cndmask_b32 v32, v32, v36, vcc_lo
	v_dual_mul_f64 v[38:39], 0.5, v[30:31] :: v_dual_cndmask_b32 v34, v32, v40, s3
	v_cndmask_b32_e32 v30, 0x3fe921fb, v63, vcc_lo
	s_delay_alu instid0(VALU_DEP_4) | instskip(SKIP_1) | instid1(VALU_DEP_2)
	v_cndmask_b32_e32 v31, v33, v37, vcc_lo
	s_and_b32 vcc_lo, s7, s6
                                        ; implicit-def: $vgpr36_vgpr37
	v_bfi_b32 v30, 0x7fffffff, v30, v9
	s_delay_alu instid0(VALU_DEP_2) | instskip(NEXT) | instid1(VALU_DEP_1)
	v_cndmask_b32_e64 v1, v31, v1, s3
	v_dual_cndmask_b32 v31, v1, v30 :: v_dual_cndmask_b32 v30, v34, v21
	v_cndmask_b32_e64 v33, 0xfff00000, v39, s4
	v_cndmask_b32_e64 v32, 0, v38, s4
                                        ; implicit-def: $vgpr38_vgpr39
.LBB191_14:                             ;   in Loop: Header=BB191_5 Depth=1
	s_and_not1_saveexec_b32 s49, s5
	s_cbranch_execz .LBB191_18
; %bb.15:                               ;   in Loop: Header=BB191_5 Depth=1
	v_and_b32_e32 v21, 0x7ffffff8, v39
	v_and_b32_e32 v33, 0x7ffffff8, v37
	v_mov_b32_e32 v32, v20
	s_mov_b32 s50, 0
	s_delay_alu instid0(VALU_DEP_3) | instskip(SKIP_1) | instid1(VALU_DEP_3)
	v_dual_add_f64 v[30:31], v[38:39], -v[20:21] :: v_dual_mov_b32 v40, v20
	v_mov_b32_e32 v38, v20
	v_add_f64_e64 v[34:35], v[36:37], -v[32:33]
	v_add_f64_e32 v[50:51], v[32:33], v[32:33]
	s_delay_alu instid0(VALU_DEP_4) | instskip(NEXT) | instid1(VALU_DEP_3)
	v_dual_mul_f64 v[36:37], v[32:33], v[32:33] :: v_dual_bitop2_b32 v39, -8, v31 bitop3:0x40
	v_dual_add_f64 v[42:43], v[20:21], v[20:21] :: v_dual_bitop2_b32 v41, -8, v35 bitop3:0x40
	s_delay_alu instid0(VALU_DEP_2) | instskip(SKIP_1) | instid1(VALU_DEP_3)
	v_add_f64_e64 v[52:53], v[30:31], -v[38:39]
	v_add_f64_e32 v[56:57], v[38:39], v[38:39]
	v_add_f64_e64 v[54:55], v[34:35], -v[40:41]
	v_add_f64_e32 v[58:59], v[40:41], v[40:41]
	v_mul_f64_e32 v[30:31], v[20:21], v[20:21]
	v_mul_f64_e32 v[34:35], v[50:51], v[40:41]
	;; [unrolled: 1-line block ×11, first 2 shown]
.LBB191_16:                             ;   Parent Loop BB191_5 Depth=1
                                        ; =>  This Inner Loop Header: Depth=2
	v_cmp_nlt_f64_e32 vcc_lo, v[30:31], v[36:37]
	v_dual_cndmask_b32 v55, v31, v37 :: v_dual_cndmask_b32 v54, v30, v36
	v_dual_cndmask_b32 v31, v37, v31 :: v_dual_cndmask_b32 v30, v36, v30
	s_delay_alu instid0(VALU_DEP_2) | instskip(NEXT) | instid1(VALU_DEP_1)
	v_cmp_nlt_f64_e64 s3, v[54:55], v[48:49]
	v_dual_cndmask_b32 v57, v55, v49, s3 :: v_dual_cndmask_b32 v56, v54, v48, s3
	v_dual_cndmask_b32 v37, v49, v55, s3 :: v_dual_cndmask_b32 v36, v48, v54, s3
	s_and_b32 s3, vcc_lo, s3
	s_delay_alu instid0(VALU_DEP_2) | instskip(NEXT) | instid1(VALU_DEP_1)
	v_cmp_nlt_f64_e64 s4, v[56:57], v[34:35]
	v_dual_cndmask_b32 v59, v57, v35, s4 :: v_dual_cndmask_b32 v58, v56, v34, s4
	v_dual_cndmask_b32 v49, v35, v57, s4 :: v_dual_cndmask_b32 v48, v34, v56, s4
	s_delay_alu instid0(VALU_DEP_2) | instskip(NEXT) | instid1(VALU_DEP_1)
	v_cmp_nlt_f64_e64 s5, v[58:59], v[46:47]
	v_dual_cndmask_b32 v61, v59, v47, s5 :: v_dual_cndmask_b32 v60, v58, v46, s5
	v_dual_cndmask_b32 v35, v47, v59, s5 :: v_dual_cndmask_b32 v34, v46, v58, s5
	s_and_b32 s4, s4, s5
	s_delay_alu instid0(VALU_DEP_2) | instskip(NEXT) | instid1(VALU_DEP_1)
	v_cmp_nlt_f64_e64 s6, v[60:61], v[32:33]
	v_dual_cndmask_b32 v65, v61, v33, s6 :: v_dual_cndmask_b32 v64, v60, v32, s6
	v_dual_cndmask_b32 v47, v33, v61, s6 :: v_dual_cndmask_b32 v46, v32, v60, s6
	s_delay_alu instid0(VALU_DEP_2) | instskip(NEXT) | instid1(VALU_DEP_1)
	v_cmp_nlt_f64_e64 s7, v[64:65], v[44:45]
	v_dual_cndmask_b32 v67, v65, v45, s7 :: v_dual_cndmask_b32 v66, v64, v44, s7
	s_and_b32 s5, s6, s7
	v_dual_cndmask_b32 v33, v45, v65, s7 :: v_dual_cndmask_b32 v32, v44, v64, s7
	s_delay_alu instid0(VALU_DEP_2) | instskip(NEXT) | instid1(VALU_DEP_1)
	v_cmp_nlt_f64_e64 s8, v[66:67], v[42:43]
	v_dual_cndmask_b32 v69, v67, v43, s8 :: v_dual_cndmask_b32 v68, v66, v42, s8
	s_and_b32 s5, s5, s8
	;; [unrolled: 5-line block ×6, first 2 shown]
	v_dual_cndmask_b32 v51, v53, v75, s12 :: v_dual_cndmask_b32 v50, v52, v74, s12
	s_and_b32 s4, s5, s4
	s_delay_alu instid0(VALU_DEP_2) | instskip(SKIP_1) | instid1(SALU_CYCLE_1)
	v_mov_b64_e32 v[52:53], v[54:55]
	s_and_b32 s3, s4, s3
	s_and_b32 s3, exec_lo, s3
	s_delay_alu instid0(SALU_CYCLE_1) | instskip(NEXT) | instid1(SALU_CYCLE_1)
	s_or_b32 s50, s3, s50
	s_and_not1_b32 exec_lo, exec_lo, s50
	s_cbranch_execnz .LBB191_16
; %bb.17:                               ;   in Loop: Header=BB191_5 Depth=1
	s_or_b32 exec_lo, exec_lo, s50
	v_add_f64_e32 v[30:31], -1.0, v[30:31]
	v_cmp_eq_f64_e64 s3, 0, v[8:9]
	v_cmp_class_f64_e64 s6, v[8:9], 0x204
	v_cmp_class_f64_e64 s7, v[6:7], 0x204
	s_delay_alu instid0(VALU_DEP_4) | instskip(NEXT) | instid1(VALU_DEP_1)
	v_add_f64_e32 v[30:31], v[30:31], v[36:37]
	v_add_f64_e32 v[30:31], v[30:31], v[48:49]
	s_delay_alu instid0(VALU_DEP_1) | instskip(NEXT) | instid1(VALU_DEP_1)
	v_add_f64_e32 v[30:31], v[30:31], v[34:35]
	v_add_f64_e32 v[30:31], v[30:31], v[46:47]
	s_delay_alu instid0(VALU_DEP_1) | instskip(NEXT) | instid1(VALU_DEP_1)
	;; [unrolled: 3-line block ×5, first 2 shown]
	v_add_f64_e32 v[34:35], v[54:55], v[30:31]
	v_add_f64_e32 v[30:31], 1.0, v[34:35]
	v_cmp_neq_f64_e64 s5, 0x7ff00000, v[34:35]
	s_delay_alu instid0(VALU_DEP_2) | instskip(SKIP_2) | instid1(VALU_DEP_3)
	v_frexp_mant_f64_e32 v[32:33], v[30:31]
	v_frexp_exp_i32_f64_e32 v1, v[30:31]
	v_add_f64_e32 v[36:37], -1.0, v[30:31]
	v_cmp_gt_f64_e32 vcc_lo, s[26:27], v[32:33]
	s_delay_alu instid0(VALU_DEP_2) | instskip(SKIP_2) | instid1(VALU_DEP_3)
	v_add_f64_e64 v[32:33], v[36:37], -v[30:31]
	v_add_f64_e64 v[36:37], v[34:35], -v[36:37]
	v_subrev_co_ci_u32_e64 v1, null, 0, v1, vcc_lo
	v_add_f64_e32 v[32:33], 1.0, v[32:33]
	s_delay_alu instid0(VALU_DEP_2) | instskip(NEXT) | instid1(VALU_DEP_1)
	v_sub_nc_u32_e32 v21, 0, v1
	v_ldexp_f64 v[30:31], v[30:31], v21
	s_delay_alu instid0(VALU_DEP_3) | instskip(NEXT) | instid1(VALU_DEP_2)
	v_add_f64_e32 v[32:33], v[36:37], v[32:33]
	v_add_f64_e32 v[38:39], 1.0, v[30:31]
	v_add_f64_e32 v[44:45], -1.0, v[30:31]
	s_delay_alu instid0(VALU_DEP_3) | instskip(NEXT) | instid1(VALU_DEP_3)
	v_ldexp_f64 v[32:33], v[32:33], v21
	v_add_f64_e32 v[36:37], -1.0, v[38:39]
	s_delay_alu instid0(VALU_DEP_3) | instskip(NEXT) | instid1(VALU_DEP_2)
	v_add_f64_e32 v[46:47], 1.0, v[44:45]
	v_add_f64_e64 v[36:37], v[30:31], -v[36:37]
	s_delay_alu instid0(VALU_DEP_2) | instskip(NEXT) | instid1(VALU_DEP_2)
	v_add_f64_e64 v[30:31], v[30:31], -v[46:47]
	v_add_f64_e32 v[36:37], v[32:33], v[36:37]
	s_delay_alu instid0(VALU_DEP_2) | instskip(NEXT) | instid1(VALU_DEP_2)
	v_add_f64_e32 v[30:31], v[32:33], v[30:31]
	v_add_f64_e32 v[40:41], v[38:39], v[36:37]
	s_delay_alu instid0(VALU_DEP_2) | instskip(NEXT) | instid1(VALU_DEP_2)
	v_add_f64_e32 v[46:47], v[44:45], v[30:31]
	v_rcp_f64_e32 v[42:43], v[40:41]
	v_add_f64_e64 v[38:39], v[40:41], -v[38:39]
	s_delay_alu instid0(VALU_DEP_2) | instskip(NEXT) | instid1(VALU_DEP_2)
	v_add_f64_e64 v[44:45], v[46:47], -v[44:45]
	v_add_f64_e64 v[36:37], v[36:37], -v[38:39]
	s_delay_alu instid0(VALU_DEP_2) | instskip(NEXT) | instid1(TRANS32_DEP_1)
	v_add_f64_e64 v[30:31], v[30:31], -v[44:45]
	v_fma_f64 v[48:49], -v[40:41], v[42:43], 1.0
	s_delay_alu instid0(VALU_DEP_1) | instskip(NEXT) | instid1(VALU_DEP_1)
	v_fmac_f64_e32 v[42:43], v[48:49], v[42:43]
	v_fma_f64 v[32:33], -v[40:41], v[42:43], 1.0
	s_delay_alu instid0(VALU_DEP_1) | instskip(NEXT) | instid1(VALU_DEP_1)
	v_fmac_f64_e32 v[42:43], v[32:33], v[42:43]
	v_mul_f64_e32 v[32:33], v[46:47], v[42:43]
	s_delay_alu instid0(VALU_DEP_1) | instskip(NEXT) | instid1(VALU_DEP_1)
	v_mul_f64_e32 v[48:49], v[40:41], v[32:33]
	v_fma_f64 v[38:39], v[32:33], v[40:41], -v[48:49]
	s_delay_alu instid0(VALU_DEP_1) | instskip(NEXT) | instid1(VALU_DEP_1)
	v_fmac_f64_e32 v[38:39], v[32:33], v[36:37]
	v_add_f64_e32 v[50:51], v[48:49], v[38:39]
	s_delay_alu instid0(VALU_DEP_1) | instskip(SKIP_1) | instid1(VALU_DEP_2)
	v_add_f64_e64 v[52:53], v[46:47], -v[50:51]
	v_add_f64_e64 v[44:45], v[50:51], -v[48:49]
	;; [unrolled: 1-line block ×3, first 2 shown]
	s_delay_alu instid0(VALU_DEP_2) | instskip(NEXT) | instid1(VALU_DEP_2)
	v_add_f64_e64 v[38:39], v[44:45], -v[38:39]
	v_add_f64_e64 v[46:47], v[46:47], -v[50:51]
	s_delay_alu instid0(VALU_DEP_1) | instskip(NEXT) | instid1(VALU_DEP_1)
	v_add_f64_e32 v[30:31], v[30:31], v[46:47]
	v_add_f64_e32 v[30:31], v[38:39], v[30:31]
	s_delay_alu instid0(VALU_DEP_1) | instskip(NEXT) | instid1(VALU_DEP_1)
	v_add_f64_e32 v[38:39], v[52:53], v[30:31]
	v_mul_f64_e32 v[44:45], v[42:43], v[38:39]
	v_add_f64_e64 v[50:51], v[52:53], -v[38:39]
	s_delay_alu instid0(VALU_DEP_2) | instskip(NEXT) | instid1(VALU_DEP_2)
	v_mul_f64_e32 v[46:47], v[40:41], v[44:45]
	v_add_f64_e32 v[30:31], v[30:31], v[50:51]
	s_delay_alu instid0(VALU_DEP_2) | instskip(NEXT) | instid1(VALU_DEP_1)
	v_fma_f64 v[40:41], v[44:45], v[40:41], -v[46:47]
	v_fmac_f64_e32 v[40:41], v[44:45], v[36:37]
	s_delay_alu instid0(VALU_DEP_1) | instskip(NEXT) | instid1(VALU_DEP_1)
	v_add_f64_e32 v[36:37], v[46:47], v[40:41]
	v_add_f64_e64 v[48:49], v[38:39], -v[36:37]
	v_add_f64_e64 v[46:47], v[36:37], -v[46:47]
	s_delay_alu instid0(VALU_DEP_2) | instskip(NEXT) | instid1(VALU_DEP_1)
	v_add_f64_e64 v[38:39], v[38:39], -v[48:49]
	v_add_f64_e64 v[36:37], v[38:39], -v[36:37]
	s_delay_alu instid0(VALU_DEP_3) | instskip(SKIP_1) | instid1(VALU_DEP_3)
	v_add_f64_e64 v[38:39], v[46:47], -v[40:41]
	v_max_num_f64_e64 v[40:41], |v[6:7]|, |v[6:7]|
	v_add_f64_e32 v[30:31], v[30:31], v[36:37]
	v_add_f64_e32 v[36:37], v[32:33], v[44:45]
	s_delay_alu instid0(VALU_DEP_2) | instskip(NEXT) | instid1(VALU_DEP_2)
	v_add_f64_e32 v[30:31], v[38:39], v[30:31]
	v_add_f64_e64 v[32:33], v[36:37], -v[32:33]
	v_max_num_f64_e64 v[38:39], |v[8:9]|, |v[8:9]|
	s_delay_alu instid0(VALU_DEP_3) | instskip(NEXT) | instid1(VALU_DEP_3)
	v_add_f64_e32 v[30:31], v[48:49], v[30:31]
	v_add_f64_e64 v[32:33], v[44:45], -v[32:33]
	s_delay_alu instid0(VALU_DEP_2) | instskip(NEXT) | instid1(VALU_DEP_1)
	v_mul_f64_e32 v[30:31], v[42:43], v[30:31]
	v_add_f64_e32 v[30:31], v[32:33], v[30:31]
	v_max_num_f64_e32 v[32:33], v[40:41], v[38:39]
	v_min_num_f64_e32 v[38:39], v[40:41], v[38:39]
	s_delay_alu instid0(VALU_DEP_3) | instskip(NEXT) | instid1(VALU_DEP_2)
	v_add_f64_e32 v[40:41], v[36:37], v[30:31]
	v_div_scale_f64 v[42:43], null, v[32:33], v[32:33], v[38:39]
	s_delay_alu instid0(VALU_DEP_2) | instskip(SKIP_1) | instid1(VALU_DEP_3)
	v_mul_f64_e32 v[44:45], v[40:41], v[40:41]
	v_add_f64_e64 v[36:37], v[40:41], -v[36:37]
	v_rcp_f64_e32 v[46:47], v[42:43]
	s_delay_alu instid0(VALU_DEP_2) | instskip(SKIP_1) | instid1(VALU_DEP_3)
	v_fmamk_f64 v[48:49], v[44:45], 0x3fc3ab76bf559e2b, v[22:23]
	v_mul_f64_e32 v[50:51], v[40:41], v[44:45]
	v_add_f64_e64 v[30:31], v[30:31], -v[36:37]
	s_delay_alu instid0(VALU_DEP_3) | instskip(NEXT) | instid1(TRANS32_DEP_1)
	v_fmaak_f64 v[48:49], v[44:45], v[48:49], 0x3fc7474dd7f4df2e
	v_fma_f64 v[52:53], -v[42:43], v[46:47], 1.0
	s_delay_alu instid0(VALU_DEP_2) | instskip(NEXT) | instid1(VALU_DEP_1)
	v_fmaak_f64 v[48:49], v[44:45], v[48:49], 0x3fcc71c016291751
	v_fmaak_f64 v[48:49], v[44:45], v[48:49], 0x3fd249249b27acf1
	s_delay_alu instid0(VALU_DEP_1) | instskip(SKIP_1) | instid1(VALU_DEP_2)
	v_fmaak_f64 v[48:49], v[44:45], v[48:49], 0x3fd99999998ef7b6
	v_ldexp_f64 v[30:31], v[30:31], 1
	v_fmaak_f64 v[44:45], v[44:45], v[48:49], 0x3fe5555555555780
	v_ldexp_f64 v[48:49], v[40:41], 1
	v_fmac_f64_e32 v[46:47], v[46:47], v[52:53]
	s_delay_alu instid0(VALU_DEP_3) | instskip(SKIP_2) | instid1(VALU_DEP_4)
	v_mul_f64_e32 v[44:45], v[50:51], v[44:45]
	v_cvt_f64_i32_e32 v[50:51], v1
	v_ashrrev_i32_e32 v1, 31, v7
	v_fma_f64 v[52:53], -v[42:43], v[46:47], 1.0
	s_delay_alu instid0(VALU_DEP_4) | instskip(NEXT) | instid1(VALU_DEP_4)
	v_add_f64_e32 v[40:41], v[48:49], v[44:45]
	v_mul_f64_e32 v[54:55], 0x3fe62e42fefa39ef, v[50:51]
	s_delay_alu instid0(VALU_DEP_3) | instskip(NEXT) | instid1(VALU_DEP_3)
	v_fmac_f64_e32 v[46:47], v[46:47], v[52:53]
	v_add_f64_e64 v[36:37], v[40:41], -v[48:49]
	v_div_scale_f64 v[48:49], vcc_lo, v[38:39], v[32:33], v[38:39]
	s_delay_alu instid0(VALU_DEP_4) | instskip(NEXT) | instid1(VALU_DEP_3)
	v_fma_f64 v[52:53], v[50:51], s[28:29], -v[54:55]
	v_add_f64_e64 v[36:37], v[44:45], -v[36:37]
	s_delay_alu instid0(VALU_DEP_3) | instskip(NEXT) | instid1(VALU_DEP_3)
	v_mul_f64_e32 v[44:45], v[48:49], v[46:47]
	v_fmac_f64_e32 v[52:53], 0x3c7abc9e3b39803f, v[50:51]
	s_delay_alu instid0(VALU_DEP_3) | instskip(NEXT) | instid1(VALU_DEP_3)
	v_add_f64_e32 v[30:31], v[30:31], v[36:37]
	v_fma_f64 v[36:37], -v[42:43], v[44:45], v[48:49]
	s_delay_alu instid0(VALU_DEP_3) | instskip(NEXT) | instid1(VALU_DEP_3)
	v_add_f64_e32 v[42:43], v[54:55], v[52:53]
	v_add_f64_e32 v[48:49], v[40:41], v[30:31]
	s_delay_alu instid0(VALU_DEP_3) | instskip(SKIP_1) | instid1(VALU_DEP_4)
	v_div_fmas_f64 v[36:37], v[36:37], v[46:47], v[44:45]
	v_cmp_gt_i32_e32 vcc_lo, 0, v7
	v_add_f64_e64 v[46:47], v[42:43], -v[54:55]
	v_cndmask_b32_e32 v21, 0x54442d18, v62, vcc_lo
	v_add_f64_e32 v[44:45], v[42:43], v[48:49]
	v_div_fixup_f64 v[32:33], v[36:37], v[32:33], v[38:39]
	v_add_f64_e64 v[40:41], v[48:49], -v[40:41]
	v_add_f64_e64 v[46:47], v[52:53], -v[46:47]
	s_delay_alu instid0(VALU_DEP_4) | instskip(NEXT) | instid1(VALU_DEP_4)
	v_add_f64_e64 v[36:37], v[44:45], -v[42:43]
	v_mul_f64_e32 v[38:39], v[32:33], v[32:33]
	s_delay_alu instid0(VALU_DEP_4) | instskip(NEXT) | instid1(VALU_DEP_3)
	v_add_f64_e64 v[30:31], v[30:31], -v[40:41]
	v_add_f64_e64 v[50:51], v[44:45], -v[36:37]
	s_delay_alu instid0(VALU_DEP_3) | instskip(SKIP_1) | instid1(VALU_DEP_4)
	v_fmamk_f64 v[54:55], v[38:39], 0x3eeba404b5e68a13, v[24:25]
	v_add_f64_e64 v[36:37], v[48:49], -v[36:37]
	v_add_f64_e32 v[48:49], v[46:47], v[30:31]
	s_delay_alu instid0(VALU_DEP_3) | instskip(SKIP_1) | instid1(VALU_DEP_2)
	v_fmaak_f64 v[54:55], v[38:39], v[54:55], 0x3f4b2bb069efb384
	v_add_f64_e64 v[40:41], v[42:43], -v[50:51]
	v_fmaak_f64 v[42:43], v[38:39], v[54:55], 0xbf67952daf56de9b
	s_delay_alu instid0(VALU_DEP_1) | instskip(NEXT) | instid1(VALU_DEP_1)
	v_fmaak_f64 v[42:43], v[38:39], v[42:43], 0x3f7d6d43a595c56f
	v_fmaak_f64 v[42:43], v[38:39], v[42:43], 0xbf8c6ea4a57d9582
	s_delay_alu instid0(VALU_DEP_1) | instskip(NEXT) | instid1(VALU_DEP_1)
	v_fmaak_f64 v[42:43], v[38:39], v[42:43], 0x3f967e295f08b19f
	v_fmaak_f64 v[42:43], v[38:39], v[42:43], 0xbf9e9ae6fc27006a
	v_add_f64_e32 v[36:37], v[36:37], v[40:41]
	s_delay_alu instid0(VALU_DEP_2) | instskip(SKIP_1) | instid1(VALU_DEP_2)
	v_fmaak_f64 v[40:41], v[38:39], v[42:43], 0x3fa2c15b5711927a
	v_add_f64_e64 v[42:43], v[48:49], -v[46:47]
	v_fmaak_f64 v[40:41], v[38:39], v[40:41], 0xbfa59976e82d3ff0
	s_delay_alu instid0(VALU_DEP_1) | instskip(NEXT) | instid1(VALU_DEP_1)
	v_fmaak_f64 v[40:41], v[38:39], v[40:41], 0x3fa82d5d6ef28734
	v_fmaak_f64 v[40:41], v[38:39], v[40:41], 0xbfaae5ce6a214619
	s_delay_alu instid0(VALU_DEP_1) | instskip(SKIP_3) | instid1(VALU_DEP_4)
	v_fmaak_f64 v[40:41], v[38:39], v[40:41], 0x3fae1bb48427b883
	v_add_f64_e32 v[36:37], v[48:49], v[36:37]
	v_add_f64_e64 v[48:49], v[48:49], -v[42:43]
	v_add_f64_e64 v[30:31], v[30:31], -v[42:43]
	v_fmaak_f64 v[40:41], v[38:39], v[40:41], 0xbfb110e48b207f05
	s_delay_alu instid0(VALU_DEP_1) | instskip(NEXT) | instid1(VALU_DEP_1)
	v_fmaak_f64 v[40:41], v[38:39], v[40:41], 0x3fb3b13657b87036
	v_fmaak_f64 v[40:41], v[38:39], v[40:41], 0xbfb745d119378e4f
	s_delay_alu instid0(VALU_DEP_1) | instskip(SKIP_1) | instid1(VALU_DEP_2)
	v_fmaak_f64 v[40:41], v[38:39], v[40:41], 0x3fbc71c717e1913c
	v_add_f64_e32 v[50:51], v[44:45], v[36:37]
	v_fmaak_f64 v[40:41], v[38:39], v[40:41], 0xbfc2492492376b7d
	s_delay_alu instid0(VALU_DEP_1) | instskip(NEXT) | instid1(VALU_DEP_1)
	v_fmaak_f64 v[40:41], v[38:39], v[40:41], 0x3fc99999999952cc
	v_fmaak_f64 v[40:41], v[38:39], v[40:41], 0xbfd5555555555523
	s_delay_alu instid0(VALU_DEP_1) | instskip(SKIP_2) | instid1(VALU_DEP_3)
	v_mul_f64_e32 v[38:39], v[38:39], v[40:41]
	v_add_f64_e64 v[40:41], v[46:47], -v[48:49]
	v_add_f64_e64 v[42:43], v[50:51], -v[44:45]
	v_fmac_f64_e32 v[32:33], v[32:33], v[38:39]
	s_delay_alu instid0(VALU_DEP_3) | instskip(NEXT) | instid1(VALU_DEP_3)
	v_add_f64_e32 v[30:31], v[30:31], v[40:41]
	v_add_f64_e64 v[36:37], v[36:37], -v[42:43]
	s_delay_alu instid0(VALU_DEP_3) | instskip(NEXT) | instid1(VALU_DEP_1)
	v_add_f64_e64 v[38:39], -v[32:33], s[30:31]
	v_dual_add_f64 v[30:31], v[30:31], v[36:37] :: v_dual_cndmask_b32 v33, v33, v39, s2
	s_delay_alu instid0(VALU_DEP_2) | instskip(SKIP_2) | instid1(VALU_DEP_3)
	v_cndmask_b32_e64 v32, v32, v38, s2
	v_and_b32_e32 v38, 0x54442d18, v1
	v_and_b32_e32 v1, 0x400921fb, v1
	v_add_f64_e64 v[36:37], -v[32:33], s[34:35]
	s_delay_alu instid0(VALU_DEP_1) | instskip(SKIP_1) | instid1(VALU_DEP_2)
	v_dual_add_f64 v[30:31], v[50:51], v[30:31] :: v_dual_cndmask_b32 v32, v32, v36, vcc_lo
	v_cndmask_b32_e32 v36, 0x3fe921fb, v63, vcc_lo
	v_dual_mul_f64 v[30:31], 0.5, v[30:31] :: v_dual_cndmask_b32 v33, v33, v37, vcc_lo
	v_cmp_ngt_f64_e32 vcc_lo, -1.0, v[34:35]
	s_delay_alu instid0(VALU_DEP_4) | instskip(NEXT) | instid1(VALU_DEP_4)
	v_cndmask_b32_e64 v37, v32, v38, s3
	v_bfi_b32 v36, 0x7fffffff, v36, v9
	s_delay_alu instid0(VALU_DEP_4) | instskip(SKIP_1) | instid1(VALU_DEP_1)
	v_cndmask_b32_e64 v1, v33, v1, s3
	v_cndmask_b32_e64 v31, 0x7ff00000, v31, s5
	v_cndmask_b32_e32 v33, 0x7ff80000, v31, vcc_lo
	s_and_b32 vcc_lo, s7, s6
	s_delay_alu instid0(VALU_DEP_3) | instskip(SKIP_2) | instid1(SALU_CYCLE_1)
	v_cndmask_b32_e32 v31, v1, v36, vcc_lo
	v_cmp_nge_f64_e64 s4, -1.0, v[34:35]
	s_and_b32 s3, s4, s5
	v_cndmask_b32_e64 v32, 0, v30, s3
	v_cmp_neq_f64_e64 s3, -1.0, v[34:35]
	v_cndmask_b32_e32 v30, v37, v21, vcc_lo
	s_delay_alu instid0(VALU_DEP_2)
	v_cndmask_b32_e64 v33, 0xfff00000, v33, s3
.LBB191_18:                             ;   in Loop: Header=BB191_5 Depth=1
	s_or_b32 exec_lo, exec_lo, s49
.LBB191_19:                             ;   in Loop: Header=BB191_5 Depth=1
	s_delay_alu instid0(SALU_CYCLE_1)
	s_or_b32 exec_lo, exec_lo, s48
.LBB191_20:                             ;   in Loop: Header=BB191_5 Depth=1
	s_and_not1_saveexec_b32 s5, s47
	s_cbranch_execz .LBB191_22
; %bb.21:                               ;   in Loop: Header=BB191_5 Depth=1
	v_max_num_f64_e64 v[30:31], |v[8:9]|, |v[8:9]|
	v_max_num_f64_e64 v[32:33], |v[6:7]|, |v[6:7]|
	v_cmp_eq_f64_e64 s4, 0, v[8:9]
	v_cmp_class_f64_e64 s6, v[6:7], 0x204
	v_cmp_class_f64_e64 s7, v[8:9], 0x204
	s_delay_alu instid0(VALU_DEP_4) | instskip(SKIP_2) | instid1(VALU_DEP_2)
	v_max_num_f64_e32 v[34:35], v[32:33], v[30:31]
	v_min_num_f64_e32 v[30:31], v[32:33], v[30:31]
	s_or_b32 s3, s6, s7
	v_frexp_exp_i32_f64_e32 v1, v[34:35]
	s_delay_alu instid0(VALU_DEP_1) | instskip(NEXT) | instid1(VALU_DEP_1)
	v_sub_nc_u32_e32 v21, 0, v1
	v_ldexp_f64 v[36:37], |v[8:9]|, v21
	v_ldexp_f64 v[38:39], |v[6:7]|, v21
	s_delay_alu instid0(VALU_DEP_2) | instskip(NEXT) | instid1(VALU_DEP_1)
	v_mul_f64_e32 v[36:37], v[36:37], v[36:37]
	v_fmac_f64_e32 v[36:37], v[38:39], v[38:39]
	s_delay_alu instid0(VALU_DEP_1) | instskip(SKIP_1) | instid1(TRANS32_DEP_1)
	v_rsq_f64_e32 v[38:39], v[36:37]
	v_cmp_eq_f64_e32 vcc_lo, 0, v[36:37]
	v_mul_f64_e32 v[40:41], v[36:37], v[38:39]
	v_mul_f64_e32 v[38:39], 0.5, v[38:39]
	s_delay_alu instid0(VALU_DEP_1) | instskip(NEXT) | instid1(VALU_DEP_1)
	v_fma_f64 v[42:43], -v[38:39], v[40:41], 0.5
	v_fmac_f64_e32 v[40:41], v[40:41], v[42:43]
	v_fmac_f64_e32 v[38:39], v[38:39], v[42:43]
	s_delay_alu instid0(VALU_DEP_2) | instskip(NEXT) | instid1(VALU_DEP_1)
	v_fma_f64 v[42:43], -v[40:41], v[40:41], v[36:37]
	v_fmac_f64_e32 v[40:41], v[42:43], v[38:39]
	s_delay_alu instid0(VALU_DEP_1) | instskip(NEXT) | instid1(VALU_DEP_1)
	v_dual_cndmask_b32 v37, v41, v37 :: v_dual_cndmask_b32 v36, v40, v36
	v_ldexp_f64 v[36:37], v[36:37], v1
	s_delay_alu instid0(VALU_DEP_1) | instskip(NEXT) | instid1(VALU_DEP_2)
	v_cndmask_b32_e64 v37, v37, 0x7ff00000, s3
	v_cndmask_b32_e64 v36, v36, 0, s3
	s_delay_alu instid0(VALU_DEP_1) | instskip(SKIP_1) | instid1(VALU_DEP_2)
	v_frexp_mant_f64_e32 v[38:39], v[36:37]
	v_cmp_class_f64_e64 s3, v[36:37], 0x204
	v_cmp_gt_f64_e32 vcc_lo, s[26:27], v[38:39]
	v_cndmask_b32_e64 v1, 0, 1, vcc_lo
	s_delay_alu instid0(VALU_DEP_1) | instskip(SKIP_1) | instid1(VALU_DEP_2)
	v_ldexp_f64 v[38:39], v[38:39], v1
	v_frexp_exp_i32_f64_e32 v1, v[36:37]
	v_add_f64_e32 v[40:41], 1.0, v[38:39]
	v_add_f64_e32 v[46:47], -1.0, v[38:39]
	s_delay_alu instid0(VALU_DEP_3) | instskip(SKIP_1) | instid1(VALU_DEP_4)
	v_subrev_co_ci_u32_e64 v1, null, 0, v1, vcc_lo
	v_div_scale_f64 v[54:55], vcc_lo, v[30:31], v[34:35], v[30:31]
	v_rcp_f64_e32 v[42:43], v[40:41]
	v_add_f64_e32 v[48:49], -1.0, v[40:41]
	s_delay_alu instid0(VALU_DEP_1) | instskip(NEXT) | instid1(TRANS32_DEP_1)
	v_add_f64_e64 v[38:39], v[38:39], -v[48:49]
	v_fma_f64 v[44:45], -v[40:41], v[42:43], 1.0
	s_delay_alu instid0(VALU_DEP_1) | instskip(NEXT) | instid1(VALU_DEP_1)
	v_fmac_f64_e32 v[42:43], v[44:45], v[42:43]
	v_fma_f64 v[44:45], -v[40:41], v[42:43], 1.0
	s_delay_alu instid0(VALU_DEP_1) | instskip(NEXT) | instid1(VALU_DEP_1)
	v_fmac_f64_e32 v[42:43], v[44:45], v[42:43]
	v_mul_f64_e32 v[44:45], v[46:47], v[42:43]
	s_delay_alu instid0(VALU_DEP_1) | instskip(NEXT) | instid1(VALU_DEP_1)
	v_mul_f64_e32 v[50:51], v[40:41], v[44:45]
	v_fma_f64 v[40:41], v[44:45], v[40:41], -v[50:51]
	s_delay_alu instid0(VALU_DEP_1) | instskip(NEXT) | instid1(VALU_DEP_1)
	v_fmac_f64_e32 v[40:41], v[44:45], v[38:39]
	v_add_f64_e32 v[38:39], v[50:51], v[40:41]
	s_delay_alu instid0(VALU_DEP_1) | instskip(SKIP_1) | instid1(VALU_DEP_2)
	v_add_f64_e64 v[48:49], v[46:47], -v[38:39]
	v_add_f64_e64 v[50:51], v[38:39], -v[50:51]
	;; [unrolled: 1-line block ×3, first 2 shown]
	s_delay_alu instid0(VALU_DEP_2) | instskip(NEXT) | instid1(VALU_DEP_2)
	v_add_f64_e64 v[40:41], v[50:51], -v[40:41]
	v_add_f64_e64 v[38:39], v[46:47], -v[38:39]
	s_delay_alu instid0(VALU_DEP_1) | instskip(NEXT) | instid1(VALU_DEP_1)
	v_add_f64_e32 v[38:39], v[40:41], v[38:39]
	v_add_f64_e32 v[38:39], v[48:49], v[38:39]
	s_delay_alu instid0(VALU_DEP_1) | instskip(SKIP_1) | instid1(VALU_DEP_2)
	v_mul_f64_e32 v[32:33], v[42:43], v[38:39]
	v_div_scale_f64 v[38:39], null, v[34:35], v[34:35], v[30:31]
	v_add_f64_e32 v[40:41], v[44:45], v[32:33]
	s_delay_alu instid0(VALU_DEP_2) | instskip(NEXT) | instid1(VALU_DEP_1)
	v_rcp_f64_e32 v[42:43], v[38:39]
	v_mul_f64_e32 v[46:47], v[40:41], v[40:41]
	s_delay_alu instid0(TRANS32_DEP_1) | instskip(NEXT) | instid1(VALU_DEP_2)
	v_fma_f64 v[50:51], -v[38:39], v[42:43], 1.0
	v_fmamk_f64 v[48:49], v[46:47], 0x3fc3ab76bf559e2b, v[22:23]
	v_mul_f64_e32 v[52:53], v[40:41], v[46:47]
	s_delay_alu instid0(VALU_DEP_3) | instskip(NEXT) | instid1(VALU_DEP_3)
	v_fmac_f64_e32 v[42:43], v[42:43], v[50:51]
	v_fmaak_f64 v[48:49], v[46:47], v[48:49], 0x3fc7474dd7f4df2e
	s_delay_alu instid0(VALU_DEP_1) | instskip(NEXT) | instid1(VALU_DEP_1)
	v_fmaak_f64 v[48:49], v[46:47], v[48:49], 0x3fcc71c016291751
	v_fmaak_f64 v[48:49], v[46:47], v[48:49], 0x3fd249249b27acf1
	s_delay_alu instid0(VALU_DEP_1) | instskip(NEXT) | instid1(VALU_DEP_1)
	v_fmaak_f64 v[48:49], v[46:47], v[48:49], 0x3fd99999998ef7b6
	v_fmaak_f64 v[46:47], v[46:47], v[48:49], 0x3fe5555555555780
	v_ldexp_f64 v[48:49], v[40:41], 1
	v_add_f64_e64 v[40:41], v[40:41], -v[44:45]
	v_fma_f64 v[50:51], -v[38:39], v[42:43], 1.0
	s_delay_alu instid0(VALU_DEP_4) | instskip(SKIP_1) | instid1(VALU_DEP_4)
	v_mul_f64_e32 v[46:47], v[52:53], v[46:47]
	v_cvt_f64_i32_e32 v[52:53], v1
	v_dual_add_f64 v[32:33], v[32:33], -v[40:41] :: v_dual_ashrrev_i32 v1, 31, v7
	s_delay_alu instid0(VALU_DEP_4) | instskip(NEXT) | instid1(VALU_DEP_4)
	v_fmac_f64_e32 v[42:43], v[42:43], v[50:51]
	v_add_f64_e32 v[44:45], v[48:49], v[46:47]
	s_delay_alu instid0(VALU_DEP_4) | instskip(NEXT) | instid1(VALU_DEP_4)
	v_mul_f64_e32 v[50:51], 0x3fe62e42fefa39ef, v[52:53]
	v_ldexp_f64 v[32:33], v[32:33], 1
	s_delay_alu instid0(VALU_DEP_3) | instskip(SKIP_1) | instid1(VALU_DEP_4)
	v_add_f64_e64 v[40:41], v[44:45], -v[48:49]
	v_mul_f64_e32 v[48:49], v[54:55], v[42:43]
	v_fma_f64 v[56:57], v[52:53], s[28:29], -v[50:51]
	s_delay_alu instid0(VALU_DEP_3) | instskip(NEXT) | instid1(VALU_DEP_3)
	v_add_f64_e64 v[40:41], v[46:47], -v[40:41]
	v_fma_f64 v[38:39], -v[38:39], v[48:49], v[54:55]
	s_delay_alu instid0(VALU_DEP_3) | instskip(NEXT) | instid1(VALU_DEP_3)
	v_fmac_f64_e32 v[56:57], 0x3c7abc9e3b39803f, v[52:53]
	v_add_f64_e32 v[32:33], v[32:33], v[40:41]
	s_delay_alu instid0(VALU_DEP_3) | instskip(NEXT) | instid1(VALU_DEP_3)
	v_div_fmas_f64 v[38:39], v[38:39], v[42:43], v[48:49]
	v_add_f64_e32 v[40:41], v[50:51], v[56:57]
	v_cmp_gt_i32_e32 vcc_lo, 0, v7
	v_cndmask_b32_e32 v21, 0x54442d18, v62, vcc_lo
	v_add_f64_e32 v[42:43], v[44:45], v[32:33]
	v_div_fixup_f64 v[30:31], v[38:39], v[34:35], v[30:31]
	v_add_f64_e64 v[50:51], v[40:41], -v[50:51]
	s_delay_alu instid0(VALU_DEP_3) | instskip(NEXT) | instid1(VALU_DEP_3)
	v_add_f64_e32 v[34:35], v[40:41], v[42:43]
	v_mul_f64_e32 v[38:39], v[30:31], v[30:31]
	v_add_f64_e64 v[44:45], v[42:43], -v[44:45]
	s_delay_alu instid0(VALU_DEP_4) | instskip(NEXT) | instid1(VALU_DEP_4)
	v_add_f64_e64 v[50:51], v[56:57], -v[50:51]
	v_add_f64_e64 v[46:47], v[34:35], -v[40:41]
	s_delay_alu instid0(VALU_DEP_4) | instskip(NEXT) | instid1(VALU_DEP_4)
	v_fmamk_f64 v[48:49], v[38:39], 0x3eeba404b5e68a13, v[24:25]
	v_add_f64_e64 v[32:33], v[32:33], -v[44:45]
	s_delay_alu instid0(VALU_DEP_2) | instskip(NEXT) | instid1(VALU_DEP_1)
	v_fmaak_f64 v[48:49], v[38:39], v[48:49], 0x3f4b2bb069efb384
	v_fmaak_f64 v[48:49], v[38:39], v[48:49], 0xbf67952daf56de9b
	s_delay_alu instid0(VALU_DEP_1) | instskip(NEXT) | instid1(VALU_DEP_1)
	v_fmaak_f64 v[48:49], v[38:39], v[48:49], 0x3f7d6d43a595c56f
	v_fmaak_f64 v[48:49], v[38:39], v[48:49], 0xbf8c6ea4a57d9582
	v_add_f64_e64 v[52:53], v[34:35], -v[46:47]
	v_add_f64_e64 v[42:43], v[42:43], -v[46:47]
	v_add_f64_e32 v[46:47], v[50:51], v[32:33]
	s_delay_alu instid0(VALU_DEP_4) | instskip(NEXT) | instid1(VALU_DEP_1)
	v_fmaak_f64 v[48:49], v[38:39], v[48:49], 0x3f967e295f08b19f
	v_fmaak_f64 v[44:45], v[38:39], v[48:49], 0xbf9e9ae6fc27006a
	s_delay_alu instid0(VALU_DEP_1) | instskip(NEXT) | instid1(VALU_DEP_1)
	v_fmaak_f64 v[44:45], v[38:39], v[44:45], 0x3fa2c15b5711927a
	v_fmaak_f64 v[44:45], v[38:39], v[44:45], 0xbfa59976e82d3ff0
	s_delay_alu instid0(VALU_DEP_1) | instskip(SKIP_1) | instid1(VALU_DEP_2)
	v_fmaak_f64 v[44:45], v[38:39], v[44:45], 0x3fa82d5d6ef28734
	v_add_f64_e64 v[40:41], v[40:41], -v[52:53]
	v_fmaak_f64 v[44:45], v[38:39], v[44:45], 0xbfaae5ce6a214619
	s_delay_alu instid0(VALU_DEP_2) | instskip(NEXT) | instid1(VALU_DEP_2)
	v_add_f64_e32 v[40:41], v[42:43], v[40:41]
	v_fmaak_f64 v[42:43], v[38:39], v[44:45], 0x3fae1bb48427b883
	v_add_f64_e64 v[44:45], v[46:47], -v[50:51]
	s_delay_alu instid0(VALU_DEP_2) | instskip(NEXT) | instid1(VALU_DEP_1)
	v_fmaak_f64 v[42:43], v[38:39], v[42:43], 0xbfb110e48b207f05
	v_fmaak_f64 v[42:43], v[38:39], v[42:43], 0x3fb3b13657b87036
	s_delay_alu instid0(VALU_DEP_1) | instskip(NEXT) | instid1(VALU_DEP_1)
	v_fmaak_f64 v[42:43], v[38:39], v[42:43], 0xbfb745d119378e4f
	v_fmaak_f64 v[42:43], v[38:39], v[42:43], 0x3fbc71c717e1913c
	v_add_f64_e32 v[40:41], v[46:47], v[40:41]
	v_add_f64_e64 v[32:33], v[32:33], -v[44:45]
	s_delay_alu instid0(VALU_DEP_3) | instskip(NEXT) | instid1(VALU_DEP_1)
	v_fmaak_f64 v[42:43], v[38:39], v[42:43], 0xbfc2492492376b7d
	v_fmaak_f64 v[42:43], v[38:39], v[42:43], 0x3fc99999999952cc
	s_delay_alu instid0(VALU_DEP_1) | instskip(NEXT) | instid1(VALU_DEP_1)
	v_fmaak_f64 v[42:43], v[38:39], v[42:43], 0xbfd5555555555523
	v_mul_f64_e32 v[38:39], v[38:39], v[42:43]
	v_add_f64_e64 v[42:43], v[46:47], -v[44:45]
	v_add_f64_e32 v[46:47], v[34:35], v[40:41]
	s_delay_alu instid0(VALU_DEP_3) | instskip(NEXT) | instid1(VALU_DEP_3)
	v_fmac_f64_e32 v[30:31], v[30:31], v[38:39]
	v_add_f64_e64 v[38:39], v[50:51], -v[42:43]
	s_delay_alu instid0(VALU_DEP_3) | instskip(NEXT) | instid1(VALU_DEP_3)
	v_add_f64_e64 v[34:35], v[46:47], -v[34:35]
	v_add_f64_e64 v[42:43], -v[30:31], s[30:31]
	s_delay_alu instid0(VALU_DEP_3) | instskip(SKIP_4) | instid1(VALU_DEP_2)
	v_add_f64_e32 v[32:33], v[32:33], v[38:39]
	v_and_b32_e32 v38, 0x54442d18, v1
	v_and_b32_e32 v1, 0x400921fb, v1
	v_add_f64_e64 v[34:35], v[40:41], -v[34:35]
	v_dual_cndmask_b32 v31, v31, v43, s2 :: v_dual_cndmask_b32 v30, v30, v42, s2
	v_add_f64_e32 v[32:33], v[32:33], v[34:35]
	s_delay_alu instid0(VALU_DEP_2) | instskip(NEXT) | instid1(VALU_DEP_2)
	v_add_f64_e64 v[34:35], -v[30:31], s[34:35]
	v_add_f64_e32 v[32:33], v[46:47], v[32:33]
	s_delay_alu instid0(VALU_DEP_2) | instskip(SKIP_1) | instid1(VALU_DEP_4)
	v_cndmask_b32_e32 v30, v30, v34, vcc_lo
	v_cndmask_b32_e32 v34, 0x3fe921fb, v63, vcc_lo
	;; [unrolled: 1-line block ×3, first 2 shown]
	v_cmp_ngt_f64_e32 vcc_lo, 0, v[36:37]
	s_delay_alu instid0(VALU_DEP_4) | instskip(NEXT) | instid1(VALU_DEP_4)
	v_cndmask_b32_e64 v30, v30, v38, s4
	v_bfi_b32 v34, 0x7fffffff, v34, v9
	s_delay_alu instid0(VALU_DEP_4) | instskip(SKIP_2) | instid1(VALU_DEP_2)
	v_dual_cndmask_b32 v1, v31, v1, s4 :: v_dual_cndmask_b32 v32, v32, v36, s3
	v_cndmask_b32_e64 v33, v33, v37, s3
	v_cmp_nge_f64_e64 s3, 0, v[36:37]
	v_cndmask_b32_e32 v33, 0x7ff80000, v33, vcc_lo
	s_and_b32 vcc_lo, s6, s7
	v_dual_cndmask_b32 v31, v1, v34 :: v_dual_cndmask_b32 v30, v30, v21
	v_cndmask_b32_e64 v32, 0, v32, s3
	v_cmp_neq_f64_e64 s3, 0, v[36:37]
	s_delay_alu instid0(VALU_DEP_1)
	v_cndmask_b32_e64 v33, 0xfff00000, v33, s3
.LBB191_22:                             ;   in Loop: Header=BB191_5 Depth=1
	s_or_b32 exec_lo, exec_lo, s5
                                        ; implicit-def: $vgpr36_vgpr37
.LBB191_23:                             ;   in Loop: Header=BB191_5 Depth=1
	s_and_not1_saveexec_b32 s5, s46
	s_cbranch_execz .LBB191_29
; %bb.24:                               ;   in Loop: Header=BB191_5 Depth=1
                                        ; implicit-def: $vgpr32_vgpr33
                                        ; implicit-def: $vgpr30_vgpr31
	s_mov_b32 s3, exec_lo
	v_cmpx_ngt_f64_e32 s[38:39], v[36:37]
	s_xor_b32 s6, exec_lo, s3
	s_cbranch_execz .LBB191_26
; %bb.25:                               ;   in Loop: Header=BB191_5 Depth=1
	v_mul_f64_e32 v[30:31], v[36:37], v[36:37]
	v_cmp_eq_f64_e64 s3, 0, v[8:9]
	v_cmp_class_f64_e64 s7, v[8:9], 0x204
	v_cmp_class_f64_e64 s8, v[6:7], 0x204
	s_delay_alu instid0(VALU_DEP_4) | instskip(NEXT) | instid1(VALU_DEP_1)
	v_add_f64_e32 v[32:33], 1.0, v[30:31]
	v_frexp_mant_f64_e32 v[34:35], v[32:33]
	v_frexp_exp_i32_f64_e32 v1, v[32:33]
	s_delay_alu instid0(VALU_DEP_2) | instskip(NEXT) | instid1(VALU_DEP_2)
	v_cmp_gt_f64_e32 vcc_lo, s[26:27], v[34:35]
	v_subrev_co_ci_u32_e64 v1, null, 0, v1, vcc_lo
	s_delay_alu instid0(VALU_DEP_1) | instskip(SKIP_1) | instid1(VALU_DEP_1)
	v_sub_nc_u32_e32 v21, 0, v1
	v_add_f64_e32 v[36:37], -1.0, v[32:33]
	v_add_f64_e64 v[34:35], v[36:37], -v[32:33]
	s_delay_alu instid0(VALU_DEP_3) | instskip(SKIP_1) | instid1(VALU_DEP_3)
	v_ldexp_f64 v[32:33], v[32:33], v21
	v_add_f64_e64 v[36:37], v[30:31], -v[36:37]
	v_add_f64_e32 v[34:35], 1.0, v[34:35]
	s_delay_alu instid0(VALU_DEP_3) | instskip(SKIP_1) | instid1(VALU_DEP_3)
	v_add_f64_e32 v[38:39], 1.0, v[32:33]
	v_add_f64_e32 v[44:45], -1.0, v[32:33]
	v_add_f64_e32 v[34:35], v[36:37], v[34:35]
	s_delay_alu instid0(VALU_DEP_3) | instskip(NEXT) | instid1(VALU_DEP_3)
	v_add_f64_e32 v[36:37], -1.0, v[38:39]
	v_add_f64_e32 v[46:47], 1.0, v[44:45]
	s_delay_alu instid0(VALU_DEP_3) | instskip(NEXT) | instid1(VALU_DEP_3)
	v_ldexp_f64 v[34:35], v[34:35], v21
	v_add_f64_e64 v[36:37], v[32:33], -v[36:37]
	s_delay_alu instid0(VALU_DEP_3) | instskip(NEXT) | instid1(VALU_DEP_2)
	v_add_f64_e64 v[32:33], v[32:33], -v[46:47]
	v_add_f64_e32 v[36:37], v[34:35], v[36:37]
	s_delay_alu instid0(VALU_DEP_2) | instskip(NEXT) | instid1(VALU_DEP_2)
	v_add_f64_e32 v[32:33], v[34:35], v[32:33]
	v_add_f64_e32 v[40:41], v[38:39], v[36:37]
	s_delay_alu instid0(VALU_DEP_2) | instskip(NEXT) | instid1(VALU_DEP_2)
	v_add_f64_e32 v[46:47], v[44:45], v[32:33]
	v_rcp_f64_e32 v[42:43], v[40:41]
	v_add_f64_e64 v[38:39], v[38:39], -v[40:41]
	s_delay_alu instid0(VALU_DEP_2) | instskip(NEXT) | instid1(VALU_DEP_2)
	v_add_f64_e64 v[44:45], v[44:45], -v[46:47]
	v_add_f64_e32 v[36:37], v[36:37], v[38:39]
	s_delay_alu instid0(VALU_DEP_2) | instskip(NEXT) | instid1(TRANS32_DEP_1)
	v_add_f64_e32 v[32:33], v[32:33], v[44:45]
	v_fma_f64 v[48:49], -v[40:41], v[42:43], 1.0
	s_delay_alu instid0(VALU_DEP_1) | instskip(NEXT) | instid1(VALU_DEP_1)
	v_fmac_f64_e32 v[42:43], v[48:49], v[42:43]
	v_fma_f64 v[34:35], -v[40:41], v[42:43], 1.0
	s_delay_alu instid0(VALU_DEP_1) | instskip(NEXT) | instid1(VALU_DEP_1)
	v_fmac_f64_e32 v[42:43], v[34:35], v[42:43]
	v_mul_f64_e32 v[34:35], v[46:47], v[42:43]
	s_delay_alu instid0(VALU_DEP_1) | instskip(NEXT) | instid1(VALU_DEP_1)
	v_mul_f64_e32 v[48:49], v[40:41], v[34:35]
	v_fma_f64 v[38:39], v[34:35], v[40:41], -v[48:49]
	s_delay_alu instid0(VALU_DEP_1) | instskip(NEXT) | instid1(VALU_DEP_1)
	v_fmac_f64_e32 v[38:39], v[34:35], v[36:37]
	v_add_f64_e32 v[50:51], v[48:49], v[38:39]
	s_delay_alu instid0(VALU_DEP_1) | instskip(SKIP_1) | instid1(VALU_DEP_2)
	v_add_f64_e64 v[52:53], v[46:47], -v[50:51]
	v_add_f64_e64 v[44:45], v[50:51], -v[48:49]
	v_add_f64_e64 v[46:47], v[46:47], -v[52:53]
	s_delay_alu instid0(VALU_DEP_2) | instskip(NEXT) | instid1(VALU_DEP_2)
	v_add_f64_e64 v[38:39], v[44:45], -v[38:39]
	v_add_f64_e64 v[46:47], v[46:47], -v[50:51]
	s_delay_alu instid0(VALU_DEP_1) | instskip(NEXT) | instid1(VALU_DEP_1)
	v_add_f64_e32 v[32:33], v[32:33], v[46:47]
	v_add_f64_e32 v[32:33], v[38:39], v[32:33]
	s_delay_alu instid0(VALU_DEP_1) | instskip(NEXT) | instid1(VALU_DEP_1)
	v_add_f64_e32 v[38:39], v[52:53], v[32:33]
	v_mul_f64_e32 v[44:45], v[42:43], v[38:39]
	v_add_f64_e64 v[50:51], v[52:53], -v[38:39]
	s_delay_alu instid0(VALU_DEP_2) | instskip(NEXT) | instid1(VALU_DEP_2)
	v_mul_f64_e32 v[46:47], v[40:41], v[44:45]
	v_add_f64_e32 v[32:33], v[32:33], v[50:51]
	s_delay_alu instid0(VALU_DEP_2) | instskip(NEXT) | instid1(VALU_DEP_1)
	v_fma_f64 v[40:41], v[44:45], v[40:41], -v[46:47]
	v_fmac_f64_e32 v[40:41], v[44:45], v[36:37]
	s_delay_alu instid0(VALU_DEP_1) | instskip(NEXT) | instid1(VALU_DEP_1)
	v_add_f64_e32 v[36:37], v[46:47], v[40:41]
	v_add_f64_e64 v[48:49], v[38:39], -v[36:37]
	v_add_f64_e64 v[46:47], v[36:37], -v[46:47]
	s_delay_alu instid0(VALU_DEP_2) | instskip(NEXT) | instid1(VALU_DEP_1)
	v_add_f64_e64 v[38:39], v[38:39], -v[48:49]
	v_add_f64_e64 v[36:37], v[38:39], -v[36:37]
	s_delay_alu instid0(VALU_DEP_3) | instskip(SKIP_1) | instid1(VALU_DEP_3)
	v_add_f64_e64 v[38:39], v[46:47], -v[40:41]
	v_max_num_f64_e64 v[40:41], |v[6:7]|, |v[6:7]|
	v_add_f64_e32 v[32:33], v[32:33], v[36:37]
	v_add_f64_e32 v[36:37], v[34:35], v[44:45]
	s_delay_alu instid0(VALU_DEP_2) | instskip(NEXT) | instid1(VALU_DEP_2)
	v_add_f64_e32 v[32:33], v[38:39], v[32:33]
	v_add_f64_e64 v[34:35], v[36:37], -v[34:35]
	v_max_num_f64_e64 v[38:39], |v[8:9]|, |v[8:9]|
	s_delay_alu instid0(VALU_DEP_3) | instskip(NEXT) | instid1(VALU_DEP_3)
	v_add_f64_e32 v[32:33], v[48:49], v[32:33]
	v_add_f64_e64 v[34:35], v[44:45], -v[34:35]
	s_delay_alu instid0(VALU_DEP_2) | instskip(NEXT) | instid1(VALU_DEP_1)
	v_mul_f64_e32 v[32:33], v[42:43], v[32:33]
	v_add_f64_e32 v[32:33], v[34:35], v[32:33]
	v_max_num_f64_e32 v[34:35], v[40:41], v[38:39]
	v_min_num_f64_e32 v[38:39], v[40:41], v[38:39]
	s_delay_alu instid0(VALU_DEP_3) | instskip(NEXT) | instid1(VALU_DEP_2)
	v_add_f64_e32 v[40:41], v[36:37], v[32:33]
	v_div_scale_f64 v[42:43], null, v[34:35], v[34:35], v[38:39]
	s_delay_alu instid0(VALU_DEP_2) | instskip(SKIP_1) | instid1(VALU_DEP_3)
	v_mul_f64_e32 v[44:45], v[40:41], v[40:41]
	v_add_f64_e64 v[36:37], v[40:41], -v[36:37]
	v_rcp_f64_e32 v[46:47], v[42:43]
	s_delay_alu instid0(VALU_DEP_2) | instskip(SKIP_1) | instid1(VALU_DEP_3)
	v_fmamk_f64 v[48:49], v[44:45], 0x3fc3ab76bf559e2b, v[22:23]
	v_mul_f64_e32 v[50:51], v[40:41], v[44:45]
	v_add_f64_e64 v[32:33], v[32:33], -v[36:37]
	s_delay_alu instid0(VALU_DEP_3) | instskip(NEXT) | instid1(TRANS32_DEP_1)
	v_fmaak_f64 v[48:49], v[44:45], v[48:49], 0x3fc7474dd7f4df2e
	v_fma_f64 v[52:53], -v[42:43], v[46:47], 1.0
	s_delay_alu instid0(VALU_DEP_2) | instskip(NEXT) | instid1(VALU_DEP_1)
	v_fmaak_f64 v[48:49], v[44:45], v[48:49], 0x3fcc71c016291751
	v_fmaak_f64 v[48:49], v[44:45], v[48:49], 0x3fd249249b27acf1
	s_delay_alu instid0(VALU_DEP_1) | instskip(SKIP_1) | instid1(VALU_DEP_2)
	v_fmaak_f64 v[48:49], v[44:45], v[48:49], 0x3fd99999998ef7b6
	v_ldexp_f64 v[32:33], v[32:33], 1
	v_fmaak_f64 v[44:45], v[44:45], v[48:49], 0x3fe5555555555780
	v_ldexp_f64 v[48:49], v[40:41], 1
	v_fmac_f64_e32 v[46:47], v[46:47], v[52:53]
	s_delay_alu instid0(VALU_DEP_3) | instskip(SKIP_2) | instid1(VALU_DEP_4)
	v_mul_f64_e32 v[44:45], v[50:51], v[44:45]
	v_cvt_f64_i32_e32 v[50:51], v1
	v_ashrrev_i32_e32 v1, 31, v7
	v_fma_f64 v[52:53], -v[42:43], v[46:47], 1.0
	s_delay_alu instid0(VALU_DEP_4) | instskip(NEXT) | instid1(VALU_DEP_4)
	v_add_f64_e32 v[40:41], v[48:49], v[44:45]
	v_mul_f64_e32 v[54:55], 0x3fe62e42fefa39ef, v[50:51]
	s_delay_alu instid0(VALU_DEP_3) | instskip(NEXT) | instid1(VALU_DEP_3)
	v_fmac_f64_e32 v[46:47], v[46:47], v[52:53]
	v_add_f64_e64 v[36:37], v[40:41], -v[48:49]
	v_div_scale_f64 v[48:49], vcc_lo, v[38:39], v[34:35], v[38:39]
	s_delay_alu instid0(VALU_DEP_4) | instskip(NEXT) | instid1(VALU_DEP_3)
	v_fma_f64 v[52:53], v[50:51], s[28:29], -v[54:55]
	v_add_f64_e64 v[36:37], v[44:45], -v[36:37]
	s_delay_alu instid0(VALU_DEP_3) | instskip(NEXT) | instid1(VALU_DEP_3)
	v_mul_f64_e32 v[44:45], v[48:49], v[46:47]
	v_fmac_f64_e32 v[52:53], 0x3c7abc9e3b39803f, v[50:51]
	s_delay_alu instid0(VALU_DEP_3) | instskip(NEXT) | instid1(VALU_DEP_3)
	v_add_f64_e32 v[32:33], v[32:33], v[36:37]
	v_fma_f64 v[36:37], -v[42:43], v[44:45], v[48:49]
	s_delay_alu instid0(VALU_DEP_3) | instskip(NEXT) | instid1(VALU_DEP_3)
	v_add_f64_e32 v[42:43], v[54:55], v[52:53]
	v_add_f64_e32 v[48:49], v[40:41], v[32:33]
	s_delay_alu instid0(VALU_DEP_3) | instskip(SKIP_1) | instid1(VALU_DEP_4)
	v_div_fmas_f64 v[36:37], v[36:37], v[46:47], v[44:45]
	v_cmp_gt_i32_e32 vcc_lo, 0, v7
	v_add_f64_e64 v[46:47], v[42:43], -v[54:55]
	v_cndmask_b32_e32 v21, 0x54442d18, v62, vcc_lo
	v_add_f64_e32 v[44:45], v[42:43], v[48:49]
	v_div_fixup_f64 v[34:35], v[36:37], v[34:35], v[38:39]
	v_add_f64_e64 v[40:41], v[48:49], -v[40:41]
	v_add_f64_e64 v[46:47], v[52:53], -v[46:47]
	s_delay_alu instid0(VALU_DEP_4) | instskip(NEXT) | instid1(VALU_DEP_4)
	v_add_f64_e64 v[36:37], v[44:45], -v[42:43]
	v_mul_f64_e32 v[38:39], v[34:35], v[34:35]
	s_delay_alu instid0(VALU_DEP_4) | instskip(NEXT) | instid1(VALU_DEP_3)
	v_add_f64_e64 v[32:33], v[32:33], -v[40:41]
	v_add_f64_e64 v[50:51], v[44:45], -v[36:37]
	s_delay_alu instid0(VALU_DEP_3) | instskip(SKIP_1) | instid1(VALU_DEP_4)
	v_fmamk_f64 v[54:55], v[38:39], 0x3eeba404b5e68a13, v[24:25]
	v_add_f64_e64 v[36:37], v[48:49], -v[36:37]
	v_add_f64_e32 v[48:49], v[46:47], v[32:33]
	s_delay_alu instid0(VALU_DEP_3) | instskip(NEXT) | instid1(VALU_DEP_1)
	v_fmaak_f64 v[54:55], v[38:39], v[54:55], 0x3f4b2bb069efb384
	v_fmaak_f64 v[54:55], v[38:39], v[54:55], 0xbf67952daf56de9b
	v_add_f64_e64 v[40:41], v[42:43], -v[50:51]
	s_delay_alu instid0(VALU_DEP_2) | instskip(NEXT) | instid1(VALU_DEP_1)
	v_fmaak_f64 v[42:43], v[38:39], v[54:55], 0x3f7d6d43a595c56f
	v_fmaak_f64 v[42:43], v[38:39], v[42:43], 0xbf8c6ea4a57d9582
	s_delay_alu instid0(VALU_DEP_1) | instskip(NEXT) | instid1(VALU_DEP_1)
	v_fmaak_f64 v[42:43], v[38:39], v[42:43], 0x3f967e295f08b19f
	v_fmaak_f64 v[42:43], v[38:39], v[42:43], 0xbf9e9ae6fc27006a
	s_delay_alu instid0(VALU_DEP_1) | instskip(SKIP_1) | instid1(VALU_DEP_2)
	v_fmaak_f64 v[42:43], v[38:39], v[42:43], 0x3fa2c15b5711927a
	v_add_f64_e32 v[36:37], v[36:37], v[40:41]
	v_fmaak_f64 v[40:41], v[38:39], v[42:43], 0xbfa59976e82d3ff0
	v_add_f64_e64 v[42:43], v[48:49], -v[46:47]
	s_delay_alu instid0(VALU_DEP_2) | instskip(NEXT) | instid1(VALU_DEP_1)
	v_fmaak_f64 v[40:41], v[38:39], v[40:41], 0x3fa82d5d6ef28734
	v_fmaak_f64 v[40:41], v[38:39], v[40:41], 0xbfaae5ce6a214619
	s_delay_alu instid0(VALU_DEP_1) | instskip(NEXT) | instid1(VALU_DEP_1)
	v_fmaak_f64 v[40:41], v[38:39], v[40:41], 0x3fae1bb48427b883
	v_fmaak_f64 v[40:41], v[38:39], v[40:41], 0xbfb110e48b207f05
	v_add_f64_e32 v[36:37], v[48:49], v[36:37]
	v_add_f64_e64 v[48:49], v[48:49], -v[42:43]
	v_add_f64_e64 v[32:33], v[32:33], -v[42:43]
	s_delay_alu instid0(VALU_DEP_4) | instskip(NEXT) | instid1(VALU_DEP_1)
	v_fmaak_f64 v[40:41], v[38:39], v[40:41], 0x3fb3b13657b87036
	v_fmaak_f64 v[40:41], v[38:39], v[40:41], 0xbfb745d119378e4f
	s_delay_alu instid0(VALU_DEP_1) | instskip(NEXT) | instid1(VALU_DEP_1)
	v_fmaak_f64 v[40:41], v[38:39], v[40:41], 0x3fbc71c717e1913c
	v_fmaak_f64 v[40:41], v[38:39], v[40:41], 0xbfc2492492376b7d
	v_add_f64_e32 v[50:51], v[44:45], v[36:37]
	s_delay_alu instid0(VALU_DEP_2) | instskip(NEXT) | instid1(VALU_DEP_1)
	v_fmaak_f64 v[40:41], v[38:39], v[40:41], 0x3fc99999999952cc
	v_fmaak_f64 v[40:41], v[38:39], v[40:41], 0xbfd5555555555523
	s_delay_alu instid0(VALU_DEP_1) | instskip(SKIP_2) | instid1(VALU_DEP_3)
	v_mul_f64_e32 v[38:39], v[38:39], v[40:41]
	v_add_f64_e64 v[40:41], v[46:47], -v[48:49]
	v_add_f64_e64 v[42:43], v[50:51], -v[44:45]
	v_fmac_f64_e32 v[34:35], v[34:35], v[38:39]
	s_delay_alu instid0(VALU_DEP_3) | instskip(NEXT) | instid1(VALU_DEP_3)
	v_add_f64_e32 v[32:33], v[32:33], v[40:41]
	v_add_f64_e64 v[36:37], v[36:37], -v[42:43]
	s_delay_alu instid0(VALU_DEP_3) | instskip(NEXT) | instid1(VALU_DEP_1)
	v_add_f64_e64 v[38:39], -v[34:35], s[30:31]
	v_dual_add_f64 v[32:33], v[32:33], v[36:37] :: v_dual_cndmask_b32 v35, v35, v39, s2
	s_delay_alu instid0(VALU_DEP_2)
	v_cndmask_b32_e64 v34, v34, v38, s2
	v_cmp_neq_f64_e64 s4, 0x7ff00000, v[30:31]
	v_and_b32_e32 v38, 0x54442d18, v1
	v_cndmask_b32_e32 v30, 0x3fe921fb, v63, vcc_lo
	v_and_b32_e32 v1, 0x400921fb, v1
	v_add_f64_e64 v[36:37], -v[34:35], s[34:35]
	s_delay_alu instid0(VALU_DEP_3) | instskip(SKIP_1) | instid1(VALU_DEP_3)
	v_bfi_b32 v30, 0x7fffffff, v30, v9
	v_add_f64_e32 v[32:33], v[50:51], v[32:33]
	v_dual_cndmask_b32 v34, v34, v36 :: v_dual_cndmask_b32 v31, v35, v37
	s_and_b32 vcc_lo, s8, s7
                                        ; implicit-def: $vgpr36_vgpr37
	s_delay_alu instid0(VALU_DEP_1) | instskip(NEXT) | instid1(VALU_DEP_1)
	v_dual_cndmask_b32 v34, v34, v38, s3 :: v_dual_cndmask_b32 v1, v31, v1, s3
	v_dual_mul_f64 v[32:33], 0.5, v[32:33] :: v_dual_cndmask_b32 v31, v1, v30, vcc_lo
	s_delay_alu instid0(VALU_DEP_2) | instskip(NEXT) | instid1(VALU_DEP_2)
	v_cndmask_b32_e32 v30, v34, v21, vcc_lo
	v_cndmask_b32_e64 v33, 0x7ff00000, v33, s4
	s_delay_alu instid0(VALU_DEP_3)
	v_cndmask_b32_e64 v32, 0, v32, s4
.LBB191_26:                             ;   in Loop: Header=BB191_5 Depth=1
	s_and_not1_saveexec_b32 s4, s6
	s_cbranch_execz .LBB191_28
; %bb.27:                               ;   in Loop: Header=BB191_5 Depth=1
	v_max_num_f64_e64 v[30:31], |v[8:9]|, |v[8:9]|
	v_max_num_f64_e64 v[32:33], |v[6:7]|, |v[6:7]|
	v_cmp_eq_f64_e64 s3, 0, v[8:9]
	v_cmp_class_f64_e64 s6, v[8:9], 0x204
	v_cmp_class_f64_e64 s7, v[6:7], 0x204
	v_ashrrev_i32_e32 v1, 31, v7
	v_max_num_f64_e32 v[34:35], v[32:33], v[30:31]
	v_min_num_f64_e32 v[30:31], v[32:33], v[30:31]
	s_delay_alu instid0(VALU_DEP_1) | instskip(SKIP_1) | instid1(VALU_DEP_2)
	v_div_scale_f64 v[32:33], null, v[34:35], v[34:35], v[30:31]
	v_div_scale_f64 v[42:43], vcc_lo, v[30:31], v[34:35], v[30:31]
	v_rcp_f64_e32 v[38:39], v[32:33]
	v_nop
	s_delay_alu instid0(TRANS32_DEP_1) | instskip(NEXT) | instid1(VALU_DEP_1)
	v_fma_f64 v[40:41], -v[32:33], v[38:39], 1.0
	v_fmac_f64_e32 v[38:39], v[38:39], v[40:41]
	s_delay_alu instid0(VALU_DEP_1) | instskip(NEXT) | instid1(VALU_DEP_1)
	v_fma_f64 v[40:41], -v[32:33], v[38:39], 1.0
	v_fmac_f64_e32 v[38:39], v[38:39], v[40:41]
	s_delay_alu instid0(VALU_DEP_1) | instskip(NEXT) | instid1(VALU_DEP_1)
	v_mul_f64_e32 v[40:41], v[42:43], v[38:39]
	v_fma_f64 v[32:33], -v[32:33], v[40:41], v[42:43]
	s_delay_alu instid0(VALU_DEP_1)
	v_div_fmas_f64 v[32:33], v[32:33], v[38:39], v[40:41]
	v_and_b32_e32 v38, 0x54442d18, v1
	v_and_b32_e32 v1, 0x400921fb, v1
	v_cmp_gt_i32_e32 vcc_lo, 0, v7
	v_cndmask_b32_e32 v21, 0x54442d18, v62, vcc_lo
	v_div_fixup_f64 v[30:31], v[32:33], v[34:35], v[30:31]
	s_delay_alu instid0(VALU_DEP_1) | instskip(NEXT) | instid1(VALU_DEP_1)
	v_mul_f64_e32 v[32:33], v[30:31], v[30:31]
	v_fmamk_f64 v[34:35], v[32:33], 0x3eeba404b5e68a13, v[24:25]
	s_delay_alu instid0(VALU_DEP_1) | instskip(NEXT) | instid1(VALU_DEP_1)
	v_fmaak_f64 v[34:35], v[32:33], v[34:35], 0x3f4b2bb069efb384
	v_fmaak_f64 v[34:35], v[32:33], v[34:35], 0xbf67952daf56de9b
	s_delay_alu instid0(VALU_DEP_1) | instskip(NEXT) | instid1(VALU_DEP_1)
	v_fmaak_f64 v[34:35], v[32:33], v[34:35], 0x3f7d6d43a595c56f
	v_fmaak_f64 v[34:35], v[32:33], v[34:35], 0xbf8c6ea4a57d9582
	;; [unrolled: 3-line block ×9, first 2 shown]
	s_delay_alu instid0(VALU_DEP_1) | instskip(NEXT) | instid1(VALU_DEP_1)
	v_mul_f64_e32 v[32:33], v[32:33], v[34:35]
	v_fmac_f64_e32 v[30:31], v[30:31], v[32:33]
	s_delay_alu instid0(VALU_DEP_1) | instskip(NEXT) | instid1(VALU_DEP_1)
	v_add_f64_e64 v[32:33], -v[30:31], s[30:31]
	v_dual_cndmask_b32 v31, v31, v33, s2 :: v_dual_cndmask_b32 v30, v30, v32, s2
	s_delay_alu instid0(VALU_DEP_1) | instskip(NEXT) | instid1(VALU_DEP_1)
	v_add_f64_e64 v[34:35], -v[30:31], s[34:35]
	v_dual_mul_f64 v[32:33], 0.5, v[36:37] :: v_dual_cndmask_b32 v31, v31, v35, vcc_lo
	s_delay_alu instid0(VALU_DEP_2) | instskip(SKIP_2) | instid1(VALU_DEP_2)
	v_cndmask_b32_e32 v30, v30, v34, vcc_lo
	v_cndmask_b32_e32 v34, 0x3fe921fb, v63, vcc_lo
	s_and_b32 vcc_lo, s7, s6
	v_dual_cndmask_b32 v1, v31, v1, s3 :: v_dual_cndmask_b32 v30, v30, v38, s3
	s_delay_alu instid0(VALU_DEP_2) | instskip(NEXT) | instid1(VALU_DEP_1)
	v_bfi_b32 v34, 0x7fffffff, v34, v9
	v_dual_cndmask_b32 v30, v30, v21 :: v_dual_cndmask_b32 v31, v1, v34
	v_mul_f64_e32 v[32:33], v[36:37], v[32:33]
.LBB191_28:                             ;   in Loop: Header=BB191_5 Depth=1
	s_or_b32 exec_lo, exec_lo, s4
.LBB191_29:                             ;   in Loop: Header=BB191_5 Depth=1
	s_delay_alu instid0(SALU_CYCLE_1)
	s_or_b32 exec_lo, exec_lo, s5
.LBB191_30:                             ;   in Loop: Header=BB191_5 Depth=1
	s_and_not1_saveexec_b32 s4, s45
	s_cbranch_execz .LBB191_32
; %bb.31:                               ;   in Loop: Header=BB191_5 Depth=1
	v_div_scale_f64 v[30:31], null, s[40:41], s[40:41], v[6:7]
	v_div_scale_f64 v[32:33], null, s[40:41], s[40:41], v[8:9]
	v_div_scale_f64 v[42:43], vcc_lo, v[6:7], s[40:41], v[6:7]
	s_delay_alu instid0(VALU_DEP_3) | instskip(NEXT) | instid1(VALU_DEP_2)
	v_rcp_f64_e32 v[34:35], v[30:31]
	v_rcp_f64_e32 v[36:37], v[32:33]
	s_delay_alu instid0(TRANS32_DEP_2) | instskip(NEXT) | instid1(TRANS32_DEP_1)
	v_fma_f64 v[38:39], -v[30:31], v[34:35], 1.0
	v_fma_f64 v[40:41], -v[32:33], v[36:37], 1.0
	s_delay_alu instid0(VALU_DEP_2) | instskip(NEXT) | instid1(VALU_DEP_2)
	v_fmac_f64_e32 v[34:35], v[34:35], v[38:39]
	v_fmac_f64_e32 v[36:37], v[36:37], v[40:41]
	s_delay_alu instid0(VALU_DEP_2) | instskip(NEXT) | instid1(VALU_DEP_2)
	v_fma_f64 v[38:39], -v[30:31], v[34:35], 1.0
	v_fma_f64 v[40:41], -v[32:33], v[36:37], 1.0
	s_delay_alu instid0(VALU_DEP_2) | instskip(SKIP_1) | instid1(VALU_DEP_3)
	v_fmac_f64_e32 v[34:35], v[34:35], v[38:39]
	v_div_scale_f64 v[38:39], s3, v[8:9], s[40:41], v[8:9]
	v_fmac_f64_e32 v[36:37], v[36:37], v[40:41]
	s_delay_alu instid0(VALU_DEP_3) | instskip(NEXT) | instid1(VALU_DEP_2)
	v_mul_f64_e32 v[40:41], v[42:43], v[34:35]
	v_mul_f64_e32 v[44:45], v[38:39], v[36:37]
	s_delay_alu instid0(VALU_DEP_2) | instskip(NEXT) | instid1(VALU_DEP_2)
	v_fma_f64 v[30:31], -v[30:31], v[40:41], v[42:43]
	v_fma_f64 v[32:33], -v[32:33], v[44:45], v[38:39]
	s_delay_alu instid0(VALU_DEP_2) | instskip(SKIP_1) | instid1(VALU_DEP_2)
	v_div_fmas_f64 v[30:31], v[30:31], v[34:35], v[40:41]
	s_mov_b32 vcc_lo, s3
	v_div_fmas_f64 v[32:33], v[32:33], v[36:37], v[44:45]
	s_delay_alu instid0(VALU_DEP_2) | instskip(NEXT) | instid1(VALU_DEP_2)
	v_div_fixup_f64 v[30:31], v[30:31], s[40:41], v[6:7]
	v_div_fixup_f64 v[32:33], v[32:33], s[40:41], v[8:9]
	s_delay_alu instid0(VALU_DEP_2) | instskip(NEXT) | instid1(VALU_DEP_2)
	v_cmp_class_f64_e64 s3, v[30:31], 0x204
	v_max_num_f64_e64 v[34:35], |v[30:31]|, |v[32:33]|
	v_cmp_class_f64_e64 s5, v[32:33], 0x204
	s_delay_alu instid0(VALU_DEP_2) | instskip(SKIP_2) | instid1(VALU_DEP_2)
	v_frexp_exp_i32_f64_e32 v1, v[34:35]
	s_or_b32 s3, s3, s5
	v_cmp_class_f64_e64 s5, v[6:7], 0x204
	v_sub_nc_u32_e32 v21, 0, v1
	s_delay_alu instid0(VALU_DEP_1) | instskip(SKIP_1) | instid1(VALU_DEP_2)
	v_ldexp_f64 v[34:35], |v[32:33]|, v21
	v_ldexp_f64 v[36:37], |v[30:31]|, v21
	v_mul_f64_e32 v[34:35], v[34:35], v[34:35]
	s_delay_alu instid0(VALU_DEP_1) | instskip(NEXT) | instid1(VALU_DEP_1)
	v_fmac_f64_e32 v[34:35], v[36:37], v[36:37]
	v_rsq_f64_e32 v[36:37], v[34:35]
	v_cmp_eq_f64_e32 vcc_lo, 0, v[34:35]
	s_delay_alu instid0(TRANS32_DEP_1) | instskip(SKIP_1) | instid1(VALU_DEP_1)
	v_mul_f64_e32 v[38:39], v[34:35], v[36:37]
	v_mul_f64_e32 v[36:37], 0.5, v[36:37]
	v_fma_f64 v[40:41], -v[36:37], v[38:39], 0.5
	s_delay_alu instid0(VALU_DEP_1) | instskip(SKIP_1) | instid1(VALU_DEP_2)
	v_fmac_f64_e32 v[38:39], v[38:39], v[40:41]
	v_fmac_f64_e32 v[36:37], v[36:37], v[40:41]
	v_fma_f64 v[40:41], -v[38:39], v[38:39], v[34:35]
	s_delay_alu instid0(VALU_DEP_1) | instskip(NEXT) | instid1(VALU_DEP_1)
	v_fmac_f64_e32 v[38:39], v[40:41], v[36:37]
	v_dual_cndmask_b32 v35, v39, v35 :: v_dual_cndmask_b32 v34, v38, v34
	v_cmp_o_f64_e32 vcc_lo, v[30:31], v[32:33]
	s_delay_alu instid0(VALU_DEP_2) | instskip(NEXT) | instid1(VALU_DEP_1)
	v_ldexp_f64 v[34:35], v[34:35], v1
	v_cndmask_b32_e32 v1, 0, v34, vcc_lo
	s_delay_alu instid0(VALU_DEP_2) | instskip(NEXT) | instid1(VALU_DEP_2)
	v_cndmask_b32_e32 v21, 0x7ff80000, v35, vcc_lo
	v_cndmask_b32_e64 v34, v1, 0, s3
	s_delay_alu instid0(VALU_DEP_2) | instskip(SKIP_1) | instid1(VALU_DEP_2)
	v_cndmask_b32_e64 v35, v21, 0x7ff00000, s3
	v_cmp_class_f64_e64 s3, v[8:9], 0x204
	v_frexp_mant_f64_e32 v[30:31], v[34:35]
	s_delay_alu instid0(VALU_DEP_1) | instskip(SKIP_1) | instid1(VALU_DEP_1)
	v_cmp_gt_f64_e32 vcc_lo, s[26:27], v[30:31]
	v_cndmask_b32_e64 v1, 0, 1, vcc_lo
	v_ldexp_f64 v[30:31], v[30:31], v1
	v_frexp_exp_i32_f64_e32 v1, v[34:35]
	s_delay_alu instid0(VALU_DEP_2) | instskip(SKIP_1) | instid1(VALU_DEP_3)
	v_add_f64_e32 v[32:33], 1.0, v[30:31]
	v_add_f64_e32 v[40:41], -1.0, v[30:31]
	v_subrev_co_ci_u32_e64 v1, null, 0, v1, vcc_lo
	s_delay_alu instid0(VALU_DEP_3) | instskip(SKIP_1) | instid1(VALU_DEP_1)
	v_rcp_f64_e32 v[36:37], v[32:33]
	v_add_f64_e32 v[42:43], -1.0, v[32:33]
	v_add_f64_e64 v[30:31], v[30:31], -v[42:43]
	s_delay_alu instid0(TRANS32_DEP_1) | instskip(NEXT) | instid1(VALU_DEP_1)
	v_fma_f64 v[38:39], -v[32:33], v[36:37], 1.0
	v_fmac_f64_e32 v[36:37], v[38:39], v[36:37]
	s_delay_alu instid0(VALU_DEP_1) | instskip(NEXT) | instid1(VALU_DEP_1)
	v_fma_f64 v[38:39], -v[32:33], v[36:37], 1.0
	v_fmac_f64_e32 v[36:37], v[38:39], v[36:37]
	s_delay_alu instid0(VALU_DEP_1) | instskip(NEXT) | instid1(VALU_DEP_1)
	v_mul_f64_e32 v[38:39], v[40:41], v[36:37]
	v_mul_f64_e32 v[44:45], v[32:33], v[38:39]
	s_delay_alu instid0(VALU_DEP_1) | instskip(NEXT) | instid1(VALU_DEP_1)
	v_fma_f64 v[32:33], v[38:39], v[32:33], -v[44:45]
	v_fmac_f64_e32 v[32:33], v[38:39], v[30:31]
	s_delay_alu instid0(VALU_DEP_1) | instskip(NEXT) | instid1(VALU_DEP_1)
	v_add_f64_e32 v[30:31], v[44:45], v[32:33]
	v_add_f64_e64 v[42:43], v[40:41], -v[30:31]
	v_add_f64_e64 v[44:45], v[30:31], -v[44:45]
	s_delay_alu instid0(VALU_DEP_2) | instskip(NEXT) | instid1(VALU_DEP_2)
	v_add_f64_e64 v[40:41], v[40:41], -v[42:43]
	v_add_f64_e64 v[32:33], v[44:45], -v[32:33]
	s_delay_alu instid0(VALU_DEP_2) | instskip(SKIP_1) | instid1(VALU_DEP_2)
	v_add_f64_e64 v[30:31], v[40:41], -v[30:31]
	v_max_num_f64_e64 v[40:41], |v[6:7]|, |v[6:7]|
	v_add_f64_e32 v[30:31], v[32:33], v[30:31]
	v_max_num_f64_e64 v[32:33], |v[8:9]|, |v[8:9]|
	s_delay_alu instid0(VALU_DEP_2) | instskip(NEXT) | instid1(VALU_DEP_1)
	v_add_f64_e32 v[30:31], v[42:43], v[30:31]
	v_mul_f64_e32 v[30:31], v[36:37], v[30:31]
	s_delay_alu instid0(VALU_DEP_3) | instskip(SKIP_1) | instid1(VALU_DEP_3)
	v_max_num_f64_e32 v[36:37], v[40:41], v[32:33]
	v_min_num_f64_e32 v[32:33], v[40:41], v[32:33]
	v_add_f64_e32 v[40:41], v[38:39], v[30:31]
	s_delay_alu instid0(VALU_DEP_2) | instskip(NEXT) | instid1(VALU_DEP_2)
	v_div_scale_f64 v[42:43], null, v[36:37], v[36:37], v[32:33]
	v_mul_f64_e32 v[44:45], v[40:41], v[40:41]
	v_add_f64_e64 v[38:39], v[40:41], -v[38:39]
	s_delay_alu instid0(VALU_DEP_3) | instskip(NEXT) | instid1(VALU_DEP_2)
	v_rcp_f64_e32 v[46:47], v[42:43]
	v_fmamk_f64 v[48:49], v[44:45], 0x3fc3ab76bf559e2b, v[22:23]
	v_mul_f64_e32 v[50:51], v[40:41], v[44:45]
	s_delay_alu instid0(VALU_DEP_3) | instskip(NEXT) | instid1(VALU_DEP_3)
	v_add_f64_e64 v[30:31], v[30:31], -v[38:39]
	v_fmaak_f64 v[48:49], v[44:45], v[48:49], 0x3fc7474dd7f4df2e
	s_delay_alu instid0(TRANS32_DEP_1) | instskip(NEXT) | instid1(VALU_DEP_2)
	v_fma_f64 v[52:53], -v[42:43], v[46:47], 1.0
	v_fmaak_f64 v[48:49], v[44:45], v[48:49], 0x3fcc71c016291751
	s_delay_alu instid0(VALU_DEP_1) | instskip(NEXT) | instid1(VALU_DEP_1)
	v_fmaak_f64 v[48:49], v[44:45], v[48:49], 0x3fd249249b27acf1
	v_fmaak_f64 v[48:49], v[44:45], v[48:49], 0x3fd99999998ef7b6
	v_ldexp_f64 v[30:31], v[30:31], 1
	s_delay_alu instid0(VALU_DEP_2) | instskip(SKIP_2) | instid1(VALU_DEP_3)
	v_fmaak_f64 v[44:45], v[44:45], v[48:49], 0x3fe5555555555780
	v_ldexp_f64 v[48:49], v[40:41], 1
	v_fmac_f64_e32 v[46:47], v[46:47], v[52:53]
	v_mul_f64_e32 v[44:45], v[50:51], v[44:45]
	v_cvt_f64_i32_e32 v[50:51], v1
	v_ashrrev_i32_e32 v1, 31, v7
	s_delay_alu instid0(VALU_DEP_4) | instskip(NEXT) | instid1(VALU_DEP_4)
	v_fma_f64 v[52:53], -v[42:43], v[46:47], 1.0
	v_add_f64_e32 v[40:41], v[48:49], v[44:45]
	s_delay_alu instid0(VALU_DEP_4) | instskip(NEXT) | instid1(VALU_DEP_3)
	v_mul_f64_e32 v[54:55], 0x3fe62e42fefa39ef, v[50:51]
	v_fmac_f64_e32 v[46:47], v[46:47], v[52:53]
	s_delay_alu instid0(VALU_DEP_3) | instskip(SKIP_1) | instid1(VALU_DEP_4)
	v_add_f64_e64 v[38:39], v[40:41], -v[48:49]
	v_div_scale_f64 v[48:49], vcc_lo, v[32:33], v[36:37], v[32:33]
	v_fma_f64 v[52:53], v[50:51], s[28:29], -v[54:55]
	s_delay_alu instid0(VALU_DEP_3) | instskip(NEXT) | instid1(VALU_DEP_3)
	v_add_f64_e64 v[38:39], v[44:45], -v[38:39]
	v_mul_f64_e32 v[44:45], v[48:49], v[46:47]
	s_delay_alu instid0(VALU_DEP_3) | instskip(NEXT) | instid1(VALU_DEP_3)
	v_fmac_f64_e32 v[52:53], 0x3c7abc9e3b39803f, v[50:51]
	v_add_f64_e32 v[30:31], v[30:31], v[38:39]
	s_delay_alu instid0(VALU_DEP_3) | instskip(NEXT) | instid1(VALU_DEP_3)
	v_fma_f64 v[38:39], -v[42:43], v[44:45], v[48:49]
	v_add_f64_e32 v[42:43], v[54:55], v[52:53]
	s_delay_alu instid0(VALU_DEP_3) | instskip(NEXT) | instid1(VALU_DEP_3)
	v_add_f64_e32 v[48:49], v[40:41], v[30:31]
	v_div_fmas_f64 v[38:39], v[38:39], v[46:47], v[44:45]
	v_cmp_class_f64_e64 vcc_lo, v[34:35], 0x204
	s_delay_alu instid0(VALU_DEP_4) | instskip(NEXT) | instid1(VALU_DEP_4)
	v_add_f64_e64 v[46:47], v[42:43], -v[54:55]
	v_add_f64_e32 v[44:45], v[42:43], v[48:49]
	s_delay_alu instid0(VALU_DEP_4) | instskip(SKIP_1) | instid1(VALU_DEP_4)
	v_div_fixup_f64 v[32:33], v[38:39], v[36:37], v[32:33]
	v_add_f64_e64 v[40:41], v[48:49], -v[40:41]
	v_add_f64_e64 v[46:47], v[52:53], -v[46:47]
	s_delay_alu instid0(VALU_DEP_4) | instskip(NEXT) | instid1(VALU_DEP_4)
	v_add_f64_e64 v[36:37], v[44:45], -v[42:43]
	v_mul_f64_e32 v[38:39], v[32:33], v[32:33]
	s_delay_alu instid0(VALU_DEP_4) | instskip(NEXT) | instid1(VALU_DEP_3)
	v_add_f64_e64 v[30:31], v[30:31], -v[40:41]
	v_add_f64_e64 v[50:51], v[44:45], -v[36:37]
	s_delay_alu instid0(VALU_DEP_3) | instskip(SKIP_1) | instid1(VALU_DEP_4)
	v_fmamk_f64 v[54:55], v[38:39], 0x3eeba404b5e68a13, v[24:25]
	v_add_f64_e64 v[36:37], v[48:49], -v[36:37]
	v_add_f64_e32 v[48:49], v[46:47], v[30:31]
	s_delay_alu instid0(VALU_DEP_3) | instskip(SKIP_1) | instid1(VALU_DEP_2)
	v_fmaak_f64 v[54:55], v[38:39], v[54:55], 0x3f4b2bb069efb384
	v_add_f64_e64 v[40:41], v[42:43], -v[50:51]
	v_fmaak_f64 v[42:43], v[38:39], v[54:55], 0xbf67952daf56de9b
	s_delay_alu instid0(VALU_DEP_1) | instskip(NEXT) | instid1(VALU_DEP_1)
	v_fmaak_f64 v[42:43], v[38:39], v[42:43], 0x3f7d6d43a595c56f
	v_fmaak_f64 v[42:43], v[38:39], v[42:43], 0xbf8c6ea4a57d9582
	s_delay_alu instid0(VALU_DEP_1) | instskip(SKIP_1) | instid1(VALU_DEP_2)
	v_fmaak_f64 v[42:43], v[38:39], v[42:43], 0x3f967e295f08b19f
	v_add_f64_e32 v[36:37], v[36:37], v[40:41]
	v_fmaak_f64 v[40:41], v[38:39], v[42:43], 0xbf9e9ae6fc27006a
	v_add_f64_e64 v[42:43], v[48:49], -v[46:47]
	s_delay_alu instid0(VALU_DEP_2) | instskip(NEXT) | instid1(VALU_DEP_1)
	v_fmaak_f64 v[40:41], v[38:39], v[40:41], 0x3fa2c15b5711927a
	v_fmaak_f64 v[40:41], v[38:39], v[40:41], 0xbfa59976e82d3ff0
	s_delay_alu instid0(VALU_DEP_1) | instskip(NEXT) | instid1(VALU_DEP_1)
	v_fmaak_f64 v[40:41], v[38:39], v[40:41], 0x3fa82d5d6ef28734
	v_fmaak_f64 v[40:41], v[38:39], v[40:41], 0xbfaae5ce6a214619
	v_add_f64_e32 v[36:37], v[48:49], v[36:37]
	v_add_f64_e64 v[48:49], v[48:49], -v[42:43]
	v_add_f64_e64 v[30:31], v[30:31], -v[42:43]
	s_delay_alu instid0(VALU_DEP_4) | instskip(NEXT) | instid1(VALU_DEP_1)
	v_fmaak_f64 v[40:41], v[38:39], v[40:41], 0x3fae1bb48427b883
	v_fmaak_f64 v[40:41], v[38:39], v[40:41], 0xbfb110e48b207f05
	s_delay_alu instid0(VALU_DEP_1) | instskip(NEXT) | instid1(VALU_DEP_1)
	v_fmaak_f64 v[40:41], v[38:39], v[40:41], 0x3fb3b13657b87036
	v_fmaak_f64 v[40:41], v[38:39], v[40:41], 0xbfb745d119378e4f
	s_delay_alu instid0(VALU_DEP_1) | instskip(SKIP_1) | instid1(VALU_DEP_2)
	v_fmaak_f64 v[40:41], v[38:39], v[40:41], 0x3fbc71c717e1913c
	v_add_f64_e32 v[50:51], v[44:45], v[36:37]
	v_fmaak_f64 v[40:41], v[38:39], v[40:41], 0xbfc2492492376b7d
	s_delay_alu instid0(VALU_DEP_1) | instskip(NEXT) | instid1(VALU_DEP_1)
	v_fmaak_f64 v[40:41], v[38:39], v[40:41], 0x3fc99999999952cc
	v_fmaak_f64 v[40:41], v[38:39], v[40:41], 0xbfd5555555555523
	s_delay_alu instid0(VALU_DEP_1) | instskip(SKIP_2) | instid1(VALU_DEP_3)
	v_mul_f64_e32 v[38:39], v[38:39], v[40:41]
	v_add_f64_e64 v[40:41], v[46:47], -v[48:49]
	v_add_f64_e64 v[42:43], v[50:51], -v[44:45]
	v_fmac_f64_e32 v[32:33], v[32:33], v[38:39]
	s_delay_alu instid0(VALU_DEP_3) | instskip(NEXT) | instid1(VALU_DEP_3)
	v_add_f64_e32 v[30:31], v[30:31], v[40:41]
	v_add_f64_e64 v[36:37], v[36:37], -v[42:43]
	s_delay_alu instid0(VALU_DEP_3) | instskip(NEXT) | instid1(VALU_DEP_1)
	v_add_f64_e64 v[38:39], -v[32:33], s[30:31]
	v_dual_add_f64 v[30:31], v[30:31], v[36:37] :: v_dual_cndmask_b32 v33, v33, v39, s2
	s_delay_alu instid0(VALU_DEP_2)
	v_cndmask_b32_e64 v32, v32, v38, s2
	v_cmp_gt_i32_e64 s2, 0, v7
	v_and_b32_e32 v38, 0x54442d18, v1
	v_and_b32_e32 v1, 0x400921fb, v1
	v_add_f64_e32 v[30:31], v[50:51], v[30:31]
	v_add_f64_e64 v[36:37], -v[32:33], s[34:35]
	v_cndmask_b32_e64 v21, 0x54442d18, v62, s2
	s_delay_alu instid0(VALU_DEP_3) | instskip(SKIP_1) | instid1(VALU_DEP_4)
	v_dual_cndmask_b32 v31, v31, v35 :: v_dual_cndmask_b32 v30, v30, v34
	v_cmp_eq_f64_e32 vcc_lo, 0, v[8:9]
	v_cndmask_b32_e64 v32, v32, v36, s2
	v_cndmask_b32_e64 v36, 0x3fe921fb, v63, s2
	s_delay_alu instid0(VALU_DEP_4) | instskip(SKIP_1) | instid1(VALU_DEP_3)
	v_dual_add_f64 v[30:31], 1.0, v[30:31] :: v_dual_cndmask_b32 v33, v33, v37, s2
	v_cmp_nge_f64_e64 s2, 0, v[34:35]
	v_bfi_b32 v36, 0x7fffffff, v36, v9
	s_delay_alu instid0(VALU_DEP_3) | instskip(SKIP_1) | instid1(VALU_DEP_4)
	v_dual_cndmask_b32 v37, v32, v38, vcc_lo :: v_dual_cndmask_b32 v1, v33, v1, vcc_lo
	v_cmp_ngt_f64_e32 vcc_lo, 0, v[34:35]
	v_cndmask_b32_e64 v32, 0, v30, s2
	v_cmp_neq_f64_e64 s2, 0, v[34:35]
	v_cndmask_b32_e32 v33, 0x7ff80000, v31, vcc_lo
	s_and_b32 vcc_lo, s5, s3
	v_cndmask_b32_e32 v31, v1, v36, vcc_lo
	v_cndmask_b32_e32 v30, v37, v21, vcc_lo
	s_delay_alu instid0(VALU_DEP_3)
	v_cndmask_b32_e64 v33, 0xfff00000, v33, s2
.LBB191_32:                             ;   in Loop: Header=BB191_5 Depth=1
	s_or_b32 exec_lo, exec_lo, s4
.LBB191_33:                             ;   in Loop: Header=BB191_5 Depth=1
	s_and_not1_saveexec_b32 s2, s44
	s_cbranch_execz .LBB191_39
; %bb.34:                               ;   in Loop: Header=BB191_5 Depth=1
	v_cmp_ngt_f64_e64 s3, 0x20000000, |v[6:7]|
	v_cmp_ngt_f64_e64 s4, 0x20000000, |v[8:9]|
                                        ; implicit-def: $vgpr34_vgpr35
	s_or_b32 s3, s3, s4
	s_delay_alu instid0(SALU_CYCLE_1) | instskip(NEXT) | instid1(SALU_CYCLE_1)
	s_and_saveexec_b32 s4, s3
	s_xor_b32 s3, exec_lo, s4
	s_cbranch_execz .LBB191_36
; %bb.35:                               ;   in Loop: Header=BB191_5 Depth=1
	v_mul_f64_e32 v[34:35], v[8:9], v[8:9]
	s_delay_alu instid0(VALU_DEP_1)
	v_fmac_f64_e32 v[34:35], v[6:7], v[6:7]
.LBB191_36:                             ;   in Loop: Header=BB191_5 Depth=1
	s_and_not1_saveexec_b32 s3, s3
	s_cbranch_execz .LBB191_38
; %bb.37:                               ;   in Loop: Header=BB191_5 Depth=1
	v_mul_f64_e32 v[30:31], 4.0, v[8:9]
	v_mul_f64_e32 v[6:7], 4.0, v[6:7]
	s_delay_alu instid0(VALU_DEP_2) | instskip(NEXT) | instid1(VALU_DEP_1)
	v_mul_f64_e32 v[30:31], v[30:31], v[30:31]
	v_fmac_f64_e32 v[30:31], v[6:7], v[6:7]
	s_delay_alu instid0(VALU_DEP_1)
	v_ldexp_f64 v[34:35], v[30:31], -4
.LBB191_38:                             ;   in Loop: Header=BB191_5 Depth=1
	s_or_b32 exec_lo, exec_lo, s3
	s_delay_alu instid0(VALU_DEP_1) | instskip(NEXT) | instid1(VALU_DEP_1)
	v_frexp_mant_f64_e32 v[6:7], v[34:35]
	v_cmp_gt_f64_e32 vcc_lo, s[26:27], v[6:7]
	v_cndmask_b32_e64 v1, 0, 1, vcc_lo
	s_delay_alu instid0(VALU_DEP_1) | instskip(SKIP_1) | instid1(VALU_DEP_2)
	v_ldexp_f64 v[6:7], v[6:7], v1
	v_frexp_exp_i32_f64_e32 v1, v[34:35]
	v_add_f64_e32 v[30:31], 1.0, v[6:7]
	v_add_f64_e32 v[38:39], -1.0, v[6:7]
	s_delay_alu instid0(VALU_DEP_3) | instskip(SKIP_1) | instid1(VALU_DEP_4)
	v_subrev_co_ci_u32_e64 v1, null, 0, v1, vcc_lo
	v_cmp_class_f64_e64 vcc_lo, v[34:35], 0x204
	v_rcp_f64_e32 v[32:33], v[30:31]
	v_add_f64_e32 v[40:41], -1.0, v[30:31]
	s_delay_alu instid0(VALU_DEP_1) | instskip(NEXT) | instid1(TRANS32_DEP_1)
	v_add_f64_e64 v[6:7], v[6:7], -v[40:41]
	v_fma_f64 v[36:37], -v[30:31], v[32:33], 1.0
	s_delay_alu instid0(VALU_DEP_1) | instskip(NEXT) | instid1(VALU_DEP_1)
	v_fmac_f64_e32 v[32:33], v[36:37], v[32:33]
	v_fma_f64 v[36:37], -v[30:31], v[32:33], 1.0
	s_delay_alu instid0(VALU_DEP_1) | instskip(NEXT) | instid1(VALU_DEP_1)
	v_fmac_f64_e32 v[32:33], v[36:37], v[32:33]
	v_mul_f64_e32 v[36:37], v[38:39], v[32:33]
	s_delay_alu instid0(VALU_DEP_1) | instskip(NEXT) | instid1(VALU_DEP_1)
	v_mul_f64_e32 v[42:43], v[30:31], v[36:37]
	v_fma_f64 v[30:31], v[36:37], v[30:31], -v[42:43]
	s_delay_alu instid0(VALU_DEP_1) | instskip(NEXT) | instid1(VALU_DEP_1)
	v_fmac_f64_e32 v[30:31], v[36:37], v[6:7]
	v_add_f64_e32 v[6:7], v[42:43], v[30:31]
	s_delay_alu instid0(VALU_DEP_1) | instskip(SKIP_1) | instid1(VALU_DEP_2)
	v_add_f64_e64 v[40:41], v[38:39], -v[6:7]
	v_add_f64_e64 v[42:43], v[6:7], -v[42:43]
	;; [unrolled: 1-line block ×3, first 2 shown]
	s_delay_alu instid0(VALU_DEP_2) | instskip(NEXT) | instid1(VALU_DEP_2)
	v_add_f64_e64 v[30:31], v[42:43], -v[30:31]
	v_add_f64_e64 v[6:7], v[38:39], -v[6:7]
	s_delay_alu instid0(VALU_DEP_1) | instskip(NEXT) | instid1(VALU_DEP_1)
	v_add_f64_e32 v[6:7], v[30:31], v[6:7]
	v_add_f64_e32 v[6:7], v[40:41], v[6:7]
	s_delay_alu instid0(VALU_DEP_1) | instskip(NEXT) | instid1(VALU_DEP_1)
	v_mul_f64_e32 v[6:7], v[32:33], v[6:7]
	v_add_f64_e32 v[30:31], v[36:37], v[6:7]
	s_delay_alu instid0(VALU_DEP_1) | instskip(NEXT) | instid1(VALU_DEP_1)
	v_mul_f64_e32 v[32:33], v[30:31], v[30:31]
	v_fmamk_f64 v[38:39], v[32:33], 0x3fc3ab76bf559e2b, v[22:23]
	v_mul_f64_e32 v[40:41], v[30:31], v[32:33]
	s_delay_alu instid0(VALU_DEP_2) | instskip(NEXT) | instid1(VALU_DEP_1)
	v_fmaak_f64 v[38:39], v[32:33], v[38:39], 0x3fc7474dd7f4df2e
	v_fmaak_f64 v[38:39], v[32:33], v[38:39], 0x3fcc71c016291751
	s_delay_alu instid0(VALU_DEP_1) | instskip(NEXT) | instid1(VALU_DEP_1)
	v_fmaak_f64 v[38:39], v[32:33], v[38:39], 0x3fd249249b27acf1
	v_fmaak_f64 v[38:39], v[32:33], v[38:39], 0x3fd99999998ef7b6
	s_delay_alu instid0(VALU_DEP_1) | instskip(SKIP_2) | instid1(VALU_DEP_3)
	v_fmaak_f64 v[32:33], v[32:33], v[38:39], 0x3fe5555555555780
	v_ldexp_f64 v[38:39], v[30:31], 1
	v_add_f64_e64 v[30:31], v[30:31], -v[36:37]
	v_mul_f64_e32 v[32:33], v[40:41], v[32:33]
	v_cvt_f64_i32_e32 v[40:41], v1
	s_delay_alu instid0(VALU_DEP_3) | instskip(NEXT) | instid1(VALU_DEP_3)
	v_add_f64_e64 v[6:7], v[6:7], -v[30:31]
	v_add_f64_e32 v[36:37], v[38:39], v[32:33]
	s_delay_alu instid0(VALU_DEP_3) | instskip(NEXT) | instid1(VALU_DEP_3)
	v_mul_f64_e32 v[42:43], 0x3fe62e42fefa39ef, v[40:41]
	v_ldexp_f64 v[6:7], v[6:7], 1
	s_delay_alu instid0(VALU_DEP_3) | instskip(NEXT) | instid1(VALU_DEP_3)
	v_add_f64_e64 v[30:31], v[36:37], -v[38:39]
	v_fma_f64 v[38:39], v[40:41], s[28:29], -v[42:43]
	s_delay_alu instid0(VALU_DEP_2) | instskip(NEXT) | instid1(VALU_DEP_2)
	v_add_f64_e64 v[30:31], v[32:33], -v[30:31]
	v_fmac_f64_e32 v[38:39], 0x3c7abc9e3b39803f, v[40:41]
	s_delay_alu instid0(VALU_DEP_2) | instskip(NEXT) | instid1(VALU_DEP_2)
	v_add_f64_e32 v[6:7], v[6:7], v[30:31]
	v_add_f64_e32 v[30:31], v[42:43], v[38:39]
	s_delay_alu instid0(VALU_DEP_2) | instskip(NEXT) | instid1(VALU_DEP_2)
	v_add_f64_e32 v[32:33], v[36:37], v[6:7]
	v_add_f64_e64 v[42:43], v[30:31], -v[42:43]
	s_delay_alu instid0(VALU_DEP_2) | instskip(SKIP_1) | instid1(VALU_DEP_3)
	v_add_f64_e32 v[40:41], v[30:31], v[32:33]
	v_add_f64_e64 v[36:37], v[32:33], -v[36:37]
	v_add_f64_e64 v[38:39], v[38:39], -v[42:43]
	s_delay_alu instid0(VALU_DEP_3) | instskip(NEXT) | instid1(VALU_DEP_3)
	v_add_f64_e64 v[44:45], v[40:41], -v[30:31]
	v_add_f64_e64 v[6:7], v[6:7], -v[36:37]
	s_delay_alu instid0(VALU_DEP_2) | instskip(SKIP_1) | instid1(VALU_DEP_3)
	v_add_f64_e64 v[46:47], v[40:41], -v[44:45]
	v_add_f64_e64 v[32:33], v[32:33], -v[44:45]
	v_add_f64_e32 v[36:37], v[38:39], v[6:7]
	s_delay_alu instid0(VALU_DEP_3) | instskip(NEXT) | instid1(VALU_DEP_1)
	v_add_f64_e64 v[30:31], v[30:31], -v[46:47]
	v_add_f64_e32 v[30:31], v[32:33], v[30:31]
	s_delay_alu instid0(VALU_DEP_3) | instskip(NEXT) | instid1(VALU_DEP_2)
	v_add_f64_e64 v[32:33], v[36:37], -v[38:39]
	v_add_f64_e32 v[30:31], v[36:37], v[30:31]
	s_delay_alu instid0(VALU_DEP_2) | instskip(SKIP_1) | instid1(VALU_DEP_3)
	v_add_f64_e64 v[36:37], v[36:37], -v[32:33]
	v_add_f64_e64 v[6:7], v[6:7], -v[32:33]
	v_add_f64_e32 v[42:43], v[40:41], v[30:31]
	s_delay_alu instid0(VALU_DEP_3) | instskip(NEXT) | instid1(VALU_DEP_2)
	v_add_f64_e64 v[32:33], v[38:39], -v[36:37]
	v_add_f64_e64 v[36:37], v[42:43], -v[40:41]
	s_delay_alu instid0(VALU_DEP_2) | instskip(NEXT) | instid1(VALU_DEP_2)
	v_add_f64_e32 v[6:7], v[6:7], v[32:33]
	v_add_f64_e64 v[30:31], v[30:31], -v[36:37]
	s_delay_alu instid0(VALU_DEP_1) | instskip(SKIP_1) | instid1(VALU_DEP_2)
	v_add_f64_e32 v[6:7], v[6:7], v[30:31]
	v_mov_b64_e32 v[30:31], 0x7ff8000000000000
	v_add_f64_e32 v[6:7], v[42:43], v[6:7]
	s_delay_alu instid0(VALU_DEP_1) | instskip(SKIP_1) | instid1(VALU_DEP_2)
	v_dual_cndmask_b32 v1, v6, v34 :: v_dual_cndmask_b32 v6, v7, v35
	v_cmp_ngt_f64_e32 vcc_lo, 0, v[34:35]
	v_cndmask_b32_e32 v6, 0x7ff80000, v6, vcc_lo
	v_cmp_nge_f64_e32 vcc_lo, 0, v[34:35]
	s_delay_alu instid0(VALU_DEP_4) | instskip(SKIP_1) | instid1(VALU_DEP_4)
	v_cndmask_b32_e32 v32, 0, v1, vcc_lo
	v_cmp_neq_f64_e32 vcc_lo, 0, v[34:35]
	v_cndmask_b32_e32 v33, 0xfff00000, v6, vcc_lo
.LBB191_39:                             ;   in Loop: Header=BB191_5 Depth=1
	s_or_b32 exec_lo, exec_lo, s2
                                        ; implicit-def: $vgpr34_vgpr35
                                        ; implicit-def: $vgpr6_vgpr7
	s_delay_alu instid0(SALU_CYCLE_1)
	s_mov_b32 s2, exec_lo
	s_wait_loadcnt 0x2
	v_cmpx_o_f64_e32 v[10:11], v[12:13]
	s_xor_b32 s44, exec_lo, s2
	s_cbranch_execz .LBB191_67
; %bb.40:                               ;   in Loop: Header=BB191_5 Depth=1
	v_cmp_lt_f64_e64 s2, |v[10:11]|, |v[12:13]|
	v_and_b32_e32 v21, 0x7fffffff, v11
	v_and_b32_e32 v1, 0x7fffffff, v13
	v_mov_b32_e32 v8, v12
                                        ; implicit-def: $vgpr34_vgpr35
                                        ; implicit-def: $vgpr6_vgpr7
	s_mov_b32 s3, exec_lo
	s_delay_alu instid0(VALU_DEP_2) | instskip(NEXT) | instid1(VALU_DEP_1)
	v_dual_cndmask_b32 v39, v1, v21, s2 :: v_dual_cndmask_b32 v38, v12, v10, s2
	v_cmpx_nlt_f64_e32 s[20:21], v[38:39]
	s_xor_b32 s45, exec_lo, s3
	s_cbranch_execz .LBB191_64
; %bb.41:                               ;   in Loop: Header=BB191_5 Depth=1
	v_dual_cndmask_b32 v41, v21, v1, s2 :: v_dual_cndmask_b32 v40, v10, v8, s2
                                        ; implicit-def: $vgpr34_vgpr35
                                        ; implicit-def: $vgpr6_vgpr7
	s_mov_b32 s3, exec_lo
	s_delay_alu instid0(VALU_DEP_1)
	v_cmpx_neq_f64_e32 1.0, v[40:41]
	s_xor_b32 s46, exec_lo, s3
	s_cbranch_execz .LBB191_57
; %bb.42:                               ;   in Loop: Header=BB191_5 Depth=1
	v_max_num_f64_e32 v[6:7], v[38:39], v[38:39]
	v_max_num_f64_e32 v[34:35], v[40:41], v[40:41]
	s_delay_alu instid0(VALU_DEP_1) | instskip(SKIP_1) | instid1(VALU_DEP_2)
	v_min_num_f64_e32 v[36:37], v[34:35], v[6:7]
	v_max_num_f64_e32 v[6:7], v[34:35], v[6:7]
                                        ; implicit-def: $vgpr34_vgpr35
	v_cmp_ngt_f64_e32 vcc_lo, s[22:23], v[36:37]
	s_delay_alu instid0(VALU_DEP_2) | instskip(SKIP_1) | instid1(SALU_CYCLE_1)
	v_cmp_nlt_f64_e64 s3, s[24:25], v[6:7]
                                        ; implicit-def: $vgpr6_vgpr7
	s_and_b32 s3, s3, vcc_lo
	s_and_saveexec_b32 s4, s3
	s_delay_alu instid0(SALU_CYCLE_1)
	s_xor_b32 s47, exec_lo, s4
	s_cbranch_execz .LBB191_54
; %bb.43:                               ;   in Loop: Header=BB191_5 Depth=1
                                        ; implicit-def: $vgpr34_vgpr35
                                        ; implicit-def: $vgpr6_vgpr7
	s_mov_b32 s3, exec_lo
	v_cmpx_le_f64_e32 1.0, v[40:41]
	s_xor_b32 s6, exec_lo, s3
	s_cbranch_execz .LBB191_45
; %bb.44:                               ;   in Loop: Header=BB191_5 Depth=1
	v_add_f64_e32 v[6:7], -1.0, v[40:41]
	v_add_f64_e32 v[34:35], 1.0, v[40:41]
	v_cmp_eq_f64_e64 s3, 0, v[12:13]
	v_cmp_class_f64_e64 s7, v[12:13], 0x204
	v_cmp_class_f64_e64 s8, v[10:11], 0x204
	s_delay_alu instid0(VALU_DEP_4) | instskip(NEXT) | instid1(VALU_DEP_1)
	v_mul_f64_e32 v[36:37], v[6:7], v[34:35]
	v_fmac_f64_e32 v[36:37], v[38:39], v[38:39]
	s_delay_alu instid0(VALU_DEP_1) | instskip(SKIP_2) | instid1(VALU_DEP_3)
	v_add_f64_e32 v[6:7], 1.0, v[36:37]
	v_cmp_nge_f64_e64 s4, -1.0, v[36:37]
	v_cmp_neq_f64_e64 s5, 0x7ff00000, v[36:37]
	v_frexp_mant_f64_e32 v[34:35], v[6:7]
	v_frexp_exp_i32_f64_e32 v1, v[6:7]
	v_add_f64_e32 v[38:39], -1.0, v[6:7]
	s_delay_alu instid0(VALU_DEP_3) | instskip(NEXT) | instid1(VALU_DEP_2)
	v_cmp_gt_f64_e32 vcc_lo, s[26:27], v[34:35]
	v_add_f64_e64 v[34:35], v[38:39], -v[6:7]
	v_add_f64_e64 v[38:39], v[36:37], -v[38:39]
	v_subrev_co_ci_u32_e64 v1, null, 0, v1, vcc_lo
	s_delay_alu instid0(VALU_DEP_1) | instskip(NEXT) | instid1(VALU_DEP_1)
	v_dual_add_f64 v[34:35], 1.0, v[34:35] :: v_dual_sub_nc_u32 v8, 0, v1
	v_ldexp_f64 v[6:7], v[6:7], v8
	s_delay_alu instid0(VALU_DEP_2) | instskip(NEXT) | instid1(VALU_DEP_2)
	v_add_f64_e32 v[34:35], v[38:39], v[34:35]
	v_add_f64_e32 v[40:41], 1.0, v[6:7]
	v_add_f64_e32 v[46:47], -1.0, v[6:7]
	s_delay_alu instid0(VALU_DEP_3) | instskip(NEXT) | instid1(VALU_DEP_3)
	v_ldexp_f64 v[34:35], v[34:35], v8
	v_add_f64_e32 v[38:39], -1.0, v[40:41]
	s_delay_alu instid0(VALU_DEP_3) | instskip(NEXT) | instid1(VALU_DEP_2)
	v_add_f64_e32 v[48:49], 1.0, v[46:47]
	v_add_f64_e64 v[38:39], v[6:7], -v[38:39]
	s_delay_alu instid0(VALU_DEP_2) | instskip(NEXT) | instid1(VALU_DEP_2)
	v_add_f64_e64 v[6:7], v[6:7], -v[48:49]
	v_add_f64_e32 v[38:39], v[34:35], v[38:39]
	s_delay_alu instid0(VALU_DEP_2) | instskip(NEXT) | instid1(VALU_DEP_2)
	v_add_f64_e32 v[6:7], v[34:35], v[6:7]
	v_add_f64_e32 v[42:43], v[40:41], v[38:39]
	s_delay_alu instid0(VALU_DEP_2) | instskip(NEXT) | instid1(VALU_DEP_2)
	v_add_f64_e32 v[48:49], v[46:47], v[6:7]
	v_rcp_f64_e32 v[44:45], v[42:43]
	v_add_f64_e64 v[40:41], v[42:43], -v[40:41]
	s_delay_alu instid0(VALU_DEP_2) | instskip(NEXT) | instid1(VALU_DEP_2)
	v_add_f64_e64 v[46:47], v[48:49], -v[46:47]
	v_add_f64_e64 v[38:39], v[38:39], -v[40:41]
	s_delay_alu instid0(VALU_DEP_2) | instskip(NEXT) | instid1(TRANS32_DEP_1)
	v_add_f64_e64 v[6:7], v[6:7], -v[46:47]
	v_fma_f64 v[50:51], -v[42:43], v[44:45], 1.0
	s_delay_alu instid0(VALU_DEP_1) | instskip(NEXT) | instid1(VALU_DEP_1)
	v_fmac_f64_e32 v[44:45], v[50:51], v[44:45]
	v_fma_f64 v[34:35], -v[42:43], v[44:45], 1.0
	s_delay_alu instid0(VALU_DEP_1) | instskip(NEXT) | instid1(VALU_DEP_1)
	v_fmac_f64_e32 v[44:45], v[34:35], v[44:45]
	v_mul_f64_e32 v[34:35], v[48:49], v[44:45]
	s_delay_alu instid0(VALU_DEP_1) | instskip(NEXT) | instid1(VALU_DEP_1)
	v_mul_f64_e32 v[50:51], v[42:43], v[34:35]
	v_fma_f64 v[40:41], v[34:35], v[42:43], -v[50:51]
	s_delay_alu instid0(VALU_DEP_1) | instskip(NEXT) | instid1(VALU_DEP_1)
	v_fmac_f64_e32 v[40:41], v[34:35], v[38:39]
	v_add_f64_e32 v[52:53], v[50:51], v[40:41]
	s_delay_alu instid0(VALU_DEP_1) | instskip(SKIP_1) | instid1(VALU_DEP_2)
	v_add_f64_e64 v[54:55], v[48:49], -v[52:53]
	v_add_f64_e64 v[46:47], v[52:53], -v[50:51]
	;; [unrolled: 1-line block ×3, first 2 shown]
	s_delay_alu instid0(VALU_DEP_2) | instskip(NEXT) | instid1(VALU_DEP_2)
	v_add_f64_e64 v[40:41], v[46:47], -v[40:41]
	v_add_f64_e64 v[48:49], v[48:49], -v[52:53]
	s_delay_alu instid0(VALU_DEP_1) | instskip(NEXT) | instid1(VALU_DEP_1)
	v_add_f64_e32 v[6:7], v[6:7], v[48:49]
	v_add_f64_e32 v[6:7], v[40:41], v[6:7]
	s_delay_alu instid0(VALU_DEP_1) | instskip(NEXT) | instid1(VALU_DEP_1)
	v_add_f64_e32 v[40:41], v[54:55], v[6:7]
	v_mul_f64_e32 v[46:47], v[44:45], v[40:41]
	v_add_f64_e64 v[52:53], v[54:55], -v[40:41]
	s_delay_alu instid0(VALU_DEP_2) | instskip(NEXT) | instid1(VALU_DEP_2)
	v_mul_f64_e32 v[48:49], v[42:43], v[46:47]
	v_add_f64_e32 v[6:7], v[6:7], v[52:53]
	s_delay_alu instid0(VALU_DEP_2) | instskip(NEXT) | instid1(VALU_DEP_1)
	v_fma_f64 v[42:43], v[46:47], v[42:43], -v[48:49]
	v_fmac_f64_e32 v[42:43], v[46:47], v[38:39]
	s_delay_alu instid0(VALU_DEP_1) | instskip(NEXT) | instid1(VALU_DEP_1)
	v_add_f64_e32 v[38:39], v[48:49], v[42:43]
	v_add_f64_e64 v[50:51], v[40:41], -v[38:39]
	v_add_f64_e64 v[48:49], v[38:39], -v[48:49]
	s_delay_alu instid0(VALU_DEP_2) | instskip(NEXT) | instid1(VALU_DEP_1)
	v_add_f64_e64 v[40:41], v[40:41], -v[50:51]
	v_add_f64_e64 v[38:39], v[40:41], -v[38:39]
	s_delay_alu instid0(VALU_DEP_3) | instskip(SKIP_1) | instid1(VALU_DEP_3)
	v_add_f64_e64 v[40:41], v[48:49], -v[42:43]
	v_max_num_f64_e64 v[42:43], |v[10:11]|, |v[10:11]|
	v_add_f64_e32 v[6:7], v[6:7], v[38:39]
	v_add_f64_e32 v[38:39], v[34:35], v[46:47]
	s_delay_alu instid0(VALU_DEP_2) | instskip(NEXT) | instid1(VALU_DEP_2)
	v_add_f64_e32 v[6:7], v[40:41], v[6:7]
	v_add_f64_e64 v[34:35], v[38:39], -v[34:35]
	v_max_num_f64_e64 v[40:41], |v[12:13]|, |v[12:13]|
	s_delay_alu instid0(VALU_DEP_3) | instskip(NEXT) | instid1(VALU_DEP_3)
	v_add_f64_e32 v[6:7], v[50:51], v[6:7]
	v_add_f64_e64 v[34:35], v[46:47], -v[34:35]
	s_delay_alu instid0(VALU_DEP_2) | instskip(NEXT) | instid1(VALU_DEP_1)
	v_mul_f64_e32 v[6:7], v[44:45], v[6:7]
	v_add_f64_e32 v[6:7], v[34:35], v[6:7]
	v_max_num_f64_e32 v[34:35], v[42:43], v[40:41]
	v_min_num_f64_e32 v[40:41], v[42:43], v[40:41]
	s_delay_alu instid0(VALU_DEP_3) | instskip(NEXT) | instid1(VALU_DEP_2)
	v_add_f64_e32 v[42:43], v[38:39], v[6:7]
	v_div_scale_f64 v[44:45], null, v[34:35], v[34:35], v[40:41]
	s_delay_alu instid0(VALU_DEP_2) | instskip(SKIP_1) | instid1(VALU_DEP_3)
	v_mul_f64_e32 v[46:47], v[42:43], v[42:43]
	v_add_f64_e64 v[38:39], v[42:43], -v[38:39]
	v_rcp_f64_e32 v[48:49], v[44:45]
	s_delay_alu instid0(VALU_DEP_2) | instskip(SKIP_1) | instid1(VALU_DEP_3)
	v_fmamk_f64 v[50:51], v[46:47], 0x3fc3ab76bf559e2b, v[22:23]
	v_mul_f64_e32 v[52:53], v[42:43], v[46:47]
	v_add_f64_e64 v[6:7], v[6:7], -v[38:39]
	s_delay_alu instid0(VALU_DEP_3) | instskip(NEXT) | instid1(TRANS32_DEP_1)
	v_fmaak_f64 v[50:51], v[46:47], v[50:51], 0x3fc7474dd7f4df2e
	v_fma_f64 v[54:55], -v[44:45], v[48:49], 1.0
	s_delay_alu instid0(VALU_DEP_2) | instskip(NEXT) | instid1(VALU_DEP_1)
	v_fmaak_f64 v[50:51], v[46:47], v[50:51], 0x3fcc71c016291751
	v_fmaak_f64 v[50:51], v[46:47], v[50:51], 0x3fd249249b27acf1
	s_delay_alu instid0(VALU_DEP_1) | instskip(SKIP_1) | instid1(VALU_DEP_2)
	v_fmaak_f64 v[50:51], v[46:47], v[50:51], 0x3fd99999998ef7b6
	v_ldexp_f64 v[6:7], v[6:7], 1
	v_fmaak_f64 v[46:47], v[46:47], v[50:51], 0x3fe5555555555780
	v_ldexp_f64 v[50:51], v[42:43], 1
	v_fmac_f64_e32 v[48:49], v[48:49], v[54:55]
	s_delay_alu instid0(VALU_DEP_3) | instskip(SKIP_2) | instid1(VALU_DEP_1)
	v_mul_f64_e32 v[46:47], v[52:53], v[46:47]
	v_cvt_f64_i32_e32 v[52:53], v1
	v_ashrrev_i32_e32 v1, 31, v11
	v_and_b32_e32 v21, 0x54442d18, v1
	v_and_b32_e32 v1, 0x400921fb, v1
	v_fma_f64 v[54:55], -v[44:45], v[48:49], 1.0
	v_add_f64_e32 v[42:43], v[50:51], v[46:47]
	v_mul_f64_e32 v[56:57], 0x3fe62e42fefa39ef, v[52:53]
	s_delay_alu instid0(VALU_DEP_3) | instskip(NEXT) | instid1(VALU_DEP_3)
	v_fmac_f64_e32 v[48:49], v[48:49], v[54:55]
	v_add_f64_e64 v[38:39], v[42:43], -v[50:51]
	v_div_scale_f64 v[50:51], vcc_lo, v[40:41], v[34:35], v[40:41]
	s_delay_alu instid0(VALU_DEP_4) | instskip(NEXT) | instid1(VALU_DEP_3)
	v_fma_f64 v[54:55], v[52:53], s[28:29], -v[56:57]
	v_add_f64_e64 v[38:39], v[46:47], -v[38:39]
	s_delay_alu instid0(VALU_DEP_3) | instskip(NEXT) | instid1(VALU_DEP_3)
	v_mul_f64_e32 v[46:47], v[50:51], v[48:49]
	v_fmac_f64_e32 v[54:55], 0x3c7abc9e3b39803f, v[52:53]
	s_delay_alu instid0(VALU_DEP_3) | instskip(NEXT) | instid1(VALU_DEP_3)
	v_add_f64_e32 v[6:7], v[6:7], v[38:39]
	v_fma_f64 v[38:39], -v[44:45], v[46:47], v[50:51]
	s_delay_alu instid0(VALU_DEP_3) | instskip(NEXT) | instid1(VALU_DEP_3)
	v_add_f64_e32 v[44:45], v[56:57], v[54:55]
	v_add_f64_e32 v[50:51], v[42:43], v[6:7]
	s_delay_alu instid0(VALU_DEP_3) | instskip(SKIP_1) | instid1(VALU_DEP_4)
	v_div_fmas_f64 v[38:39], v[38:39], v[48:49], v[46:47]
	v_cmp_gt_i32_e32 vcc_lo, 0, v11
	v_add_f64_e64 v[48:49], v[44:45], -v[56:57]
	v_cndmask_b32_e32 v8, 0x54442d18, v62, vcc_lo
	v_add_f64_e32 v[46:47], v[44:45], v[50:51]
	v_div_fixup_f64 v[34:35], v[38:39], v[34:35], v[40:41]
	v_add_f64_e64 v[42:43], v[50:51], -v[42:43]
	v_add_f64_e64 v[48:49], v[54:55], -v[48:49]
	s_delay_alu instid0(VALU_DEP_4) | instskip(NEXT) | instid1(VALU_DEP_4)
	v_add_f64_e64 v[38:39], v[46:47], -v[44:45]
	v_mul_f64_e32 v[40:41], v[34:35], v[34:35]
	s_delay_alu instid0(VALU_DEP_4) | instskip(NEXT) | instid1(VALU_DEP_3)
	v_add_f64_e64 v[6:7], v[6:7], -v[42:43]
	v_add_f64_e64 v[52:53], v[46:47], -v[38:39]
	s_delay_alu instid0(VALU_DEP_3) | instskip(SKIP_1) | instid1(VALU_DEP_4)
	v_fmamk_f64 v[56:57], v[40:41], 0x3eeba404b5e68a13, v[24:25]
	v_add_f64_e64 v[38:39], v[50:51], -v[38:39]
	v_add_f64_e32 v[50:51], v[48:49], v[6:7]
	s_delay_alu instid0(VALU_DEP_3) | instskip(SKIP_1) | instid1(VALU_DEP_2)
	v_fmaak_f64 v[56:57], v[40:41], v[56:57], 0x3f4b2bb069efb384
	v_add_f64_e64 v[42:43], v[44:45], -v[52:53]
	v_fmaak_f64 v[44:45], v[40:41], v[56:57], 0xbf67952daf56de9b
	s_delay_alu instid0(VALU_DEP_1) | instskip(NEXT) | instid1(VALU_DEP_1)
	v_fmaak_f64 v[44:45], v[40:41], v[44:45], 0x3f7d6d43a595c56f
	v_fmaak_f64 v[44:45], v[40:41], v[44:45], 0xbf8c6ea4a57d9582
	s_delay_alu instid0(VALU_DEP_1) | instskip(NEXT) | instid1(VALU_DEP_1)
	v_fmaak_f64 v[44:45], v[40:41], v[44:45], 0x3f967e295f08b19f
	v_fmaak_f64 v[44:45], v[40:41], v[44:45], 0xbf9e9ae6fc27006a
	v_add_f64_e32 v[38:39], v[38:39], v[42:43]
	s_delay_alu instid0(VALU_DEP_2) | instskip(SKIP_1) | instid1(VALU_DEP_2)
	v_fmaak_f64 v[42:43], v[40:41], v[44:45], 0x3fa2c15b5711927a
	v_add_f64_e64 v[44:45], v[50:51], -v[48:49]
	v_fmaak_f64 v[42:43], v[40:41], v[42:43], 0xbfa59976e82d3ff0
	s_delay_alu instid0(VALU_DEP_1) | instskip(NEXT) | instid1(VALU_DEP_1)
	v_fmaak_f64 v[42:43], v[40:41], v[42:43], 0x3fa82d5d6ef28734
	v_fmaak_f64 v[42:43], v[40:41], v[42:43], 0xbfaae5ce6a214619
	s_delay_alu instid0(VALU_DEP_1) | instskip(SKIP_3) | instid1(VALU_DEP_4)
	v_fmaak_f64 v[42:43], v[40:41], v[42:43], 0x3fae1bb48427b883
	v_add_f64_e32 v[38:39], v[50:51], v[38:39]
	v_add_f64_e64 v[50:51], v[50:51], -v[44:45]
	v_add_f64_e64 v[6:7], v[6:7], -v[44:45]
	v_fmaak_f64 v[42:43], v[40:41], v[42:43], 0xbfb110e48b207f05
	s_delay_alu instid0(VALU_DEP_1) | instskip(NEXT) | instid1(VALU_DEP_1)
	v_fmaak_f64 v[42:43], v[40:41], v[42:43], 0x3fb3b13657b87036
	v_fmaak_f64 v[42:43], v[40:41], v[42:43], 0xbfb745d119378e4f
	s_delay_alu instid0(VALU_DEP_1) | instskip(SKIP_1) | instid1(VALU_DEP_2)
	v_fmaak_f64 v[42:43], v[40:41], v[42:43], 0x3fbc71c717e1913c
	v_add_f64_e32 v[52:53], v[46:47], v[38:39]
	v_fmaak_f64 v[42:43], v[40:41], v[42:43], 0xbfc2492492376b7d
	s_delay_alu instid0(VALU_DEP_1) | instskip(NEXT) | instid1(VALU_DEP_1)
	v_fmaak_f64 v[42:43], v[40:41], v[42:43], 0x3fc99999999952cc
	v_fmaak_f64 v[42:43], v[40:41], v[42:43], 0xbfd5555555555523
	s_delay_alu instid0(VALU_DEP_1) | instskip(SKIP_2) | instid1(VALU_DEP_3)
	v_mul_f64_e32 v[40:41], v[40:41], v[42:43]
	v_add_f64_e64 v[42:43], v[48:49], -v[50:51]
	v_add_f64_e64 v[44:45], v[52:53], -v[46:47]
	v_fmac_f64_e32 v[34:35], v[34:35], v[40:41]
	s_delay_alu instid0(VALU_DEP_3) | instskip(NEXT) | instid1(VALU_DEP_3)
	v_add_f64_e32 v[6:7], v[6:7], v[42:43]
	v_add_f64_e64 v[38:39], v[38:39], -v[44:45]
	s_delay_alu instid0(VALU_DEP_3) | instskip(NEXT) | instid1(VALU_DEP_2)
	v_add_f64_e64 v[40:41], -v[34:35], s[30:31]
	v_add_f64_e32 v[6:7], v[6:7], v[38:39]
	s_delay_alu instid0(VALU_DEP_2) | instskip(NEXT) | instid1(VALU_DEP_1)
	v_dual_cndmask_b32 v35, v35, v41, s2 :: v_dual_cndmask_b32 v34, v34, v40, s2
                                        ; implicit-def: $vgpr40_vgpr41
	v_add_f64_e64 v[38:39], -v[34:35], s[34:35]
	s_delay_alu instid0(VALU_DEP_3) | instskip(NEXT) | instid1(VALU_DEP_2)
	v_add_f64_e32 v[6:7], v[52:53], v[6:7]
	v_dual_cndmask_b32 v34, v34, v38 :: v_dual_cndmask_b32 v35, v35, v39
	v_cndmask_b32_e32 v38, 0x3fe921fb, v63, vcc_lo
	s_delay_alu instid0(VALU_DEP_3) | instskip(SKIP_1) | instid1(VALU_DEP_4)
	v_mul_f64_e32 v[6:7], 0.5, v[6:7]
	v_cmp_ngt_f64_e32 vcc_lo, -1.0, v[36:37]
	v_cndmask_b32_e64 v21, v34, v21, s3
	v_cndmask_b32_e64 v1, v35, v1, s3
	s_and_b32 s3, s4, s5
	v_bfi_b32 v38, 0x7fffffff, v38, v13
	v_cndmask_b32_e64 v34, 0, v6, s3
	v_cmp_neq_f64_e64 s3, -1.0, v[36:37]
	v_cndmask_b32_e64 v7, 0x7ff00000, v7, s5
	s_delay_alu instid0(VALU_DEP_1) | instskip(SKIP_3) | instid1(VALU_DEP_3)
	v_cndmask_b32_e32 v35, 0x7ff80000, v7, vcc_lo
	s_and_b32 vcc_lo, s8, s7
	v_cndmask_b32_e32 v7, v1, v38, vcc_lo
	v_cndmask_b32_e32 v6, v21, v8, vcc_lo
                                        ; implicit-def: $vgpr38_vgpr39
	v_cndmask_b32_e64 v35, 0xfff00000, v35, s3
.LBB191_45:                             ;   in Loop: Header=BB191_5 Depth=1
	s_and_not1_saveexec_b32 s48, s6
	s_cbranch_execz .LBB191_53
; %bb.46:                               ;   in Loop: Header=BB191_5 Depth=1
	v_mul_f64_e32 v[36:37], v[38:39], v[38:39]
                                        ; implicit-def: $vgpr34_vgpr35
                                        ; implicit-def: $vgpr6_vgpr7
	s_mov_b32 s3, exec_lo
	s_delay_alu instid0(VALU_DEP_1) | instskip(NEXT) | instid1(VALU_DEP_1)
	v_fmac_f64_e32 v[36:37], v[40:41], v[40:41]
	v_cmpx_ge_f64_e32 s[36:37], v[36:37]
	s_xor_b32 s5, exec_lo, s3
	s_cbranch_execz .LBB191_48
; %bb.47:                               ;   in Loop: Header=BB191_5 Depth=1
	v_frexp_mant_f64_e32 v[6:7], v[36:37]
	v_cmp_eq_f64_e64 s3, 0, v[12:13]
	v_cmp_neq_f64_e64 s4, 0, v[36:37]
	v_cmp_class_f64_e64 s6, v[12:13], 0x204
	v_cmp_class_f64_e64 s7, v[10:11], 0x204
	v_cmp_gt_f64_e32 vcc_lo, s[26:27], v[6:7]
	v_cndmask_b32_e64 v1, 0, 1, vcc_lo
	s_delay_alu instid0(VALU_DEP_1) | instskip(SKIP_1) | instid1(VALU_DEP_2)
	v_ldexp_f64 v[6:7], v[6:7], v1
	v_frexp_exp_i32_f64_e32 v1, v[36:37]
	v_add_f64_e32 v[34:35], 1.0, v[6:7]
	v_add_f64_e32 v[42:43], -1.0, v[6:7]
	s_delay_alu instid0(VALU_DEP_3) | instskip(NEXT) | instid1(VALU_DEP_3)
	v_subrev_co_ci_u32_e64 v1, null, 0, v1, vcc_lo
	v_rcp_f64_e32 v[38:39], v[34:35]
	v_add_f64_e32 v[44:45], -1.0, v[34:35]
	s_delay_alu instid0(VALU_DEP_1) | instskip(NEXT) | instid1(TRANS32_DEP_1)
	v_add_f64_e64 v[6:7], v[6:7], -v[44:45]
	v_fma_f64 v[40:41], -v[34:35], v[38:39], 1.0
	s_delay_alu instid0(VALU_DEP_1) | instskip(NEXT) | instid1(VALU_DEP_1)
	v_fmac_f64_e32 v[38:39], v[40:41], v[38:39]
	v_fma_f64 v[40:41], -v[34:35], v[38:39], 1.0
	s_delay_alu instid0(VALU_DEP_1) | instskip(NEXT) | instid1(VALU_DEP_1)
	v_fmac_f64_e32 v[38:39], v[40:41], v[38:39]
	v_mul_f64_e32 v[40:41], v[42:43], v[38:39]
	s_delay_alu instid0(VALU_DEP_1) | instskip(NEXT) | instid1(VALU_DEP_1)
	v_mul_f64_e32 v[46:47], v[34:35], v[40:41]
	v_fma_f64 v[34:35], v[40:41], v[34:35], -v[46:47]
	s_delay_alu instid0(VALU_DEP_1) | instskip(NEXT) | instid1(VALU_DEP_1)
	v_fmac_f64_e32 v[34:35], v[40:41], v[6:7]
	v_add_f64_e32 v[6:7], v[46:47], v[34:35]
	s_delay_alu instid0(VALU_DEP_1) | instskip(SKIP_1) | instid1(VALU_DEP_2)
	v_add_f64_e64 v[44:45], v[42:43], -v[6:7]
	v_add_f64_e64 v[46:47], v[6:7], -v[46:47]
	;; [unrolled: 1-line block ×3, first 2 shown]
	s_delay_alu instid0(VALU_DEP_2) | instskip(NEXT) | instid1(VALU_DEP_2)
	v_add_f64_e64 v[34:35], v[46:47], -v[34:35]
	v_add_f64_e64 v[6:7], v[42:43], -v[6:7]
	v_max_num_f64_e64 v[42:43], |v[10:11]|, |v[10:11]|
	s_delay_alu instid0(VALU_DEP_2) | instskip(SKIP_1) | instid1(VALU_DEP_2)
	v_add_f64_e32 v[6:7], v[34:35], v[6:7]
	v_max_num_f64_e64 v[34:35], |v[12:13]|, |v[12:13]|
	v_add_f64_e32 v[6:7], v[44:45], v[6:7]
	s_delay_alu instid0(VALU_DEP_1) | instskip(NEXT) | instid1(VALU_DEP_3)
	v_mul_f64_e32 v[6:7], v[38:39], v[6:7]
	v_max_num_f64_e32 v[38:39], v[42:43], v[34:35]
	v_min_num_f64_e32 v[34:35], v[42:43], v[34:35]
	s_delay_alu instid0(VALU_DEP_3) | instskip(NEXT) | instid1(VALU_DEP_2)
	v_add_f64_e32 v[42:43], v[40:41], v[6:7]
	v_div_scale_f64 v[44:45], null, v[38:39], v[38:39], v[34:35]
	s_delay_alu instid0(VALU_DEP_2) | instskip(SKIP_1) | instid1(VALU_DEP_3)
	v_mul_f64_e32 v[46:47], v[42:43], v[42:43]
	v_add_f64_e64 v[40:41], v[42:43], -v[40:41]
	v_rcp_f64_e32 v[48:49], v[44:45]
	s_delay_alu instid0(VALU_DEP_2) | instskip(SKIP_1) | instid1(VALU_DEP_3)
	v_fmamk_f64 v[50:51], v[46:47], 0x3fc3ab76bf559e2b, v[22:23]
	v_mul_f64_e32 v[52:53], v[42:43], v[46:47]
	v_add_f64_e64 v[6:7], v[6:7], -v[40:41]
	s_delay_alu instid0(VALU_DEP_3) | instskip(NEXT) | instid1(TRANS32_DEP_1)
	v_fmaak_f64 v[50:51], v[46:47], v[50:51], 0x3fc7474dd7f4df2e
	v_fma_f64 v[54:55], -v[44:45], v[48:49], 1.0
	s_delay_alu instid0(VALU_DEP_2) | instskip(NEXT) | instid1(VALU_DEP_1)
	v_fmaak_f64 v[50:51], v[46:47], v[50:51], 0x3fcc71c016291751
	v_fmaak_f64 v[50:51], v[46:47], v[50:51], 0x3fd249249b27acf1
	s_delay_alu instid0(VALU_DEP_1) | instskip(SKIP_1) | instid1(VALU_DEP_2)
	v_fmaak_f64 v[50:51], v[46:47], v[50:51], 0x3fd99999998ef7b6
	v_ldexp_f64 v[6:7], v[6:7], 1
	v_fmaak_f64 v[46:47], v[46:47], v[50:51], 0x3fe5555555555780
	v_ldexp_f64 v[50:51], v[42:43], 1
	v_fmac_f64_e32 v[48:49], v[48:49], v[54:55]
	s_delay_alu instid0(VALU_DEP_3) | instskip(SKIP_2) | instid1(VALU_DEP_1)
	v_mul_f64_e32 v[46:47], v[52:53], v[46:47]
	v_cvt_f64_i32_e32 v[52:53], v1
	v_ashrrev_i32_e32 v1, 31, v11
	v_and_b32_e32 v21, 0x54442d18, v1
	v_and_b32_e32 v1, 0x400921fb, v1
	v_fma_f64 v[54:55], -v[44:45], v[48:49], 1.0
	v_add_f64_e32 v[42:43], v[50:51], v[46:47]
	v_mul_f64_e32 v[56:57], 0x3fe62e42fefa39ef, v[52:53]
	s_delay_alu instid0(VALU_DEP_3) | instskip(NEXT) | instid1(VALU_DEP_3)
	v_fmac_f64_e32 v[48:49], v[48:49], v[54:55]
	v_add_f64_e64 v[40:41], v[42:43], -v[50:51]
	v_div_scale_f64 v[50:51], vcc_lo, v[34:35], v[38:39], v[34:35]
	s_delay_alu instid0(VALU_DEP_4) | instskip(NEXT) | instid1(VALU_DEP_3)
	v_fma_f64 v[54:55], v[52:53], s[28:29], -v[56:57]
	v_add_f64_e64 v[40:41], v[46:47], -v[40:41]
	s_delay_alu instid0(VALU_DEP_3) | instskip(NEXT) | instid1(VALU_DEP_3)
	v_mul_f64_e32 v[46:47], v[50:51], v[48:49]
	v_fmac_f64_e32 v[54:55], 0x3c7abc9e3b39803f, v[52:53]
	s_delay_alu instid0(VALU_DEP_3) | instskip(NEXT) | instid1(VALU_DEP_3)
	v_add_f64_e32 v[6:7], v[6:7], v[40:41]
	v_fma_f64 v[40:41], -v[44:45], v[46:47], v[50:51]
	s_delay_alu instid0(VALU_DEP_3) | instskip(NEXT) | instid1(VALU_DEP_3)
	v_add_f64_e32 v[44:45], v[56:57], v[54:55]
	v_add_f64_e32 v[50:51], v[42:43], v[6:7]
	s_delay_alu instid0(VALU_DEP_3) | instskip(SKIP_1) | instid1(VALU_DEP_4)
	v_div_fmas_f64 v[40:41], v[40:41], v[48:49], v[46:47]
	v_cmp_gt_i32_e32 vcc_lo, 0, v11
	v_add_f64_e64 v[48:49], v[44:45], -v[56:57]
	v_cndmask_b32_e32 v8, 0x54442d18, v62, vcc_lo
	v_add_f64_e32 v[46:47], v[44:45], v[50:51]
	v_div_fixup_f64 v[34:35], v[40:41], v[38:39], v[34:35]
	v_add_f64_e64 v[42:43], v[50:51], -v[42:43]
	v_add_f64_e64 v[48:49], v[54:55], -v[48:49]
	s_delay_alu instid0(VALU_DEP_4) | instskip(NEXT) | instid1(VALU_DEP_4)
	v_add_f64_e64 v[38:39], v[46:47], -v[44:45]
	v_mul_f64_e32 v[40:41], v[34:35], v[34:35]
	s_delay_alu instid0(VALU_DEP_4) | instskip(NEXT) | instid1(VALU_DEP_3)
	v_add_f64_e64 v[6:7], v[6:7], -v[42:43]
	v_add_f64_e64 v[52:53], v[46:47], -v[38:39]
	s_delay_alu instid0(VALU_DEP_3) | instskip(SKIP_1) | instid1(VALU_DEP_4)
	v_fmamk_f64 v[56:57], v[40:41], 0x3eeba404b5e68a13, v[24:25]
	v_add_f64_e64 v[38:39], v[50:51], -v[38:39]
	v_add_f64_e32 v[50:51], v[48:49], v[6:7]
	s_delay_alu instid0(VALU_DEP_3) | instskip(NEXT) | instid1(VALU_DEP_1)
	v_fmaak_f64 v[56:57], v[40:41], v[56:57], 0x3f4b2bb069efb384
	v_fmaak_f64 v[56:57], v[40:41], v[56:57], 0xbf67952daf56de9b
	v_add_f64_e64 v[42:43], v[44:45], -v[52:53]
	s_delay_alu instid0(VALU_DEP_2) | instskip(NEXT) | instid1(VALU_DEP_1)
	v_fmaak_f64 v[44:45], v[40:41], v[56:57], 0x3f7d6d43a595c56f
	v_fmaak_f64 v[44:45], v[40:41], v[44:45], 0xbf8c6ea4a57d9582
	s_delay_alu instid0(VALU_DEP_1) | instskip(NEXT) | instid1(VALU_DEP_1)
	v_fmaak_f64 v[44:45], v[40:41], v[44:45], 0x3f967e295f08b19f
	v_fmaak_f64 v[44:45], v[40:41], v[44:45], 0xbf9e9ae6fc27006a
	s_delay_alu instid0(VALU_DEP_1) | instskip(SKIP_1) | instid1(VALU_DEP_2)
	v_fmaak_f64 v[44:45], v[40:41], v[44:45], 0x3fa2c15b5711927a
	v_add_f64_e32 v[38:39], v[38:39], v[42:43]
	v_fmaak_f64 v[42:43], v[40:41], v[44:45], 0xbfa59976e82d3ff0
	v_add_f64_e64 v[44:45], v[50:51], -v[48:49]
	s_delay_alu instid0(VALU_DEP_2) | instskip(NEXT) | instid1(VALU_DEP_1)
	v_fmaak_f64 v[42:43], v[40:41], v[42:43], 0x3fa82d5d6ef28734
	v_fmaak_f64 v[42:43], v[40:41], v[42:43], 0xbfaae5ce6a214619
	s_delay_alu instid0(VALU_DEP_1) | instskip(NEXT) | instid1(VALU_DEP_1)
	v_fmaak_f64 v[42:43], v[40:41], v[42:43], 0x3fae1bb48427b883
	v_fmaak_f64 v[42:43], v[40:41], v[42:43], 0xbfb110e48b207f05
	v_add_f64_e32 v[38:39], v[50:51], v[38:39]
	v_add_f64_e64 v[50:51], v[50:51], -v[44:45]
	v_add_f64_e64 v[6:7], v[6:7], -v[44:45]
	s_delay_alu instid0(VALU_DEP_4) | instskip(NEXT) | instid1(VALU_DEP_1)
	v_fmaak_f64 v[42:43], v[40:41], v[42:43], 0x3fb3b13657b87036
	v_fmaak_f64 v[42:43], v[40:41], v[42:43], 0xbfb745d119378e4f
	s_delay_alu instid0(VALU_DEP_1) | instskip(NEXT) | instid1(VALU_DEP_1)
	v_fmaak_f64 v[42:43], v[40:41], v[42:43], 0x3fbc71c717e1913c
	v_fmaak_f64 v[42:43], v[40:41], v[42:43], 0xbfc2492492376b7d
	v_add_f64_e32 v[52:53], v[46:47], v[38:39]
	s_delay_alu instid0(VALU_DEP_2) | instskip(NEXT) | instid1(VALU_DEP_1)
	v_fmaak_f64 v[42:43], v[40:41], v[42:43], 0x3fc99999999952cc
	v_fmaak_f64 v[42:43], v[40:41], v[42:43], 0xbfd5555555555523
	s_delay_alu instid0(VALU_DEP_1) | instskip(SKIP_2) | instid1(VALU_DEP_3)
	v_mul_f64_e32 v[40:41], v[40:41], v[42:43]
	v_add_f64_e64 v[42:43], v[48:49], -v[50:51]
	v_add_f64_e64 v[44:45], v[52:53], -v[46:47]
	v_fmac_f64_e32 v[34:35], v[34:35], v[40:41]
	s_delay_alu instid0(VALU_DEP_3) | instskip(NEXT) | instid1(VALU_DEP_3)
	v_add_f64_e32 v[6:7], v[6:7], v[42:43]
	v_add_f64_e64 v[38:39], v[38:39], -v[44:45]
	s_delay_alu instid0(VALU_DEP_3) | instskip(NEXT) | instid1(VALU_DEP_2)
	v_add_f64_e64 v[40:41], -v[34:35], s[30:31]
	v_add_f64_e32 v[6:7], v[6:7], v[38:39]
	s_delay_alu instid0(VALU_DEP_2) | instskip(NEXT) | instid1(VALU_DEP_1)
	v_dual_cndmask_b32 v35, v35, v41, s2 :: v_dual_cndmask_b32 v34, v34, v40, s2
	v_add_f64_e64 v[38:39], -v[34:35], s[34:35]
	s_delay_alu instid0(VALU_DEP_3) | instskip(NEXT) | instid1(VALU_DEP_2)
	v_add_f64_e32 v[6:7], v[52:53], v[6:7]
	v_cndmask_b32_e32 v34, v34, v38, vcc_lo
	s_delay_alu instid0(VALU_DEP_1) | instskip(SKIP_3) | instid1(VALU_DEP_2)
	v_dual_mul_f64 v[40:41], 0.5, v[6:7] :: v_dual_cndmask_b32 v21, v34, v21, s3
	v_cndmask_b32_e32 v6, 0x3fe921fb, v63, vcc_lo
	v_cndmask_b32_e32 v7, v35, v39, vcc_lo
	s_and_b32 vcc_lo, s7, s6
                                        ; implicit-def: $vgpr38_vgpr39
	v_bfi_b32 v6, 0x7fffffff, v6, v13
	s_delay_alu instid0(VALU_DEP_2) | instskip(NEXT) | instid1(VALU_DEP_1)
	v_cndmask_b32_e64 v1, v7, v1, s3
	v_cndmask_b32_e32 v7, v1, v6, vcc_lo
	v_cndmask_b32_e32 v6, v21, v8, vcc_lo
	v_cndmask_b32_e64 v35, 0xfff00000, v41, s4
	v_cndmask_b32_e64 v34, 0, v40, s4
                                        ; implicit-def: $vgpr40_vgpr41
.LBB191_48:                             ;   in Loop: Header=BB191_5 Depth=1
	s_and_not1_saveexec_b32 s49, s5
	s_cbranch_execz .LBB191_52
; %bb.49:                               ;   in Loop: Header=BB191_5 Depth=1
	v_and_b32_e32 v21, 0x7ffffff8, v41
	v_and_b32_e32 v35, 0x7ffffff8, v39
	v_mov_b32_e32 v34, v20
	s_mov_b32 s50, 0
	v_mov_b32_e32 v42, v20
	v_add_f64_e64 v[6:7], v[40:41], -v[20:21]
	s_delay_alu instid0(VALU_DEP_3)
	v_dual_add_f64 v[36:37], v[38:39], -v[34:35] :: v_dual_mov_b32 v40, v20
	v_add_f64_e32 v[44:45], v[20:21], v[20:21]
	v_mul_f64_e32 v[38:39], v[34:35], v[34:35]
	v_add_f64_e32 v[52:53], v[34:35], v[34:35]
	v_and_b32_e32 v41, -8, v7
	v_and_b32_e32 v43, -8, v37
	s_delay_alu instid0(VALU_DEP_2) | instskip(SKIP_1) | instid1(VALU_DEP_3)
	v_add_f64_e64 v[54:55], v[6:7], -v[40:41]
	v_add_f64_e32 v[58:59], v[40:41], v[40:41]
	v_add_f64_e64 v[56:57], v[36:37], -v[42:43]
	v_add_f64_e32 v[60:61], v[42:43], v[42:43]
	v_mul_f64_e32 v[6:7], v[20:21], v[20:21]
	v_mul_f64_e32 v[50:51], v[44:45], v[40:41]
	;; [unrolled: 1-line block ×11, first 2 shown]
.LBB191_50:                             ;   Parent Loop BB191_5 Depth=1
                                        ; =>  This Inner Loop Header: Depth=2
	v_cmp_nlt_f64_e32 vcc_lo, v[6:7], v[38:39]
	v_dual_cndmask_b32 v57, v7, v39 :: v_dual_cndmask_b32 v56, v6, v38
	v_dual_cndmask_b32 v7, v39, v7 :: v_dual_cndmask_b32 v6, v38, v6
	s_delay_alu instid0(VALU_DEP_2) | instskip(NEXT) | instid1(VALU_DEP_1)
	v_cmp_nlt_f64_e64 s3, v[56:57], v[50:51]
	v_dual_cndmask_b32 v59, v57, v51, s3 :: v_dual_cndmask_b32 v58, v56, v50, s3
	v_dual_cndmask_b32 v39, v51, v57, s3 :: v_dual_cndmask_b32 v38, v50, v56, s3
	s_and_b32 s3, vcc_lo, s3
	s_delay_alu instid0(VALU_DEP_2) | instskip(NEXT) | instid1(VALU_DEP_1)
	v_cmp_nlt_f64_e64 s4, v[58:59], v[36:37]
	v_dual_cndmask_b32 v61, v59, v37, s4 :: v_dual_cndmask_b32 v60, v58, v36, s4
	v_dual_cndmask_b32 v51, v37, v59, s4 :: v_dual_cndmask_b32 v50, v36, v58, s4
	s_delay_alu instid0(VALU_DEP_2) | instskip(NEXT) | instid1(VALU_DEP_1)
	v_cmp_nlt_f64_e64 s5, v[60:61], v[48:49]
	v_dual_cndmask_b32 v65, v61, v49, s5 :: v_dual_cndmask_b32 v64, v60, v48, s5
	v_dual_cndmask_b32 v37, v49, v61, s5 :: v_dual_cndmask_b32 v36, v48, v60, s5
	s_and_b32 s4, s4, s5
	s_delay_alu instid0(VALU_DEP_2) | instskip(NEXT) | instid1(VALU_DEP_1)
	v_cmp_nlt_f64_e64 s6, v[64:65], v[34:35]
	v_dual_cndmask_b32 v67, v65, v35, s6 :: v_dual_cndmask_b32 v66, v64, v34, s6
	v_dual_cndmask_b32 v49, v35, v65, s6 :: v_dual_cndmask_b32 v48, v34, v64, s6
	s_delay_alu instid0(VALU_DEP_2) | instskip(NEXT) | instid1(VALU_DEP_1)
	v_cmp_nlt_f64_e64 s7, v[66:67], v[46:47]
	v_dual_cndmask_b32 v69, v67, v47, s7 :: v_dual_cndmask_b32 v68, v66, v46, s7
	s_and_b32 s5, s6, s7
	v_dual_cndmask_b32 v35, v47, v67, s7 :: v_dual_cndmask_b32 v34, v46, v66, s7
	s_delay_alu instid0(VALU_DEP_2) | instskip(NEXT) | instid1(VALU_DEP_1)
	v_cmp_nlt_f64_e64 s8, v[68:69], v[44:45]
	v_dual_cndmask_b32 v71, v69, v45, s8 :: v_dual_cndmask_b32 v70, v68, v44, s8
	s_and_b32 s5, s5, s8
	;; [unrolled: 5-line block ×6, first 2 shown]
	v_dual_cndmask_b32 v53, v55, v77, s12 :: v_dual_cndmask_b32 v52, v54, v76, s12
	s_and_b32 s4, s5, s4
	s_delay_alu instid0(VALU_DEP_2) | instskip(SKIP_1) | instid1(SALU_CYCLE_1)
	v_mov_b64_e32 v[54:55], v[56:57]
	s_and_b32 s3, s4, s3
	s_and_b32 s3, exec_lo, s3
	s_delay_alu instid0(SALU_CYCLE_1) | instskip(NEXT) | instid1(SALU_CYCLE_1)
	s_or_b32 s50, s3, s50
	s_and_not1_b32 exec_lo, exec_lo, s50
	s_cbranch_execnz .LBB191_50
; %bb.51:                               ;   in Loop: Header=BB191_5 Depth=1
	s_or_b32 exec_lo, exec_lo, s50
	v_add_f64_e32 v[6:7], -1.0, v[6:7]
	v_cmp_eq_f64_e64 s3, 0, v[12:13]
	v_cmp_class_f64_e64 s6, v[12:13], 0x204
	v_cmp_class_f64_e64 s7, v[10:11], 0x204
	s_delay_alu instid0(VALU_DEP_4) | instskip(NEXT) | instid1(VALU_DEP_1)
	v_add_f64_e32 v[6:7], v[6:7], v[38:39]
	v_add_f64_e32 v[6:7], v[6:7], v[50:51]
	s_delay_alu instid0(VALU_DEP_1) | instskip(NEXT) | instid1(VALU_DEP_1)
	v_add_f64_e32 v[6:7], v[6:7], v[36:37]
	v_add_f64_e32 v[6:7], v[6:7], v[48:49]
	s_delay_alu instid0(VALU_DEP_1) | instskip(NEXT) | instid1(VALU_DEP_1)
	;; [unrolled: 3-line block ×5, first 2 shown]
	v_add_f64_e32 v[36:37], v[56:57], v[6:7]
	v_add_f64_e32 v[6:7], 1.0, v[36:37]
	s_delay_alu instid0(VALU_DEP_1) | instskip(SKIP_2) | instid1(VALU_DEP_3)
	v_frexp_mant_f64_e32 v[34:35], v[6:7]
	v_frexp_exp_i32_f64_e32 v1, v[6:7]
	v_add_f64_e32 v[38:39], -1.0, v[6:7]
	v_cmp_gt_f64_e32 vcc_lo, s[26:27], v[34:35]
	s_delay_alu instid0(VALU_DEP_2) | instskip(SKIP_2) | instid1(VALU_DEP_1)
	v_add_f64_e64 v[34:35], v[38:39], -v[6:7]
	v_add_f64_e64 v[38:39], v[36:37], -v[38:39]
	v_subrev_co_ci_u32_e64 v1, null, 0, v1, vcc_lo
	v_dual_add_f64 v[34:35], 1.0, v[34:35] :: v_dual_sub_nc_u32 v8, 0, v1
	s_delay_alu instid0(VALU_DEP_1) | instskip(NEXT) | instid1(VALU_DEP_2)
	v_ldexp_f64 v[6:7], v[6:7], v8
	v_add_f64_e32 v[34:35], v[38:39], v[34:35]
	s_delay_alu instid0(VALU_DEP_2) | instskip(SKIP_1) | instid1(VALU_DEP_3)
	v_add_f64_e32 v[40:41], 1.0, v[6:7]
	v_add_f64_e32 v[46:47], -1.0, v[6:7]
	v_ldexp_f64 v[34:35], v[34:35], v8
	s_delay_alu instid0(VALU_DEP_3) | instskip(NEXT) | instid1(VALU_DEP_3)
	v_add_f64_e32 v[38:39], -1.0, v[40:41]
	v_add_f64_e32 v[48:49], 1.0, v[46:47]
	s_delay_alu instid0(VALU_DEP_2) | instskip(NEXT) | instid1(VALU_DEP_2)
	v_add_f64_e64 v[38:39], v[6:7], -v[38:39]
	v_add_f64_e64 v[6:7], v[6:7], -v[48:49]
	s_delay_alu instid0(VALU_DEP_2) | instskip(NEXT) | instid1(VALU_DEP_2)
	v_add_f64_e32 v[38:39], v[34:35], v[38:39]
	v_add_f64_e32 v[6:7], v[34:35], v[6:7]
	s_delay_alu instid0(VALU_DEP_2) | instskip(NEXT) | instid1(VALU_DEP_2)
	v_add_f64_e32 v[42:43], v[40:41], v[38:39]
	v_add_f64_e32 v[48:49], v[46:47], v[6:7]
	s_delay_alu instid0(VALU_DEP_2) | instskip(SKIP_1) | instid1(VALU_DEP_2)
	v_rcp_f64_e32 v[44:45], v[42:43]
	v_add_f64_e64 v[40:41], v[42:43], -v[40:41]
	v_add_f64_e64 v[46:47], v[48:49], -v[46:47]
	s_delay_alu instid0(VALU_DEP_2) | instskip(NEXT) | instid1(VALU_DEP_2)
	v_add_f64_e64 v[38:39], v[38:39], -v[40:41]
	v_add_f64_e64 v[6:7], v[6:7], -v[46:47]
	s_delay_alu instid0(TRANS32_DEP_1) | instskip(NEXT) | instid1(VALU_DEP_1)
	v_fma_f64 v[50:51], -v[42:43], v[44:45], 1.0
	v_fmac_f64_e32 v[44:45], v[50:51], v[44:45]
	s_delay_alu instid0(VALU_DEP_1) | instskip(NEXT) | instid1(VALU_DEP_1)
	v_fma_f64 v[34:35], -v[42:43], v[44:45], 1.0
	v_fmac_f64_e32 v[44:45], v[34:35], v[44:45]
	s_delay_alu instid0(VALU_DEP_1) | instskip(NEXT) | instid1(VALU_DEP_1)
	v_mul_f64_e32 v[34:35], v[48:49], v[44:45]
	v_mul_f64_e32 v[50:51], v[42:43], v[34:35]
	s_delay_alu instid0(VALU_DEP_1) | instskip(NEXT) | instid1(VALU_DEP_1)
	v_fma_f64 v[40:41], v[34:35], v[42:43], -v[50:51]
	v_fmac_f64_e32 v[40:41], v[34:35], v[38:39]
	s_delay_alu instid0(VALU_DEP_1) | instskip(NEXT) | instid1(VALU_DEP_1)
	v_add_f64_e32 v[52:53], v[50:51], v[40:41]
	v_add_f64_e64 v[54:55], v[48:49], -v[52:53]
	v_add_f64_e64 v[46:47], v[52:53], -v[50:51]
	s_delay_alu instid0(VALU_DEP_2) | instskip(NEXT) | instid1(VALU_DEP_2)
	v_add_f64_e64 v[48:49], v[48:49], -v[54:55]
	v_add_f64_e64 v[40:41], v[46:47], -v[40:41]
	s_delay_alu instid0(VALU_DEP_2) | instskip(NEXT) | instid1(VALU_DEP_1)
	v_add_f64_e64 v[48:49], v[48:49], -v[52:53]
	v_add_f64_e32 v[6:7], v[6:7], v[48:49]
	s_delay_alu instid0(VALU_DEP_1) | instskip(NEXT) | instid1(VALU_DEP_1)
	v_add_f64_e32 v[6:7], v[40:41], v[6:7]
	v_add_f64_e32 v[40:41], v[54:55], v[6:7]
	s_delay_alu instid0(VALU_DEP_1) | instskip(SKIP_1) | instid1(VALU_DEP_2)
	v_mul_f64_e32 v[46:47], v[44:45], v[40:41]
	v_add_f64_e64 v[52:53], v[54:55], -v[40:41]
	v_mul_f64_e32 v[48:49], v[42:43], v[46:47]
	s_delay_alu instid0(VALU_DEP_2) | instskip(NEXT) | instid1(VALU_DEP_2)
	v_add_f64_e32 v[6:7], v[6:7], v[52:53]
	v_fma_f64 v[42:43], v[46:47], v[42:43], -v[48:49]
	s_delay_alu instid0(VALU_DEP_1) | instskip(NEXT) | instid1(VALU_DEP_1)
	v_fmac_f64_e32 v[42:43], v[46:47], v[38:39]
	v_add_f64_e32 v[38:39], v[48:49], v[42:43]
	s_delay_alu instid0(VALU_DEP_1) | instskip(SKIP_1) | instid1(VALU_DEP_2)
	v_add_f64_e64 v[50:51], v[40:41], -v[38:39]
	v_add_f64_e64 v[48:49], v[38:39], -v[48:49]
	;; [unrolled: 1-line block ×3, first 2 shown]
	s_delay_alu instid0(VALU_DEP_1) | instskip(NEXT) | instid1(VALU_DEP_3)
	v_add_f64_e64 v[38:39], v[40:41], -v[38:39]
	v_add_f64_e64 v[40:41], v[48:49], -v[42:43]
	v_max_num_f64_e64 v[42:43], |v[10:11]|, |v[10:11]|
	s_delay_alu instid0(VALU_DEP_3) | instskip(SKIP_1) | instid1(VALU_DEP_2)
	v_add_f64_e32 v[6:7], v[6:7], v[38:39]
	v_add_f64_e32 v[38:39], v[34:35], v[46:47]
	;; [unrolled: 1-line block ×3, first 2 shown]
	s_delay_alu instid0(VALU_DEP_2) | instskip(SKIP_1) | instid1(VALU_DEP_3)
	v_add_f64_e64 v[34:35], v[38:39], -v[34:35]
	v_max_num_f64_e64 v[40:41], |v[12:13]|, |v[12:13]|
	v_add_f64_e32 v[6:7], v[50:51], v[6:7]
	s_delay_alu instid0(VALU_DEP_3) | instskip(NEXT) | instid1(VALU_DEP_2)
	v_add_f64_e64 v[34:35], v[46:47], -v[34:35]
	v_mul_f64_e32 v[6:7], v[44:45], v[6:7]
	s_delay_alu instid0(VALU_DEP_1) | instskip(SKIP_2) | instid1(VALU_DEP_3)
	v_add_f64_e32 v[6:7], v[34:35], v[6:7]
	v_max_num_f64_e32 v[34:35], v[42:43], v[40:41]
	v_min_num_f64_e32 v[40:41], v[42:43], v[40:41]
	v_add_f64_e32 v[42:43], v[38:39], v[6:7]
	s_delay_alu instid0(VALU_DEP_2) | instskip(NEXT) | instid1(VALU_DEP_2)
	v_div_scale_f64 v[44:45], null, v[34:35], v[34:35], v[40:41]
	v_mul_f64_e32 v[46:47], v[42:43], v[42:43]
	v_add_f64_e64 v[38:39], v[42:43], -v[38:39]
	s_delay_alu instid0(VALU_DEP_3) | instskip(NEXT) | instid1(VALU_DEP_2)
	v_rcp_f64_e32 v[48:49], v[44:45]
	v_fmamk_f64 v[50:51], v[46:47], 0x3fc3ab76bf559e2b, v[22:23]
	v_mul_f64_e32 v[52:53], v[42:43], v[46:47]
	s_delay_alu instid0(VALU_DEP_3) | instskip(NEXT) | instid1(VALU_DEP_3)
	v_add_f64_e64 v[6:7], v[6:7], -v[38:39]
	v_fmaak_f64 v[50:51], v[46:47], v[50:51], 0x3fc7474dd7f4df2e
	s_delay_alu instid0(TRANS32_DEP_1) | instskip(NEXT) | instid1(VALU_DEP_2)
	v_fma_f64 v[54:55], -v[44:45], v[48:49], 1.0
	v_fmaak_f64 v[50:51], v[46:47], v[50:51], 0x3fcc71c016291751
	s_delay_alu instid0(VALU_DEP_1) | instskip(NEXT) | instid1(VALU_DEP_1)
	v_fmaak_f64 v[50:51], v[46:47], v[50:51], 0x3fd249249b27acf1
	v_fmaak_f64 v[50:51], v[46:47], v[50:51], 0x3fd99999998ef7b6
	v_ldexp_f64 v[6:7], v[6:7], 1
	s_delay_alu instid0(VALU_DEP_2) | instskip(SKIP_2) | instid1(VALU_DEP_3)
	v_fmaak_f64 v[46:47], v[46:47], v[50:51], 0x3fe5555555555780
	v_ldexp_f64 v[50:51], v[42:43], 1
	v_fmac_f64_e32 v[48:49], v[48:49], v[54:55]
	v_mul_f64_e32 v[46:47], v[52:53], v[46:47]
	v_cvt_f64_i32_e32 v[52:53], v1
	v_ashrrev_i32_e32 v1, 31, v11
	s_delay_alu instid0(VALU_DEP_1) | instskip(SKIP_4) | instid1(VALU_DEP_3)
	v_and_b32_e32 v21, 0x54442d18, v1
	v_and_b32_e32 v1, 0x400921fb, v1
	v_fma_f64 v[54:55], -v[44:45], v[48:49], 1.0
	v_add_f64_e32 v[42:43], v[50:51], v[46:47]
	v_mul_f64_e32 v[56:57], 0x3fe62e42fefa39ef, v[52:53]
	v_fmac_f64_e32 v[48:49], v[48:49], v[54:55]
	s_delay_alu instid0(VALU_DEP_3) | instskip(SKIP_1) | instid1(VALU_DEP_4)
	v_add_f64_e64 v[38:39], v[42:43], -v[50:51]
	v_div_scale_f64 v[50:51], vcc_lo, v[40:41], v[34:35], v[40:41]
	v_fma_f64 v[54:55], v[52:53], s[28:29], -v[56:57]
	s_delay_alu instid0(VALU_DEP_3) | instskip(NEXT) | instid1(VALU_DEP_3)
	v_add_f64_e64 v[38:39], v[46:47], -v[38:39]
	v_mul_f64_e32 v[46:47], v[50:51], v[48:49]
	s_delay_alu instid0(VALU_DEP_3) | instskip(NEXT) | instid1(VALU_DEP_3)
	v_fmac_f64_e32 v[54:55], 0x3c7abc9e3b39803f, v[52:53]
	v_add_f64_e32 v[6:7], v[6:7], v[38:39]
	s_delay_alu instid0(VALU_DEP_3) | instskip(NEXT) | instid1(VALU_DEP_3)
	v_fma_f64 v[38:39], -v[44:45], v[46:47], v[50:51]
	v_add_f64_e32 v[44:45], v[56:57], v[54:55]
	s_delay_alu instid0(VALU_DEP_3) | instskip(NEXT) | instid1(VALU_DEP_3)
	v_add_f64_e32 v[50:51], v[42:43], v[6:7]
	v_div_fmas_f64 v[38:39], v[38:39], v[48:49], v[46:47]
	v_cmp_gt_i32_e32 vcc_lo, 0, v11
	s_delay_alu instid0(VALU_DEP_4)
	v_add_f64_e64 v[48:49], v[44:45], -v[56:57]
	v_cndmask_b32_e32 v8, 0x54442d18, v62, vcc_lo
	v_add_f64_e32 v[46:47], v[44:45], v[50:51]
	v_div_fixup_f64 v[34:35], v[38:39], v[34:35], v[40:41]
	v_add_f64_e64 v[42:43], v[50:51], -v[42:43]
	v_add_f64_e64 v[48:49], v[54:55], -v[48:49]
	s_delay_alu instid0(VALU_DEP_4) | instskip(NEXT) | instid1(VALU_DEP_4)
	v_add_f64_e64 v[38:39], v[46:47], -v[44:45]
	v_mul_f64_e32 v[40:41], v[34:35], v[34:35]
	s_delay_alu instid0(VALU_DEP_4) | instskip(NEXT) | instid1(VALU_DEP_3)
	v_add_f64_e64 v[6:7], v[6:7], -v[42:43]
	v_add_f64_e64 v[52:53], v[46:47], -v[38:39]
	s_delay_alu instid0(VALU_DEP_3) | instskip(SKIP_1) | instid1(VALU_DEP_4)
	v_fmamk_f64 v[56:57], v[40:41], 0x3eeba404b5e68a13, v[24:25]
	v_add_f64_e64 v[38:39], v[50:51], -v[38:39]
	v_add_f64_e32 v[50:51], v[48:49], v[6:7]
	s_delay_alu instid0(VALU_DEP_3) | instskip(SKIP_1) | instid1(VALU_DEP_2)
	v_fmaak_f64 v[56:57], v[40:41], v[56:57], 0x3f4b2bb069efb384
	v_add_f64_e64 v[42:43], v[44:45], -v[52:53]
	v_fmaak_f64 v[44:45], v[40:41], v[56:57], 0xbf67952daf56de9b
	s_delay_alu instid0(VALU_DEP_1) | instskip(NEXT) | instid1(VALU_DEP_1)
	v_fmaak_f64 v[44:45], v[40:41], v[44:45], 0x3f7d6d43a595c56f
	v_fmaak_f64 v[44:45], v[40:41], v[44:45], 0xbf8c6ea4a57d9582
	s_delay_alu instid0(VALU_DEP_1) | instskip(NEXT) | instid1(VALU_DEP_1)
	v_fmaak_f64 v[44:45], v[40:41], v[44:45], 0x3f967e295f08b19f
	v_fmaak_f64 v[44:45], v[40:41], v[44:45], 0xbf9e9ae6fc27006a
	v_add_f64_e32 v[38:39], v[38:39], v[42:43]
	s_delay_alu instid0(VALU_DEP_2) | instskip(SKIP_1) | instid1(VALU_DEP_2)
	v_fmaak_f64 v[42:43], v[40:41], v[44:45], 0x3fa2c15b5711927a
	v_add_f64_e64 v[44:45], v[50:51], -v[48:49]
	v_fmaak_f64 v[42:43], v[40:41], v[42:43], 0xbfa59976e82d3ff0
	s_delay_alu instid0(VALU_DEP_1) | instskip(NEXT) | instid1(VALU_DEP_1)
	v_fmaak_f64 v[42:43], v[40:41], v[42:43], 0x3fa82d5d6ef28734
	v_fmaak_f64 v[42:43], v[40:41], v[42:43], 0xbfaae5ce6a214619
	s_delay_alu instid0(VALU_DEP_1) | instskip(SKIP_3) | instid1(VALU_DEP_4)
	v_fmaak_f64 v[42:43], v[40:41], v[42:43], 0x3fae1bb48427b883
	v_add_f64_e32 v[38:39], v[50:51], v[38:39]
	v_add_f64_e64 v[50:51], v[50:51], -v[44:45]
	v_add_f64_e64 v[6:7], v[6:7], -v[44:45]
	v_fmaak_f64 v[42:43], v[40:41], v[42:43], 0xbfb110e48b207f05
	s_delay_alu instid0(VALU_DEP_1) | instskip(NEXT) | instid1(VALU_DEP_1)
	v_fmaak_f64 v[42:43], v[40:41], v[42:43], 0x3fb3b13657b87036
	v_fmaak_f64 v[42:43], v[40:41], v[42:43], 0xbfb745d119378e4f
	s_delay_alu instid0(VALU_DEP_1) | instskip(SKIP_1) | instid1(VALU_DEP_2)
	v_fmaak_f64 v[42:43], v[40:41], v[42:43], 0x3fbc71c717e1913c
	v_add_f64_e32 v[52:53], v[46:47], v[38:39]
	v_fmaak_f64 v[42:43], v[40:41], v[42:43], 0xbfc2492492376b7d
	s_delay_alu instid0(VALU_DEP_1) | instskip(NEXT) | instid1(VALU_DEP_1)
	v_fmaak_f64 v[42:43], v[40:41], v[42:43], 0x3fc99999999952cc
	v_fmaak_f64 v[42:43], v[40:41], v[42:43], 0xbfd5555555555523
	s_delay_alu instid0(VALU_DEP_1) | instskip(SKIP_2) | instid1(VALU_DEP_3)
	v_mul_f64_e32 v[40:41], v[40:41], v[42:43]
	v_add_f64_e64 v[42:43], v[48:49], -v[50:51]
	v_add_f64_e64 v[44:45], v[52:53], -v[46:47]
	v_fmac_f64_e32 v[34:35], v[34:35], v[40:41]
	s_delay_alu instid0(VALU_DEP_3) | instskip(NEXT) | instid1(VALU_DEP_3)
	v_add_f64_e32 v[6:7], v[6:7], v[42:43]
	v_add_f64_e64 v[38:39], v[38:39], -v[44:45]
	s_delay_alu instid0(VALU_DEP_3) | instskip(NEXT) | instid1(VALU_DEP_2)
	v_add_f64_e64 v[40:41], -v[34:35], s[30:31]
	v_add_f64_e32 v[6:7], v[6:7], v[38:39]
	s_delay_alu instid0(VALU_DEP_2) | instskip(SKIP_2) | instid1(VALU_DEP_3)
	v_dual_cndmask_b32 v35, v35, v41, s2 :: v_dual_cndmask_b32 v34, v34, v40, s2
	v_cmp_nge_f64_e64 s4, -1.0, v[36:37]
	v_cmp_neq_f64_e64 s5, 0x7ff00000, v[36:37]
	v_add_f64_e64 v[38:39], -v[34:35], s[34:35]
	v_add_f64_e32 v[6:7], v[52:53], v[6:7]
	s_delay_alu instid0(VALU_DEP_2) | instskip(SKIP_1) | instid1(VALU_DEP_3)
	v_dual_cndmask_b32 v34, v34, v38 :: v_dual_cndmask_b32 v35, v35, v39
	v_cndmask_b32_e32 v38, 0x3fe921fb, v63, vcc_lo
	v_mul_f64_e32 v[6:7], 0.5, v[6:7]
	v_cmp_ngt_f64_e32 vcc_lo, -1.0, v[36:37]
	s_delay_alu instid0(VALU_DEP_4)
	v_cndmask_b32_e64 v21, v34, v21, s3
	v_cndmask_b32_e64 v1, v35, v1, s3
	s_and_b32 s3, s4, s5
	v_bfi_b32 v38, 0x7fffffff, v38, v13
	v_cndmask_b32_e64 v34, 0, v6, s3
	v_cmp_neq_f64_e64 s3, -1.0, v[36:37]
	v_cndmask_b32_e64 v7, 0x7ff00000, v7, s5
	s_delay_alu instid0(VALU_DEP_1) | instskip(SKIP_3) | instid1(VALU_DEP_3)
	v_cndmask_b32_e32 v35, 0x7ff80000, v7, vcc_lo
	s_and_b32 vcc_lo, s7, s6
	v_cndmask_b32_e32 v7, v1, v38, vcc_lo
	v_cndmask_b32_e32 v6, v21, v8, vcc_lo
	v_cndmask_b32_e64 v35, 0xfff00000, v35, s3
.LBB191_52:                             ;   in Loop: Header=BB191_5 Depth=1
	s_or_b32 exec_lo, exec_lo, s49
.LBB191_53:                             ;   in Loop: Header=BB191_5 Depth=1
	s_delay_alu instid0(SALU_CYCLE_1)
	s_or_b32 exec_lo, exec_lo, s48
.LBB191_54:                             ;   in Loop: Header=BB191_5 Depth=1
	s_and_not1_saveexec_b32 s5, s47
	s_cbranch_execz .LBB191_56
; %bb.55:                               ;   in Loop: Header=BB191_5 Depth=1
	v_max_num_f64_e64 v[6:7], |v[12:13]|, |v[12:13]|
	v_max_num_f64_e64 v[34:35], |v[10:11]|, |v[10:11]|
	v_cmp_class_f64_e64 s6, v[10:11], 0x204
	v_cmp_class_f64_e64 s7, v[12:13], 0x204
	v_cmp_eq_f64_e64 s4, 0, v[12:13]
	s_delay_alu instid0(VALU_DEP_4) | instskip(SKIP_2) | instid1(VALU_DEP_2)
	v_max_num_f64_e32 v[36:37], v[34:35], v[6:7]
	v_min_num_f64_e32 v[6:7], v[34:35], v[6:7]
	s_or_b32 s3, s6, s7
	v_frexp_exp_i32_f64_e32 v1, v[36:37]
	s_delay_alu instid0(VALU_DEP_1) | instskip(NEXT) | instid1(VALU_DEP_1)
	v_sub_nc_u32_e32 v8, 0, v1
	v_ldexp_f64 v[38:39], |v[12:13]|, v8
	v_ldexp_f64 v[40:41], |v[10:11]|, v8
	s_delay_alu instid0(VALU_DEP_2) | instskip(NEXT) | instid1(VALU_DEP_1)
	v_mul_f64_e32 v[38:39], v[38:39], v[38:39]
	v_fmac_f64_e32 v[38:39], v[40:41], v[40:41]
	s_delay_alu instid0(VALU_DEP_1) | instskip(SKIP_1) | instid1(TRANS32_DEP_1)
	v_rsq_f64_e32 v[40:41], v[38:39]
	v_cmp_eq_f64_e32 vcc_lo, 0, v[38:39]
	v_mul_f64_e32 v[42:43], v[38:39], v[40:41]
	v_mul_f64_e32 v[40:41], 0.5, v[40:41]
	s_delay_alu instid0(VALU_DEP_1) | instskip(NEXT) | instid1(VALU_DEP_1)
	v_fma_f64 v[44:45], -v[40:41], v[42:43], 0.5
	v_fmac_f64_e32 v[42:43], v[42:43], v[44:45]
	v_fmac_f64_e32 v[40:41], v[40:41], v[44:45]
	s_delay_alu instid0(VALU_DEP_2) | instskip(NEXT) | instid1(VALU_DEP_1)
	v_fma_f64 v[44:45], -v[42:43], v[42:43], v[38:39]
	v_fmac_f64_e32 v[42:43], v[44:45], v[40:41]
	s_delay_alu instid0(VALU_DEP_1) | instskip(NEXT) | instid1(VALU_DEP_1)
	v_dual_cndmask_b32 v39, v43, v39 :: v_dual_cndmask_b32 v38, v42, v38
	v_ldexp_f64 v[38:39], v[38:39], v1
	s_delay_alu instid0(VALU_DEP_1) | instskip(NEXT) | instid1(VALU_DEP_2)
	v_cndmask_b32_e64 v39, v39, 0x7ff00000, s3
	v_cndmask_b32_e64 v38, v38, 0, s3
	s_delay_alu instid0(VALU_DEP_1) | instskip(SKIP_1) | instid1(VALU_DEP_2)
	v_frexp_mant_f64_e32 v[40:41], v[38:39]
	v_cmp_class_f64_e64 s3, v[38:39], 0x204
	v_cmp_gt_f64_e32 vcc_lo, s[26:27], v[40:41]
	v_cndmask_b32_e64 v1, 0, 1, vcc_lo
	s_delay_alu instid0(VALU_DEP_1) | instskip(SKIP_1) | instid1(VALU_DEP_2)
	v_ldexp_f64 v[40:41], v[40:41], v1
	v_frexp_exp_i32_f64_e32 v1, v[38:39]
	v_add_f64_e32 v[42:43], 1.0, v[40:41]
	v_add_f64_e32 v[48:49], -1.0, v[40:41]
	s_delay_alu instid0(VALU_DEP_3) | instskip(SKIP_1) | instid1(VALU_DEP_4)
	v_subrev_co_ci_u32_e64 v1, null, 0, v1, vcc_lo
	v_div_scale_f64 v[56:57], vcc_lo, v[6:7], v[36:37], v[6:7]
	v_rcp_f64_e32 v[44:45], v[42:43]
	v_add_f64_e32 v[50:51], -1.0, v[42:43]
	s_delay_alu instid0(VALU_DEP_1) | instskip(NEXT) | instid1(TRANS32_DEP_1)
	v_add_f64_e64 v[40:41], v[40:41], -v[50:51]
	v_fma_f64 v[46:47], -v[42:43], v[44:45], 1.0
	s_delay_alu instid0(VALU_DEP_1) | instskip(NEXT) | instid1(VALU_DEP_1)
	v_fmac_f64_e32 v[44:45], v[46:47], v[44:45]
	v_fma_f64 v[46:47], -v[42:43], v[44:45], 1.0
	s_delay_alu instid0(VALU_DEP_1) | instskip(NEXT) | instid1(VALU_DEP_1)
	v_fmac_f64_e32 v[44:45], v[46:47], v[44:45]
	v_mul_f64_e32 v[46:47], v[48:49], v[44:45]
	s_delay_alu instid0(VALU_DEP_1) | instskip(NEXT) | instid1(VALU_DEP_1)
	v_mul_f64_e32 v[52:53], v[42:43], v[46:47]
	v_fma_f64 v[42:43], v[46:47], v[42:43], -v[52:53]
	s_delay_alu instid0(VALU_DEP_1) | instskip(NEXT) | instid1(VALU_DEP_1)
	v_fmac_f64_e32 v[42:43], v[46:47], v[40:41]
	v_add_f64_e32 v[40:41], v[52:53], v[42:43]
	s_delay_alu instid0(VALU_DEP_1) | instskip(SKIP_1) | instid1(VALU_DEP_2)
	v_add_f64_e64 v[50:51], v[48:49], -v[40:41]
	v_add_f64_e64 v[52:53], v[40:41], -v[52:53]
	;; [unrolled: 1-line block ×3, first 2 shown]
	s_delay_alu instid0(VALU_DEP_2) | instskip(NEXT) | instid1(VALU_DEP_2)
	v_add_f64_e64 v[42:43], v[52:53], -v[42:43]
	v_add_f64_e64 v[40:41], v[48:49], -v[40:41]
	s_delay_alu instid0(VALU_DEP_1) | instskip(NEXT) | instid1(VALU_DEP_1)
	v_add_f64_e32 v[40:41], v[42:43], v[40:41]
	v_add_f64_e32 v[40:41], v[50:51], v[40:41]
	s_delay_alu instid0(VALU_DEP_1) | instskip(SKIP_1) | instid1(VALU_DEP_2)
	v_mul_f64_e32 v[34:35], v[44:45], v[40:41]
	v_div_scale_f64 v[40:41], null, v[36:37], v[36:37], v[6:7]
	v_add_f64_e32 v[42:43], v[46:47], v[34:35]
	s_delay_alu instid0(VALU_DEP_2) | instskip(NEXT) | instid1(VALU_DEP_1)
	v_rcp_f64_e32 v[44:45], v[40:41]
	v_mul_f64_e32 v[48:49], v[42:43], v[42:43]
	s_delay_alu instid0(TRANS32_DEP_1) | instskip(NEXT) | instid1(VALU_DEP_2)
	v_fma_f64 v[52:53], -v[40:41], v[44:45], 1.0
	v_fmamk_f64 v[50:51], v[48:49], 0x3fc3ab76bf559e2b, v[22:23]
	v_mul_f64_e32 v[54:55], v[42:43], v[48:49]
	s_delay_alu instid0(VALU_DEP_3) | instskip(NEXT) | instid1(VALU_DEP_3)
	v_fmac_f64_e32 v[44:45], v[44:45], v[52:53]
	v_fmaak_f64 v[50:51], v[48:49], v[50:51], 0x3fc7474dd7f4df2e
	s_delay_alu instid0(VALU_DEP_1) | instskip(NEXT) | instid1(VALU_DEP_1)
	v_fmaak_f64 v[50:51], v[48:49], v[50:51], 0x3fcc71c016291751
	v_fmaak_f64 v[50:51], v[48:49], v[50:51], 0x3fd249249b27acf1
	s_delay_alu instid0(VALU_DEP_1) | instskip(NEXT) | instid1(VALU_DEP_1)
	v_fmaak_f64 v[50:51], v[48:49], v[50:51], 0x3fd99999998ef7b6
	v_fmaak_f64 v[48:49], v[48:49], v[50:51], 0x3fe5555555555780
	v_ldexp_f64 v[50:51], v[42:43], 1
	v_add_f64_e64 v[42:43], v[42:43], -v[46:47]
	v_fma_f64 v[52:53], -v[40:41], v[44:45], 1.0
	s_delay_alu instid0(VALU_DEP_4) | instskip(SKIP_2) | instid1(VALU_DEP_1)
	v_mul_f64_e32 v[48:49], v[54:55], v[48:49]
	v_cvt_f64_i32_e32 v[54:55], v1
	v_ashrrev_i32_e32 v1, 31, v11
	v_and_b32_e32 v21, 0x54442d18, v1
	v_and_b32_e32 v1, 0x400921fb, v1
	v_add_f64_e64 v[34:35], v[34:35], -v[42:43]
	v_fmac_f64_e32 v[44:45], v[44:45], v[52:53]
	v_add_f64_e32 v[46:47], v[50:51], v[48:49]
	v_mul_f64_e32 v[52:53], 0x3fe62e42fefa39ef, v[54:55]
	s_delay_alu instid0(VALU_DEP_4) | instskip(NEXT) | instid1(VALU_DEP_3)
	v_ldexp_f64 v[34:35], v[34:35], 1
	v_add_f64_e64 v[42:43], v[46:47], -v[50:51]
	v_mul_f64_e32 v[50:51], v[56:57], v[44:45]
	s_delay_alu instid0(VALU_DEP_4) | instskip(NEXT) | instid1(VALU_DEP_3)
	v_fma_f64 v[58:59], v[54:55], s[28:29], -v[52:53]
	v_add_f64_e64 v[42:43], v[48:49], -v[42:43]
	s_delay_alu instid0(VALU_DEP_3) | instskip(NEXT) | instid1(VALU_DEP_3)
	v_fma_f64 v[40:41], -v[40:41], v[50:51], v[56:57]
	v_fmac_f64_e32 v[58:59], 0x3c7abc9e3b39803f, v[54:55]
	s_delay_alu instid0(VALU_DEP_3) | instskip(NEXT) | instid1(VALU_DEP_3)
	v_add_f64_e32 v[34:35], v[34:35], v[42:43]
	v_div_fmas_f64 v[40:41], v[40:41], v[44:45], v[50:51]
	s_delay_alu instid0(VALU_DEP_3)
	v_add_f64_e32 v[42:43], v[52:53], v[58:59]
	v_cmp_gt_i32_e32 vcc_lo, 0, v11
	v_cndmask_b32_e32 v8, 0x54442d18, v62, vcc_lo
	v_add_f64_e32 v[44:45], v[46:47], v[34:35]
	v_div_fixup_f64 v[6:7], v[40:41], v[36:37], v[6:7]
	v_add_f64_e64 v[52:53], v[42:43], -v[52:53]
	s_delay_alu instid0(VALU_DEP_3) | instskip(NEXT) | instid1(VALU_DEP_3)
	v_add_f64_e32 v[36:37], v[42:43], v[44:45]
	v_mul_f64_e32 v[40:41], v[6:7], v[6:7]
	v_add_f64_e64 v[46:47], v[44:45], -v[46:47]
	s_delay_alu instid0(VALU_DEP_4) | instskip(NEXT) | instid1(VALU_DEP_4)
	v_add_f64_e64 v[52:53], v[58:59], -v[52:53]
	v_add_f64_e64 v[48:49], v[36:37], -v[42:43]
	s_delay_alu instid0(VALU_DEP_4) | instskip(NEXT) | instid1(VALU_DEP_4)
	v_fmamk_f64 v[50:51], v[40:41], 0x3eeba404b5e68a13, v[24:25]
	v_add_f64_e64 v[34:35], v[34:35], -v[46:47]
	s_delay_alu instid0(VALU_DEP_2) | instskip(NEXT) | instid1(VALU_DEP_1)
	v_fmaak_f64 v[50:51], v[40:41], v[50:51], 0x3f4b2bb069efb384
	v_fmaak_f64 v[50:51], v[40:41], v[50:51], 0xbf67952daf56de9b
	s_delay_alu instid0(VALU_DEP_1) | instskip(NEXT) | instid1(VALU_DEP_1)
	v_fmaak_f64 v[50:51], v[40:41], v[50:51], 0x3f7d6d43a595c56f
	v_fmaak_f64 v[50:51], v[40:41], v[50:51], 0xbf8c6ea4a57d9582
	v_add_f64_e64 v[54:55], v[36:37], -v[48:49]
	v_add_f64_e64 v[44:45], v[44:45], -v[48:49]
	v_add_f64_e32 v[48:49], v[52:53], v[34:35]
	s_delay_alu instid0(VALU_DEP_4) | instskip(NEXT) | instid1(VALU_DEP_1)
	v_fmaak_f64 v[50:51], v[40:41], v[50:51], 0x3f967e295f08b19f
	v_fmaak_f64 v[46:47], v[40:41], v[50:51], 0xbf9e9ae6fc27006a
	s_delay_alu instid0(VALU_DEP_1) | instskip(NEXT) | instid1(VALU_DEP_1)
	v_fmaak_f64 v[46:47], v[40:41], v[46:47], 0x3fa2c15b5711927a
	v_fmaak_f64 v[46:47], v[40:41], v[46:47], 0xbfa59976e82d3ff0
	s_delay_alu instid0(VALU_DEP_1) | instskip(SKIP_1) | instid1(VALU_DEP_2)
	v_fmaak_f64 v[46:47], v[40:41], v[46:47], 0x3fa82d5d6ef28734
	v_add_f64_e64 v[42:43], v[42:43], -v[54:55]
	v_fmaak_f64 v[46:47], v[40:41], v[46:47], 0xbfaae5ce6a214619
	s_delay_alu instid0(VALU_DEP_2) | instskip(NEXT) | instid1(VALU_DEP_2)
	v_add_f64_e32 v[42:43], v[44:45], v[42:43]
	v_fmaak_f64 v[44:45], v[40:41], v[46:47], 0x3fae1bb48427b883
	v_add_f64_e64 v[46:47], v[48:49], -v[52:53]
	s_delay_alu instid0(VALU_DEP_2) | instskip(NEXT) | instid1(VALU_DEP_1)
	v_fmaak_f64 v[44:45], v[40:41], v[44:45], 0xbfb110e48b207f05
	v_fmaak_f64 v[44:45], v[40:41], v[44:45], 0x3fb3b13657b87036
	s_delay_alu instid0(VALU_DEP_1) | instskip(NEXT) | instid1(VALU_DEP_1)
	v_fmaak_f64 v[44:45], v[40:41], v[44:45], 0xbfb745d119378e4f
	v_fmaak_f64 v[44:45], v[40:41], v[44:45], 0x3fbc71c717e1913c
	v_add_f64_e32 v[42:43], v[48:49], v[42:43]
	v_add_f64_e64 v[34:35], v[34:35], -v[46:47]
	s_delay_alu instid0(VALU_DEP_3) | instskip(NEXT) | instid1(VALU_DEP_1)
	v_fmaak_f64 v[44:45], v[40:41], v[44:45], 0xbfc2492492376b7d
	v_fmaak_f64 v[44:45], v[40:41], v[44:45], 0x3fc99999999952cc
	s_delay_alu instid0(VALU_DEP_1) | instskip(NEXT) | instid1(VALU_DEP_1)
	v_fmaak_f64 v[44:45], v[40:41], v[44:45], 0xbfd5555555555523
	v_mul_f64_e32 v[40:41], v[40:41], v[44:45]
	v_add_f64_e64 v[44:45], v[48:49], -v[46:47]
	v_add_f64_e32 v[48:49], v[36:37], v[42:43]
	s_delay_alu instid0(VALU_DEP_3) | instskip(NEXT) | instid1(VALU_DEP_3)
	v_fmac_f64_e32 v[6:7], v[6:7], v[40:41]
	v_add_f64_e64 v[40:41], v[52:53], -v[44:45]
	s_delay_alu instid0(VALU_DEP_3) | instskip(NEXT) | instid1(VALU_DEP_3)
	v_add_f64_e64 v[36:37], v[48:49], -v[36:37]
	v_add_f64_e64 v[44:45], -v[6:7], s[30:31]
	s_delay_alu instid0(VALU_DEP_3) | instskip(NEXT) | instid1(VALU_DEP_3)
	v_add_f64_e32 v[34:35], v[34:35], v[40:41]
	v_add_f64_e64 v[36:37], v[42:43], -v[36:37]
	s_delay_alu instid0(VALU_DEP_3) | instskip(NEXT) | instid1(VALU_DEP_2)
	v_dual_cndmask_b32 v7, v7, v45, s2 :: v_dual_cndmask_b32 v6, v6, v44, s2
	v_add_f64_e32 v[34:35], v[34:35], v[36:37]
	s_delay_alu instid0(VALU_DEP_2) | instskip(NEXT) | instid1(VALU_DEP_1)
	v_add_f64_e64 v[36:37], -v[6:7], s[34:35]
	v_dual_add_f64 v[34:35], v[48:49], v[34:35] :: v_dual_cndmask_b32 v6, v6, v36, vcc_lo
	v_cndmask_b32_e32 v36, 0x3fe921fb, v63, vcc_lo
	s_delay_alu instid0(VALU_DEP_3) | instskip(SKIP_1) | instid1(VALU_DEP_4)
	v_cndmask_b32_e32 v7, v7, v37, vcc_lo
	v_cmp_ngt_f64_e32 vcc_lo, 0, v[38:39]
	v_cndmask_b32_e64 v6, v6, v21, s4
	s_delay_alu instid0(VALU_DEP_4) | instskip(NEXT) | instid1(VALU_DEP_4)
	v_bfi_b32 v36, 0x7fffffff, v36, v13
	v_dual_cndmask_b32 v1, v7, v1, s4 :: v_dual_cndmask_b32 v34, v34, v38, s3
	v_cndmask_b32_e64 v35, v35, v39, s3
	v_cmp_nge_f64_e64 s3, 0, v[38:39]
	s_delay_alu instid0(VALU_DEP_2) | instskip(SKIP_4) | instid1(VALU_DEP_1)
	v_cndmask_b32_e32 v21, 0x7ff80000, v35, vcc_lo
	s_and_b32 vcc_lo, s6, s7
	v_cndmask_b32_e32 v7, v1, v36, vcc_lo
	v_dual_cndmask_b32 v6, v6, v8, vcc_lo :: v_dual_cndmask_b32 v34, 0, v34, s3
	v_cmp_neq_f64_e64 s3, 0, v[38:39]
	v_cndmask_b32_e64 v35, 0xfff00000, v21, s3
.LBB191_56:                             ;   in Loop: Header=BB191_5 Depth=1
	s_or_b32 exec_lo, exec_lo, s5
                                        ; implicit-def: $vgpr38_vgpr39
.LBB191_57:                             ;   in Loop: Header=BB191_5 Depth=1
	s_and_not1_saveexec_b32 s5, s46
	s_cbranch_execz .LBB191_63
; %bb.58:                               ;   in Loop: Header=BB191_5 Depth=1
                                        ; implicit-def: $vgpr34_vgpr35
                                        ; implicit-def: $vgpr6_vgpr7
	s_mov_b32 s3, exec_lo
	v_cmpx_ngt_f64_e32 s[38:39], v[38:39]
	s_xor_b32 s6, exec_lo, s3
	s_cbranch_execz .LBB191_60
; %bb.59:                               ;   in Loop: Header=BB191_5 Depth=1
	v_mul_f64_e32 v[6:7], v[38:39], v[38:39]
	v_cmp_eq_f64_e64 s3, 0, v[12:13]
	v_cmp_class_f64_e64 s7, v[12:13], 0x204
	v_cmp_class_f64_e64 s8, v[10:11], 0x204
	s_delay_alu instid0(VALU_DEP_4) | instskip(NEXT) | instid1(VALU_DEP_1)
	v_add_f64_e32 v[34:35], 1.0, v[6:7]
	v_frexp_mant_f64_e32 v[36:37], v[34:35]
	v_frexp_exp_i32_f64_e32 v1, v[34:35]
	v_add_f64_e32 v[38:39], -1.0, v[34:35]
	s_delay_alu instid0(VALU_DEP_3) | instskip(NEXT) | instid1(VALU_DEP_2)
	v_cmp_gt_f64_e32 vcc_lo, s[26:27], v[36:37]
	v_add_f64_e64 v[36:37], v[38:39], -v[34:35]
	s_delay_alu instid0(VALU_DEP_4) | instskip(NEXT) | instid1(VALU_DEP_2)
	v_subrev_co_ci_u32_e64 v1, null, 0, v1, vcc_lo
	v_add_f64_e32 v[36:37], 1.0, v[36:37]
	s_delay_alu instid0(VALU_DEP_2) | instskip(SKIP_1) | instid1(VALU_DEP_2)
	v_dual_add_f64 v[38:39], v[6:7], -v[38:39] :: v_dual_sub_nc_u32 v8, 0, v1
	v_cmp_neq_f64_e64 s4, 0x7ff00000, v[6:7]
	v_ldexp_f64 v[34:35], v[34:35], v8
	s_delay_alu instid0(VALU_DEP_3) | instskip(NEXT) | instid1(VALU_DEP_2)
	v_add_f64_e32 v[36:37], v[38:39], v[36:37]
	v_add_f64_e32 v[40:41], 1.0, v[34:35]
	v_add_f64_e32 v[46:47], -1.0, v[34:35]
	s_delay_alu instid0(VALU_DEP_3) | instskip(NEXT) | instid1(VALU_DEP_3)
	v_ldexp_f64 v[36:37], v[36:37], v8
	v_add_f64_e32 v[38:39], -1.0, v[40:41]
	s_delay_alu instid0(VALU_DEP_3) | instskip(NEXT) | instid1(VALU_DEP_2)
	v_add_f64_e32 v[48:49], 1.0, v[46:47]
	v_add_f64_e64 v[38:39], v[34:35], -v[38:39]
	s_delay_alu instid0(VALU_DEP_2) | instskip(NEXT) | instid1(VALU_DEP_2)
	v_add_f64_e64 v[34:35], v[34:35], -v[48:49]
	v_add_f64_e32 v[38:39], v[36:37], v[38:39]
	s_delay_alu instid0(VALU_DEP_2) | instskip(NEXT) | instid1(VALU_DEP_2)
	v_add_f64_e32 v[34:35], v[36:37], v[34:35]
	v_add_f64_e32 v[42:43], v[40:41], v[38:39]
	s_delay_alu instid0(VALU_DEP_2) | instskip(NEXT) | instid1(VALU_DEP_2)
	v_add_f64_e32 v[48:49], v[46:47], v[34:35]
	v_rcp_f64_e32 v[44:45], v[42:43]
	v_add_f64_e64 v[40:41], v[40:41], -v[42:43]
	s_delay_alu instid0(VALU_DEP_2) | instskip(NEXT) | instid1(VALU_DEP_2)
	v_add_f64_e64 v[46:47], v[46:47], -v[48:49]
	v_add_f64_e32 v[38:39], v[38:39], v[40:41]
	s_delay_alu instid0(VALU_DEP_2) | instskip(NEXT) | instid1(TRANS32_DEP_1)
	v_add_f64_e32 v[34:35], v[34:35], v[46:47]
	v_fma_f64 v[50:51], -v[42:43], v[44:45], 1.0
	s_delay_alu instid0(VALU_DEP_1) | instskip(NEXT) | instid1(VALU_DEP_1)
	v_fmac_f64_e32 v[44:45], v[50:51], v[44:45]
	v_fma_f64 v[36:37], -v[42:43], v[44:45], 1.0
	s_delay_alu instid0(VALU_DEP_1) | instskip(NEXT) | instid1(VALU_DEP_1)
	v_fmac_f64_e32 v[44:45], v[36:37], v[44:45]
	v_mul_f64_e32 v[36:37], v[48:49], v[44:45]
	s_delay_alu instid0(VALU_DEP_1) | instskip(NEXT) | instid1(VALU_DEP_1)
	v_mul_f64_e32 v[50:51], v[42:43], v[36:37]
	v_fma_f64 v[40:41], v[36:37], v[42:43], -v[50:51]
	s_delay_alu instid0(VALU_DEP_1) | instskip(NEXT) | instid1(VALU_DEP_1)
	v_fmac_f64_e32 v[40:41], v[36:37], v[38:39]
	v_add_f64_e32 v[52:53], v[50:51], v[40:41]
	s_delay_alu instid0(VALU_DEP_1) | instskip(SKIP_1) | instid1(VALU_DEP_2)
	v_add_f64_e64 v[54:55], v[48:49], -v[52:53]
	v_add_f64_e64 v[46:47], v[52:53], -v[50:51]
	;; [unrolled: 1-line block ×3, first 2 shown]
	s_delay_alu instid0(VALU_DEP_2) | instskip(NEXT) | instid1(VALU_DEP_2)
	v_add_f64_e64 v[40:41], v[46:47], -v[40:41]
	v_add_f64_e64 v[48:49], v[48:49], -v[52:53]
	s_delay_alu instid0(VALU_DEP_1) | instskip(NEXT) | instid1(VALU_DEP_1)
	v_add_f64_e32 v[34:35], v[34:35], v[48:49]
	v_add_f64_e32 v[34:35], v[40:41], v[34:35]
	s_delay_alu instid0(VALU_DEP_1) | instskip(NEXT) | instid1(VALU_DEP_1)
	v_add_f64_e32 v[40:41], v[54:55], v[34:35]
	v_mul_f64_e32 v[46:47], v[44:45], v[40:41]
	v_add_f64_e64 v[52:53], v[54:55], -v[40:41]
	s_delay_alu instid0(VALU_DEP_2) | instskip(NEXT) | instid1(VALU_DEP_2)
	v_mul_f64_e32 v[48:49], v[42:43], v[46:47]
	v_add_f64_e32 v[34:35], v[34:35], v[52:53]
	s_delay_alu instid0(VALU_DEP_2) | instskip(NEXT) | instid1(VALU_DEP_1)
	v_fma_f64 v[42:43], v[46:47], v[42:43], -v[48:49]
	v_fmac_f64_e32 v[42:43], v[46:47], v[38:39]
	s_delay_alu instid0(VALU_DEP_1) | instskip(NEXT) | instid1(VALU_DEP_1)
	v_add_f64_e32 v[38:39], v[48:49], v[42:43]
	v_add_f64_e64 v[50:51], v[40:41], -v[38:39]
	v_add_f64_e64 v[48:49], v[38:39], -v[48:49]
	s_delay_alu instid0(VALU_DEP_2) | instskip(NEXT) | instid1(VALU_DEP_1)
	v_add_f64_e64 v[40:41], v[40:41], -v[50:51]
	v_add_f64_e64 v[38:39], v[40:41], -v[38:39]
	s_delay_alu instid0(VALU_DEP_3) | instskip(SKIP_1) | instid1(VALU_DEP_3)
	v_add_f64_e64 v[40:41], v[48:49], -v[42:43]
	v_max_num_f64_e64 v[42:43], |v[10:11]|, |v[10:11]|
	v_add_f64_e32 v[34:35], v[34:35], v[38:39]
	v_add_f64_e32 v[38:39], v[36:37], v[46:47]
	s_delay_alu instid0(VALU_DEP_2) | instskip(NEXT) | instid1(VALU_DEP_2)
	v_add_f64_e32 v[34:35], v[40:41], v[34:35]
	v_add_f64_e64 v[36:37], v[38:39], -v[36:37]
	v_max_num_f64_e64 v[40:41], |v[12:13]|, |v[12:13]|
	s_delay_alu instid0(VALU_DEP_3) | instskip(NEXT) | instid1(VALU_DEP_3)
	v_add_f64_e32 v[34:35], v[50:51], v[34:35]
	v_add_f64_e64 v[36:37], v[46:47], -v[36:37]
	s_delay_alu instid0(VALU_DEP_2) | instskip(NEXT) | instid1(VALU_DEP_1)
	v_mul_f64_e32 v[34:35], v[44:45], v[34:35]
	v_add_f64_e32 v[34:35], v[36:37], v[34:35]
	v_max_num_f64_e32 v[36:37], v[42:43], v[40:41]
	v_min_num_f64_e32 v[40:41], v[42:43], v[40:41]
	s_delay_alu instid0(VALU_DEP_3) | instskip(NEXT) | instid1(VALU_DEP_2)
	v_add_f64_e32 v[42:43], v[38:39], v[34:35]
	v_div_scale_f64 v[44:45], null, v[36:37], v[36:37], v[40:41]
	s_delay_alu instid0(VALU_DEP_2) | instskip(SKIP_1) | instid1(VALU_DEP_3)
	v_mul_f64_e32 v[46:47], v[42:43], v[42:43]
	v_add_f64_e64 v[38:39], v[42:43], -v[38:39]
	v_rcp_f64_e32 v[48:49], v[44:45]
	s_delay_alu instid0(VALU_DEP_2) | instskip(SKIP_1) | instid1(VALU_DEP_3)
	v_fmamk_f64 v[50:51], v[46:47], 0x3fc3ab76bf559e2b, v[22:23]
	v_mul_f64_e32 v[52:53], v[42:43], v[46:47]
	v_add_f64_e64 v[34:35], v[34:35], -v[38:39]
	s_delay_alu instid0(VALU_DEP_3) | instskip(NEXT) | instid1(TRANS32_DEP_1)
	v_fmaak_f64 v[50:51], v[46:47], v[50:51], 0x3fc7474dd7f4df2e
	v_fma_f64 v[54:55], -v[44:45], v[48:49], 1.0
	s_delay_alu instid0(VALU_DEP_2) | instskip(NEXT) | instid1(VALU_DEP_1)
	v_fmaak_f64 v[50:51], v[46:47], v[50:51], 0x3fcc71c016291751
	v_fmaak_f64 v[50:51], v[46:47], v[50:51], 0x3fd249249b27acf1
	s_delay_alu instid0(VALU_DEP_1) | instskip(SKIP_1) | instid1(VALU_DEP_2)
	v_fmaak_f64 v[50:51], v[46:47], v[50:51], 0x3fd99999998ef7b6
	v_ldexp_f64 v[34:35], v[34:35], 1
	v_fmaak_f64 v[46:47], v[46:47], v[50:51], 0x3fe5555555555780
	v_ldexp_f64 v[50:51], v[42:43], 1
	v_fmac_f64_e32 v[48:49], v[48:49], v[54:55]
	s_delay_alu instid0(VALU_DEP_3) | instskip(SKIP_2) | instid1(VALU_DEP_1)
	v_mul_f64_e32 v[46:47], v[52:53], v[46:47]
	v_cvt_f64_i32_e32 v[52:53], v1
	v_ashrrev_i32_e32 v1, 31, v11
	v_and_b32_e32 v21, 0x54442d18, v1
	v_and_b32_e32 v1, 0x400921fb, v1
	v_fma_f64 v[54:55], -v[44:45], v[48:49], 1.0
	v_add_f64_e32 v[42:43], v[50:51], v[46:47]
	v_mul_f64_e32 v[56:57], 0x3fe62e42fefa39ef, v[52:53]
	s_delay_alu instid0(VALU_DEP_3) | instskip(NEXT) | instid1(VALU_DEP_3)
	v_fmac_f64_e32 v[48:49], v[48:49], v[54:55]
	v_add_f64_e64 v[38:39], v[42:43], -v[50:51]
	v_div_scale_f64 v[50:51], vcc_lo, v[40:41], v[36:37], v[40:41]
	s_delay_alu instid0(VALU_DEP_4) | instskip(NEXT) | instid1(VALU_DEP_3)
	v_fma_f64 v[54:55], v[52:53], s[28:29], -v[56:57]
	v_add_f64_e64 v[38:39], v[46:47], -v[38:39]
	s_delay_alu instid0(VALU_DEP_3) | instskip(NEXT) | instid1(VALU_DEP_3)
	v_mul_f64_e32 v[46:47], v[50:51], v[48:49]
	v_fmac_f64_e32 v[54:55], 0x3c7abc9e3b39803f, v[52:53]
	s_delay_alu instid0(VALU_DEP_3) | instskip(NEXT) | instid1(VALU_DEP_3)
	v_add_f64_e32 v[34:35], v[34:35], v[38:39]
	v_fma_f64 v[38:39], -v[44:45], v[46:47], v[50:51]
	s_delay_alu instid0(VALU_DEP_3) | instskip(NEXT) | instid1(VALU_DEP_3)
	v_add_f64_e32 v[44:45], v[56:57], v[54:55]
	v_add_f64_e32 v[50:51], v[42:43], v[34:35]
	s_delay_alu instid0(VALU_DEP_3) | instskip(SKIP_1) | instid1(VALU_DEP_4)
	v_div_fmas_f64 v[38:39], v[38:39], v[48:49], v[46:47]
	v_cmp_gt_i32_e32 vcc_lo, 0, v11
	v_add_f64_e64 v[48:49], v[44:45], -v[56:57]
	v_cndmask_b32_e32 v6, 0x3fe921fb, v63, vcc_lo
	v_cndmask_b32_e32 v8, 0x54442d18, v62, vcc_lo
	s_delay_alu instid0(VALU_DEP_2) | instskip(SKIP_4) | instid1(VALU_DEP_4)
	v_bfi_b32 v6, 0x7fffffff, v6, v13
	v_add_f64_e32 v[46:47], v[44:45], v[50:51]
	v_div_fixup_f64 v[36:37], v[38:39], v[36:37], v[40:41]
	v_add_f64_e64 v[42:43], v[50:51], -v[42:43]
	v_add_f64_e64 v[48:49], v[54:55], -v[48:49]
	;; [unrolled: 1-line block ×3, first 2 shown]
	s_delay_alu instid0(VALU_DEP_4) | instskip(NEXT) | instid1(VALU_DEP_4)
	v_mul_f64_e32 v[40:41], v[36:37], v[36:37]
	v_add_f64_e64 v[34:35], v[34:35], -v[42:43]
	s_delay_alu instid0(VALU_DEP_3) | instskip(NEXT) | instid1(VALU_DEP_3)
	v_add_f64_e64 v[52:53], v[46:47], -v[38:39]
	v_fmamk_f64 v[56:57], v[40:41], 0x3eeba404b5e68a13, v[24:25]
	v_add_f64_e64 v[38:39], v[50:51], -v[38:39]
	s_delay_alu instid0(VALU_DEP_4) | instskip(NEXT) | instid1(VALU_DEP_3)
	v_add_f64_e32 v[50:51], v[48:49], v[34:35]
	v_fmaak_f64 v[56:57], v[40:41], v[56:57], 0x3f4b2bb069efb384
	s_delay_alu instid0(VALU_DEP_1) | instskip(SKIP_1) | instid1(VALU_DEP_2)
	v_fmaak_f64 v[56:57], v[40:41], v[56:57], 0xbf67952daf56de9b
	v_add_f64_e64 v[42:43], v[44:45], -v[52:53]
	v_fmaak_f64 v[44:45], v[40:41], v[56:57], 0x3f7d6d43a595c56f
	s_delay_alu instid0(VALU_DEP_1) | instskip(NEXT) | instid1(VALU_DEP_1)
	v_fmaak_f64 v[44:45], v[40:41], v[44:45], 0xbf8c6ea4a57d9582
	v_fmaak_f64 v[44:45], v[40:41], v[44:45], 0x3f967e295f08b19f
	s_delay_alu instid0(VALU_DEP_1) | instskip(NEXT) | instid1(VALU_DEP_1)
	v_fmaak_f64 v[44:45], v[40:41], v[44:45], 0xbf9e9ae6fc27006a
	v_fmaak_f64 v[44:45], v[40:41], v[44:45], 0x3fa2c15b5711927a
	v_add_f64_e32 v[38:39], v[38:39], v[42:43]
	s_delay_alu instid0(VALU_DEP_2) | instskip(SKIP_1) | instid1(VALU_DEP_2)
	v_fmaak_f64 v[42:43], v[40:41], v[44:45], 0xbfa59976e82d3ff0
	v_add_f64_e64 v[44:45], v[50:51], -v[48:49]
	v_fmaak_f64 v[42:43], v[40:41], v[42:43], 0x3fa82d5d6ef28734
	s_delay_alu instid0(VALU_DEP_1) | instskip(NEXT) | instid1(VALU_DEP_1)
	v_fmaak_f64 v[42:43], v[40:41], v[42:43], 0xbfaae5ce6a214619
	v_fmaak_f64 v[42:43], v[40:41], v[42:43], 0x3fae1bb48427b883
	s_delay_alu instid0(VALU_DEP_1) | instskip(SKIP_3) | instid1(VALU_DEP_4)
	v_fmaak_f64 v[42:43], v[40:41], v[42:43], 0xbfb110e48b207f05
	v_add_f64_e32 v[38:39], v[50:51], v[38:39]
	v_add_f64_e64 v[50:51], v[50:51], -v[44:45]
	v_add_f64_e64 v[34:35], v[34:35], -v[44:45]
	v_fmaak_f64 v[42:43], v[40:41], v[42:43], 0x3fb3b13657b87036
	s_delay_alu instid0(VALU_DEP_1) | instskip(NEXT) | instid1(VALU_DEP_1)
	v_fmaak_f64 v[42:43], v[40:41], v[42:43], 0xbfb745d119378e4f
	v_fmaak_f64 v[42:43], v[40:41], v[42:43], 0x3fbc71c717e1913c
	s_delay_alu instid0(VALU_DEP_1) | instskip(SKIP_1) | instid1(VALU_DEP_2)
	v_fmaak_f64 v[42:43], v[40:41], v[42:43], 0xbfc2492492376b7d
	v_add_f64_e32 v[52:53], v[46:47], v[38:39]
	v_fmaak_f64 v[42:43], v[40:41], v[42:43], 0x3fc99999999952cc
	s_delay_alu instid0(VALU_DEP_1) | instskip(NEXT) | instid1(VALU_DEP_1)
	v_fmaak_f64 v[42:43], v[40:41], v[42:43], 0xbfd5555555555523
	v_mul_f64_e32 v[40:41], v[40:41], v[42:43]
	v_add_f64_e64 v[42:43], v[48:49], -v[50:51]
	v_add_f64_e64 v[44:45], v[52:53], -v[46:47]
	s_delay_alu instid0(VALU_DEP_3) | instskip(NEXT) | instid1(VALU_DEP_3)
	v_fmac_f64_e32 v[36:37], v[36:37], v[40:41]
	v_add_f64_e32 v[34:35], v[34:35], v[42:43]
	s_delay_alu instid0(VALU_DEP_3) | instskip(NEXT) | instid1(VALU_DEP_3)
	v_add_f64_e64 v[38:39], v[38:39], -v[44:45]
	v_add_f64_e64 v[40:41], -v[36:37], s[30:31]
	s_delay_alu instid0(VALU_DEP_1) | instskip(NEXT) | instid1(VALU_DEP_2)
	v_dual_add_f64 v[34:35], v[34:35], v[38:39] :: v_dual_cndmask_b32 v37, v37, v41, s2
	v_cndmask_b32_e64 v36, v36, v40, s2
	s_delay_alu instid0(VALU_DEP_1) | instskip(NEXT) | instid1(VALU_DEP_3)
	v_add_f64_e64 v[38:39], -v[36:37], s[34:35]
	v_add_f64_e32 v[34:35], v[52:53], v[34:35]
	s_delay_alu instid0(VALU_DEP_2) | instskip(SKIP_1) | instid1(VALU_DEP_1)
	v_dual_cndmask_b32 v36, v36, v38 :: v_dual_cndmask_b32 v7, v37, v39
	s_and_b32 vcc_lo, s8, s7
                                        ; implicit-def: $vgpr38_vgpr39
	v_cndmask_b32_e64 v21, v36, v21, s3
	s_delay_alu instid0(VALU_DEP_2) | instskip(NEXT) | instid1(VALU_DEP_1)
	v_dual_mul_f64 v[34:35], 0.5, v[34:35] :: v_dual_cndmask_b32 v1, v7, v1, s3
	v_cndmask_b32_e32 v7, v1, v6, vcc_lo
	s_delay_alu instid0(VALU_DEP_3) | instskip(NEXT) | instid1(VALU_DEP_3)
	v_cndmask_b32_e32 v6, v21, v8, vcc_lo
	v_cndmask_b32_e64 v35, 0x7ff00000, v35, s4
	s_delay_alu instid0(VALU_DEP_4)
	v_cndmask_b32_e64 v34, 0, v34, s4
.LBB191_60:                             ;   in Loop: Header=BB191_5 Depth=1
	s_and_not1_saveexec_b32 s4, s6
	s_cbranch_execz .LBB191_62
; %bb.61:                               ;   in Loop: Header=BB191_5 Depth=1
	v_max_num_f64_e64 v[6:7], |v[12:13]|, |v[12:13]|
	v_max_num_f64_e64 v[34:35], |v[10:11]|, |v[10:11]|
	v_cmp_eq_f64_e64 s3, 0, v[12:13]
	v_cmp_class_f64_e64 s6, v[12:13], 0x204
	v_cmp_class_f64_e64 s7, v[10:11], 0x204
	v_ashrrev_i32_e32 v1, 31, v11
	s_delay_alu instid0(VALU_DEP_1) | instskip(SKIP_3) | instid1(VALU_DEP_1)
	v_and_b32_e32 v21, 0x54442d18, v1
	v_and_b32_e32 v1, 0x400921fb, v1
	v_max_num_f64_e32 v[36:37], v[34:35], v[6:7]
	v_min_num_f64_e32 v[6:7], v[34:35], v[6:7]
	v_div_scale_f64 v[34:35], null, v[36:37], v[36:37], v[6:7]
	v_div_scale_f64 v[44:45], vcc_lo, v[6:7], v[36:37], v[6:7]
	s_delay_alu instid0(VALU_DEP_2) | instskip(SKIP_1) | instid1(TRANS32_DEP_1)
	v_rcp_f64_e32 v[40:41], v[34:35]
	v_nop
	v_fma_f64 v[42:43], -v[34:35], v[40:41], 1.0
	s_delay_alu instid0(VALU_DEP_1) | instskip(NEXT) | instid1(VALU_DEP_1)
	v_fmac_f64_e32 v[40:41], v[40:41], v[42:43]
	v_fma_f64 v[42:43], -v[34:35], v[40:41], 1.0
	s_delay_alu instid0(VALU_DEP_1) | instskip(NEXT) | instid1(VALU_DEP_1)
	v_fmac_f64_e32 v[40:41], v[40:41], v[42:43]
	v_mul_f64_e32 v[42:43], v[44:45], v[40:41]
	s_delay_alu instid0(VALU_DEP_1) | instskip(NEXT) | instid1(VALU_DEP_1)
	v_fma_f64 v[34:35], -v[34:35], v[42:43], v[44:45]
	v_div_fmas_f64 v[34:35], v[34:35], v[40:41], v[42:43]
	v_cmp_gt_i32_e32 vcc_lo, 0, v11
	v_cndmask_b32_e32 v8, 0x54442d18, v62, vcc_lo
	s_delay_alu instid0(VALU_DEP_3) | instskip(NEXT) | instid1(VALU_DEP_1)
	v_div_fixup_f64 v[6:7], v[34:35], v[36:37], v[6:7]
	v_mul_f64_e32 v[34:35], v[6:7], v[6:7]
	s_delay_alu instid0(VALU_DEP_1) | instskip(NEXT) | instid1(VALU_DEP_1)
	v_fmamk_f64 v[36:37], v[34:35], 0x3eeba404b5e68a13, v[24:25]
	v_fmaak_f64 v[36:37], v[34:35], v[36:37], 0x3f4b2bb069efb384
	s_delay_alu instid0(VALU_DEP_1) | instskip(NEXT) | instid1(VALU_DEP_1)
	v_fmaak_f64 v[36:37], v[34:35], v[36:37], 0xbf67952daf56de9b
	v_fmaak_f64 v[36:37], v[34:35], v[36:37], 0x3f7d6d43a595c56f
	s_delay_alu instid0(VALU_DEP_1) | instskip(NEXT) | instid1(VALU_DEP_1)
	v_fmaak_f64 v[36:37], v[34:35], v[36:37], 0xbf8c6ea4a57d9582
	;; [unrolled: 3-line block ×9, first 2 shown]
	v_mul_f64_e32 v[34:35], v[34:35], v[36:37]
	s_delay_alu instid0(VALU_DEP_1) | instskip(NEXT) | instid1(VALU_DEP_1)
	v_fmac_f64_e32 v[6:7], v[6:7], v[34:35]
	v_add_f64_e64 v[34:35], -v[6:7], s[30:31]
	s_delay_alu instid0(VALU_DEP_1) | instskip(NEXT) | instid1(VALU_DEP_1)
	v_dual_cndmask_b32 v7, v7, v35, s2 :: v_dual_cndmask_b32 v6, v6, v34, s2
	v_add_f64_e64 v[36:37], -v[6:7], s[34:35]
	s_delay_alu instid0(VALU_DEP_1) | instskip(NEXT) | instid1(VALU_DEP_2)
	v_dual_mul_f64 v[34:35], 0.5, v[38:39] :: v_dual_cndmask_b32 v7, v7, v37, vcc_lo
	v_cndmask_b32_e32 v6, v6, v36, vcc_lo
	v_cndmask_b32_e32 v36, 0x3fe921fb, v63, vcc_lo
	s_and_b32 vcc_lo, s7, s6
	s_delay_alu instid0(VALU_DEP_2) | instskip(NEXT) | instid1(VALU_DEP_2)
	v_cndmask_b32_e64 v6, v6, v21, s3
	v_bfi_b32 v36, 0x7fffffff, v36, v13
	s_delay_alu instid0(VALU_DEP_2) | instskip(NEXT) | instid1(VALU_DEP_1)
	v_dual_cndmask_b32 v1, v7, v1, s3 :: v_dual_cndmask_b32 v6, v6, v8, vcc_lo
	v_dual_mul_f64 v[34:35], v[38:39], v[34:35] :: v_dual_cndmask_b32 v7, v1, v36, vcc_lo
.LBB191_62:                             ;   in Loop: Header=BB191_5 Depth=1
	s_or_b32 exec_lo, exec_lo, s4
.LBB191_63:                             ;   in Loop: Header=BB191_5 Depth=1
	s_delay_alu instid0(SALU_CYCLE_1)
	s_or_b32 exec_lo, exec_lo, s5
.LBB191_64:                             ;   in Loop: Header=BB191_5 Depth=1
	s_and_not1_saveexec_b32 s4, s45
	s_cbranch_execz .LBB191_66
; %bb.65:                               ;   in Loop: Header=BB191_5 Depth=1
	v_div_scale_f64 v[6:7], null, s[40:41], s[40:41], v[10:11]
	v_div_scale_f64 v[34:35], null, s[40:41], s[40:41], v[12:13]
	v_div_scale_f64 v[44:45], vcc_lo, v[10:11], s[40:41], v[10:11]
	s_delay_alu instid0(VALU_DEP_3) | instskip(NEXT) | instid1(VALU_DEP_2)
	v_rcp_f64_e32 v[36:37], v[6:7]
	v_rcp_f64_e32 v[38:39], v[34:35]
	s_delay_alu instid0(TRANS32_DEP_2) | instskip(NEXT) | instid1(TRANS32_DEP_1)
	v_fma_f64 v[40:41], -v[6:7], v[36:37], 1.0
	v_fma_f64 v[42:43], -v[34:35], v[38:39], 1.0
	s_delay_alu instid0(VALU_DEP_2) | instskip(NEXT) | instid1(VALU_DEP_2)
	v_fmac_f64_e32 v[36:37], v[36:37], v[40:41]
	v_fmac_f64_e32 v[38:39], v[38:39], v[42:43]
	s_delay_alu instid0(VALU_DEP_2) | instskip(NEXT) | instid1(VALU_DEP_2)
	v_fma_f64 v[40:41], -v[6:7], v[36:37], 1.0
	v_fma_f64 v[42:43], -v[34:35], v[38:39], 1.0
	s_delay_alu instid0(VALU_DEP_2) | instskip(SKIP_1) | instid1(VALU_DEP_3)
	v_fmac_f64_e32 v[36:37], v[36:37], v[40:41]
	v_div_scale_f64 v[40:41], s3, v[12:13], s[40:41], v[12:13]
	v_fmac_f64_e32 v[38:39], v[38:39], v[42:43]
	s_delay_alu instid0(VALU_DEP_3) | instskip(NEXT) | instid1(VALU_DEP_2)
	v_mul_f64_e32 v[42:43], v[44:45], v[36:37]
	v_mul_f64_e32 v[46:47], v[40:41], v[38:39]
	s_delay_alu instid0(VALU_DEP_2) | instskip(NEXT) | instid1(VALU_DEP_2)
	v_fma_f64 v[6:7], -v[6:7], v[42:43], v[44:45]
	v_fma_f64 v[34:35], -v[34:35], v[46:47], v[40:41]
	s_delay_alu instid0(VALU_DEP_2) | instskip(SKIP_1) | instid1(VALU_DEP_2)
	v_div_fmas_f64 v[6:7], v[6:7], v[36:37], v[42:43]
	s_mov_b32 vcc_lo, s3
	v_div_fmas_f64 v[34:35], v[34:35], v[38:39], v[46:47]
	s_delay_alu instid0(VALU_DEP_2) | instskip(NEXT) | instid1(VALU_DEP_2)
	v_div_fixup_f64 v[6:7], v[6:7], s[40:41], v[10:11]
	v_div_fixup_f64 v[34:35], v[34:35], s[40:41], v[12:13]
	s_delay_alu instid0(VALU_DEP_2) | instskip(NEXT) | instid1(VALU_DEP_2)
	v_cmp_class_f64_e64 s3, v[6:7], 0x204
	v_max_num_f64_e64 v[36:37], |v[6:7]|, |v[34:35]|
	v_cmp_class_f64_e64 s5, v[34:35], 0x204
	s_delay_alu instid0(VALU_DEP_2) | instskip(SKIP_2) | instid1(VALU_DEP_2)
	v_frexp_exp_i32_f64_e32 v1, v[36:37]
	s_or_b32 s3, s3, s5
	v_cmp_class_f64_e64 s5, v[10:11], 0x204
	v_sub_nc_u32_e32 v8, 0, v1
	s_delay_alu instid0(VALU_DEP_1) | instskip(SKIP_1) | instid1(VALU_DEP_2)
	v_ldexp_f64 v[36:37], |v[34:35]|, v8
	v_ldexp_f64 v[38:39], |v[6:7]|, v8
	v_mul_f64_e32 v[36:37], v[36:37], v[36:37]
	s_delay_alu instid0(VALU_DEP_1) | instskip(NEXT) | instid1(VALU_DEP_1)
	v_fmac_f64_e32 v[36:37], v[38:39], v[38:39]
	v_rsq_f64_e32 v[38:39], v[36:37]
	v_cmp_eq_f64_e32 vcc_lo, 0, v[36:37]
	s_delay_alu instid0(TRANS32_DEP_1) | instskip(SKIP_1) | instid1(VALU_DEP_1)
	v_mul_f64_e32 v[40:41], v[36:37], v[38:39]
	v_mul_f64_e32 v[38:39], 0.5, v[38:39]
	v_fma_f64 v[42:43], -v[38:39], v[40:41], 0.5
	s_delay_alu instid0(VALU_DEP_1) | instskip(SKIP_1) | instid1(VALU_DEP_2)
	v_fmac_f64_e32 v[40:41], v[40:41], v[42:43]
	v_fmac_f64_e32 v[38:39], v[38:39], v[42:43]
	v_fma_f64 v[42:43], -v[40:41], v[40:41], v[36:37]
	s_delay_alu instid0(VALU_DEP_1) | instskip(NEXT) | instid1(VALU_DEP_1)
	v_fmac_f64_e32 v[40:41], v[42:43], v[38:39]
	v_dual_cndmask_b32 v37, v41, v37 :: v_dual_cndmask_b32 v36, v40, v36
	v_cmp_o_f64_e32 vcc_lo, v[6:7], v[34:35]
	s_delay_alu instid0(VALU_DEP_2) | instskip(NEXT) | instid1(VALU_DEP_1)
	v_ldexp_f64 v[36:37], v[36:37], v1
	v_cndmask_b32_e32 v1, 0, v36, vcc_lo
	s_delay_alu instid0(VALU_DEP_2) | instskip(NEXT) | instid1(VALU_DEP_2)
	v_cndmask_b32_e32 v6, 0x7ff80000, v37, vcc_lo
	v_cndmask_b32_e64 v36, v1, 0, s3
	s_delay_alu instid0(VALU_DEP_2) | instskip(SKIP_1) | instid1(VALU_DEP_2)
	v_cndmask_b32_e64 v37, v6, 0x7ff00000, s3
	v_cmp_class_f64_e64 s3, v[12:13], 0x204
	v_frexp_mant_f64_e32 v[6:7], v[36:37]
	s_delay_alu instid0(VALU_DEP_1) | instskip(SKIP_1) | instid1(VALU_DEP_1)
	v_cmp_gt_f64_e32 vcc_lo, s[26:27], v[6:7]
	v_cndmask_b32_e64 v1, 0, 1, vcc_lo
	v_ldexp_f64 v[6:7], v[6:7], v1
	v_frexp_exp_i32_f64_e32 v1, v[36:37]
	s_delay_alu instid0(VALU_DEP_2) | instskip(SKIP_1) | instid1(VALU_DEP_3)
	v_add_f64_e32 v[34:35], 1.0, v[6:7]
	v_add_f64_e32 v[42:43], -1.0, v[6:7]
	v_subrev_co_ci_u32_e64 v1, null, 0, v1, vcc_lo
	s_delay_alu instid0(VALU_DEP_3) | instskip(SKIP_1) | instid1(VALU_DEP_1)
	v_rcp_f64_e32 v[38:39], v[34:35]
	v_add_f64_e32 v[44:45], -1.0, v[34:35]
	v_add_f64_e64 v[6:7], v[6:7], -v[44:45]
	s_delay_alu instid0(TRANS32_DEP_1) | instskip(NEXT) | instid1(VALU_DEP_1)
	v_fma_f64 v[40:41], -v[34:35], v[38:39], 1.0
	v_fmac_f64_e32 v[38:39], v[40:41], v[38:39]
	s_delay_alu instid0(VALU_DEP_1) | instskip(NEXT) | instid1(VALU_DEP_1)
	v_fma_f64 v[40:41], -v[34:35], v[38:39], 1.0
	v_fmac_f64_e32 v[38:39], v[40:41], v[38:39]
	s_delay_alu instid0(VALU_DEP_1) | instskip(NEXT) | instid1(VALU_DEP_1)
	v_mul_f64_e32 v[40:41], v[42:43], v[38:39]
	v_mul_f64_e32 v[46:47], v[34:35], v[40:41]
	s_delay_alu instid0(VALU_DEP_1) | instskip(NEXT) | instid1(VALU_DEP_1)
	v_fma_f64 v[34:35], v[40:41], v[34:35], -v[46:47]
	v_fmac_f64_e32 v[34:35], v[40:41], v[6:7]
	s_delay_alu instid0(VALU_DEP_1) | instskip(NEXT) | instid1(VALU_DEP_1)
	v_add_f64_e32 v[6:7], v[46:47], v[34:35]
	v_add_f64_e64 v[44:45], v[42:43], -v[6:7]
	v_add_f64_e64 v[46:47], v[6:7], -v[46:47]
	s_delay_alu instid0(VALU_DEP_2) | instskip(NEXT) | instid1(VALU_DEP_2)
	v_add_f64_e64 v[42:43], v[42:43], -v[44:45]
	v_add_f64_e64 v[34:35], v[46:47], -v[34:35]
	s_delay_alu instid0(VALU_DEP_2) | instskip(SKIP_1) | instid1(VALU_DEP_2)
	v_add_f64_e64 v[6:7], v[42:43], -v[6:7]
	v_max_num_f64_e64 v[42:43], |v[10:11]|, |v[10:11]|
	v_add_f64_e32 v[6:7], v[34:35], v[6:7]
	v_max_num_f64_e64 v[34:35], |v[12:13]|, |v[12:13]|
	s_delay_alu instid0(VALU_DEP_2) | instskip(NEXT) | instid1(VALU_DEP_1)
	v_add_f64_e32 v[6:7], v[44:45], v[6:7]
	v_mul_f64_e32 v[6:7], v[38:39], v[6:7]
	s_delay_alu instid0(VALU_DEP_3) | instskip(SKIP_1) | instid1(VALU_DEP_3)
	v_max_num_f64_e32 v[38:39], v[42:43], v[34:35]
	v_min_num_f64_e32 v[34:35], v[42:43], v[34:35]
	v_add_f64_e32 v[42:43], v[40:41], v[6:7]
	s_delay_alu instid0(VALU_DEP_2) | instskip(NEXT) | instid1(VALU_DEP_2)
	v_div_scale_f64 v[44:45], null, v[38:39], v[38:39], v[34:35]
	v_mul_f64_e32 v[46:47], v[42:43], v[42:43]
	v_add_f64_e64 v[40:41], v[42:43], -v[40:41]
	s_delay_alu instid0(VALU_DEP_3) | instskip(NEXT) | instid1(VALU_DEP_2)
	v_rcp_f64_e32 v[48:49], v[44:45]
	v_fmamk_f64 v[50:51], v[46:47], 0x3fc3ab76bf559e2b, v[22:23]
	v_mul_f64_e32 v[52:53], v[42:43], v[46:47]
	s_delay_alu instid0(VALU_DEP_3) | instskip(NEXT) | instid1(VALU_DEP_3)
	v_add_f64_e64 v[6:7], v[6:7], -v[40:41]
	v_fmaak_f64 v[50:51], v[46:47], v[50:51], 0x3fc7474dd7f4df2e
	s_delay_alu instid0(TRANS32_DEP_1) | instskip(NEXT) | instid1(VALU_DEP_2)
	v_fma_f64 v[54:55], -v[44:45], v[48:49], 1.0
	v_fmaak_f64 v[50:51], v[46:47], v[50:51], 0x3fcc71c016291751
	s_delay_alu instid0(VALU_DEP_1) | instskip(NEXT) | instid1(VALU_DEP_1)
	v_fmaak_f64 v[50:51], v[46:47], v[50:51], 0x3fd249249b27acf1
	v_fmaak_f64 v[50:51], v[46:47], v[50:51], 0x3fd99999998ef7b6
	v_ldexp_f64 v[6:7], v[6:7], 1
	s_delay_alu instid0(VALU_DEP_2) | instskip(SKIP_2) | instid1(VALU_DEP_3)
	v_fmaak_f64 v[46:47], v[46:47], v[50:51], 0x3fe5555555555780
	v_ldexp_f64 v[50:51], v[42:43], 1
	v_fmac_f64_e32 v[48:49], v[48:49], v[54:55]
	v_mul_f64_e32 v[46:47], v[52:53], v[46:47]
	v_cvt_f64_i32_e32 v[52:53], v1
	v_ashrrev_i32_e32 v1, 31, v11
	s_delay_alu instid0(VALU_DEP_1) | instskip(SKIP_4) | instid1(VALU_DEP_3)
	v_and_b32_e32 v21, 0x54442d18, v1
	v_and_b32_e32 v1, 0x400921fb, v1
	v_fma_f64 v[54:55], -v[44:45], v[48:49], 1.0
	v_add_f64_e32 v[42:43], v[50:51], v[46:47]
	v_mul_f64_e32 v[56:57], 0x3fe62e42fefa39ef, v[52:53]
	v_fmac_f64_e32 v[48:49], v[48:49], v[54:55]
	s_delay_alu instid0(VALU_DEP_3) | instskip(SKIP_1) | instid1(VALU_DEP_4)
	v_add_f64_e64 v[40:41], v[42:43], -v[50:51]
	v_div_scale_f64 v[50:51], vcc_lo, v[34:35], v[38:39], v[34:35]
	v_fma_f64 v[54:55], v[52:53], s[28:29], -v[56:57]
	s_delay_alu instid0(VALU_DEP_3) | instskip(NEXT) | instid1(VALU_DEP_3)
	v_add_f64_e64 v[40:41], v[46:47], -v[40:41]
	v_mul_f64_e32 v[46:47], v[50:51], v[48:49]
	s_delay_alu instid0(VALU_DEP_3) | instskip(NEXT) | instid1(VALU_DEP_3)
	v_fmac_f64_e32 v[54:55], 0x3c7abc9e3b39803f, v[52:53]
	v_add_f64_e32 v[6:7], v[6:7], v[40:41]
	s_delay_alu instid0(VALU_DEP_3) | instskip(NEXT) | instid1(VALU_DEP_3)
	v_fma_f64 v[40:41], -v[44:45], v[46:47], v[50:51]
	v_add_f64_e32 v[44:45], v[56:57], v[54:55]
	s_delay_alu instid0(VALU_DEP_3) | instskip(NEXT) | instid1(VALU_DEP_3)
	v_add_f64_e32 v[50:51], v[42:43], v[6:7]
	v_div_fmas_f64 v[40:41], v[40:41], v[48:49], v[46:47]
	v_cmp_class_f64_e64 vcc_lo, v[36:37], 0x204
	s_delay_alu instid0(VALU_DEP_4) | instskip(NEXT) | instid1(VALU_DEP_4)
	v_add_f64_e64 v[48:49], v[44:45], -v[56:57]
	v_add_f64_e32 v[46:47], v[44:45], v[50:51]
	s_delay_alu instid0(VALU_DEP_4) | instskip(SKIP_1) | instid1(VALU_DEP_4)
	v_div_fixup_f64 v[34:35], v[40:41], v[38:39], v[34:35]
	v_add_f64_e64 v[42:43], v[50:51], -v[42:43]
	v_add_f64_e64 v[48:49], v[54:55], -v[48:49]
	s_delay_alu instid0(VALU_DEP_4) | instskip(NEXT) | instid1(VALU_DEP_4)
	v_add_f64_e64 v[38:39], v[46:47], -v[44:45]
	v_mul_f64_e32 v[40:41], v[34:35], v[34:35]
	s_delay_alu instid0(VALU_DEP_4) | instskip(NEXT) | instid1(VALU_DEP_3)
	v_add_f64_e64 v[6:7], v[6:7], -v[42:43]
	v_add_f64_e64 v[52:53], v[46:47], -v[38:39]
	s_delay_alu instid0(VALU_DEP_3) | instskip(SKIP_1) | instid1(VALU_DEP_4)
	v_fmamk_f64 v[56:57], v[40:41], 0x3eeba404b5e68a13, v[24:25]
	v_add_f64_e64 v[38:39], v[50:51], -v[38:39]
	v_add_f64_e32 v[50:51], v[48:49], v[6:7]
	s_delay_alu instid0(VALU_DEP_3) | instskip(SKIP_1) | instid1(VALU_DEP_2)
	v_fmaak_f64 v[56:57], v[40:41], v[56:57], 0x3f4b2bb069efb384
	v_add_f64_e64 v[42:43], v[44:45], -v[52:53]
	v_fmaak_f64 v[44:45], v[40:41], v[56:57], 0xbf67952daf56de9b
	s_delay_alu instid0(VALU_DEP_1) | instskip(NEXT) | instid1(VALU_DEP_1)
	v_fmaak_f64 v[44:45], v[40:41], v[44:45], 0x3f7d6d43a595c56f
	v_fmaak_f64 v[44:45], v[40:41], v[44:45], 0xbf8c6ea4a57d9582
	s_delay_alu instid0(VALU_DEP_1) | instskip(SKIP_1) | instid1(VALU_DEP_2)
	v_fmaak_f64 v[44:45], v[40:41], v[44:45], 0x3f967e295f08b19f
	v_add_f64_e32 v[38:39], v[38:39], v[42:43]
	v_fmaak_f64 v[42:43], v[40:41], v[44:45], 0xbf9e9ae6fc27006a
	v_add_f64_e64 v[44:45], v[50:51], -v[48:49]
	s_delay_alu instid0(VALU_DEP_2) | instskip(NEXT) | instid1(VALU_DEP_1)
	v_fmaak_f64 v[42:43], v[40:41], v[42:43], 0x3fa2c15b5711927a
	v_fmaak_f64 v[42:43], v[40:41], v[42:43], 0xbfa59976e82d3ff0
	s_delay_alu instid0(VALU_DEP_1) | instskip(NEXT) | instid1(VALU_DEP_1)
	v_fmaak_f64 v[42:43], v[40:41], v[42:43], 0x3fa82d5d6ef28734
	v_fmaak_f64 v[42:43], v[40:41], v[42:43], 0xbfaae5ce6a214619
	v_add_f64_e32 v[38:39], v[50:51], v[38:39]
	v_add_f64_e64 v[50:51], v[50:51], -v[44:45]
	v_add_f64_e64 v[6:7], v[6:7], -v[44:45]
	s_delay_alu instid0(VALU_DEP_4) | instskip(NEXT) | instid1(VALU_DEP_1)
	v_fmaak_f64 v[42:43], v[40:41], v[42:43], 0x3fae1bb48427b883
	v_fmaak_f64 v[42:43], v[40:41], v[42:43], 0xbfb110e48b207f05
	s_delay_alu instid0(VALU_DEP_1) | instskip(NEXT) | instid1(VALU_DEP_1)
	v_fmaak_f64 v[42:43], v[40:41], v[42:43], 0x3fb3b13657b87036
	v_fmaak_f64 v[42:43], v[40:41], v[42:43], 0xbfb745d119378e4f
	s_delay_alu instid0(VALU_DEP_1) | instskip(SKIP_1) | instid1(VALU_DEP_2)
	v_fmaak_f64 v[42:43], v[40:41], v[42:43], 0x3fbc71c717e1913c
	v_add_f64_e32 v[52:53], v[46:47], v[38:39]
	v_fmaak_f64 v[42:43], v[40:41], v[42:43], 0xbfc2492492376b7d
	s_delay_alu instid0(VALU_DEP_1) | instskip(NEXT) | instid1(VALU_DEP_1)
	v_fmaak_f64 v[42:43], v[40:41], v[42:43], 0x3fc99999999952cc
	v_fmaak_f64 v[42:43], v[40:41], v[42:43], 0xbfd5555555555523
	s_delay_alu instid0(VALU_DEP_1) | instskip(SKIP_2) | instid1(VALU_DEP_3)
	v_mul_f64_e32 v[40:41], v[40:41], v[42:43]
	v_add_f64_e64 v[42:43], v[48:49], -v[50:51]
	v_add_f64_e64 v[44:45], v[52:53], -v[46:47]
	v_fmac_f64_e32 v[34:35], v[34:35], v[40:41]
	s_delay_alu instid0(VALU_DEP_3) | instskip(NEXT) | instid1(VALU_DEP_3)
	v_add_f64_e32 v[6:7], v[6:7], v[42:43]
	v_add_f64_e64 v[38:39], v[38:39], -v[44:45]
	s_delay_alu instid0(VALU_DEP_3) | instskip(NEXT) | instid1(VALU_DEP_2)
	v_add_f64_e64 v[40:41], -v[34:35], s[30:31]
	v_add_f64_e32 v[6:7], v[6:7], v[38:39]
	s_delay_alu instid0(VALU_DEP_2) | instskip(SKIP_1) | instid1(VALU_DEP_3)
	v_dual_cndmask_b32 v35, v35, v41, s2 :: v_dual_cndmask_b32 v34, v34, v40, s2
	v_cmp_gt_i32_e64 s2, 0, v11
	v_add_f64_e32 v[6:7], v[52:53], v[6:7]
	s_delay_alu instid0(VALU_DEP_3) | instskip(NEXT) | instid1(VALU_DEP_3)
	v_add_f64_e64 v[38:39], -v[34:35], s[34:35]
	v_cndmask_b32_e64 v8, 0x54442d18, v62, s2
	s_delay_alu instid0(VALU_DEP_3) | instskip(SKIP_1) | instid1(VALU_DEP_4)
	v_dual_cndmask_b32 v7, v7, v37 :: v_dual_cndmask_b32 v6, v6, v36
	v_cmp_eq_f64_e32 vcc_lo, 0, v[12:13]
	v_cndmask_b32_e64 v34, v34, v38, s2
	v_cndmask_b32_e64 v38, 0x3fe921fb, v63, s2
	;; [unrolled: 1-line block ×3, first 2 shown]
	v_add_f64_e32 v[6:7], 1.0, v[6:7]
	v_cmp_nge_f64_e64 s2, 0, v[36:37]
	s_delay_alu instid0(VALU_DEP_4)
	v_bfi_b32 v38, 0x7fffffff, v38, v13
	v_cndmask_b32_e32 v21, v34, v21, vcc_lo
	v_cndmask_b32_e32 v1, v35, v1, vcc_lo
	v_cmp_ngt_f64_e32 vcc_lo, 0, v[36:37]
	v_cndmask_b32_e64 v34, 0, v6, s2
	v_cmp_neq_f64_e64 s2, 0, v[36:37]
	v_cndmask_b32_e32 v35, 0x7ff80000, v7, vcc_lo
	s_and_b32 vcc_lo, s5, s3
	v_cndmask_b32_e32 v7, v1, v38, vcc_lo
	v_cndmask_b32_e32 v6, v21, v8, vcc_lo
	s_delay_alu instid0(VALU_DEP_3)
	v_cndmask_b32_e64 v35, 0xfff00000, v35, s2
.LBB191_66:                             ;   in Loop: Header=BB191_5 Depth=1
	s_or_b32 exec_lo, exec_lo, s4
.LBB191_67:                             ;   in Loop: Header=BB191_5 Depth=1
	s_and_not1_saveexec_b32 s2, s44
	s_cbranch_execz .LBB191_73
; %bb.68:                               ;   in Loop: Header=BB191_5 Depth=1
	v_cmp_ngt_f64_e64 s3, 0x20000000, |v[10:11]|
	v_cmp_ngt_f64_e64 s4, 0x20000000, |v[12:13]|
                                        ; implicit-def: $vgpr36_vgpr37
	s_or_b32 s3, s3, s4
	s_delay_alu instid0(SALU_CYCLE_1) | instskip(NEXT) | instid1(SALU_CYCLE_1)
	s_and_saveexec_b32 s4, s3
	s_xor_b32 s3, exec_lo, s4
	s_cbranch_execz .LBB191_70
; %bb.69:                               ;   in Loop: Header=BB191_5 Depth=1
	v_mul_f64_e32 v[36:37], v[12:13], v[12:13]
	s_delay_alu instid0(VALU_DEP_1)
	v_fmac_f64_e32 v[36:37], v[10:11], v[10:11]
.LBB191_70:                             ;   in Loop: Header=BB191_5 Depth=1
	s_and_not1_saveexec_b32 s3, s3
	s_cbranch_execz .LBB191_72
; %bb.71:                               ;   in Loop: Header=BB191_5 Depth=1
	v_mul_f64_e32 v[6:7], 4.0, v[12:13]
	v_mul_f64_e32 v[10:11], 4.0, v[10:11]
	s_delay_alu instid0(VALU_DEP_2) | instskip(NEXT) | instid1(VALU_DEP_1)
	v_mul_f64_e32 v[6:7], v[6:7], v[6:7]
	v_fmac_f64_e32 v[6:7], v[10:11], v[10:11]
	s_delay_alu instid0(VALU_DEP_1)
	v_ldexp_f64 v[36:37], v[6:7], -4
.LBB191_72:                             ;   in Loop: Header=BB191_5 Depth=1
	s_or_b32 exec_lo, exec_lo, s3
	s_delay_alu instid0(VALU_DEP_1) | instskip(NEXT) | instid1(VALU_DEP_1)
	v_frexp_mant_f64_e32 v[6:7], v[36:37]
	v_cmp_gt_f64_e32 vcc_lo, s[26:27], v[6:7]
	v_cndmask_b32_e64 v1, 0, 1, vcc_lo
	s_delay_alu instid0(VALU_DEP_1) | instskip(SKIP_1) | instid1(VALU_DEP_1)
	v_ldexp_f64 v[6:7], v[6:7], v1
	v_frexp_exp_i32_f64_e32 v1, v[36:37]
	v_subrev_co_ci_u32_e64 v1, null, 0, v1, vcc_lo
	v_cmp_class_f64_e64 vcc_lo, v[36:37], 0x204
	s_delay_alu instid0(VALU_DEP_4) | instskip(SKIP_1) | instid1(VALU_DEP_2)
	v_add_f64_e32 v[10:11], 1.0, v[6:7]
	v_add_f64_e32 v[40:41], -1.0, v[6:7]
	v_rcp_f64_e32 v[34:35], v[10:11]
	v_add_f64_e32 v[42:43], -1.0, v[10:11]
	s_delay_alu instid0(VALU_DEP_1) | instskip(NEXT) | instid1(TRANS32_DEP_1)
	v_add_f64_e64 v[6:7], v[6:7], -v[42:43]
	v_fma_f64 v[38:39], -v[10:11], v[34:35], 1.0
	s_delay_alu instid0(VALU_DEP_1) | instskip(NEXT) | instid1(VALU_DEP_1)
	v_fmac_f64_e32 v[34:35], v[38:39], v[34:35]
	v_fma_f64 v[38:39], -v[10:11], v[34:35], 1.0
	s_delay_alu instid0(VALU_DEP_1) | instskip(NEXT) | instid1(VALU_DEP_1)
	v_fmac_f64_e32 v[34:35], v[38:39], v[34:35]
	v_mul_f64_e32 v[38:39], v[40:41], v[34:35]
	s_delay_alu instid0(VALU_DEP_1) | instskip(NEXT) | instid1(VALU_DEP_1)
	v_mul_f64_e32 v[44:45], v[10:11], v[38:39]
	v_fma_f64 v[10:11], v[38:39], v[10:11], -v[44:45]
	s_delay_alu instid0(VALU_DEP_1) | instskip(NEXT) | instid1(VALU_DEP_1)
	v_fmac_f64_e32 v[10:11], v[38:39], v[6:7]
	v_add_f64_e32 v[6:7], v[44:45], v[10:11]
	s_delay_alu instid0(VALU_DEP_1) | instskip(SKIP_1) | instid1(VALU_DEP_2)
	v_add_f64_e64 v[42:43], v[40:41], -v[6:7]
	v_add_f64_e64 v[44:45], v[6:7], -v[44:45]
	;; [unrolled: 1-line block ×3, first 2 shown]
	s_delay_alu instid0(VALU_DEP_2) | instskip(NEXT) | instid1(VALU_DEP_2)
	v_add_f64_e64 v[10:11], v[44:45], -v[10:11]
	v_add_f64_e64 v[6:7], v[40:41], -v[6:7]
	s_delay_alu instid0(VALU_DEP_1) | instskip(NEXT) | instid1(VALU_DEP_1)
	v_add_f64_e32 v[6:7], v[10:11], v[6:7]
	v_add_f64_e32 v[6:7], v[42:43], v[6:7]
	s_delay_alu instid0(VALU_DEP_1) | instskip(NEXT) | instid1(VALU_DEP_1)
	v_mul_f64_e32 v[6:7], v[34:35], v[6:7]
	v_add_f64_e32 v[10:11], v[38:39], v[6:7]
	s_delay_alu instid0(VALU_DEP_1) | instskip(NEXT) | instid1(VALU_DEP_1)
	v_mul_f64_e32 v[34:35], v[10:11], v[10:11]
	v_fmamk_f64 v[40:41], v[34:35], 0x3fc3ab76bf559e2b, v[22:23]
	v_mul_f64_e32 v[42:43], v[10:11], v[34:35]
	s_delay_alu instid0(VALU_DEP_2) | instskip(NEXT) | instid1(VALU_DEP_1)
	v_fmaak_f64 v[40:41], v[34:35], v[40:41], 0x3fc7474dd7f4df2e
	v_fmaak_f64 v[40:41], v[34:35], v[40:41], 0x3fcc71c016291751
	s_delay_alu instid0(VALU_DEP_1) | instskip(NEXT) | instid1(VALU_DEP_1)
	v_fmaak_f64 v[40:41], v[34:35], v[40:41], 0x3fd249249b27acf1
	v_fmaak_f64 v[40:41], v[34:35], v[40:41], 0x3fd99999998ef7b6
	s_delay_alu instid0(VALU_DEP_1) | instskip(SKIP_2) | instid1(VALU_DEP_3)
	v_fmaak_f64 v[34:35], v[34:35], v[40:41], 0x3fe5555555555780
	v_ldexp_f64 v[40:41], v[10:11], 1
	v_add_f64_e64 v[10:11], v[10:11], -v[38:39]
	v_mul_f64_e32 v[34:35], v[42:43], v[34:35]
	v_cvt_f64_i32_e32 v[42:43], v1
	s_delay_alu instid0(VALU_DEP_3) | instskip(NEXT) | instid1(VALU_DEP_3)
	v_add_f64_e64 v[6:7], v[6:7], -v[10:11]
	v_add_f64_e32 v[38:39], v[40:41], v[34:35]
	s_delay_alu instid0(VALU_DEP_3) | instskip(NEXT) | instid1(VALU_DEP_3)
	v_mul_f64_e32 v[44:45], 0x3fe62e42fefa39ef, v[42:43]
	v_ldexp_f64 v[6:7], v[6:7], 1
	s_delay_alu instid0(VALU_DEP_3) | instskip(NEXT) | instid1(VALU_DEP_3)
	v_add_f64_e64 v[10:11], v[38:39], -v[40:41]
	v_fma_f64 v[40:41], v[42:43], s[28:29], -v[44:45]
	s_delay_alu instid0(VALU_DEP_2) | instskip(NEXT) | instid1(VALU_DEP_2)
	v_add_f64_e64 v[10:11], v[34:35], -v[10:11]
	v_fmac_f64_e32 v[40:41], 0x3c7abc9e3b39803f, v[42:43]
	s_delay_alu instid0(VALU_DEP_2) | instskip(NEXT) | instid1(VALU_DEP_2)
	v_add_f64_e32 v[6:7], v[6:7], v[10:11]
	v_add_f64_e32 v[10:11], v[44:45], v[40:41]
	s_delay_alu instid0(VALU_DEP_2) | instskip(NEXT) | instid1(VALU_DEP_2)
	v_add_f64_e32 v[34:35], v[38:39], v[6:7]
	v_add_f64_e64 v[44:45], v[10:11], -v[44:45]
	s_delay_alu instid0(VALU_DEP_2) | instskip(SKIP_1) | instid1(VALU_DEP_3)
	v_add_f64_e32 v[42:43], v[10:11], v[34:35]
	v_add_f64_e64 v[38:39], v[34:35], -v[38:39]
	v_add_f64_e64 v[40:41], v[40:41], -v[44:45]
	s_delay_alu instid0(VALU_DEP_3) | instskip(NEXT) | instid1(VALU_DEP_3)
	v_add_f64_e64 v[46:47], v[42:43], -v[10:11]
	v_add_f64_e64 v[6:7], v[6:7], -v[38:39]
	s_delay_alu instid0(VALU_DEP_2) | instskip(SKIP_1) | instid1(VALU_DEP_3)
	v_add_f64_e64 v[48:49], v[42:43], -v[46:47]
	v_add_f64_e64 v[34:35], v[34:35], -v[46:47]
	v_add_f64_e32 v[38:39], v[40:41], v[6:7]
	s_delay_alu instid0(VALU_DEP_3) | instskip(NEXT) | instid1(VALU_DEP_1)
	v_add_f64_e64 v[10:11], v[10:11], -v[48:49]
	v_add_f64_e32 v[10:11], v[34:35], v[10:11]
	s_delay_alu instid0(VALU_DEP_3) | instskip(NEXT) | instid1(VALU_DEP_2)
	v_add_f64_e64 v[34:35], v[38:39], -v[40:41]
	v_add_f64_e32 v[10:11], v[38:39], v[10:11]
	s_delay_alu instid0(VALU_DEP_2) | instskip(SKIP_1) | instid1(VALU_DEP_3)
	v_add_f64_e64 v[38:39], v[38:39], -v[34:35]
	v_add_f64_e64 v[6:7], v[6:7], -v[34:35]
	v_add_f64_e32 v[44:45], v[42:43], v[10:11]
	s_delay_alu instid0(VALU_DEP_3) | instskip(NEXT) | instid1(VALU_DEP_2)
	v_add_f64_e64 v[34:35], v[40:41], -v[38:39]
	v_add_f64_e64 v[38:39], v[44:45], -v[42:43]
	s_delay_alu instid0(VALU_DEP_2) | instskip(NEXT) | instid1(VALU_DEP_2)
	v_add_f64_e32 v[6:7], v[6:7], v[34:35]
	v_add_f64_e64 v[10:11], v[10:11], -v[38:39]
	s_delay_alu instid0(VALU_DEP_1) | instskip(NEXT) | instid1(VALU_DEP_1)
	v_add_f64_e32 v[6:7], v[6:7], v[10:11]
	v_add_f64_e32 v[6:7], v[44:45], v[6:7]
	s_delay_alu instid0(VALU_DEP_1) | instskip(SKIP_1) | instid1(VALU_DEP_2)
	v_dual_cndmask_b32 v1, v6, v36 :: v_dual_cndmask_b32 v6, v7, v37
	v_cmp_ngt_f64_e32 vcc_lo, 0, v[36:37]
	v_cndmask_b32_e32 v8, 0x7ff80000, v6, vcc_lo
	v_cmp_nge_f64_e32 vcc_lo, 0, v[36:37]
	v_mov_b64_e32 v[6:7], 0x7ff8000000000000
	v_cndmask_b32_e32 v34, 0, v1, vcc_lo
	v_cmp_neq_f64_e32 vcc_lo, 0, v[36:37]
	v_cndmask_b32_e32 v35, 0xfff00000, v8, vcc_lo
.LBB191_73:                             ;   in Loop: Header=BB191_5 Depth=1
	s_or_b32 exec_lo, exec_lo, s2
                                        ; implicit-def: $vgpr36_vgpr37
                                        ; implicit-def: $vgpr10_vgpr11
	s_delay_alu instid0(SALU_CYCLE_1)
	s_mov_b32 s2, exec_lo
	s_wait_loadcnt 0x0
	v_cmpx_o_f64_e32 v[14:15], v[16:17]
	s_xor_b32 s44, exec_lo, s2
	s_cbranch_execz .LBB191_101
; %bb.74:                               ;   in Loop: Header=BB191_5 Depth=1
	v_cmp_lt_f64_e64 s2, |v[14:15]|, |v[16:17]|
	v_and_b32_e32 v12, 0x7fffffff, v15
	v_and_b32_e32 v1, 0x7fffffff, v17
	v_mov_b32_e32 v8, v16
                                        ; implicit-def: $vgpr36_vgpr37
                                        ; implicit-def: $vgpr10_vgpr11
	s_mov_b32 s3, exec_lo
	s_delay_alu instid0(VALU_DEP_2) | instskip(NEXT) | instid1(VALU_DEP_1)
	v_dual_cndmask_b32 v41, v1, v12, s2 :: v_dual_cndmask_b32 v40, v16, v14, s2
	v_cmpx_nlt_f64_e32 s[20:21], v[40:41]
	s_xor_b32 s45, exec_lo, s3
	s_cbranch_execz .LBB191_98
; %bb.75:                               ;   in Loop: Header=BB191_5 Depth=1
	v_dual_cndmask_b32 v43, v12, v1, s2 :: v_dual_cndmask_b32 v42, v14, v8, s2
                                        ; implicit-def: $vgpr36_vgpr37
                                        ; implicit-def: $vgpr10_vgpr11
	s_mov_b32 s3, exec_lo
	s_delay_alu instid0(VALU_DEP_1)
	v_cmpx_neq_f64_e32 1.0, v[42:43]
	s_xor_b32 s46, exec_lo, s3
	s_cbranch_execz .LBB191_91
; %bb.76:                               ;   in Loop: Header=BB191_5 Depth=1
	v_max_num_f64_e32 v[10:11], v[40:41], v[40:41]
	v_max_num_f64_e32 v[36:37], v[42:43], v[42:43]
	s_delay_alu instid0(VALU_DEP_1) | instskip(SKIP_1) | instid1(VALU_DEP_2)
	v_min_num_f64_e32 v[38:39], v[36:37], v[10:11]
	v_max_num_f64_e32 v[10:11], v[36:37], v[10:11]
                                        ; implicit-def: $vgpr36_vgpr37
	v_cmp_ngt_f64_e32 vcc_lo, s[22:23], v[38:39]
	s_delay_alu instid0(VALU_DEP_2) | instskip(SKIP_1) | instid1(SALU_CYCLE_1)
	v_cmp_nlt_f64_e64 s3, s[24:25], v[10:11]
                                        ; implicit-def: $vgpr10_vgpr11
	s_and_b32 s3, s3, vcc_lo
	s_and_saveexec_b32 s4, s3
	s_delay_alu instid0(SALU_CYCLE_1)
	s_xor_b32 s47, exec_lo, s4
	s_cbranch_execz .LBB191_88
; %bb.77:                               ;   in Loop: Header=BB191_5 Depth=1
                                        ; implicit-def: $vgpr36_vgpr37
                                        ; implicit-def: $vgpr10_vgpr11
	s_mov_b32 s3, exec_lo
	v_cmpx_le_f64_e32 1.0, v[42:43]
	s_xor_b32 s6, exec_lo, s3
	s_cbranch_execz .LBB191_79
; %bb.78:                               ;   in Loop: Header=BB191_5 Depth=1
	v_add_f64_e32 v[10:11], -1.0, v[42:43]
	v_cmp_eq_f64_e64 s3, 0, v[16:17]
	v_add_f64_e32 v[36:37], 1.0, v[42:43]
	v_cmp_class_f64_e64 s7, v[16:17], 0x204
	v_cmp_class_f64_e64 s8, v[14:15], 0x204
	s_delay_alu instid0(VALU_DEP_3) | instskip(NEXT) | instid1(VALU_DEP_1)
	v_mul_f64_e32 v[38:39], v[10:11], v[36:37]
	v_fmac_f64_e32 v[38:39], v[40:41], v[40:41]
	s_delay_alu instid0(VALU_DEP_1) | instskip(SKIP_2) | instid1(VALU_DEP_3)
	v_add_f64_e32 v[10:11], 1.0, v[38:39]
	v_cmp_neq_f64_e64 s5, 0x7ff00000, v[38:39]
	v_cmp_nge_f64_e64 s4, -1.0, v[38:39]
	v_frexp_mant_f64_e32 v[36:37], v[10:11]
	v_frexp_exp_i32_f64_e32 v1, v[10:11]
	v_add_f64_e32 v[40:41], -1.0, v[10:11]
	s_delay_alu instid0(VALU_DEP_3) | instskip(NEXT) | instid1(VALU_DEP_2)
	v_cmp_gt_f64_e32 vcc_lo, s[26:27], v[36:37]
	v_add_f64_e64 v[36:37], v[40:41], -v[10:11]
	v_add_f64_e64 v[40:41], v[38:39], -v[40:41]
	v_subrev_co_ci_u32_e64 v1, null, 0, v1, vcc_lo
	s_delay_alu instid0(VALU_DEP_3) | instskip(NEXT) | instid1(VALU_DEP_2)
	v_add_f64_e32 v[36:37], 1.0, v[36:37]
	v_sub_nc_u32_e32 v8, 0, v1
	s_delay_alu instid0(VALU_DEP_1) | instskip(NEXT) | instid1(VALU_DEP_3)
	v_ldexp_f64 v[10:11], v[10:11], v8
	v_add_f64_e32 v[36:37], v[40:41], v[36:37]
	s_delay_alu instid0(VALU_DEP_2) | instskip(SKIP_1) | instid1(VALU_DEP_3)
	v_add_f64_e32 v[42:43], 1.0, v[10:11]
	v_add_f64_e32 v[48:49], -1.0, v[10:11]
	v_ldexp_f64 v[36:37], v[36:37], v8
	s_delay_alu instid0(VALU_DEP_3) | instskip(NEXT) | instid1(VALU_DEP_3)
	v_add_f64_e32 v[40:41], -1.0, v[42:43]
	v_add_f64_e32 v[50:51], 1.0, v[48:49]
	s_delay_alu instid0(VALU_DEP_2) | instskip(NEXT) | instid1(VALU_DEP_2)
	v_add_f64_e64 v[40:41], v[10:11], -v[40:41]
	v_add_f64_e64 v[10:11], v[10:11], -v[50:51]
	s_delay_alu instid0(VALU_DEP_2) | instskip(NEXT) | instid1(VALU_DEP_2)
	v_add_f64_e32 v[40:41], v[36:37], v[40:41]
	v_add_f64_e32 v[10:11], v[36:37], v[10:11]
	s_delay_alu instid0(VALU_DEP_2) | instskip(NEXT) | instid1(VALU_DEP_2)
	v_add_f64_e32 v[44:45], v[42:43], v[40:41]
	v_add_f64_e32 v[50:51], v[48:49], v[10:11]
	s_delay_alu instid0(VALU_DEP_2) | instskip(SKIP_1) | instid1(VALU_DEP_2)
	v_rcp_f64_e32 v[46:47], v[44:45]
	v_add_f64_e64 v[42:43], v[44:45], -v[42:43]
	v_add_f64_e64 v[48:49], v[50:51], -v[48:49]
	s_delay_alu instid0(VALU_DEP_2) | instskip(NEXT) | instid1(VALU_DEP_2)
	v_add_f64_e64 v[40:41], v[40:41], -v[42:43]
	v_add_f64_e64 v[10:11], v[10:11], -v[48:49]
	s_delay_alu instid0(TRANS32_DEP_1) | instskip(NEXT) | instid1(VALU_DEP_1)
	v_fma_f64 v[52:53], -v[44:45], v[46:47], 1.0
	v_fmac_f64_e32 v[46:47], v[52:53], v[46:47]
	s_delay_alu instid0(VALU_DEP_1) | instskip(NEXT) | instid1(VALU_DEP_1)
	v_fma_f64 v[36:37], -v[44:45], v[46:47], 1.0
	v_fmac_f64_e32 v[46:47], v[36:37], v[46:47]
	s_delay_alu instid0(VALU_DEP_1) | instskip(NEXT) | instid1(VALU_DEP_1)
	v_mul_f64_e32 v[36:37], v[50:51], v[46:47]
	v_mul_f64_e32 v[52:53], v[44:45], v[36:37]
	s_delay_alu instid0(VALU_DEP_1) | instskip(NEXT) | instid1(VALU_DEP_1)
	v_fma_f64 v[42:43], v[36:37], v[44:45], -v[52:53]
	v_fmac_f64_e32 v[42:43], v[36:37], v[40:41]
	s_delay_alu instid0(VALU_DEP_1) | instskip(NEXT) | instid1(VALU_DEP_1)
	v_add_f64_e32 v[54:55], v[52:53], v[42:43]
	v_add_f64_e64 v[56:57], v[50:51], -v[54:55]
	v_add_f64_e64 v[48:49], v[54:55], -v[52:53]
	s_delay_alu instid0(VALU_DEP_2) | instskip(NEXT) | instid1(VALU_DEP_2)
	v_add_f64_e64 v[50:51], v[50:51], -v[56:57]
	v_add_f64_e64 v[42:43], v[48:49], -v[42:43]
	s_delay_alu instid0(VALU_DEP_2) | instskip(NEXT) | instid1(VALU_DEP_1)
	v_add_f64_e64 v[50:51], v[50:51], -v[54:55]
	v_add_f64_e32 v[10:11], v[10:11], v[50:51]
	s_delay_alu instid0(VALU_DEP_1) | instskip(NEXT) | instid1(VALU_DEP_1)
	v_add_f64_e32 v[10:11], v[42:43], v[10:11]
	v_add_f64_e32 v[42:43], v[56:57], v[10:11]
	s_delay_alu instid0(VALU_DEP_1) | instskip(SKIP_1) | instid1(VALU_DEP_2)
	v_mul_f64_e32 v[48:49], v[46:47], v[42:43]
	v_add_f64_e64 v[54:55], v[56:57], -v[42:43]
	v_mul_f64_e32 v[50:51], v[44:45], v[48:49]
	s_delay_alu instid0(VALU_DEP_2) | instskip(NEXT) | instid1(VALU_DEP_2)
	v_add_f64_e32 v[10:11], v[10:11], v[54:55]
	v_fma_f64 v[44:45], v[48:49], v[44:45], -v[50:51]
	s_delay_alu instid0(VALU_DEP_1) | instskip(NEXT) | instid1(VALU_DEP_1)
	v_fmac_f64_e32 v[44:45], v[48:49], v[40:41]
	v_add_f64_e32 v[40:41], v[50:51], v[44:45]
	s_delay_alu instid0(VALU_DEP_1) | instskip(SKIP_1) | instid1(VALU_DEP_2)
	v_add_f64_e64 v[52:53], v[42:43], -v[40:41]
	v_add_f64_e64 v[50:51], v[40:41], -v[50:51]
	;; [unrolled: 1-line block ×3, first 2 shown]
	s_delay_alu instid0(VALU_DEP_1) | instskip(NEXT) | instid1(VALU_DEP_3)
	v_add_f64_e64 v[40:41], v[42:43], -v[40:41]
	v_add_f64_e64 v[42:43], v[50:51], -v[44:45]
	v_max_num_f64_e64 v[44:45], |v[14:15]|, |v[14:15]|
	s_delay_alu instid0(VALU_DEP_3) | instskip(SKIP_1) | instid1(VALU_DEP_2)
	v_add_f64_e32 v[10:11], v[10:11], v[40:41]
	v_add_f64_e32 v[40:41], v[36:37], v[48:49]
	;; [unrolled: 1-line block ×3, first 2 shown]
	s_delay_alu instid0(VALU_DEP_2) | instskip(SKIP_1) | instid1(VALU_DEP_3)
	v_add_f64_e64 v[36:37], v[40:41], -v[36:37]
	v_max_num_f64_e64 v[42:43], |v[16:17]|, |v[16:17]|
	v_add_f64_e32 v[10:11], v[52:53], v[10:11]
	s_delay_alu instid0(VALU_DEP_3) | instskip(NEXT) | instid1(VALU_DEP_2)
	v_add_f64_e64 v[36:37], v[48:49], -v[36:37]
	v_mul_f64_e32 v[10:11], v[46:47], v[10:11]
	s_delay_alu instid0(VALU_DEP_1) | instskip(SKIP_2) | instid1(VALU_DEP_3)
	v_add_f64_e32 v[10:11], v[36:37], v[10:11]
	v_max_num_f64_e32 v[36:37], v[44:45], v[42:43]
	v_min_num_f64_e32 v[42:43], v[44:45], v[42:43]
	v_add_f64_e32 v[44:45], v[40:41], v[10:11]
	s_delay_alu instid0(VALU_DEP_2) | instskip(NEXT) | instid1(VALU_DEP_2)
	v_div_scale_f64 v[46:47], null, v[36:37], v[36:37], v[42:43]
	v_mul_f64_e32 v[48:49], v[44:45], v[44:45]
	v_add_f64_e64 v[40:41], v[44:45], -v[40:41]
	s_delay_alu instid0(VALU_DEP_3) | instskip(NEXT) | instid1(VALU_DEP_2)
	v_rcp_f64_e32 v[50:51], v[46:47]
	v_fmamk_f64 v[52:53], v[48:49], 0x3fc3ab76bf559e2b, v[22:23]
	v_mul_f64_e32 v[54:55], v[44:45], v[48:49]
	s_delay_alu instid0(VALU_DEP_3) | instskip(NEXT) | instid1(VALU_DEP_3)
	v_add_f64_e64 v[10:11], v[10:11], -v[40:41]
	v_fmaak_f64 v[52:53], v[48:49], v[52:53], 0x3fc7474dd7f4df2e
	s_delay_alu instid0(TRANS32_DEP_1) | instskip(NEXT) | instid1(VALU_DEP_2)
	v_fma_f64 v[56:57], -v[46:47], v[50:51], 1.0
	v_fmaak_f64 v[52:53], v[48:49], v[52:53], 0x3fcc71c016291751
	s_delay_alu instid0(VALU_DEP_1) | instskip(NEXT) | instid1(VALU_DEP_1)
	v_fmaak_f64 v[52:53], v[48:49], v[52:53], 0x3fd249249b27acf1
	v_fmaak_f64 v[52:53], v[48:49], v[52:53], 0x3fd99999998ef7b6
	v_ldexp_f64 v[10:11], v[10:11], 1
	s_delay_alu instid0(VALU_DEP_2) | instskip(SKIP_2) | instid1(VALU_DEP_3)
	v_fmaak_f64 v[48:49], v[48:49], v[52:53], 0x3fe5555555555780
	v_ldexp_f64 v[52:53], v[44:45], 1
	v_fmac_f64_e32 v[50:51], v[50:51], v[56:57]
	v_mul_f64_e32 v[48:49], v[54:55], v[48:49]
	v_cvt_f64_i32_e32 v[54:55], v1
	v_ashrrev_i32_e32 v1, 31, v15
	s_delay_alu instid0(VALU_DEP_1) | instskip(SKIP_4) | instid1(VALU_DEP_3)
	v_and_b32_e32 v12, 0x54442d18, v1
	v_and_b32_e32 v1, 0x400921fb, v1
	v_fma_f64 v[56:57], -v[46:47], v[50:51], 1.0
	v_add_f64_e32 v[44:45], v[52:53], v[48:49]
	v_mul_f64_e32 v[58:59], 0x3fe62e42fefa39ef, v[54:55]
	v_fmac_f64_e32 v[50:51], v[50:51], v[56:57]
	s_delay_alu instid0(VALU_DEP_3) | instskip(SKIP_1) | instid1(VALU_DEP_4)
	v_add_f64_e64 v[40:41], v[44:45], -v[52:53]
	v_div_scale_f64 v[52:53], vcc_lo, v[42:43], v[36:37], v[42:43]
	v_fma_f64 v[56:57], v[54:55], s[28:29], -v[58:59]
	s_delay_alu instid0(VALU_DEP_3) | instskip(NEXT) | instid1(VALU_DEP_3)
	v_add_f64_e64 v[40:41], v[48:49], -v[40:41]
	v_mul_f64_e32 v[48:49], v[52:53], v[50:51]
	s_delay_alu instid0(VALU_DEP_3) | instskip(NEXT) | instid1(VALU_DEP_3)
	v_fmac_f64_e32 v[56:57], 0x3c7abc9e3b39803f, v[54:55]
	v_add_f64_e32 v[10:11], v[10:11], v[40:41]
	s_delay_alu instid0(VALU_DEP_3) | instskip(NEXT) | instid1(VALU_DEP_3)
	v_fma_f64 v[40:41], -v[46:47], v[48:49], v[52:53]
	v_add_f64_e32 v[46:47], v[58:59], v[56:57]
	s_delay_alu instid0(VALU_DEP_3) | instskip(NEXT) | instid1(VALU_DEP_3)
	v_add_f64_e32 v[52:53], v[44:45], v[10:11]
	v_div_fmas_f64 v[40:41], v[40:41], v[50:51], v[48:49]
	v_cmp_gt_i32_e32 vcc_lo, 0, v15
	s_delay_alu instid0(VALU_DEP_4)
	v_add_f64_e64 v[50:51], v[46:47], -v[58:59]
	v_cndmask_b32_e32 v8, 0x54442d18, v62, vcc_lo
	v_add_f64_e32 v[48:49], v[46:47], v[52:53]
	v_div_fixup_f64 v[36:37], v[40:41], v[36:37], v[42:43]
	v_add_f64_e64 v[44:45], v[52:53], -v[44:45]
	v_add_f64_e64 v[50:51], v[56:57], -v[50:51]
	s_delay_alu instid0(VALU_DEP_4) | instskip(NEXT) | instid1(VALU_DEP_4)
	v_add_f64_e64 v[40:41], v[48:49], -v[46:47]
	v_mul_f64_e32 v[42:43], v[36:37], v[36:37]
	s_delay_alu instid0(VALU_DEP_4) | instskip(NEXT) | instid1(VALU_DEP_3)
	v_add_f64_e64 v[10:11], v[10:11], -v[44:45]
	v_add_f64_e64 v[54:55], v[48:49], -v[40:41]
	s_delay_alu instid0(VALU_DEP_3) | instskip(SKIP_1) | instid1(VALU_DEP_4)
	v_fmamk_f64 v[58:59], v[42:43], 0x3eeba404b5e68a13, v[24:25]
	v_add_f64_e64 v[40:41], v[52:53], -v[40:41]
	v_add_f64_e32 v[52:53], v[50:51], v[10:11]
	s_delay_alu instid0(VALU_DEP_3) | instskip(SKIP_1) | instid1(VALU_DEP_2)
	v_fmaak_f64 v[58:59], v[42:43], v[58:59], 0x3f4b2bb069efb384
	v_add_f64_e64 v[44:45], v[46:47], -v[54:55]
	v_fmaak_f64 v[46:47], v[42:43], v[58:59], 0xbf67952daf56de9b
	s_delay_alu instid0(VALU_DEP_1) | instskip(NEXT) | instid1(VALU_DEP_1)
	v_fmaak_f64 v[46:47], v[42:43], v[46:47], 0x3f7d6d43a595c56f
	v_fmaak_f64 v[46:47], v[42:43], v[46:47], 0xbf8c6ea4a57d9582
	s_delay_alu instid0(VALU_DEP_1) | instskip(NEXT) | instid1(VALU_DEP_1)
	v_fmaak_f64 v[46:47], v[42:43], v[46:47], 0x3f967e295f08b19f
	v_fmaak_f64 v[46:47], v[42:43], v[46:47], 0xbf9e9ae6fc27006a
	v_add_f64_e32 v[40:41], v[40:41], v[44:45]
	s_delay_alu instid0(VALU_DEP_2) | instskip(SKIP_1) | instid1(VALU_DEP_2)
	v_fmaak_f64 v[44:45], v[42:43], v[46:47], 0x3fa2c15b5711927a
	v_add_f64_e64 v[46:47], v[52:53], -v[50:51]
	v_fmaak_f64 v[44:45], v[42:43], v[44:45], 0xbfa59976e82d3ff0
	s_delay_alu instid0(VALU_DEP_1) | instskip(NEXT) | instid1(VALU_DEP_1)
	v_fmaak_f64 v[44:45], v[42:43], v[44:45], 0x3fa82d5d6ef28734
	v_fmaak_f64 v[44:45], v[42:43], v[44:45], 0xbfaae5ce6a214619
	s_delay_alu instid0(VALU_DEP_1) | instskip(SKIP_3) | instid1(VALU_DEP_4)
	v_fmaak_f64 v[44:45], v[42:43], v[44:45], 0x3fae1bb48427b883
	v_add_f64_e32 v[40:41], v[52:53], v[40:41]
	v_add_f64_e64 v[52:53], v[52:53], -v[46:47]
	v_add_f64_e64 v[10:11], v[10:11], -v[46:47]
	v_fmaak_f64 v[44:45], v[42:43], v[44:45], 0xbfb110e48b207f05
	s_delay_alu instid0(VALU_DEP_1) | instskip(NEXT) | instid1(VALU_DEP_1)
	v_fmaak_f64 v[44:45], v[42:43], v[44:45], 0x3fb3b13657b87036
	v_fmaak_f64 v[44:45], v[42:43], v[44:45], 0xbfb745d119378e4f
	s_delay_alu instid0(VALU_DEP_1) | instskip(SKIP_1) | instid1(VALU_DEP_2)
	v_fmaak_f64 v[44:45], v[42:43], v[44:45], 0x3fbc71c717e1913c
	v_add_f64_e32 v[54:55], v[48:49], v[40:41]
	v_fmaak_f64 v[44:45], v[42:43], v[44:45], 0xbfc2492492376b7d
	s_delay_alu instid0(VALU_DEP_1) | instskip(NEXT) | instid1(VALU_DEP_1)
	v_fmaak_f64 v[44:45], v[42:43], v[44:45], 0x3fc99999999952cc
	v_fmaak_f64 v[44:45], v[42:43], v[44:45], 0xbfd5555555555523
	s_delay_alu instid0(VALU_DEP_1) | instskip(SKIP_2) | instid1(VALU_DEP_3)
	v_mul_f64_e32 v[42:43], v[42:43], v[44:45]
	v_add_f64_e64 v[44:45], v[50:51], -v[52:53]
	v_add_f64_e64 v[46:47], v[54:55], -v[48:49]
	v_fmac_f64_e32 v[36:37], v[36:37], v[42:43]
	s_delay_alu instid0(VALU_DEP_3) | instskip(NEXT) | instid1(VALU_DEP_3)
	v_add_f64_e32 v[10:11], v[10:11], v[44:45]
	v_add_f64_e64 v[40:41], v[40:41], -v[46:47]
	s_delay_alu instid0(VALU_DEP_3) | instskip(NEXT) | instid1(VALU_DEP_1)
	v_add_f64_e64 v[42:43], -v[36:37], s[30:31]
	v_dual_add_f64 v[10:11], v[10:11], v[40:41] :: v_dual_cndmask_b32 v37, v37, v43, s2
	s_delay_alu instid0(VALU_DEP_2) | instskip(NEXT) | instid1(VALU_DEP_1)
	v_cndmask_b32_e64 v36, v36, v42, s2
                                        ; implicit-def: $vgpr42_vgpr43
	v_add_f64_e64 v[40:41], -v[36:37], s[34:35]
	s_delay_alu instid0(VALU_DEP_1) | instskip(SKIP_1) | instid1(VALU_DEP_2)
	v_dual_add_f64 v[10:11], v[54:55], v[10:11] :: v_dual_cndmask_b32 v21, v36, v40, vcc_lo
	v_cndmask_b32_e32 v36, 0x3fe921fb, v63, vcc_lo
	v_dual_mul_f64 v[10:11], 0.5, v[10:11] :: v_dual_cndmask_b32 v37, v37, v41, vcc_lo
	v_cmp_ngt_f64_e32 vcc_lo, -1.0, v[38:39]
	s_delay_alu instid0(VALU_DEP_4) | instskip(NEXT) | instid1(VALU_DEP_4)
	v_cndmask_b32_e64 v12, v21, v12, s3
	v_bfi_b32 v36, 0x7fffffff, v36, v17
	s_delay_alu instid0(VALU_DEP_4) | instskip(SKIP_2) | instid1(VALU_DEP_1)
	v_cndmask_b32_e64 v1, v37, v1, s3
	s_and_b32 s3, s4, s5
                                        ; implicit-def: $vgpr40_vgpr41
	v_cndmask_b32_e64 v11, 0x7ff00000, v11, s5
	v_cndmask_b32_e32 v21, 0x7ff80000, v11, vcc_lo
	s_and_b32 vcc_lo, s8, s7
	s_delay_alu instid0(SALU_CYCLE_1) | instskip(SKIP_2) | instid1(VALU_DEP_2)
	v_dual_cndmask_b32 v11, v1, v36, vcc_lo :: v_dual_cndmask_b32 v36, 0, v10, s3
	v_cmp_neq_f64_e64 s3, -1.0, v[38:39]
	v_cndmask_b32_e32 v10, v12, v8, vcc_lo
	v_cndmask_b32_e64 v37, 0xfff00000, v21, s3
.LBB191_79:                             ;   in Loop: Header=BB191_5 Depth=1
	s_and_not1_saveexec_b32 s48, s6
	s_cbranch_execz .LBB191_87
; %bb.80:                               ;   in Loop: Header=BB191_5 Depth=1
	v_mul_f64_e32 v[38:39], v[40:41], v[40:41]
                                        ; implicit-def: $vgpr36_vgpr37
                                        ; implicit-def: $vgpr10_vgpr11
	s_mov_b32 s3, exec_lo
	s_delay_alu instid0(VALU_DEP_1) | instskip(NEXT) | instid1(VALU_DEP_1)
	v_fmac_f64_e32 v[38:39], v[42:43], v[42:43]
	v_cmpx_ge_f64_e32 s[36:37], v[38:39]
	s_xor_b32 s5, exec_lo, s3
	s_cbranch_execz .LBB191_82
; %bb.81:                               ;   in Loop: Header=BB191_5 Depth=1
	v_frexp_mant_f64_e32 v[10:11], v[38:39]
	v_cmp_eq_f64_e64 s3, 0, v[16:17]
	v_cmp_neq_f64_e64 s4, 0, v[38:39]
	v_cmp_class_f64_e64 s6, v[16:17], 0x204
	v_cmp_class_f64_e64 s7, v[14:15], 0x204
	v_cmp_gt_f64_e32 vcc_lo, s[26:27], v[10:11]
	v_cndmask_b32_e64 v1, 0, 1, vcc_lo
	s_delay_alu instid0(VALU_DEP_1) | instskip(SKIP_1) | instid1(VALU_DEP_2)
	v_ldexp_f64 v[10:11], v[10:11], v1
	v_frexp_exp_i32_f64_e32 v1, v[38:39]
	v_add_f64_e32 v[36:37], 1.0, v[10:11]
	v_add_f64_e32 v[44:45], -1.0, v[10:11]
	s_delay_alu instid0(VALU_DEP_3) | instskip(NEXT) | instid1(VALU_DEP_3)
	v_subrev_co_ci_u32_e64 v1, null, 0, v1, vcc_lo
	v_rcp_f64_e32 v[40:41], v[36:37]
	v_add_f64_e32 v[46:47], -1.0, v[36:37]
	s_delay_alu instid0(VALU_DEP_1) | instskip(NEXT) | instid1(TRANS32_DEP_1)
	v_add_f64_e64 v[10:11], v[10:11], -v[46:47]
	v_fma_f64 v[42:43], -v[36:37], v[40:41], 1.0
	s_delay_alu instid0(VALU_DEP_1) | instskip(NEXT) | instid1(VALU_DEP_1)
	v_fmac_f64_e32 v[40:41], v[42:43], v[40:41]
	v_fma_f64 v[42:43], -v[36:37], v[40:41], 1.0
	s_delay_alu instid0(VALU_DEP_1) | instskip(NEXT) | instid1(VALU_DEP_1)
	v_fmac_f64_e32 v[40:41], v[42:43], v[40:41]
	v_mul_f64_e32 v[42:43], v[44:45], v[40:41]
	s_delay_alu instid0(VALU_DEP_1) | instskip(NEXT) | instid1(VALU_DEP_1)
	v_mul_f64_e32 v[48:49], v[36:37], v[42:43]
	v_fma_f64 v[36:37], v[42:43], v[36:37], -v[48:49]
	s_delay_alu instid0(VALU_DEP_1) | instskip(NEXT) | instid1(VALU_DEP_1)
	v_fmac_f64_e32 v[36:37], v[42:43], v[10:11]
	v_add_f64_e32 v[10:11], v[48:49], v[36:37]
	s_delay_alu instid0(VALU_DEP_1) | instskip(SKIP_1) | instid1(VALU_DEP_2)
	v_add_f64_e64 v[46:47], v[44:45], -v[10:11]
	v_add_f64_e64 v[48:49], v[10:11], -v[48:49]
	;; [unrolled: 1-line block ×3, first 2 shown]
	s_delay_alu instid0(VALU_DEP_2) | instskip(NEXT) | instid1(VALU_DEP_2)
	v_add_f64_e64 v[36:37], v[48:49], -v[36:37]
	v_add_f64_e64 v[10:11], v[44:45], -v[10:11]
	v_max_num_f64_e64 v[44:45], |v[14:15]|, |v[14:15]|
	s_delay_alu instid0(VALU_DEP_2) | instskip(SKIP_1) | instid1(VALU_DEP_2)
	v_add_f64_e32 v[10:11], v[36:37], v[10:11]
	v_max_num_f64_e64 v[36:37], |v[16:17]|, |v[16:17]|
	v_add_f64_e32 v[10:11], v[46:47], v[10:11]
	s_delay_alu instid0(VALU_DEP_1) | instskip(NEXT) | instid1(VALU_DEP_3)
	v_mul_f64_e32 v[10:11], v[40:41], v[10:11]
	v_max_num_f64_e32 v[40:41], v[44:45], v[36:37]
	v_min_num_f64_e32 v[36:37], v[44:45], v[36:37]
	s_delay_alu instid0(VALU_DEP_3) | instskip(NEXT) | instid1(VALU_DEP_2)
	v_add_f64_e32 v[44:45], v[42:43], v[10:11]
	v_div_scale_f64 v[46:47], null, v[40:41], v[40:41], v[36:37]
	s_delay_alu instid0(VALU_DEP_2) | instskip(NEXT) | instid1(VALU_DEP_2)
	v_mul_f64_e32 v[48:49], v[44:45], v[44:45]
	v_rcp_f64_e32 v[50:51], v[46:47]
	s_delay_alu instid0(VALU_DEP_1) | instskip(SKIP_1) | instid1(VALU_DEP_2)
	v_fmamk_f64 v[52:53], v[48:49], 0x3fc3ab76bf559e2b, v[22:23]
	v_mul_f64_e32 v[54:55], v[44:45], v[48:49]
	v_fmaak_f64 v[52:53], v[48:49], v[52:53], 0x3fc7474dd7f4df2e
	s_delay_alu instid0(TRANS32_DEP_1) | instskip(NEXT) | instid1(VALU_DEP_2)
	v_fma_f64 v[56:57], -v[46:47], v[50:51], 1.0
	v_fmaak_f64 v[52:53], v[48:49], v[52:53], 0x3fcc71c016291751
	s_delay_alu instid0(VALU_DEP_1) | instskip(NEXT) | instid1(VALU_DEP_1)
	v_fmaak_f64 v[52:53], v[48:49], v[52:53], 0x3fd249249b27acf1
	v_fmaak_f64 v[52:53], v[48:49], v[52:53], 0x3fd99999998ef7b6
	s_delay_alu instid0(VALU_DEP_1) | instskip(SKIP_2) | instid1(VALU_DEP_3)
	v_fmaak_f64 v[48:49], v[48:49], v[52:53], 0x3fe5555555555780
	v_ldexp_f64 v[52:53], v[44:45], 1
	v_fmac_f64_e32 v[50:51], v[50:51], v[56:57]
	v_mul_f64_e32 v[48:49], v[54:55], v[48:49]
	v_cvt_f64_i32_e32 v[54:55], v1
	v_ashrrev_i32_e32 v1, 31, v15
	v_add_f64_e64 v[42:43], v[44:45], -v[42:43]
	s_delay_alu instid0(VALU_DEP_2)
	v_and_b32_e32 v12, 0x54442d18, v1
	v_and_b32_e32 v1, 0x400921fb, v1
	v_fma_f64 v[56:57], -v[46:47], v[50:51], 1.0
	v_add_f64_e32 v[44:45], v[52:53], v[48:49]
	v_mul_f64_e32 v[58:59], 0x3fe62e42fefa39ef, v[54:55]
	v_add_f64_e64 v[10:11], v[10:11], -v[42:43]
	s_delay_alu instid0(VALU_DEP_4) | instskip(NEXT) | instid1(VALU_DEP_4)
	v_fmac_f64_e32 v[50:51], v[50:51], v[56:57]
	v_add_f64_e64 v[42:43], v[44:45], -v[52:53]
	v_div_scale_f64 v[52:53], vcc_lo, v[36:37], v[40:41], v[36:37]
	v_fma_f64 v[56:57], v[54:55], s[28:29], -v[58:59]
	v_ldexp_f64 v[10:11], v[10:11], 1
	s_delay_alu instid0(VALU_DEP_4) | instskip(NEXT) | instid1(VALU_DEP_4)
	v_add_f64_e64 v[42:43], v[48:49], -v[42:43]
	v_mul_f64_e32 v[48:49], v[52:53], v[50:51]
	s_delay_alu instid0(VALU_DEP_4) | instskip(NEXT) | instid1(VALU_DEP_3)
	v_fmac_f64_e32 v[56:57], 0x3c7abc9e3b39803f, v[54:55]
	v_add_f64_e32 v[10:11], v[10:11], v[42:43]
	s_delay_alu instid0(VALU_DEP_3) | instskip(NEXT) | instid1(VALU_DEP_3)
	v_fma_f64 v[42:43], -v[46:47], v[48:49], v[52:53]
	v_add_f64_e32 v[46:47], v[58:59], v[56:57]
	s_delay_alu instid0(VALU_DEP_3) | instskip(NEXT) | instid1(VALU_DEP_3)
	v_add_f64_e32 v[52:53], v[44:45], v[10:11]
	v_div_fmas_f64 v[42:43], v[42:43], v[50:51], v[48:49]
	v_cmp_gt_i32_e32 vcc_lo, 0, v15
	v_cndmask_b32_e32 v8, 0x54442d18, v62, vcc_lo
	v_add_f64_e64 v[50:51], v[46:47], -v[58:59]
	v_add_f64_e32 v[48:49], v[46:47], v[52:53]
	v_div_fixup_f64 v[36:37], v[42:43], v[40:41], v[36:37]
	v_add_f64_e64 v[44:45], v[52:53], -v[44:45]
	s_delay_alu instid0(VALU_DEP_4) | instskip(NEXT) | instid1(VALU_DEP_4)
	v_add_f64_e64 v[50:51], v[56:57], -v[50:51]
	v_add_f64_e64 v[40:41], v[48:49], -v[46:47]
	s_delay_alu instid0(VALU_DEP_4) | instskip(NEXT) | instid1(VALU_DEP_4)
	v_mul_f64_e32 v[42:43], v[36:37], v[36:37]
	v_add_f64_e64 v[10:11], v[10:11], -v[44:45]
	s_delay_alu instid0(VALU_DEP_3) | instskip(NEXT) | instid1(VALU_DEP_3)
	v_add_f64_e64 v[54:55], v[48:49], -v[40:41]
	v_fmamk_f64 v[58:59], v[42:43], 0x3eeba404b5e68a13, v[24:25]
	v_add_f64_e64 v[40:41], v[52:53], -v[40:41]
	s_delay_alu instid0(VALU_DEP_4) | instskip(NEXT) | instid1(VALU_DEP_3)
	v_add_f64_e32 v[52:53], v[50:51], v[10:11]
	v_fmaak_f64 v[58:59], v[42:43], v[58:59], 0x3f4b2bb069efb384
	s_delay_alu instid0(VALU_DEP_1) | instskip(SKIP_1) | instid1(VALU_DEP_2)
	v_fmaak_f64 v[58:59], v[42:43], v[58:59], 0xbf67952daf56de9b
	v_add_f64_e64 v[44:45], v[46:47], -v[54:55]
	v_fmaak_f64 v[46:47], v[42:43], v[58:59], 0x3f7d6d43a595c56f
	s_delay_alu instid0(VALU_DEP_1) | instskip(NEXT) | instid1(VALU_DEP_1)
	v_fmaak_f64 v[46:47], v[42:43], v[46:47], 0xbf8c6ea4a57d9582
	v_fmaak_f64 v[46:47], v[42:43], v[46:47], 0x3f967e295f08b19f
	s_delay_alu instid0(VALU_DEP_1) | instskip(NEXT) | instid1(VALU_DEP_1)
	v_fmaak_f64 v[46:47], v[42:43], v[46:47], 0xbf9e9ae6fc27006a
	v_fmaak_f64 v[46:47], v[42:43], v[46:47], 0x3fa2c15b5711927a
	v_add_f64_e32 v[40:41], v[40:41], v[44:45]
	s_delay_alu instid0(VALU_DEP_2) | instskip(SKIP_1) | instid1(VALU_DEP_2)
	v_fmaak_f64 v[44:45], v[42:43], v[46:47], 0xbfa59976e82d3ff0
	v_add_f64_e64 v[46:47], v[52:53], -v[50:51]
	v_fmaak_f64 v[44:45], v[42:43], v[44:45], 0x3fa82d5d6ef28734
	s_delay_alu instid0(VALU_DEP_1) | instskip(NEXT) | instid1(VALU_DEP_1)
	v_fmaak_f64 v[44:45], v[42:43], v[44:45], 0xbfaae5ce6a214619
	v_fmaak_f64 v[44:45], v[42:43], v[44:45], 0x3fae1bb48427b883
	s_delay_alu instid0(VALU_DEP_1) | instskip(SKIP_3) | instid1(VALU_DEP_4)
	v_fmaak_f64 v[44:45], v[42:43], v[44:45], 0xbfb110e48b207f05
	v_add_f64_e32 v[40:41], v[52:53], v[40:41]
	v_add_f64_e64 v[52:53], v[52:53], -v[46:47]
	v_add_f64_e64 v[10:11], v[10:11], -v[46:47]
	v_fmaak_f64 v[44:45], v[42:43], v[44:45], 0x3fb3b13657b87036
	s_delay_alu instid0(VALU_DEP_1) | instskip(NEXT) | instid1(VALU_DEP_1)
	v_fmaak_f64 v[44:45], v[42:43], v[44:45], 0xbfb745d119378e4f
	v_fmaak_f64 v[44:45], v[42:43], v[44:45], 0x3fbc71c717e1913c
	s_delay_alu instid0(VALU_DEP_1) | instskip(SKIP_1) | instid1(VALU_DEP_2)
	v_fmaak_f64 v[44:45], v[42:43], v[44:45], 0xbfc2492492376b7d
	v_add_f64_e32 v[54:55], v[48:49], v[40:41]
	v_fmaak_f64 v[44:45], v[42:43], v[44:45], 0x3fc99999999952cc
	s_delay_alu instid0(VALU_DEP_1) | instskip(NEXT) | instid1(VALU_DEP_1)
	v_fmaak_f64 v[44:45], v[42:43], v[44:45], 0xbfd5555555555523
	v_mul_f64_e32 v[42:43], v[42:43], v[44:45]
	v_add_f64_e64 v[44:45], v[50:51], -v[52:53]
	v_add_f64_e64 v[46:47], v[54:55], -v[48:49]
	s_delay_alu instid0(VALU_DEP_3) | instskip(NEXT) | instid1(VALU_DEP_3)
	v_fmac_f64_e32 v[36:37], v[36:37], v[42:43]
	v_add_f64_e32 v[10:11], v[10:11], v[44:45]
	s_delay_alu instid0(VALU_DEP_3) | instskip(NEXT) | instid1(VALU_DEP_3)
	v_add_f64_e64 v[40:41], v[40:41], -v[46:47]
	v_add_f64_e64 v[42:43], -v[36:37], s[30:31]
	s_delay_alu instid0(VALU_DEP_1) | instskip(NEXT) | instid1(VALU_DEP_2)
	v_dual_add_f64 v[10:11], v[10:11], v[40:41] :: v_dual_cndmask_b32 v37, v37, v43, s2
	v_cndmask_b32_e64 v36, v36, v42, s2
	s_delay_alu instid0(VALU_DEP_1) | instskip(NEXT) | instid1(VALU_DEP_1)
	v_add_f64_e64 v[40:41], -v[36:37], s[34:35]
	v_dual_add_f64 v[10:11], v[54:55], v[10:11] :: v_dual_cndmask_b32 v21, v36, v40, vcc_lo
	s_delay_alu instid0(VALU_DEP_1) | instskip(SKIP_1) | instid1(VALU_DEP_4)
	v_dual_mul_f64 v[42:43], 0.5, v[10:11] :: v_dual_cndmask_b32 v12, v21, v12, s3
	v_cndmask_b32_e32 v10, 0x3fe921fb, v63, vcc_lo
	v_cndmask_b32_e32 v11, v37, v41, vcc_lo
	s_and_b32 vcc_lo, s7, s6
                                        ; implicit-def: $vgpr40_vgpr41
	s_delay_alu instid0(VALU_DEP_2) | instskip(NEXT) | instid1(VALU_DEP_2)
	v_bfi_b32 v10, 0x7fffffff, v10, v17
	v_cndmask_b32_e64 v1, v11, v1, s3
	s_delay_alu instid0(VALU_DEP_1)
	v_dual_cndmask_b32 v11, v1, v10 :: v_dual_cndmask_b32 v10, v12, v8
	v_cndmask_b32_e64 v37, 0xfff00000, v43, s4
	v_cndmask_b32_e64 v36, 0, v42, s4
                                        ; implicit-def: $vgpr42_vgpr43
.LBB191_82:                             ;   in Loop: Header=BB191_5 Depth=1
	s_and_not1_saveexec_b32 s49, s5
	s_cbranch_execz .LBB191_86
; %bb.83:                               ;   in Loop: Header=BB191_5 Depth=1
	v_and_b32_e32 v21, 0x7ffffff8, v43
	v_and_b32_e32 v37, 0x7ffffff8, v41
	v_mov_b32_e32 v36, v20
	s_mov_b32 s50, 0
	s_delay_alu instid0(VALU_DEP_3) | instskip(SKIP_1) | instid1(VALU_DEP_3)
	v_dual_add_f64 v[10:11], v[42:43], -v[20:21] :: v_dual_mov_b32 v44, v20
	v_mov_b32_e32 v42, v20
	v_add_f64_e64 v[38:39], v[40:41], -v[36:37]
	v_add_f64_e32 v[54:55], v[36:37], v[36:37]
	s_delay_alu instid0(VALU_DEP_4) | instskip(NEXT) | instid1(VALU_DEP_3)
	v_dual_mul_f64 v[40:41], v[36:37], v[36:37] :: v_dual_bitop2_b32 v43, -8, v11 bitop3:0x40
	v_dual_add_f64 v[46:47], v[20:21], v[20:21] :: v_dual_bitop2_b32 v45, -8, v39 bitop3:0x40
	s_delay_alu instid0(VALU_DEP_2) | instskip(SKIP_1) | instid1(VALU_DEP_3)
	v_add_f64_e64 v[56:57], v[10:11], -v[42:43]
	v_add_f64_e32 v[60:61], v[42:43], v[42:43]
	v_add_f64_e64 v[58:59], v[38:39], -v[44:45]
	v_add_f64_e32 v[64:65], v[44:45], v[44:45]
	v_mul_f64_e32 v[10:11], v[20:21], v[20:21]
	v_mul_f64_e32 v[38:39], v[54:55], v[44:45]
	v_mul_f64_e32 v[50:51], v[42:43], v[42:43]
	v_mul_f64_e32 v[36:37], v[44:45], v[44:45]
	v_mul_f64_e32 v[52:53], v[46:47], v[42:43]
	v_mul_f64_e32 v[48:49], v[46:47], v[56:57]
	v_mul_f64_e32 v[44:45], v[60:61], v[56:57]
	v_mul_f64_e32 v[46:47], v[54:55], v[58:59]
	v_mul_f64_e32 v[42:43], v[64:65], v[58:59]
	v_mul_f64_e32 v[54:55], v[56:57], v[56:57]
	v_mul_f64_e32 v[56:57], v[58:59], v[58:59]
.LBB191_84:                             ;   Parent Loop BB191_5 Depth=1
                                        ; =>  This Inner Loop Header: Depth=2
	v_cmp_nlt_f64_e32 vcc_lo, v[10:11], v[40:41]
	v_dual_cndmask_b32 v59, v11, v41 :: v_dual_cndmask_b32 v58, v10, v40
	v_dual_cndmask_b32 v11, v41, v11 :: v_dual_cndmask_b32 v10, v40, v10
	s_delay_alu instid0(VALU_DEP_2) | instskip(NEXT) | instid1(VALU_DEP_1)
	v_cmp_nlt_f64_e64 s3, v[58:59], v[52:53]
	v_dual_cndmask_b32 v61, v59, v53, s3 :: v_dual_cndmask_b32 v60, v58, v52, s3
	v_dual_cndmask_b32 v41, v53, v59, s3 :: v_dual_cndmask_b32 v40, v52, v58, s3
	s_and_b32 s3, vcc_lo, s3
	s_delay_alu instid0(VALU_DEP_2) | instskip(NEXT) | instid1(VALU_DEP_1)
	v_cmp_nlt_f64_e64 s4, v[60:61], v[38:39]
	v_dual_cndmask_b32 v65, v61, v39, s4 :: v_dual_cndmask_b32 v64, v60, v38, s4
	v_dual_cndmask_b32 v53, v39, v61, s4 :: v_dual_cndmask_b32 v52, v38, v60, s4
	s_delay_alu instid0(VALU_DEP_2) | instskip(NEXT) | instid1(VALU_DEP_1)
	v_cmp_nlt_f64_e64 s5, v[64:65], v[50:51]
	v_dual_cndmask_b32 v67, v65, v51, s5 :: v_dual_cndmask_b32 v66, v64, v50, s5
	v_dual_cndmask_b32 v39, v51, v65, s5 :: v_dual_cndmask_b32 v38, v50, v64, s5
	s_and_b32 s4, s4, s5
	s_delay_alu instid0(VALU_DEP_2) | instskip(NEXT) | instid1(VALU_DEP_1)
	v_cmp_nlt_f64_e64 s6, v[66:67], v[36:37]
	v_dual_cndmask_b32 v69, v67, v37, s6 :: v_dual_cndmask_b32 v68, v66, v36, s6
	v_dual_cndmask_b32 v51, v37, v67, s6 :: v_dual_cndmask_b32 v50, v36, v66, s6
	s_delay_alu instid0(VALU_DEP_2) | instskip(NEXT) | instid1(VALU_DEP_1)
	v_cmp_nlt_f64_e64 s7, v[68:69], v[48:49]
	v_dual_cndmask_b32 v71, v69, v49, s7 :: v_dual_cndmask_b32 v70, v68, v48, s7
	s_and_b32 s5, s6, s7
	v_dual_cndmask_b32 v37, v49, v69, s7 :: v_dual_cndmask_b32 v36, v48, v68, s7
	s_delay_alu instid0(VALU_DEP_2) | instskip(NEXT) | instid1(VALU_DEP_1)
	v_cmp_nlt_f64_e64 s8, v[70:71], v[46:47]
	v_dual_cndmask_b32 v73, v71, v47, s8 :: v_dual_cndmask_b32 v72, v70, v46, s8
	s_and_b32 s5, s5, s8
	;; [unrolled: 5-line block ×6, first 2 shown]
	v_dual_cndmask_b32 v55, v57, v79, s12 :: v_dual_cndmask_b32 v54, v56, v78, s12
	s_and_b32 s4, s5, s4
	s_delay_alu instid0(VALU_DEP_2) | instskip(SKIP_1) | instid1(SALU_CYCLE_1)
	v_mov_b64_e32 v[56:57], v[58:59]
	s_and_b32 s3, s4, s3
	s_and_b32 s3, exec_lo, s3
	s_delay_alu instid0(SALU_CYCLE_1) | instskip(NEXT) | instid1(SALU_CYCLE_1)
	s_or_b32 s50, s3, s50
	s_and_not1_b32 exec_lo, exec_lo, s50
	s_cbranch_execnz .LBB191_84
; %bb.85:                               ;   in Loop: Header=BB191_5 Depth=1
	s_or_b32 exec_lo, exec_lo, s50
	v_add_f64_e32 v[10:11], -1.0, v[10:11]
	v_cmp_eq_f64_e64 s3, 0, v[16:17]
	v_cmp_class_f64_e64 s6, v[16:17], 0x204
	v_cmp_class_f64_e64 s7, v[14:15], 0x204
	s_delay_alu instid0(VALU_DEP_4) | instskip(NEXT) | instid1(VALU_DEP_1)
	v_add_f64_e32 v[10:11], v[10:11], v[40:41]
	v_add_f64_e32 v[10:11], v[10:11], v[52:53]
	s_delay_alu instid0(VALU_DEP_1) | instskip(NEXT) | instid1(VALU_DEP_1)
	v_add_f64_e32 v[10:11], v[10:11], v[38:39]
	v_add_f64_e32 v[10:11], v[10:11], v[50:51]
	s_delay_alu instid0(VALU_DEP_1) | instskip(NEXT) | instid1(VALU_DEP_1)
	;; [unrolled: 3-line block ×5, first 2 shown]
	v_add_f64_e32 v[38:39], v[58:59], v[10:11]
	v_add_f64_e32 v[10:11], 1.0, v[38:39]
	v_cmp_neq_f64_e64 s5, 0x7ff00000, v[38:39]
	s_delay_alu instid0(VALU_DEP_2) | instskip(SKIP_2) | instid1(VALU_DEP_3)
	v_frexp_mant_f64_e32 v[36:37], v[10:11]
	v_frexp_exp_i32_f64_e32 v1, v[10:11]
	v_add_f64_e32 v[40:41], -1.0, v[10:11]
	v_cmp_gt_f64_e32 vcc_lo, s[26:27], v[36:37]
	s_delay_alu instid0(VALU_DEP_2) | instskip(SKIP_2) | instid1(VALU_DEP_3)
	v_add_f64_e64 v[36:37], v[40:41], -v[10:11]
	v_add_f64_e64 v[40:41], v[38:39], -v[40:41]
	v_subrev_co_ci_u32_e64 v1, null, 0, v1, vcc_lo
	v_add_f64_e32 v[36:37], 1.0, v[36:37]
	s_delay_alu instid0(VALU_DEP_2) | instskip(NEXT) | instid1(VALU_DEP_1)
	v_sub_nc_u32_e32 v8, 0, v1
	v_ldexp_f64 v[10:11], v[10:11], v8
	s_delay_alu instid0(VALU_DEP_3) | instskip(NEXT) | instid1(VALU_DEP_2)
	v_add_f64_e32 v[36:37], v[40:41], v[36:37]
	v_add_f64_e32 v[42:43], 1.0, v[10:11]
	v_add_f64_e32 v[48:49], -1.0, v[10:11]
	s_delay_alu instid0(VALU_DEP_3) | instskip(NEXT) | instid1(VALU_DEP_3)
	v_ldexp_f64 v[36:37], v[36:37], v8
	v_add_f64_e32 v[40:41], -1.0, v[42:43]
	s_delay_alu instid0(VALU_DEP_3) | instskip(NEXT) | instid1(VALU_DEP_2)
	v_add_f64_e32 v[50:51], 1.0, v[48:49]
	v_add_f64_e64 v[40:41], v[10:11], -v[40:41]
	s_delay_alu instid0(VALU_DEP_2) | instskip(NEXT) | instid1(VALU_DEP_2)
	v_add_f64_e64 v[10:11], v[10:11], -v[50:51]
	v_add_f64_e32 v[40:41], v[36:37], v[40:41]
	s_delay_alu instid0(VALU_DEP_2) | instskip(NEXT) | instid1(VALU_DEP_2)
	v_add_f64_e32 v[10:11], v[36:37], v[10:11]
	v_add_f64_e32 v[44:45], v[42:43], v[40:41]
	s_delay_alu instid0(VALU_DEP_2) | instskip(NEXT) | instid1(VALU_DEP_2)
	v_add_f64_e32 v[50:51], v[48:49], v[10:11]
	v_rcp_f64_e32 v[46:47], v[44:45]
	v_add_f64_e64 v[42:43], v[44:45], -v[42:43]
	s_delay_alu instid0(VALU_DEP_2) | instskip(NEXT) | instid1(VALU_DEP_2)
	v_add_f64_e64 v[48:49], v[50:51], -v[48:49]
	v_add_f64_e64 v[40:41], v[40:41], -v[42:43]
	s_delay_alu instid0(VALU_DEP_2) | instskip(NEXT) | instid1(TRANS32_DEP_1)
	v_add_f64_e64 v[10:11], v[10:11], -v[48:49]
	v_fma_f64 v[52:53], -v[44:45], v[46:47], 1.0
	s_delay_alu instid0(VALU_DEP_1) | instskip(NEXT) | instid1(VALU_DEP_1)
	v_fmac_f64_e32 v[46:47], v[52:53], v[46:47]
	v_fma_f64 v[36:37], -v[44:45], v[46:47], 1.0
	s_delay_alu instid0(VALU_DEP_1) | instskip(NEXT) | instid1(VALU_DEP_1)
	v_fmac_f64_e32 v[46:47], v[36:37], v[46:47]
	v_mul_f64_e32 v[36:37], v[50:51], v[46:47]
	s_delay_alu instid0(VALU_DEP_1) | instskip(NEXT) | instid1(VALU_DEP_1)
	v_mul_f64_e32 v[52:53], v[44:45], v[36:37]
	v_fma_f64 v[42:43], v[36:37], v[44:45], -v[52:53]
	s_delay_alu instid0(VALU_DEP_1) | instskip(NEXT) | instid1(VALU_DEP_1)
	v_fmac_f64_e32 v[42:43], v[36:37], v[40:41]
	v_add_f64_e32 v[54:55], v[52:53], v[42:43]
	s_delay_alu instid0(VALU_DEP_1) | instskip(SKIP_1) | instid1(VALU_DEP_2)
	v_add_f64_e64 v[56:57], v[50:51], -v[54:55]
	v_add_f64_e64 v[48:49], v[54:55], -v[52:53]
	;; [unrolled: 1-line block ×3, first 2 shown]
	s_delay_alu instid0(VALU_DEP_2) | instskip(NEXT) | instid1(VALU_DEP_2)
	v_add_f64_e64 v[42:43], v[48:49], -v[42:43]
	v_add_f64_e64 v[50:51], v[50:51], -v[54:55]
	s_delay_alu instid0(VALU_DEP_1) | instskip(NEXT) | instid1(VALU_DEP_1)
	v_add_f64_e32 v[10:11], v[10:11], v[50:51]
	v_add_f64_e32 v[10:11], v[42:43], v[10:11]
	s_delay_alu instid0(VALU_DEP_1) | instskip(NEXT) | instid1(VALU_DEP_1)
	v_add_f64_e32 v[42:43], v[56:57], v[10:11]
	v_mul_f64_e32 v[48:49], v[46:47], v[42:43]
	v_add_f64_e64 v[54:55], v[56:57], -v[42:43]
	s_delay_alu instid0(VALU_DEP_2) | instskip(NEXT) | instid1(VALU_DEP_2)
	v_mul_f64_e32 v[50:51], v[44:45], v[48:49]
	v_add_f64_e32 v[10:11], v[10:11], v[54:55]
	s_delay_alu instid0(VALU_DEP_2) | instskip(NEXT) | instid1(VALU_DEP_1)
	v_fma_f64 v[44:45], v[48:49], v[44:45], -v[50:51]
	v_fmac_f64_e32 v[44:45], v[48:49], v[40:41]
	s_delay_alu instid0(VALU_DEP_1) | instskip(NEXT) | instid1(VALU_DEP_1)
	v_add_f64_e32 v[40:41], v[50:51], v[44:45]
	v_add_f64_e64 v[52:53], v[42:43], -v[40:41]
	v_add_f64_e64 v[50:51], v[40:41], -v[50:51]
	s_delay_alu instid0(VALU_DEP_2) | instskip(NEXT) | instid1(VALU_DEP_1)
	v_add_f64_e64 v[42:43], v[42:43], -v[52:53]
	v_add_f64_e64 v[40:41], v[42:43], -v[40:41]
	s_delay_alu instid0(VALU_DEP_3) | instskip(SKIP_1) | instid1(VALU_DEP_3)
	v_add_f64_e64 v[42:43], v[50:51], -v[44:45]
	v_max_num_f64_e64 v[44:45], |v[14:15]|, |v[14:15]|
	v_add_f64_e32 v[10:11], v[10:11], v[40:41]
	v_add_f64_e32 v[40:41], v[36:37], v[48:49]
	s_delay_alu instid0(VALU_DEP_2) | instskip(NEXT) | instid1(VALU_DEP_2)
	v_add_f64_e32 v[10:11], v[42:43], v[10:11]
	v_add_f64_e64 v[36:37], v[40:41], -v[36:37]
	v_max_num_f64_e64 v[42:43], |v[16:17]|, |v[16:17]|
	s_delay_alu instid0(VALU_DEP_3) | instskip(NEXT) | instid1(VALU_DEP_3)
	v_add_f64_e32 v[10:11], v[52:53], v[10:11]
	v_add_f64_e64 v[36:37], v[48:49], -v[36:37]
	s_delay_alu instid0(VALU_DEP_2) | instskip(NEXT) | instid1(VALU_DEP_1)
	v_mul_f64_e32 v[10:11], v[46:47], v[10:11]
	v_add_f64_e32 v[10:11], v[36:37], v[10:11]
	v_max_num_f64_e32 v[36:37], v[44:45], v[42:43]
	v_min_num_f64_e32 v[42:43], v[44:45], v[42:43]
	s_delay_alu instid0(VALU_DEP_3) | instskip(NEXT) | instid1(VALU_DEP_2)
	v_add_f64_e32 v[44:45], v[40:41], v[10:11]
	v_div_scale_f64 v[46:47], null, v[36:37], v[36:37], v[42:43]
	s_delay_alu instid0(VALU_DEP_2) | instskip(SKIP_1) | instid1(VALU_DEP_3)
	v_mul_f64_e32 v[48:49], v[44:45], v[44:45]
	v_add_f64_e64 v[40:41], v[44:45], -v[40:41]
	v_rcp_f64_e32 v[50:51], v[46:47]
	s_delay_alu instid0(VALU_DEP_2) | instskip(SKIP_1) | instid1(VALU_DEP_3)
	v_fmamk_f64 v[52:53], v[48:49], 0x3fc3ab76bf559e2b, v[22:23]
	v_mul_f64_e32 v[54:55], v[44:45], v[48:49]
	v_add_f64_e64 v[10:11], v[10:11], -v[40:41]
	s_delay_alu instid0(VALU_DEP_3) | instskip(NEXT) | instid1(TRANS32_DEP_1)
	v_fmaak_f64 v[52:53], v[48:49], v[52:53], 0x3fc7474dd7f4df2e
	v_fma_f64 v[56:57], -v[46:47], v[50:51], 1.0
	s_delay_alu instid0(VALU_DEP_2) | instskip(NEXT) | instid1(VALU_DEP_1)
	v_fmaak_f64 v[52:53], v[48:49], v[52:53], 0x3fcc71c016291751
	v_fmaak_f64 v[52:53], v[48:49], v[52:53], 0x3fd249249b27acf1
	s_delay_alu instid0(VALU_DEP_1) | instskip(SKIP_1) | instid1(VALU_DEP_2)
	v_fmaak_f64 v[52:53], v[48:49], v[52:53], 0x3fd99999998ef7b6
	v_ldexp_f64 v[10:11], v[10:11], 1
	v_fmaak_f64 v[48:49], v[48:49], v[52:53], 0x3fe5555555555780
	v_ldexp_f64 v[52:53], v[44:45], 1
	v_fmac_f64_e32 v[50:51], v[50:51], v[56:57]
	s_delay_alu instid0(VALU_DEP_3) | instskip(SKIP_2) | instid1(VALU_DEP_1)
	v_mul_f64_e32 v[48:49], v[54:55], v[48:49]
	v_cvt_f64_i32_e32 v[54:55], v1
	v_ashrrev_i32_e32 v1, 31, v15
	v_and_b32_e32 v12, 0x54442d18, v1
	v_and_b32_e32 v1, 0x400921fb, v1
	v_fma_f64 v[56:57], -v[46:47], v[50:51], 1.0
	v_add_f64_e32 v[44:45], v[52:53], v[48:49]
	v_mul_f64_e32 v[58:59], 0x3fe62e42fefa39ef, v[54:55]
	s_delay_alu instid0(VALU_DEP_3) | instskip(NEXT) | instid1(VALU_DEP_3)
	v_fmac_f64_e32 v[50:51], v[50:51], v[56:57]
	v_add_f64_e64 v[40:41], v[44:45], -v[52:53]
	v_div_scale_f64 v[52:53], vcc_lo, v[42:43], v[36:37], v[42:43]
	s_delay_alu instid0(VALU_DEP_4) | instskip(NEXT) | instid1(VALU_DEP_3)
	v_fma_f64 v[56:57], v[54:55], s[28:29], -v[58:59]
	v_add_f64_e64 v[40:41], v[48:49], -v[40:41]
	s_delay_alu instid0(VALU_DEP_3) | instskip(NEXT) | instid1(VALU_DEP_3)
	v_mul_f64_e32 v[48:49], v[52:53], v[50:51]
	v_fmac_f64_e32 v[56:57], 0x3c7abc9e3b39803f, v[54:55]
	s_delay_alu instid0(VALU_DEP_3) | instskip(NEXT) | instid1(VALU_DEP_3)
	v_add_f64_e32 v[10:11], v[10:11], v[40:41]
	v_fma_f64 v[40:41], -v[46:47], v[48:49], v[52:53]
	s_delay_alu instid0(VALU_DEP_3) | instskip(NEXT) | instid1(VALU_DEP_3)
	v_add_f64_e32 v[46:47], v[58:59], v[56:57]
	v_add_f64_e32 v[52:53], v[44:45], v[10:11]
	s_delay_alu instid0(VALU_DEP_3) | instskip(SKIP_1) | instid1(VALU_DEP_4)
	v_div_fmas_f64 v[40:41], v[40:41], v[50:51], v[48:49]
	v_cmp_gt_i32_e32 vcc_lo, 0, v15
	v_add_f64_e64 v[50:51], v[46:47], -v[58:59]
	v_cndmask_b32_e32 v8, 0x54442d18, v62, vcc_lo
	v_add_f64_e32 v[48:49], v[46:47], v[52:53]
	v_div_fixup_f64 v[36:37], v[40:41], v[36:37], v[42:43]
	v_add_f64_e64 v[44:45], v[52:53], -v[44:45]
	v_add_f64_e64 v[50:51], v[56:57], -v[50:51]
	s_delay_alu instid0(VALU_DEP_4) | instskip(NEXT) | instid1(VALU_DEP_4)
	v_add_f64_e64 v[40:41], v[48:49], -v[46:47]
	v_mul_f64_e32 v[42:43], v[36:37], v[36:37]
	s_delay_alu instid0(VALU_DEP_4) | instskip(NEXT) | instid1(VALU_DEP_3)
	v_add_f64_e64 v[10:11], v[10:11], -v[44:45]
	v_add_f64_e64 v[54:55], v[48:49], -v[40:41]
	s_delay_alu instid0(VALU_DEP_3) | instskip(SKIP_1) | instid1(VALU_DEP_4)
	v_fmamk_f64 v[58:59], v[42:43], 0x3eeba404b5e68a13, v[24:25]
	v_add_f64_e64 v[40:41], v[52:53], -v[40:41]
	v_add_f64_e32 v[52:53], v[50:51], v[10:11]
	s_delay_alu instid0(VALU_DEP_3) | instskip(SKIP_1) | instid1(VALU_DEP_2)
	v_fmaak_f64 v[58:59], v[42:43], v[58:59], 0x3f4b2bb069efb384
	v_add_f64_e64 v[44:45], v[46:47], -v[54:55]
	v_fmaak_f64 v[46:47], v[42:43], v[58:59], 0xbf67952daf56de9b
	s_delay_alu instid0(VALU_DEP_1) | instskip(NEXT) | instid1(VALU_DEP_1)
	v_fmaak_f64 v[46:47], v[42:43], v[46:47], 0x3f7d6d43a595c56f
	v_fmaak_f64 v[46:47], v[42:43], v[46:47], 0xbf8c6ea4a57d9582
	s_delay_alu instid0(VALU_DEP_1) | instskip(NEXT) | instid1(VALU_DEP_1)
	v_fmaak_f64 v[46:47], v[42:43], v[46:47], 0x3f967e295f08b19f
	v_fmaak_f64 v[46:47], v[42:43], v[46:47], 0xbf9e9ae6fc27006a
	v_add_f64_e32 v[40:41], v[40:41], v[44:45]
	s_delay_alu instid0(VALU_DEP_2) | instskip(SKIP_1) | instid1(VALU_DEP_2)
	v_fmaak_f64 v[44:45], v[42:43], v[46:47], 0x3fa2c15b5711927a
	v_add_f64_e64 v[46:47], v[52:53], -v[50:51]
	v_fmaak_f64 v[44:45], v[42:43], v[44:45], 0xbfa59976e82d3ff0
	s_delay_alu instid0(VALU_DEP_1) | instskip(NEXT) | instid1(VALU_DEP_1)
	v_fmaak_f64 v[44:45], v[42:43], v[44:45], 0x3fa82d5d6ef28734
	v_fmaak_f64 v[44:45], v[42:43], v[44:45], 0xbfaae5ce6a214619
	s_delay_alu instid0(VALU_DEP_1) | instskip(SKIP_3) | instid1(VALU_DEP_4)
	v_fmaak_f64 v[44:45], v[42:43], v[44:45], 0x3fae1bb48427b883
	v_add_f64_e32 v[40:41], v[52:53], v[40:41]
	v_add_f64_e64 v[52:53], v[52:53], -v[46:47]
	v_add_f64_e64 v[10:11], v[10:11], -v[46:47]
	v_fmaak_f64 v[44:45], v[42:43], v[44:45], 0xbfb110e48b207f05
	s_delay_alu instid0(VALU_DEP_1) | instskip(NEXT) | instid1(VALU_DEP_1)
	v_fmaak_f64 v[44:45], v[42:43], v[44:45], 0x3fb3b13657b87036
	v_fmaak_f64 v[44:45], v[42:43], v[44:45], 0xbfb745d119378e4f
	s_delay_alu instid0(VALU_DEP_1) | instskip(SKIP_1) | instid1(VALU_DEP_2)
	v_fmaak_f64 v[44:45], v[42:43], v[44:45], 0x3fbc71c717e1913c
	v_add_f64_e32 v[54:55], v[48:49], v[40:41]
	v_fmaak_f64 v[44:45], v[42:43], v[44:45], 0xbfc2492492376b7d
	s_delay_alu instid0(VALU_DEP_1) | instskip(NEXT) | instid1(VALU_DEP_1)
	v_fmaak_f64 v[44:45], v[42:43], v[44:45], 0x3fc99999999952cc
	v_fmaak_f64 v[44:45], v[42:43], v[44:45], 0xbfd5555555555523
	s_delay_alu instid0(VALU_DEP_1) | instskip(SKIP_2) | instid1(VALU_DEP_3)
	v_mul_f64_e32 v[42:43], v[42:43], v[44:45]
	v_add_f64_e64 v[44:45], v[50:51], -v[52:53]
	v_add_f64_e64 v[46:47], v[54:55], -v[48:49]
	v_fmac_f64_e32 v[36:37], v[36:37], v[42:43]
	s_delay_alu instid0(VALU_DEP_3) | instskip(NEXT) | instid1(VALU_DEP_3)
	v_add_f64_e32 v[10:11], v[10:11], v[44:45]
	v_add_f64_e64 v[40:41], v[40:41], -v[46:47]
	s_delay_alu instid0(VALU_DEP_3) | instskip(NEXT) | instid1(VALU_DEP_1)
	v_add_f64_e64 v[42:43], -v[36:37], s[30:31]
	v_dual_add_f64 v[10:11], v[10:11], v[40:41] :: v_dual_cndmask_b32 v37, v37, v43, s2
	s_delay_alu instid0(VALU_DEP_2) | instskip(NEXT) | instid1(VALU_DEP_1)
	v_cndmask_b32_e64 v36, v36, v42, s2
	v_add_f64_e64 v[40:41], -v[36:37], s[34:35]
	s_delay_alu instid0(VALU_DEP_1) | instskip(SKIP_1) | instid1(VALU_DEP_2)
	v_dual_add_f64 v[10:11], v[54:55], v[10:11] :: v_dual_cndmask_b32 v21, v36, v40, vcc_lo
	v_cndmask_b32_e32 v36, 0x3fe921fb, v63, vcc_lo
	v_dual_mul_f64 v[10:11], 0.5, v[10:11] :: v_dual_cndmask_b32 v37, v37, v41, vcc_lo
	v_cmp_ngt_f64_e32 vcc_lo, -1.0, v[38:39]
	s_delay_alu instid0(VALU_DEP_4) | instskip(NEXT) | instid1(VALU_DEP_4)
	v_cndmask_b32_e64 v12, v21, v12, s3
	v_bfi_b32 v36, 0x7fffffff, v36, v17
	s_delay_alu instid0(VALU_DEP_4) | instskip(SKIP_1) | instid1(VALU_DEP_1)
	v_cndmask_b32_e64 v1, v37, v1, s3
	v_cndmask_b32_e64 v11, 0x7ff00000, v11, s5
	v_cndmask_b32_e32 v21, 0x7ff80000, v11, vcc_lo
	s_and_b32 vcc_lo, s7, s6
	s_delay_alu instid0(VALU_DEP_3) | instskip(SKIP_2) | instid1(SALU_CYCLE_1)
	v_cndmask_b32_e32 v11, v1, v36, vcc_lo
	v_cmp_nge_f64_e64 s4, -1.0, v[38:39]
	s_and_b32 s3, s4, s5
	v_cndmask_b32_e64 v36, 0, v10, s3
	v_cmp_neq_f64_e64 s3, -1.0, v[38:39]
	v_cndmask_b32_e32 v10, v12, v8, vcc_lo
	s_delay_alu instid0(VALU_DEP_2)
	v_cndmask_b32_e64 v37, 0xfff00000, v21, s3
.LBB191_86:                             ;   in Loop: Header=BB191_5 Depth=1
	s_or_b32 exec_lo, exec_lo, s49
.LBB191_87:                             ;   in Loop: Header=BB191_5 Depth=1
	s_delay_alu instid0(SALU_CYCLE_1)
	s_or_b32 exec_lo, exec_lo, s48
.LBB191_88:                             ;   in Loop: Header=BB191_5 Depth=1
	s_and_not1_saveexec_b32 s5, s47
	s_cbranch_execz .LBB191_90
; %bb.89:                               ;   in Loop: Header=BB191_5 Depth=1
	v_max_num_f64_e64 v[10:11], |v[16:17]|, |v[16:17]|
	v_max_num_f64_e64 v[36:37], |v[14:15]|, |v[14:15]|
	v_cmp_eq_f64_e64 s4, 0, v[16:17]
	v_cmp_class_f64_e64 s6, v[14:15], 0x204
	v_cmp_class_f64_e64 s7, v[16:17], 0x204
	s_delay_alu instid0(VALU_DEP_4) | instskip(SKIP_2) | instid1(VALU_DEP_2)
	v_max_num_f64_e32 v[38:39], v[36:37], v[10:11]
	v_min_num_f64_e32 v[10:11], v[36:37], v[10:11]
	s_or_b32 s3, s6, s7
	v_frexp_exp_i32_f64_e32 v1, v[38:39]
	s_delay_alu instid0(VALU_DEP_1) | instskip(NEXT) | instid1(VALU_DEP_1)
	v_sub_nc_u32_e32 v8, 0, v1
	v_ldexp_f64 v[40:41], |v[16:17]|, v8
	v_ldexp_f64 v[42:43], |v[14:15]|, v8
	s_delay_alu instid0(VALU_DEP_2) | instskip(NEXT) | instid1(VALU_DEP_1)
	v_mul_f64_e32 v[40:41], v[40:41], v[40:41]
	v_fmac_f64_e32 v[40:41], v[42:43], v[42:43]
	s_delay_alu instid0(VALU_DEP_1) | instskip(SKIP_1) | instid1(TRANS32_DEP_1)
	v_rsq_f64_e32 v[42:43], v[40:41]
	v_cmp_eq_f64_e32 vcc_lo, 0, v[40:41]
	v_mul_f64_e32 v[44:45], v[40:41], v[42:43]
	v_mul_f64_e32 v[42:43], 0.5, v[42:43]
	s_delay_alu instid0(VALU_DEP_1) | instskip(NEXT) | instid1(VALU_DEP_1)
	v_fma_f64 v[46:47], -v[42:43], v[44:45], 0.5
	v_fmac_f64_e32 v[44:45], v[44:45], v[46:47]
	v_fmac_f64_e32 v[42:43], v[42:43], v[46:47]
	s_delay_alu instid0(VALU_DEP_2) | instskip(NEXT) | instid1(VALU_DEP_1)
	v_fma_f64 v[46:47], -v[44:45], v[44:45], v[40:41]
	v_fmac_f64_e32 v[44:45], v[46:47], v[42:43]
	s_delay_alu instid0(VALU_DEP_1) | instskip(NEXT) | instid1(VALU_DEP_1)
	v_dual_cndmask_b32 v41, v45, v41 :: v_dual_cndmask_b32 v40, v44, v40
	v_ldexp_f64 v[40:41], v[40:41], v1
	s_delay_alu instid0(VALU_DEP_1) | instskip(NEXT) | instid1(VALU_DEP_2)
	v_cndmask_b32_e64 v41, v41, 0x7ff00000, s3
	v_cndmask_b32_e64 v40, v40, 0, s3
	s_delay_alu instid0(VALU_DEP_1) | instskip(SKIP_1) | instid1(VALU_DEP_2)
	v_frexp_mant_f64_e32 v[42:43], v[40:41]
	v_cmp_class_f64_e64 s3, v[40:41], 0x204
	v_cmp_gt_f64_e32 vcc_lo, s[26:27], v[42:43]
	v_cndmask_b32_e64 v1, 0, 1, vcc_lo
	s_delay_alu instid0(VALU_DEP_1) | instskip(SKIP_1) | instid1(VALU_DEP_2)
	v_ldexp_f64 v[42:43], v[42:43], v1
	v_frexp_exp_i32_f64_e32 v1, v[40:41]
	v_add_f64_e32 v[44:45], 1.0, v[42:43]
	v_add_f64_e32 v[50:51], -1.0, v[42:43]
	s_delay_alu instid0(VALU_DEP_3) | instskip(SKIP_1) | instid1(VALU_DEP_4)
	v_subrev_co_ci_u32_e64 v1, null, 0, v1, vcc_lo
	v_div_scale_f64 v[58:59], vcc_lo, v[10:11], v[38:39], v[10:11]
	v_rcp_f64_e32 v[46:47], v[44:45]
	v_add_f64_e32 v[52:53], -1.0, v[44:45]
	s_delay_alu instid0(VALU_DEP_1) | instskip(NEXT) | instid1(TRANS32_DEP_1)
	v_add_f64_e64 v[42:43], v[42:43], -v[52:53]
	v_fma_f64 v[48:49], -v[44:45], v[46:47], 1.0
	s_delay_alu instid0(VALU_DEP_1) | instskip(NEXT) | instid1(VALU_DEP_1)
	v_fmac_f64_e32 v[46:47], v[48:49], v[46:47]
	v_fma_f64 v[48:49], -v[44:45], v[46:47], 1.0
	s_delay_alu instid0(VALU_DEP_1) | instskip(NEXT) | instid1(VALU_DEP_1)
	v_fmac_f64_e32 v[46:47], v[48:49], v[46:47]
	v_mul_f64_e32 v[48:49], v[50:51], v[46:47]
	s_delay_alu instid0(VALU_DEP_1) | instskip(NEXT) | instid1(VALU_DEP_1)
	v_mul_f64_e32 v[54:55], v[44:45], v[48:49]
	v_fma_f64 v[44:45], v[48:49], v[44:45], -v[54:55]
	s_delay_alu instid0(VALU_DEP_1) | instskip(NEXT) | instid1(VALU_DEP_1)
	v_fmac_f64_e32 v[44:45], v[48:49], v[42:43]
	v_add_f64_e32 v[42:43], v[54:55], v[44:45]
	s_delay_alu instid0(VALU_DEP_1) | instskip(SKIP_1) | instid1(VALU_DEP_2)
	v_add_f64_e64 v[52:53], v[50:51], -v[42:43]
	v_add_f64_e64 v[54:55], v[42:43], -v[54:55]
	;; [unrolled: 1-line block ×3, first 2 shown]
	s_delay_alu instid0(VALU_DEP_2) | instskip(NEXT) | instid1(VALU_DEP_2)
	v_add_f64_e64 v[44:45], v[54:55], -v[44:45]
	v_add_f64_e64 v[42:43], v[50:51], -v[42:43]
	s_delay_alu instid0(VALU_DEP_1) | instskip(NEXT) | instid1(VALU_DEP_1)
	v_add_f64_e32 v[42:43], v[44:45], v[42:43]
	v_add_f64_e32 v[42:43], v[52:53], v[42:43]
	s_delay_alu instid0(VALU_DEP_1) | instskip(SKIP_1) | instid1(VALU_DEP_2)
	v_mul_f64_e32 v[36:37], v[46:47], v[42:43]
	v_div_scale_f64 v[42:43], null, v[38:39], v[38:39], v[10:11]
	v_add_f64_e32 v[44:45], v[48:49], v[36:37]
	s_delay_alu instid0(VALU_DEP_2) | instskip(NEXT) | instid1(VALU_DEP_1)
	v_rcp_f64_e32 v[46:47], v[42:43]
	v_mul_f64_e32 v[50:51], v[44:45], v[44:45]
	s_delay_alu instid0(TRANS32_DEP_1) | instskip(NEXT) | instid1(VALU_DEP_2)
	v_fma_f64 v[54:55], -v[42:43], v[46:47], 1.0
	v_fmamk_f64 v[52:53], v[50:51], 0x3fc3ab76bf559e2b, v[22:23]
	v_mul_f64_e32 v[56:57], v[44:45], v[50:51]
	s_delay_alu instid0(VALU_DEP_3) | instskip(NEXT) | instid1(VALU_DEP_3)
	v_fmac_f64_e32 v[46:47], v[46:47], v[54:55]
	v_fmaak_f64 v[52:53], v[50:51], v[52:53], 0x3fc7474dd7f4df2e
	s_delay_alu instid0(VALU_DEP_1) | instskip(NEXT) | instid1(VALU_DEP_1)
	v_fmaak_f64 v[52:53], v[50:51], v[52:53], 0x3fcc71c016291751
	v_fmaak_f64 v[52:53], v[50:51], v[52:53], 0x3fd249249b27acf1
	s_delay_alu instid0(VALU_DEP_1) | instskip(NEXT) | instid1(VALU_DEP_1)
	v_fmaak_f64 v[52:53], v[50:51], v[52:53], 0x3fd99999998ef7b6
	v_fmaak_f64 v[50:51], v[50:51], v[52:53], 0x3fe5555555555780
	v_ldexp_f64 v[52:53], v[44:45], 1
	v_add_f64_e64 v[44:45], v[44:45], -v[48:49]
	v_fma_f64 v[54:55], -v[42:43], v[46:47], 1.0
	s_delay_alu instid0(VALU_DEP_4) | instskip(SKIP_2) | instid1(VALU_DEP_1)
	v_mul_f64_e32 v[50:51], v[56:57], v[50:51]
	v_cvt_f64_i32_e32 v[56:57], v1
	v_ashrrev_i32_e32 v1, 31, v15
	v_and_b32_e32 v12, 0x54442d18, v1
	v_and_b32_e32 v1, 0x400921fb, v1
	v_add_f64_e64 v[36:37], v[36:37], -v[44:45]
	v_fmac_f64_e32 v[46:47], v[46:47], v[54:55]
	v_add_f64_e32 v[48:49], v[52:53], v[50:51]
	v_mul_f64_e32 v[54:55], 0x3fe62e42fefa39ef, v[56:57]
	s_delay_alu instid0(VALU_DEP_4) | instskip(NEXT) | instid1(VALU_DEP_3)
	v_ldexp_f64 v[36:37], v[36:37], 1
	v_add_f64_e64 v[44:45], v[48:49], -v[52:53]
	v_mul_f64_e32 v[52:53], v[58:59], v[46:47]
	s_delay_alu instid0(VALU_DEP_4) | instskip(NEXT) | instid1(VALU_DEP_3)
	v_fma_f64 v[60:61], v[56:57], s[28:29], -v[54:55]
	v_add_f64_e64 v[44:45], v[50:51], -v[44:45]
	s_delay_alu instid0(VALU_DEP_3) | instskip(NEXT) | instid1(VALU_DEP_3)
	v_fma_f64 v[42:43], -v[42:43], v[52:53], v[58:59]
	v_fmac_f64_e32 v[60:61], 0x3c7abc9e3b39803f, v[56:57]
	s_delay_alu instid0(VALU_DEP_3) | instskip(NEXT) | instid1(VALU_DEP_3)
	v_add_f64_e32 v[36:37], v[36:37], v[44:45]
	v_div_fmas_f64 v[42:43], v[42:43], v[46:47], v[52:53]
	s_delay_alu instid0(VALU_DEP_3) | instskip(SKIP_3) | instid1(VALU_DEP_1)
	v_add_f64_e32 v[44:45], v[54:55], v[60:61]
	v_cmp_gt_i32_e32 vcc_lo, 0, v15
	v_cndmask_b32_e32 v8, 0x54442d18, v62, vcc_lo
	v_cndmask_b32_e32 v21, 0x3fe921fb, v63, vcc_lo
	v_bfi_b32 v21, 0x7fffffff, v21, v17
	v_add_f64_e32 v[46:47], v[48:49], v[36:37]
	v_div_fixup_f64 v[10:11], v[42:43], v[38:39], v[10:11]
	v_add_f64_e64 v[54:55], v[44:45], -v[54:55]
	s_delay_alu instid0(VALU_DEP_3) | instskip(NEXT) | instid1(VALU_DEP_3)
	v_add_f64_e32 v[38:39], v[44:45], v[46:47]
	v_mul_f64_e32 v[42:43], v[10:11], v[10:11]
	v_add_f64_e64 v[48:49], v[46:47], -v[48:49]
	s_delay_alu instid0(VALU_DEP_4) | instskip(NEXT) | instid1(VALU_DEP_4)
	v_add_f64_e64 v[54:55], v[60:61], -v[54:55]
	v_add_f64_e64 v[50:51], v[38:39], -v[44:45]
	s_delay_alu instid0(VALU_DEP_4) | instskip(NEXT) | instid1(VALU_DEP_4)
	v_fmamk_f64 v[52:53], v[42:43], 0x3eeba404b5e68a13, v[24:25]
	v_add_f64_e64 v[36:37], v[36:37], -v[48:49]
	s_delay_alu instid0(VALU_DEP_2) | instskip(NEXT) | instid1(VALU_DEP_1)
	v_fmaak_f64 v[52:53], v[42:43], v[52:53], 0x3f4b2bb069efb384
	v_fmaak_f64 v[52:53], v[42:43], v[52:53], 0xbf67952daf56de9b
	s_delay_alu instid0(VALU_DEP_1) | instskip(NEXT) | instid1(VALU_DEP_1)
	v_fmaak_f64 v[52:53], v[42:43], v[52:53], 0x3f7d6d43a595c56f
	v_fmaak_f64 v[52:53], v[42:43], v[52:53], 0xbf8c6ea4a57d9582
	v_add_f64_e64 v[56:57], v[38:39], -v[50:51]
	v_add_f64_e64 v[46:47], v[46:47], -v[50:51]
	v_add_f64_e32 v[50:51], v[54:55], v[36:37]
	s_delay_alu instid0(VALU_DEP_4) | instskip(NEXT) | instid1(VALU_DEP_1)
	v_fmaak_f64 v[52:53], v[42:43], v[52:53], 0x3f967e295f08b19f
	v_fmaak_f64 v[48:49], v[42:43], v[52:53], 0xbf9e9ae6fc27006a
	s_delay_alu instid0(VALU_DEP_1) | instskip(NEXT) | instid1(VALU_DEP_1)
	v_fmaak_f64 v[48:49], v[42:43], v[48:49], 0x3fa2c15b5711927a
	v_fmaak_f64 v[48:49], v[42:43], v[48:49], 0xbfa59976e82d3ff0
	s_delay_alu instid0(VALU_DEP_1) | instskip(SKIP_1) | instid1(VALU_DEP_2)
	v_fmaak_f64 v[48:49], v[42:43], v[48:49], 0x3fa82d5d6ef28734
	v_add_f64_e64 v[44:45], v[44:45], -v[56:57]
	v_fmaak_f64 v[48:49], v[42:43], v[48:49], 0xbfaae5ce6a214619
	s_delay_alu instid0(VALU_DEP_2) | instskip(NEXT) | instid1(VALU_DEP_2)
	v_add_f64_e32 v[44:45], v[46:47], v[44:45]
	v_fmaak_f64 v[46:47], v[42:43], v[48:49], 0x3fae1bb48427b883
	v_add_f64_e64 v[48:49], v[50:51], -v[54:55]
	s_delay_alu instid0(VALU_DEP_2) | instskip(NEXT) | instid1(VALU_DEP_1)
	v_fmaak_f64 v[46:47], v[42:43], v[46:47], 0xbfb110e48b207f05
	v_fmaak_f64 v[46:47], v[42:43], v[46:47], 0x3fb3b13657b87036
	s_delay_alu instid0(VALU_DEP_1) | instskip(NEXT) | instid1(VALU_DEP_1)
	v_fmaak_f64 v[46:47], v[42:43], v[46:47], 0xbfb745d119378e4f
	v_fmaak_f64 v[46:47], v[42:43], v[46:47], 0x3fbc71c717e1913c
	v_add_f64_e32 v[44:45], v[50:51], v[44:45]
	v_add_f64_e64 v[36:37], v[36:37], -v[48:49]
	s_delay_alu instid0(VALU_DEP_3) | instskip(NEXT) | instid1(VALU_DEP_1)
	v_fmaak_f64 v[46:47], v[42:43], v[46:47], 0xbfc2492492376b7d
	v_fmaak_f64 v[46:47], v[42:43], v[46:47], 0x3fc99999999952cc
	s_delay_alu instid0(VALU_DEP_1) | instskip(NEXT) | instid1(VALU_DEP_1)
	v_fmaak_f64 v[46:47], v[42:43], v[46:47], 0xbfd5555555555523
	v_mul_f64_e32 v[42:43], v[42:43], v[46:47]
	v_add_f64_e64 v[46:47], v[50:51], -v[48:49]
	v_add_f64_e32 v[50:51], v[38:39], v[44:45]
	s_delay_alu instid0(VALU_DEP_3) | instskip(NEXT) | instid1(VALU_DEP_3)
	v_fmac_f64_e32 v[10:11], v[10:11], v[42:43]
	v_add_f64_e64 v[42:43], v[54:55], -v[46:47]
	s_delay_alu instid0(VALU_DEP_3) | instskip(NEXT) | instid1(VALU_DEP_3)
	v_add_f64_e64 v[38:39], v[50:51], -v[38:39]
	v_add_f64_e64 v[46:47], -v[10:11], s[30:31]
	s_delay_alu instid0(VALU_DEP_3) | instskip(NEXT) | instid1(VALU_DEP_3)
	v_add_f64_e32 v[36:37], v[36:37], v[42:43]
	v_add_f64_e64 v[38:39], v[44:45], -v[38:39]
	s_delay_alu instid0(VALU_DEP_3) | instskip(NEXT) | instid1(VALU_DEP_2)
	v_dual_cndmask_b32 v11, v11, v47, s2 :: v_dual_cndmask_b32 v10, v10, v46, s2
	v_add_f64_e32 v[36:37], v[36:37], v[38:39]
	s_delay_alu instid0(VALU_DEP_2) | instskip(NEXT) | instid1(VALU_DEP_2)
	v_add_f64_e64 v[38:39], -v[10:11], s[34:35]
	v_add_f64_e32 v[36:37], v[50:51], v[36:37]
	s_delay_alu instid0(VALU_DEP_2) | instskip(SKIP_1) | instid1(VALU_DEP_2)
	v_dual_cndmask_b32 v10, v10, v38 :: v_dual_cndmask_b32 v11, v11, v39
	v_cmp_ngt_f64_e32 vcc_lo, 0, v[40:41]
	v_dual_cndmask_b32 v10, v10, v12, s4 :: v_dual_cndmask_b32 v1, v11, v1, s4
	s_delay_alu instid0(VALU_DEP_4) | instskip(SKIP_1) | instid1(VALU_DEP_2)
	v_dual_cndmask_b32 v36, v36, v40, s3 :: v_dual_cndmask_b32 v37, v37, v41, s3
	v_cmp_nge_f64_e64 s3, 0, v[40:41]
	v_cndmask_b32_e32 v12, 0x7ff80000, v37, vcc_lo
	s_and_b32 vcc_lo, s6, s7
	v_dual_cndmask_b32 v11, v1, v21 :: v_dual_cndmask_b32 v10, v10, v8
	v_cndmask_b32_e64 v36, 0, v36, s3
	v_cmp_neq_f64_e64 s3, 0, v[40:41]
	s_delay_alu instid0(VALU_DEP_1)
	v_cndmask_b32_e64 v37, 0xfff00000, v12, s3
.LBB191_90:                             ;   in Loop: Header=BB191_5 Depth=1
	s_or_b32 exec_lo, exec_lo, s5
                                        ; implicit-def: $vgpr40_vgpr41
.LBB191_91:                             ;   in Loop: Header=BB191_5 Depth=1
	s_and_not1_saveexec_b32 s5, s46
	s_cbranch_execz .LBB191_97
; %bb.92:                               ;   in Loop: Header=BB191_5 Depth=1
                                        ; implicit-def: $vgpr36_vgpr37
                                        ; implicit-def: $vgpr10_vgpr11
	s_mov_b32 s3, exec_lo
	v_cmpx_ngt_f64_e32 s[38:39], v[40:41]
	s_xor_b32 s6, exec_lo, s3
	s_cbranch_execz .LBB191_94
; %bb.93:                               ;   in Loop: Header=BB191_5 Depth=1
	v_mul_f64_e32 v[10:11], v[40:41], v[40:41]
	v_cmp_eq_f64_e64 s3, 0, v[16:17]
	v_cmp_class_f64_e64 s7, v[16:17], 0x204
	v_cmp_class_f64_e64 s8, v[14:15], 0x204
	s_delay_alu instid0(VALU_DEP_4) | instskip(NEXT) | instid1(VALU_DEP_1)
	v_add_f64_e32 v[36:37], 1.0, v[10:11]
	v_frexp_mant_f64_e32 v[38:39], v[36:37]
	v_frexp_exp_i32_f64_e32 v1, v[36:37]
	s_delay_alu instid0(VALU_DEP_2) | instskip(NEXT) | instid1(VALU_DEP_2)
	v_cmp_gt_f64_e32 vcc_lo, s[26:27], v[38:39]
	v_subrev_co_ci_u32_e64 v1, null, 0, v1, vcc_lo
	s_delay_alu instid0(VALU_DEP_1) | instskip(SKIP_1) | instid1(VALU_DEP_1)
	v_sub_nc_u32_e32 v8, 0, v1
	v_add_f64_e32 v[40:41], -1.0, v[36:37]
	v_add_f64_e64 v[38:39], v[40:41], -v[36:37]
	s_delay_alu instid0(VALU_DEP_3) | instskip(SKIP_1) | instid1(VALU_DEP_3)
	v_ldexp_f64 v[36:37], v[36:37], v8
	v_add_f64_e64 v[40:41], v[10:11], -v[40:41]
	v_add_f64_e32 v[38:39], 1.0, v[38:39]
	s_delay_alu instid0(VALU_DEP_3) | instskip(SKIP_1) | instid1(VALU_DEP_3)
	v_add_f64_e32 v[42:43], 1.0, v[36:37]
	v_add_f64_e32 v[48:49], -1.0, v[36:37]
	v_add_f64_e32 v[38:39], v[40:41], v[38:39]
	s_delay_alu instid0(VALU_DEP_3) | instskip(NEXT) | instid1(VALU_DEP_3)
	v_add_f64_e32 v[40:41], -1.0, v[42:43]
	v_add_f64_e32 v[50:51], 1.0, v[48:49]
	s_delay_alu instid0(VALU_DEP_3) | instskip(NEXT) | instid1(VALU_DEP_3)
	v_ldexp_f64 v[38:39], v[38:39], v8
	v_add_f64_e64 v[40:41], v[36:37], -v[40:41]
	s_delay_alu instid0(VALU_DEP_3) | instskip(NEXT) | instid1(VALU_DEP_2)
	v_add_f64_e64 v[36:37], v[36:37], -v[50:51]
	v_add_f64_e32 v[40:41], v[38:39], v[40:41]
	s_delay_alu instid0(VALU_DEP_2) | instskip(NEXT) | instid1(VALU_DEP_2)
	v_add_f64_e32 v[36:37], v[38:39], v[36:37]
	v_add_f64_e32 v[44:45], v[42:43], v[40:41]
	s_delay_alu instid0(VALU_DEP_2) | instskip(NEXT) | instid1(VALU_DEP_2)
	v_add_f64_e32 v[50:51], v[48:49], v[36:37]
	v_rcp_f64_e32 v[46:47], v[44:45]
	v_add_f64_e64 v[42:43], v[42:43], -v[44:45]
	s_delay_alu instid0(VALU_DEP_2) | instskip(NEXT) | instid1(VALU_DEP_2)
	v_add_f64_e64 v[48:49], v[48:49], -v[50:51]
	v_add_f64_e32 v[40:41], v[40:41], v[42:43]
	s_delay_alu instid0(VALU_DEP_2) | instskip(NEXT) | instid1(TRANS32_DEP_1)
	v_add_f64_e32 v[36:37], v[36:37], v[48:49]
	v_fma_f64 v[52:53], -v[44:45], v[46:47], 1.0
	s_delay_alu instid0(VALU_DEP_1) | instskip(NEXT) | instid1(VALU_DEP_1)
	v_fmac_f64_e32 v[46:47], v[52:53], v[46:47]
	v_fma_f64 v[38:39], -v[44:45], v[46:47], 1.0
	s_delay_alu instid0(VALU_DEP_1) | instskip(NEXT) | instid1(VALU_DEP_1)
	v_fmac_f64_e32 v[46:47], v[38:39], v[46:47]
	v_mul_f64_e32 v[38:39], v[50:51], v[46:47]
	s_delay_alu instid0(VALU_DEP_1) | instskip(NEXT) | instid1(VALU_DEP_1)
	v_mul_f64_e32 v[52:53], v[44:45], v[38:39]
	v_fma_f64 v[42:43], v[38:39], v[44:45], -v[52:53]
	s_delay_alu instid0(VALU_DEP_1) | instskip(NEXT) | instid1(VALU_DEP_1)
	v_fmac_f64_e32 v[42:43], v[38:39], v[40:41]
	v_add_f64_e32 v[54:55], v[52:53], v[42:43]
	s_delay_alu instid0(VALU_DEP_1) | instskip(SKIP_1) | instid1(VALU_DEP_2)
	v_add_f64_e64 v[56:57], v[50:51], -v[54:55]
	v_add_f64_e64 v[48:49], v[54:55], -v[52:53]
	;; [unrolled: 1-line block ×3, first 2 shown]
	s_delay_alu instid0(VALU_DEP_2) | instskip(NEXT) | instid1(VALU_DEP_2)
	v_add_f64_e64 v[42:43], v[48:49], -v[42:43]
	v_add_f64_e64 v[50:51], v[50:51], -v[54:55]
	s_delay_alu instid0(VALU_DEP_1) | instskip(NEXT) | instid1(VALU_DEP_1)
	v_add_f64_e32 v[36:37], v[36:37], v[50:51]
	v_add_f64_e32 v[36:37], v[42:43], v[36:37]
	s_delay_alu instid0(VALU_DEP_1) | instskip(NEXT) | instid1(VALU_DEP_1)
	v_add_f64_e32 v[42:43], v[56:57], v[36:37]
	v_mul_f64_e32 v[48:49], v[46:47], v[42:43]
	v_add_f64_e64 v[54:55], v[56:57], -v[42:43]
	s_delay_alu instid0(VALU_DEP_2) | instskip(NEXT) | instid1(VALU_DEP_2)
	v_mul_f64_e32 v[50:51], v[44:45], v[48:49]
	v_add_f64_e32 v[36:37], v[36:37], v[54:55]
	s_delay_alu instid0(VALU_DEP_2) | instskip(NEXT) | instid1(VALU_DEP_1)
	v_fma_f64 v[44:45], v[48:49], v[44:45], -v[50:51]
	v_fmac_f64_e32 v[44:45], v[48:49], v[40:41]
	s_delay_alu instid0(VALU_DEP_1) | instskip(NEXT) | instid1(VALU_DEP_1)
	v_add_f64_e32 v[40:41], v[50:51], v[44:45]
	v_add_f64_e64 v[52:53], v[42:43], -v[40:41]
	v_add_f64_e64 v[50:51], v[40:41], -v[50:51]
	s_delay_alu instid0(VALU_DEP_2) | instskip(NEXT) | instid1(VALU_DEP_1)
	v_add_f64_e64 v[42:43], v[42:43], -v[52:53]
	v_add_f64_e64 v[40:41], v[42:43], -v[40:41]
	s_delay_alu instid0(VALU_DEP_3) | instskip(SKIP_1) | instid1(VALU_DEP_3)
	v_add_f64_e64 v[42:43], v[50:51], -v[44:45]
	v_max_num_f64_e64 v[44:45], |v[14:15]|, |v[14:15]|
	v_add_f64_e32 v[36:37], v[36:37], v[40:41]
	v_add_f64_e32 v[40:41], v[38:39], v[48:49]
	s_delay_alu instid0(VALU_DEP_2) | instskip(NEXT) | instid1(VALU_DEP_2)
	v_add_f64_e32 v[36:37], v[42:43], v[36:37]
	v_add_f64_e64 v[38:39], v[40:41], -v[38:39]
	v_max_num_f64_e64 v[42:43], |v[16:17]|, |v[16:17]|
	s_delay_alu instid0(VALU_DEP_3) | instskip(NEXT) | instid1(VALU_DEP_3)
	v_add_f64_e32 v[36:37], v[52:53], v[36:37]
	v_add_f64_e64 v[38:39], v[48:49], -v[38:39]
	s_delay_alu instid0(VALU_DEP_2) | instskip(NEXT) | instid1(VALU_DEP_1)
	v_mul_f64_e32 v[36:37], v[46:47], v[36:37]
	v_add_f64_e32 v[36:37], v[38:39], v[36:37]
	v_max_num_f64_e32 v[38:39], v[44:45], v[42:43]
	v_min_num_f64_e32 v[42:43], v[44:45], v[42:43]
	s_delay_alu instid0(VALU_DEP_3) | instskip(NEXT) | instid1(VALU_DEP_2)
	v_add_f64_e32 v[44:45], v[40:41], v[36:37]
	v_div_scale_f64 v[46:47], null, v[38:39], v[38:39], v[42:43]
	s_delay_alu instid0(VALU_DEP_2) | instskip(SKIP_1) | instid1(VALU_DEP_3)
	v_mul_f64_e32 v[48:49], v[44:45], v[44:45]
	v_add_f64_e64 v[40:41], v[44:45], -v[40:41]
	v_rcp_f64_e32 v[50:51], v[46:47]
	s_delay_alu instid0(VALU_DEP_2) | instskip(SKIP_1) | instid1(VALU_DEP_3)
	v_fmamk_f64 v[52:53], v[48:49], 0x3fc3ab76bf559e2b, v[22:23]
	v_mul_f64_e32 v[54:55], v[44:45], v[48:49]
	v_add_f64_e64 v[36:37], v[36:37], -v[40:41]
	s_delay_alu instid0(VALU_DEP_3) | instskip(NEXT) | instid1(TRANS32_DEP_1)
	v_fmaak_f64 v[52:53], v[48:49], v[52:53], 0x3fc7474dd7f4df2e
	v_fma_f64 v[56:57], -v[46:47], v[50:51], 1.0
	s_delay_alu instid0(VALU_DEP_2) | instskip(NEXT) | instid1(VALU_DEP_1)
	v_fmaak_f64 v[52:53], v[48:49], v[52:53], 0x3fcc71c016291751
	v_fmaak_f64 v[52:53], v[48:49], v[52:53], 0x3fd249249b27acf1
	s_delay_alu instid0(VALU_DEP_1) | instskip(SKIP_1) | instid1(VALU_DEP_2)
	v_fmaak_f64 v[52:53], v[48:49], v[52:53], 0x3fd99999998ef7b6
	v_ldexp_f64 v[36:37], v[36:37], 1
	v_fmaak_f64 v[48:49], v[48:49], v[52:53], 0x3fe5555555555780
	v_ldexp_f64 v[52:53], v[44:45], 1
	v_fmac_f64_e32 v[50:51], v[50:51], v[56:57]
	s_delay_alu instid0(VALU_DEP_3) | instskip(SKIP_2) | instid1(VALU_DEP_1)
	v_mul_f64_e32 v[48:49], v[54:55], v[48:49]
	v_cvt_f64_i32_e32 v[54:55], v1
	v_ashrrev_i32_e32 v1, 31, v15
	v_and_b32_e32 v12, 0x54442d18, v1
	v_and_b32_e32 v1, 0x400921fb, v1
	v_fma_f64 v[56:57], -v[46:47], v[50:51], 1.0
	v_add_f64_e32 v[44:45], v[52:53], v[48:49]
	v_mul_f64_e32 v[58:59], 0x3fe62e42fefa39ef, v[54:55]
	s_delay_alu instid0(VALU_DEP_3) | instskip(NEXT) | instid1(VALU_DEP_3)
	v_fmac_f64_e32 v[50:51], v[50:51], v[56:57]
	v_add_f64_e64 v[40:41], v[44:45], -v[52:53]
	v_div_scale_f64 v[52:53], vcc_lo, v[42:43], v[38:39], v[42:43]
	s_delay_alu instid0(VALU_DEP_4) | instskip(NEXT) | instid1(VALU_DEP_3)
	v_fma_f64 v[56:57], v[54:55], s[28:29], -v[58:59]
	v_add_f64_e64 v[40:41], v[48:49], -v[40:41]
	s_delay_alu instid0(VALU_DEP_3) | instskip(NEXT) | instid1(VALU_DEP_3)
	v_mul_f64_e32 v[48:49], v[52:53], v[50:51]
	v_fmac_f64_e32 v[56:57], 0x3c7abc9e3b39803f, v[54:55]
	s_delay_alu instid0(VALU_DEP_3) | instskip(NEXT) | instid1(VALU_DEP_3)
	v_add_f64_e32 v[36:37], v[36:37], v[40:41]
	v_fma_f64 v[40:41], -v[46:47], v[48:49], v[52:53]
	s_delay_alu instid0(VALU_DEP_3) | instskip(NEXT) | instid1(VALU_DEP_3)
	v_add_f64_e32 v[46:47], v[58:59], v[56:57]
	v_add_f64_e32 v[52:53], v[44:45], v[36:37]
	s_delay_alu instid0(VALU_DEP_3) | instskip(SKIP_1) | instid1(VALU_DEP_4)
	v_div_fmas_f64 v[40:41], v[40:41], v[50:51], v[48:49]
	v_cmp_gt_i32_e32 vcc_lo, 0, v15
	v_add_f64_e64 v[50:51], v[46:47], -v[58:59]
	v_cndmask_b32_e32 v8, 0x54442d18, v62, vcc_lo
	v_add_f64_e32 v[48:49], v[46:47], v[52:53]
	v_div_fixup_f64 v[38:39], v[40:41], v[38:39], v[42:43]
	v_add_f64_e64 v[44:45], v[52:53], -v[44:45]
	v_add_f64_e64 v[50:51], v[56:57], -v[50:51]
	s_delay_alu instid0(VALU_DEP_4) | instskip(NEXT) | instid1(VALU_DEP_4)
	v_add_f64_e64 v[40:41], v[48:49], -v[46:47]
	v_mul_f64_e32 v[42:43], v[38:39], v[38:39]
	s_delay_alu instid0(VALU_DEP_4) | instskip(NEXT) | instid1(VALU_DEP_3)
	v_add_f64_e64 v[36:37], v[36:37], -v[44:45]
	v_add_f64_e64 v[54:55], v[48:49], -v[40:41]
	s_delay_alu instid0(VALU_DEP_3) | instskip(SKIP_1) | instid1(VALU_DEP_4)
	v_fmamk_f64 v[58:59], v[42:43], 0x3eeba404b5e68a13, v[24:25]
	v_add_f64_e64 v[40:41], v[52:53], -v[40:41]
	v_add_f64_e32 v[52:53], v[50:51], v[36:37]
	s_delay_alu instid0(VALU_DEP_3) | instskip(NEXT) | instid1(VALU_DEP_1)
	v_fmaak_f64 v[58:59], v[42:43], v[58:59], 0x3f4b2bb069efb384
	v_fmaak_f64 v[58:59], v[42:43], v[58:59], 0xbf67952daf56de9b
	v_add_f64_e64 v[44:45], v[46:47], -v[54:55]
	s_delay_alu instid0(VALU_DEP_2) | instskip(NEXT) | instid1(VALU_DEP_1)
	v_fmaak_f64 v[46:47], v[42:43], v[58:59], 0x3f7d6d43a595c56f
	v_fmaak_f64 v[46:47], v[42:43], v[46:47], 0xbf8c6ea4a57d9582
	s_delay_alu instid0(VALU_DEP_1) | instskip(NEXT) | instid1(VALU_DEP_1)
	v_fmaak_f64 v[46:47], v[42:43], v[46:47], 0x3f967e295f08b19f
	v_fmaak_f64 v[46:47], v[42:43], v[46:47], 0xbf9e9ae6fc27006a
	s_delay_alu instid0(VALU_DEP_1) | instskip(SKIP_1) | instid1(VALU_DEP_2)
	v_fmaak_f64 v[46:47], v[42:43], v[46:47], 0x3fa2c15b5711927a
	v_add_f64_e32 v[40:41], v[40:41], v[44:45]
	v_fmaak_f64 v[44:45], v[42:43], v[46:47], 0xbfa59976e82d3ff0
	v_add_f64_e64 v[46:47], v[52:53], -v[50:51]
	s_delay_alu instid0(VALU_DEP_2) | instskip(NEXT) | instid1(VALU_DEP_1)
	v_fmaak_f64 v[44:45], v[42:43], v[44:45], 0x3fa82d5d6ef28734
	v_fmaak_f64 v[44:45], v[42:43], v[44:45], 0xbfaae5ce6a214619
	s_delay_alu instid0(VALU_DEP_1) | instskip(NEXT) | instid1(VALU_DEP_1)
	v_fmaak_f64 v[44:45], v[42:43], v[44:45], 0x3fae1bb48427b883
	v_fmaak_f64 v[44:45], v[42:43], v[44:45], 0xbfb110e48b207f05
	v_add_f64_e32 v[40:41], v[52:53], v[40:41]
	v_add_f64_e64 v[52:53], v[52:53], -v[46:47]
	v_add_f64_e64 v[36:37], v[36:37], -v[46:47]
	s_delay_alu instid0(VALU_DEP_4) | instskip(NEXT) | instid1(VALU_DEP_1)
	v_fmaak_f64 v[44:45], v[42:43], v[44:45], 0x3fb3b13657b87036
	v_fmaak_f64 v[44:45], v[42:43], v[44:45], 0xbfb745d119378e4f
	s_delay_alu instid0(VALU_DEP_1) | instskip(NEXT) | instid1(VALU_DEP_1)
	v_fmaak_f64 v[44:45], v[42:43], v[44:45], 0x3fbc71c717e1913c
	v_fmaak_f64 v[44:45], v[42:43], v[44:45], 0xbfc2492492376b7d
	v_add_f64_e32 v[54:55], v[48:49], v[40:41]
	s_delay_alu instid0(VALU_DEP_2) | instskip(NEXT) | instid1(VALU_DEP_1)
	v_fmaak_f64 v[44:45], v[42:43], v[44:45], 0x3fc99999999952cc
	v_fmaak_f64 v[44:45], v[42:43], v[44:45], 0xbfd5555555555523
	s_delay_alu instid0(VALU_DEP_1) | instskip(SKIP_2) | instid1(VALU_DEP_3)
	v_mul_f64_e32 v[42:43], v[42:43], v[44:45]
	v_add_f64_e64 v[44:45], v[50:51], -v[52:53]
	v_add_f64_e64 v[46:47], v[54:55], -v[48:49]
	v_fmac_f64_e32 v[38:39], v[38:39], v[42:43]
	s_delay_alu instid0(VALU_DEP_3) | instskip(NEXT) | instid1(VALU_DEP_3)
	v_add_f64_e32 v[36:37], v[36:37], v[44:45]
	v_add_f64_e64 v[40:41], v[40:41], -v[46:47]
	s_delay_alu instid0(VALU_DEP_3) | instskip(NEXT) | instid1(VALU_DEP_1)
	v_add_f64_e64 v[42:43], -v[38:39], s[30:31]
	v_dual_add_f64 v[36:37], v[36:37], v[40:41] :: v_dual_cndmask_b32 v39, v39, v43, s2
	s_delay_alu instid0(VALU_DEP_2) | instskip(SKIP_2) | instid1(VALU_DEP_3)
	v_cndmask_b32_e64 v38, v38, v42, s2
	v_cmp_neq_f64_e64 s4, 0x7ff00000, v[10:11]
	v_cndmask_b32_e32 v10, 0x3fe921fb, v63, vcc_lo
	v_add_f64_e64 v[40:41], -v[38:39], s[34:35]
	s_delay_alu instid0(VALU_DEP_2) | instskip(SKIP_1) | instid1(VALU_DEP_3)
	v_bfi_b32 v10, 0x7fffffff, v10, v17
	v_add_f64_e32 v[36:37], v[54:55], v[36:37]
	v_dual_cndmask_b32 v21, v38, v40, vcc_lo :: v_dual_cndmask_b32 v11, v39, v41, vcc_lo
	s_and_b32 vcc_lo, s8, s7
                                        ; implicit-def: $vgpr40_vgpr41
	s_delay_alu instid0(VALU_DEP_1) | instskip(NEXT) | instid1(VALU_DEP_1)
	v_dual_cndmask_b32 v12, v21, v12, s3 :: v_dual_cndmask_b32 v1, v11, v1, s3
	v_dual_mul_f64 v[36:37], 0.5, v[36:37] :: v_dual_cndmask_b32 v11, v1, v10, vcc_lo
	s_delay_alu instid0(VALU_DEP_2) | instskip(NEXT) | instid1(VALU_DEP_2)
	v_cndmask_b32_e32 v10, v12, v8, vcc_lo
	v_cndmask_b32_e64 v37, 0x7ff00000, v37, s4
	s_delay_alu instid0(VALU_DEP_3)
	v_cndmask_b32_e64 v36, 0, v36, s4
.LBB191_94:                             ;   in Loop: Header=BB191_5 Depth=1
	s_and_not1_saveexec_b32 s4, s6
	s_cbranch_execz .LBB191_96
; %bb.95:                               ;   in Loop: Header=BB191_5 Depth=1
	v_max_num_f64_e64 v[10:11], |v[16:17]|, |v[16:17]|
	v_max_num_f64_e64 v[36:37], |v[14:15]|, |v[14:15]|
	v_cmp_eq_f64_e64 s3, 0, v[16:17]
	v_cmp_class_f64_e64 s6, v[16:17], 0x204
	v_cmp_class_f64_e64 s7, v[14:15], 0x204
	v_ashrrev_i32_e32 v1, 31, v15
	s_delay_alu instid0(VALU_DEP_1) | instskip(SKIP_3) | instid1(VALU_DEP_1)
	v_and_b32_e32 v12, 0x54442d18, v1
	v_and_b32_e32 v1, 0x400921fb, v1
	v_max_num_f64_e32 v[38:39], v[36:37], v[10:11]
	v_min_num_f64_e32 v[10:11], v[36:37], v[10:11]
	v_div_scale_f64 v[36:37], null, v[38:39], v[38:39], v[10:11]
	v_div_scale_f64 v[46:47], vcc_lo, v[10:11], v[38:39], v[10:11]
	s_delay_alu instid0(VALU_DEP_2) | instskip(SKIP_1) | instid1(TRANS32_DEP_1)
	v_rcp_f64_e32 v[42:43], v[36:37]
	v_nop
	v_fma_f64 v[44:45], -v[36:37], v[42:43], 1.0
	s_delay_alu instid0(VALU_DEP_1) | instskip(NEXT) | instid1(VALU_DEP_1)
	v_fmac_f64_e32 v[42:43], v[42:43], v[44:45]
	v_fma_f64 v[44:45], -v[36:37], v[42:43], 1.0
	s_delay_alu instid0(VALU_DEP_1) | instskip(NEXT) | instid1(VALU_DEP_1)
	v_fmac_f64_e32 v[42:43], v[42:43], v[44:45]
	v_mul_f64_e32 v[44:45], v[46:47], v[42:43]
	s_delay_alu instid0(VALU_DEP_1) | instskip(NEXT) | instid1(VALU_DEP_1)
	v_fma_f64 v[36:37], -v[36:37], v[44:45], v[46:47]
	v_div_fmas_f64 v[36:37], v[36:37], v[42:43], v[44:45]
	v_cmp_gt_i32_e32 vcc_lo, 0, v15
	v_cndmask_b32_e32 v21, 0x3fe921fb, v63, vcc_lo
	v_cndmask_b32_e32 v8, 0x54442d18, v62, vcc_lo
	s_delay_alu instid0(VALU_DEP_2) | instskip(SKIP_1) | instid1(VALU_DEP_1)
	v_bfi_b32 v21, 0x7fffffff, v21, v17
	v_div_fixup_f64 v[10:11], v[36:37], v[38:39], v[10:11]
	v_mul_f64_e32 v[36:37], v[10:11], v[10:11]
	s_delay_alu instid0(VALU_DEP_1) | instskip(NEXT) | instid1(VALU_DEP_1)
	v_fmamk_f64 v[38:39], v[36:37], 0x3eeba404b5e68a13, v[24:25]
	v_fmaak_f64 v[38:39], v[36:37], v[38:39], 0x3f4b2bb069efb384
	s_delay_alu instid0(VALU_DEP_1) | instskip(NEXT) | instid1(VALU_DEP_1)
	v_fmaak_f64 v[38:39], v[36:37], v[38:39], 0xbf67952daf56de9b
	v_fmaak_f64 v[38:39], v[36:37], v[38:39], 0x3f7d6d43a595c56f
	s_delay_alu instid0(VALU_DEP_1) | instskip(NEXT) | instid1(VALU_DEP_1)
	v_fmaak_f64 v[38:39], v[36:37], v[38:39], 0xbf8c6ea4a57d9582
	;; [unrolled: 3-line block ×9, first 2 shown]
	v_mul_f64_e32 v[36:37], v[36:37], v[38:39]
	s_delay_alu instid0(VALU_DEP_1) | instskip(NEXT) | instid1(VALU_DEP_1)
	v_fmac_f64_e32 v[10:11], v[10:11], v[36:37]
	v_add_f64_e64 v[36:37], -v[10:11], s[30:31]
	s_delay_alu instid0(VALU_DEP_1) | instskip(NEXT) | instid1(VALU_DEP_1)
	v_dual_cndmask_b32 v11, v11, v37, s2 :: v_dual_cndmask_b32 v10, v10, v36, s2
	v_add_f64_e64 v[38:39], -v[10:11], s[34:35]
	s_delay_alu instid0(VALU_DEP_1) | instskip(NEXT) | instid1(VALU_DEP_2)
	v_dual_mul_f64 v[36:37], 0.5, v[40:41] :: v_dual_cndmask_b32 v11, v11, v39, vcc_lo
	v_cndmask_b32_e32 v10, v10, v38, vcc_lo
	s_and_b32 vcc_lo, s7, s6
	s_delay_alu instid0(VALU_DEP_1) | instskip(NEXT) | instid1(VALU_DEP_1)
	v_dual_cndmask_b32 v10, v10, v12, s3 :: v_dual_cndmask_b32 v1, v11, v1, s3
	v_dual_cndmask_b32 v10, v10, v8 :: v_dual_cndmask_b32 v11, v1, v21
	s_delay_alu instid0(VALU_DEP_4)
	v_mul_f64_e32 v[36:37], v[40:41], v[36:37]
.LBB191_96:                             ;   in Loop: Header=BB191_5 Depth=1
	s_or_b32 exec_lo, exec_lo, s4
.LBB191_97:                             ;   in Loop: Header=BB191_5 Depth=1
	s_delay_alu instid0(SALU_CYCLE_1)
	s_or_b32 exec_lo, exec_lo, s5
.LBB191_98:                             ;   in Loop: Header=BB191_5 Depth=1
	s_and_not1_saveexec_b32 s4, s45
	s_cbranch_execz .LBB191_100
; %bb.99:                               ;   in Loop: Header=BB191_5 Depth=1
	v_div_scale_f64 v[10:11], null, s[40:41], s[40:41], v[14:15]
	v_div_scale_f64 v[36:37], null, s[40:41], s[40:41], v[16:17]
	v_div_scale_f64 v[46:47], vcc_lo, v[14:15], s[40:41], v[14:15]
	s_delay_alu instid0(VALU_DEP_3) | instskip(NEXT) | instid1(VALU_DEP_2)
	v_rcp_f64_e32 v[38:39], v[10:11]
	v_rcp_f64_e32 v[40:41], v[36:37]
	s_delay_alu instid0(TRANS32_DEP_2) | instskip(NEXT) | instid1(TRANS32_DEP_1)
	v_fma_f64 v[42:43], -v[10:11], v[38:39], 1.0
	v_fma_f64 v[44:45], -v[36:37], v[40:41], 1.0
	s_delay_alu instid0(VALU_DEP_2) | instskip(NEXT) | instid1(VALU_DEP_2)
	v_fmac_f64_e32 v[38:39], v[38:39], v[42:43]
	v_fmac_f64_e32 v[40:41], v[40:41], v[44:45]
	s_delay_alu instid0(VALU_DEP_2) | instskip(NEXT) | instid1(VALU_DEP_2)
	v_fma_f64 v[42:43], -v[10:11], v[38:39], 1.0
	v_fma_f64 v[44:45], -v[36:37], v[40:41], 1.0
	s_delay_alu instid0(VALU_DEP_2) | instskip(SKIP_1) | instid1(VALU_DEP_3)
	v_fmac_f64_e32 v[38:39], v[38:39], v[42:43]
	v_div_scale_f64 v[42:43], s3, v[16:17], s[40:41], v[16:17]
	v_fmac_f64_e32 v[40:41], v[40:41], v[44:45]
	s_delay_alu instid0(VALU_DEP_3) | instskip(NEXT) | instid1(VALU_DEP_2)
	v_mul_f64_e32 v[44:45], v[46:47], v[38:39]
	v_mul_f64_e32 v[48:49], v[42:43], v[40:41]
	s_delay_alu instid0(VALU_DEP_2) | instskip(NEXT) | instid1(VALU_DEP_2)
	v_fma_f64 v[10:11], -v[10:11], v[44:45], v[46:47]
	v_fma_f64 v[36:37], -v[36:37], v[48:49], v[42:43]
	s_delay_alu instid0(VALU_DEP_2) | instskip(SKIP_1) | instid1(VALU_DEP_2)
	v_div_fmas_f64 v[10:11], v[10:11], v[38:39], v[44:45]
	s_mov_b32 vcc_lo, s3
	v_div_fmas_f64 v[36:37], v[36:37], v[40:41], v[48:49]
	s_delay_alu instid0(VALU_DEP_2) | instskip(NEXT) | instid1(VALU_DEP_2)
	v_div_fixup_f64 v[10:11], v[10:11], s[40:41], v[14:15]
	v_div_fixup_f64 v[36:37], v[36:37], s[40:41], v[16:17]
	s_delay_alu instid0(VALU_DEP_2) | instskip(NEXT) | instid1(VALU_DEP_2)
	v_cmp_class_f64_e64 s3, v[10:11], 0x204
	v_max_num_f64_e64 v[38:39], |v[10:11]|, |v[36:37]|
	v_cmp_class_f64_e64 s5, v[36:37], 0x204
	s_delay_alu instid0(VALU_DEP_2) | instskip(SKIP_2) | instid1(VALU_DEP_2)
	v_frexp_exp_i32_f64_e32 v1, v[38:39]
	s_or_b32 s3, s3, s5
	v_cmp_class_f64_e64 s5, v[14:15], 0x204
	v_sub_nc_u32_e32 v8, 0, v1
	s_delay_alu instid0(VALU_DEP_1) | instskip(SKIP_1) | instid1(VALU_DEP_2)
	v_ldexp_f64 v[38:39], |v[36:37]|, v8
	v_ldexp_f64 v[40:41], |v[10:11]|, v8
	v_mul_f64_e32 v[38:39], v[38:39], v[38:39]
	s_delay_alu instid0(VALU_DEP_1) | instskip(NEXT) | instid1(VALU_DEP_1)
	v_fmac_f64_e32 v[38:39], v[40:41], v[40:41]
	v_rsq_f64_e32 v[40:41], v[38:39]
	v_cmp_eq_f64_e32 vcc_lo, 0, v[38:39]
	s_delay_alu instid0(TRANS32_DEP_1) | instskip(SKIP_1) | instid1(VALU_DEP_1)
	v_mul_f64_e32 v[42:43], v[38:39], v[40:41]
	v_mul_f64_e32 v[40:41], 0.5, v[40:41]
	v_fma_f64 v[44:45], -v[40:41], v[42:43], 0.5
	s_delay_alu instid0(VALU_DEP_1) | instskip(SKIP_1) | instid1(VALU_DEP_2)
	v_fmac_f64_e32 v[42:43], v[42:43], v[44:45]
	v_fmac_f64_e32 v[40:41], v[40:41], v[44:45]
	v_fma_f64 v[44:45], -v[42:43], v[42:43], v[38:39]
	s_delay_alu instid0(VALU_DEP_1) | instskip(NEXT) | instid1(VALU_DEP_1)
	v_fmac_f64_e32 v[42:43], v[44:45], v[40:41]
	v_dual_cndmask_b32 v39, v43, v39 :: v_dual_cndmask_b32 v38, v42, v38
	v_cmp_o_f64_e32 vcc_lo, v[10:11], v[36:37]
	s_delay_alu instid0(VALU_DEP_2) | instskip(NEXT) | instid1(VALU_DEP_1)
	v_ldexp_f64 v[38:39], v[38:39], v1
	v_cndmask_b32_e32 v1, 0, v38, vcc_lo
	s_delay_alu instid0(VALU_DEP_2) | instskip(NEXT) | instid1(VALU_DEP_2)
	v_cndmask_b32_e32 v8, 0x7ff80000, v39, vcc_lo
	v_cndmask_b32_e64 v38, v1, 0, s3
	s_delay_alu instid0(VALU_DEP_2) | instskip(SKIP_1) | instid1(VALU_DEP_2)
	v_cndmask_b32_e64 v39, v8, 0x7ff00000, s3
	v_cmp_class_f64_e64 s3, v[16:17], 0x204
	v_frexp_mant_f64_e32 v[10:11], v[38:39]
	s_delay_alu instid0(VALU_DEP_1) | instskip(SKIP_1) | instid1(VALU_DEP_1)
	v_cmp_gt_f64_e32 vcc_lo, s[26:27], v[10:11]
	v_cndmask_b32_e64 v1, 0, 1, vcc_lo
	v_ldexp_f64 v[10:11], v[10:11], v1
	v_frexp_exp_i32_f64_e32 v1, v[38:39]
	s_delay_alu instid0(VALU_DEP_2) | instskip(SKIP_1) | instid1(VALU_DEP_3)
	v_add_f64_e32 v[36:37], 1.0, v[10:11]
	v_add_f64_e32 v[44:45], -1.0, v[10:11]
	v_subrev_co_ci_u32_e64 v1, null, 0, v1, vcc_lo
	s_delay_alu instid0(VALU_DEP_3) | instskip(SKIP_1) | instid1(VALU_DEP_1)
	v_rcp_f64_e32 v[40:41], v[36:37]
	v_add_f64_e32 v[46:47], -1.0, v[36:37]
	v_add_f64_e64 v[10:11], v[10:11], -v[46:47]
	s_delay_alu instid0(TRANS32_DEP_1) | instskip(NEXT) | instid1(VALU_DEP_1)
	v_fma_f64 v[42:43], -v[36:37], v[40:41], 1.0
	v_fmac_f64_e32 v[40:41], v[42:43], v[40:41]
	s_delay_alu instid0(VALU_DEP_1) | instskip(NEXT) | instid1(VALU_DEP_1)
	v_fma_f64 v[42:43], -v[36:37], v[40:41], 1.0
	v_fmac_f64_e32 v[40:41], v[42:43], v[40:41]
	s_delay_alu instid0(VALU_DEP_1) | instskip(NEXT) | instid1(VALU_DEP_1)
	v_mul_f64_e32 v[42:43], v[44:45], v[40:41]
	v_mul_f64_e32 v[48:49], v[36:37], v[42:43]
	s_delay_alu instid0(VALU_DEP_1) | instskip(NEXT) | instid1(VALU_DEP_1)
	v_fma_f64 v[36:37], v[42:43], v[36:37], -v[48:49]
	v_fmac_f64_e32 v[36:37], v[42:43], v[10:11]
	s_delay_alu instid0(VALU_DEP_1) | instskip(NEXT) | instid1(VALU_DEP_1)
	v_add_f64_e32 v[10:11], v[48:49], v[36:37]
	v_add_f64_e64 v[46:47], v[44:45], -v[10:11]
	v_add_f64_e64 v[48:49], v[10:11], -v[48:49]
	s_delay_alu instid0(VALU_DEP_2) | instskip(NEXT) | instid1(VALU_DEP_2)
	v_add_f64_e64 v[44:45], v[44:45], -v[46:47]
	v_add_f64_e64 v[36:37], v[48:49], -v[36:37]
	s_delay_alu instid0(VALU_DEP_2) | instskip(SKIP_1) | instid1(VALU_DEP_2)
	v_add_f64_e64 v[10:11], v[44:45], -v[10:11]
	v_max_num_f64_e64 v[44:45], |v[14:15]|, |v[14:15]|
	v_add_f64_e32 v[10:11], v[36:37], v[10:11]
	v_max_num_f64_e64 v[36:37], |v[16:17]|, |v[16:17]|
	s_delay_alu instid0(VALU_DEP_2) | instskip(NEXT) | instid1(VALU_DEP_1)
	v_add_f64_e32 v[10:11], v[46:47], v[10:11]
	v_mul_f64_e32 v[10:11], v[40:41], v[10:11]
	s_delay_alu instid0(VALU_DEP_3) | instskip(SKIP_1) | instid1(VALU_DEP_3)
	v_max_num_f64_e32 v[40:41], v[44:45], v[36:37]
	v_min_num_f64_e32 v[36:37], v[44:45], v[36:37]
	v_add_f64_e32 v[44:45], v[42:43], v[10:11]
	s_delay_alu instid0(VALU_DEP_2) | instskip(NEXT) | instid1(VALU_DEP_2)
	v_div_scale_f64 v[46:47], null, v[40:41], v[40:41], v[36:37]
	v_mul_f64_e32 v[48:49], v[44:45], v[44:45]
	v_add_f64_e64 v[42:43], v[44:45], -v[42:43]
	s_delay_alu instid0(VALU_DEP_3) | instskip(NEXT) | instid1(VALU_DEP_2)
	v_rcp_f64_e32 v[50:51], v[46:47]
	v_fmamk_f64 v[52:53], v[48:49], 0x3fc3ab76bf559e2b, v[22:23]
	v_mul_f64_e32 v[54:55], v[44:45], v[48:49]
	s_delay_alu instid0(VALU_DEP_3) | instskip(NEXT) | instid1(VALU_DEP_3)
	v_add_f64_e64 v[10:11], v[10:11], -v[42:43]
	v_fmaak_f64 v[52:53], v[48:49], v[52:53], 0x3fc7474dd7f4df2e
	s_delay_alu instid0(TRANS32_DEP_1) | instskip(NEXT) | instid1(VALU_DEP_2)
	v_fma_f64 v[56:57], -v[46:47], v[50:51], 1.0
	v_fmaak_f64 v[52:53], v[48:49], v[52:53], 0x3fcc71c016291751
	s_delay_alu instid0(VALU_DEP_1) | instskip(NEXT) | instid1(VALU_DEP_1)
	v_fmaak_f64 v[52:53], v[48:49], v[52:53], 0x3fd249249b27acf1
	v_fmaak_f64 v[52:53], v[48:49], v[52:53], 0x3fd99999998ef7b6
	v_ldexp_f64 v[10:11], v[10:11], 1
	s_delay_alu instid0(VALU_DEP_2) | instskip(SKIP_2) | instid1(VALU_DEP_3)
	v_fmaak_f64 v[48:49], v[48:49], v[52:53], 0x3fe5555555555780
	v_ldexp_f64 v[52:53], v[44:45], 1
	v_fmac_f64_e32 v[50:51], v[50:51], v[56:57]
	v_mul_f64_e32 v[48:49], v[54:55], v[48:49]
	v_cvt_f64_i32_e32 v[54:55], v1
	v_ashrrev_i32_e32 v1, 31, v15
	s_delay_alu instid0(VALU_DEP_1) | instskip(SKIP_4) | instid1(VALU_DEP_3)
	v_and_b32_e32 v12, 0x54442d18, v1
	v_and_b32_e32 v1, 0x400921fb, v1
	v_fma_f64 v[56:57], -v[46:47], v[50:51], 1.0
	v_add_f64_e32 v[44:45], v[52:53], v[48:49]
	v_mul_f64_e32 v[58:59], 0x3fe62e42fefa39ef, v[54:55]
	v_fmac_f64_e32 v[50:51], v[50:51], v[56:57]
	s_delay_alu instid0(VALU_DEP_3) | instskip(SKIP_1) | instid1(VALU_DEP_4)
	v_add_f64_e64 v[42:43], v[44:45], -v[52:53]
	v_div_scale_f64 v[52:53], vcc_lo, v[36:37], v[40:41], v[36:37]
	v_fma_f64 v[56:57], v[54:55], s[28:29], -v[58:59]
	s_delay_alu instid0(VALU_DEP_3) | instskip(NEXT) | instid1(VALU_DEP_3)
	v_add_f64_e64 v[42:43], v[48:49], -v[42:43]
	v_mul_f64_e32 v[48:49], v[52:53], v[50:51]
	s_delay_alu instid0(VALU_DEP_3) | instskip(NEXT) | instid1(VALU_DEP_3)
	v_fmac_f64_e32 v[56:57], 0x3c7abc9e3b39803f, v[54:55]
	v_add_f64_e32 v[10:11], v[10:11], v[42:43]
	s_delay_alu instid0(VALU_DEP_3) | instskip(NEXT) | instid1(VALU_DEP_3)
	v_fma_f64 v[42:43], -v[46:47], v[48:49], v[52:53]
	v_add_f64_e32 v[46:47], v[58:59], v[56:57]
	s_delay_alu instid0(VALU_DEP_3) | instskip(NEXT) | instid1(VALU_DEP_3)
	v_add_f64_e32 v[52:53], v[44:45], v[10:11]
	v_div_fmas_f64 v[42:43], v[42:43], v[50:51], v[48:49]
	v_cmp_class_f64_e64 vcc_lo, v[38:39], 0x204
	s_delay_alu instid0(VALU_DEP_4) | instskip(NEXT) | instid1(VALU_DEP_4)
	v_add_f64_e64 v[50:51], v[46:47], -v[58:59]
	v_add_f64_e32 v[48:49], v[46:47], v[52:53]
	s_delay_alu instid0(VALU_DEP_4) | instskip(SKIP_1) | instid1(VALU_DEP_4)
	v_div_fixup_f64 v[36:37], v[42:43], v[40:41], v[36:37]
	v_add_f64_e64 v[44:45], v[52:53], -v[44:45]
	v_add_f64_e64 v[50:51], v[56:57], -v[50:51]
	s_delay_alu instid0(VALU_DEP_4) | instskip(NEXT) | instid1(VALU_DEP_4)
	v_add_f64_e64 v[40:41], v[48:49], -v[46:47]
	v_mul_f64_e32 v[42:43], v[36:37], v[36:37]
	s_delay_alu instid0(VALU_DEP_4) | instskip(NEXT) | instid1(VALU_DEP_3)
	v_add_f64_e64 v[10:11], v[10:11], -v[44:45]
	v_add_f64_e64 v[54:55], v[48:49], -v[40:41]
	s_delay_alu instid0(VALU_DEP_3) | instskip(SKIP_1) | instid1(VALU_DEP_4)
	v_fmamk_f64 v[58:59], v[42:43], 0x3eeba404b5e68a13, v[24:25]
	v_add_f64_e64 v[40:41], v[52:53], -v[40:41]
	v_add_f64_e32 v[52:53], v[50:51], v[10:11]
	s_delay_alu instid0(VALU_DEP_3) | instskip(SKIP_1) | instid1(VALU_DEP_2)
	v_fmaak_f64 v[58:59], v[42:43], v[58:59], 0x3f4b2bb069efb384
	v_add_f64_e64 v[44:45], v[46:47], -v[54:55]
	v_fmaak_f64 v[46:47], v[42:43], v[58:59], 0xbf67952daf56de9b
	s_delay_alu instid0(VALU_DEP_1) | instskip(NEXT) | instid1(VALU_DEP_1)
	v_fmaak_f64 v[46:47], v[42:43], v[46:47], 0x3f7d6d43a595c56f
	v_fmaak_f64 v[46:47], v[42:43], v[46:47], 0xbf8c6ea4a57d9582
	s_delay_alu instid0(VALU_DEP_1) | instskip(SKIP_1) | instid1(VALU_DEP_2)
	v_fmaak_f64 v[46:47], v[42:43], v[46:47], 0x3f967e295f08b19f
	v_add_f64_e32 v[40:41], v[40:41], v[44:45]
	v_fmaak_f64 v[44:45], v[42:43], v[46:47], 0xbf9e9ae6fc27006a
	v_add_f64_e64 v[46:47], v[52:53], -v[50:51]
	s_delay_alu instid0(VALU_DEP_2) | instskip(NEXT) | instid1(VALU_DEP_1)
	v_fmaak_f64 v[44:45], v[42:43], v[44:45], 0x3fa2c15b5711927a
	v_fmaak_f64 v[44:45], v[42:43], v[44:45], 0xbfa59976e82d3ff0
	s_delay_alu instid0(VALU_DEP_1) | instskip(NEXT) | instid1(VALU_DEP_1)
	v_fmaak_f64 v[44:45], v[42:43], v[44:45], 0x3fa82d5d6ef28734
	v_fmaak_f64 v[44:45], v[42:43], v[44:45], 0xbfaae5ce6a214619
	v_add_f64_e32 v[40:41], v[52:53], v[40:41]
	v_add_f64_e64 v[52:53], v[52:53], -v[46:47]
	v_add_f64_e64 v[10:11], v[10:11], -v[46:47]
	s_delay_alu instid0(VALU_DEP_4) | instskip(NEXT) | instid1(VALU_DEP_1)
	v_fmaak_f64 v[44:45], v[42:43], v[44:45], 0x3fae1bb48427b883
	v_fmaak_f64 v[44:45], v[42:43], v[44:45], 0xbfb110e48b207f05
	s_delay_alu instid0(VALU_DEP_1) | instskip(NEXT) | instid1(VALU_DEP_1)
	v_fmaak_f64 v[44:45], v[42:43], v[44:45], 0x3fb3b13657b87036
	v_fmaak_f64 v[44:45], v[42:43], v[44:45], 0xbfb745d119378e4f
	s_delay_alu instid0(VALU_DEP_1) | instskip(SKIP_1) | instid1(VALU_DEP_2)
	v_fmaak_f64 v[44:45], v[42:43], v[44:45], 0x3fbc71c717e1913c
	v_add_f64_e32 v[54:55], v[48:49], v[40:41]
	v_fmaak_f64 v[44:45], v[42:43], v[44:45], 0xbfc2492492376b7d
	s_delay_alu instid0(VALU_DEP_1) | instskip(NEXT) | instid1(VALU_DEP_1)
	v_fmaak_f64 v[44:45], v[42:43], v[44:45], 0x3fc99999999952cc
	v_fmaak_f64 v[44:45], v[42:43], v[44:45], 0xbfd5555555555523
	s_delay_alu instid0(VALU_DEP_1) | instskip(SKIP_2) | instid1(VALU_DEP_3)
	v_mul_f64_e32 v[42:43], v[42:43], v[44:45]
	v_add_f64_e64 v[44:45], v[50:51], -v[52:53]
	v_add_f64_e64 v[46:47], v[54:55], -v[48:49]
	v_fmac_f64_e32 v[36:37], v[36:37], v[42:43]
	s_delay_alu instid0(VALU_DEP_3) | instskip(NEXT) | instid1(VALU_DEP_3)
	v_add_f64_e32 v[10:11], v[10:11], v[44:45]
	v_add_f64_e64 v[40:41], v[40:41], -v[46:47]
	s_delay_alu instid0(VALU_DEP_3) | instskip(NEXT) | instid1(VALU_DEP_1)
	v_add_f64_e64 v[42:43], -v[36:37], s[30:31]
	v_dual_add_f64 v[10:11], v[10:11], v[40:41] :: v_dual_cndmask_b32 v37, v37, v43, s2
	s_delay_alu instid0(VALU_DEP_2) | instskip(SKIP_1) | instid1(VALU_DEP_3)
	v_cndmask_b32_e64 v36, v36, v42, s2
	v_cmp_gt_i32_e64 s2, 0, v15
	v_add_f64_e32 v[10:11], v[54:55], v[10:11]
	s_delay_alu instid0(VALU_DEP_3) | instskip(NEXT) | instid1(VALU_DEP_3)
	v_add_f64_e64 v[40:41], -v[36:37], s[34:35]
	v_cndmask_b32_e64 v8, 0x54442d18, v62, s2
	s_delay_alu instid0(VALU_DEP_3) | instskip(SKIP_1) | instid1(VALU_DEP_4)
	v_dual_cndmask_b32 v11, v11, v39 :: v_dual_cndmask_b32 v10, v10, v38
	v_cmp_eq_f64_e32 vcc_lo, 0, v[16:17]
	v_dual_cndmask_b32 v21, v36, v40, s2 :: v_dual_cndmask_b32 v37, v37, v41, s2
	v_cndmask_b32_e64 v36, 0x3fe921fb, v63, s2
	s_delay_alu instid0(VALU_DEP_4) | instskip(SKIP_1) | instid1(VALU_DEP_3)
	v_add_f64_e32 v[10:11], 1.0, v[10:11]
	v_cmp_nge_f64_e64 s2, 0, v[38:39]
	v_bfi_b32 v36, 0x7fffffff, v36, v17
	v_cndmask_b32_e32 v12, v21, v12, vcc_lo
	v_cndmask_b32_e32 v1, v37, v1, vcc_lo
	v_cmp_ngt_f64_e32 vcc_lo, 0, v[38:39]
	v_cndmask_b32_e32 v21, 0x7ff80000, v11, vcc_lo
	s_and_b32 vcc_lo, s5, s3
	s_delay_alu instid0(VALU_DEP_3) | instid1(SALU_CYCLE_1)
	v_dual_cndmask_b32 v11, v1, v36, vcc_lo :: v_dual_cndmask_b32 v36, 0, v10, s2
	v_cmp_neq_f64_e64 s2, 0, v[38:39]
	v_cndmask_b32_e32 v10, v12, v8, vcc_lo
	s_delay_alu instid0(VALU_DEP_2)
	v_cndmask_b32_e64 v37, 0xfff00000, v21, s2
.LBB191_100:                            ;   in Loop: Header=BB191_5 Depth=1
	s_or_b32 exec_lo, exec_lo, s4
.LBB191_101:                            ;   in Loop: Header=BB191_5 Depth=1
	s_and_not1_saveexec_b32 s2, s44
	s_cbranch_execz .LBB191_107
; %bb.102:                              ;   in Loop: Header=BB191_5 Depth=1
	v_cmp_ngt_f64_e64 s3, 0x20000000, |v[14:15]|
	v_cmp_ngt_f64_e64 s4, 0x20000000, |v[16:17]|
                                        ; implicit-def: $vgpr38_vgpr39
	s_or_b32 s3, s3, s4
	s_delay_alu instid0(SALU_CYCLE_1) | instskip(NEXT) | instid1(SALU_CYCLE_1)
	s_and_saveexec_b32 s4, s3
	s_xor_b32 s3, exec_lo, s4
	s_cbranch_execz .LBB191_104
; %bb.103:                              ;   in Loop: Header=BB191_5 Depth=1
	v_mul_f64_e32 v[38:39], v[16:17], v[16:17]
	s_delay_alu instid0(VALU_DEP_1)
	v_fmac_f64_e32 v[38:39], v[14:15], v[14:15]
.LBB191_104:                            ;   in Loop: Header=BB191_5 Depth=1
	s_and_not1_saveexec_b32 s3, s3
	s_cbranch_execz .LBB191_106
; %bb.105:                              ;   in Loop: Header=BB191_5 Depth=1
	v_mul_f64_e32 v[10:11], 4.0, v[16:17]
	v_mul_f64_e32 v[14:15], 4.0, v[14:15]
	s_delay_alu instid0(VALU_DEP_2) | instskip(NEXT) | instid1(VALU_DEP_1)
	v_mul_f64_e32 v[10:11], v[10:11], v[10:11]
	v_fmac_f64_e32 v[10:11], v[14:15], v[14:15]
	s_delay_alu instid0(VALU_DEP_1)
	v_ldexp_f64 v[38:39], v[10:11], -4
.LBB191_106:                            ;   in Loop: Header=BB191_5 Depth=1
	s_or_b32 exec_lo, exec_lo, s3
	s_delay_alu instid0(VALU_DEP_1) | instskip(NEXT) | instid1(VALU_DEP_1)
	v_frexp_mant_f64_e32 v[10:11], v[38:39]
	v_cmp_gt_f64_e32 vcc_lo, s[26:27], v[10:11]
	v_cndmask_b32_e64 v1, 0, 1, vcc_lo
	s_delay_alu instid0(VALU_DEP_1) | instskip(SKIP_1) | instid1(VALU_DEP_2)
	v_ldexp_f64 v[10:11], v[10:11], v1
	v_frexp_exp_i32_f64_e32 v1, v[38:39]
	v_add_f64_e32 v[14:15], 1.0, v[10:11]
	v_add_f64_e32 v[42:43], -1.0, v[10:11]
	s_delay_alu instid0(VALU_DEP_3) | instskip(SKIP_1) | instid1(VALU_DEP_4)
	v_subrev_co_ci_u32_e64 v1, null, 0, v1, vcc_lo
	v_cmp_class_f64_e64 vcc_lo, v[38:39], 0x204
	v_rcp_f64_e32 v[36:37], v[14:15]
	v_add_f64_e32 v[44:45], -1.0, v[14:15]
	s_delay_alu instid0(VALU_DEP_1) | instskip(NEXT) | instid1(TRANS32_DEP_1)
	v_add_f64_e64 v[10:11], v[10:11], -v[44:45]
	v_fma_f64 v[40:41], -v[14:15], v[36:37], 1.0
	s_delay_alu instid0(VALU_DEP_1) | instskip(NEXT) | instid1(VALU_DEP_1)
	v_fmac_f64_e32 v[36:37], v[40:41], v[36:37]
	v_fma_f64 v[40:41], -v[14:15], v[36:37], 1.0
	s_delay_alu instid0(VALU_DEP_1) | instskip(NEXT) | instid1(VALU_DEP_1)
	v_fmac_f64_e32 v[36:37], v[40:41], v[36:37]
	v_mul_f64_e32 v[40:41], v[42:43], v[36:37]
	s_delay_alu instid0(VALU_DEP_1) | instskip(NEXT) | instid1(VALU_DEP_1)
	v_mul_f64_e32 v[46:47], v[14:15], v[40:41]
	v_fma_f64 v[14:15], v[40:41], v[14:15], -v[46:47]
	s_delay_alu instid0(VALU_DEP_1) | instskip(NEXT) | instid1(VALU_DEP_1)
	v_fmac_f64_e32 v[14:15], v[40:41], v[10:11]
	v_add_f64_e32 v[10:11], v[46:47], v[14:15]
	s_delay_alu instid0(VALU_DEP_1) | instskip(SKIP_1) | instid1(VALU_DEP_2)
	v_add_f64_e64 v[44:45], v[42:43], -v[10:11]
	v_add_f64_e64 v[46:47], v[10:11], -v[46:47]
	;; [unrolled: 1-line block ×3, first 2 shown]
	s_delay_alu instid0(VALU_DEP_2) | instskip(NEXT) | instid1(VALU_DEP_2)
	v_add_f64_e64 v[14:15], v[46:47], -v[14:15]
	v_add_f64_e64 v[10:11], v[42:43], -v[10:11]
	s_delay_alu instid0(VALU_DEP_1) | instskip(NEXT) | instid1(VALU_DEP_1)
	v_add_f64_e32 v[10:11], v[14:15], v[10:11]
	v_add_f64_e32 v[10:11], v[44:45], v[10:11]
	s_delay_alu instid0(VALU_DEP_1) | instskip(NEXT) | instid1(VALU_DEP_1)
	v_mul_f64_e32 v[10:11], v[36:37], v[10:11]
	v_add_f64_e32 v[14:15], v[40:41], v[10:11]
	s_delay_alu instid0(VALU_DEP_1) | instskip(NEXT) | instid1(VALU_DEP_1)
	v_mul_f64_e32 v[36:37], v[14:15], v[14:15]
	v_fmamk_f64 v[42:43], v[36:37], 0x3fc3ab76bf559e2b, v[22:23]
	v_mul_f64_e32 v[44:45], v[14:15], v[36:37]
	s_delay_alu instid0(VALU_DEP_2) | instskip(NEXT) | instid1(VALU_DEP_1)
	v_fmaak_f64 v[42:43], v[36:37], v[42:43], 0x3fc7474dd7f4df2e
	v_fmaak_f64 v[42:43], v[36:37], v[42:43], 0x3fcc71c016291751
	s_delay_alu instid0(VALU_DEP_1) | instskip(NEXT) | instid1(VALU_DEP_1)
	v_fmaak_f64 v[42:43], v[36:37], v[42:43], 0x3fd249249b27acf1
	v_fmaak_f64 v[42:43], v[36:37], v[42:43], 0x3fd99999998ef7b6
	s_delay_alu instid0(VALU_DEP_1) | instskip(SKIP_2) | instid1(VALU_DEP_3)
	v_fmaak_f64 v[36:37], v[36:37], v[42:43], 0x3fe5555555555780
	v_ldexp_f64 v[42:43], v[14:15], 1
	v_add_f64_e64 v[14:15], v[14:15], -v[40:41]
	v_mul_f64_e32 v[36:37], v[44:45], v[36:37]
	v_cvt_f64_i32_e32 v[44:45], v1
	s_delay_alu instid0(VALU_DEP_3) | instskip(NEXT) | instid1(VALU_DEP_3)
	v_add_f64_e64 v[10:11], v[10:11], -v[14:15]
	v_add_f64_e32 v[40:41], v[42:43], v[36:37]
	s_delay_alu instid0(VALU_DEP_3) | instskip(NEXT) | instid1(VALU_DEP_3)
	v_mul_f64_e32 v[46:47], 0x3fe62e42fefa39ef, v[44:45]
	v_ldexp_f64 v[10:11], v[10:11], 1
	s_delay_alu instid0(VALU_DEP_3) | instskip(NEXT) | instid1(VALU_DEP_3)
	v_add_f64_e64 v[14:15], v[40:41], -v[42:43]
	v_fma_f64 v[42:43], v[44:45], s[28:29], -v[46:47]
	s_delay_alu instid0(VALU_DEP_2) | instskip(NEXT) | instid1(VALU_DEP_2)
	v_add_f64_e64 v[14:15], v[36:37], -v[14:15]
	v_fmac_f64_e32 v[42:43], 0x3c7abc9e3b39803f, v[44:45]
	s_delay_alu instid0(VALU_DEP_2) | instskip(NEXT) | instid1(VALU_DEP_2)
	v_add_f64_e32 v[10:11], v[10:11], v[14:15]
	v_add_f64_e32 v[14:15], v[46:47], v[42:43]
	s_delay_alu instid0(VALU_DEP_2) | instskip(NEXT) | instid1(VALU_DEP_2)
	v_add_f64_e32 v[36:37], v[40:41], v[10:11]
	v_add_f64_e64 v[46:47], v[14:15], -v[46:47]
	s_delay_alu instid0(VALU_DEP_2) | instskip(SKIP_1) | instid1(VALU_DEP_3)
	v_add_f64_e32 v[44:45], v[14:15], v[36:37]
	v_add_f64_e64 v[40:41], v[36:37], -v[40:41]
	v_add_f64_e64 v[42:43], v[42:43], -v[46:47]
	s_delay_alu instid0(VALU_DEP_3) | instskip(NEXT) | instid1(VALU_DEP_3)
	v_add_f64_e64 v[48:49], v[44:45], -v[14:15]
	v_add_f64_e64 v[10:11], v[10:11], -v[40:41]
	s_delay_alu instid0(VALU_DEP_2) | instskip(SKIP_1) | instid1(VALU_DEP_3)
	v_add_f64_e64 v[50:51], v[44:45], -v[48:49]
	v_add_f64_e64 v[36:37], v[36:37], -v[48:49]
	v_add_f64_e32 v[40:41], v[42:43], v[10:11]
	s_delay_alu instid0(VALU_DEP_3) | instskip(NEXT) | instid1(VALU_DEP_1)
	v_add_f64_e64 v[14:15], v[14:15], -v[50:51]
	v_add_f64_e32 v[14:15], v[36:37], v[14:15]
	s_delay_alu instid0(VALU_DEP_3) | instskip(NEXT) | instid1(VALU_DEP_2)
	v_add_f64_e64 v[36:37], v[40:41], -v[42:43]
	v_add_f64_e32 v[14:15], v[40:41], v[14:15]
	s_delay_alu instid0(VALU_DEP_2) | instskip(SKIP_1) | instid1(VALU_DEP_3)
	v_add_f64_e64 v[40:41], v[40:41], -v[36:37]
	v_add_f64_e64 v[10:11], v[10:11], -v[36:37]
	v_add_f64_e32 v[46:47], v[44:45], v[14:15]
	s_delay_alu instid0(VALU_DEP_3) | instskip(NEXT) | instid1(VALU_DEP_2)
	v_add_f64_e64 v[36:37], v[42:43], -v[40:41]
	v_add_f64_e64 v[40:41], v[46:47], -v[44:45]
	s_delay_alu instid0(VALU_DEP_2) | instskip(NEXT) | instid1(VALU_DEP_2)
	v_add_f64_e32 v[10:11], v[10:11], v[36:37]
	v_add_f64_e64 v[14:15], v[14:15], -v[40:41]
	s_delay_alu instid0(VALU_DEP_1) | instskip(NEXT) | instid1(VALU_DEP_1)
	v_add_f64_e32 v[10:11], v[10:11], v[14:15]
	v_add_f64_e32 v[10:11], v[46:47], v[10:11]
	s_delay_alu instid0(VALU_DEP_1) | instskip(SKIP_2) | instid1(VALU_DEP_3)
	v_dual_cndmask_b32 v1, v10, v38 :: v_dual_cndmask_b32 v8, v11, v39
	v_cmp_ngt_f64_e32 vcc_lo, 0, v[38:39]
	v_mov_b64_e32 v[10:11], 0x7ff8000000000000
	v_cndmask_b32_e32 v8, 0x7ff80000, v8, vcc_lo
	v_cmp_nge_f64_e32 vcc_lo, 0, v[38:39]
	v_cndmask_b32_e32 v36, 0, v1, vcc_lo
	v_cmp_neq_f64_e32 vcc_lo, 0, v[38:39]
	s_delay_alu instid0(VALU_DEP_4)
	v_cndmask_b32_e32 v37, 0xfff00000, v8, vcc_lo
.LBB191_107:                            ;   in Loop: Header=BB191_5 Depth=1
	s_or_b32 exec_lo, exec_lo, s2
                                        ; implicit-def: $vgpr14_vgpr15
                                        ; implicit-def: $vgpr38_vgpr39
	s_delay_alu instid0(SALU_CYCLE_1)
	s_mov_b32 s2, exec_lo
	v_cmpx_o_f64_e32 v[2:3], v[4:5]
	s_xor_b32 s44, exec_lo, s2
	s_cbranch_execz .LBB191_135
; %bb.108:                              ;   in Loop: Header=BB191_5 Depth=1
	v_cmp_lt_f64_e64 s2, |v[2:3]|, |v[4:5]|
	v_and_b32_e32 v12, 0x7fffffff, v3
	v_and_b32_e32 v1, 0x7fffffff, v5
	v_mov_b32_e32 v8, v4
                                        ; implicit-def: $vgpr14_vgpr15
                                        ; implicit-def: $vgpr38_vgpr39
	s_mov_b32 s3, exec_lo
	s_delay_alu instid0(VALU_DEP_2) | instskip(NEXT) | instid1(VALU_DEP_1)
	v_dual_cndmask_b32 v43, v1, v12, s2 :: v_dual_cndmask_b32 v42, v4, v2, s2
	v_cmpx_nlt_f64_e32 s[20:21], v[42:43]
	s_xor_b32 s45, exec_lo, s3
	s_cbranch_execz .LBB191_132
; %bb.109:                              ;   in Loop: Header=BB191_5 Depth=1
	v_dual_cndmask_b32 v45, v12, v1, s2 :: v_dual_cndmask_b32 v44, v2, v8, s2
                                        ; implicit-def: $vgpr14_vgpr15
                                        ; implicit-def: $vgpr38_vgpr39
	s_mov_b32 s3, exec_lo
	s_delay_alu instid0(VALU_DEP_1)
	v_cmpx_neq_f64_e32 1.0, v[44:45]
	s_xor_b32 s46, exec_lo, s3
	s_cbranch_execz .LBB191_125
; %bb.110:                              ;   in Loop: Header=BB191_5 Depth=1
	v_max_num_f64_e32 v[14:15], v[42:43], v[42:43]
	v_max_num_f64_e32 v[38:39], v[44:45], v[44:45]
	s_delay_alu instid0(VALU_DEP_1) | instskip(SKIP_1) | instid1(VALU_DEP_2)
	v_min_num_f64_e32 v[40:41], v[38:39], v[14:15]
	v_max_num_f64_e32 v[14:15], v[38:39], v[14:15]
                                        ; implicit-def: $vgpr38_vgpr39
	v_cmp_ngt_f64_e32 vcc_lo, s[22:23], v[40:41]
	s_delay_alu instid0(VALU_DEP_2) | instskip(SKIP_1) | instid1(SALU_CYCLE_1)
	v_cmp_nlt_f64_e64 s3, s[24:25], v[14:15]
                                        ; implicit-def: $vgpr14_vgpr15
	s_and_b32 s3, s3, vcc_lo
	s_and_saveexec_b32 s4, s3
	s_delay_alu instid0(SALU_CYCLE_1)
	s_xor_b32 s47, exec_lo, s4
	s_cbranch_execz .LBB191_122
; %bb.111:                              ;   in Loop: Header=BB191_5 Depth=1
                                        ; implicit-def: $vgpr14_vgpr15
                                        ; implicit-def: $vgpr38_vgpr39
	s_mov_b32 s3, exec_lo
	v_cmpx_le_f64_e32 1.0, v[44:45]
	s_xor_b32 s6, exec_lo, s3
	s_cbranch_execz .LBB191_113
; %bb.112:                              ;   in Loop: Header=BB191_5 Depth=1
	v_add_f64_e32 v[14:15], -1.0, v[44:45]
	v_add_f64_e32 v[38:39], 1.0, v[44:45]
	v_cmp_eq_f64_e64 s3, 0, v[4:5]
	v_cmp_class_f64_e64 s7, v[4:5], 0x204
	v_cmp_class_f64_e64 s8, v[2:3], 0x204
	s_delay_alu instid0(VALU_DEP_4) | instskip(NEXT) | instid1(VALU_DEP_1)
	v_mul_f64_e32 v[40:41], v[14:15], v[38:39]
	v_fmac_f64_e32 v[40:41], v[42:43], v[42:43]
	s_delay_alu instid0(VALU_DEP_1) | instskip(SKIP_2) | instid1(VALU_DEP_3)
	v_add_f64_e32 v[14:15], 1.0, v[40:41]
	v_cmp_nge_f64_e64 s4, -1.0, v[40:41]
	v_cmp_neq_f64_e64 s5, 0x7ff00000, v[40:41]
	v_frexp_mant_f64_e32 v[38:39], v[14:15]
	v_frexp_exp_i32_f64_e32 v1, v[14:15]
	v_add_f64_e32 v[42:43], -1.0, v[14:15]
	s_delay_alu instid0(VALU_DEP_3) | instskip(NEXT) | instid1(VALU_DEP_2)
	v_cmp_gt_f64_e32 vcc_lo, s[26:27], v[38:39]
	v_add_f64_e64 v[38:39], v[42:43], -v[14:15]
	v_add_f64_e64 v[42:43], v[40:41], -v[42:43]
	v_subrev_co_ci_u32_e64 v1, null, 0, v1, vcc_lo
	s_delay_alu instid0(VALU_DEP_1) | instskip(NEXT) | instid1(VALU_DEP_1)
	v_dual_add_f64 v[38:39], 1.0, v[38:39] :: v_dual_sub_nc_u32 v8, 0, v1
	v_ldexp_f64 v[14:15], v[14:15], v8
	s_delay_alu instid0(VALU_DEP_2) | instskip(NEXT) | instid1(VALU_DEP_2)
	v_add_f64_e32 v[38:39], v[42:43], v[38:39]
	v_add_f64_e32 v[44:45], 1.0, v[14:15]
	v_add_f64_e32 v[50:51], -1.0, v[14:15]
	s_delay_alu instid0(VALU_DEP_3) | instskip(NEXT) | instid1(VALU_DEP_3)
	v_ldexp_f64 v[38:39], v[38:39], v8
	v_add_f64_e32 v[42:43], -1.0, v[44:45]
	s_delay_alu instid0(VALU_DEP_3) | instskip(NEXT) | instid1(VALU_DEP_2)
	v_add_f64_e32 v[52:53], 1.0, v[50:51]
	v_add_f64_e64 v[42:43], v[14:15], -v[42:43]
	s_delay_alu instid0(VALU_DEP_2) | instskip(NEXT) | instid1(VALU_DEP_2)
	v_add_f64_e64 v[14:15], v[14:15], -v[52:53]
	v_add_f64_e32 v[42:43], v[38:39], v[42:43]
	s_delay_alu instid0(VALU_DEP_2) | instskip(NEXT) | instid1(VALU_DEP_2)
	v_add_f64_e32 v[14:15], v[38:39], v[14:15]
	v_add_f64_e32 v[46:47], v[44:45], v[42:43]
	s_delay_alu instid0(VALU_DEP_2) | instskip(NEXT) | instid1(VALU_DEP_2)
	v_add_f64_e32 v[52:53], v[50:51], v[14:15]
	v_rcp_f64_e32 v[48:49], v[46:47]
	v_add_f64_e64 v[44:45], v[46:47], -v[44:45]
	s_delay_alu instid0(VALU_DEP_2) | instskip(NEXT) | instid1(VALU_DEP_2)
	v_add_f64_e64 v[50:51], v[52:53], -v[50:51]
	v_add_f64_e64 v[42:43], v[42:43], -v[44:45]
	s_delay_alu instid0(VALU_DEP_2) | instskip(NEXT) | instid1(TRANS32_DEP_1)
	v_add_f64_e64 v[14:15], v[14:15], -v[50:51]
	v_fma_f64 v[54:55], -v[46:47], v[48:49], 1.0
	s_delay_alu instid0(VALU_DEP_1) | instskip(NEXT) | instid1(VALU_DEP_1)
	v_fmac_f64_e32 v[48:49], v[54:55], v[48:49]
	v_fma_f64 v[38:39], -v[46:47], v[48:49], 1.0
	s_delay_alu instid0(VALU_DEP_1) | instskip(NEXT) | instid1(VALU_DEP_1)
	v_fmac_f64_e32 v[48:49], v[38:39], v[48:49]
	v_mul_f64_e32 v[38:39], v[52:53], v[48:49]
	s_delay_alu instid0(VALU_DEP_1) | instskip(NEXT) | instid1(VALU_DEP_1)
	v_mul_f64_e32 v[54:55], v[46:47], v[38:39]
	v_fma_f64 v[44:45], v[38:39], v[46:47], -v[54:55]
	s_delay_alu instid0(VALU_DEP_1) | instskip(NEXT) | instid1(VALU_DEP_1)
	v_fmac_f64_e32 v[44:45], v[38:39], v[42:43]
	v_add_f64_e32 v[56:57], v[54:55], v[44:45]
	s_delay_alu instid0(VALU_DEP_1) | instskip(SKIP_1) | instid1(VALU_DEP_2)
	v_add_f64_e64 v[58:59], v[52:53], -v[56:57]
	v_add_f64_e64 v[50:51], v[56:57], -v[54:55]
	;; [unrolled: 1-line block ×3, first 2 shown]
	s_delay_alu instid0(VALU_DEP_2) | instskip(NEXT) | instid1(VALU_DEP_2)
	v_add_f64_e64 v[44:45], v[50:51], -v[44:45]
	v_add_f64_e64 v[52:53], v[52:53], -v[56:57]
	s_delay_alu instid0(VALU_DEP_1) | instskip(NEXT) | instid1(VALU_DEP_1)
	v_add_f64_e32 v[14:15], v[14:15], v[52:53]
	v_add_f64_e32 v[14:15], v[44:45], v[14:15]
	s_delay_alu instid0(VALU_DEP_1) | instskip(NEXT) | instid1(VALU_DEP_1)
	v_add_f64_e32 v[44:45], v[58:59], v[14:15]
	v_mul_f64_e32 v[50:51], v[48:49], v[44:45]
	v_add_f64_e64 v[56:57], v[58:59], -v[44:45]
	s_delay_alu instid0(VALU_DEP_2) | instskip(NEXT) | instid1(VALU_DEP_2)
	v_mul_f64_e32 v[52:53], v[46:47], v[50:51]
	v_add_f64_e32 v[14:15], v[14:15], v[56:57]
	s_delay_alu instid0(VALU_DEP_2) | instskip(NEXT) | instid1(VALU_DEP_1)
	v_fma_f64 v[46:47], v[50:51], v[46:47], -v[52:53]
	v_fmac_f64_e32 v[46:47], v[50:51], v[42:43]
	s_delay_alu instid0(VALU_DEP_1) | instskip(NEXT) | instid1(VALU_DEP_1)
	v_add_f64_e32 v[42:43], v[52:53], v[46:47]
	v_add_f64_e64 v[54:55], v[44:45], -v[42:43]
	v_add_f64_e64 v[52:53], v[42:43], -v[52:53]
	s_delay_alu instid0(VALU_DEP_2) | instskip(NEXT) | instid1(VALU_DEP_1)
	v_add_f64_e64 v[44:45], v[44:45], -v[54:55]
	v_add_f64_e64 v[42:43], v[44:45], -v[42:43]
	s_delay_alu instid0(VALU_DEP_3) | instskip(SKIP_1) | instid1(VALU_DEP_3)
	v_add_f64_e64 v[44:45], v[52:53], -v[46:47]
	v_max_num_f64_e64 v[46:47], |v[2:3]|, |v[2:3]|
	v_add_f64_e32 v[14:15], v[14:15], v[42:43]
	v_add_f64_e32 v[42:43], v[38:39], v[50:51]
	s_delay_alu instid0(VALU_DEP_2) | instskip(NEXT) | instid1(VALU_DEP_2)
	v_add_f64_e32 v[14:15], v[44:45], v[14:15]
	v_add_f64_e64 v[38:39], v[42:43], -v[38:39]
	v_max_num_f64_e64 v[44:45], |v[4:5]|, |v[4:5]|
	s_delay_alu instid0(VALU_DEP_3) | instskip(NEXT) | instid1(VALU_DEP_3)
	v_add_f64_e32 v[14:15], v[54:55], v[14:15]
	v_add_f64_e64 v[38:39], v[50:51], -v[38:39]
	s_delay_alu instid0(VALU_DEP_2) | instskip(NEXT) | instid1(VALU_DEP_1)
	v_mul_f64_e32 v[14:15], v[48:49], v[14:15]
	v_add_f64_e32 v[14:15], v[38:39], v[14:15]
	v_max_num_f64_e32 v[38:39], v[46:47], v[44:45]
	v_min_num_f64_e32 v[44:45], v[46:47], v[44:45]
	s_delay_alu instid0(VALU_DEP_3) | instskip(NEXT) | instid1(VALU_DEP_2)
	v_add_f64_e32 v[46:47], v[42:43], v[14:15]
	v_div_scale_f64 v[48:49], null, v[38:39], v[38:39], v[44:45]
	s_delay_alu instid0(VALU_DEP_2) | instskip(SKIP_1) | instid1(VALU_DEP_3)
	v_mul_f64_e32 v[50:51], v[46:47], v[46:47]
	v_add_f64_e64 v[42:43], v[46:47], -v[42:43]
	v_rcp_f64_e32 v[52:53], v[48:49]
	s_delay_alu instid0(VALU_DEP_2) | instskip(SKIP_1) | instid1(VALU_DEP_3)
	v_fmamk_f64 v[54:55], v[50:51], 0x3fc3ab76bf559e2b, v[22:23]
	v_mul_f64_e32 v[56:57], v[46:47], v[50:51]
	v_add_f64_e64 v[14:15], v[14:15], -v[42:43]
	s_delay_alu instid0(VALU_DEP_3) | instskip(NEXT) | instid1(TRANS32_DEP_1)
	v_fmaak_f64 v[54:55], v[50:51], v[54:55], 0x3fc7474dd7f4df2e
	v_fma_f64 v[58:59], -v[48:49], v[52:53], 1.0
	s_delay_alu instid0(VALU_DEP_2) | instskip(NEXT) | instid1(VALU_DEP_1)
	v_fmaak_f64 v[54:55], v[50:51], v[54:55], 0x3fcc71c016291751
	v_fmaak_f64 v[54:55], v[50:51], v[54:55], 0x3fd249249b27acf1
	s_delay_alu instid0(VALU_DEP_1) | instskip(SKIP_1) | instid1(VALU_DEP_2)
	v_fmaak_f64 v[54:55], v[50:51], v[54:55], 0x3fd99999998ef7b6
	v_ldexp_f64 v[14:15], v[14:15], 1
	v_fmaak_f64 v[50:51], v[50:51], v[54:55], 0x3fe5555555555780
	v_ldexp_f64 v[54:55], v[46:47], 1
	v_fmac_f64_e32 v[52:53], v[52:53], v[58:59]
	s_delay_alu instid0(VALU_DEP_3) | instskip(SKIP_2) | instid1(VALU_DEP_1)
	v_mul_f64_e32 v[50:51], v[56:57], v[50:51]
	v_cvt_f64_i32_e32 v[56:57], v1
	v_ashrrev_i32_e32 v1, 31, v3
	v_and_b32_e32 v12, 0x54442d18, v1
	v_and_b32_e32 v1, 0x400921fb, v1
	v_fma_f64 v[58:59], -v[48:49], v[52:53], 1.0
	v_add_f64_e32 v[46:47], v[54:55], v[50:51]
	v_mul_f64_e32 v[60:61], 0x3fe62e42fefa39ef, v[56:57]
	s_delay_alu instid0(VALU_DEP_3) | instskip(NEXT) | instid1(VALU_DEP_3)
	v_fmac_f64_e32 v[52:53], v[52:53], v[58:59]
	v_add_f64_e64 v[42:43], v[46:47], -v[54:55]
	v_div_scale_f64 v[54:55], vcc_lo, v[44:45], v[38:39], v[44:45]
	s_delay_alu instid0(VALU_DEP_4) | instskip(NEXT) | instid1(VALU_DEP_3)
	v_fma_f64 v[58:59], v[56:57], s[28:29], -v[60:61]
	v_add_f64_e64 v[42:43], v[50:51], -v[42:43]
	s_delay_alu instid0(VALU_DEP_3) | instskip(NEXT) | instid1(VALU_DEP_3)
	v_mul_f64_e32 v[50:51], v[54:55], v[52:53]
	v_fmac_f64_e32 v[58:59], 0x3c7abc9e3b39803f, v[56:57]
	s_delay_alu instid0(VALU_DEP_3) | instskip(NEXT) | instid1(VALU_DEP_3)
	v_add_f64_e32 v[14:15], v[14:15], v[42:43]
	v_fma_f64 v[42:43], -v[48:49], v[50:51], v[54:55]
	s_delay_alu instid0(VALU_DEP_3) | instskip(NEXT) | instid1(VALU_DEP_3)
	v_add_f64_e32 v[48:49], v[60:61], v[58:59]
	v_add_f64_e32 v[54:55], v[46:47], v[14:15]
	s_delay_alu instid0(VALU_DEP_3) | instskip(SKIP_1) | instid1(VALU_DEP_4)
	v_div_fmas_f64 v[42:43], v[42:43], v[52:53], v[50:51]
	v_cmp_gt_i32_e32 vcc_lo, 0, v3
	v_add_f64_e64 v[52:53], v[48:49], -v[60:61]
	v_cndmask_b32_e32 v8, 0x54442d18, v62, vcc_lo
	v_cndmask_b32_e32 v21, 0x3fe921fb, v63, vcc_lo
	s_delay_alu instid0(VALU_DEP_1) | instskip(SKIP_4) | instid1(VALU_DEP_4)
	v_bfi_b32 v21, 0x7fffffff, v21, v5
	v_add_f64_e32 v[50:51], v[48:49], v[54:55]
	v_div_fixup_f64 v[38:39], v[42:43], v[38:39], v[44:45]
	v_add_f64_e64 v[46:47], v[54:55], -v[46:47]
	v_add_f64_e64 v[52:53], v[58:59], -v[52:53]
	;; [unrolled: 1-line block ×3, first 2 shown]
	s_delay_alu instid0(VALU_DEP_4) | instskip(NEXT) | instid1(VALU_DEP_4)
	v_mul_f64_e32 v[44:45], v[38:39], v[38:39]
	v_add_f64_e64 v[14:15], v[14:15], -v[46:47]
	s_delay_alu instid0(VALU_DEP_3) | instskip(NEXT) | instid1(VALU_DEP_3)
	v_add_f64_e64 v[56:57], v[50:51], -v[42:43]
	v_fmamk_f64 v[60:61], v[44:45], 0x3eeba404b5e68a13, v[24:25]
	v_add_f64_e64 v[42:43], v[54:55], -v[42:43]
	s_delay_alu instid0(VALU_DEP_4) | instskip(NEXT) | instid1(VALU_DEP_3)
	v_add_f64_e32 v[54:55], v[52:53], v[14:15]
	v_fmaak_f64 v[60:61], v[44:45], v[60:61], 0x3f4b2bb069efb384
	v_add_f64_e64 v[46:47], v[48:49], -v[56:57]
	s_delay_alu instid0(VALU_DEP_2) | instskip(NEXT) | instid1(VALU_DEP_1)
	v_fmaak_f64 v[48:49], v[44:45], v[60:61], 0xbf67952daf56de9b
	v_fmaak_f64 v[48:49], v[44:45], v[48:49], 0x3f7d6d43a595c56f
	s_delay_alu instid0(VALU_DEP_1) | instskip(NEXT) | instid1(VALU_DEP_1)
	v_fmaak_f64 v[48:49], v[44:45], v[48:49], 0xbf8c6ea4a57d9582
	v_fmaak_f64 v[48:49], v[44:45], v[48:49], 0x3f967e295f08b19f
	s_delay_alu instid0(VALU_DEP_1) | instskip(SKIP_1) | instid1(VALU_DEP_2)
	v_fmaak_f64 v[48:49], v[44:45], v[48:49], 0xbf9e9ae6fc27006a
	v_add_f64_e32 v[42:43], v[42:43], v[46:47]
	v_fmaak_f64 v[46:47], v[44:45], v[48:49], 0x3fa2c15b5711927a
	v_add_f64_e64 v[48:49], v[54:55], -v[52:53]
	s_delay_alu instid0(VALU_DEP_2) | instskip(NEXT) | instid1(VALU_DEP_1)
	v_fmaak_f64 v[46:47], v[44:45], v[46:47], 0xbfa59976e82d3ff0
	v_fmaak_f64 v[46:47], v[44:45], v[46:47], 0x3fa82d5d6ef28734
	s_delay_alu instid0(VALU_DEP_1) | instskip(NEXT) | instid1(VALU_DEP_1)
	v_fmaak_f64 v[46:47], v[44:45], v[46:47], 0xbfaae5ce6a214619
	v_fmaak_f64 v[46:47], v[44:45], v[46:47], 0x3fae1bb48427b883
	v_add_f64_e32 v[42:43], v[54:55], v[42:43]
	v_add_f64_e64 v[54:55], v[54:55], -v[48:49]
	v_add_f64_e64 v[14:15], v[14:15], -v[48:49]
	s_delay_alu instid0(VALU_DEP_4) | instskip(NEXT) | instid1(VALU_DEP_1)
	v_fmaak_f64 v[46:47], v[44:45], v[46:47], 0xbfb110e48b207f05
	v_fmaak_f64 v[46:47], v[44:45], v[46:47], 0x3fb3b13657b87036
	s_delay_alu instid0(VALU_DEP_1) | instskip(NEXT) | instid1(VALU_DEP_1)
	v_fmaak_f64 v[46:47], v[44:45], v[46:47], 0xbfb745d119378e4f
	v_fmaak_f64 v[46:47], v[44:45], v[46:47], 0x3fbc71c717e1913c
	v_add_f64_e32 v[56:57], v[50:51], v[42:43]
	s_delay_alu instid0(VALU_DEP_2) | instskip(NEXT) | instid1(VALU_DEP_1)
	v_fmaak_f64 v[46:47], v[44:45], v[46:47], 0xbfc2492492376b7d
	v_fmaak_f64 v[46:47], v[44:45], v[46:47], 0x3fc99999999952cc
	s_delay_alu instid0(VALU_DEP_1) | instskip(NEXT) | instid1(VALU_DEP_1)
	v_fmaak_f64 v[46:47], v[44:45], v[46:47], 0xbfd5555555555523
	v_mul_f64_e32 v[44:45], v[44:45], v[46:47]
	v_add_f64_e64 v[46:47], v[52:53], -v[54:55]
	v_add_f64_e64 v[48:49], v[56:57], -v[50:51]
	s_delay_alu instid0(VALU_DEP_3) | instskip(NEXT) | instid1(VALU_DEP_3)
	v_fmac_f64_e32 v[38:39], v[38:39], v[44:45]
	v_add_f64_e32 v[14:15], v[14:15], v[46:47]
	s_delay_alu instid0(VALU_DEP_3) | instskip(NEXT) | instid1(VALU_DEP_3)
	v_add_f64_e64 v[42:43], v[42:43], -v[48:49]
	v_add_f64_e64 v[44:45], -v[38:39], s[30:31]
	s_delay_alu instid0(VALU_DEP_2) | instskip(NEXT) | instid1(VALU_DEP_2)
	v_add_f64_e32 v[14:15], v[14:15], v[42:43]
	v_dual_cndmask_b32 v39, v39, v45, s2 :: v_dual_cndmask_b32 v38, v38, v44, s2
                                        ; implicit-def: $vgpr44_vgpr45
	s_delay_alu instid0(VALU_DEP_1) | instskip(NEXT) | instid1(VALU_DEP_3)
	v_add_f64_e64 v[42:43], -v[38:39], s[34:35]
	v_add_f64_e32 v[14:15], v[56:57], v[14:15]
	s_delay_alu instid0(VALU_DEP_2) | instskip(SKIP_1) | instid1(VALU_DEP_3)
	v_dual_cndmask_b32 v16, v38, v42, vcc_lo :: v_dual_cndmask_b32 v38, v39, v43, vcc_lo
	v_cmp_ngt_f64_e32 vcc_lo, -1.0, v[40:41]
	v_mul_f64_e32 v[14:15], 0.5, v[14:15]
                                        ; implicit-def: $vgpr42_vgpr43
	s_delay_alu instid0(VALU_DEP_3)
	v_dual_cndmask_b32 v12, v16, v12, s3 :: v_dual_cndmask_b32 v1, v38, v1, s3
	s_and_b32 s3, s4, s5
	s_delay_alu instid0(VALU_DEP_2) | instid1(SALU_CYCLE_1)
	v_cndmask_b32_e64 v14, 0, v14, s3
	v_cmp_neq_f64_e64 s3, -1.0, v[40:41]
	s_delay_alu instid0(VALU_DEP_4) | instskip(NEXT) | instid1(VALU_DEP_1)
	v_cndmask_b32_e64 v15, 0x7ff00000, v15, s5
	v_cndmask_b32_e32 v15, 0x7ff80000, v15, vcc_lo
	s_and_b32 vcc_lo, s8, s7
	v_dual_cndmask_b32 v39, v1, v21 :: v_dual_cndmask_b32 v38, v12, v8
	s_delay_alu instid0(VALU_DEP_2)
	v_cndmask_b32_e64 v15, 0xfff00000, v15, s3
.LBB191_113:                            ;   in Loop: Header=BB191_5 Depth=1
	s_and_not1_saveexec_b32 s48, s6
	s_cbranch_execz .LBB191_121
; %bb.114:                              ;   in Loop: Header=BB191_5 Depth=1
	v_mul_f64_e32 v[40:41], v[42:43], v[42:43]
                                        ; implicit-def: $vgpr14_vgpr15
                                        ; implicit-def: $vgpr38_vgpr39
	s_mov_b32 s3, exec_lo
	s_delay_alu instid0(VALU_DEP_1) | instskip(NEXT) | instid1(VALU_DEP_1)
	v_fmac_f64_e32 v[40:41], v[44:45], v[44:45]
	v_cmpx_ge_f64_e32 s[36:37], v[40:41]
	s_xor_b32 s5, exec_lo, s3
	s_cbranch_execz .LBB191_116
; %bb.115:                              ;   in Loop: Header=BB191_5 Depth=1
	v_frexp_mant_f64_e32 v[14:15], v[40:41]
	v_cmp_eq_f64_e64 s3, 0, v[4:5]
	v_cmp_neq_f64_e64 s4, 0, v[40:41]
	v_cmp_class_f64_e64 s6, v[4:5], 0x204
	v_cmp_class_f64_e64 s7, v[2:3], 0x204
	v_cmp_gt_f64_e32 vcc_lo, s[26:27], v[14:15]
	v_cndmask_b32_e64 v1, 0, 1, vcc_lo
	s_delay_alu instid0(VALU_DEP_1) | instskip(SKIP_1) | instid1(VALU_DEP_2)
	v_ldexp_f64 v[14:15], v[14:15], v1
	v_frexp_exp_i32_f64_e32 v1, v[40:41]
	v_add_f64_e32 v[38:39], 1.0, v[14:15]
	v_add_f64_e32 v[46:47], -1.0, v[14:15]
	s_delay_alu instid0(VALU_DEP_3) | instskip(NEXT) | instid1(VALU_DEP_3)
	v_subrev_co_ci_u32_e64 v1, null, 0, v1, vcc_lo
	v_rcp_f64_e32 v[42:43], v[38:39]
	v_add_f64_e32 v[48:49], -1.0, v[38:39]
	s_delay_alu instid0(VALU_DEP_1) | instskip(NEXT) | instid1(TRANS32_DEP_1)
	v_add_f64_e64 v[14:15], v[14:15], -v[48:49]
	v_fma_f64 v[44:45], -v[38:39], v[42:43], 1.0
	s_delay_alu instid0(VALU_DEP_1) | instskip(NEXT) | instid1(VALU_DEP_1)
	v_fmac_f64_e32 v[42:43], v[44:45], v[42:43]
	v_fma_f64 v[44:45], -v[38:39], v[42:43], 1.0
	s_delay_alu instid0(VALU_DEP_1) | instskip(NEXT) | instid1(VALU_DEP_1)
	v_fmac_f64_e32 v[42:43], v[44:45], v[42:43]
	v_mul_f64_e32 v[44:45], v[46:47], v[42:43]
	s_delay_alu instid0(VALU_DEP_1) | instskip(NEXT) | instid1(VALU_DEP_1)
	v_mul_f64_e32 v[50:51], v[38:39], v[44:45]
	v_fma_f64 v[38:39], v[44:45], v[38:39], -v[50:51]
	s_delay_alu instid0(VALU_DEP_1) | instskip(NEXT) | instid1(VALU_DEP_1)
	v_fmac_f64_e32 v[38:39], v[44:45], v[14:15]
	v_add_f64_e32 v[14:15], v[50:51], v[38:39]
	s_delay_alu instid0(VALU_DEP_1) | instskip(SKIP_1) | instid1(VALU_DEP_2)
	v_add_f64_e64 v[48:49], v[46:47], -v[14:15]
	v_add_f64_e64 v[50:51], v[14:15], -v[50:51]
	v_add_f64_e64 v[46:47], v[46:47], -v[48:49]
	s_delay_alu instid0(VALU_DEP_2) | instskip(NEXT) | instid1(VALU_DEP_2)
	v_add_f64_e64 v[38:39], v[50:51], -v[38:39]
	v_add_f64_e64 v[14:15], v[46:47], -v[14:15]
	v_max_num_f64_e64 v[46:47], |v[2:3]|, |v[2:3]|
	s_delay_alu instid0(VALU_DEP_2) | instskip(SKIP_1) | instid1(VALU_DEP_2)
	v_add_f64_e32 v[14:15], v[38:39], v[14:15]
	v_max_num_f64_e64 v[38:39], |v[4:5]|, |v[4:5]|
	v_add_f64_e32 v[14:15], v[48:49], v[14:15]
	s_delay_alu instid0(VALU_DEP_1) | instskip(NEXT) | instid1(VALU_DEP_3)
	v_mul_f64_e32 v[14:15], v[42:43], v[14:15]
	v_max_num_f64_e32 v[42:43], v[46:47], v[38:39]
	v_min_num_f64_e32 v[38:39], v[46:47], v[38:39]
	s_delay_alu instid0(VALU_DEP_3) | instskip(NEXT) | instid1(VALU_DEP_2)
	v_add_f64_e32 v[46:47], v[44:45], v[14:15]
	v_div_scale_f64 v[48:49], null, v[42:43], v[42:43], v[38:39]
	s_delay_alu instid0(VALU_DEP_2) | instskip(SKIP_1) | instid1(VALU_DEP_3)
	v_mul_f64_e32 v[50:51], v[46:47], v[46:47]
	v_add_f64_e64 v[44:45], v[46:47], -v[44:45]
	v_rcp_f64_e32 v[52:53], v[48:49]
	s_delay_alu instid0(VALU_DEP_2) | instskip(SKIP_1) | instid1(VALU_DEP_3)
	v_fmamk_f64 v[54:55], v[50:51], 0x3fc3ab76bf559e2b, v[22:23]
	v_mul_f64_e32 v[56:57], v[46:47], v[50:51]
	v_add_f64_e64 v[14:15], v[14:15], -v[44:45]
	s_delay_alu instid0(VALU_DEP_3) | instskip(NEXT) | instid1(TRANS32_DEP_1)
	v_fmaak_f64 v[54:55], v[50:51], v[54:55], 0x3fc7474dd7f4df2e
	v_fma_f64 v[58:59], -v[48:49], v[52:53], 1.0
	s_delay_alu instid0(VALU_DEP_2) | instskip(NEXT) | instid1(VALU_DEP_1)
	v_fmaak_f64 v[54:55], v[50:51], v[54:55], 0x3fcc71c016291751
	v_fmaak_f64 v[54:55], v[50:51], v[54:55], 0x3fd249249b27acf1
	s_delay_alu instid0(VALU_DEP_1) | instskip(SKIP_1) | instid1(VALU_DEP_2)
	v_fmaak_f64 v[54:55], v[50:51], v[54:55], 0x3fd99999998ef7b6
	v_ldexp_f64 v[14:15], v[14:15], 1
	v_fmaak_f64 v[50:51], v[50:51], v[54:55], 0x3fe5555555555780
	v_ldexp_f64 v[54:55], v[46:47], 1
	v_fmac_f64_e32 v[52:53], v[52:53], v[58:59]
	s_delay_alu instid0(VALU_DEP_3) | instskip(SKIP_2) | instid1(VALU_DEP_1)
	v_mul_f64_e32 v[50:51], v[56:57], v[50:51]
	v_cvt_f64_i32_e32 v[56:57], v1
	v_ashrrev_i32_e32 v1, 31, v3
	v_and_b32_e32 v12, 0x54442d18, v1
	v_and_b32_e32 v1, 0x400921fb, v1
	v_fma_f64 v[58:59], -v[48:49], v[52:53], 1.0
	v_add_f64_e32 v[46:47], v[54:55], v[50:51]
	v_mul_f64_e32 v[60:61], 0x3fe62e42fefa39ef, v[56:57]
	s_delay_alu instid0(VALU_DEP_3) | instskip(NEXT) | instid1(VALU_DEP_3)
	v_fmac_f64_e32 v[52:53], v[52:53], v[58:59]
	v_add_f64_e64 v[44:45], v[46:47], -v[54:55]
	v_div_scale_f64 v[54:55], vcc_lo, v[38:39], v[42:43], v[38:39]
	s_delay_alu instid0(VALU_DEP_4) | instskip(NEXT) | instid1(VALU_DEP_3)
	v_fma_f64 v[58:59], v[56:57], s[28:29], -v[60:61]
	v_add_f64_e64 v[44:45], v[50:51], -v[44:45]
	s_delay_alu instid0(VALU_DEP_3) | instskip(NEXT) | instid1(VALU_DEP_3)
	v_mul_f64_e32 v[50:51], v[54:55], v[52:53]
	v_fmac_f64_e32 v[58:59], 0x3c7abc9e3b39803f, v[56:57]
	s_delay_alu instid0(VALU_DEP_3) | instskip(NEXT) | instid1(VALU_DEP_3)
	v_add_f64_e32 v[14:15], v[14:15], v[44:45]
	v_fma_f64 v[44:45], -v[48:49], v[50:51], v[54:55]
	s_delay_alu instid0(VALU_DEP_3) | instskip(NEXT) | instid1(VALU_DEP_3)
	v_add_f64_e32 v[48:49], v[60:61], v[58:59]
	v_add_f64_e32 v[54:55], v[46:47], v[14:15]
	s_delay_alu instid0(VALU_DEP_3) | instskip(SKIP_1) | instid1(VALU_DEP_4)
	v_div_fmas_f64 v[44:45], v[44:45], v[52:53], v[50:51]
	v_cmp_gt_i32_e32 vcc_lo, 0, v3
	v_add_f64_e64 v[52:53], v[48:49], -v[60:61]
	v_cndmask_b32_e32 v21, 0x3fe921fb, v63, vcc_lo
	v_cndmask_b32_e32 v8, 0x54442d18, v62, vcc_lo
	s_delay_alu instid0(VALU_DEP_2) | instskip(SKIP_4) | instid1(VALU_DEP_4)
	v_bfi_b32 v21, 0x7fffffff, v21, v5
	v_add_f64_e32 v[50:51], v[48:49], v[54:55]
	v_div_fixup_f64 v[38:39], v[44:45], v[42:43], v[38:39]
	v_add_f64_e64 v[46:47], v[54:55], -v[46:47]
	v_add_f64_e64 v[52:53], v[58:59], -v[52:53]
	;; [unrolled: 1-line block ×3, first 2 shown]
	s_delay_alu instid0(VALU_DEP_4) | instskip(NEXT) | instid1(VALU_DEP_4)
	v_mul_f64_e32 v[44:45], v[38:39], v[38:39]
	v_add_f64_e64 v[14:15], v[14:15], -v[46:47]
	s_delay_alu instid0(VALU_DEP_3) | instskip(NEXT) | instid1(VALU_DEP_3)
	v_add_f64_e64 v[56:57], v[50:51], -v[42:43]
	v_fmamk_f64 v[60:61], v[44:45], 0x3eeba404b5e68a13, v[24:25]
	v_add_f64_e64 v[42:43], v[54:55], -v[42:43]
	s_delay_alu instid0(VALU_DEP_4) | instskip(NEXT) | instid1(VALU_DEP_3)
	v_add_f64_e32 v[54:55], v[52:53], v[14:15]
	v_fmaak_f64 v[60:61], v[44:45], v[60:61], 0x3f4b2bb069efb384
	s_delay_alu instid0(VALU_DEP_1) | instskip(SKIP_1) | instid1(VALU_DEP_2)
	v_fmaak_f64 v[60:61], v[44:45], v[60:61], 0xbf67952daf56de9b
	v_add_f64_e64 v[46:47], v[48:49], -v[56:57]
	v_fmaak_f64 v[48:49], v[44:45], v[60:61], 0x3f7d6d43a595c56f
	s_delay_alu instid0(VALU_DEP_1) | instskip(NEXT) | instid1(VALU_DEP_1)
	v_fmaak_f64 v[48:49], v[44:45], v[48:49], 0xbf8c6ea4a57d9582
	v_fmaak_f64 v[48:49], v[44:45], v[48:49], 0x3f967e295f08b19f
	s_delay_alu instid0(VALU_DEP_1) | instskip(NEXT) | instid1(VALU_DEP_1)
	v_fmaak_f64 v[48:49], v[44:45], v[48:49], 0xbf9e9ae6fc27006a
	v_fmaak_f64 v[48:49], v[44:45], v[48:49], 0x3fa2c15b5711927a
	v_add_f64_e32 v[42:43], v[42:43], v[46:47]
	s_delay_alu instid0(VALU_DEP_2) | instskip(SKIP_1) | instid1(VALU_DEP_2)
	v_fmaak_f64 v[46:47], v[44:45], v[48:49], 0xbfa59976e82d3ff0
	v_add_f64_e64 v[48:49], v[54:55], -v[52:53]
	v_fmaak_f64 v[46:47], v[44:45], v[46:47], 0x3fa82d5d6ef28734
	s_delay_alu instid0(VALU_DEP_1) | instskip(NEXT) | instid1(VALU_DEP_1)
	v_fmaak_f64 v[46:47], v[44:45], v[46:47], 0xbfaae5ce6a214619
	v_fmaak_f64 v[46:47], v[44:45], v[46:47], 0x3fae1bb48427b883
	s_delay_alu instid0(VALU_DEP_1) | instskip(SKIP_3) | instid1(VALU_DEP_4)
	v_fmaak_f64 v[46:47], v[44:45], v[46:47], 0xbfb110e48b207f05
	v_add_f64_e32 v[42:43], v[54:55], v[42:43]
	v_add_f64_e64 v[54:55], v[54:55], -v[48:49]
	v_add_f64_e64 v[14:15], v[14:15], -v[48:49]
	v_fmaak_f64 v[46:47], v[44:45], v[46:47], 0x3fb3b13657b87036
	s_delay_alu instid0(VALU_DEP_1) | instskip(NEXT) | instid1(VALU_DEP_1)
	v_fmaak_f64 v[46:47], v[44:45], v[46:47], 0xbfb745d119378e4f
	v_fmaak_f64 v[46:47], v[44:45], v[46:47], 0x3fbc71c717e1913c
	s_delay_alu instid0(VALU_DEP_1) | instskip(SKIP_1) | instid1(VALU_DEP_2)
	v_fmaak_f64 v[46:47], v[44:45], v[46:47], 0xbfc2492492376b7d
	v_add_f64_e32 v[56:57], v[50:51], v[42:43]
	v_fmaak_f64 v[46:47], v[44:45], v[46:47], 0x3fc99999999952cc
	s_delay_alu instid0(VALU_DEP_1) | instskip(NEXT) | instid1(VALU_DEP_1)
	v_fmaak_f64 v[46:47], v[44:45], v[46:47], 0xbfd5555555555523
	v_mul_f64_e32 v[44:45], v[44:45], v[46:47]
	v_add_f64_e64 v[46:47], v[52:53], -v[54:55]
	v_add_f64_e64 v[48:49], v[56:57], -v[50:51]
	s_delay_alu instid0(VALU_DEP_3) | instskip(NEXT) | instid1(VALU_DEP_3)
	v_fmac_f64_e32 v[38:39], v[38:39], v[44:45]
	v_add_f64_e32 v[14:15], v[14:15], v[46:47]
	s_delay_alu instid0(VALU_DEP_3) | instskip(NEXT) | instid1(VALU_DEP_3)
	v_add_f64_e64 v[42:43], v[42:43], -v[48:49]
	v_add_f64_e64 v[44:45], -v[38:39], s[30:31]
	s_delay_alu instid0(VALU_DEP_2) | instskip(NEXT) | instid1(VALU_DEP_2)
	v_add_f64_e32 v[14:15], v[14:15], v[42:43]
	v_dual_cndmask_b32 v39, v39, v45, s2 :: v_dual_cndmask_b32 v38, v38, v44, s2
                                        ; implicit-def: $vgpr44_vgpr45
	s_delay_alu instid0(VALU_DEP_1) | instskip(NEXT) | instid1(VALU_DEP_3)
	v_add_f64_e64 v[42:43], -v[38:39], s[34:35]
	v_add_f64_e32 v[14:15], v[56:57], v[14:15]
	s_delay_alu instid0(VALU_DEP_2) | instskip(SKIP_1) | instid1(VALU_DEP_1)
	v_dual_cndmask_b32 v16, v38, v42, vcc_lo :: v_dual_cndmask_b32 v38, v39, v43, vcc_lo
	s_and_b32 vcc_lo, s7, s6
                                        ; implicit-def: $vgpr42_vgpr43
	v_dual_cndmask_b32 v12, v16, v12, s3 :: v_dual_cndmask_b32 v1, v38, v1, s3
	s_delay_alu instid0(VALU_DEP_1) | instskip(NEXT) | instid1(VALU_DEP_2)
	v_dual_mul_f64 v[14:15], 0.5, v[14:15] :: v_dual_cndmask_b32 v38, v12, v8, vcc_lo
	v_cndmask_b32_e32 v39, v1, v21, vcc_lo
	s_delay_alu instid0(VALU_DEP_2) | instskip(NEXT) | instid1(VALU_DEP_3)
	v_cndmask_b32_e64 v15, 0xfff00000, v15, s4
	v_cndmask_b32_e64 v14, 0, v14, s4
.LBB191_116:                            ;   in Loop: Header=BB191_5 Depth=1
	s_and_not1_saveexec_b32 s49, s5
	s_cbranch_execz .LBB191_120
; %bb.117:                              ;   in Loop: Header=BB191_5 Depth=1
	v_and_b32_e32 v21, 0x7ffffff8, v45
	v_and_b32_e32 v39, 0x7ffffff8, v43
	v_mov_b32_e32 v38, v20
	s_mov_b32 s50, 0
	v_mov_b32_e32 v46, v20
	v_add_f64_e64 v[14:15], v[44:45], -v[20:21]
	s_delay_alu instid0(VALU_DEP_3)
	v_dual_add_f64 v[40:41], v[42:43], -v[38:39] :: v_dual_mov_b32 v44, v20
	v_add_f64_e32 v[48:49], v[20:21], v[20:21]
	v_mul_f64_e32 v[42:43], v[38:39], v[38:39]
	v_add_f64_e32 v[56:57], v[38:39], v[38:39]
	v_and_b32_e32 v45, -8, v15
	v_and_b32_e32 v47, -8, v41
	s_delay_alu instid0(VALU_DEP_2) | instskip(SKIP_1) | instid1(VALU_DEP_3)
	v_add_f64_e64 v[58:59], v[14:15], -v[44:45]
	v_add_f64_e32 v[64:65], v[44:45], v[44:45]
	v_add_f64_e64 v[60:61], v[40:41], -v[46:47]
	v_add_f64_e32 v[66:67], v[46:47], v[46:47]
	v_mul_f64_e32 v[14:15], v[20:21], v[20:21]
	v_mul_f64_e32 v[54:55], v[48:49], v[44:45]
	;; [unrolled: 1-line block ×11, first 2 shown]
.LBB191_118:                            ;   Parent Loop BB191_5 Depth=1
                                        ; =>  This Inner Loop Header: Depth=2
	v_cmp_nlt_f64_e32 vcc_lo, v[14:15], v[42:43]
	v_dual_cndmask_b32 v61, v15, v43 :: v_dual_cndmask_b32 v60, v14, v42
	v_dual_cndmask_b32 v15, v43, v15 :: v_dual_cndmask_b32 v14, v42, v14
	s_delay_alu instid0(VALU_DEP_2) | instskip(NEXT) | instid1(VALU_DEP_1)
	v_cmp_nlt_f64_e64 s3, v[60:61], v[54:55]
	v_dual_cndmask_b32 v65, v61, v55, s3 :: v_dual_cndmask_b32 v64, v60, v54, s3
	v_dual_cndmask_b32 v43, v55, v61, s3 :: v_dual_cndmask_b32 v42, v54, v60, s3
	s_and_b32 s3, vcc_lo, s3
	s_delay_alu instid0(VALU_DEP_2) | instskip(NEXT) | instid1(VALU_DEP_1)
	v_cmp_nlt_f64_e64 s4, v[64:65], v[40:41]
	v_dual_cndmask_b32 v67, v65, v41, s4 :: v_dual_cndmask_b32 v66, v64, v40, s4
	v_dual_cndmask_b32 v55, v41, v65, s4 :: v_dual_cndmask_b32 v54, v40, v64, s4
	s_delay_alu instid0(VALU_DEP_2) | instskip(NEXT) | instid1(VALU_DEP_1)
	v_cmp_nlt_f64_e64 s5, v[66:67], v[52:53]
	v_dual_cndmask_b32 v69, v67, v53, s5 :: v_dual_cndmask_b32 v68, v66, v52, s5
	v_dual_cndmask_b32 v41, v53, v67, s5 :: v_dual_cndmask_b32 v40, v52, v66, s5
	s_and_b32 s4, s4, s5
	s_delay_alu instid0(VALU_DEP_2) | instskip(NEXT) | instid1(VALU_DEP_1)
	v_cmp_nlt_f64_e64 s6, v[68:69], v[38:39]
	v_dual_cndmask_b32 v71, v69, v39, s6 :: v_dual_cndmask_b32 v70, v68, v38, s6
	v_dual_cndmask_b32 v53, v39, v69, s6 :: v_dual_cndmask_b32 v52, v38, v68, s6
	s_delay_alu instid0(VALU_DEP_2) | instskip(NEXT) | instid1(VALU_DEP_1)
	v_cmp_nlt_f64_e64 s7, v[70:71], v[50:51]
	v_dual_cndmask_b32 v73, v71, v51, s7 :: v_dual_cndmask_b32 v72, v70, v50, s7
	s_and_b32 s5, s6, s7
	v_dual_cndmask_b32 v39, v51, v71, s7 :: v_dual_cndmask_b32 v38, v50, v70, s7
	s_delay_alu instid0(VALU_DEP_2) | instskip(NEXT) | instid1(VALU_DEP_1)
	v_cmp_nlt_f64_e64 s8, v[72:73], v[48:49]
	v_dual_cndmask_b32 v75, v73, v49, s8 :: v_dual_cndmask_b32 v74, v72, v48, s8
	s_and_b32 s5, s5, s8
	;; [unrolled: 5-line block ×6, first 2 shown]
	v_dual_cndmask_b32 v57, v59, v81, s12 :: v_dual_cndmask_b32 v56, v58, v80, s12
	s_and_b32 s4, s5, s4
	s_delay_alu instid0(VALU_DEP_2) | instskip(SKIP_1) | instid1(SALU_CYCLE_1)
	v_mov_b64_e32 v[58:59], v[60:61]
	s_and_b32 s3, s4, s3
	s_and_b32 s3, exec_lo, s3
	s_delay_alu instid0(SALU_CYCLE_1) | instskip(NEXT) | instid1(SALU_CYCLE_1)
	s_or_b32 s50, s3, s50
	s_and_not1_b32 exec_lo, exec_lo, s50
	s_cbranch_execnz .LBB191_118
; %bb.119:                              ;   in Loop: Header=BB191_5 Depth=1
	s_or_b32 exec_lo, exec_lo, s50
	v_add_f64_e32 v[14:15], -1.0, v[14:15]
	v_cmp_eq_f64_e64 s3, 0, v[4:5]
	v_cmp_class_f64_e64 s6, v[4:5], 0x204
	v_cmp_class_f64_e64 s7, v[2:3], 0x204
	s_delay_alu instid0(VALU_DEP_4) | instskip(NEXT) | instid1(VALU_DEP_1)
	v_add_f64_e32 v[14:15], v[14:15], v[42:43]
	v_add_f64_e32 v[14:15], v[14:15], v[54:55]
	s_delay_alu instid0(VALU_DEP_1) | instskip(NEXT) | instid1(VALU_DEP_1)
	v_add_f64_e32 v[14:15], v[14:15], v[40:41]
	v_add_f64_e32 v[14:15], v[14:15], v[52:53]
	s_delay_alu instid0(VALU_DEP_1) | instskip(NEXT) | instid1(VALU_DEP_1)
	;; [unrolled: 3-line block ×5, first 2 shown]
	v_add_f64_e32 v[40:41], v[60:61], v[14:15]
	v_add_f64_e32 v[14:15], 1.0, v[40:41]
	s_delay_alu instid0(VALU_DEP_1) | instskip(SKIP_2) | instid1(VALU_DEP_3)
	v_frexp_mant_f64_e32 v[38:39], v[14:15]
	v_frexp_exp_i32_f64_e32 v1, v[14:15]
	v_add_f64_e32 v[42:43], -1.0, v[14:15]
	v_cmp_gt_f64_e32 vcc_lo, s[26:27], v[38:39]
	s_delay_alu instid0(VALU_DEP_2) | instskip(SKIP_2) | instid1(VALU_DEP_1)
	v_add_f64_e64 v[38:39], v[42:43], -v[14:15]
	v_add_f64_e64 v[42:43], v[40:41], -v[42:43]
	v_subrev_co_ci_u32_e64 v1, null, 0, v1, vcc_lo
	v_dual_add_f64 v[38:39], 1.0, v[38:39] :: v_dual_sub_nc_u32 v8, 0, v1
	s_delay_alu instid0(VALU_DEP_1) | instskip(NEXT) | instid1(VALU_DEP_2)
	v_ldexp_f64 v[14:15], v[14:15], v8
	v_add_f64_e32 v[38:39], v[42:43], v[38:39]
	s_delay_alu instid0(VALU_DEP_2) | instskip(SKIP_1) | instid1(VALU_DEP_3)
	v_add_f64_e32 v[44:45], 1.0, v[14:15]
	v_add_f64_e32 v[50:51], -1.0, v[14:15]
	v_ldexp_f64 v[38:39], v[38:39], v8
	s_delay_alu instid0(VALU_DEP_3) | instskip(NEXT) | instid1(VALU_DEP_3)
	v_add_f64_e32 v[42:43], -1.0, v[44:45]
	v_add_f64_e32 v[52:53], 1.0, v[50:51]
	s_delay_alu instid0(VALU_DEP_2) | instskip(NEXT) | instid1(VALU_DEP_2)
	v_add_f64_e64 v[42:43], v[14:15], -v[42:43]
	v_add_f64_e64 v[14:15], v[14:15], -v[52:53]
	s_delay_alu instid0(VALU_DEP_2) | instskip(NEXT) | instid1(VALU_DEP_2)
	v_add_f64_e32 v[42:43], v[38:39], v[42:43]
	v_add_f64_e32 v[14:15], v[38:39], v[14:15]
	s_delay_alu instid0(VALU_DEP_2) | instskip(NEXT) | instid1(VALU_DEP_2)
	v_add_f64_e32 v[46:47], v[44:45], v[42:43]
	v_add_f64_e32 v[52:53], v[50:51], v[14:15]
	s_delay_alu instid0(VALU_DEP_2) | instskip(SKIP_1) | instid1(VALU_DEP_2)
	v_rcp_f64_e32 v[48:49], v[46:47]
	v_add_f64_e64 v[44:45], v[46:47], -v[44:45]
	v_add_f64_e64 v[50:51], v[52:53], -v[50:51]
	s_delay_alu instid0(VALU_DEP_2) | instskip(NEXT) | instid1(VALU_DEP_2)
	v_add_f64_e64 v[42:43], v[42:43], -v[44:45]
	v_add_f64_e64 v[14:15], v[14:15], -v[50:51]
	s_delay_alu instid0(TRANS32_DEP_1) | instskip(NEXT) | instid1(VALU_DEP_1)
	v_fma_f64 v[54:55], -v[46:47], v[48:49], 1.0
	v_fmac_f64_e32 v[48:49], v[54:55], v[48:49]
	s_delay_alu instid0(VALU_DEP_1) | instskip(NEXT) | instid1(VALU_DEP_1)
	v_fma_f64 v[38:39], -v[46:47], v[48:49], 1.0
	v_fmac_f64_e32 v[48:49], v[38:39], v[48:49]
	s_delay_alu instid0(VALU_DEP_1) | instskip(NEXT) | instid1(VALU_DEP_1)
	v_mul_f64_e32 v[38:39], v[52:53], v[48:49]
	v_mul_f64_e32 v[54:55], v[46:47], v[38:39]
	s_delay_alu instid0(VALU_DEP_1) | instskip(NEXT) | instid1(VALU_DEP_1)
	v_fma_f64 v[44:45], v[38:39], v[46:47], -v[54:55]
	v_fmac_f64_e32 v[44:45], v[38:39], v[42:43]
	s_delay_alu instid0(VALU_DEP_1) | instskip(NEXT) | instid1(VALU_DEP_1)
	v_add_f64_e32 v[56:57], v[54:55], v[44:45]
	v_add_f64_e64 v[58:59], v[52:53], -v[56:57]
	v_add_f64_e64 v[50:51], v[56:57], -v[54:55]
	s_delay_alu instid0(VALU_DEP_2) | instskip(NEXT) | instid1(VALU_DEP_2)
	v_add_f64_e64 v[52:53], v[52:53], -v[58:59]
	v_add_f64_e64 v[44:45], v[50:51], -v[44:45]
	s_delay_alu instid0(VALU_DEP_2) | instskip(NEXT) | instid1(VALU_DEP_1)
	v_add_f64_e64 v[52:53], v[52:53], -v[56:57]
	v_add_f64_e32 v[14:15], v[14:15], v[52:53]
	s_delay_alu instid0(VALU_DEP_1) | instskip(NEXT) | instid1(VALU_DEP_1)
	v_add_f64_e32 v[14:15], v[44:45], v[14:15]
	v_add_f64_e32 v[44:45], v[58:59], v[14:15]
	s_delay_alu instid0(VALU_DEP_1) | instskip(SKIP_1) | instid1(VALU_DEP_2)
	v_mul_f64_e32 v[50:51], v[48:49], v[44:45]
	v_add_f64_e64 v[56:57], v[58:59], -v[44:45]
	v_mul_f64_e32 v[52:53], v[46:47], v[50:51]
	s_delay_alu instid0(VALU_DEP_2) | instskip(NEXT) | instid1(VALU_DEP_2)
	v_add_f64_e32 v[14:15], v[14:15], v[56:57]
	v_fma_f64 v[46:47], v[50:51], v[46:47], -v[52:53]
	s_delay_alu instid0(VALU_DEP_1) | instskip(NEXT) | instid1(VALU_DEP_1)
	v_fmac_f64_e32 v[46:47], v[50:51], v[42:43]
	v_add_f64_e32 v[42:43], v[52:53], v[46:47]
	s_delay_alu instid0(VALU_DEP_1) | instskip(SKIP_1) | instid1(VALU_DEP_2)
	v_add_f64_e64 v[54:55], v[44:45], -v[42:43]
	v_add_f64_e64 v[52:53], v[42:43], -v[52:53]
	;; [unrolled: 1-line block ×3, first 2 shown]
	s_delay_alu instid0(VALU_DEP_1) | instskip(NEXT) | instid1(VALU_DEP_3)
	v_add_f64_e64 v[42:43], v[44:45], -v[42:43]
	v_add_f64_e64 v[44:45], v[52:53], -v[46:47]
	v_max_num_f64_e64 v[46:47], |v[2:3]|, |v[2:3]|
	s_delay_alu instid0(VALU_DEP_3) | instskip(SKIP_1) | instid1(VALU_DEP_2)
	v_add_f64_e32 v[14:15], v[14:15], v[42:43]
	v_add_f64_e32 v[42:43], v[38:39], v[50:51]
	;; [unrolled: 1-line block ×3, first 2 shown]
	s_delay_alu instid0(VALU_DEP_2) | instskip(SKIP_1) | instid1(VALU_DEP_3)
	v_add_f64_e64 v[38:39], v[42:43], -v[38:39]
	v_max_num_f64_e64 v[44:45], |v[4:5]|, |v[4:5]|
	v_add_f64_e32 v[14:15], v[54:55], v[14:15]
	s_delay_alu instid0(VALU_DEP_3) | instskip(NEXT) | instid1(VALU_DEP_2)
	v_add_f64_e64 v[38:39], v[50:51], -v[38:39]
	v_mul_f64_e32 v[14:15], v[48:49], v[14:15]
	s_delay_alu instid0(VALU_DEP_1) | instskip(SKIP_2) | instid1(VALU_DEP_3)
	v_add_f64_e32 v[14:15], v[38:39], v[14:15]
	v_max_num_f64_e32 v[38:39], v[46:47], v[44:45]
	v_min_num_f64_e32 v[44:45], v[46:47], v[44:45]
	v_add_f64_e32 v[46:47], v[42:43], v[14:15]
	s_delay_alu instid0(VALU_DEP_2) | instskip(NEXT) | instid1(VALU_DEP_2)
	v_div_scale_f64 v[48:49], null, v[38:39], v[38:39], v[44:45]
	v_mul_f64_e32 v[50:51], v[46:47], v[46:47]
	v_add_f64_e64 v[42:43], v[46:47], -v[42:43]
	s_delay_alu instid0(VALU_DEP_3) | instskip(NEXT) | instid1(VALU_DEP_2)
	v_rcp_f64_e32 v[52:53], v[48:49]
	v_fmamk_f64 v[54:55], v[50:51], 0x3fc3ab76bf559e2b, v[22:23]
	v_mul_f64_e32 v[56:57], v[46:47], v[50:51]
	s_delay_alu instid0(VALU_DEP_3) | instskip(NEXT) | instid1(VALU_DEP_3)
	v_add_f64_e64 v[14:15], v[14:15], -v[42:43]
	v_fmaak_f64 v[54:55], v[50:51], v[54:55], 0x3fc7474dd7f4df2e
	s_delay_alu instid0(TRANS32_DEP_1) | instskip(NEXT) | instid1(VALU_DEP_2)
	v_fma_f64 v[58:59], -v[48:49], v[52:53], 1.0
	v_fmaak_f64 v[54:55], v[50:51], v[54:55], 0x3fcc71c016291751
	s_delay_alu instid0(VALU_DEP_1) | instskip(NEXT) | instid1(VALU_DEP_1)
	v_fmaak_f64 v[54:55], v[50:51], v[54:55], 0x3fd249249b27acf1
	v_fmaak_f64 v[54:55], v[50:51], v[54:55], 0x3fd99999998ef7b6
	v_ldexp_f64 v[14:15], v[14:15], 1
	s_delay_alu instid0(VALU_DEP_2) | instskip(SKIP_2) | instid1(VALU_DEP_3)
	v_fmaak_f64 v[50:51], v[50:51], v[54:55], 0x3fe5555555555780
	v_ldexp_f64 v[54:55], v[46:47], 1
	v_fmac_f64_e32 v[52:53], v[52:53], v[58:59]
	v_mul_f64_e32 v[50:51], v[56:57], v[50:51]
	v_cvt_f64_i32_e32 v[56:57], v1
	v_ashrrev_i32_e32 v1, 31, v3
	s_delay_alu instid0(VALU_DEP_1) | instskip(SKIP_4) | instid1(VALU_DEP_3)
	v_and_b32_e32 v12, 0x54442d18, v1
	v_and_b32_e32 v1, 0x400921fb, v1
	v_fma_f64 v[58:59], -v[48:49], v[52:53], 1.0
	v_add_f64_e32 v[46:47], v[54:55], v[50:51]
	v_mul_f64_e32 v[60:61], 0x3fe62e42fefa39ef, v[56:57]
	v_fmac_f64_e32 v[52:53], v[52:53], v[58:59]
	s_delay_alu instid0(VALU_DEP_3) | instskip(SKIP_1) | instid1(VALU_DEP_4)
	v_add_f64_e64 v[42:43], v[46:47], -v[54:55]
	v_div_scale_f64 v[54:55], vcc_lo, v[44:45], v[38:39], v[44:45]
	v_fma_f64 v[58:59], v[56:57], s[28:29], -v[60:61]
	s_delay_alu instid0(VALU_DEP_3) | instskip(NEXT) | instid1(VALU_DEP_3)
	v_add_f64_e64 v[42:43], v[50:51], -v[42:43]
	v_mul_f64_e32 v[50:51], v[54:55], v[52:53]
	s_delay_alu instid0(VALU_DEP_3) | instskip(NEXT) | instid1(VALU_DEP_3)
	v_fmac_f64_e32 v[58:59], 0x3c7abc9e3b39803f, v[56:57]
	v_add_f64_e32 v[14:15], v[14:15], v[42:43]
	s_delay_alu instid0(VALU_DEP_3) | instskip(NEXT) | instid1(VALU_DEP_3)
	v_fma_f64 v[42:43], -v[48:49], v[50:51], v[54:55]
	v_add_f64_e32 v[48:49], v[60:61], v[58:59]
	s_delay_alu instid0(VALU_DEP_3) | instskip(NEXT) | instid1(VALU_DEP_3)
	v_add_f64_e32 v[54:55], v[46:47], v[14:15]
	v_div_fmas_f64 v[42:43], v[42:43], v[52:53], v[50:51]
	v_cmp_gt_i32_e32 vcc_lo, 0, v3
	s_delay_alu instid0(VALU_DEP_4) | instskip(SKIP_2) | instid1(VALU_DEP_1)
	v_add_f64_e64 v[52:53], v[48:49], -v[60:61]
	v_cndmask_b32_e32 v8, 0x54442d18, v62, vcc_lo
	v_cndmask_b32_e32 v21, 0x3fe921fb, v63, vcc_lo
	v_bfi_b32 v21, 0x7fffffff, v21, v5
	v_add_f64_e32 v[50:51], v[48:49], v[54:55]
	v_div_fixup_f64 v[38:39], v[42:43], v[38:39], v[44:45]
	v_add_f64_e64 v[46:47], v[54:55], -v[46:47]
	v_add_f64_e64 v[52:53], v[58:59], -v[52:53]
	s_delay_alu instid0(VALU_DEP_4) | instskip(NEXT) | instid1(VALU_DEP_4)
	v_add_f64_e64 v[42:43], v[50:51], -v[48:49]
	v_mul_f64_e32 v[44:45], v[38:39], v[38:39]
	s_delay_alu instid0(VALU_DEP_4) | instskip(NEXT) | instid1(VALU_DEP_3)
	v_add_f64_e64 v[14:15], v[14:15], -v[46:47]
	v_add_f64_e64 v[56:57], v[50:51], -v[42:43]
	s_delay_alu instid0(VALU_DEP_3) | instskip(SKIP_1) | instid1(VALU_DEP_4)
	v_fmamk_f64 v[60:61], v[44:45], 0x3eeba404b5e68a13, v[24:25]
	v_add_f64_e64 v[42:43], v[54:55], -v[42:43]
	v_add_f64_e32 v[54:55], v[52:53], v[14:15]
	s_delay_alu instid0(VALU_DEP_3) | instskip(SKIP_1) | instid1(VALU_DEP_2)
	v_fmaak_f64 v[60:61], v[44:45], v[60:61], 0x3f4b2bb069efb384
	v_add_f64_e64 v[46:47], v[48:49], -v[56:57]
	v_fmaak_f64 v[48:49], v[44:45], v[60:61], 0xbf67952daf56de9b
	s_delay_alu instid0(VALU_DEP_1) | instskip(NEXT) | instid1(VALU_DEP_1)
	v_fmaak_f64 v[48:49], v[44:45], v[48:49], 0x3f7d6d43a595c56f
	v_fmaak_f64 v[48:49], v[44:45], v[48:49], 0xbf8c6ea4a57d9582
	s_delay_alu instid0(VALU_DEP_1) | instskip(NEXT) | instid1(VALU_DEP_1)
	v_fmaak_f64 v[48:49], v[44:45], v[48:49], 0x3f967e295f08b19f
	v_fmaak_f64 v[48:49], v[44:45], v[48:49], 0xbf9e9ae6fc27006a
	v_add_f64_e32 v[42:43], v[42:43], v[46:47]
	s_delay_alu instid0(VALU_DEP_2) | instskip(SKIP_1) | instid1(VALU_DEP_2)
	v_fmaak_f64 v[46:47], v[44:45], v[48:49], 0x3fa2c15b5711927a
	v_add_f64_e64 v[48:49], v[54:55], -v[52:53]
	v_fmaak_f64 v[46:47], v[44:45], v[46:47], 0xbfa59976e82d3ff0
	s_delay_alu instid0(VALU_DEP_1) | instskip(NEXT) | instid1(VALU_DEP_1)
	v_fmaak_f64 v[46:47], v[44:45], v[46:47], 0x3fa82d5d6ef28734
	v_fmaak_f64 v[46:47], v[44:45], v[46:47], 0xbfaae5ce6a214619
	s_delay_alu instid0(VALU_DEP_1) | instskip(SKIP_3) | instid1(VALU_DEP_4)
	v_fmaak_f64 v[46:47], v[44:45], v[46:47], 0x3fae1bb48427b883
	v_add_f64_e32 v[42:43], v[54:55], v[42:43]
	v_add_f64_e64 v[54:55], v[54:55], -v[48:49]
	v_add_f64_e64 v[14:15], v[14:15], -v[48:49]
	v_fmaak_f64 v[46:47], v[44:45], v[46:47], 0xbfb110e48b207f05
	s_delay_alu instid0(VALU_DEP_1) | instskip(NEXT) | instid1(VALU_DEP_1)
	v_fmaak_f64 v[46:47], v[44:45], v[46:47], 0x3fb3b13657b87036
	v_fmaak_f64 v[46:47], v[44:45], v[46:47], 0xbfb745d119378e4f
	s_delay_alu instid0(VALU_DEP_1) | instskip(SKIP_1) | instid1(VALU_DEP_2)
	v_fmaak_f64 v[46:47], v[44:45], v[46:47], 0x3fbc71c717e1913c
	v_add_f64_e32 v[56:57], v[50:51], v[42:43]
	v_fmaak_f64 v[46:47], v[44:45], v[46:47], 0xbfc2492492376b7d
	s_delay_alu instid0(VALU_DEP_1) | instskip(NEXT) | instid1(VALU_DEP_1)
	v_fmaak_f64 v[46:47], v[44:45], v[46:47], 0x3fc99999999952cc
	v_fmaak_f64 v[46:47], v[44:45], v[46:47], 0xbfd5555555555523
	s_delay_alu instid0(VALU_DEP_1) | instskip(SKIP_2) | instid1(VALU_DEP_3)
	v_mul_f64_e32 v[44:45], v[44:45], v[46:47]
	v_add_f64_e64 v[46:47], v[52:53], -v[54:55]
	v_add_f64_e64 v[48:49], v[56:57], -v[50:51]
	v_fmac_f64_e32 v[38:39], v[38:39], v[44:45]
	s_delay_alu instid0(VALU_DEP_3) | instskip(NEXT) | instid1(VALU_DEP_3)
	v_add_f64_e32 v[14:15], v[14:15], v[46:47]
	v_add_f64_e64 v[42:43], v[42:43], -v[48:49]
	s_delay_alu instid0(VALU_DEP_3) | instskip(NEXT) | instid1(VALU_DEP_2)
	v_add_f64_e64 v[44:45], -v[38:39], s[30:31]
	v_add_f64_e32 v[14:15], v[14:15], v[42:43]
	s_delay_alu instid0(VALU_DEP_2) | instskip(SKIP_2) | instid1(VALU_DEP_3)
	v_dual_cndmask_b32 v39, v39, v45, s2 :: v_dual_cndmask_b32 v38, v38, v44, s2
	v_cmp_nge_f64_e64 s4, -1.0, v[40:41]
	v_cmp_neq_f64_e64 s5, 0x7ff00000, v[40:41]
	v_add_f64_e64 v[42:43], -v[38:39], s[34:35]
	v_add_f64_e32 v[14:15], v[56:57], v[14:15]
	s_delay_alu instid0(VALU_DEP_2) | instskip(SKIP_1) | instid1(VALU_DEP_2)
	v_dual_cndmask_b32 v16, v38, v42, vcc_lo :: v_dual_cndmask_b32 v38, v39, v43, vcc_lo
	v_cmp_ngt_f64_e32 vcc_lo, -1.0, v[40:41]
	v_dual_mul_f64 v[14:15], 0.5, v[14:15] :: v_dual_cndmask_b32 v12, v16, v12, s3
	s_delay_alu instid0(VALU_DEP_3)
	v_cndmask_b32_e64 v1, v38, v1, s3
	s_and_b32 s3, s4, s5
	s_delay_alu instid0(VALU_DEP_2) | instid1(SALU_CYCLE_1)
	v_cndmask_b32_e64 v14, 0, v14, s3
	v_cmp_neq_f64_e64 s3, -1.0, v[40:41]
	s_delay_alu instid0(VALU_DEP_4) | instskip(NEXT) | instid1(VALU_DEP_1)
	v_cndmask_b32_e64 v15, 0x7ff00000, v15, s5
	v_cndmask_b32_e32 v15, 0x7ff80000, v15, vcc_lo
	s_and_b32 vcc_lo, s7, s6
	v_dual_cndmask_b32 v39, v1, v21 :: v_dual_cndmask_b32 v38, v12, v8
	s_delay_alu instid0(VALU_DEP_2)
	v_cndmask_b32_e64 v15, 0xfff00000, v15, s3
.LBB191_120:                            ;   in Loop: Header=BB191_5 Depth=1
	s_or_b32 exec_lo, exec_lo, s49
.LBB191_121:                            ;   in Loop: Header=BB191_5 Depth=1
	s_delay_alu instid0(SALU_CYCLE_1)
	s_or_b32 exec_lo, exec_lo, s48
.LBB191_122:                            ;   in Loop: Header=BB191_5 Depth=1
	s_and_not1_saveexec_b32 s5, s47
	s_cbranch_execz .LBB191_124
; %bb.123:                              ;   in Loop: Header=BB191_5 Depth=1
	v_max_num_f64_e64 v[14:15], |v[4:5]|, |v[4:5]|
	v_max_num_f64_e64 v[38:39], |v[2:3]|, |v[2:3]|
	v_cmp_class_f64_e64 s6, v[2:3], 0x204
	v_cmp_class_f64_e64 s7, v[4:5], 0x204
	v_cmp_eq_f64_e64 s4, 0, v[4:5]
	s_delay_alu instid0(VALU_DEP_4) | instskip(SKIP_2) | instid1(VALU_DEP_2)
	v_max_num_f64_e32 v[40:41], v[38:39], v[14:15]
	v_min_num_f64_e32 v[14:15], v[38:39], v[14:15]
	s_or_b32 s3, s6, s7
	v_frexp_exp_i32_f64_e32 v1, v[40:41]
	s_delay_alu instid0(VALU_DEP_1) | instskip(NEXT) | instid1(VALU_DEP_1)
	v_sub_nc_u32_e32 v8, 0, v1
	v_ldexp_f64 v[42:43], |v[4:5]|, v8
	v_ldexp_f64 v[44:45], |v[2:3]|, v8
	s_delay_alu instid0(VALU_DEP_2) | instskip(NEXT) | instid1(VALU_DEP_1)
	v_mul_f64_e32 v[42:43], v[42:43], v[42:43]
	v_fmac_f64_e32 v[42:43], v[44:45], v[44:45]
	s_delay_alu instid0(VALU_DEP_1) | instskip(SKIP_1) | instid1(TRANS32_DEP_1)
	v_rsq_f64_e32 v[44:45], v[42:43]
	v_cmp_eq_f64_e32 vcc_lo, 0, v[42:43]
	v_mul_f64_e32 v[46:47], v[42:43], v[44:45]
	v_mul_f64_e32 v[44:45], 0.5, v[44:45]
	s_delay_alu instid0(VALU_DEP_1) | instskip(NEXT) | instid1(VALU_DEP_1)
	v_fma_f64 v[48:49], -v[44:45], v[46:47], 0.5
	v_fmac_f64_e32 v[46:47], v[46:47], v[48:49]
	v_fmac_f64_e32 v[44:45], v[44:45], v[48:49]
	s_delay_alu instid0(VALU_DEP_2) | instskip(NEXT) | instid1(VALU_DEP_1)
	v_fma_f64 v[48:49], -v[46:47], v[46:47], v[42:43]
	v_fmac_f64_e32 v[46:47], v[48:49], v[44:45]
	s_delay_alu instid0(VALU_DEP_1) | instskip(NEXT) | instid1(VALU_DEP_1)
	v_dual_cndmask_b32 v43, v47, v43 :: v_dual_cndmask_b32 v42, v46, v42
	v_ldexp_f64 v[42:43], v[42:43], v1
	s_delay_alu instid0(VALU_DEP_1) | instskip(NEXT) | instid1(VALU_DEP_2)
	v_cndmask_b32_e64 v43, v43, 0x7ff00000, s3
	v_cndmask_b32_e64 v42, v42, 0, s3
	s_delay_alu instid0(VALU_DEP_1) | instskip(SKIP_1) | instid1(VALU_DEP_2)
	v_frexp_mant_f64_e32 v[44:45], v[42:43]
	v_cmp_class_f64_e64 s3, v[42:43], 0x204
	v_cmp_gt_f64_e32 vcc_lo, s[26:27], v[44:45]
	v_cndmask_b32_e64 v1, 0, 1, vcc_lo
	s_delay_alu instid0(VALU_DEP_1) | instskip(SKIP_1) | instid1(VALU_DEP_2)
	v_ldexp_f64 v[44:45], v[44:45], v1
	v_frexp_exp_i32_f64_e32 v1, v[42:43]
	v_add_f64_e32 v[46:47], 1.0, v[44:45]
	v_add_f64_e32 v[52:53], -1.0, v[44:45]
	s_delay_alu instid0(VALU_DEP_3) | instskip(SKIP_1) | instid1(VALU_DEP_4)
	v_subrev_co_ci_u32_e64 v1, null, 0, v1, vcc_lo
	v_div_scale_f64 v[60:61], vcc_lo, v[14:15], v[40:41], v[14:15]
	v_rcp_f64_e32 v[48:49], v[46:47]
	v_add_f64_e32 v[54:55], -1.0, v[46:47]
	s_delay_alu instid0(VALU_DEP_1) | instskip(NEXT) | instid1(TRANS32_DEP_1)
	v_add_f64_e64 v[44:45], v[44:45], -v[54:55]
	v_fma_f64 v[50:51], -v[46:47], v[48:49], 1.0
	s_delay_alu instid0(VALU_DEP_1) | instskip(NEXT) | instid1(VALU_DEP_1)
	v_fmac_f64_e32 v[48:49], v[50:51], v[48:49]
	v_fma_f64 v[50:51], -v[46:47], v[48:49], 1.0
	s_delay_alu instid0(VALU_DEP_1) | instskip(NEXT) | instid1(VALU_DEP_1)
	v_fmac_f64_e32 v[48:49], v[50:51], v[48:49]
	v_mul_f64_e32 v[50:51], v[52:53], v[48:49]
	s_delay_alu instid0(VALU_DEP_1) | instskip(NEXT) | instid1(VALU_DEP_1)
	v_mul_f64_e32 v[56:57], v[46:47], v[50:51]
	v_fma_f64 v[46:47], v[50:51], v[46:47], -v[56:57]
	s_delay_alu instid0(VALU_DEP_1) | instskip(NEXT) | instid1(VALU_DEP_1)
	v_fmac_f64_e32 v[46:47], v[50:51], v[44:45]
	v_add_f64_e32 v[44:45], v[56:57], v[46:47]
	s_delay_alu instid0(VALU_DEP_1) | instskip(SKIP_1) | instid1(VALU_DEP_2)
	v_add_f64_e64 v[54:55], v[52:53], -v[44:45]
	v_add_f64_e64 v[56:57], v[44:45], -v[56:57]
	;; [unrolled: 1-line block ×3, first 2 shown]
	s_delay_alu instid0(VALU_DEP_2) | instskip(NEXT) | instid1(VALU_DEP_2)
	v_add_f64_e64 v[46:47], v[56:57], -v[46:47]
	v_add_f64_e64 v[44:45], v[52:53], -v[44:45]
	s_delay_alu instid0(VALU_DEP_1) | instskip(NEXT) | instid1(VALU_DEP_1)
	v_add_f64_e32 v[44:45], v[46:47], v[44:45]
	v_add_f64_e32 v[44:45], v[54:55], v[44:45]
	s_delay_alu instid0(VALU_DEP_1) | instskip(SKIP_1) | instid1(VALU_DEP_2)
	v_mul_f64_e32 v[38:39], v[48:49], v[44:45]
	v_div_scale_f64 v[44:45], null, v[40:41], v[40:41], v[14:15]
	v_add_f64_e32 v[46:47], v[50:51], v[38:39]
	s_delay_alu instid0(VALU_DEP_2) | instskip(NEXT) | instid1(VALU_DEP_1)
	v_rcp_f64_e32 v[48:49], v[44:45]
	v_mul_f64_e32 v[52:53], v[46:47], v[46:47]
	s_delay_alu instid0(TRANS32_DEP_1) | instskip(NEXT) | instid1(VALU_DEP_2)
	v_fma_f64 v[56:57], -v[44:45], v[48:49], 1.0
	v_fmamk_f64 v[54:55], v[52:53], 0x3fc3ab76bf559e2b, v[22:23]
	v_mul_f64_e32 v[58:59], v[46:47], v[52:53]
	s_delay_alu instid0(VALU_DEP_3) | instskip(NEXT) | instid1(VALU_DEP_3)
	v_fmac_f64_e32 v[48:49], v[48:49], v[56:57]
	v_fmaak_f64 v[54:55], v[52:53], v[54:55], 0x3fc7474dd7f4df2e
	s_delay_alu instid0(VALU_DEP_1) | instskip(NEXT) | instid1(VALU_DEP_1)
	v_fmaak_f64 v[54:55], v[52:53], v[54:55], 0x3fcc71c016291751
	v_fmaak_f64 v[54:55], v[52:53], v[54:55], 0x3fd249249b27acf1
	s_delay_alu instid0(VALU_DEP_1) | instskip(NEXT) | instid1(VALU_DEP_1)
	v_fmaak_f64 v[54:55], v[52:53], v[54:55], 0x3fd99999998ef7b6
	v_fmaak_f64 v[52:53], v[52:53], v[54:55], 0x3fe5555555555780
	v_ldexp_f64 v[54:55], v[46:47], 1
	v_add_f64_e64 v[46:47], v[46:47], -v[50:51]
	v_fma_f64 v[56:57], -v[44:45], v[48:49], 1.0
	s_delay_alu instid0(VALU_DEP_4) | instskip(SKIP_2) | instid1(VALU_DEP_1)
	v_mul_f64_e32 v[52:53], v[58:59], v[52:53]
	v_cvt_f64_i32_e32 v[58:59], v1
	v_ashrrev_i32_e32 v1, 31, v3
	v_and_b32_e32 v12, 0x54442d18, v1
	v_and_b32_e32 v1, 0x400921fb, v1
	v_add_f64_e64 v[38:39], v[38:39], -v[46:47]
	v_fmac_f64_e32 v[48:49], v[48:49], v[56:57]
	v_add_f64_e32 v[50:51], v[54:55], v[52:53]
	v_mul_f64_e32 v[56:57], 0x3fe62e42fefa39ef, v[58:59]
	s_delay_alu instid0(VALU_DEP_4) | instskip(NEXT) | instid1(VALU_DEP_3)
	v_ldexp_f64 v[38:39], v[38:39], 1
	v_add_f64_e64 v[46:47], v[50:51], -v[54:55]
	v_mul_f64_e32 v[54:55], v[60:61], v[48:49]
	s_delay_alu instid0(VALU_DEP_4) | instskip(NEXT) | instid1(VALU_DEP_3)
	v_fma_f64 v[64:65], v[58:59], s[28:29], -v[56:57]
	v_add_f64_e64 v[46:47], v[52:53], -v[46:47]
	s_delay_alu instid0(VALU_DEP_3) | instskip(NEXT) | instid1(VALU_DEP_3)
	v_fma_f64 v[44:45], -v[44:45], v[54:55], v[60:61]
	v_fmac_f64_e32 v[64:65], 0x3c7abc9e3b39803f, v[58:59]
	s_delay_alu instid0(VALU_DEP_3) | instskip(NEXT) | instid1(VALU_DEP_3)
	v_add_f64_e32 v[38:39], v[38:39], v[46:47]
	v_div_fmas_f64 v[44:45], v[44:45], v[48:49], v[54:55]
	s_delay_alu instid0(VALU_DEP_3) | instskip(SKIP_3) | instid1(VALU_DEP_1)
	v_add_f64_e32 v[46:47], v[56:57], v[64:65]
	v_cmp_gt_i32_e32 vcc_lo, 0, v3
	v_cndmask_b32_e32 v8, 0x54442d18, v62, vcc_lo
	v_cndmask_b32_e32 v16, 0x3fe921fb, v63, vcc_lo
	v_bfi_b32 v16, 0x7fffffff, v16, v5
	v_add_f64_e32 v[48:49], v[50:51], v[38:39]
	v_div_fixup_f64 v[14:15], v[44:45], v[40:41], v[14:15]
	v_add_f64_e64 v[56:57], v[46:47], -v[56:57]
	s_delay_alu instid0(VALU_DEP_3) | instskip(NEXT) | instid1(VALU_DEP_3)
	v_add_f64_e32 v[40:41], v[46:47], v[48:49]
	v_mul_f64_e32 v[44:45], v[14:15], v[14:15]
	v_add_f64_e64 v[50:51], v[48:49], -v[50:51]
	s_delay_alu instid0(VALU_DEP_4) | instskip(NEXT) | instid1(VALU_DEP_4)
	v_add_f64_e64 v[56:57], v[64:65], -v[56:57]
	v_add_f64_e64 v[52:53], v[40:41], -v[46:47]
	s_delay_alu instid0(VALU_DEP_4) | instskip(NEXT) | instid1(VALU_DEP_4)
	v_fmamk_f64 v[54:55], v[44:45], 0x3eeba404b5e68a13, v[24:25]
	v_add_f64_e64 v[38:39], v[38:39], -v[50:51]
	s_delay_alu instid0(VALU_DEP_2) | instskip(NEXT) | instid1(VALU_DEP_1)
	v_fmaak_f64 v[54:55], v[44:45], v[54:55], 0x3f4b2bb069efb384
	v_fmaak_f64 v[54:55], v[44:45], v[54:55], 0xbf67952daf56de9b
	s_delay_alu instid0(VALU_DEP_1) | instskip(NEXT) | instid1(VALU_DEP_1)
	v_fmaak_f64 v[54:55], v[44:45], v[54:55], 0x3f7d6d43a595c56f
	v_fmaak_f64 v[54:55], v[44:45], v[54:55], 0xbf8c6ea4a57d9582
	v_add_f64_e64 v[58:59], v[40:41], -v[52:53]
	v_add_f64_e64 v[48:49], v[48:49], -v[52:53]
	v_add_f64_e32 v[52:53], v[56:57], v[38:39]
	s_delay_alu instid0(VALU_DEP_4) | instskip(NEXT) | instid1(VALU_DEP_1)
	v_fmaak_f64 v[54:55], v[44:45], v[54:55], 0x3f967e295f08b19f
	v_fmaak_f64 v[50:51], v[44:45], v[54:55], 0xbf9e9ae6fc27006a
	s_delay_alu instid0(VALU_DEP_1) | instskip(NEXT) | instid1(VALU_DEP_1)
	v_fmaak_f64 v[50:51], v[44:45], v[50:51], 0x3fa2c15b5711927a
	v_fmaak_f64 v[50:51], v[44:45], v[50:51], 0xbfa59976e82d3ff0
	s_delay_alu instid0(VALU_DEP_1) | instskip(SKIP_1) | instid1(VALU_DEP_2)
	v_fmaak_f64 v[50:51], v[44:45], v[50:51], 0x3fa82d5d6ef28734
	v_add_f64_e64 v[46:47], v[46:47], -v[58:59]
	v_fmaak_f64 v[50:51], v[44:45], v[50:51], 0xbfaae5ce6a214619
	s_delay_alu instid0(VALU_DEP_2) | instskip(NEXT) | instid1(VALU_DEP_2)
	v_add_f64_e32 v[46:47], v[48:49], v[46:47]
	v_fmaak_f64 v[48:49], v[44:45], v[50:51], 0x3fae1bb48427b883
	v_add_f64_e64 v[50:51], v[52:53], -v[56:57]
	s_delay_alu instid0(VALU_DEP_2) | instskip(NEXT) | instid1(VALU_DEP_1)
	v_fmaak_f64 v[48:49], v[44:45], v[48:49], 0xbfb110e48b207f05
	v_fmaak_f64 v[48:49], v[44:45], v[48:49], 0x3fb3b13657b87036
	s_delay_alu instid0(VALU_DEP_1) | instskip(NEXT) | instid1(VALU_DEP_1)
	v_fmaak_f64 v[48:49], v[44:45], v[48:49], 0xbfb745d119378e4f
	v_fmaak_f64 v[48:49], v[44:45], v[48:49], 0x3fbc71c717e1913c
	v_add_f64_e32 v[46:47], v[52:53], v[46:47]
	v_add_f64_e64 v[38:39], v[38:39], -v[50:51]
	s_delay_alu instid0(VALU_DEP_3) | instskip(NEXT) | instid1(VALU_DEP_1)
	v_fmaak_f64 v[48:49], v[44:45], v[48:49], 0xbfc2492492376b7d
	v_fmaak_f64 v[48:49], v[44:45], v[48:49], 0x3fc99999999952cc
	s_delay_alu instid0(VALU_DEP_1) | instskip(NEXT) | instid1(VALU_DEP_1)
	v_fmaak_f64 v[48:49], v[44:45], v[48:49], 0xbfd5555555555523
	v_mul_f64_e32 v[44:45], v[44:45], v[48:49]
	v_add_f64_e64 v[48:49], v[52:53], -v[50:51]
	v_add_f64_e32 v[52:53], v[40:41], v[46:47]
	s_delay_alu instid0(VALU_DEP_3) | instskip(NEXT) | instid1(VALU_DEP_3)
	v_fmac_f64_e32 v[14:15], v[14:15], v[44:45]
	v_add_f64_e64 v[44:45], v[56:57], -v[48:49]
	s_delay_alu instid0(VALU_DEP_3) | instskip(NEXT) | instid1(VALU_DEP_3)
	v_add_f64_e64 v[40:41], v[52:53], -v[40:41]
	v_add_f64_e64 v[48:49], -v[14:15], s[30:31]
	s_delay_alu instid0(VALU_DEP_3) | instskip(NEXT) | instid1(VALU_DEP_3)
	v_add_f64_e32 v[38:39], v[38:39], v[44:45]
	v_add_f64_e64 v[40:41], v[46:47], -v[40:41]
	s_delay_alu instid0(VALU_DEP_3) | instskip(NEXT) | instid1(VALU_DEP_2)
	v_dual_cndmask_b32 v15, v15, v49, s2 :: v_dual_cndmask_b32 v14, v14, v48, s2
	v_add_f64_e32 v[38:39], v[38:39], v[40:41]
	s_delay_alu instid0(VALU_DEP_2) | instskip(NEXT) | instid1(VALU_DEP_1)
	v_add_f64_e64 v[40:41], -v[14:15], s[34:35]
	v_dual_add_f64 v[38:39], v[52:53], v[38:39] :: v_dual_cndmask_b32 v14, v14, v40, vcc_lo
	s_delay_alu instid0(VALU_DEP_2) | instskip(SKIP_1) | instid1(VALU_DEP_2)
	v_cndmask_b32_e32 v15, v15, v41, vcc_lo
	v_cmp_ngt_f64_e32 vcc_lo, 0, v[42:43]
	v_dual_cndmask_b32 v12, v14, v12, s4 :: v_dual_cndmask_b32 v1, v15, v1, s4
	s_delay_alu instid0(VALU_DEP_4) | instskip(SKIP_1) | instid1(VALU_DEP_2)
	v_dual_cndmask_b32 v21, v38, v42, s3 :: v_dual_cndmask_b32 v38, v39, v43, s3
	v_cmp_nge_f64_e64 s3, 0, v[42:43]
	v_cndmask_b32_e32 v15, 0x7ff80000, v38, vcc_lo
	s_and_b32 vcc_lo, s6, s7
	v_cndmask_b32_e32 v39, v1, v16, vcc_lo
	v_dual_cndmask_b32 v38, v12, v8, vcc_lo :: v_dual_cndmask_b32 v14, 0, v21, s3
	v_cmp_neq_f64_e64 s3, 0, v[42:43]
	s_delay_alu instid0(VALU_DEP_1)
	v_cndmask_b32_e64 v15, 0xfff00000, v15, s3
.LBB191_124:                            ;   in Loop: Header=BB191_5 Depth=1
	s_or_b32 exec_lo, exec_lo, s5
                                        ; implicit-def: $vgpr42_vgpr43
.LBB191_125:                            ;   in Loop: Header=BB191_5 Depth=1
	s_and_not1_saveexec_b32 s5, s46
	s_cbranch_execz .LBB191_131
; %bb.126:                              ;   in Loop: Header=BB191_5 Depth=1
                                        ; implicit-def: $vgpr14_vgpr15
                                        ; implicit-def: $vgpr38_vgpr39
	s_mov_b32 s3, exec_lo
	v_cmpx_ngt_f64_e32 s[38:39], v[42:43]
	s_xor_b32 s6, exec_lo, s3
	s_cbranch_execz .LBB191_128
; %bb.127:                              ;   in Loop: Header=BB191_5 Depth=1
	v_mul_f64_e32 v[14:15], v[42:43], v[42:43]
	v_cmp_eq_f64_e64 s3, 0, v[4:5]
	v_cmp_class_f64_e64 s7, v[4:5], 0x204
	v_cmp_class_f64_e64 s8, v[2:3], 0x204
	s_delay_alu instid0(VALU_DEP_4) | instskip(NEXT) | instid1(VALU_DEP_1)
	v_add_f64_e32 v[38:39], 1.0, v[14:15]
	v_frexp_mant_f64_e32 v[40:41], v[38:39]
	v_frexp_exp_i32_f64_e32 v1, v[38:39]
	v_add_f64_e32 v[42:43], -1.0, v[38:39]
	s_delay_alu instid0(VALU_DEP_3) | instskip(NEXT) | instid1(VALU_DEP_2)
	v_cmp_gt_f64_e32 vcc_lo, s[26:27], v[40:41]
	v_add_f64_e64 v[40:41], v[42:43], -v[38:39]
	s_delay_alu instid0(VALU_DEP_4) | instskip(NEXT) | instid1(VALU_DEP_2)
	v_subrev_co_ci_u32_e64 v1, null, 0, v1, vcc_lo
	v_add_f64_e32 v[40:41], 1.0, v[40:41]
	s_delay_alu instid0(VALU_DEP_2) | instskip(SKIP_2) | instid1(VALU_DEP_3)
	v_sub_nc_u32_e32 v8, 0, v1
	v_cmp_neq_f64_e64 s4, 0x7ff00000, v[14:15]
	v_add_f64_e64 v[42:43], v[14:15], -v[42:43]
	v_ldexp_f64 v[38:39], v[38:39], v8
	s_delay_alu instid0(VALU_DEP_2) | instskip(NEXT) | instid1(VALU_DEP_2)
	v_add_f64_e32 v[40:41], v[42:43], v[40:41]
	v_add_f64_e32 v[44:45], 1.0, v[38:39]
	v_add_f64_e32 v[50:51], -1.0, v[38:39]
	s_delay_alu instid0(VALU_DEP_3) | instskip(NEXT) | instid1(VALU_DEP_3)
	v_ldexp_f64 v[40:41], v[40:41], v8
	v_add_f64_e32 v[42:43], -1.0, v[44:45]
	s_delay_alu instid0(VALU_DEP_3) | instskip(NEXT) | instid1(VALU_DEP_2)
	v_add_f64_e32 v[52:53], 1.0, v[50:51]
	v_add_f64_e64 v[42:43], v[38:39], -v[42:43]
	s_delay_alu instid0(VALU_DEP_2) | instskip(NEXT) | instid1(VALU_DEP_2)
	v_add_f64_e64 v[38:39], v[38:39], -v[52:53]
	v_add_f64_e32 v[42:43], v[40:41], v[42:43]
	s_delay_alu instid0(VALU_DEP_2) | instskip(NEXT) | instid1(VALU_DEP_2)
	v_add_f64_e32 v[38:39], v[40:41], v[38:39]
	v_add_f64_e32 v[46:47], v[44:45], v[42:43]
	s_delay_alu instid0(VALU_DEP_2) | instskip(NEXT) | instid1(VALU_DEP_2)
	v_add_f64_e32 v[52:53], v[50:51], v[38:39]
	v_rcp_f64_e32 v[48:49], v[46:47]
	v_add_f64_e64 v[44:45], v[44:45], -v[46:47]
	s_delay_alu instid0(VALU_DEP_2) | instskip(NEXT) | instid1(VALU_DEP_2)
	v_add_f64_e64 v[50:51], v[50:51], -v[52:53]
	v_add_f64_e32 v[42:43], v[42:43], v[44:45]
	s_delay_alu instid0(VALU_DEP_2) | instskip(NEXT) | instid1(TRANS32_DEP_1)
	v_add_f64_e32 v[38:39], v[38:39], v[50:51]
	v_fma_f64 v[54:55], -v[46:47], v[48:49], 1.0
	s_delay_alu instid0(VALU_DEP_1) | instskip(NEXT) | instid1(VALU_DEP_1)
	v_fmac_f64_e32 v[48:49], v[54:55], v[48:49]
	v_fma_f64 v[40:41], -v[46:47], v[48:49], 1.0
	s_delay_alu instid0(VALU_DEP_1) | instskip(NEXT) | instid1(VALU_DEP_1)
	v_fmac_f64_e32 v[48:49], v[40:41], v[48:49]
	v_mul_f64_e32 v[40:41], v[52:53], v[48:49]
	s_delay_alu instid0(VALU_DEP_1) | instskip(NEXT) | instid1(VALU_DEP_1)
	v_mul_f64_e32 v[54:55], v[46:47], v[40:41]
	v_fma_f64 v[44:45], v[40:41], v[46:47], -v[54:55]
	s_delay_alu instid0(VALU_DEP_1) | instskip(NEXT) | instid1(VALU_DEP_1)
	v_fmac_f64_e32 v[44:45], v[40:41], v[42:43]
	v_add_f64_e32 v[56:57], v[54:55], v[44:45]
	s_delay_alu instid0(VALU_DEP_1) | instskip(SKIP_1) | instid1(VALU_DEP_2)
	v_add_f64_e64 v[58:59], v[52:53], -v[56:57]
	v_add_f64_e64 v[50:51], v[56:57], -v[54:55]
	;; [unrolled: 1-line block ×3, first 2 shown]
	s_delay_alu instid0(VALU_DEP_2) | instskip(NEXT) | instid1(VALU_DEP_2)
	v_add_f64_e64 v[44:45], v[50:51], -v[44:45]
	v_add_f64_e64 v[52:53], v[52:53], -v[56:57]
	s_delay_alu instid0(VALU_DEP_1) | instskip(NEXT) | instid1(VALU_DEP_1)
	v_add_f64_e32 v[38:39], v[38:39], v[52:53]
	v_add_f64_e32 v[38:39], v[44:45], v[38:39]
	s_delay_alu instid0(VALU_DEP_1) | instskip(NEXT) | instid1(VALU_DEP_1)
	v_add_f64_e32 v[44:45], v[58:59], v[38:39]
	v_mul_f64_e32 v[50:51], v[48:49], v[44:45]
	v_add_f64_e64 v[56:57], v[58:59], -v[44:45]
	s_delay_alu instid0(VALU_DEP_2) | instskip(NEXT) | instid1(VALU_DEP_2)
	v_mul_f64_e32 v[52:53], v[46:47], v[50:51]
	v_add_f64_e32 v[38:39], v[38:39], v[56:57]
	s_delay_alu instid0(VALU_DEP_2) | instskip(NEXT) | instid1(VALU_DEP_1)
	v_fma_f64 v[46:47], v[50:51], v[46:47], -v[52:53]
	v_fmac_f64_e32 v[46:47], v[50:51], v[42:43]
	s_delay_alu instid0(VALU_DEP_1) | instskip(NEXT) | instid1(VALU_DEP_1)
	v_add_f64_e32 v[42:43], v[52:53], v[46:47]
	v_add_f64_e64 v[54:55], v[44:45], -v[42:43]
	v_add_f64_e64 v[52:53], v[42:43], -v[52:53]
	s_delay_alu instid0(VALU_DEP_2) | instskip(NEXT) | instid1(VALU_DEP_1)
	v_add_f64_e64 v[44:45], v[44:45], -v[54:55]
	v_add_f64_e64 v[42:43], v[44:45], -v[42:43]
	s_delay_alu instid0(VALU_DEP_3) | instskip(SKIP_1) | instid1(VALU_DEP_3)
	v_add_f64_e64 v[44:45], v[52:53], -v[46:47]
	v_max_num_f64_e64 v[46:47], |v[2:3]|, |v[2:3]|
	v_add_f64_e32 v[38:39], v[38:39], v[42:43]
	v_add_f64_e32 v[42:43], v[40:41], v[50:51]
	s_delay_alu instid0(VALU_DEP_2) | instskip(NEXT) | instid1(VALU_DEP_2)
	v_add_f64_e32 v[38:39], v[44:45], v[38:39]
	v_add_f64_e64 v[40:41], v[42:43], -v[40:41]
	v_max_num_f64_e64 v[44:45], |v[4:5]|, |v[4:5]|
	s_delay_alu instid0(VALU_DEP_3) | instskip(NEXT) | instid1(VALU_DEP_3)
	v_add_f64_e32 v[38:39], v[54:55], v[38:39]
	v_add_f64_e64 v[40:41], v[50:51], -v[40:41]
	s_delay_alu instid0(VALU_DEP_2) | instskip(NEXT) | instid1(VALU_DEP_1)
	v_mul_f64_e32 v[38:39], v[48:49], v[38:39]
	v_add_f64_e32 v[38:39], v[40:41], v[38:39]
	v_max_num_f64_e32 v[40:41], v[46:47], v[44:45]
	v_min_num_f64_e32 v[44:45], v[46:47], v[44:45]
	s_delay_alu instid0(VALU_DEP_3) | instskip(NEXT) | instid1(VALU_DEP_2)
	v_add_f64_e32 v[46:47], v[42:43], v[38:39]
	v_div_scale_f64 v[48:49], null, v[40:41], v[40:41], v[44:45]
	s_delay_alu instid0(VALU_DEP_2) | instskip(SKIP_1) | instid1(VALU_DEP_3)
	v_mul_f64_e32 v[50:51], v[46:47], v[46:47]
	v_add_f64_e64 v[42:43], v[46:47], -v[42:43]
	v_rcp_f64_e32 v[52:53], v[48:49]
	s_delay_alu instid0(VALU_DEP_2) | instskip(SKIP_1) | instid1(VALU_DEP_3)
	v_fmamk_f64 v[54:55], v[50:51], 0x3fc3ab76bf559e2b, v[22:23]
	v_mul_f64_e32 v[56:57], v[46:47], v[50:51]
	v_add_f64_e64 v[38:39], v[38:39], -v[42:43]
	s_delay_alu instid0(VALU_DEP_3) | instskip(NEXT) | instid1(TRANS32_DEP_1)
	v_fmaak_f64 v[54:55], v[50:51], v[54:55], 0x3fc7474dd7f4df2e
	v_fma_f64 v[58:59], -v[48:49], v[52:53], 1.0
	s_delay_alu instid0(VALU_DEP_2) | instskip(NEXT) | instid1(VALU_DEP_1)
	v_fmaak_f64 v[54:55], v[50:51], v[54:55], 0x3fcc71c016291751
	v_fmaak_f64 v[54:55], v[50:51], v[54:55], 0x3fd249249b27acf1
	s_delay_alu instid0(VALU_DEP_1) | instskip(SKIP_1) | instid1(VALU_DEP_2)
	v_fmaak_f64 v[54:55], v[50:51], v[54:55], 0x3fd99999998ef7b6
	v_ldexp_f64 v[38:39], v[38:39], 1
	v_fmaak_f64 v[50:51], v[50:51], v[54:55], 0x3fe5555555555780
	v_ldexp_f64 v[54:55], v[46:47], 1
	v_fmac_f64_e32 v[52:53], v[52:53], v[58:59]
	s_delay_alu instid0(VALU_DEP_3) | instskip(SKIP_2) | instid1(VALU_DEP_1)
	v_mul_f64_e32 v[50:51], v[56:57], v[50:51]
	v_cvt_f64_i32_e32 v[56:57], v1
	v_ashrrev_i32_e32 v1, 31, v3
	v_and_b32_e32 v12, 0x54442d18, v1
	v_and_b32_e32 v1, 0x400921fb, v1
	v_fma_f64 v[58:59], -v[48:49], v[52:53], 1.0
	v_add_f64_e32 v[46:47], v[54:55], v[50:51]
	v_mul_f64_e32 v[60:61], 0x3fe62e42fefa39ef, v[56:57]
	s_delay_alu instid0(VALU_DEP_3) | instskip(NEXT) | instid1(VALU_DEP_3)
	v_fmac_f64_e32 v[52:53], v[52:53], v[58:59]
	v_add_f64_e64 v[42:43], v[46:47], -v[54:55]
	v_div_scale_f64 v[54:55], vcc_lo, v[44:45], v[40:41], v[44:45]
	s_delay_alu instid0(VALU_DEP_4) | instskip(NEXT) | instid1(VALU_DEP_3)
	v_fma_f64 v[58:59], v[56:57], s[28:29], -v[60:61]
	v_add_f64_e64 v[42:43], v[50:51], -v[42:43]
	s_delay_alu instid0(VALU_DEP_3) | instskip(NEXT) | instid1(VALU_DEP_3)
	v_mul_f64_e32 v[50:51], v[54:55], v[52:53]
	v_fmac_f64_e32 v[58:59], 0x3c7abc9e3b39803f, v[56:57]
	s_delay_alu instid0(VALU_DEP_3) | instskip(NEXT) | instid1(VALU_DEP_3)
	v_add_f64_e32 v[38:39], v[38:39], v[42:43]
	v_fma_f64 v[42:43], -v[48:49], v[50:51], v[54:55]
	s_delay_alu instid0(VALU_DEP_3) | instskip(NEXT) | instid1(VALU_DEP_3)
	v_add_f64_e32 v[48:49], v[60:61], v[58:59]
	v_add_f64_e32 v[54:55], v[46:47], v[38:39]
	s_delay_alu instid0(VALU_DEP_3) | instskip(SKIP_1) | instid1(VALU_DEP_4)
	v_div_fmas_f64 v[42:43], v[42:43], v[52:53], v[50:51]
	v_cmp_gt_i32_e32 vcc_lo, 0, v3
	v_add_f64_e64 v[52:53], v[48:49], -v[60:61]
	v_cndmask_b32_e32 v14, 0x3fe921fb, v63, vcc_lo
	v_cndmask_b32_e32 v8, 0x54442d18, v62, vcc_lo
	s_delay_alu instid0(VALU_DEP_2) | instskip(SKIP_4) | instid1(VALU_DEP_4)
	v_bfi_b32 v14, 0x7fffffff, v14, v5
	v_add_f64_e32 v[50:51], v[48:49], v[54:55]
	v_div_fixup_f64 v[40:41], v[42:43], v[40:41], v[44:45]
	v_add_f64_e64 v[46:47], v[54:55], -v[46:47]
	v_add_f64_e64 v[52:53], v[58:59], -v[52:53]
	;; [unrolled: 1-line block ×3, first 2 shown]
	s_delay_alu instid0(VALU_DEP_4) | instskip(NEXT) | instid1(VALU_DEP_4)
	v_mul_f64_e32 v[44:45], v[40:41], v[40:41]
	v_add_f64_e64 v[38:39], v[38:39], -v[46:47]
	s_delay_alu instid0(VALU_DEP_3) | instskip(NEXT) | instid1(VALU_DEP_3)
	v_add_f64_e64 v[56:57], v[50:51], -v[42:43]
	v_fmamk_f64 v[60:61], v[44:45], 0x3eeba404b5e68a13, v[24:25]
	v_add_f64_e64 v[42:43], v[54:55], -v[42:43]
	s_delay_alu instid0(VALU_DEP_4) | instskip(NEXT) | instid1(VALU_DEP_3)
	v_add_f64_e32 v[54:55], v[52:53], v[38:39]
	v_fmaak_f64 v[60:61], v[44:45], v[60:61], 0x3f4b2bb069efb384
	s_delay_alu instid0(VALU_DEP_1) | instskip(SKIP_1) | instid1(VALU_DEP_2)
	v_fmaak_f64 v[60:61], v[44:45], v[60:61], 0xbf67952daf56de9b
	v_add_f64_e64 v[46:47], v[48:49], -v[56:57]
	v_fmaak_f64 v[48:49], v[44:45], v[60:61], 0x3f7d6d43a595c56f
	s_delay_alu instid0(VALU_DEP_1) | instskip(NEXT) | instid1(VALU_DEP_1)
	v_fmaak_f64 v[48:49], v[44:45], v[48:49], 0xbf8c6ea4a57d9582
	v_fmaak_f64 v[48:49], v[44:45], v[48:49], 0x3f967e295f08b19f
	s_delay_alu instid0(VALU_DEP_1) | instskip(NEXT) | instid1(VALU_DEP_1)
	v_fmaak_f64 v[48:49], v[44:45], v[48:49], 0xbf9e9ae6fc27006a
	v_fmaak_f64 v[48:49], v[44:45], v[48:49], 0x3fa2c15b5711927a
	v_add_f64_e32 v[42:43], v[42:43], v[46:47]
	s_delay_alu instid0(VALU_DEP_2) | instskip(SKIP_1) | instid1(VALU_DEP_2)
	v_fmaak_f64 v[46:47], v[44:45], v[48:49], 0xbfa59976e82d3ff0
	v_add_f64_e64 v[48:49], v[54:55], -v[52:53]
	v_fmaak_f64 v[46:47], v[44:45], v[46:47], 0x3fa82d5d6ef28734
	s_delay_alu instid0(VALU_DEP_1) | instskip(NEXT) | instid1(VALU_DEP_1)
	v_fmaak_f64 v[46:47], v[44:45], v[46:47], 0xbfaae5ce6a214619
	v_fmaak_f64 v[46:47], v[44:45], v[46:47], 0x3fae1bb48427b883
	s_delay_alu instid0(VALU_DEP_1) | instskip(SKIP_3) | instid1(VALU_DEP_4)
	v_fmaak_f64 v[46:47], v[44:45], v[46:47], 0xbfb110e48b207f05
	v_add_f64_e32 v[42:43], v[54:55], v[42:43]
	v_add_f64_e64 v[54:55], v[54:55], -v[48:49]
	v_add_f64_e64 v[38:39], v[38:39], -v[48:49]
	v_fmaak_f64 v[46:47], v[44:45], v[46:47], 0x3fb3b13657b87036
	s_delay_alu instid0(VALU_DEP_1) | instskip(NEXT) | instid1(VALU_DEP_1)
	v_fmaak_f64 v[46:47], v[44:45], v[46:47], 0xbfb745d119378e4f
	v_fmaak_f64 v[46:47], v[44:45], v[46:47], 0x3fbc71c717e1913c
	s_delay_alu instid0(VALU_DEP_1) | instskip(SKIP_1) | instid1(VALU_DEP_2)
	v_fmaak_f64 v[46:47], v[44:45], v[46:47], 0xbfc2492492376b7d
	v_add_f64_e32 v[56:57], v[50:51], v[42:43]
	v_fmaak_f64 v[46:47], v[44:45], v[46:47], 0x3fc99999999952cc
	s_delay_alu instid0(VALU_DEP_1) | instskip(NEXT) | instid1(VALU_DEP_1)
	v_fmaak_f64 v[46:47], v[44:45], v[46:47], 0xbfd5555555555523
	v_mul_f64_e32 v[44:45], v[44:45], v[46:47]
	v_add_f64_e64 v[46:47], v[52:53], -v[54:55]
	v_add_f64_e64 v[48:49], v[56:57], -v[50:51]
	s_delay_alu instid0(VALU_DEP_3) | instskip(NEXT) | instid1(VALU_DEP_3)
	v_fmac_f64_e32 v[40:41], v[40:41], v[44:45]
	v_add_f64_e32 v[38:39], v[38:39], v[46:47]
	s_delay_alu instid0(VALU_DEP_3) | instskip(NEXT) | instid1(VALU_DEP_3)
	v_add_f64_e64 v[42:43], v[42:43], -v[48:49]
	v_add_f64_e64 v[44:45], -v[40:41], s[30:31]
	s_delay_alu instid0(VALU_DEP_1) | instskip(NEXT) | instid1(VALU_DEP_2)
	v_dual_add_f64 v[38:39], v[38:39], v[42:43] :: v_dual_cndmask_b32 v41, v41, v45, s2
	v_cndmask_b32_e64 v40, v40, v44, s2
	s_delay_alu instid0(VALU_DEP_1) | instskip(NEXT) | instid1(VALU_DEP_3)
	v_add_f64_e64 v[42:43], -v[40:41], s[34:35]
	v_add_f64_e32 v[38:39], v[56:57], v[38:39]
	s_delay_alu instid0(VALU_DEP_2) | instskip(SKIP_1) | instid1(VALU_DEP_1)
	v_dual_cndmask_b32 v16, v40, v42 :: v_dual_cndmask_b32 v15, v41, v43
	s_and_b32 vcc_lo, s8, s7
                                        ; implicit-def: $vgpr42_vgpr43
	v_dual_cndmask_b32 v12, v16, v12, s3 :: v_dual_cndmask_b32 v1, v15, v1, s3
	s_delay_alu instid0(VALU_DEP_3) | instskip(NEXT) | instid1(VALU_DEP_2)
	v_mul_f64_e32 v[44:45], 0.5, v[38:39]
	v_dual_cndmask_b32 v39, v1, v14 :: v_dual_cndmask_b32 v38, v12, v8
	s_delay_alu instid0(VALU_DEP_2) | instskip(NEXT) | instid1(VALU_DEP_3)
	v_cndmask_b32_e64 v15, 0x7ff00000, v45, s4
	v_cndmask_b32_e64 v14, 0, v44, s4
.LBB191_128:                            ;   in Loop: Header=BB191_5 Depth=1
	s_and_not1_saveexec_b32 s4, s6
	s_cbranch_execz .LBB191_130
; %bb.129:                              ;   in Loop: Header=BB191_5 Depth=1
	v_max_num_f64_e64 v[14:15], |v[4:5]|, |v[4:5]|
	v_max_num_f64_e64 v[38:39], |v[2:3]|, |v[2:3]|
	v_ashrrev_i32_e32 v1, 31, v3
	v_cmp_eq_f64_e64 s3, 0, v[4:5]
	v_cmp_class_f64_e64 s6, v[4:5], 0x204
	v_cmp_class_f64_e64 s7, v[2:3], 0x204
	s_delay_alu instid0(VALU_DEP_4) | instskip(SKIP_2) | instid1(VALU_DEP_1)
	v_and_b32_e32 v12, 0x54442d18, v1
	v_max_num_f64_e32 v[40:41], v[38:39], v[14:15]
	v_min_num_f64_e32 v[14:15], v[38:39], v[14:15]
	v_div_scale_f64 v[38:39], null, v[40:41], v[40:41], v[14:15]
	v_div_scale_f64 v[48:49], vcc_lo, v[14:15], v[40:41], v[14:15]
	s_delay_alu instid0(VALU_DEP_2) | instskip(SKIP_1) | instid1(TRANS32_DEP_1)
	v_rcp_f64_e32 v[44:45], v[38:39]
	v_nop
	v_fma_f64 v[46:47], -v[38:39], v[44:45], 1.0
	s_delay_alu instid0(VALU_DEP_1) | instskip(NEXT) | instid1(VALU_DEP_1)
	v_fmac_f64_e32 v[44:45], v[44:45], v[46:47]
	v_fma_f64 v[46:47], -v[38:39], v[44:45], 1.0
	s_delay_alu instid0(VALU_DEP_1) | instskip(NEXT) | instid1(VALU_DEP_1)
	v_fmac_f64_e32 v[44:45], v[44:45], v[46:47]
	v_mul_f64_e32 v[46:47], v[48:49], v[44:45]
	s_delay_alu instid0(VALU_DEP_1) | instskip(NEXT) | instid1(VALU_DEP_1)
	v_fma_f64 v[38:39], -v[38:39], v[46:47], v[48:49]
	v_div_fmas_f64 v[38:39], v[38:39], v[44:45], v[46:47]
	v_cmp_gt_i32_e32 vcc_lo, 0, v3
	v_cndmask_b32_e32 v8, 0x54442d18, v62, vcc_lo
	v_cndmask_b32_e32 v21, 0x3fe921fb, v63, vcc_lo
	v_and_b32_e32 v1, 0x400921fb, v1
	s_delay_alu instid0(VALU_DEP_2) | instskip(SKIP_1) | instid1(VALU_DEP_1)
	v_bfi_b32 v21, 0x7fffffff, v21, v5
	v_div_fixup_f64 v[14:15], v[38:39], v[40:41], v[14:15]
	v_mul_f64_e32 v[38:39], v[14:15], v[14:15]
	s_delay_alu instid0(VALU_DEP_1) | instskip(NEXT) | instid1(VALU_DEP_1)
	v_fmamk_f64 v[40:41], v[38:39], 0x3eeba404b5e68a13, v[24:25]
	v_fmaak_f64 v[40:41], v[38:39], v[40:41], 0x3f4b2bb069efb384
	s_delay_alu instid0(VALU_DEP_1) | instskip(NEXT) | instid1(VALU_DEP_1)
	v_fmaak_f64 v[40:41], v[38:39], v[40:41], 0xbf67952daf56de9b
	v_fmaak_f64 v[40:41], v[38:39], v[40:41], 0x3f7d6d43a595c56f
	s_delay_alu instid0(VALU_DEP_1) | instskip(NEXT) | instid1(VALU_DEP_1)
	v_fmaak_f64 v[40:41], v[38:39], v[40:41], 0xbf8c6ea4a57d9582
	v_fmaak_f64 v[40:41], v[38:39], v[40:41], 0x3f967e295f08b19f
	s_delay_alu instid0(VALU_DEP_1) | instskip(NEXT) | instid1(VALU_DEP_1)
	v_fmaak_f64 v[40:41], v[38:39], v[40:41], 0xbf9e9ae6fc27006a
	v_fmaak_f64 v[40:41], v[38:39], v[40:41], 0x3fa2c15b5711927a
	s_delay_alu instid0(VALU_DEP_1) | instskip(NEXT) | instid1(VALU_DEP_1)
	v_fmaak_f64 v[40:41], v[38:39], v[40:41], 0xbfa59976e82d3ff0
	v_fmaak_f64 v[40:41], v[38:39], v[40:41], 0x3fa82d5d6ef28734
	s_delay_alu instid0(VALU_DEP_1) | instskip(NEXT) | instid1(VALU_DEP_1)
	v_fmaak_f64 v[40:41], v[38:39], v[40:41], 0xbfaae5ce6a214619
	v_fmaak_f64 v[40:41], v[38:39], v[40:41], 0x3fae1bb48427b883
	s_delay_alu instid0(VALU_DEP_1) | instskip(NEXT) | instid1(VALU_DEP_1)
	v_fmaak_f64 v[40:41], v[38:39], v[40:41], 0xbfb110e48b207f05
	v_fmaak_f64 v[40:41], v[38:39], v[40:41], 0x3fb3b13657b87036
	s_delay_alu instid0(VALU_DEP_1) | instskip(NEXT) | instid1(VALU_DEP_1)
	v_fmaak_f64 v[40:41], v[38:39], v[40:41], 0xbfb745d119378e4f
	v_fmaak_f64 v[40:41], v[38:39], v[40:41], 0x3fbc71c717e1913c
	s_delay_alu instid0(VALU_DEP_1) | instskip(NEXT) | instid1(VALU_DEP_1)
	v_fmaak_f64 v[40:41], v[38:39], v[40:41], 0xbfc2492492376b7d
	v_fmaak_f64 v[40:41], v[38:39], v[40:41], 0x3fc99999999952cc
	s_delay_alu instid0(VALU_DEP_1) | instskip(NEXT) | instid1(VALU_DEP_1)
	v_fmaak_f64 v[40:41], v[38:39], v[40:41], 0xbfd5555555555523
	v_mul_f64_e32 v[38:39], v[38:39], v[40:41]
	s_delay_alu instid0(VALU_DEP_1) | instskip(NEXT) | instid1(VALU_DEP_1)
	v_fmac_f64_e32 v[14:15], v[14:15], v[38:39]
	v_add_f64_e64 v[38:39], -v[14:15], s[30:31]
	s_delay_alu instid0(VALU_DEP_1) | instskip(NEXT) | instid1(VALU_DEP_1)
	v_dual_cndmask_b32 v39, v15, v39, s2 :: v_dual_cndmask_b32 v38, v14, v38, s2
	v_add_f64_e64 v[40:41], -v[38:39], s[34:35]
	s_delay_alu instid0(VALU_DEP_1) | instskip(NEXT) | instid1(VALU_DEP_2)
	v_dual_mul_f64 v[14:15], 0.5, v[42:43] :: v_dual_cndmask_b32 v16, v38, v40, vcc_lo
	v_cndmask_b32_e32 v38, v39, v41, vcc_lo
	s_and_b32 vcc_lo, s7, s6
	s_delay_alu instid0(VALU_DEP_2) | instskip(NEXT) | instid1(VALU_DEP_1)
	v_dual_mul_f64 v[14:15], v[42:43], v[14:15] :: v_dual_cndmask_b32 v12, v16, v12, s3
	v_dual_cndmask_b32 v1, v38, v1, s3 :: v_dual_cndmask_b32 v38, v12, v8, vcc_lo
	s_delay_alu instid0(VALU_DEP_1)
	v_cndmask_b32_e32 v39, v1, v21, vcc_lo
.LBB191_130:                            ;   in Loop: Header=BB191_5 Depth=1
	s_or_b32 exec_lo, exec_lo, s4
.LBB191_131:                            ;   in Loop: Header=BB191_5 Depth=1
	s_delay_alu instid0(SALU_CYCLE_1)
	s_or_b32 exec_lo, exec_lo, s5
.LBB191_132:                            ;   in Loop: Header=BB191_5 Depth=1
	s_and_not1_saveexec_b32 s4, s45
	s_cbranch_execz .LBB191_134
; %bb.133:                              ;   in Loop: Header=BB191_5 Depth=1
	v_div_scale_f64 v[14:15], null, s[40:41], s[40:41], v[2:3]
	v_div_scale_f64 v[38:39], null, s[40:41], s[40:41], v[4:5]
	v_div_scale_f64 v[48:49], vcc_lo, v[2:3], s[40:41], v[2:3]
	s_delay_alu instid0(VALU_DEP_3) | instskip(NEXT) | instid1(VALU_DEP_2)
	v_rcp_f64_e32 v[40:41], v[14:15]
	v_rcp_f64_e32 v[42:43], v[38:39]
	s_delay_alu instid0(TRANS32_DEP_2) | instskip(NEXT) | instid1(TRANS32_DEP_1)
	v_fma_f64 v[44:45], -v[14:15], v[40:41], 1.0
	v_fma_f64 v[46:47], -v[38:39], v[42:43], 1.0
	s_delay_alu instid0(VALU_DEP_2) | instskip(NEXT) | instid1(VALU_DEP_2)
	v_fmac_f64_e32 v[40:41], v[40:41], v[44:45]
	v_fmac_f64_e32 v[42:43], v[42:43], v[46:47]
	s_delay_alu instid0(VALU_DEP_2) | instskip(NEXT) | instid1(VALU_DEP_2)
	v_fma_f64 v[44:45], -v[14:15], v[40:41], 1.0
	v_fma_f64 v[46:47], -v[38:39], v[42:43], 1.0
	s_delay_alu instid0(VALU_DEP_2) | instskip(SKIP_1) | instid1(VALU_DEP_3)
	v_fmac_f64_e32 v[40:41], v[40:41], v[44:45]
	v_div_scale_f64 v[44:45], s3, v[4:5], s[40:41], v[4:5]
	v_fmac_f64_e32 v[42:43], v[42:43], v[46:47]
	s_delay_alu instid0(VALU_DEP_3) | instskip(NEXT) | instid1(VALU_DEP_2)
	v_mul_f64_e32 v[46:47], v[48:49], v[40:41]
	v_mul_f64_e32 v[50:51], v[44:45], v[42:43]
	s_delay_alu instid0(VALU_DEP_2) | instskip(NEXT) | instid1(VALU_DEP_2)
	v_fma_f64 v[14:15], -v[14:15], v[46:47], v[48:49]
	v_fma_f64 v[38:39], -v[38:39], v[50:51], v[44:45]
	s_delay_alu instid0(VALU_DEP_2) | instskip(SKIP_1) | instid1(VALU_DEP_2)
	v_div_fmas_f64 v[14:15], v[14:15], v[40:41], v[46:47]
	s_mov_b32 vcc_lo, s3
	v_div_fmas_f64 v[38:39], v[38:39], v[42:43], v[50:51]
	s_delay_alu instid0(VALU_DEP_2) | instskip(NEXT) | instid1(VALU_DEP_2)
	v_div_fixup_f64 v[14:15], v[14:15], s[40:41], v[2:3]
	v_div_fixup_f64 v[38:39], v[38:39], s[40:41], v[4:5]
	s_delay_alu instid0(VALU_DEP_2) | instskip(NEXT) | instid1(VALU_DEP_2)
	v_cmp_class_f64_e64 s3, v[14:15], 0x204
	v_max_num_f64_e64 v[40:41], |v[14:15]|, |v[38:39]|
	v_cmp_class_f64_e64 s5, v[38:39], 0x204
	s_delay_alu instid0(VALU_DEP_2) | instskip(SKIP_2) | instid1(VALU_DEP_2)
	v_frexp_exp_i32_f64_e32 v1, v[40:41]
	s_or_b32 s3, s3, s5
	v_cmp_class_f64_e64 s5, v[2:3], 0x204
	v_sub_nc_u32_e32 v8, 0, v1
	s_delay_alu instid0(VALU_DEP_1) | instskip(SKIP_1) | instid1(VALU_DEP_2)
	v_ldexp_f64 v[40:41], |v[38:39]|, v8
	v_ldexp_f64 v[42:43], |v[14:15]|, v8
	v_mul_f64_e32 v[40:41], v[40:41], v[40:41]
	s_delay_alu instid0(VALU_DEP_1) | instskip(NEXT) | instid1(VALU_DEP_1)
	v_fmac_f64_e32 v[40:41], v[42:43], v[42:43]
	v_rsq_f64_e32 v[42:43], v[40:41]
	v_cmp_eq_f64_e32 vcc_lo, 0, v[40:41]
	s_delay_alu instid0(TRANS32_DEP_1) | instskip(SKIP_1) | instid1(VALU_DEP_1)
	v_mul_f64_e32 v[44:45], v[40:41], v[42:43]
	v_mul_f64_e32 v[42:43], 0.5, v[42:43]
	v_fma_f64 v[46:47], -v[42:43], v[44:45], 0.5
	s_delay_alu instid0(VALU_DEP_1) | instskip(SKIP_1) | instid1(VALU_DEP_2)
	v_fmac_f64_e32 v[44:45], v[44:45], v[46:47]
	v_fmac_f64_e32 v[42:43], v[42:43], v[46:47]
	v_fma_f64 v[46:47], -v[44:45], v[44:45], v[40:41]
	s_delay_alu instid0(VALU_DEP_1) | instskip(NEXT) | instid1(VALU_DEP_1)
	v_fmac_f64_e32 v[44:45], v[46:47], v[42:43]
	v_dual_cndmask_b32 v41, v45, v41 :: v_dual_cndmask_b32 v40, v44, v40
	v_cmp_o_f64_e32 vcc_lo, v[14:15], v[38:39]
	s_delay_alu instid0(VALU_DEP_2) | instskip(NEXT) | instid1(VALU_DEP_1)
	v_ldexp_f64 v[40:41], v[40:41], v1
	v_cndmask_b32_e32 v1, 0, v40, vcc_lo
	s_delay_alu instid0(VALU_DEP_2) | instskip(NEXT) | instid1(VALU_DEP_2)
	v_cndmask_b32_e32 v8, 0x7ff80000, v41, vcc_lo
	v_cndmask_b32_e64 v40, v1, 0, s3
	s_delay_alu instid0(VALU_DEP_2) | instskip(SKIP_1) | instid1(VALU_DEP_2)
	v_cndmask_b32_e64 v41, v8, 0x7ff00000, s3
	v_cmp_class_f64_e64 s3, v[4:5], 0x204
	v_frexp_mant_f64_e32 v[14:15], v[40:41]
	s_delay_alu instid0(VALU_DEP_1) | instskip(SKIP_1) | instid1(VALU_DEP_1)
	v_cmp_gt_f64_e32 vcc_lo, s[26:27], v[14:15]
	v_cndmask_b32_e64 v1, 0, 1, vcc_lo
	v_ldexp_f64 v[14:15], v[14:15], v1
	v_frexp_exp_i32_f64_e32 v1, v[40:41]
	s_delay_alu instid0(VALU_DEP_2) | instskip(SKIP_1) | instid1(VALU_DEP_3)
	v_add_f64_e32 v[38:39], 1.0, v[14:15]
	v_add_f64_e32 v[46:47], -1.0, v[14:15]
	v_subrev_co_ci_u32_e64 v1, null, 0, v1, vcc_lo
	s_delay_alu instid0(VALU_DEP_3) | instskip(SKIP_1) | instid1(VALU_DEP_1)
	v_rcp_f64_e32 v[42:43], v[38:39]
	v_add_f64_e32 v[48:49], -1.0, v[38:39]
	v_add_f64_e64 v[14:15], v[14:15], -v[48:49]
	s_delay_alu instid0(TRANS32_DEP_1) | instskip(NEXT) | instid1(VALU_DEP_1)
	v_fma_f64 v[44:45], -v[38:39], v[42:43], 1.0
	v_fmac_f64_e32 v[42:43], v[44:45], v[42:43]
	s_delay_alu instid0(VALU_DEP_1) | instskip(NEXT) | instid1(VALU_DEP_1)
	v_fma_f64 v[44:45], -v[38:39], v[42:43], 1.0
	v_fmac_f64_e32 v[42:43], v[44:45], v[42:43]
	s_delay_alu instid0(VALU_DEP_1) | instskip(NEXT) | instid1(VALU_DEP_1)
	v_mul_f64_e32 v[44:45], v[46:47], v[42:43]
	v_mul_f64_e32 v[50:51], v[38:39], v[44:45]
	s_delay_alu instid0(VALU_DEP_1) | instskip(NEXT) | instid1(VALU_DEP_1)
	v_fma_f64 v[38:39], v[44:45], v[38:39], -v[50:51]
	v_fmac_f64_e32 v[38:39], v[44:45], v[14:15]
	s_delay_alu instid0(VALU_DEP_1) | instskip(NEXT) | instid1(VALU_DEP_1)
	v_add_f64_e32 v[14:15], v[50:51], v[38:39]
	v_add_f64_e64 v[48:49], v[46:47], -v[14:15]
	v_add_f64_e64 v[50:51], v[14:15], -v[50:51]
	s_delay_alu instid0(VALU_DEP_2) | instskip(NEXT) | instid1(VALU_DEP_2)
	v_add_f64_e64 v[46:47], v[46:47], -v[48:49]
	v_add_f64_e64 v[38:39], v[50:51], -v[38:39]
	s_delay_alu instid0(VALU_DEP_2) | instskip(SKIP_1) | instid1(VALU_DEP_2)
	v_add_f64_e64 v[14:15], v[46:47], -v[14:15]
	v_max_num_f64_e64 v[46:47], |v[2:3]|, |v[2:3]|
	v_add_f64_e32 v[14:15], v[38:39], v[14:15]
	v_max_num_f64_e64 v[38:39], |v[4:5]|, |v[4:5]|
	s_delay_alu instid0(VALU_DEP_2) | instskip(NEXT) | instid1(VALU_DEP_1)
	v_add_f64_e32 v[14:15], v[48:49], v[14:15]
	v_mul_f64_e32 v[14:15], v[42:43], v[14:15]
	s_delay_alu instid0(VALU_DEP_3) | instskip(SKIP_1) | instid1(VALU_DEP_3)
	v_max_num_f64_e32 v[42:43], v[46:47], v[38:39]
	v_min_num_f64_e32 v[38:39], v[46:47], v[38:39]
	v_add_f64_e32 v[46:47], v[44:45], v[14:15]
	s_delay_alu instid0(VALU_DEP_2) | instskip(NEXT) | instid1(VALU_DEP_2)
	v_div_scale_f64 v[48:49], null, v[42:43], v[42:43], v[38:39]
	v_mul_f64_e32 v[50:51], v[46:47], v[46:47]
	v_add_f64_e64 v[44:45], v[46:47], -v[44:45]
	s_delay_alu instid0(VALU_DEP_3) | instskip(NEXT) | instid1(VALU_DEP_2)
	v_rcp_f64_e32 v[52:53], v[48:49]
	v_fmamk_f64 v[54:55], v[50:51], 0x3fc3ab76bf559e2b, v[22:23]
	v_mul_f64_e32 v[56:57], v[46:47], v[50:51]
	s_delay_alu instid0(VALU_DEP_3) | instskip(NEXT) | instid1(VALU_DEP_3)
	v_add_f64_e64 v[14:15], v[14:15], -v[44:45]
	v_fmaak_f64 v[54:55], v[50:51], v[54:55], 0x3fc7474dd7f4df2e
	s_delay_alu instid0(TRANS32_DEP_1) | instskip(NEXT) | instid1(VALU_DEP_2)
	v_fma_f64 v[58:59], -v[48:49], v[52:53], 1.0
	v_fmaak_f64 v[54:55], v[50:51], v[54:55], 0x3fcc71c016291751
	s_delay_alu instid0(VALU_DEP_1) | instskip(NEXT) | instid1(VALU_DEP_1)
	v_fmaak_f64 v[54:55], v[50:51], v[54:55], 0x3fd249249b27acf1
	v_fmaak_f64 v[54:55], v[50:51], v[54:55], 0x3fd99999998ef7b6
	v_ldexp_f64 v[14:15], v[14:15], 1
	s_delay_alu instid0(VALU_DEP_2) | instskip(SKIP_2) | instid1(VALU_DEP_3)
	v_fmaak_f64 v[50:51], v[50:51], v[54:55], 0x3fe5555555555780
	v_ldexp_f64 v[54:55], v[46:47], 1
	v_fmac_f64_e32 v[52:53], v[52:53], v[58:59]
	v_mul_f64_e32 v[50:51], v[56:57], v[50:51]
	v_cvt_f64_i32_e32 v[56:57], v1
	v_ashrrev_i32_e32 v1, 31, v3
	s_delay_alu instid0(VALU_DEP_1) | instskip(SKIP_4) | instid1(VALU_DEP_3)
	v_and_b32_e32 v12, 0x54442d18, v1
	v_and_b32_e32 v1, 0x400921fb, v1
	v_fma_f64 v[58:59], -v[48:49], v[52:53], 1.0
	v_add_f64_e32 v[46:47], v[54:55], v[50:51]
	v_mul_f64_e32 v[60:61], 0x3fe62e42fefa39ef, v[56:57]
	v_fmac_f64_e32 v[52:53], v[52:53], v[58:59]
	s_delay_alu instid0(VALU_DEP_3) | instskip(SKIP_1) | instid1(VALU_DEP_4)
	v_add_f64_e64 v[44:45], v[46:47], -v[54:55]
	v_div_scale_f64 v[54:55], vcc_lo, v[38:39], v[42:43], v[38:39]
	v_fma_f64 v[58:59], v[56:57], s[28:29], -v[60:61]
	s_delay_alu instid0(VALU_DEP_3) | instskip(NEXT) | instid1(VALU_DEP_3)
	v_add_f64_e64 v[44:45], v[50:51], -v[44:45]
	v_mul_f64_e32 v[50:51], v[54:55], v[52:53]
	s_delay_alu instid0(VALU_DEP_3) | instskip(NEXT) | instid1(VALU_DEP_3)
	v_fmac_f64_e32 v[58:59], 0x3c7abc9e3b39803f, v[56:57]
	v_add_f64_e32 v[14:15], v[14:15], v[44:45]
	s_delay_alu instid0(VALU_DEP_3) | instskip(NEXT) | instid1(VALU_DEP_3)
	v_fma_f64 v[44:45], -v[48:49], v[50:51], v[54:55]
	v_add_f64_e32 v[48:49], v[60:61], v[58:59]
	s_delay_alu instid0(VALU_DEP_3) | instskip(NEXT) | instid1(VALU_DEP_3)
	v_add_f64_e32 v[54:55], v[46:47], v[14:15]
	v_div_fmas_f64 v[44:45], v[44:45], v[52:53], v[50:51]
	v_cmp_class_f64_e64 vcc_lo, v[40:41], 0x204
	s_delay_alu instid0(VALU_DEP_4) | instskip(NEXT) | instid1(VALU_DEP_4)
	v_add_f64_e64 v[52:53], v[48:49], -v[60:61]
	v_add_f64_e32 v[50:51], v[48:49], v[54:55]
	s_delay_alu instid0(VALU_DEP_4) | instskip(SKIP_1) | instid1(VALU_DEP_4)
	v_div_fixup_f64 v[38:39], v[44:45], v[42:43], v[38:39]
	v_add_f64_e64 v[46:47], v[54:55], -v[46:47]
	v_add_f64_e64 v[52:53], v[58:59], -v[52:53]
	s_delay_alu instid0(VALU_DEP_4) | instskip(NEXT) | instid1(VALU_DEP_4)
	v_add_f64_e64 v[42:43], v[50:51], -v[48:49]
	v_mul_f64_e32 v[44:45], v[38:39], v[38:39]
	s_delay_alu instid0(VALU_DEP_4) | instskip(NEXT) | instid1(VALU_DEP_3)
	v_add_f64_e64 v[14:15], v[14:15], -v[46:47]
	v_add_f64_e64 v[56:57], v[50:51], -v[42:43]
	s_delay_alu instid0(VALU_DEP_3) | instskip(SKIP_1) | instid1(VALU_DEP_4)
	v_fmamk_f64 v[60:61], v[44:45], 0x3eeba404b5e68a13, v[24:25]
	v_add_f64_e64 v[42:43], v[54:55], -v[42:43]
	v_add_f64_e32 v[54:55], v[52:53], v[14:15]
	s_delay_alu instid0(VALU_DEP_3) | instskip(SKIP_1) | instid1(VALU_DEP_2)
	v_fmaak_f64 v[60:61], v[44:45], v[60:61], 0x3f4b2bb069efb384
	v_add_f64_e64 v[46:47], v[48:49], -v[56:57]
	v_fmaak_f64 v[48:49], v[44:45], v[60:61], 0xbf67952daf56de9b
	s_delay_alu instid0(VALU_DEP_1) | instskip(NEXT) | instid1(VALU_DEP_1)
	v_fmaak_f64 v[48:49], v[44:45], v[48:49], 0x3f7d6d43a595c56f
	v_fmaak_f64 v[48:49], v[44:45], v[48:49], 0xbf8c6ea4a57d9582
	s_delay_alu instid0(VALU_DEP_1) | instskip(SKIP_1) | instid1(VALU_DEP_2)
	v_fmaak_f64 v[48:49], v[44:45], v[48:49], 0x3f967e295f08b19f
	v_add_f64_e32 v[42:43], v[42:43], v[46:47]
	v_fmaak_f64 v[46:47], v[44:45], v[48:49], 0xbf9e9ae6fc27006a
	v_add_f64_e64 v[48:49], v[54:55], -v[52:53]
	s_delay_alu instid0(VALU_DEP_2) | instskip(NEXT) | instid1(VALU_DEP_1)
	v_fmaak_f64 v[46:47], v[44:45], v[46:47], 0x3fa2c15b5711927a
	v_fmaak_f64 v[46:47], v[44:45], v[46:47], 0xbfa59976e82d3ff0
	s_delay_alu instid0(VALU_DEP_1) | instskip(NEXT) | instid1(VALU_DEP_1)
	v_fmaak_f64 v[46:47], v[44:45], v[46:47], 0x3fa82d5d6ef28734
	v_fmaak_f64 v[46:47], v[44:45], v[46:47], 0xbfaae5ce6a214619
	v_add_f64_e32 v[42:43], v[54:55], v[42:43]
	v_add_f64_e64 v[54:55], v[54:55], -v[48:49]
	v_add_f64_e64 v[14:15], v[14:15], -v[48:49]
	s_delay_alu instid0(VALU_DEP_4) | instskip(NEXT) | instid1(VALU_DEP_1)
	v_fmaak_f64 v[46:47], v[44:45], v[46:47], 0x3fae1bb48427b883
	v_fmaak_f64 v[46:47], v[44:45], v[46:47], 0xbfb110e48b207f05
	s_delay_alu instid0(VALU_DEP_1) | instskip(NEXT) | instid1(VALU_DEP_1)
	v_fmaak_f64 v[46:47], v[44:45], v[46:47], 0x3fb3b13657b87036
	v_fmaak_f64 v[46:47], v[44:45], v[46:47], 0xbfb745d119378e4f
	s_delay_alu instid0(VALU_DEP_1) | instskip(SKIP_1) | instid1(VALU_DEP_2)
	v_fmaak_f64 v[46:47], v[44:45], v[46:47], 0x3fbc71c717e1913c
	v_add_f64_e32 v[56:57], v[50:51], v[42:43]
	v_fmaak_f64 v[46:47], v[44:45], v[46:47], 0xbfc2492492376b7d
	s_delay_alu instid0(VALU_DEP_1) | instskip(NEXT) | instid1(VALU_DEP_1)
	v_fmaak_f64 v[46:47], v[44:45], v[46:47], 0x3fc99999999952cc
	v_fmaak_f64 v[46:47], v[44:45], v[46:47], 0xbfd5555555555523
	s_delay_alu instid0(VALU_DEP_1) | instskip(SKIP_2) | instid1(VALU_DEP_3)
	v_mul_f64_e32 v[44:45], v[44:45], v[46:47]
	v_add_f64_e64 v[46:47], v[52:53], -v[54:55]
	v_add_f64_e64 v[48:49], v[56:57], -v[50:51]
	v_fmac_f64_e32 v[38:39], v[38:39], v[44:45]
	s_delay_alu instid0(VALU_DEP_3) | instskip(NEXT) | instid1(VALU_DEP_3)
	v_add_f64_e32 v[14:15], v[14:15], v[46:47]
	v_add_f64_e64 v[42:43], v[42:43], -v[48:49]
	s_delay_alu instid0(VALU_DEP_3) | instskip(NEXT) | instid1(VALU_DEP_2)
	v_add_f64_e64 v[44:45], -v[38:39], s[30:31]
	v_add_f64_e32 v[14:15], v[14:15], v[42:43]
	s_delay_alu instid0(VALU_DEP_2) | instskip(SKIP_1) | instid1(VALU_DEP_3)
	v_dual_cndmask_b32 v39, v39, v45, s2 :: v_dual_cndmask_b32 v38, v38, v44, s2
	v_cmp_gt_i32_e64 s2, 0, v3
	v_add_f64_e32 v[14:15], v[56:57], v[14:15]
	s_delay_alu instid0(VALU_DEP_3) | instskip(NEXT) | instid1(VALU_DEP_3)
	v_add_f64_e64 v[42:43], -v[38:39], s[34:35]
	v_cndmask_b32_e64 v8, 0x54442d18, v62, s2
	v_cndmask_b32_e64 v21, 0x3fe921fb, v63, s2
	s_delay_alu instid0(VALU_DEP_1) | instskip(SKIP_4) | instid1(VALU_DEP_2)
	v_bfi_b32 v21, 0x7fffffff, v21, v5
	v_dual_cndmask_b32 v15, v15, v41 :: v_dual_cndmask_b32 v14, v14, v40
	v_cmp_eq_f64_e32 vcc_lo, 0, v[4:5]
	v_dual_cndmask_b32 v16, v38, v42, s2 :: v_dual_cndmask_b32 v38, v39, v43, s2
	v_cmp_nge_f64_e64 s2, 0, v[40:41]
	v_dual_add_f64 v[14:15], 1.0, v[14:15] :: v_dual_cndmask_b32 v12, v16, v12, vcc_lo
	s_delay_alu instid0(VALU_DEP_3) | instskip(SKIP_1) | instid1(VALU_DEP_3)
	v_cndmask_b32_e32 v1, v38, v1, vcc_lo
	v_cmp_ngt_f64_e32 vcc_lo, 0, v[40:41]
	v_cndmask_b32_e64 v14, 0, v14, s2
	v_cmp_neq_f64_e64 s2, 0, v[40:41]
	v_cndmask_b32_e32 v15, 0x7ff80000, v15, vcc_lo
	s_and_b32 vcc_lo, s5, s3
	v_dual_cndmask_b32 v39, v1, v21 :: v_dual_cndmask_b32 v38, v12, v8
	s_delay_alu instid0(VALU_DEP_2)
	v_cndmask_b32_e64 v15, 0xfff00000, v15, s2
.LBB191_134:                            ;   in Loop: Header=BB191_5 Depth=1
	s_or_b32 exec_lo, exec_lo, s4
.LBB191_135:                            ;   in Loop: Header=BB191_5 Depth=1
	s_and_not1_saveexec_b32 s2, s44
	s_cbranch_execz .LBB191_4
; %bb.136:                              ;   in Loop: Header=BB191_5 Depth=1
	v_cmp_ngt_f64_e64 s3, 0x20000000, |v[2:3]|
	v_cmp_ngt_f64_e64 s4, 0x20000000, |v[4:5]|
                                        ; implicit-def: $vgpr40_vgpr41
	s_or_b32 s3, s3, s4
	s_delay_alu instid0(SALU_CYCLE_1) | instskip(NEXT) | instid1(SALU_CYCLE_1)
	s_and_saveexec_b32 s4, s3
	s_xor_b32 s3, exec_lo, s4
	s_cbranch_execz .LBB191_138
; %bb.137:                              ;   in Loop: Header=BB191_5 Depth=1
	v_mul_f64_e32 v[40:41], v[4:5], v[4:5]
	s_delay_alu instid0(VALU_DEP_1)
	v_fmac_f64_e32 v[40:41], v[2:3], v[2:3]
.LBB191_138:                            ;   in Loop: Header=BB191_5 Depth=1
	s_and_not1_saveexec_b32 s3, s3
	s_cbranch_execz .LBB191_3
; %bb.139:                              ;   in Loop: Header=BB191_5 Depth=1
	v_mul_f64_e32 v[14:15], 4.0, v[4:5]
	v_mul_f64_e32 v[2:3], 4.0, v[2:3]
	s_delay_alu instid0(VALU_DEP_2) | instskip(NEXT) | instid1(VALU_DEP_1)
	v_mul_f64_e32 v[14:15], v[14:15], v[14:15]
	v_fmac_f64_e32 v[14:15], v[2:3], v[2:3]
	s_delay_alu instid0(VALU_DEP_1)
	v_ldexp_f64 v[40:41], v[14:15], -4
	s_branch .LBB191_3
.LBB191_140:
	s_or_b32 exec_lo, exec_lo, s13
	s_mov_b32 s2, 0
.LBB191_141:
	s_delay_alu instid0(SALU_CYCLE_1)
	s_and_not1_b32 vcc_lo, exec_lo, s2
	s_cbranch_vccnz .LBB191_297
; %bb.142:
	v_cmp_lt_i64_e64 s2, s[14:15], 1
	s_and_b32 vcc_lo, exec_lo, s2
	s_cbranch_vccnz .LBB191_297
; %bb.143:
	v_min_i64 v[18:19], 0x10000, s[14:15]
	v_min_u64 v[22:23], 0x10000, s[14:15]
	s_load_b32 s0, s[0:1], 0xc5c
	v_dual_mov_b32 v20, 0 :: v_dual_mov_b32 v69, 0x4002d97c
	v_mov_b64_e32 v[24:25], 0x3fc385386b47b09a
	v_mov_b64_e32 v[26:27], 0xbf23e260bd3237f4
	s_delay_alu instid0(VALU_DEP_3)
	v_dual_mov_b32 v68, 0x7f3321d2 :: v_dual_mov_b32 v1, v20
	s_mov_b32 s21, 0
	s_mov_b64 s[22:23], 0x7fd1ccf385ebc8a0
	s_mov_b64 s[24:25], 0x358dee7a4ad4b81f
	;; [unrolled: 1-line block ×5, first 2 shown]
	s_mov_b32 s35, s21
	s_mov_b32 s37, s21
	s_mov_b64 s[38:39], 0x3ff921fb54442d18
	s_mov_b64 s[40:41], 0x400921fb54442d18
	;; [unrolled: 1-line block ×5, first 2 shown]
	s_wait_kmcnt 0x0
	s_and_b32 s20, s0, 0xffff
	s_mov_b32 s49, s21
	s_lshl_b32 s34, s20, 1
	s_mul_i32 s36, s20, 3
	s_lshl_b32 s48, s20, 2
	s_mov_b64 s[50:51], 0
                                        ; implicit-def: $vgpr2_vgpr3
                                        ; implicit-def: $vgpr2_vgpr3
	;; [unrolled: 1-line block ×23, first 2 shown]
	s_branch .LBB191_145
.LBB191_144:                            ;   in Loop: Header=BB191_145 Depth=1
	s_wait_xcnt 0x0
	s_or_b32 exec_lo, exec_lo, s0
	s_add_nc_u64 s[50:51], s[50:51], s[48:49]
	s_delay_alu instid0(SALU_CYCLE_1)
	v_cmp_ge_i64_e32 vcc_lo, s[50:51], v[18:19]
	s_cbranch_vccnz .LBB191_297
.LBB191_145:                            ; =>This Loop Header: Depth=1
                                        ;     Child Loop BB191_164 Depth 2
                                        ;     Child Loop BB191_198 Depth 2
	;; [unrolled: 1-line block ×4, first 2 shown]
	v_add_nc_u64_e32 v[28:29], s[50:51], v[0:1]
	v_mov_b64_e32 v[4:5], 0
	v_mov_b64_e32 v[12:13], 0
	;; [unrolled: 1-line block ×3, first 2 shown]
	s_delay_alu instid0(VALU_DEP_4)
	v_cmp_lt_u64_e64 s1, v[28:29], v[22:23]
	s_and_saveexec_b32 s0, s1
	s_cbranch_execz .LBB191_147
; %bb.146:                              ;   in Loop: Header=BB191_145 Depth=1
	v_lshl_add_u64 v[2:3], v[28:29], 4, s[16:17]
	global_load_b128 v[10:13], v[2:3], off
.LBB191_147:                            ;   in Loop: Header=BB191_145 Depth=1
	s_wait_xcnt 0x0
	s_or_b32 exec_lo, exec_lo, s0
	v_add_nc_u64_e32 v[30:31], s[20:21], v[28:29]
	v_mov_b64_e32 v[2:3], 0
	s_delay_alu instid0(VALU_DEP_2)
	v_cmp_lt_u64_e64 s0, v[30:31], v[22:23]
	s_and_saveexec_b32 s2, s0
	s_cbranch_execz .LBB191_149
; %bb.148:                              ;   in Loop: Header=BB191_145 Depth=1
	v_lshl_add_u64 v[2:3], v[30:31], 4, s[16:17]
	global_load_b128 v[2:5], v[2:3], off
.LBB191_149:                            ;   in Loop: Header=BB191_145 Depth=1
	s_wait_xcnt 0x0
	s_or_b32 exec_lo, exec_lo, s2
	v_add_nc_u64_e32 v[32:33], s[34:35], v[28:29]
	v_mov_b64_e32 v[8:9], 0
	v_mov_b64_e32 v[16:17], 0
	;; [unrolled: 1-line block ×3, first 2 shown]
	s_delay_alu instid0(VALU_DEP_4)
	v_cmp_lt_u64_e64 s2, v[32:33], v[22:23]
	s_and_saveexec_b32 s3, s2
	s_cbranch_execz .LBB191_151
; %bb.150:                              ;   in Loop: Header=BB191_145 Depth=1
	v_lshl_add_u64 v[6:7], v[32:33], 4, s[16:17]
	global_load_b128 v[14:17], v[6:7], off
.LBB191_151:                            ;   in Loop: Header=BB191_145 Depth=1
	s_wait_xcnt 0x0
	s_or_b32 exec_lo, exec_lo, s3
	v_add_nc_u64_e32 v[34:35], s[36:37], v[28:29]
	v_mov_b64_e32 v[6:7], 0
	s_delay_alu instid0(VALU_DEP_2)
	v_cmp_lt_u64_e64 s3, v[34:35], v[22:23]
	s_and_saveexec_b32 s4, s3
	s_cbranch_execz .LBB191_153
; %bb.152:                              ;   in Loop: Header=BB191_145 Depth=1
	v_lshl_add_u64 v[6:7], v[34:35], 4, s[16:17]
	global_load_b128 v[6:9], v[6:7], off
.LBB191_153:                            ;   in Loop: Header=BB191_145 Depth=1
	s_wait_xcnt 0x0
	s_or_b32 exec_lo, exec_lo, s4
                                        ; implicit-def: $vgpr36_vgpr37
                                        ; implicit-def: $vgpr38_vgpr39
	s_delay_alu instid0(SALU_CYCLE_1)
	s_mov_b32 s4, exec_lo
	s_wait_loadcnt 0x0
	v_cmpx_o_f64_e32 v[10:11], v[12:13]
	s_xor_b32 s15, exec_lo, s4
	s_cbranch_execz .LBB191_181
; %bb.154:                              ;   in Loop: Header=BB191_145 Depth=1
	v_cmp_lt_f64_e64 s4, |v[10:11]|, |v[12:13]|
	v_and_b32_e32 v41, 0x7fffffff, v11
	v_and_b32_e32 v21, 0x7fffffff, v13
	v_mov_b32_e32 v40, v12
                                        ; implicit-def: $vgpr36_vgpr37
                                        ; implicit-def: $vgpr38_vgpr39
	s_mov_b32 s5, exec_lo
	s_delay_alu instid0(VALU_DEP_2) | instskip(NEXT) | instid1(VALU_DEP_1)
	v_dual_cndmask_b32 v43, v21, v41, s4 :: v_dual_cndmask_b32 v42, v12, v10, s4
	v_cmpx_nlt_f64_e32 s[22:23], v[42:43]
	s_xor_b32 s33, exec_lo, s5
	s_cbranch_execz .LBB191_178
; %bb.155:                              ;   in Loop: Header=BB191_145 Depth=1
	v_dual_cndmask_b32 v45, v41, v21, s4 :: v_dual_cndmask_b32 v44, v10, v40, s4
                                        ; implicit-def: $vgpr36_vgpr37
                                        ; implicit-def: $vgpr38_vgpr39
	s_mov_b32 s5, exec_lo
	s_delay_alu instid0(VALU_DEP_1)
	v_cmpx_neq_f64_e32 1.0, v[44:45]
	s_xor_b32 s52, exec_lo, s5
	s_cbranch_execz .LBB191_171
; %bb.156:                              ;   in Loop: Header=BB191_145 Depth=1
	v_max_num_f64_e32 v[36:37], v[42:43], v[42:43]
	v_max_num_f64_e32 v[38:39], v[44:45], v[44:45]
	s_delay_alu instid0(VALU_DEP_1) | instskip(SKIP_1) | instid1(VALU_DEP_2)
	v_min_num_f64_e32 v[40:41], v[38:39], v[36:37]
	v_max_num_f64_e32 v[36:37], v[38:39], v[36:37]
                                        ; implicit-def: $vgpr38_vgpr39
	v_cmp_ngt_f64_e32 vcc_lo, s[24:25], v[40:41]
	s_delay_alu instid0(VALU_DEP_2) | instskip(SKIP_1) | instid1(SALU_CYCLE_1)
	v_cmp_nlt_f64_e64 s5, s[26:27], v[36:37]
                                        ; implicit-def: $vgpr36_vgpr37
	s_and_b32 s5, s5, vcc_lo
	s_and_saveexec_b32 s6, s5
	s_delay_alu instid0(SALU_CYCLE_1)
	s_xor_b32 s53, exec_lo, s6
	s_cbranch_execz .LBB191_168
; %bb.157:                              ;   in Loop: Header=BB191_145 Depth=1
                                        ; implicit-def: $vgpr36_vgpr37
                                        ; implicit-def: $vgpr38_vgpr39
	s_mov_b32 s5, exec_lo
	v_cmpx_le_f64_e32 1.0, v[44:45]
	s_xor_b32 s8, exec_lo, s5
	s_cbranch_execz .LBB191_159
; %bb.158:                              ;   in Loop: Header=BB191_145 Depth=1
	v_add_f64_e32 v[36:37], -1.0, v[44:45]
	v_cmp_eq_f64_e64 s5, 0, v[12:13]
	v_add_f64_e32 v[38:39], 1.0, v[44:45]
	v_cmp_class_f64_e64 s10, v[10:11], 0x204
	v_cmp_class_f64_e64 s9, v[12:13], 0x204
	s_delay_alu instid0(VALU_DEP_3) | instskip(NEXT) | instid1(VALU_DEP_1)
	v_mul_f64_e32 v[40:41], v[36:37], v[38:39]
	v_fmac_f64_e32 v[40:41], v[42:43], v[42:43]
	s_delay_alu instid0(VALU_DEP_1) | instskip(SKIP_2) | instid1(VALU_DEP_3)
	v_add_f64_e32 v[36:37], 1.0, v[40:41]
	v_cmp_nge_f64_e64 s6, -1.0, v[40:41]
	v_cmp_neq_f64_e64 s7, 0x7ff00000, v[40:41]
	v_frexp_mant_f64_e32 v[38:39], v[36:37]
	v_frexp_exp_i32_f64_e32 v21, v[36:37]
	v_add_f64_e32 v[42:43], -1.0, v[36:37]
	s_delay_alu instid0(VALU_DEP_3) | instskip(NEXT) | instid1(VALU_DEP_2)
	v_cmp_gt_f64_e32 vcc_lo, s[28:29], v[38:39]
	v_add_f64_e64 v[38:39], v[42:43], -v[36:37]
	v_add_f64_e64 v[42:43], v[40:41], -v[42:43]
	v_subrev_co_ci_u32_e64 v21, null, 0, v21, vcc_lo
	s_delay_alu instid0(VALU_DEP_1) | instskip(NEXT) | instid1(VALU_DEP_1)
	v_dual_add_f64 v[38:39], 1.0, v[38:39] :: v_dual_sub_nc_u32 v46, 0, v21
	v_ldexp_f64 v[36:37], v[36:37], v46
	s_delay_alu instid0(VALU_DEP_2) | instskip(NEXT) | instid1(VALU_DEP_2)
	v_add_f64_e32 v[38:39], v[42:43], v[38:39]
	v_add_f64_e32 v[44:45], 1.0, v[36:37]
	v_add_f64_e32 v[50:51], -1.0, v[36:37]
	s_delay_alu instid0(VALU_DEP_3) | instskip(NEXT) | instid1(VALU_DEP_3)
	v_ldexp_f64 v[38:39], v[38:39], v46
	v_add_f64_e32 v[42:43], -1.0, v[44:45]
	s_delay_alu instid0(VALU_DEP_3) | instskip(NEXT) | instid1(VALU_DEP_2)
	v_add_f64_e32 v[52:53], 1.0, v[50:51]
	v_add_f64_e64 v[42:43], v[36:37], -v[42:43]
	s_delay_alu instid0(VALU_DEP_2) | instskip(NEXT) | instid1(VALU_DEP_2)
	v_add_f64_e64 v[36:37], v[36:37], -v[52:53]
	v_add_f64_e32 v[42:43], v[38:39], v[42:43]
	s_delay_alu instid0(VALU_DEP_2) | instskip(NEXT) | instid1(VALU_DEP_2)
	v_add_f64_e32 v[36:37], v[38:39], v[36:37]
	v_add_f64_e32 v[46:47], v[44:45], v[42:43]
	s_delay_alu instid0(VALU_DEP_2) | instskip(NEXT) | instid1(VALU_DEP_2)
	v_add_f64_e32 v[52:53], v[50:51], v[36:37]
	v_rcp_f64_e32 v[48:49], v[46:47]
	v_add_f64_e64 v[44:45], v[46:47], -v[44:45]
	s_delay_alu instid0(VALU_DEP_2) | instskip(NEXT) | instid1(VALU_DEP_2)
	v_add_f64_e64 v[50:51], v[52:53], -v[50:51]
	v_add_f64_e64 v[42:43], v[42:43], -v[44:45]
	s_delay_alu instid0(VALU_DEP_2) | instskip(NEXT) | instid1(TRANS32_DEP_1)
	v_add_f64_e64 v[36:37], v[36:37], -v[50:51]
	v_fma_f64 v[54:55], -v[46:47], v[48:49], 1.0
	s_delay_alu instid0(VALU_DEP_1) | instskip(NEXT) | instid1(VALU_DEP_1)
	v_fmac_f64_e32 v[48:49], v[54:55], v[48:49]
	v_fma_f64 v[38:39], -v[46:47], v[48:49], 1.0
	s_delay_alu instid0(VALU_DEP_1) | instskip(NEXT) | instid1(VALU_DEP_1)
	v_fmac_f64_e32 v[48:49], v[38:39], v[48:49]
	v_mul_f64_e32 v[38:39], v[52:53], v[48:49]
	s_delay_alu instid0(VALU_DEP_1) | instskip(NEXT) | instid1(VALU_DEP_1)
	v_mul_f64_e32 v[54:55], v[46:47], v[38:39]
	v_fma_f64 v[44:45], v[38:39], v[46:47], -v[54:55]
	s_delay_alu instid0(VALU_DEP_1) | instskip(NEXT) | instid1(VALU_DEP_1)
	v_fmac_f64_e32 v[44:45], v[38:39], v[42:43]
	v_add_f64_e32 v[56:57], v[54:55], v[44:45]
	s_delay_alu instid0(VALU_DEP_1) | instskip(SKIP_1) | instid1(VALU_DEP_2)
	v_add_f64_e64 v[58:59], v[52:53], -v[56:57]
	v_add_f64_e64 v[50:51], v[56:57], -v[54:55]
	;; [unrolled: 1-line block ×3, first 2 shown]
	s_delay_alu instid0(VALU_DEP_2) | instskip(NEXT) | instid1(VALU_DEP_2)
	v_add_f64_e64 v[44:45], v[50:51], -v[44:45]
	v_add_f64_e64 v[52:53], v[52:53], -v[56:57]
	s_delay_alu instid0(VALU_DEP_1) | instskip(NEXT) | instid1(VALU_DEP_1)
	v_add_f64_e32 v[36:37], v[36:37], v[52:53]
	v_add_f64_e32 v[36:37], v[44:45], v[36:37]
	s_delay_alu instid0(VALU_DEP_1) | instskip(NEXT) | instid1(VALU_DEP_1)
	v_add_f64_e32 v[44:45], v[58:59], v[36:37]
	v_mul_f64_e32 v[50:51], v[48:49], v[44:45]
	v_add_f64_e64 v[56:57], v[58:59], -v[44:45]
	s_delay_alu instid0(VALU_DEP_2) | instskip(NEXT) | instid1(VALU_DEP_2)
	v_mul_f64_e32 v[52:53], v[46:47], v[50:51]
	v_add_f64_e32 v[36:37], v[36:37], v[56:57]
	s_delay_alu instid0(VALU_DEP_2) | instskip(NEXT) | instid1(VALU_DEP_1)
	v_fma_f64 v[46:47], v[50:51], v[46:47], -v[52:53]
	v_fmac_f64_e32 v[46:47], v[50:51], v[42:43]
	s_delay_alu instid0(VALU_DEP_1) | instskip(NEXT) | instid1(VALU_DEP_1)
	v_add_f64_e32 v[42:43], v[52:53], v[46:47]
	v_add_f64_e64 v[54:55], v[44:45], -v[42:43]
	v_add_f64_e64 v[52:53], v[42:43], -v[52:53]
	s_delay_alu instid0(VALU_DEP_2) | instskip(NEXT) | instid1(VALU_DEP_1)
	v_add_f64_e64 v[44:45], v[44:45], -v[54:55]
	v_add_f64_e64 v[42:43], v[44:45], -v[42:43]
	s_delay_alu instid0(VALU_DEP_3) | instskip(SKIP_1) | instid1(VALU_DEP_3)
	v_add_f64_e64 v[44:45], v[52:53], -v[46:47]
	v_max_num_f64_e64 v[46:47], |v[10:11]|, |v[10:11]|
	v_add_f64_e32 v[36:37], v[36:37], v[42:43]
	v_add_f64_e32 v[42:43], v[38:39], v[50:51]
	s_delay_alu instid0(VALU_DEP_2) | instskip(NEXT) | instid1(VALU_DEP_2)
	v_add_f64_e32 v[36:37], v[44:45], v[36:37]
	v_add_f64_e64 v[38:39], v[42:43], -v[38:39]
	v_max_num_f64_e64 v[44:45], |v[12:13]|, |v[12:13]|
	s_delay_alu instid0(VALU_DEP_3) | instskip(NEXT) | instid1(VALU_DEP_3)
	v_add_f64_e32 v[36:37], v[54:55], v[36:37]
	v_add_f64_e64 v[38:39], v[50:51], -v[38:39]
	s_delay_alu instid0(VALU_DEP_2) | instskip(NEXT) | instid1(VALU_DEP_1)
	v_mul_f64_e32 v[36:37], v[48:49], v[36:37]
	v_add_f64_e32 v[36:37], v[38:39], v[36:37]
	v_max_num_f64_e32 v[38:39], v[46:47], v[44:45]
	v_min_num_f64_e32 v[44:45], v[46:47], v[44:45]
	s_delay_alu instid0(VALU_DEP_3) | instskip(NEXT) | instid1(VALU_DEP_2)
	v_add_f64_e32 v[46:47], v[42:43], v[36:37]
	v_div_scale_f64 v[48:49], null, v[38:39], v[38:39], v[44:45]
	s_delay_alu instid0(VALU_DEP_2) | instskip(SKIP_1) | instid1(VALU_DEP_3)
	v_mul_f64_e32 v[50:51], v[46:47], v[46:47]
	v_add_f64_e64 v[42:43], v[46:47], -v[42:43]
	v_rcp_f64_e32 v[52:53], v[48:49]
	s_delay_alu instid0(VALU_DEP_2) | instskip(SKIP_1) | instid1(VALU_DEP_3)
	v_fmamk_f64 v[54:55], v[50:51], 0x3fc3ab76bf559e2b, v[24:25]
	v_mul_f64_e32 v[56:57], v[46:47], v[50:51]
	v_add_f64_e64 v[36:37], v[36:37], -v[42:43]
	s_delay_alu instid0(VALU_DEP_3) | instskip(NEXT) | instid1(TRANS32_DEP_1)
	v_fmaak_f64 v[54:55], v[50:51], v[54:55], 0x3fc7474dd7f4df2e
	v_fma_f64 v[58:59], -v[48:49], v[52:53], 1.0
	s_delay_alu instid0(VALU_DEP_2) | instskip(NEXT) | instid1(VALU_DEP_1)
	v_fmaak_f64 v[54:55], v[50:51], v[54:55], 0x3fcc71c016291751
	v_fmaak_f64 v[54:55], v[50:51], v[54:55], 0x3fd249249b27acf1
	s_delay_alu instid0(VALU_DEP_1) | instskip(SKIP_1) | instid1(VALU_DEP_2)
	v_fmaak_f64 v[54:55], v[50:51], v[54:55], 0x3fd99999998ef7b6
	v_ldexp_f64 v[36:37], v[36:37], 1
	v_fmaak_f64 v[50:51], v[50:51], v[54:55], 0x3fe5555555555780
	v_ldexp_f64 v[54:55], v[46:47], 1
	v_fmac_f64_e32 v[52:53], v[52:53], v[58:59]
	s_delay_alu instid0(VALU_DEP_3) | instskip(SKIP_2) | instid1(VALU_DEP_4)
	v_mul_f64_e32 v[50:51], v[56:57], v[50:51]
	v_cvt_f64_i32_e32 v[56:57], v21
	v_ashrrev_i32_e32 v21, 31, v11
	v_fma_f64 v[58:59], -v[48:49], v[52:53], 1.0
	s_delay_alu instid0(VALU_DEP_4) | instskip(NEXT) | instid1(VALU_DEP_4)
	v_add_f64_e32 v[46:47], v[54:55], v[50:51]
	v_mul_f64_e32 v[60:61], 0x3fe62e42fefa39ef, v[56:57]
	s_delay_alu instid0(VALU_DEP_3) | instskip(NEXT) | instid1(VALU_DEP_3)
	v_fmac_f64_e32 v[52:53], v[52:53], v[58:59]
	v_add_f64_e64 v[42:43], v[46:47], -v[54:55]
	v_div_scale_f64 v[54:55], vcc_lo, v[44:45], v[38:39], v[44:45]
	s_delay_alu instid0(VALU_DEP_4) | instskip(NEXT) | instid1(VALU_DEP_3)
	v_fma_f64 v[58:59], v[56:57], s[30:31], -v[60:61]
	v_add_f64_e64 v[42:43], v[50:51], -v[42:43]
	s_delay_alu instid0(VALU_DEP_3) | instskip(NEXT) | instid1(VALU_DEP_3)
	v_mul_f64_e32 v[50:51], v[54:55], v[52:53]
	v_fmac_f64_e32 v[58:59], 0x3c7abc9e3b39803f, v[56:57]
	s_delay_alu instid0(VALU_DEP_3) | instskip(NEXT) | instid1(VALU_DEP_3)
	v_add_f64_e32 v[36:37], v[36:37], v[42:43]
	v_fma_f64 v[42:43], -v[48:49], v[50:51], v[54:55]
	s_delay_alu instid0(VALU_DEP_3) | instskip(NEXT) | instid1(VALU_DEP_3)
	v_add_f64_e32 v[48:49], v[60:61], v[58:59]
	v_add_f64_e32 v[54:55], v[46:47], v[36:37]
	s_delay_alu instid0(VALU_DEP_3) | instskip(SKIP_1) | instid1(VALU_DEP_4)
	v_div_fmas_f64 v[42:43], v[42:43], v[52:53], v[50:51]
	v_cmp_gt_i32_e32 vcc_lo, 0, v11
	v_add_f64_e64 v[52:53], v[48:49], -v[60:61]
	v_and_b32_e32 v11, 0x400921fb, v21
	v_cndmask_b32_e32 v10, 0x3fe921fb, v69, vcc_lo
	s_delay_alu instid0(VALU_DEP_1) | instskip(SKIP_4) | instid1(VALU_DEP_4)
	v_bfi_b32 v10, 0x7fffffff, v10, v13
	v_add_f64_e32 v[50:51], v[48:49], v[54:55]
	v_div_fixup_f64 v[38:39], v[42:43], v[38:39], v[44:45]
	v_add_f64_e64 v[46:47], v[54:55], -v[46:47]
	v_add_f64_e64 v[52:53], v[58:59], -v[52:53]
	;; [unrolled: 1-line block ×3, first 2 shown]
	s_delay_alu instid0(VALU_DEP_4) | instskip(NEXT) | instid1(VALU_DEP_4)
	v_mul_f64_e32 v[44:45], v[38:39], v[38:39]
	v_add_f64_e64 v[36:37], v[36:37], -v[46:47]
	s_delay_alu instid0(VALU_DEP_3) | instskip(NEXT) | instid1(VALU_DEP_3)
	v_add_f64_e64 v[56:57], v[50:51], -v[42:43]
	v_fmamk_f64 v[60:61], v[44:45], 0x3eeba404b5e68a13, v[26:27]
	v_add_f64_e64 v[42:43], v[54:55], -v[42:43]
	s_delay_alu instid0(VALU_DEP_4) | instskip(NEXT) | instid1(VALU_DEP_3)
	v_add_f64_e32 v[54:55], v[52:53], v[36:37]
	v_fmaak_f64 v[60:61], v[44:45], v[60:61], 0x3f4b2bb069efb384
	v_add_f64_e64 v[46:47], v[48:49], -v[56:57]
	s_delay_alu instid0(VALU_DEP_2) | instskip(NEXT) | instid1(VALU_DEP_1)
	v_fmaak_f64 v[48:49], v[44:45], v[60:61], 0xbf67952daf56de9b
	v_fmaak_f64 v[48:49], v[44:45], v[48:49], 0x3f7d6d43a595c56f
	s_delay_alu instid0(VALU_DEP_1) | instskip(NEXT) | instid1(VALU_DEP_1)
	v_fmaak_f64 v[48:49], v[44:45], v[48:49], 0xbf8c6ea4a57d9582
	v_fmaak_f64 v[48:49], v[44:45], v[48:49], 0x3f967e295f08b19f
	s_delay_alu instid0(VALU_DEP_1) | instskip(SKIP_1) | instid1(VALU_DEP_2)
	v_fmaak_f64 v[48:49], v[44:45], v[48:49], 0xbf9e9ae6fc27006a
	v_add_f64_e32 v[42:43], v[42:43], v[46:47]
	v_fmaak_f64 v[46:47], v[44:45], v[48:49], 0x3fa2c15b5711927a
	v_add_f64_e64 v[48:49], v[54:55], -v[52:53]
	s_delay_alu instid0(VALU_DEP_2) | instskip(NEXT) | instid1(VALU_DEP_1)
	v_fmaak_f64 v[46:47], v[44:45], v[46:47], 0xbfa59976e82d3ff0
	v_fmaak_f64 v[46:47], v[44:45], v[46:47], 0x3fa82d5d6ef28734
	s_delay_alu instid0(VALU_DEP_1) | instskip(NEXT) | instid1(VALU_DEP_1)
	v_fmaak_f64 v[46:47], v[44:45], v[46:47], 0xbfaae5ce6a214619
	v_fmaak_f64 v[46:47], v[44:45], v[46:47], 0x3fae1bb48427b883
	v_add_f64_e32 v[42:43], v[54:55], v[42:43]
	v_add_f64_e64 v[54:55], v[54:55], -v[48:49]
	v_add_f64_e64 v[36:37], v[36:37], -v[48:49]
	s_delay_alu instid0(VALU_DEP_4) | instskip(NEXT) | instid1(VALU_DEP_1)
	v_fmaak_f64 v[46:47], v[44:45], v[46:47], 0xbfb110e48b207f05
	v_fmaak_f64 v[46:47], v[44:45], v[46:47], 0x3fb3b13657b87036
	s_delay_alu instid0(VALU_DEP_1) | instskip(NEXT) | instid1(VALU_DEP_1)
	v_fmaak_f64 v[46:47], v[44:45], v[46:47], 0xbfb745d119378e4f
	v_fmaak_f64 v[46:47], v[44:45], v[46:47], 0x3fbc71c717e1913c
	v_add_f64_e32 v[56:57], v[50:51], v[42:43]
	s_delay_alu instid0(VALU_DEP_2) | instskip(NEXT) | instid1(VALU_DEP_1)
	v_fmaak_f64 v[46:47], v[44:45], v[46:47], 0xbfc2492492376b7d
	v_fmaak_f64 v[46:47], v[44:45], v[46:47], 0x3fc99999999952cc
	s_delay_alu instid0(VALU_DEP_1) | instskip(NEXT) | instid1(VALU_DEP_1)
	v_fmaak_f64 v[46:47], v[44:45], v[46:47], 0xbfd5555555555523
	v_mul_f64_e32 v[44:45], v[44:45], v[46:47]
	v_add_f64_e64 v[46:47], v[52:53], -v[54:55]
	v_add_f64_e64 v[48:49], v[56:57], -v[50:51]
	s_delay_alu instid0(VALU_DEP_3) | instskip(NEXT) | instid1(VALU_DEP_3)
	v_fmac_f64_e32 v[38:39], v[38:39], v[44:45]
	v_add_f64_e32 v[36:37], v[36:37], v[46:47]
	s_delay_alu instid0(VALU_DEP_3) | instskip(NEXT) | instid1(VALU_DEP_3)
	v_add_f64_e64 v[42:43], v[42:43], -v[48:49]
	v_add_f64_e64 v[44:45], -v[38:39], s[38:39]
	s_delay_alu instid0(VALU_DEP_1) | instskip(NEXT) | instid1(VALU_DEP_2)
	v_dual_add_f64 v[36:37], v[36:37], v[42:43] :: v_dual_cndmask_b32 v39, v39, v45, s4
	v_cndmask_b32_e64 v38, v38, v44, s4
	v_and_b32_e32 v45, 0x54442d18, v21
	v_cndmask_b32_e32 v44, 0x54442d18, v68, vcc_lo
	s_delay_alu instid0(VALU_DEP_3) | instskip(NEXT) | instid1(VALU_DEP_1)
	v_add_f64_e64 v[42:43], -v[38:39], s[40:41]
	v_dual_add_f64 v[36:37], v[56:57], v[36:37] :: v_dual_cndmask_b32 v38, v38, v42, vcc_lo
	s_delay_alu instid0(VALU_DEP_2) | instskip(SKIP_1) | instid1(VALU_DEP_3)
	v_cndmask_b32_e32 v21, v39, v43, vcc_lo
	v_cmp_ngt_f64_e32 vcc_lo, -1.0, v[40:41]
	v_mul_f64_e32 v[36:37], 0.5, v[36:37]
                                        ; implicit-def: $vgpr42_vgpr43
	s_delay_alu instid0(VALU_DEP_3)
	v_dual_cndmask_b32 v38, v38, v45, s5 :: v_dual_cndmask_b32 v11, v21, v11, s5
	s_and_b32 s5, s6, s7
	s_delay_alu instid0(VALU_DEP_2) | instid1(SALU_CYCLE_1)
	v_cndmask_b32_e64 v36, 0, v36, s5
	v_cmp_neq_f64_e64 s5, -1.0, v[40:41]
	s_delay_alu instid0(VALU_DEP_4) | instskip(NEXT) | instid1(VALU_DEP_1)
	v_cndmask_b32_e64 v37, 0x7ff00000, v37, s7
	v_cndmask_b32_e32 v21, 0x7ff80000, v37, vcc_lo
	s_and_b32 vcc_lo, s9, s10
	v_dual_cndmask_b32 v39, v11, v10 :: v_dual_cndmask_b32 v38, v38, v44
                                        ; implicit-def: $vgpr44_vgpr45
	s_delay_alu instid0(VALU_DEP_2)
	v_cndmask_b32_e64 v37, 0xfff00000, v21, s5
.LBB191_159:                            ;   in Loop: Header=BB191_145 Depth=1
	s_and_not1_saveexec_b32 s54, s8
	s_cbranch_execz .LBB191_167
; %bb.160:                              ;   in Loop: Header=BB191_145 Depth=1
	v_mul_f64_e32 v[40:41], v[42:43], v[42:43]
                                        ; implicit-def: $vgpr36_vgpr37
                                        ; implicit-def: $vgpr38_vgpr39
	s_mov_b32 s5, exec_lo
	s_delay_alu instid0(VALU_DEP_1) | instskip(NEXT) | instid1(VALU_DEP_1)
	v_fmac_f64_e32 v[40:41], v[44:45], v[44:45]
	v_cmpx_ge_f64_e32 s[42:43], v[40:41]
	s_xor_b32 s7, exec_lo, s5
	s_cbranch_execz .LBB191_162
; %bb.161:                              ;   in Loop: Header=BB191_145 Depth=1
	v_frexp_mant_f64_e32 v[36:37], v[40:41]
	v_cmp_eq_f64_e64 s5, 0, v[12:13]
	v_cmp_neq_f64_e64 s6, 0, v[40:41]
	v_cmp_class_f64_e64 s8, v[12:13], 0x204
	v_cmp_class_f64_e64 s9, v[10:11], 0x204
	v_cmp_gt_f64_e32 vcc_lo, s[28:29], v[36:37]
	v_cndmask_b32_e64 v21, 0, 1, vcc_lo
	s_delay_alu instid0(VALU_DEP_1) | instskip(SKIP_1) | instid1(VALU_DEP_2)
	v_ldexp_f64 v[36:37], v[36:37], v21
	v_frexp_exp_i32_f64_e32 v21, v[40:41]
	v_add_f64_e32 v[38:39], 1.0, v[36:37]
	v_add_f64_e32 v[46:47], -1.0, v[36:37]
	s_delay_alu instid0(VALU_DEP_3) | instskip(NEXT) | instid1(VALU_DEP_3)
	v_subrev_co_ci_u32_e64 v21, null, 0, v21, vcc_lo
	v_rcp_f64_e32 v[42:43], v[38:39]
	v_add_f64_e32 v[48:49], -1.0, v[38:39]
	s_delay_alu instid0(VALU_DEP_1) | instskip(NEXT) | instid1(TRANS32_DEP_1)
	v_add_f64_e64 v[36:37], v[36:37], -v[48:49]
	v_fma_f64 v[44:45], -v[38:39], v[42:43], 1.0
	s_delay_alu instid0(VALU_DEP_1) | instskip(NEXT) | instid1(VALU_DEP_1)
	v_fmac_f64_e32 v[42:43], v[44:45], v[42:43]
	v_fma_f64 v[44:45], -v[38:39], v[42:43], 1.0
	s_delay_alu instid0(VALU_DEP_1) | instskip(NEXT) | instid1(VALU_DEP_1)
	v_fmac_f64_e32 v[42:43], v[44:45], v[42:43]
	v_mul_f64_e32 v[44:45], v[46:47], v[42:43]
	s_delay_alu instid0(VALU_DEP_1) | instskip(NEXT) | instid1(VALU_DEP_1)
	v_mul_f64_e32 v[50:51], v[38:39], v[44:45]
	v_fma_f64 v[38:39], v[44:45], v[38:39], -v[50:51]
	s_delay_alu instid0(VALU_DEP_1) | instskip(NEXT) | instid1(VALU_DEP_1)
	v_fmac_f64_e32 v[38:39], v[44:45], v[36:37]
	v_add_f64_e32 v[36:37], v[50:51], v[38:39]
	s_delay_alu instid0(VALU_DEP_1) | instskip(SKIP_1) | instid1(VALU_DEP_2)
	v_add_f64_e64 v[48:49], v[46:47], -v[36:37]
	v_add_f64_e64 v[50:51], v[36:37], -v[50:51]
	;; [unrolled: 1-line block ×3, first 2 shown]
	s_delay_alu instid0(VALU_DEP_2) | instskip(NEXT) | instid1(VALU_DEP_2)
	v_add_f64_e64 v[38:39], v[50:51], -v[38:39]
	v_add_f64_e64 v[36:37], v[46:47], -v[36:37]
	v_max_num_f64_e64 v[46:47], |v[10:11]|, |v[10:11]|
	s_delay_alu instid0(VALU_DEP_2) | instskip(SKIP_1) | instid1(VALU_DEP_2)
	v_add_f64_e32 v[36:37], v[38:39], v[36:37]
	v_max_num_f64_e64 v[38:39], |v[12:13]|, |v[12:13]|
	v_add_f64_e32 v[36:37], v[48:49], v[36:37]
	s_delay_alu instid0(VALU_DEP_1) | instskip(NEXT) | instid1(VALU_DEP_3)
	v_mul_f64_e32 v[36:37], v[42:43], v[36:37]
	v_max_num_f64_e32 v[42:43], v[46:47], v[38:39]
	v_min_num_f64_e32 v[38:39], v[46:47], v[38:39]
	s_delay_alu instid0(VALU_DEP_3) | instskip(NEXT) | instid1(VALU_DEP_2)
	v_add_f64_e32 v[46:47], v[44:45], v[36:37]
	v_div_scale_f64 v[48:49], null, v[42:43], v[42:43], v[38:39]
	s_delay_alu instid0(VALU_DEP_2) | instskip(SKIP_1) | instid1(VALU_DEP_3)
	v_mul_f64_e32 v[50:51], v[46:47], v[46:47]
	v_add_f64_e64 v[44:45], v[46:47], -v[44:45]
	v_rcp_f64_e32 v[52:53], v[48:49]
	s_delay_alu instid0(VALU_DEP_2) | instskip(SKIP_1) | instid1(VALU_DEP_3)
	v_fmamk_f64 v[54:55], v[50:51], 0x3fc3ab76bf559e2b, v[24:25]
	v_mul_f64_e32 v[56:57], v[46:47], v[50:51]
	v_add_f64_e64 v[36:37], v[36:37], -v[44:45]
	s_delay_alu instid0(VALU_DEP_3) | instskip(NEXT) | instid1(TRANS32_DEP_1)
	v_fmaak_f64 v[54:55], v[50:51], v[54:55], 0x3fc7474dd7f4df2e
	v_fma_f64 v[58:59], -v[48:49], v[52:53], 1.0
	s_delay_alu instid0(VALU_DEP_2) | instskip(NEXT) | instid1(VALU_DEP_1)
	v_fmaak_f64 v[54:55], v[50:51], v[54:55], 0x3fcc71c016291751
	v_fmaak_f64 v[54:55], v[50:51], v[54:55], 0x3fd249249b27acf1
	s_delay_alu instid0(VALU_DEP_1) | instskip(SKIP_1) | instid1(VALU_DEP_2)
	v_fmaak_f64 v[54:55], v[50:51], v[54:55], 0x3fd99999998ef7b6
	v_ldexp_f64 v[36:37], v[36:37], 1
	v_fmaak_f64 v[50:51], v[50:51], v[54:55], 0x3fe5555555555780
	v_ldexp_f64 v[54:55], v[46:47], 1
	v_fmac_f64_e32 v[52:53], v[52:53], v[58:59]
	s_delay_alu instid0(VALU_DEP_3) | instskip(SKIP_2) | instid1(VALU_DEP_4)
	v_mul_f64_e32 v[50:51], v[56:57], v[50:51]
	v_cvt_f64_i32_e32 v[56:57], v21
	v_ashrrev_i32_e32 v21, 31, v11
	v_fma_f64 v[58:59], -v[48:49], v[52:53], 1.0
	s_delay_alu instid0(VALU_DEP_4) | instskip(NEXT) | instid1(VALU_DEP_4)
	v_add_f64_e32 v[46:47], v[54:55], v[50:51]
	v_mul_f64_e32 v[60:61], 0x3fe62e42fefa39ef, v[56:57]
	s_delay_alu instid0(VALU_DEP_3) | instskip(NEXT) | instid1(VALU_DEP_3)
	v_fmac_f64_e32 v[52:53], v[52:53], v[58:59]
	v_add_f64_e64 v[44:45], v[46:47], -v[54:55]
	v_div_scale_f64 v[54:55], vcc_lo, v[38:39], v[42:43], v[38:39]
	s_delay_alu instid0(VALU_DEP_4) | instskip(NEXT) | instid1(VALU_DEP_3)
	v_fma_f64 v[58:59], v[56:57], s[30:31], -v[60:61]
	v_add_f64_e64 v[44:45], v[50:51], -v[44:45]
	s_delay_alu instid0(VALU_DEP_3) | instskip(NEXT) | instid1(VALU_DEP_3)
	v_mul_f64_e32 v[50:51], v[54:55], v[52:53]
	v_fmac_f64_e32 v[58:59], 0x3c7abc9e3b39803f, v[56:57]
	s_delay_alu instid0(VALU_DEP_3) | instskip(NEXT) | instid1(VALU_DEP_3)
	v_add_f64_e32 v[36:37], v[36:37], v[44:45]
	v_fma_f64 v[44:45], -v[48:49], v[50:51], v[54:55]
	s_delay_alu instid0(VALU_DEP_3) | instskip(NEXT) | instid1(VALU_DEP_3)
	v_add_f64_e32 v[48:49], v[60:61], v[58:59]
	v_add_f64_e32 v[54:55], v[46:47], v[36:37]
	s_delay_alu instid0(VALU_DEP_3) | instskip(SKIP_1) | instid1(VALU_DEP_4)
	v_div_fmas_f64 v[44:45], v[44:45], v[52:53], v[50:51]
	v_cmp_gt_i32_e32 vcc_lo, 0, v11
	v_add_f64_e64 v[52:53], v[48:49], -v[60:61]
	s_delay_alu instid0(VALU_DEP_4) | instskip(NEXT) | instid1(VALU_DEP_4)
	v_add_f64_e32 v[50:51], v[48:49], v[54:55]
	v_div_fixup_f64 v[38:39], v[44:45], v[42:43], v[38:39]
	v_add_f64_e64 v[46:47], v[54:55], -v[46:47]
	s_delay_alu instid0(VALU_DEP_4) | instskip(NEXT) | instid1(VALU_DEP_4)
	v_add_f64_e64 v[52:53], v[58:59], -v[52:53]
	v_add_f64_e64 v[42:43], v[50:51], -v[48:49]
	s_delay_alu instid0(VALU_DEP_4) | instskip(NEXT) | instid1(VALU_DEP_4)
	v_mul_f64_e32 v[44:45], v[38:39], v[38:39]
	v_add_f64_e64 v[36:37], v[36:37], -v[46:47]
	s_delay_alu instid0(VALU_DEP_3) | instskip(NEXT) | instid1(VALU_DEP_3)
	v_add_f64_e64 v[56:57], v[50:51], -v[42:43]
	v_fmamk_f64 v[60:61], v[44:45], 0x3eeba404b5e68a13, v[26:27]
	v_add_f64_e64 v[42:43], v[54:55], -v[42:43]
	s_delay_alu instid0(VALU_DEP_4) | instskip(NEXT) | instid1(VALU_DEP_3)
	v_add_f64_e32 v[54:55], v[52:53], v[36:37]
	v_fmaak_f64 v[60:61], v[44:45], v[60:61], 0x3f4b2bb069efb384
	s_delay_alu instid0(VALU_DEP_1) | instskip(SKIP_1) | instid1(VALU_DEP_2)
	v_fmaak_f64 v[60:61], v[44:45], v[60:61], 0xbf67952daf56de9b
	v_add_f64_e64 v[46:47], v[48:49], -v[56:57]
	v_fmaak_f64 v[48:49], v[44:45], v[60:61], 0x3f7d6d43a595c56f
	s_delay_alu instid0(VALU_DEP_1) | instskip(NEXT) | instid1(VALU_DEP_1)
	v_fmaak_f64 v[48:49], v[44:45], v[48:49], 0xbf8c6ea4a57d9582
	v_fmaak_f64 v[48:49], v[44:45], v[48:49], 0x3f967e295f08b19f
	s_delay_alu instid0(VALU_DEP_1) | instskip(NEXT) | instid1(VALU_DEP_1)
	v_fmaak_f64 v[48:49], v[44:45], v[48:49], 0xbf9e9ae6fc27006a
	v_fmaak_f64 v[48:49], v[44:45], v[48:49], 0x3fa2c15b5711927a
	v_add_f64_e32 v[42:43], v[42:43], v[46:47]
	s_delay_alu instid0(VALU_DEP_2) | instskip(SKIP_1) | instid1(VALU_DEP_2)
	v_fmaak_f64 v[46:47], v[44:45], v[48:49], 0xbfa59976e82d3ff0
	v_add_f64_e64 v[48:49], v[54:55], -v[52:53]
	v_fmaak_f64 v[46:47], v[44:45], v[46:47], 0x3fa82d5d6ef28734
	s_delay_alu instid0(VALU_DEP_1) | instskip(NEXT) | instid1(VALU_DEP_1)
	v_fmaak_f64 v[46:47], v[44:45], v[46:47], 0xbfaae5ce6a214619
	v_fmaak_f64 v[46:47], v[44:45], v[46:47], 0x3fae1bb48427b883
	s_delay_alu instid0(VALU_DEP_1) | instskip(SKIP_3) | instid1(VALU_DEP_4)
	v_fmaak_f64 v[46:47], v[44:45], v[46:47], 0xbfb110e48b207f05
	v_add_f64_e32 v[42:43], v[54:55], v[42:43]
	v_add_f64_e64 v[54:55], v[54:55], -v[48:49]
	v_add_f64_e64 v[36:37], v[36:37], -v[48:49]
	v_fmaak_f64 v[46:47], v[44:45], v[46:47], 0x3fb3b13657b87036
	s_delay_alu instid0(VALU_DEP_1) | instskip(NEXT) | instid1(VALU_DEP_1)
	v_fmaak_f64 v[46:47], v[44:45], v[46:47], 0xbfb745d119378e4f
	v_fmaak_f64 v[46:47], v[44:45], v[46:47], 0x3fbc71c717e1913c
	s_delay_alu instid0(VALU_DEP_1) | instskip(SKIP_1) | instid1(VALU_DEP_2)
	v_fmaak_f64 v[46:47], v[44:45], v[46:47], 0xbfc2492492376b7d
	v_add_f64_e32 v[56:57], v[50:51], v[42:43]
	v_fmaak_f64 v[46:47], v[44:45], v[46:47], 0x3fc99999999952cc
	s_delay_alu instid0(VALU_DEP_1) | instskip(NEXT) | instid1(VALU_DEP_1)
	v_fmaak_f64 v[46:47], v[44:45], v[46:47], 0xbfd5555555555523
	v_mul_f64_e32 v[44:45], v[44:45], v[46:47]
	v_add_f64_e64 v[46:47], v[52:53], -v[54:55]
	v_add_f64_e64 v[48:49], v[56:57], -v[50:51]
	s_delay_alu instid0(VALU_DEP_3) | instskip(NEXT) | instid1(VALU_DEP_3)
	v_fmac_f64_e32 v[38:39], v[38:39], v[44:45]
	v_add_f64_e32 v[36:37], v[36:37], v[46:47]
	s_delay_alu instid0(VALU_DEP_3) | instskip(NEXT) | instid1(VALU_DEP_3)
	v_add_f64_e64 v[42:43], v[42:43], -v[48:49]
	v_add_f64_e64 v[44:45], -v[38:39], s[38:39]
	s_delay_alu instid0(VALU_DEP_1) | instskip(NEXT) | instid1(VALU_DEP_2)
	v_dual_add_f64 v[36:37], v[36:37], v[42:43] :: v_dual_cndmask_b32 v39, v39, v45, s4
	v_cndmask_b32_e64 v38, v38, v44, s4
	v_and_b32_e32 v45, 0x54442d18, v21
	v_and_b32_e32 v21, 0x400921fb, v21
	v_cndmask_b32_e32 v44, 0x54442d18, v68, vcc_lo
	s_delay_alu instid0(VALU_DEP_4) | instskip(NEXT) | instid1(VALU_DEP_1)
	v_add_f64_e64 v[42:43], -v[38:39], s[40:41]
	v_dual_add_f64 v[36:37], v[56:57], v[36:37] :: v_dual_cndmask_b32 v38, v38, v42, vcc_lo
	s_delay_alu instid0(VALU_DEP_1) | instskip(NEXT) | instid1(VALU_DEP_2)
	v_cndmask_b32_e64 v38, v38, v45, s5
	v_mul_f64_e32 v[10:11], 0.5, v[36:37]
	v_cndmask_b32_e32 v36, 0x3fe921fb, v69, vcc_lo
	v_cndmask_b32_e32 v37, v39, v43, vcc_lo
	s_and_b32 vcc_lo, s8, s9
                                        ; implicit-def: $vgpr42_vgpr43
	v_cndmask_b32_e32 v38, v38, v44, vcc_lo
	s_delay_alu instid0(VALU_DEP_3) | instskip(NEXT) | instid1(VALU_DEP_3)
	v_bfi_b32 v36, 0x7fffffff, v36, v13
	v_cndmask_b32_e64 v21, v37, v21, s5
                                        ; implicit-def: $vgpr44_vgpr45
	s_delay_alu instid0(VALU_DEP_1)
	v_cndmask_b32_e32 v39, v21, v36, vcc_lo
	v_cndmask_b32_e64 v37, 0xfff00000, v11, s6
	v_cndmask_b32_e64 v36, 0, v10, s6
.LBB191_162:                            ;   in Loop: Header=BB191_145 Depth=1
	s_and_not1_saveexec_b32 s55, s7
	s_cbranch_execz .LBB191_166
; %bb.163:                              ;   in Loop: Header=BB191_145 Depth=1
	v_and_b32_e32 v21, 0x7ffffff8, v45
	v_and_b32_e32 v39, 0x7ffffff8, v43
	v_mov_b32_e32 v38, v20
	s_mov_b32 s56, 0
	v_mov_b32_e32 v46, v20
	v_add_f64_e64 v[36:37], v[44:45], -v[20:21]
	s_delay_alu instid0(VALU_DEP_3) | instskip(SKIP_2) | instid1(VALU_DEP_4)
	v_dual_add_f64 v[40:41], v[42:43], -v[38:39] :: v_dual_mov_b32 v44, v20
	v_add_f64_e32 v[48:49], v[20:21], v[20:21]
	v_add_f64_e32 v[56:57], v[38:39], v[38:39]
	v_dual_mul_f64 v[42:43], v[38:39], v[38:39] :: v_dual_bitop2_b32 v45, -8, v37 bitop3:0x40
	s_delay_alu instid0(VALU_DEP_4) | instskip(NEXT) | instid1(VALU_DEP_2)
	v_and_b32_e32 v47, -8, v41
	v_add_f64_e64 v[58:59], v[36:37], -v[44:45]
	v_add_f64_e32 v[62:63], v[44:45], v[44:45]
	s_delay_alu instid0(VALU_DEP_3)
	v_add_f64_e64 v[60:61], v[40:41], -v[46:47]
	v_add_f64_e32 v[64:65], v[46:47], v[46:47]
	v_mul_f64_e32 v[36:37], v[20:21], v[20:21]
	v_mul_f64_e32 v[54:55], v[48:49], v[44:45]
	v_mul_f64_e32 v[52:53], v[44:45], v[44:45]
	v_mul_f64_e32 v[38:39], v[46:47], v[46:47]
	v_mul_f64_e32 v[40:41], v[56:57], v[46:47]
	v_mul_f64_e32 v[50:51], v[48:49], v[58:59]
	v_mul_f64_e32 v[46:47], v[62:63], v[58:59]
	v_mul_f64_e32 v[48:49], v[56:57], v[60:61]
	v_mul_f64_e32 v[44:45], v[64:65], v[60:61]
	v_mul_f64_e32 v[56:57], v[58:59], v[58:59]
	v_mul_f64_e32 v[58:59], v[60:61], v[60:61]
.LBB191_164:                            ;   Parent Loop BB191_145 Depth=1
                                        ; =>  This Inner Loop Header: Depth=2
	v_cmp_nlt_f64_e32 vcc_lo, v[36:37], v[42:43]
	v_dual_cndmask_b32 v61, v37, v43 :: v_dual_cndmask_b32 v60, v36, v42
	v_dual_cndmask_b32 v37, v43, v37 :: v_dual_cndmask_b32 v36, v42, v36
	s_delay_alu instid0(VALU_DEP_2) | instskip(NEXT) | instid1(VALU_DEP_1)
	v_cmp_nlt_f64_e64 s5, v[60:61], v[54:55]
	v_dual_cndmask_b32 v63, v61, v55, s5 :: v_dual_cndmask_b32 v62, v60, v54, s5
	v_dual_cndmask_b32 v43, v55, v61, s5 :: v_dual_cndmask_b32 v42, v54, v60, s5
	s_and_b32 s5, vcc_lo, s5
	s_delay_alu instid0(VALU_DEP_2) | instskip(NEXT) | instid1(VALU_DEP_1)
	v_cmp_nlt_f64_e64 s6, v[62:63], v[40:41]
	v_dual_cndmask_b32 v65, v63, v41, s6 :: v_dual_cndmask_b32 v64, v62, v40, s6
	v_dual_cndmask_b32 v55, v41, v63, s6 :: v_dual_cndmask_b32 v54, v40, v62, s6
	s_delay_alu instid0(VALU_DEP_2) | instskip(NEXT) | instid1(VALU_DEP_1)
	v_cmp_nlt_f64_e64 s7, v[64:65], v[52:53]
	v_dual_cndmask_b32 v67, v65, v53, s7 :: v_dual_cndmask_b32 v66, v64, v52, s7
	v_dual_cndmask_b32 v41, v53, v65, s7 :: v_dual_cndmask_b32 v40, v52, v64, s7
	s_and_b32 s6, s6, s7
	s_delay_alu instid0(VALU_DEP_2) | instskip(NEXT) | instid1(VALU_DEP_1)
	v_cmp_nlt_f64_e64 s8, v[66:67], v[38:39]
	v_dual_cndmask_b32 v71, v67, v39, s8 :: v_dual_cndmask_b32 v70, v66, v38, s8
	v_dual_cndmask_b32 v53, v39, v67, s8 :: v_dual_cndmask_b32 v52, v38, v66, s8
	s_delay_alu instid0(VALU_DEP_2) | instskip(NEXT) | instid1(VALU_DEP_1)
	v_cmp_nlt_f64_e64 s9, v[70:71], v[50:51]
	v_dual_cndmask_b32 v73, v71, v51, s9 :: v_dual_cndmask_b32 v72, v70, v50, s9
	s_and_b32 s7, s8, s9
	v_dual_cndmask_b32 v39, v51, v71, s9 :: v_dual_cndmask_b32 v38, v50, v70, s9
	s_delay_alu instid0(VALU_DEP_2) | instskip(NEXT) | instid1(VALU_DEP_1)
	v_cmp_nlt_f64_e64 s10, v[72:73], v[48:49]
	v_dual_cndmask_b32 v75, v73, v49, s10 :: v_dual_cndmask_b32 v74, v72, v48, s10
	s_and_b32 s7, s7, s10
	;; [unrolled: 5-line block ×6, first 2 shown]
	v_dual_cndmask_b32 v57, v59, v81, s14 :: v_dual_cndmask_b32 v56, v58, v80, s14
	s_and_b32 s6, s7, s6
	s_delay_alu instid0(VALU_DEP_2) | instskip(SKIP_1) | instid1(SALU_CYCLE_1)
	v_mov_b64_e32 v[58:59], v[60:61]
	s_and_b32 s5, s6, s5
	s_and_b32 s5, exec_lo, s5
	s_delay_alu instid0(SALU_CYCLE_1) | instskip(NEXT) | instid1(SALU_CYCLE_1)
	s_or_b32 s56, s5, s56
	s_and_not1_b32 exec_lo, exec_lo, s56
	s_cbranch_execnz .LBB191_164
; %bb.165:                              ;   in Loop: Header=BB191_145 Depth=1
	s_or_b32 exec_lo, exec_lo, s56
	v_add_f64_e32 v[36:37], -1.0, v[36:37]
	v_cmp_eq_f64_e64 s5, 0, v[12:13]
	v_cmp_class_f64_e64 s9, v[10:11], 0x204
	v_cmp_class_f64_e64 s8, v[12:13], 0x204
	s_delay_alu instid0(VALU_DEP_4) | instskip(NEXT) | instid1(VALU_DEP_1)
	v_add_f64_e32 v[36:37], v[36:37], v[42:43]
	v_add_f64_e32 v[36:37], v[36:37], v[54:55]
	s_delay_alu instid0(VALU_DEP_1) | instskip(NEXT) | instid1(VALU_DEP_1)
	v_add_f64_e32 v[36:37], v[36:37], v[40:41]
	v_add_f64_e32 v[36:37], v[36:37], v[52:53]
	s_delay_alu instid0(VALU_DEP_1) | instskip(NEXT) | instid1(VALU_DEP_1)
	;; [unrolled: 3-line block ×5, first 2 shown]
	v_add_f64_e32 v[40:41], v[60:61], v[36:37]
	v_add_f64_e32 v[36:37], 1.0, v[40:41]
	v_cmp_nge_f64_e64 s6, -1.0, v[40:41]
	v_cmp_neq_f64_e64 s7, 0x7ff00000, v[40:41]
	s_delay_alu instid0(VALU_DEP_3) | instskip(SKIP_2) | instid1(VALU_DEP_3)
	v_frexp_mant_f64_e32 v[38:39], v[36:37]
	v_frexp_exp_i32_f64_e32 v21, v[36:37]
	v_add_f64_e32 v[42:43], -1.0, v[36:37]
	v_cmp_gt_f64_e32 vcc_lo, s[28:29], v[38:39]
	s_delay_alu instid0(VALU_DEP_2) | instskip(SKIP_2) | instid1(VALU_DEP_1)
	v_add_f64_e64 v[38:39], v[42:43], -v[36:37]
	v_add_f64_e64 v[42:43], v[40:41], -v[42:43]
	v_subrev_co_ci_u32_e64 v21, null, 0, v21, vcc_lo
	v_dual_add_f64 v[38:39], 1.0, v[38:39] :: v_dual_sub_nc_u32 v46, 0, v21
	s_delay_alu instid0(VALU_DEP_1) | instskip(NEXT) | instid1(VALU_DEP_2)
	v_ldexp_f64 v[36:37], v[36:37], v46
	v_add_f64_e32 v[38:39], v[42:43], v[38:39]
	s_delay_alu instid0(VALU_DEP_2) | instskip(SKIP_1) | instid1(VALU_DEP_3)
	v_add_f64_e32 v[44:45], 1.0, v[36:37]
	v_add_f64_e32 v[50:51], -1.0, v[36:37]
	v_ldexp_f64 v[38:39], v[38:39], v46
	s_delay_alu instid0(VALU_DEP_3) | instskip(NEXT) | instid1(VALU_DEP_3)
	v_add_f64_e32 v[42:43], -1.0, v[44:45]
	v_add_f64_e32 v[52:53], 1.0, v[50:51]
	s_delay_alu instid0(VALU_DEP_2) | instskip(NEXT) | instid1(VALU_DEP_2)
	v_add_f64_e64 v[42:43], v[36:37], -v[42:43]
	v_add_f64_e64 v[36:37], v[36:37], -v[52:53]
	s_delay_alu instid0(VALU_DEP_2) | instskip(NEXT) | instid1(VALU_DEP_2)
	v_add_f64_e32 v[42:43], v[38:39], v[42:43]
	v_add_f64_e32 v[36:37], v[38:39], v[36:37]
	s_delay_alu instid0(VALU_DEP_2) | instskip(NEXT) | instid1(VALU_DEP_2)
	v_add_f64_e32 v[46:47], v[44:45], v[42:43]
	v_add_f64_e32 v[52:53], v[50:51], v[36:37]
	s_delay_alu instid0(VALU_DEP_2) | instskip(SKIP_1) | instid1(VALU_DEP_2)
	v_rcp_f64_e32 v[48:49], v[46:47]
	v_add_f64_e64 v[44:45], v[46:47], -v[44:45]
	v_add_f64_e64 v[50:51], v[52:53], -v[50:51]
	s_delay_alu instid0(VALU_DEP_2) | instskip(NEXT) | instid1(VALU_DEP_2)
	v_add_f64_e64 v[42:43], v[42:43], -v[44:45]
	v_add_f64_e64 v[36:37], v[36:37], -v[50:51]
	s_delay_alu instid0(TRANS32_DEP_1) | instskip(NEXT) | instid1(VALU_DEP_1)
	v_fma_f64 v[54:55], -v[46:47], v[48:49], 1.0
	v_fmac_f64_e32 v[48:49], v[54:55], v[48:49]
	s_delay_alu instid0(VALU_DEP_1) | instskip(NEXT) | instid1(VALU_DEP_1)
	v_fma_f64 v[38:39], -v[46:47], v[48:49], 1.0
	v_fmac_f64_e32 v[48:49], v[38:39], v[48:49]
	s_delay_alu instid0(VALU_DEP_1) | instskip(NEXT) | instid1(VALU_DEP_1)
	v_mul_f64_e32 v[38:39], v[52:53], v[48:49]
	v_mul_f64_e32 v[54:55], v[46:47], v[38:39]
	s_delay_alu instid0(VALU_DEP_1) | instskip(NEXT) | instid1(VALU_DEP_1)
	v_fma_f64 v[44:45], v[38:39], v[46:47], -v[54:55]
	v_fmac_f64_e32 v[44:45], v[38:39], v[42:43]
	s_delay_alu instid0(VALU_DEP_1) | instskip(NEXT) | instid1(VALU_DEP_1)
	v_add_f64_e32 v[56:57], v[54:55], v[44:45]
	v_add_f64_e64 v[58:59], v[52:53], -v[56:57]
	v_add_f64_e64 v[50:51], v[56:57], -v[54:55]
	s_delay_alu instid0(VALU_DEP_2) | instskip(NEXT) | instid1(VALU_DEP_2)
	v_add_f64_e64 v[52:53], v[52:53], -v[58:59]
	v_add_f64_e64 v[44:45], v[50:51], -v[44:45]
	s_delay_alu instid0(VALU_DEP_2) | instskip(NEXT) | instid1(VALU_DEP_1)
	v_add_f64_e64 v[52:53], v[52:53], -v[56:57]
	v_add_f64_e32 v[36:37], v[36:37], v[52:53]
	s_delay_alu instid0(VALU_DEP_1) | instskip(NEXT) | instid1(VALU_DEP_1)
	v_add_f64_e32 v[36:37], v[44:45], v[36:37]
	v_add_f64_e32 v[44:45], v[58:59], v[36:37]
	s_delay_alu instid0(VALU_DEP_1) | instskip(SKIP_1) | instid1(VALU_DEP_2)
	v_mul_f64_e32 v[50:51], v[48:49], v[44:45]
	v_add_f64_e64 v[56:57], v[58:59], -v[44:45]
	v_mul_f64_e32 v[52:53], v[46:47], v[50:51]
	s_delay_alu instid0(VALU_DEP_2) | instskip(NEXT) | instid1(VALU_DEP_2)
	v_add_f64_e32 v[36:37], v[36:37], v[56:57]
	v_fma_f64 v[46:47], v[50:51], v[46:47], -v[52:53]
	s_delay_alu instid0(VALU_DEP_1) | instskip(NEXT) | instid1(VALU_DEP_1)
	v_fmac_f64_e32 v[46:47], v[50:51], v[42:43]
	v_add_f64_e32 v[42:43], v[52:53], v[46:47]
	s_delay_alu instid0(VALU_DEP_1) | instskip(SKIP_1) | instid1(VALU_DEP_2)
	v_add_f64_e64 v[54:55], v[44:45], -v[42:43]
	v_add_f64_e64 v[52:53], v[42:43], -v[52:53]
	;; [unrolled: 1-line block ×3, first 2 shown]
	s_delay_alu instid0(VALU_DEP_1) | instskip(NEXT) | instid1(VALU_DEP_3)
	v_add_f64_e64 v[42:43], v[44:45], -v[42:43]
	v_add_f64_e64 v[44:45], v[52:53], -v[46:47]
	v_max_num_f64_e64 v[46:47], |v[10:11]|, |v[10:11]|
	s_delay_alu instid0(VALU_DEP_3) | instskip(SKIP_1) | instid1(VALU_DEP_2)
	v_add_f64_e32 v[36:37], v[36:37], v[42:43]
	v_add_f64_e32 v[42:43], v[38:39], v[50:51]
	;; [unrolled: 1-line block ×3, first 2 shown]
	s_delay_alu instid0(VALU_DEP_2) | instskip(SKIP_1) | instid1(VALU_DEP_3)
	v_add_f64_e64 v[38:39], v[42:43], -v[38:39]
	v_max_num_f64_e64 v[44:45], |v[12:13]|, |v[12:13]|
	v_add_f64_e32 v[36:37], v[54:55], v[36:37]
	s_delay_alu instid0(VALU_DEP_3) | instskip(NEXT) | instid1(VALU_DEP_2)
	v_add_f64_e64 v[38:39], v[50:51], -v[38:39]
	v_mul_f64_e32 v[36:37], v[48:49], v[36:37]
	s_delay_alu instid0(VALU_DEP_1) | instskip(SKIP_2) | instid1(VALU_DEP_3)
	v_add_f64_e32 v[36:37], v[38:39], v[36:37]
	v_max_num_f64_e32 v[38:39], v[46:47], v[44:45]
	v_min_num_f64_e32 v[44:45], v[46:47], v[44:45]
	v_add_f64_e32 v[46:47], v[42:43], v[36:37]
	s_delay_alu instid0(VALU_DEP_2) | instskip(NEXT) | instid1(VALU_DEP_2)
	v_div_scale_f64 v[48:49], null, v[38:39], v[38:39], v[44:45]
	v_mul_f64_e32 v[50:51], v[46:47], v[46:47]
	v_add_f64_e64 v[42:43], v[46:47], -v[42:43]
	s_delay_alu instid0(VALU_DEP_3) | instskip(NEXT) | instid1(VALU_DEP_2)
	v_rcp_f64_e32 v[52:53], v[48:49]
	v_fmamk_f64 v[54:55], v[50:51], 0x3fc3ab76bf559e2b, v[24:25]
	v_mul_f64_e32 v[56:57], v[46:47], v[50:51]
	s_delay_alu instid0(VALU_DEP_3) | instskip(NEXT) | instid1(VALU_DEP_3)
	v_add_f64_e64 v[36:37], v[36:37], -v[42:43]
	v_fmaak_f64 v[54:55], v[50:51], v[54:55], 0x3fc7474dd7f4df2e
	s_delay_alu instid0(TRANS32_DEP_1) | instskip(NEXT) | instid1(VALU_DEP_2)
	v_fma_f64 v[58:59], -v[48:49], v[52:53], 1.0
	v_fmaak_f64 v[54:55], v[50:51], v[54:55], 0x3fcc71c016291751
	s_delay_alu instid0(VALU_DEP_1) | instskip(NEXT) | instid1(VALU_DEP_1)
	v_fmaak_f64 v[54:55], v[50:51], v[54:55], 0x3fd249249b27acf1
	v_fmaak_f64 v[54:55], v[50:51], v[54:55], 0x3fd99999998ef7b6
	v_ldexp_f64 v[36:37], v[36:37], 1
	s_delay_alu instid0(VALU_DEP_2) | instskip(SKIP_2) | instid1(VALU_DEP_3)
	v_fmaak_f64 v[50:51], v[50:51], v[54:55], 0x3fe5555555555780
	v_ldexp_f64 v[54:55], v[46:47], 1
	v_fmac_f64_e32 v[52:53], v[52:53], v[58:59]
	v_mul_f64_e32 v[50:51], v[56:57], v[50:51]
	v_cvt_f64_i32_e32 v[56:57], v21
	v_ashrrev_i32_e32 v21, 31, v11
	s_delay_alu instid0(VALU_DEP_4) | instskip(NEXT) | instid1(VALU_DEP_4)
	v_fma_f64 v[58:59], -v[48:49], v[52:53], 1.0
	v_add_f64_e32 v[46:47], v[54:55], v[50:51]
	s_delay_alu instid0(VALU_DEP_4) | instskip(NEXT) | instid1(VALU_DEP_3)
	v_mul_f64_e32 v[60:61], 0x3fe62e42fefa39ef, v[56:57]
	v_fmac_f64_e32 v[52:53], v[52:53], v[58:59]
	s_delay_alu instid0(VALU_DEP_3) | instskip(SKIP_1) | instid1(VALU_DEP_4)
	v_add_f64_e64 v[42:43], v[46:47], -v[54:55]
	v_div_scale_f64 v[54:55], vcc_lo, v[44:45], v[38:39], v[44:45]
	v_fma_f64 v[58:59], v[56:57], s[30:31], -v[60:61]
	s_delay_alu instid0(VALU_DEP_3) | instskip(NEXT) | instid1(VALU_DEP_3)
	v_add_f64_e64 v[42:43], v[50:51], -v[42:43]
	v_mul_f64_e32 v[50:51], v[54:55], v[52:53]
	s_delay_alu instid0(VALU_DEP_3) | instskip(NEXT) | instid1(VALU_DEP_3)
	v_fmac_f64_e32 v[58:59], 0x3c7abc9e3b39803f, v[56:57]
	v_add_f64_e32 v[36:37], v[36:37], v[42:43]
	s_delay_alu instid0(VALU_DEP_3) | instskip(NEXT) | instid1(VALU_DEP_3)
	v_fma_f64 v[42:43], -v[48:49], v[50:51], v[54:55]
	v_add_f64_e32 v[48:49], v[60:61], v[58:59]
	s_delay_alu instid0(VALU_DEP_3) | instskip(NEXT) | instid1(VALU_DEP_3)
	v_add_f64_e32 v[54:55], v[46:47], v[36:37]
	v_div_fmas_f64 v[42:43], v[42:43], v[52:53], v[50:51]
	v_cmp_gt_i32_e32 vcc_lo, 0, v11
	s_delay_alu instid0(VALU_DEP_4) | instskip(SKIP_2) | instid1(VALU_DEP_1)
	v_add_f64_e64 v[52:53], v[48:49], -v[60:61]
	v_and_b32_e32 v11, 0x400921fb, v21
	v_cndmask_b32_e32 v10, 0x3fe921fb, v69, vcc_lo
	v_bfi_b32 v10, 0x7fffffff, v10, v13
	v_add_f64_e32 v[50:51], v[48:49], v[54:55]
	v_div_fixup_f64 v[38:39], v[42:43], v[38:39], v[44:45]
	v_add_f64_e64 v[46:47], v[54:55], -v[46:47]
	v_add_f64_e64 v[52:53], v[58:59], -v[52:53]
	s_delay_alu instid0(VALU_DEP_4) | instskip(NEXT) | instid1(VALU_DEP_4)
	v_add_f64_e64 v[42:43], v[50:51], -v[48:49]
	v_mul_f64_e32 v[44:45], v[38:39], v[38:39]
	s_delay_alu instid0(VALU_DEP_4) | instskip(NEXT) | instid1(VALU_DEP_3)
	v_add_f64_e64 v[36:37], v[36:37], -v[46:47]
	v_add_f64_e64 v[56:57], v[50:51], -v[42:43]
	s_delay_alu instid0(VALU_DEP_3) | instskip(SKIP_1) | instid1(VALU_DEP_4)
	v_fmamk_f64 v[60:61], v[44:45], 0x3eeba404b5e68a13, v[26:27]
	v_add_f64_e64 v[42:43], v[54:55], -v[42:43]
	v_add_f64_e32 v[54:55], v[52:53], v[36:37]
	s_delay_alu instid0(VALU_DEP_3) | instskip(SKIP_1) | instid1(VALU_DEP_2)
	v_fmaak_f64 v[60:61], v[44:45], v[60:61], 0x3f4b2bb069efb384
	v_add_f64_e64 v[46:47], v[48:49], -v[56:57]
	v_fmaak_f64 v[48:49], v[44:45], v[60:61], 0xbf67952daf56de9b
	s_delay_alu instid0(VALU_DEP_1) | instskip(NEXT) | instid1(VALU_DEP_1)
	v_fmaak_f64 v[48:49], v[44:45], v[48:49], 0x3f7d6d43a595c56f
	v_fmaak_f64 v[48:49], v[44:45], v[48:49], 0xbf8c6ea4a57d9582
	s_delay_alu instid0(VALU_DEP_1) | instskip(NEXT) | instid1(VALU_DEP_1)
	v_fmaak_f64 v[48:49], v[44:45], v[48:49], 0x3f967e295f08b19f
	v_fmaak_f64 v[48:49], v[44:45], v[48:49], 0xbf9e9ae6fc27006a
	v_add_f64_e32 v[42:43], v[42:43], v[46:47]
	s_delay_alu instid0(VALU_DEP_2) | instskip(SKIP_1) | instid1(VALU_DEP_2)
	v_fmaak_f64 v[46:47], v[44:45], v[48:49], 0x3fa2c15b5711927a
	v_add_f64_e64 v[48:49], v[54:55], -v[52:53]
	v_fmaak_f64 v[46:47], v[44:45], v[46:47], 0xbfa59976e82d3ff0
	s_delay_alu instid0(VALU_DEP_1) | instskip(NEXT) | instid1(VALU_DEP_1)
	v_fmaak_f64 v[46:47], v[44:45], v[46:47], 0x3fa82d5d6ef28734
	v_fmaak_f64 v[46:47], v[44:45], v[46:47], 0xbfaae5ce6a214619
	s_delay_alu instid0(VALU_DEP_1) | instskip(SKIP_3) | instid1(VALU_DEP_4)
	v_fmaak_f64 v[46:47], v[44:45], v[46:47], 0x3fae1bb48427b883
	v_add_f64_e32 v[42:43], v[54:55], v[42:43]
	v_add_f64_e64 v[54:55], v[54:55], -v[48:49]
	v_add_f64_e64 v[36:37], v[36:37], -v[48:49]
	v_fmaak_f64 v[46:47], v[44:45], v[46:47], 0xbfb110e48b207f05
	s_delay_alu instid0(VALU_DEP_1) | instskip(NEXT) | instid1(VALU_DEP_1)
	v_fmaak_f64 v[46:47], v[44:45], v[46:47], 0x3fb3b13657b87036
	v_fmaak_f64 v[46:47], v[44:45], v[46:47], 0xbfb745d119378e4f
	s_delay_alu instid0(VALU_DEP_1) | instskip(SKIP_1) | instid1(VALU_DEP_2)
	v_fmaak_f64 v[46:47], v[44:45], v[46:47], 0x3fbc71c717e1913c
	v_add_f64_e32 v[56:57], v[50:51], v[42:43]
	v_fmaak_f64 v[46:47], v[44:45], v[46:47], 0xbfc2492492376b7d
	s_delay_alu instid0(VALU_DEP_1) | instskip(NEXT) | instid1(VALU_DEP_1)
	v_fmaak_f64 v[46:47], v[44:45], v[46:47], 0x3fc99999999952cc
	v_fmaak_f64 v[46:47], v[44:45], v[46:47], 0xbfd5555555555523
	s_delay_alu instid0(VALU_DEP_1) | instskip(SKIP_2) | instid1(VALU_DEP_3)
	v_mul_f64_e32 v[44:45], v[44:45], v[46:47]
	v_add_f64_e64 v[46:47], v[52:53], -v[54:55]
	v_add_f64_e64 v[48:49], v[56:57], -v[50:51]
	v_fmac_f64_e32 v[38:39], v[38:39], v[44:45]
	s_delay_alu instid0(VALU_DEP_3) | instskip(NEXT) | instid1(VALU_DEP_3)
	v_add_f64_e32 v[36:37], v[36:37], v[46:47]
	v_add_f64_e64 v[42:43], v[42:43], -v[48:49]
	s_delay_alu instid0(VALU_DEP_3) | instskip(NEXT) | instid1(VALU_DEP_1)
	v_add_f64_e64 v[44:45], -v[38:39], s[38:39]
	v_dual_add_f64 v[36:37], v[36:37], v[42:43] :: v_dual_cndmask_b32 v39, v39, v45, s4
	s_delay_alu instid0(VALU_DEP_2) | instskip(SKIP_2) | instid1(VALU_DEP_3)
	v_cndmask_b32_e64 v38, v38, v44, s4
	v_and_b32_e32 v45, 0x54442d18, v21
	v_cndmask_b32_e32 v44, 0x54442d18, v68, vcc_lo
	v_add_f64_e64 v[42:43], -v[38:39], s[40:41]
	s_delay_alu instid0(VALU_DEP_1) | instskip(NEXT) | instid1(VALU_DEP_2)
	v_dual_add_f64 v[36:37], v[56:57], v[36:37] :: v_dual_cndmask_b32 v38, v38, v42, vcc_lo
	v_cndmask_b32_e32 v21, v39, v43, vcc_lo
	v_cmp_ngt_f64_e32 vcc_lo, -1.0, v[40:41]
	s_delay_alu instid0(VALU_DEP_3) | instskip(NEXT) | instid1(VALU_DEP_3)
	v_mul_f64_e32 v[36:37], 0.5, v[36:37]
	v_dual_cndmask_b32 v38, v38, v45, s5 :: v_dual_cndmask_b32 v11, v21, v11, s5
	s_and_b32 s5, s6, s7
	s_delay_alu instid0(VALU_DEP_2) | instid1(SALU_CYCLE_1)
	v_cndmask_b32_e64 v36, 0, v36, s5
	v_cmp_neq_f64_e64 s5, -1.0, v[40:41]
	s_delay_alu instid0(VALU_DEP_4) | instskip(NEXT) | instid1(VALU_DEP_1)
	v_cndmask_b32_e64 v37, 0x7ff00000, v37, s7
	v_cndmask_b32_e32 v21, 0x7ff80000, v37, vcc_lo
	s_and_b32 vcc_lo, s8, s9
	v_dual_cndmask_b32 v39, v11, v10 :: v_dual_cndmask_b32 v38, v38, v44
	s_delay_alu instid0(VALU_DEP_2)
	v_cndmask_b32_e64 v37, 0xfff00000, v21, s5
.LBB191_166:                            ;   in Loop: Header=BB191_145 Depth=1
	s_or_b32 exec_lo, exec_lo, s55
.LBB191_167:                            ;   in Loop: Header=BB191_145 Depth=1
	s_delay_alu instid0(SALU_CYCLE_1)
	s_or_b32 exec_lo, exec_lo, s54
.LBB191_168:                            ;   in Loop: Header=BB191_145 Depth=1
	s_and_not1_saveexec_b32 s7, s53
	s_cbranch_execz .LBB191_170
; %bb.169:                              ;   in Loop: Header=BB191_145 Depth=1
	v_max_num_f64_e64 v[36:37], |v[12:13]|, |v[12:13]|
	v_max_num_f64_e64 v[38:39], |v[10:11]|, |v[10:11]|
	v_cmp_class_f64_e64 s8, v[10:11], 0x204
	v_cmp_class_f64_e64 s9, v[12:13], 0x204
	v_cmp_eq_f64_e64 s6, 0, v[12:13]
	s_delay_alu instid0(VALU_DEP_4) | instskip(SKIP_2) | instid1(VALU_DEP_2)
	v_max_num_f64_e32 v[40:41], v[38:39], v[36:37]
	v_min_num_f64_e32 v[36:37], v[38:39], v[36:37]
	s_or_b32 s5, s9, s8
	v_frexp_exp_i32_f64_e32 v21, v[40:41]
	s_delay_alu instid0(VALU_DEP_1) | instskip(NEXT) | instid1(VALU_DEP_1)
	v_sub_nc_u32_e32 v44, 0, v21
	v_ldexp_f64 v[42:43], |v[12:13]|, v44
	s_delay_alu instid0(VALU_DEP_1) | instskip(SKIP_1) | instid1(VALU_DEP_1)
	v_mul_f64_e32 v[42:43], v[42:43], v[42:43]
	v_ldexp_f64 v[44:45], |v[10:11]|, v44
	v_fmac_f64_e32 v[42:43], v[44:45], v[44:45]
	s_delay_alu instid0(VALU_DEP_1) | instskip(SKIP_1) | instid1(TRANS32_DEP_1)
	v_rsq_f64_e32 v[44:45], v[42:43]
	v_cmp_eq_f64_e32 vcc_lo, 0, v[42:43]
	v_mul_f64_e32 v[46:47], v[42:43], v[44:45]
	v_mul_f64_e32 v[44:45], 0.5, v[44:45]
	s_delay_alu instid0(VALU_DEP_1) | instskip(NEXT) | instid1(VALU_DEP_1)
	v_fma_f64 v[48:49], -v[44:45], v[46:47], 0.5
	v_fmac_f64_e32 v[46:47], v[46:47], v[48:49]
	v_fmac_f64_e32 v[44:45], v[44:45], v[48:49]
	s_delay_alu instid0(VALU_DEP_2) | instskip(NEXT) | instid1(VALU_DEP_1)
	v_fma_f64 v[48:49], -v[46:47], v[46:47], v[42:43]
	v_fmac_f64_e32 v[46:47], v[48:49], v[44:45]
	s_delay_alu instid0(VALU_DEP_1) | instskip(NEXT) | instid1(VALU_DEP_1)
	v_dual_cndmask_b32 v43, v47, v43 :: v_dual_cndmask_b32 v42, v46, v42
	v_ldexp_f64 v[42:43], v[42:43], v21
	v_ashrrev_i32_e32 v21, 31, v11
	s_delay_alu instid0(VALU_DEP_2) | instskip(NEXT) | instid1(VALU_DEP_3)
	v_cndmask_b32_e64 v43, v43, 0x7ff00000, s5
	v_cndmask_b32_e64 v42, v42, 0, s5
	s_delay_alu instid0(VALU_DEP_1) | instskip(SKIP_1) | instid1(VALU_DEP_2)
	v_frexp_mant_f64_e32 v[44:45], v[42:43]
	v_cmp_class_f64_e64 s5, v[42:43], 0x204
	v_cmp_gt_f64_e32 vcc_lo, s[28:29], v[44:45]
	v_cndmask_b32_e64 v10, 0, 1, vcc_lo
	s_delay_alu instid0(VALU_DEP_1) | instskip(SKIP_1) | instid1(VALU_DEP_2)
	v_ldexp_f64 v[44:45], v[44:45], v10
	v_frexp_exp_i32_f64_e32 v10, v[42:43]
	v_add_f64_e32 v[46:47], 1.0, v[44:45]
	v_add_f64_e32 v[52:53], -1.0, v[44:45]
	s_delay_alu instid0(VALU_DEP_3) | instskip(SKIP_1) | instid1(VALU_DEP_4)
	v_subrev_co_ci_u32_e64 v10, null, 0, v10, vcc_lo
	v_div_scale_f64 v[60:61], vcc_lo, v[36:37], v[40:41], v[36:37]
	v_rcp_f64_e32 v[48:49], v[46:47]
	v_add_f64_e32 v[54:55], -1.0, v[46:47]
	s_delay_alu instid0(VALU_DEP_1) | instskip(NEXT) | instid1(TRANS32_DEP_1)
	v_add_f64_e64 v[44:45], v[44:45], -v[54:55]
	v_fma_f64 v[50:51], -v[46:47], v[48:49], 1.0
	s_delay_alu instid0(VALU_DEP_1) | instskip(NEXT) | instid1(VALU_DEP_1)
	v_fmac_f64_e32 v[48:49], v[50:51], v[48:49]
	v_fma_f64 v[50:51], -v[46:47], v[48:49], 1.0
	s_delay_alu instid0(VALU_DEP_1) | instskip(NEXT) | instid1(VALU_DEP_1)
	v_fmac_f64_e32 v[48:49], v[50:51], v[48:49]
	v_mul_f64_e32 v[50:51], v[52:53], v[48:49]
	s_delay_alu instid0(VALU_DEP_1) | instskip(NEXT) | instid1(VALU_DEP_1)
	v_mul_f64_e32 v[56:57], v[46:47], v[50:51]
	v_fma_f64 v[46:47], v[50:51], v[46:47], -v[56:57]
	s_delay_alu instid0(VALU_DEP_1) | instskip(NEXT) | instid1(VALU_DEP_1)
	v_fmac_f64_e32 v[46:47], v[50:51], v[44:45]
	v_add_f64_e32 v[44:45], v[56:57], v[46:47]
	s_delay_alu instid0(VALU_DEP_1) | instskip(SKIP_1) | instid1(VALU_DEP_2)
	v_add_f64_e64 v[54:55], v[52:53], -v[44:45]
	v_add_f64_e64 v[56:57], v[44:45], -v[56:57]
	;; [unrolled: 1-line block ×3, first 2 shown]
	s_delay_alu instid0(VALU_DEP_2) | instskip(NEXT) | instid1(VALU_DEP_2)
	v_add_f64_e64 v[46:47], v[56:57], -v[46:47]
	v_add_f64_e64 v[44:45], v[52:53], -v[44:45]
	s_delay_alu instid0(VALU_DEP_1) | instskip(NEXT) | instid1(VALU_DEP_1)
	v_add_f64_e32 v[44:45], v[46:47], v[44:45]
	v_add_f64_e32 v[44:45], v[54:55], v[44:45]
	s_delay_alu instid0(VALU_DEP_1) | instskip(SKIP_1) | instid1(VALU_DEP_2)
	v_mul_f64_e32 v[38:39], v[48:49], v[44:45]
	v_div_scale_f64 v[44:45], null, v[40:41], v[40:41], v[36:37]
	v_add_f64_e32 v[46:47], v[50:51], v[38:39]
	s_delay_alu instid0(VALU_DEP_2) | instskip(NEXT) | instid1(VALU_DEP_1)
	v_rcp_f64_e32 v[48:49], v[44:45]
	v_mul_f64_e32 v[52:53], v[46:47], v[46:47]
	s_delay_alu instid0(TRANS32_DEP_1) | instskip(NEXT) | instid1(VALU_DEP_2)
	v_fma_f64 v[56:57], -v[44:45], v[48:49], 1.0
	v_fmamk_f64 v[54:55], v[52:53], 0x3fc3ab76bf559e2b, v[24:25]
	v_mul_f64_e32 v[58:59], v[46:47], v[52:53]
	s_delay_alu instid0(VALU_DEP_2) | instskip(NEXT) | instid1(VALU_DEP_4)
	v_fmaak_f64 v[54:55], v[52:53], v[54:55], 0x3fc7474dd7f4df2e
	v_fmac_f64_e32 v[48:49], v[48:49], v[56:57]
	s_delay_alu instid0(VALU_DEP_2) | instskip(NEXT) | instid1(VALU_DEP_1)
	v_fmaak_f64 v[54:55], v[52:53], v[54:55], 0x3fcc71c016291751
	v_fmaak_f64 v[54:55], v[52:53], v[54:55], 0x3fd249249b27acf1
	s_delay_alu instid0(VALU_DEP_1) | instskip(NEXT) | instid1(VALU_DEP_1)
	v_fmaak_f64 v[54:55], v[52:53], v[54:55], 0x3fd99999998ef7b6
	v_fmaak_f64 v[52:53], v[52:53], v[54:55], 0x3fe5555555555780
	v_ldexp_f64 v[54:55], v[46:47], 1
	v_add_f64_e64 v[46:47], v[46:47], -v[50:51]
	v_fma_f64 v[56:57], -v[44:45], v[48:49], 1.0
	s_delay_alu instid0(VALU_DEP_4) | instskip(SKIP_1) | instid1(VALU_DEP_4)
	v_mul_f64_e32 v[52:53], v[58:59], v[52:53]
	v_cvt_f64_i32_e32 v[58:59], v10
	v_add_f64_e64 v[38:39], v[38:39], -v[46:47]
	s_delay_alu instid0(VALU_DEP_4) | instskip(NEXT) | instid1(VALU_DEP_4)
	v_fmac_f64_e32 v[48:49], v[48:49], v[56:57]
	v_add_f64_e32 v[50:51], v[54:55], v[52:53]
	s_delay_alu instid0(VALU_DEP_4) | instskip(NEXT) | instid1(VALU_DEP_4)
	v_mul_f64_e32 v[56:57], 0x3fe62e42fefa39ef, v[58:59]
	v_ldexp_f64 v[38:39], v[38:39], 1
	s_delay_alu instid0(VALU_DEP_3) | instskip(SKIP_1) | instid1(VALU_DEP_4)
	v_add_f64_e64 v[46:47], v[50:51], -v[54:55]
	v_mul_f64_e32 v[54:55], v[60:61], v[48:49]
	v_fma_f64 v[62:63], v[58:59], s[30:31], -v[56:57]
	s_delay_alu instid0(VALU_DEP_3) | instskip(NEXT) | instid1(VALU_DEP_3)
	v_add_f64_e64 v[46:47], v[52:53], -v[46:47]
	v_fma_f64 v[44:45], -v[44:45], v[54:55], v[60:61]
	s_delay_alu instid0(VALU_DEP_3) | instskip(NEXT) | instid1(VALU_DEP_3)
	v_fmac_f64_e32 v[62:63], 0x3c7abc9e3b39803f, v[58:59]
	v_add_f64_e32 v[38:39], v[38:39], v[46:47]
	s_delay_alu instid0(VALU_DEP_3) | instskip(NEXT) | instid1(VALU_DEP_3)
	v_div_fmas_f64 v[44:45], v[44:45], v[48:49], v[54:55]
	v_add_f64_e32 v[46:47], v[56:57], v[62:63]
	v_cmp_gt_i32_e32 vcc_lo, 0, v11
	s_delay_alu instid0(VALU_DEP_4) | instskip(NEXT) | instid1(VALU_DEP_4)
	v_add_f64_e32 v[48:49], v[50:51], v[38:39]
	v_div_fixup_f64 v[36:37], v[44:45], v[40:41], v[36:37]
	s_delay_alu instid0(VALU_DEP_4) | instskip(NEXT) | instid1(VALU_DEP_3)
	v_add_f64_e64 v[56:57], v[46:47], -v[56:57]
	v_add_f64_e32 v[40:41], v[46:47], v[48:49]
	s_delay_alu instid0(VALU_DEP_3) | instskip(SKIP_1) | instid1(VALU_DEP_4)
	v_mul_f64_e32 v[44:45], v[36:37], v[36:37]
	v_add_f64_e64 v[50:51], v[48:49], -v[50:51]
	v_add_f64_e64 v[56:57], v[62:63], -v[56:57]
	s_delay_alu instid0(VALU_DEP_4) | instskip(NEXT) | instid1(VALU_DEP_4)
	v_add_f64_e64 v[52:53], v[40:41], -v[46:47]
	v_fmamk_f64 v[54:55], v[44:45], 0x3eeba404b5e68a13, v[26:27]
	s_delay_alu instid0(VALU_DEP_4) | instskip(NEXT) | instid1(VALU_DEP_2)
	v_add_f64_e64 v[38:39], v[38:39], -v[50:51]
	v_fmaak_f64 v[54:55], v[44:45], v[54:55], 0x3f4b2bb069efb384
	s_delay_alu instid0(VALU_DEP_1) | instskip(NEXT) | instid1(VALU_DEP_1)
	v_fmaak_f64 v[54:55], v[44:45], v[54:55], 0xbf67952daf56de9b
	v_fmaak_f64 v[54:55], v[44:45], v[54:55], 0x3f7d6d43a595c56f
	s_delay_alu instid0(VALU_DEP_1) | instskip(SKIP_3) | instid1(VALU_DEP_4)
	v_fmaak_f64 v[54:55], v[44:45], v[54:55], 0xbf8c6ea4a57d9582
	v_add_f64_e64 v[58:59], v[40:41], -v[52:53]
	v_add_f64_e64 v[48:49], v[48:49], -v[52:53]
	v_add_f64_e32 v[52:53], v[56:57], v[38:39]
	v_fmaak_f64 v[54:55], v[44:45], v[54:55], 0x3f967e295f08b19f
	s_delay_alu instid0(VALU_DEP_1) | instskip(NEXT) | instid1(VALU_DEP_1)
	v_fmaak_f64 v[50:51], v[44:45], v[54:55], 0xbf9e9ae6fc27006a
	v_fmaak_f64 v[50:51], v[44:45], v[50:51], 0x3fa2c15b5711927a
	s_delay_alu instid0(VALU_DEP_1) | instskip(NEXT) | instid1(VALU_DEP_1)
	v_fmaak_f64 v[50:51], v[44:45], v[50:51], 0xbfa59976e82d3ff0
	v_fmaak_f64 v[50:51], v[44:45], v[50:51], 0x3fa82d5d6ef28734
	v_add_f64_e64 v[46:47], v[46:47], -v[58:59]
	s_delay_alu instid0(VALU_DEP_2) | instskip(NEXT) | instid1(VALU_DEP_2)
	v_fmaak_f64 v[50:51], v[44:45], v[50:51], 0xbfaae5ce6a214619
	v_add_f64_e32 v[46:47], v[48:49], v[46:47]
	s_delay_alu instid0(VALU_DEP_2) | instskip(SKIP_1) | instid1(VALU_DEP_2)
	v_fmaak_f64 v[48:49], v[44:45], v[50:51], 0x3fae1bb48427b883
	v_add_f64_e64 v[50:51], v[52:53], -v[56:57]
	v_fmaak_f64 v[48:49], v[44:45], v[48:49], 0xbfb110e48b207f05
	s_delay_alu instid0(VALU_DEP_1) | instskip(NEXT) | instid1(VALU_DEP_1)
	v_fmaak_f64 v[48:49], v[44:45], v[48:49], 0x3fb3b13657b87036
	v_fmaak_f64 v[48:49], v[44:45], v[48:49], 0xbfb745d119378e4f
	s_delay_alu instid0(VALU_DEP_1) | instskip(SKIP_2) | instid1(VALU_DEP_3)
	v_fmaak_f64 v[48:49], v[44:45], v[48:49], 0x3fbc71c717e1913c
	v_add_f64_e32 v[46:47], v[52:53], v[46:47]
	v_add_f64_e64 v[38:39], v[38:39], -v[50:51]
	v_fmaak_f64 v[48:49], v[44:45], v[48:49], 0xbfc2492492376b7d
	s_delay_alu instid0(VALU_DEP_1) | instskip(NEXT) | instid1(VALU_DEP_1)
	v_fmaak_f64 v[48:49], v[44:45], v[48:49], 0x3fc99999999952cc
	v_fmaak_f64 v[48:49], v[44:45], v[48:49], 0xbfd5555555555523
	s_delay_alu instid0(VALU_DEP_1) | instskip(SKIP_2) | instid1(VALU_DEP_3)
	v_mul_f64_e32 v[44:45], v[44:45], v[48:49]
	v_add_f64_e64 v[48:49], v[52:53], -v[50:51]
	v_add_f64_e32 v[52:53], v[40:41], v[46:47]
	v_fmac_f64_e32 v[36:37], v[36:37], v[44:45]
	s_delay_alu instid0(VALU_DEP_3) | instskip(NEXT) | instid1(VALU_DEP_3)
	v_add_f64_e64 v[44:45], v[56:57], -v[48:49]
	v_add_f64_e64 v[40:41], v[52:53], -v[40:41]
	s_delay_alu instid0(VALU_DEP_3) | instskip(NEXT) | instid1(VALU_DEP_3)
	v_add_f64_e64 v[48:49], -v[36:37], s[38:39]
	v_add_f64_e32 v[38:39], v[38:39], v[44:45]
	v_cndmask_b32_e32 v44, 0x54442d18, v68, vcc_lo
	v_and_b32_e32 v45, 0x54442d18, v21
	v_and_b32_e32 v21, 0x400921fb, v21
	v_add_f64_e64 v[40:41], v[46:47], -v[40:41]
	v_dual_cndmask_b32 v37, v37, v49, s4 :: v_dual_cndmask_b32 v36, v36, v48, s4
	s_delay_alu instid0(VALU_DEP_2) | instskip(NEXT) | instid1(VALU_DEP_2)
	v_add_f64_e32 v[38:39], v[38:39], v[40:41]
	v_add_f64_e64 v[40:41], -v[36:37], s[40:41]
	s_delay_alu instid0(VALU_DEP_2) | instskip(NEXT) | instid1(VALU_DEP_2)
	v_add_f64_e32 v[10:11], v[52:53], v[38:39]
	v_cndmask_b32_e32 v36, v36, v40, vcc_lo
	v_cndmask_b32_e32 v38, 0x3fe921fb, v69, vcc_lo
	s_delay_alu instid0(VALU_DEP_4) | instskip(SKIP_1) | instid1(VALU_DEP_4)
	v_cndmask_b32_e32 v37, v37, v41, vcc_lo
	v_cmp_ngt_f64_e32 vcc_lo, 0, v[42:43]
	v_cndmask_b32_e64 v40, v36, v45, s6
	s_delay_alu instid0(VALU_DEP_4) | instskip(NEXT) | instid1(VALU_DEP_4)
	v_bfi_b32 v38, 0x7fffffff, v38, v13
	v_dual_cndmask_b32 v21, v37, v21, s6 :: v_dual_cndmask_b32 v10, v10, v42, s5
	v_cndmask_b32_e64 v11, v11, v43, s5
	v_cmp_nge_f64_e64 s5, 0, v[42:43]
	s_delay_alu instid0(VALU_DEP_2) | instskip(SKIP_4) | instid1(VALU_DEP_1)
	v_cndmask_b32_e32 v11, 0x7ff80000, v11, vcc_lo
	s_and_b32 vcc_lo, s9, s8
	v_dual_cndmask_b32 v39, v21, v38 :: v_dual_cndmask_b32 v38, v40, v44
	v_cndmask_b32_e64 v36, 0, v10, s5
	v_cmp_neq_f64_e64 s5, 0, v[42:43]
	v_cndmask_b32_e64 v37, 0xfff00000, v11, s5
.LBB191_170:                            ;   in Loop: Header=BB191_145 Depth=1
	s_or_b32 exec_lo, exec_lo, s7
                                        ; implicit-def: $vgpr42_vgpr43
.LBB191_171:                            ;   in Loop: Header=BB191_145 Depth=1
	s_and_not1_saveexec_b32 s7, s52
	s_cbranch_execz .LBB191_177
; %bb.172:                              ;   in Loop: Header=BB191_145 Depth=1
                                        ; implicit-def: $vgpr36_vgpr37
                                        ; implicit-def: $vgpr38_vgpr39
	s_mov_b32 s5, exec_lo
	v_cmpx_ngt_f64_e32 s[44:45], v[42:43]
	s_xor_b32 s8, exec_lo, s5
	s_cbranch_execz .LBB191_174
; %bb.173:                              ;   in Loop: Header=BB191_145 Depth=1
	v_mul_f64_e32 v[36:37], v[42:43], v[42:43]
	v_cmp_eq_f64_e64 s5, 0, v[12:13]
	v_cmp_class_f64_e64 s9, v[12:13], 0x204
	v_cmp_class_f64_e64 s10, v[10:11], 0x204
	s_delay_alu instid0(VALU_DEP_4) | instskip(NEXT) | instid1(VALU_DEP_1)
	v_add_f64_e32 v[38:39], 1.0, v[36:37]
	v_frexp_mant_f64_e32 v[40:41], v[38:39]
	v_frexp_exp_i32_f64_e32 v21, v[38:39]
	v_add_f64_e32 v[42:43], -1.0, v[38:39]
	s_delay_alu instid0(VALU_DEP_3) | instskip(NEXT) | instid1(VALU_DEP_2)
	v_cmp_gt_f64_e32 vcc_lo, s[28:29], v[40:41]
	v_add_f64_e64 v[40:41], v[42:43], -v[38:39]
	s_delay_alu instid0(VALU_DEP_4) | instskip(NEXT) | instid1(VALU_DEP_1)
	v_subrev_co_ci_u32_e64 v21, null, 0, v21, vcc_lo
	v_dual_add_f64 v[42:43], v[36:37], -v[42:43] :: v_dual_sub_nc_u32 v46, 0, v21
	v_cmp_neq_f64_e64 s6, 0x7ff00000, v[36:37]
	s_delay_alu instid0(VALU_DEP_4) | instskip(NEXT) | instid1(VALU_DEP_3)
	v_add_f64_e32 v[40:41], 1.0, v[40:41]
	v_ldexp_f64 v[38:39], v[38:39], v46
	s_delay_alu instid0(VALU_DEP_2) | instskip(NEXT) | instid1(VALU_DEP_2)
	v_add_f64_e32 v[40:41], v[42:43], v[40:41]
	v_add_f64_e32 v[44:45], 1.0, v[38:39]
	v_add_f64_e32 v[50:51], -1.0, v[38:39]
	s_delay_alu instid0(VALU_DEP_3) | instskip(NEXT) | instid1(VALU_DEP_3)
	v_ldexp_f64 v[40:41], v[40:41], v46
	v_add_f64_e32 v[42:43], -1.0, v[44:45]
	s_delay_alu instid0(VALU_DEP_3) | instskip(NEXT) | instid1(VALU_DEP_2)
	v_add_f64_e32 v[52:53], 1.0, v[50:51]
	v_add_f64_e64 v[42:43], v[38:39], -v[42:43]
	s_delay_alu instid0(VALU_DEP_2) | instskip(NEXT) | instid1(VALU_DEP_2)
	v_add_f64_e64 v[38:39], v[38:39], -v[52:53]
	v_add_f64_e32 v[42:43], v[40:41], v[42:43]
	s_delay_alu instid0(VALU_DEP_2) | instskip(NEXT) | instid1(VALU_DEP_2)
	v_add_f64_e32 v[38:39], v[40:41], v[38:39]
	v_add_f64_e32 v[46:47], v[44:45], v[42:43]
	s_delay_alu instid0(VALU_DEP_2) | instskip(NEXT) | instid1(VALU_DEP_2)
	v_add_f64_e32 v[52:53], v[50:51], v[38:39]
	v_rcp_f64_e32 v[48:49], v[46:47]
	v_add_f64_e64 v[44:45], v[44:45], -v[46:47]
	s_delay_alu instid0(VALU_DEP_2) | instskip(NEXT) | instid1(VALU_DEP_2)
	v_add_f64_e64 v[50:51], v[50:51], -v[52:53]
	v_add_f64_e32 v[42:43], v[42:43], v[44:45]
	s_delay_alu instid0(VALU_DEP_2) | instskip(NEXT) | instid1(TRANS32_DEP_1)
	v_add_f64_e32 v[38:39], v[38:39], v[50:51]
	v_fma_f64 v[54:55], -v[46:47], v[48:49], 1.0
	s_delay_alu instid0(VALU_DEP_1) | instskip(NEXT) | instid1(VALU_DEP_1)
	v_fmac_f64_e32 v[48:49], v[54:55], v[48:49]
	v_fma_f64 v[40:41], -v[46:47], v[48:49], 1.0
	s_delay_alu instid0(VALU_DEP_1) | instskip(NEXT) | instid1(VALU_DEP_1)
	v_fmac_f64_e32 v[48:49], v[40:41], v[48:49]
	v_mul_f64_e32 v[40:41], v[52:53], v[48:49]
	s_delay_alu instid0(VALU_DEP_1) | instskip(NEXT) | instid1(VALU_DEP_1)
	v_mul_f64_e32 v[54:55], v[46:47], v[40:41]
	v_fma_f64 v[44:45], v[40:41], v[46:47], -v[54:55]
	s_delay_alu instid0(VALU_DEP_1) | instskip(NEXT) | instid1(VALU_DEP_1)
	v_fmac_f64_e32 v[44:45], v[40:41], v[42:43]
	v_add_f64_e32 v[56:57], v[54:55], v[44:45]
	s_delay_alu instid0(VALU_DEP_1) | instskip(SKIP_1) | instid1(VALU_DEP_2)
	v_add_f64_e64 v[58:59], v[52:53], -v[56:57]
	v_add_f64_e64 v[50:51], v[56:57], -v[54:55]
	v_add_f64_e64 v[52:53], v[52:53], -v[58:59]
	s_delay_alu instid0(VALU_DEP_2) | instskip(NEXT) | instid1(VALU_DEP_2)
	v_add_f64_e64 v[44:45], v[50:51], -v[44:45]
	v_add_f64_e64 v[52:53], v[52:53], -v[56:57]
	s_delay_alu instid0(VALU_DEP_1) | instskip(NEXT) | instid1(VALU_DEP_1)
	v_add_f64_e32 v[38:39], v[38:39], v[52:53]
	v_add_f64_e32 v[38:39], v[44:45], v[38:39]
	s_delay_alu instid0(VALU_DEP_1) | instskip(NEXT) | instid1(VALU_DEP_1)
	v_add_f64_e32 v[44:45], v[58:59], v[38:39]
	v_mul_f64_e32 v[50:51], v[48:49], v[44:45]
	v_add_f64_e64 v[56:57], v[58:59], -v[44:45]
	s_delay_alu instid0(VALU_DEP_2) | instskip(NEXT) | instid1(VALU_DEP_2)
	v_mul_f64_e32 v[52:53], v[46:47], v[50:51]
	v_add_f64_e32 v[38:39], v[38:39], v[56:57]
	s_delay_alu instid0(VALU_DEP_2) | instskip(NEXT) | instid1(VALU_DEP_1)
	v_fma_f64 v[46:47], v[50:51], v[46:47], -v[52:53]
	v_fmac_f64_e32 v[46:47], v[50:51], v[42:43]
	s_delay_alu instid0(VALU_DEP_1) | instskip(NEXT) | instid1(VALU_DEP_1)
	v_add_f64_e32 v[42:43], v[52:53], v[46:47]
	v_add_f64_e64 v[54:55], v[44:45], -v[42:43]
	v_add_f64_e64 v[52:53], v[42:43], -v[52:53]
	s_delay_alu instid0(VALU_DEP_2) | instskip(NEXT) | instid1(VALU_DEP_1)
	v_add_f64_e64 v[44:45], v[44:45], -v[54:55]
	v_add_f64_e64 v[42:43], v[44:45], -v[42:43]
	s_delay_alu instid0(VALU_DEP_3) | instskip(SKIP_1) | instid1(VALU_DEP_3)
	v_add_f64_e64 v[44:45], v[52:53], -v[46:47]
	v_max_num_f64_e64 v[46:47], |v[10:11]|, |v[10:11]|
	v_add_f64_e32 v[38:39], v[38:39], v[42:43]
	v_add_f64_e32 v[42:43], v[40:41], v[50:51]
	s_delay_alu instid0(VALU_DEP_2) | instskip(NEXT) | instid1(VALU_DEP_2)
	v_add_f64_e32 v[38:39], v[44:45], v[38:39]
	v_add_f64_e64 v[40:41], v[42:43], -v[40:41]
	v_max_num_f64_e64 v[44:45], |v[12:13]|, |v[12:13]|
	s_delay_alu instid0(VALU_DEP_3) | instskip(NEXT) | instid1(VALU_DEP_3)
	v_add_f64_e32 v[38:39], v[54:55], v[38:39]
	v_add_f64_e64 v[40:41], v[50:51], -v[40:41]
	s_delay_alu instid0(VALU_DEP_2) | instskip(NEXT) | instid1(VALU_DEP_1)
	v_mul_f64_e32 v[38:39], v[48:49], v[38:39]
	v_add_f64_e32 v[38:39], v[40:41], v[38:39]
	v_max_num_f64_e32 v[40:41], v[46:47], v[44:45]
	v_min_num_f64_e32 v[44:45], v[46:47], v[44:45]
	s_delay_alu instid0(VALU_DEP_3) | instskip(NEXT) | instid1(VALU_DEP_2)
	v_add_f64_e32 v[46:47], v[42:43], v[38:39]
	v_div_scale_f64 v[48:49], null, v[40:41], v[40:41], v[44:45]
	s_delay_alu instid0(VALU_DEP_2) | instskip(SKIP_1) | instid1(VALU_DEP_3)
	v_mul_f64_e32 v[50:51], v[46:47], v[46:47]
	v_add_f64_e64 v[42:43], v[46:47], -v[42:43]
	v_rcp_f64_e32 v[52:53], v[48:49]
	s_delay_alu instid0(VALU_DEP_2) | instskip(SKIP_1) | instid1(VALU_DEP_3)
	v_fmamk_f64 v[54:55], v[50:51], 0x3fc3ab76bf559e2b, v[24:25]
	v_mul_f64_e32 v[56:57], v[46:47], v[50:51]
	v_add_f64_e64 v[38:39], v[38:39], -v[42:43]
	s_delay_alu instid0(VALU_DEP_3) | instskip(NEXT) | instid1(TRANS32_DEP_1)
	v_fmaak_f64 v[54:55], v[50:51], v[54:55], 0x3fc7474dd7f4df2e
	v_fma_f64 v[58:59], -v[48:49], v[52:53], 1.0
	s_delay_alu instid0(VALU_DEP_2) | instskip(NEXT) | instid1(VALU_DEP_1)
	v_fmaak_f64 v[54:55], v[50:51], v[54:55], 0x3fcc71c016291751
	v_fmaak_f64 v[54:55], v[50:51], v[54:55], 0x3fd249249b27acf1
	s_delay_alu instid0(VALU_DEP_1) | instskip(SKIP_1) | instid1(VALU_DEP_2)
	v_fmaak_f64 v[54:55], v[50:51], v[54:55], 0x3fd99999998ef7b6
	v_ldexp_f64 v[38:39], v[38:39], 1
	v_fmaak_f64 v[50:51], v[50:51], v[54:55], 0x3fe5555555555780
	v_ldexp_f64 v[54:55], v[46:47], 1
	v_fmac_f64_e32 v[52:53], v[52:53], v[58:59]
	s_delay_alu instid0(VALU_DEP_3) | instskip(SKIP_2) | instid1(VALU_DEP_4)
	v_mul_f64_e32 v[50:51], v[56:57], v[50:51]
	v_cvt_f64_i32_e32 v[56:57], v21
	v_ashrrev_i32_e32 v21, 31, v11
	v_fma_f64 v[58:59], -v[48:49], v[52:53], 1.0
	s_delay_alu instid0(VALU_DEP_4) | instskip(NEXT) | instid1(VALU_DEP_4)
	v_add_f64_e32 v[46:47], v[54:55], v[50:51]
	v_mul_f64_e32 v[60:61], 0x3fe62e42fefa39ef, v[56:57]
	s_delay_alu instid0(VALU_DEP_3) | instskip(NEXT) | instid1(VALU_DEP_3)
	v_fmac_f64_e32 v[52:53], v[52:53], v[58:59]
	v_add_f64_e64 v[42:43], v[46:47], -v[54:55]
	v_div_scale_f64 v[54:55], vcc_lo, v[44:45], v[40:41], v[44:45]
	s_delay_alu instid0(VALU_DEP_4) | instskip(NEXT) | instid1(VALU_DEP_3)
	v_fma_f64 v[58:59], v[56:57], s[30:31], -v[60:61]
	v_add_f64_e64 v[42:43], v[50:51], -v[42:43]
	s_delay_alu instid0(VALU_DEP_3) | instskip(NEXT) | instid1(VALU_DEP_3)
	v_mul_f64_e32 v[50:51], v[54:55], v[52:53]
	v_fmac_f64_e32 v[58:59], 0x3c7abc9e3b39803f, v[56:57]
	s_delay_alu instid0(VALU_DEP_3) | instskip(NEXT) | instid1(VALU_DEP_3)
	v_add_f64_e32 v[38:39], v[38:39], v[42:43]
	v_fma_f64 v[42:43], -v[48:49], v[50:51], v[54:55]
	s_delay_alu instid0(VALU_DEP_3) | instskip(NEXT) | instid1(VALU_DEP_3)
	v_add_f64_e32 v[48:49], v[60:61], v[58:59]
	v_add_f64_e32 v[54:55], v[46:47], v[38:39]
	s_delay_alu instid0(VALU_DEP_3) | instskip(SKIP_1) | instid1(VALU_DEP_4)
	v_div_fmas_f64 v[42:43], v[42:43], v[52:53], v[50:51]
	v_cmp_gt_i32_e32 vcc_lo, 0, v11
	v_add_f64_e64 v[52:53], v[48:49], -v[60:61]
	v_cndmask_b32_e32 v36, 0x3fe921fb, v69, vcc_lo
	s_delay_alu instid0(VALU_DEP_1) | instskip(SKIP_4) | instid1(VALU_DEP_4)
	v_bfi_b32 v36, 0x7fffffff, v36, v13
	v_add_f64_e32 v[50:51], v[48:49], v[54:55]
	v_div_fixup_f64 v[40:41], v[42:43], v[40:41], v[44:45]
	v_add_f64_e64 v[46:47], v[54:55], -v[46:47]
	v_add_f64_e64 v[52:53], v[58:59], -v[52:53]
	;; [unrolled: 1-line block ×3, first 2 shown]
	s_delay_alu instid0(VALU_DEP_4) | instskip(NEXT) | instid1(VALU_DEP_4)
	v_mul_f64_e32 v[44:45], v[40:41], v[40:41]
	v_add_f64_e64 v[38:39], v[38:39], -v[46:47]
	s_delay_alu instid0(VALU_DEP_3) | instskip(NEXT) | instid1(VALU_DEP_3)
	v_add_f64_e64 v[56:57], v[50:51], -v[42:43]
	v_fmamk_f64 v[60:61], v[44:45], 0x3eeba404b5e68a13, v[26:27]
	v_add_f64_e64 v[42:43], v[54:55], -v[42:43]
	s_delay_alu instid0(VALU_DEP_4) | instskip(NEXT) | instid1(VALU_DEP_3)
	v_add_f64_e32 v[54:55], v[52:53], v[38:39]
	v_fmaak_f64 v[60:61], v[44:45], v[60:61], 0x3f4b2bb069efb384
	s_delay_alu instid0(VALU_DEP_1) | instskip(SKIP_1) | instid1(VALU_DEP_2)
	v_fmaak_f64 v[60:61], v[44:45], v[60:61], 0xbf67952daf56de9b
	v_add_f64_e64 v[46:47], v[48:49], -v[56:57]
	v_fmaak_f64 v[48:49], v[44:45], v[60:61], 0x3f7d6d43a595c56f
	s_delay_alu instid0(VALU_DEP_1) | instskip(NEXT) | instid1(VALU_DEP_1)
	v_fmaak_f64 v[48:49], v[44:45], v[48:49], 0xbf8c6ea4a57d9582
	v_fmaak_f64 v[48:49], v[44:45], v[48:49], 0x3f967e295f08b19f
	s_delay_alu instid0(VALU_DEP_1) | instskip(NEXT) | instid1(VALU_DEP_1)
	v_fmaak_f64 v[48:49], v[44:45], v[48:49], 0xbf9e9ae6fc27006a
	v_fmaak_f64 v[48:49], v[44:45], v[48:49], 0x3fa2c15b5711927a
	v_add_f64_e32 v[42:43], v[42:43], v[46:47]
	s_delay_alu instid0(VALU_DEP_2) | instskip(SKIP_1) | instid1(VALU_DEP_2)
	v_fmaak_f64 v[46:47], v[44:45], v[48:49], 0xbfa59976e82d3ff0
	v_add_f64_e64 v[48:49], v[54:55], -v[52:53]
	v_fmaak_f64 v[46:47], v[44:45], v[46:47], 0x3fa82d5d6ef28734
	s_delay_alu instid0(VALU_DEP_1) | instskip(NEXT) | instid1(VALU_DEP_1)
	v_fmaak_f64 v[46:47], v[44:45], v[46:47], 0xbfaae5ce6a214619
	v_fmaak_f64 v[46:47], v[44:45], v[46:47], 0x3fae1bb48427b883
	s_delay_alu instid0(VALU_DEP_1) | instskip(SKIP_3) | instid1(VALU_DEP_4)
	v_fmaak_f64 v[46:47], v[44:45], v[46:47], 0xbfb110e48b207f05
	v_add_f64_e32 v[42:43], v[54:55], v[42:43]
	v_add_f64_e64 v[54:55], v[54:55], -v[48:49]
	v_add_f64_e64 v[38:39], v[38:39], -v[48:49]
	v_fmaak_f64 v[46:47], v[44:45], v[46:47], 0x3fb3b13657b87036
	s_delay_alu instid0(VALU_DEP_1) | instskip(NEXT) | instid1(VALU_DEP_1)
	v_fmaak_f64 v[46:47], v[44:45], v[46:47], 0xbfb745d119378e4f
	v_fmaak_f64 v[46:47], v[44:45], v[46:47], 0x3fbc71c717e1913c
	s_delay_alu instid0(VALU_DEP_1) | instskip(SKIP_1) | instid1(VALU_DEP_2)
	v_fmaak_f64 v[46:47], v[44:45], v[46:47], 0xbfc2492492376b7d
	v_add_f64_e32 v[56:57], v[50:51], v[42:43]
	v_fmaak_f64 v[46:47], v[44:45], v[46:47], 0x3fc99999999952cc
	s_delay_alu instid0(VALU_DEP_1) | instskip(NEXT) | instid1(VALU_DEP_1)
	v_fmaak_f64 v[46:47], v[44:45], v[46:47], 0xbfd5555555555523
	v_mul_f64_e32 v[44:45], v[44:45], v[46:47]
	v_add_f64_e64 v[46:47], v[52:53], -v[54:55]
	v_add_f64_e64 v[48:49], v[56:57], -v[50:51]
	s_delay_alu instid0(VALU_DEP_3) | instskip(NEXT) | instid1(VALU_DEP_3)
	v_fmac_f64_e32 v[40:41], v[40:41], v[44:45]
	v_add_f64_e32 v[38:39], v[38:39], v[46:47]
	s_delay_alu instid0(VALU_DEP_3) | instskip(NEXT) | instid1(VALU_DEP_3)
	v_add_f64_e64 v[42:43], v[42:43], -v[48:49]
	v_add_f64_e64 v[44:45], -v[40:41], s[38:39]
	s_delay_alu instid0(VALU_DEP_1) | instskip(NEXT) | instid1(VALU_DEP_2)
	v_dual_add_f64 v[38:39], v[38:39], v[42:43] :: v_dual_cndmask_b32 v41, v41, v45, s4
	v_cndmask_b32_e64 v40, v40, v44, s4
	v_and_b32_e32 v45, 0x54442d18, v21
	v_and_b32_e32 v21, 0x400921fb, v21
	v_cndmask_b32_e32 v44, 0x54442d18, v68, vcc_lo
	s_delay_alu instid0(VALU_DEP_4) | instskip(SKIP_1) | instid1(VALU_DEP_2)
	v_add_f64_e64 v[42:43], -v[40:41], s[40:41]
	v_add_f64_e32 v[38:39], v[56:57], v[38:39]
	v_dual_cndmask_b32 v40, v40, v42 :: v_dual_cndmask_b32 v37, v41, v43
	s_and_b32 vcc_lo, s9, s10
                                        ; implicit-def: $vgpr42_vgpr43
	s_delay_alu instid0(VALU_DEP_1) | instskip(NEXT) | instid1(VALU_DEP_1)
	v_dual_mul_f64 v[10:11], 0.5, v[38:39] :: v_dual_cndmask_b32 v21, v37, v21, s5
	v_dual_cndmask_b32 v38, v40, v45, s5 :: v_dual_cndmask_b32 v39, v21, v36, vcc_lo
	s_delay_alu instid0(VALU_DEP_1) | instskip(NEXT) | instid1(VALU_DEP_3)
	v_cndmask_b32_e32 v38, v38, v44, vcc_lo
	v_cndmask_b32_e64 v37, 0x7ff00000, v11, s6
	s_delay_alu instid0(VALU_DEP_4)
	v_cndmask_b32_e64 v36, 0, v10, s6
.LBB191_174:                            ;   in Loop: Header=BB191_145 Depth=1
	s_and_not1_saveexec_b32 s6, s8
	s_cbranch_execz .LBB191_176
; %bb.175:                              ;   in Loop: Header=BB191_145 Depth=1
	v_max_num_f64_e64 v[36:37], |v[12:13]|, |v[12:13]|
	v_max_num_f64_e64 v[38:39], |v[10:11]|, |v[10:11]|
	v_cmp_eq_f64_e64 s5, 0, v[12:13]
	v_cmp_class_f64_e64 s9, v[10:11], 0x204
	v_cmp_class_f64_e64 s8, v[12:13], 0x204
	s_delay_alu instid0(VALU_DEP_4) | instskip(SKIP_1) | instid1(VALU_DEP_1)
	v_dual_max_num_f64 v[40:41], v[38:39], v[36:37] :: v_dual_ashrrev_i32 v21, 31, v11
	v_min_num_f64_e32 v[36:37], v[38:39], v[36:37]
	v_div_scale_f64 v[38:39], null, v[40:41], v[40:41], v[36:37]
	v_div_scale_f64 v[48:49], vcc_lo, v[36:37], v[40:41], v[36:37]
	s_delay_alu instid0(VALU_DEP_2) | instskip(SKIP_1) | instid1(TRANS32_DEP_1)
	v_rcp_f64_e32 v[44:45], v[38:39]
	v_nop
	v_fma_f64 v[46:47], -v[38:39], v[44:45], 1.0
	s_delay_alu instid0(VALU_DEP_1) | instskip(NEXT) | instid1(VALU_DEP_1)
	v_fmac_f64_e32 v[44:45], v[44:45], v[46:47]
	v_fma_f64 v[46:47], -v[38:39], v[44:45], 1.0
	s_delay_alu instid0(VALU_DEP_1) | instskip(NEXT) | instid1(VALU_DEP_1)
	v_fmac_f64_e32 v[44:45], v[44:45], v[46:47]
	v_mul_f64_e32 v[46:47], v[48:49], v[44:45]
	s_delay_alu instid0(VALU_DEP_1) | instskip(NEXT) | instid1(VALU_DEP_1)
	v_fma_f64 v[38:39], -v[38:39], v[46:47], v[48:49]
	v_div_fmas_f64 v[38:39], v[38:39], v[44:45], v[46:47]
	v_cmp_gt_i32_e32 vcc_lo, 0, v11
	v_and_b32_e32 v11, 0x400921fb, v21
	v_and_b32_e32 v45, 0x54442d18, v21
	v_cndmask_b32_e32 v44, 0x54442d18, v68, vcc_lo
	v_cndmask_b32_e32 v10, 0x3fe921fb, v69, vcc_lo
	s_delay_alu instid0(VALU_DEP_1) | instskip(SKIP_1) | instid1(VALU_DEP_1)
	v_bfi_b32 v10, 0x7fffffff, v10, v13
	v_div_fixup_f64 v[36:37], v[38:39], v[40:41], v[36:37]
	v_mul_f64_e32 v[38:39], v[36:37], v[36:37]
	s_delay_alu instid0(VALU_DEP_1) | instskip(NEXT) | instid1(VALU_DEP_1)
	v_fmamk_f64 v[40:41], v[38:39], 0x3eeba404b5e68a13, v[26:27]
	v_fmaak_f64 v[40:41], v[38:39], v[40:41], 0x3f4b2bb069efb384
	s_delay_alu instid0(VALU_DEP_1) | instskip(NEXT) | instid1(VALU_DEP_1)
	v_fmaak_f64 v[40:41], v[38:39], v[40:41], 0xbf67952daf56de9b
	v_fmaak_f64 v[40:41], v[38:39], v[40:41], 0x3f7d6d43a595c56f
	s_delay_alu instid0(VALU_DEP_1) | instskip(NEXT) | instid1(VALU_DEP_1)
	v_fmaak_f64 v[40:41], v[38:39], v[40:41], 0xbf8c6ea4a57d9582
	;; [unrolled: 3-line block ×9, first 2 shown]
	v_mul_f64_e32 v[38:39], v[38:39], v[40:41]
	s_delay_alu instid0(VALU_DEP_1) | instskip(NEXT) | instid1(VALU_DEP_1)
	v_fmac_f64_e32 v[36:37], v[36:37], v[38:39]
	v_add_f64_e64 v[38:39], -v[36:37], s[38:39]
	s_delay_alu instid0(VALU_DEP_1) | instskip(SKIP_1) | instid1(VALU_DEP_1)
	v_dual_cndmask_b32 v39, v37, v39, s4 :: v_dual_cndmask_b32 v38, v36, v38, s4
	v_mul_f64_e32 v[36:37], 0.5, v[42:43]
	v_mul_f64_e32 v[36:37], v[42:43], v[36:37]
	s_delay_alu instid0(VALU_DEP_3) | instskip(NEXT) | instid1(VALU_DEP_1)
	v_add_f64_e64 v[40:41], -v[38:39], s[40:41]
	v_cndmask_b32_e32 v38, v38, v40, vcc_lo
	s_delay_alu instid0(VALU_DEP_1) | instskip(NEXT) | instid1(VALU_DEP_3)
	v_cndmask_b32_e64 v38, v38, v45, s5
	v_cndmask_b32_e32 v21, v39, v41, vcc_lo
	s_and_b32 vcc_lo, s8, s9
	s_delay_alu instid0(VALU_DEP_1) | instid1(SALU_CYCLE_1)
	v_dual_cndmask_b32 v38, v38, v44, vcc_lo :: v_dual_cndmask_b32 v11, v21, v11, s5
	s_delay_alu instid0(VALU_DEP_1)
	v_cndmask_b32_e32 v39, v11, v10, vcc_lo
.LBB191_176:                            ;   in Loop: Header=BB191_145 Depth=1
	s_or_b32 exec_lo, exec_lo, s6
.LBB191_177:                            ;   in Loop: Header=BB191_145 Depth=1
	s_delay_alu instid0(SALU_CYCLE_1)
	s_or_b32 exec_lo, exec_lo, s7
.LBB191_178:                            ;   in Loop: Header=BB191_145 Depth=1
	s_and_not1_saveexec_b32 s6, s33
	s_cbranch_execz .LBB191_180
; %bb.179:                              ;   in Loop: Header=BB191_145 Depth=1
	v_div_scale_f64 v[36:37], null, s[46:47], s[46:47], v[10:11]
	v_div_scale_f64 v[38:39], null, s[46:47], s[46:47], v[12:13]
	v_div_scale_f64 v[48:49], vcc_lo, v[10:11], s[46:47], v[10:11]
	s_delay_alu instid0(VALU_DEP_3) | instskip(NEXT) | instid1(VALU_DEP_2)
	v_rcp_f64_e32 v[40:41], v[36:37]
	v_rcp_f64_e32 v[42:43], v[38:39]
	s_delay_alu instid0(TRANS32_DEP_2) | instskip(NEXT) | instid1(TRANS32_DEP_1)
	v_fma_f64 v[44:45], -v[36:37], v[40:41], 1.0
	v_fma_f64 v[46:47], -v[38:39], v[42:43], 1.0
	s_delay_alu instid0(VALU_DEP_2) | instskip(NEXT) | instid1(VALU_DEP_2)
	v_fmac_f64_e32 v[40:41], v[40:41], v[44:45]
	v_fmac_f64_e32 v[42:43], v[42:43], v[46:47]
	s_delay_alu instid0(VALU_DEP_2) | instskip(NEXT) | instid1(VALU_DEP_2)
	v_fma_f64 v[44:45], -v[36:37], v[40:41], 1.0
	v_fma_f64 v[46:47], -v[38:39], v[42:43], 1.0
	s_delay_alu instid0(VALU_DEP_2) | instskip(SKIP_1) | instid1(VALU_DEP_3)
	v_fmac_f64_e32 v[40:41], v[40:41], v[44:45]
	v_div_scale_f64 v[44:45], s5, v[12:13], s[46:47], v[12:13]
	v_fmac_f64_e32 v[42:43], v[42:43], v[46:47]
	s_delay_alu instid0(VALU_DEP_3) | instskip(NEXT) | instid1(VALU_DEP_2)
	v_mul_f64_e32 v[46:47], v[48:49], v[40:41]
	v_mul_f64_e32 v[50:51], v[44:45], v[42:43]
	s_delay_alu instid0(VALU_DEP_2) | instskip(NEXT) | instid1(VALU_DEP_2)
	v_fma_f64 v[36:37], -v[36:37], v[46:47], v[48:49]
	v_fma_f64 v[38:39], -v[38:39], v[50:51], v[44:45]
	s_delay_alu instid0(VALU_DEP_2) | instskip(SKIP_1) | instid1(VALU_DEP_2)
	v_div_fmas_f64 v[36:37], v[36:37], v[40:41], v[46:47]
	s_mov_b32 vcc_lo, s5
	v_div_fmas_f64 v[38:39], v[38:39], v[42:43], v[50:51]
	s_delay_alu instid0(VALU_DEP_2) | instskip(NEXT) | instid1(VALU_DEP_2)
	v_div_fixup_f64 v[36:37], v[36:37], s[46:47], v[10:11]
	v_div_fixup_f64 v[38:39], v[38:39], s[46:47], v[12:13]
	s_delay_alu instid0(VALU_DEP_2) | instskip(NEXT) | instid1(VALU_DEP_2)
	v_cmp_class_f64_e64 s5, v[36:37], 0x204
	v_max_num_f64_e64 v[40:41], |v[36:37]|, |v[38:39]|
	v_cmp_class_f64_e64 s7, v[38:39], 0x204
	s_delay_alu instid0(VALU_DEP_2) | instskip(SKIP_2) | instid1(VALU_DEP_2)
	v_frexp_exp_i32_f64_e32 v21, v[40:41]
	s_or_b32 s5, s7, s5
	v_cmp_class_f64_e64 s7, v[10:11], 0x204
	v_sub_nc_u32_e32 v42, 0, v21
	s_delay_alu instid0(VALU_DEP_1) | instskip(SKIP_1) | instid1(VALU_DEP_2)
	v_ldexp_f64 v[40:41], |v[38:39]|, v42
	v_ldexp_f64 v[42:43], |v[36:37]|, v42
	v_mul_f64_e32 v[40:41], v[40:41], v[40:41]
	s_delay_alu instid0(VALU_DEP_1) | instskip(NEXT) | instid1(VALU_DEP_1)
	v_fmac_f64_e32 v[40:41], v[42:43], v[42:43]
	v_rsq_f64_e32 v[42:43], v[40:41]
	v_cmp_eq_f64_e32 vcc_lo, 0, v[40:41]
	s_delay_alu instid0(TRANS32_DEP_1) | instskip(SKIP_1) | instid1(VALU_DEP_1)
	v_mul_f64_e32 v[44:45], v[40:41], v[42:43]
	v_mul_f64_e32 v[42:43], 0.5, v[42:43]
	v_fma_f64 v[46:47], -v[42:43], v[44:45], 0.5
	s_delay_alu instid0(VALU_DEP_1) | instskip(SKIP_1) | instid1(VALU_DEP_2)
	v_fmac_f64_e32 v[44:45], v[44:45], v[46:47]
	v_fmac_f64_e32 v[42:43], v[42:43], v[46:47]
	v_fma_f64 v[46:47], -v[44:45], v[44:45], v[40:41]
	s_delay_alu instid0(VALU_DEP_1) | instskip(NEXT) | instid1(VALU_DEP_1)
	v_fmac_f64_e32 v[44:45], v[46:47], v[42:43]
	v_dual_cndmask_b32 v41, v45, v41 :: v_dual_cndmask_b32 v40, v44, v40
	v_cmp_o_f64_e32 vcc_lo, v[36:37], v[38:39]
	s_delay_alu instid0(VALU_DEP_2) | instskip(NEXT) | instid1(VALU_DEP_1)
	v_ldexp_f64 v[40:41], v[40:41], v21
	v_cndmask_b32_e32 v21, 0, v40, vcc_lo
	s_delay_alu instid0(VALU_DEP_2) | instskip(NEXT) | instid1(VALU_DEP_2)
	v_cndmask_b32_e32 v36, 0x7ff80000, v41, vcc_lo
	v_cndmask_b32_e64 v40, v21, 0, s5
	s_delay_alu instid0(VALU_DEP_2) | instskip(SKIP_1) | instid1(VALU_DEP_2)
	v_cndmask_b32_e64 v41, v36, 0x7ff00000, s5
	v_cmp_class_f64_e64 s5, v[12:13], 0x204
	v_frexp_mant_f64_e32 v[36:37], v[40:41]
	s_delay_alu instid0(VALU_DEP_1) | instskip(SKIP_1) | instid1(VALU_DEP_1)
	v_cmp_gt_f64_e32 vcc_lo, s[28:29], v[36:37]
	v_cndmask_b32_e64 v21, 0, 1, vcc_lo
	v_ldexp_f64 v[36:37], v[36:37], v21
	v_frexp_exp_i32_f64_e32 v21, v[40:41]
	s_delay_alu instid0(VALU_DEP_2) | instskip(SKIP_1) | instid1(VALU_DEP_3)
	v_add_f64_e32 v[38:39], 1.0, v[36:37]
	v_add_f64_e32 v[46:47], -1.0, v[36:37]
	v_subrev_co_ci_u32_e64 v21, null, 0, v21, vcc_lo
	s_delay_alu instid0(VALU_DEP_3) | instskip(SKIP_1) | instid1(VALU_DEP_1)
	v_rcp_f64_e32 v[42:43], v[38:39]
	v_add_f64_e32 v[48:49], -1.0, v[38:39]
	v_add_f64_e64 v[36:37], v[36:37], -v[48:49]
	s_delay_alu instid0(TRANS32_DEP_1) | instskip(NEXT) | instid1(VALU_DEP_1)
	v_fma_f64 v[44:45], -v[38:39], v[42:43], 1.0
	v_fmac_f64_e32 v[42:43], v[44:45], v[42:43]
	s_delay_alu instid0(VALU_DEP_1) | instskip(NEXT) | instid1(VALU_DEP_1)
	v_fma_f64 v[44:45], -v[38:39], v[42:43], 1.0
	v_fmac_f64_e32 v[42:43], v[44:45], v[42:43]
	s_delay_alu instid0(VALU_DEP_1) | instskip(NEXT) | instid1(VALU_DEP_1)
	v_mul_f64_e32 v[44:45], v[46:47], v[42:43]
	v_mul_f64_e32 v[50:51], v[38:39], v[44:45]
	s_delay_alu instid0(VALU_DEP_1) | instskip(NEXT) | instid1(VALU_DEP_1)
	v_fma_f64 v[38:39], v[44:45], v[38:39], -v[50:51]
	v_fmac_f64_e32 v[38:39], v[44:45], v[36:37]
	s_delay_alu instid0(VALU_DEP_1) | instskip(NEXT) | instid1(VALU_DEP_1)
	v_add_f64_e32 v[36:37], v[50:51], v[38:39]
	v_add_f64_e64 v[48:49], v[46:47], -v[36:37]
	v_add_f64_e64 v[50:51], v[36:37], -v[50:51]
	s_delay_alu instid0(VALU_DEP_2) | instskip(NEXT) | instid1(VALU_DEP_2)
	v_add_f64_e64 v[46:47], v[46:47], -v[48:49]
	v_add_f64_e64 v[38:39], v[50:51], -v[38:39]
	s_delay_alu instid0(VALU_DEP_2) | instskip(SKIP_1) | instid1(VALU_DEP_2)
	v_add_f64_e64 v[36:37], v[46:47], -v[36:37]
	v_max_num_f64_e64 v[46:47], |v[10:11]|, |v[10:11]|
	v_add_f64_e32 v[36:37], v[38:39], v[36:37]
	v_max_num_f64_e64 v[38:39], |v[12:13]|, |v[12:13]|
	s_delay_alu instid0(VALU_DEP_2) | instskip(NEXT) | instid1(VALU_DEP_1)
	v_add_f64_e32 v[36:37], v[48:49], v[36:37]
	v_mul_f64_e32 v[36:37], v[42:43], v[36:37]
	s_delay_alu instid0(VALU_DEP_3) | instskip(SKIP_1) | instid1(VALU_DEP_3)
	v_max_num_f64_e32 v[42:43], v[46:47], v[38:39]
	v_min_num_f64_e32 v[38:39], v[46:47], v[38:39]
	v_add_f64_e32 v[46:47], v[44:45], v[36:37]
	s_delay_alu instid0(VALU_DEP_2) | instskip(NEXT) | instid1(VALU_DEP_2)
	v_div_scale_f64 v[48:49], null, v[42:43], v[42:43], v[38:39]
	v_mul_f64_e32 v[50:51], v[46:47], v[46:47]
	v_add_f64_e64 v[44:45], v[46:47], -v[44:45]
	s_delay_alu instid0(VALU_DEP_3) | instskip(NEXT) | instid1(VALU_DEP_2)
	v_rcp_f64_e32 v[52:53], v[48:49]
	v_fmamk_f64 v[54:55], v[50:51], 0x3fc3ab76bf559e2b, v[24:25]
	v_mul_f64_e32 v[56:57], v[46:47], v[50:51]
	s_delay_alu instid0(VALU_DEP_3) | instskip(NEXT) | instid1(VALU_DEP_3)
	v_add_f64_e64 v[36:37], v[36:37], -v[44:45]
	v_fmaak_f64 v[54:55], v[50:51], v[54:55], 0x3fc7474dd7f4df2e
	s_delay_alu instid0(TRANS32_DEP_1) | instskip(NEXT) | instid1(VALU_DEP_2)
	v_fma_f64 v[58:59], -v[48:49], v[52:53], 1.0
	v_fmaak_f64 v[54:55], v[50:51], v[54:55], 0x3fcc71c016291751
	s_delay_alu instid0(VALU_DEP_1) | instskip(NEXT) | instid1(VALU_DEP_1)
	v_fmaak_f64 v[54:55], v[50:51], v[54:55], 0x3fd249249b27acf1
	v_fmaak_f64 v[54:55], v[50:51], v[54:55], 0x3fd99999998ef7b6
	v_ldexp_f64 v[36:37], v[36:37], 1
	s_delay_alu instid0(VALU_DEP_2) | instskip(SKIP_2) | instid1(VALU_DEP_3)
	v_fmaak_f64 v[50:51], v[50:51], v[54:55], 0x3fe5555555555780
	v_ldexp_f64 v[54:55], v[46:47], 1
	v_fmac_f64_e32 v[52:53], v[52:53], v[58:59]
	v_mul_f64_e32 v[50:51], v[56:57], v[50:51]
	v_cvt_f64_i32_e32 v[56:57], v21
	v_ashrrev_i32_e32 v21, 31, v11
	s_delay_alu instid0(VALU_DEP_4) | instskip(NEXT) | instid1(VALU_DEP_4)
	v_fma_f64 v[58:59], -v[48:49], v[52:53], 1.0
	v_add_f64_e32 v[46:47], v[54:55], v[50:51]
	s_delay_alu instid0(VALU_DEP_4) | instskip(NEXT) | instid1(VALU_DEP_3)
	v_mul_f64_e32 v[60:61], 0x3fe62e42fefa39ef, v[56:57]
	v_fmac_f64_e32 v[52:53], v[52:53], v[58:59]
	s_delay_alu instid0(VALU_DEP_3) | instskip(SKIP_1) | instid1(VALU_DEP_4)
	v_add_f64_e64 v[44:45], v[46:47], -v[54:55]
	v_div_scale_f64 v[54:55], vcc_lo, v[38:39], v[42:43], v[38:39]
	v_fma_f64 v[58:59], v[56:57], s[30:31], -v[60:61]
	s_delay_alu instid0(VALU_DEP_3) | instskip(NEXT) | instid1(VALU_DEP_3)
	v_add_f64_e64 v[44:45], v[50:51], -v[44:45]
	v_mul_f64_e32 v[50:51], v[54:55], v[52:53]
	s_delay_alu instid0(VALU_DEP_3) | instskip(NEXT) | instid1(VALU_DEP_3)
	v_fmac_f64_e32 v[58:59], 0x3c7abc9e3b39803f, v[56:57]
	v_add_f64_e32 v[36:37], v[36:37], v[44:45]
	s_delay_alu instid0(VALU_DEP_3) | instskip(NEXT) | instid1(VALU_DEP_3)
	v_fma_f64 v[44:45], -v[48:49], v[50:51], v[54:55]
	v_add_f64_e32 v[48:49], v[60:61], v[58:59]
	s_delay_alu instid0(VALU_DEP_3) | instskip(NEXT) | instid1(VALU_DEP_3)
	v_add_f64_e32 v[54:55], v[46:47], v[36:37]
	v_div_fmas_f64 v[44:45], v[44:45], v[52:53], v[50:51]
	v_cmp_class_f64_e64 vcc_lo, v[40:41], 0x204
	s_delay_alu instid0(VALU_DEP_4) | instskip(NEXT) | instid1(VALU_DEP_4)
	v_add_f64_e64 v[52:53], v[48:49], -v[60:61]
	v_add_f64_e32 v[50:51], v[48:49], v[54:55]
	s_delay_alu instid0(VALU_DEP_4) | instskip(SKIP_1) | instid1(VALU_DEP_4)
	v_div_fixup_f64 v[38:39], v[44:45], v[42:43], v[38:39]
	v_add_f64_e64 v[46:47], v[54:55], -v[46:47]
	v_add_f64_e64 v[52:53], v[58:59], -v[52:53]
	s_delay_alu instid0(VALU_DEP_4) | instskip(NEXT) | instid1(VALU_DEP_4)
	v_add_f64_e64 v[42:43], v[50:51], -v[48:49]
	v_mul_f64_e32 v[44:45], v[38:39], v[38:39]
	s_delay_alu instid0(VALU_DEP_4) | instskip(NEXT) | instid1(VALU_DEP_3)
	v_add_f64_e64 v[36:37], v[36:37], -v[46:47]
	v_add_f64_e64 v[56:57], v[50:51], -v[42:43]
	s_delay_alu instid0(VALU_DEP_3) | instskip(SKIP_1) | instid1(VALU_DEP_4)
	v_fmamk_f64 v[60:61], v[44:45], 0x3eeba404b5e68a13, v[26:27]
	v_add_f64_e64 v[42:43], v[54:55], -v[42:43]
	v_add_f64_e32 v[54:55], v[52:53], v[36:37]
	s_delay_alu instid0(VALU_DEP_3) | instskip(SKIP_1) | instid1(VALU_DEP_2)
	v_fmaak_f64 v[60:61], v[44:45], v[60:61], 0x3f4b2bb069efb384
	v_add_f64_e64 v[46:47], v[48:49], -v[56:57]
	v_fmaak_f64 v[48:49], v[44:45], v[60:61], 0xbf67952daf56de9b
	s_delay_alu instid0(VALU_DEP_1) | instskip(NEXT) | instid1(VALU_DEP_1)
	v_fmaak_f64 v[48:49], v[44:45], v[48:49], 0x3f7d6d43a595c56f
	v_fmaak_f64 v[48:49], v[44:45], v[48:49], 0xbf8c6ea4a57d9582
	s_delay_alu instid0(VALU_DEP_1) | instskip(SKIP_1) | instid1(VALU_DEP_2)
	v_fmaak_f64 v[48:49], v[44:45], v[48:49], 0x3f967e295f08b19f
	v_add_f64_e32 v[42:43], v[42:43], v[46:47]
	v_fmaak_f64 v[46:47], v[44:45], v[48:49], 0xbf9e9ae6fc27006a
	v_add_f64_e64 v[48:49], v[54:55], -v[52:53]
	s_delay_alu instid0(VALU_DEP_2) | instskip(NEXT) | instid1(VALU_DEP_1)
	v_fmaak_f64 v[46:47], v[44:45], v[46:47], 0x3fa2c15b5711927a
	v_fmaak_f64 v[46:47], v[44:45], v[46:47], 0xbfa59976e82d3ff0
	s_delay_alu instid0(VALU_DEP_1) | instskip(NEXT) | instid1(VALU_DEP_1)
	v_fmaak_f64 v[46:47], v[44:45], v[46:47], 0x3fa82d5d6ef28734
	v_fmaak_f64 v[46:47], v[44:45], v[46:47], 0xbfaae5ce6a214619
	v_add_f64_e32 v[42:43], v[54:55], v[42:43]
	v_add_f64_e64 v[54:55], v[54:55], -v[48:49]
	v_add_f64_e64 v[36:37], v[36:37], -v[48:49]
	s_delay_alu instid0(VALU_DEP_4) | instskip(NEXT) | instid1(VALU_DEP_1)
	v_fmaak_f64 v[46:47], v[44:45], v[46:47], 0x3fae1bb48427b883
	v_fmaak_f64 v[46:47], v[44:45], v[46:47], 0xbfb110e48b207f05
	s_delay_alu instid0(VALU_DEP_1) | instskip(NEXT) | instid1(VALU_DEP_1)
	v_fmaak_f64 v[46:47], v[44:45], v[46:47], 0x3fb3b13657b87036
	v_fmaak_f64 v[46:47], v[44:45], v[46:47], 0xbfb745d119378e4f
	s_delay_alu instid0(VALU_DEP_1) | instskip(SKIP_1) | instid1(VALU_DEP_2)
	v_fmaak_f64 v[46:47], v[44:45], v[46:47], 0x3fbc71c717e1913c
	v_add_f64_e32 v[56:57], v[50:51], v[42:43]
	v_fmaak_f64 v[46:47], v[44:45], v[46:47], 0xbfc2492492376b7d
	s_delay_alu instid0(VALU_DEP_1) | instskip(NEXT) | instid1(VALU_DEP_1)
	v_fmaak_f64 v[46:47], v[44:45], v[46:47], 0x3fc99999999952cc
	v_fmaak_f64 v[46:47], v[44:45], v[46:47], 0xbfd5555555555523
	s_delay_alu instid0(VALU_DEP_1) | instskip(SKIP_2) | instid1(VALU_DEP_3)
	v_mul_f64_e32 v[44:45], v[44:45], v[46:47]
	v_add_f64_e64 v[46:47], v[52:53], -v[54:55]
	v_add_f64_e64 v[48:49], v[56:57], -v[50:51]
	v_fmac_f64_e32 v[38:39], v[38:39], v[44:45]
	s_delay_alu instid0(VALU_DEP_3) | instskip(NEXT) | instid1(VALU_DEP_3)
	v_add_f64_e32 v[36:37], v[36:37], v[46:47]
	v_add_f64_e64 v[42:43], v[42:43], -v[48:49]
	s_delay_alu instid0(VALU_DEP_3) | instskip(NEXT) | instid1(VALU_DEP_1)
	v_add_f64_e64 v[44:45], -v[38:39], s[38:39]
	v_dual_add_f64 v[36:37], v[36:37], v[42:43] :: v_dual_cndmask_b32 v39, v39, v45, s4
	s_delay_alu instid0(VALU_DEP_2)
	v_cndmask_b32_e64 v38, v38, v44, s4
	v_cmp_gt_i32_e64 s4, 0, v11
	v_and_b32_e32 v45, 0x54442d18, v21
	v_and_b32_e32 v11, 0x400921fb, v21
	v_add_f64_e32 v[36:37], v[56:57], v[36:37]
	v_add_f64_e64 v[42:43], -v[38:39], s[40:41]
	v_cndmask_b32_e64 v44, 0x54442d18, v68, s4
	v_cndmask_b32_e64 v10, 0x3fe921fb, v69, s4
	s_delay_alu instid0(VALU_DEP_1) | instskip(SKIP_4) | instid1(VALU_DEP_4)
	v_bfi_b32 v10, 0x7fffffff, v10, v13
	v_dual_cndmask_b32 v37, v37, v41 :: v_dual_cndmask_b32 v36, v36, v40
	v_cmp_eq_f64_e32 vcc_lo, 0, v[12:13]
	v_dual_cndmask_b32 v38, v38, v42, s4 :: v_dual_cndmask_b32 v21, v39, v43, s4
	v_cmp_nge_f64_e64 s4, 0, v[40:41]
	v_add_f64_e32 v[36:37], 1.0, v[36:37]
	s_delay_alu instid0(VALU_DEP_3) | instskip(SKIP_1) | instid1(VALU_DEP_3)
	v_dual_cndmask_b32 v38, v38, v45 :: v_dual_cndmask_b32 v11, v21, v11
	v_cmp_ngt_f64_e32 vcc_lo, 0, v[40:41]
	v_cndmask_b32_e64 v36, 0, v36, s4
	v_cmp_neq_f64_e64 s4, 0, v[40:41]
	v_cndmask_b32_e32 v21, 0x7ff80000, v37, vcc_lo
	s_and_b32 vcc_lo, s5, s7
	v_dual_cndmask_b32 v39, v11, v10 :: v_dual_cndmask_b32 v38, v38, v44
	s_delay_alu instid0(VALU_DEP_2)
	v_cndmask_b32_e64 v37, 0xfff00000, v21, s4
.LBB191_180:                            ;   in Loop: Header=BB191_145 Depth=1
	s_or_b32 exec_lo, exec_lo, s6
.LBB191_181:                            ;   in Loop: Header=BB191_145 Depth=1
	s_and_not1_saveexec_b32 s4, s15
	s_cbranch_execz .LBB191_187
; %bb.182:                              ;   in Loop: Header=BB191_145 Depth=1
	v_cmp_ngt_f64_e64 s5, 0x20000000, |v[10:11]|
	v_cmp_ngt_f64_e64 s6, 0x20000000, |v[12:13]|
                                        ; implicit-def: $vgpr40_vgpr41
	s_or_b32 s5, s6, s5
	s_delay_alu instid0(SALU_CYCLE_1) | instskip(NEXT) | instid1(SALU_CYCLE_1)
	s_and_saveexec_b32 s6, s5
	s_xor_b32 s5, exec_lo, s6
	s_cbranch_execz .LBB191_184
; %bb.183:                              ;   in Loop: Header=BB191_145 Depth=1
	v_mul_f64_e32 v[40:41], v[10:11], v[10:11]
	s_delay_alu instid0(VALU_DEP_1)
	v_fmac_f64_e32 v[40:41], v[12:13], v[12:13]
.LBB191_184:                            ;   in Loop: Header=BB191_145 Depth=1
	s_and_not1_saveexec_b32 s5, s5
	s_cbranch_execz .LBB191_186
; %bb.185:                              ;   in Loop: Header=BB191_145 Depth=1
	v_mul_f64_e32 v[10:11], 4.0, v[10:11]
	v_mul_f64_e32 v[36:37], 4.0, v[12:13]
	s_delay_alu instid0(VALU_DEP_2) | instskip(NEXT) | instid1(VALU_DEP_1)
	v_mul_f64_e32 v[10:11], v[10:11], v[10:11]
	v_fmac_f64_e32 v[10:11], v[36:37], v[36:37]
	s_delay_alu instid0(VALU_DEP_1)
	v_ldexp_f64 v[40:41], v[10:11], -4
.LBB191_186:                            ;   in Loop: Header=BB191_145 Depth=1
	s_or_b32 exec_lo, exec_lo, s5
	s_delay_alu instid0(VALU_DEP_1) | instskip(NEXT) | instid1(VALU_DEP_1)
	v_frexp_mant_f64_e32 v[10:11], v[40:41]
	v_cmp_gt_f64_e32 vcc_lo, s[28:29], v[10:11]
	v_cndmask_b32_e64 v12, 0, 1, vcc_lo
	s_delay_alu instid0(VALU_DEP_1) | instskip(SKIP_1) | instid1(VALU_DEP_1)
	v_ldexp_f64 v[10:11], v[10:11], v12
	v_frexp_exp_i32_f64_e32 v12, v[40:41]
	v_subrev_co_ci_u32_e64 v12, null, 0, v12, vcc_lo
	v_cmp_class_f64_e64 vcc_lo, v[40:41], 0x204
	s_delay_alu instid0(VALU_DEP_4) | instskip(SKIP_1) | instid1(VALU_DEP_2)
	v_add_f64_e32 v[36:37], 1.0, v[10:11]
	v_add_f64_e32 v[44:45], -1.0, v[10:11]
	v_rcp_f64_e32 v[38:39], v[36:37]
	v_add_f64_e32 v[46:47], -1.0, v[36:37]
	s_delay_alu instid0(VALU_DEP_1) | instskip(NEXT) | instid1(TRANS32_DEP_1)
	v_add_f64_e64 v[10:11], v[10:11], -v[46:47]
	v_fma_f64 v[42:43], -v[36:37], v[38:39], 1.0
	s_delay_alu instid0(VALU_DEP_1) | instskip(NEXT) | instid1(VALU_DEP_1)
	v_fmac_f64_e32 v[38:39], v[42:43], v[38:39]
	v_fma_f64 v[42:43], -v[36:37], v[38:39], 1.0
	s_delay_alu instid0(VALU_DEP_1) | instskip(NEXT) | instid1(VALU_DEP_1)
	v_fmac_f64_e32 v[38:39], v[42:43], v[38:39]
	v_mul_f64_e32 v[42:43], v[44:45], v[38:39]
	s_delay_alu instid0(VALU_DEP_1) | instskip(NEXT) | instid1(VALU_DEP_1)
	v_mul_f64_e32 v[48:49], v[36:37], v[42:43]
	v_fma_f64 v[36:37], v[42:43], v[36:37], -v[48:49]
	s_delay_alu instid0(VALU_DEP_1) | instskip(NEXT) | instid1(VALU_DEP_1)
	v_fmac_f64_e32 v[36:37], v[42:43], v[10:11]
	v_add_f64_e32 v[10:11], v[48:49], v[36:37]
	s_delay_alu instid0(VALU_DEP_1) | instskip(SKIP_1) | instid1(VALU_DEP_2)
	v_add_f64_e64 v[46:47], v[44:45], -v[10:11]
	v_add_f64_e64 v[48:49], v[10:11], -v[48:49]
	;; [unrolled: 1-line block ×3, first 2 shown]
	s_delay_alu instid0(VALU_DEP_2) | instskip(NEXT) | instid1(VALU_DEP_2)
	v_add_f64_e64 v[36:37], v[48:49], -v[36:37]
	v_add_f64_e64 v[10:11], v[44:45], -v[10:11]
	s_delay_alu instid0(VALU_DEP_1) | instskip(NEXT) | instid1(VALU_DEP_1)
	v_add_f64_e32 v[10:11], v[36:37], v[10:11]
	v_add_f64_e32 v[10:11], v[46:47], v[10:11]
	s_delay_alu instid0(VALU_DEP_1) | instskip(NEXT) | instid1(VALU_DEP_1)
	v_mul_f64_e32 v[10:11], v[38:39], v[10:11]
	v_add_f64_e32 v[36:37], v[42:43], v[10:11]
	s_delay_alu instid0(VALU_DEP_1) | instskip(NEXT) | instid1(VALU_DEP_1)
	v_mul_f64_e32 v[38:39], v[36:37], v[36:37]
	v_fmamk_f64 v[44:45], v[38:39], 0x3fc3ab76bf559e2b, v[24:25]
	v_mul_f64_e32 v[46:47], v[36:37], v[38:39]
	s_delay_alu instid0(VALU_DEP_2) | instskip(NEXT) | instid1(VALU_DEP_1)
	v_fmaak_f64 v[44:45], v[38:39], v[44:45], 0x3fc7474dd7f4df2e
	v_fmaak_f64 v[44:45], v[38:39], v[44:45], 0x3fcc71c016291751
	s_delay_alu instid0(VALU_DEP_1) | instskip(NEXT) | instid1(VALU_DEP_1)
	v_fmaak_f64 v[44:45], v[38:39], v[44:45], 0x3fd249249b27acf1
	v_fmaak_f64 v[44:45], v[38:39], v[44:45], 0x3fd99999998ef7b6
	s_delay_alu instid0(VALU_DEP_1) | instskip(SKIP_2) | instid1(VALU_DEP_3)
	v_fmaak_f64 v[38:39], v[38:39], v[44:45], 0x3fe5555555555780
	v_ldexp_f64 v[44:45], v[36:37], 1
	v_add_f64_e64 v[36:37], v[36:37], -v[42:43]
	v_mul_f64_e32 v[38:39], v[46:47], v[38:39]
	v_cvt_f64_i32_e32 v[46:47], v12
	s_delay_alu instid0(VALU_DEP_3) | instskip(NEXT) | instid1(VALU_DEP_3)
	v_add_f64_e64 v[10:11], v[10:11], -v[36:37]
	v_add_f64_e32 v[42:43], v[44:45], v[38:39]
	s_delay_alu instid0(VALU_DEP_3) | instskip(NEXT) | instid1(VALU_DEP_3)
	v_mul_f64_e32 v[48:49], 0x3fe62e42fefa39ef, v[46:47]
	v_ldexp_f64 v[10:11], v[10:11], 1
	s_delay_alu instid0(VALU_DEP_3) | instskip(NEXT) | instid1(VALU_DEP_3)
	v_add_f64_e64 v[36:37], v[42:43], -v[44:45]
	v_fma_f64 v[44:45], v[46:47], s[30:31], -v[48:49]
	s_delay_alu instid0(VALU_DEP_2) | instskip(NEXT) | instid1(VALU_DEP_2)
	v_add_f64_e64 v[36:37], v[38:39], -v[36:37]
	v_fmac_f64_e32 v[44:45], 0x3c7abc9e3b39803f, v[46:47]
	s_delay_alu instid0(VALU_DEP_2) | instskip(NEXT) | instid1(VALU_DEP_2)
	v_add_f64_e32 v[10:11], v[10:11], v[36:37]
	v_add_f64_e32 v[36:37], v[48:49], v[44:45]
	s_delay_alu instid0(VALU_DEP_2) | instskip(NEXT) | instid1(VALU_DEP_2)
	v_add_f64_e32 v[38:39], v[42:43], v[10:11]
	v_add_f64_e64 v[48:49], v[36:37], -v[48:49]
	s_delay_alu instid0(VALU_DEP_2) | instskip(SKIP_1) | instid1(VALU_DEP_3)
	v_add_f64_e32 v[46:47], v[36:37], v[38:39]
	v_add_f64_e64 v[42:43], v[38:39], -v[42:43]
	v_add_f64_e64 v[44:45], v[44:45], -v[48:49]
	s_delay_alu instid0(VALU_DEP_3) | instskip(NEXT) | instid1(VALU_DEP_3)
	v_add_f64_e64 v[50:51], v[46:47], -v[36:37]
	v_add_f64_e64 v[10:11], v[10:11], -v[42:43]
	s_delay_alu instid0(VALU_DEP_2) | instskip(SKIP_1) | instid1(VALU_DEP_3)
	v_add_f64_e64 v[52:53], v[46:47], -v[50:51]
	v_add_f64_e64 v[38:39], v[38:39], -v[50:51]
	v_add_f64_e32 v[42:43], v[44:45], v[10:11]
	s_delay_alu instid0(VALU_DEP_3) | instskip(NEXT) | instid1(VALU_DEP_1)
	v_add_f64_e64 v[36:37], v[36:37], -v[52:53]
	v_add_f64_e32 v[36:37], v[38:39], v[36:37]
	s_delay_alu instid0(VALU_DEP_3) | instskip(NEXT) | instid1(VALU_DEP_2)
	v_add_f64_e64 v[38:39], v[42:43], -v[44:45]
	v_add_f64_e32 v[36:37], v[42:43], v[36:37]
	s_delay_alu instid0(VALU_DEP_2) | instskip(SKIP_1) | instid1(VALU_DEP_3)
	v_add_f64_e64 v[42:43], v[42:43], -v[38:39]
	v_add_f64_e64 v[10:11], v[10:11], -v[38:39]
	v_add_f64_e32 v[48:49], v[46:47], v[36:37]
	s_delay_alu instid0(VALU_DEP_3) | instskip(NEXT) | instid1(VALU_DEP_2)
	v_add_f64_e64 v[38:39], v[44:45], -v[42:43]
	v_add_f64_e64 v[42:43], v[48:49], -v[46:47]
	s_delay_alu instid0(VALU_DEP_2) | instskip(SKIP_1) | instid1(VALU_DEP_3)
	v_add_f64_e32 v[10:11], v[10:11], v[38:39]
	v_mov_b64_e32 v[38:39], 0x7ff8000000000000
	v_add_f64_e64 v[36:37], v[36:37], -v[42:43]
	s_delay_alu instid0(VALU_DEP_1) | instskip(NEXT) | instid1(VALU_DEP_1)
	v_add_f64_e32 v[10:11], v[10:11], v[36:37]
	v_add_f64_e32 v[10:11], v[48:49], v[10:11]
	s_delay_alu instid0(VALU_DEP_1) | instskip(SKIP_1) | instid1(VALU_DEP_2)
	v_dual_cndmask_b32 v10, v10, v40 :: v_dual_cndmask_b32 v11, v11, v41
	v_cmp_ngt_f64_e32 vcc_lo, 0, v[40:41]
	v_cndmask_b32_e32 v11, 0x7ff80000, v11, vcc_lo
	v_cmp_nge_f64_e32 vcc_lo, 0, v[40:41]
	s_delay_alu instid0(VALU_DEP_4) | instskip(SKIP_1) | instid1(VALU_DEP_4)
	v_cndmask_b32_e32 v36, 0, v10, vcc_lo
	v_cmp_neq_f64_e32 vcc_lo, 0, v[40:41]
	v_cndmask_b32_e32 v37, 0xfff00000, v11, vcc_lo
.LBB191_187:                            ;   in Loop: Header=BB191_145 Depth=1
	s_or_b32 exec_lo, exec_lo, s4
                                        ; implicit-def: $vgpr10_vgpr11
                                        ; implicit-def: $vgpr40_vgpr41
	s_delay_alu instid0(SALU_CYCLE_1)
	s_mov_b32 s4, exec_lo
	v_cmpx_o_f64_e32 v[2:3], v[4:5]
	s_xor_b32 s15, exec_lo, s4
	s_cbranch_execz .LBB191_215
; %bb.188:                              ;   in Loop: Header=BB191_145 Depth=1
	v_cmp_lt_f64_e64 s4, |v[2:3]|, |v[4:5]|
	v_and_b32_e32 v42, 0x7fffffff, v3
	v_and_b32_e32 v21, 0x7fffffff, v5
                                        ; implicit-def: $vgpr10_vgpr11
                                        ; implicit-def: $vgpr40_vgpr41
	s_mov_b32 s5, exec_lo
	s_delay_alu instid0(VALU_DEP_1) | instskip(SKIP_1) | instid1(VALU_DEP_1)
	v_dual_mov_b32 v12, v4 :: v_dual_cndmask_b32 v45, v21, v42, s4
	v_cndmask_b32_e64 v44, v4, v2, s4
	v_cmpx_nlt_f64_e32 s[22:23], v[44:45]
	s_xor_b32 s33, exec_lo, s5
	s_cbranch_execz .LBB191_212
; %bb.189:                              ;   in Loop: Header=BB191_145 Depth=1
	v_cndmask_b32_e64 v47, v42, v21, s4
	v_cndmask_b32_e64 v46, v2, v12, s4
                                        ; implicit-def: $vgpr10_vgpr11
                                        ; implicit-def: $vgpr40_vgpr41
	s_mov_b32 s5, exec_lo
	s_delay_alu instid0(VALU_DEP_1)
	v_cmpx_neq_f64_e32 1.0, v[46:47]
	s_xor_b32 s52, exec_lo, s5
	s_cbranch_execz .LBB191_205
; %bb.190:                              ;   in Loop: Header=BB191_145 Depth=1
	v_max_num_f64_e32 v[10:11], v[44:45], v[44:45]
	v_max_num_f64_e32 v[40:41], v[46:47], v[46:47]
	s_delay_alu instid0(VALU_DEP_1) | instskip(SKIP_1) | instid1(VALU_DEP_2)
	v_min_num_f64_e32 v[42:43], v[40:41], v[10:11]
	v_max_num_f64_e32 v[10:11], v[40:41], v[10:11]
                                        ; implicit-def: $vgpr40_vgpr41
	v_cmp_ngt_f64_e32 vcc_lo, s[24:25], v[42:43]
	s_delay_alu instid0(VALU_DEP_2) | instskip(SKIP_1) | instid1(SALU_CYCLE_1)
	v_cmp_nlt_f64_e64 s5, s[26:27], v[10:11]
                                        ; implicit-def: $vgpr10_vgpr11
	s_and_b32 s5, s5, vcc_lo
	s_and_saveexec_b32 s6, s5
	s_delay_alu instid0(SALU_CYCLE_1)
	s_xor_b32 s53, exec_lo, s6
	s_cbranch_execz .LBB191_202
; %bb.191:                              ;   in Loop: Header=BB191_145 Depth=1
                                        ; implicit-def: $vgpr10_vgpr11
                                        ; implicit-def: $vgpr40_vgpr41
	s_mov_b32 s5, exec_lo
	v_cmpx_le_f64_e32 1.0, v[46:47]
	s_xor_b32 s8, exec_lo, s5
	s_cbranch_execz .LBB191_193
; %bb.192:                              ;   in Loop: Header=BB191_145 Depth=1
	v_add_f64_e32 v[10:11], -1.0, v[46:47]
	v_add_f64_e32 v[40:41], 1.0, v[46:47]
	v_cmp_eq_f64_e64 s5, 0, v[4:5]
	v_cmp_class_f64_e64 s10, v[2:3], 0x204
	v_cmp_class_f64_e64 s9, v[4:5], 0x204
	s_delay_alu instid0(VALU_DEP_4) | instskip(NEXT) | instid1(VALU_DEP_1)
	v_mul_f64_e32 v[42:43], v[10:11], v[40:41]
	v_fmac_f64_e32 v[42:43], v[44:45], v[44:45]
	s_delay_alu instid0(VALU_DEP_1) | instskip(SKIP_2) | instid1(VALU_DEP_3)
	v_add_f64_e32 v[10:11], 1.0, v[42:43]
	v_cmp_nge_f64_e64 s6, -1.0, v[42:43]
	v_cmp_neq_f64_e64 s7, 0x7ff00000, v[42:43]
	v_frexp_mant_f64_e32 v[40:41], v[10:11]
	v_frexp_exp_i32_f64_e32 v12, v[10:11]
	v_add_f64_e32 v[44:45], -1.0, v[10:11]
	s_delay_alu instid0(VALU_DEP_3) | instskip(NEXT) | instid1(VALU_DEP_2)
	v_cmp_gt_f64_e32 vcc_lo, s[28:29], v[40:41]
	v_add_f64_e64 v[40:41], v[44:45], -v[10:11]
	v_add_f64_e64 v[44:45], v[42:43], -v[44:45]
	v_subrev_co_ci_u32_e64 v12, null, 0, v12, vcc_lo
	s_delay_alu instid0(VALU_DEP_3) | instskip(NEXT) | instid1(VALU_DEP_2)
	v_add_f64_e32 v[40:41], 1.0, v[40:41]
	v_sub_nc_u32_e32 v21, 0, v12
	s_delay_alu instid0(VALU_DEP_1) | instskip(NEXT) | instid1(VALU_DEP_3)
	v_ldexp_f64 v[10:11], v[10:11], v21
	v_add_f64_e32 v[40:41], v[44:45], v[40:41]
	s_delay_alu instid0(VALU_DEP_2) | instskip(SKIP_1) | instid1(VALU_DEP_3)
	v_add_f64_e32 v[46:47], 1.0, v[10:11]
	v_add_f64_e32 v[52:53], -1.0, v[10:11]
	v_ldexp_f64 v[40:41], v[40:41], v21
	s_delay_alu instid0(VALU_DEP_3) | instskip(NEXT) | instid1(VALU_DEP_3)
	v_add_f64_e32 v[44:45], -1.0, v[46:47]
	v_add_f64_e32 v[54:55], 1.0, v[52:53]
	s_delay_alu instid0(VALU_DEP_2) | instskip(NEXT) | instid1(VALU_DEP_2)
	v_add_f64_e64 v[44:45], v[10:11], -v[44:45]
	v_add_f64_e64 v[10:11], v[10:11], -v[54:55]
	s_delay_alu instid0(VALU_DEP_2) | instskip(NEXT) | instid1(VALU_DEP_2)
	v_add_f64_e32 v[44:45], v[40:41], v[44:45]
	v_add_f64_e32 v[10:11], v[40:41], v[10:11]
	s_delay_alu instid0(VALU_DEP_2) | instskip(NEXT) | instid1(VALU_DEP_2)
	v_add_f64_e32 v[48:49], v[46:47], v[44:45]
	v_add_f64_e32 v[54:55], v[52:53], v[10:11]
	s_delay_alu instid0(VALU_DEP_2) | instskip(SKIP_1) | instid1(VALU_DEP_2)
	v_rcp_f64_e32 v[50:51], v[48:49]
	v_add_f64_e64 v[46:47], v[48:49], -v[46:47]
	v_add_f64_e64 v[52:53], v[54:55], -v[52:53]
	s_delay_alu instid0(VALU_DEP_2) | instskip(NEXT) | instid1(VALU_DEP_2)
	v_add_f64_e64 v[44:45], v[44:45], -v[46:47]
	v_add_f64_e64 v[10:11], v[10:11], -v[52:53]
	s_delay_alu instid0(TRANS32_DEP_1) | instskip(NEXT) | instid1(VALU_DEP_1)
	v_fma_f64 v[56:57], -v[48:49], v[50:51], 1.0
	v_fmac_f64_e32 v[50:51], v[56:57], v[50:51]
	s_delay_alu instid0(VALU_DEP_1) | instskip(NEXT) | instid1(VALU_DEP_1)
	v_fma_f64 v[40:41], -v[48:49], v[50:51], 1.0
	v_fmac_f64_e32 v[50:51], v[40:41], v[50:51]
	s_delay_alu instid0(VALU_DEP_1) | instskip(NEXT) | instid1(VALU_DEP_1)
	v_mul_f64_e32 v[40:41], v[54:55], v[50:51]
	v_mul_f64_e32 v[56:57], v[48:49], v[40:41]
	s_delay_alu instid0(VALU_DEP_1) | instskip(NEXT) | instid1(VALU_DEP_1)
	v_fma_f64 v[46:47], v[40:41], v[48:49], -v[56:57]
	v_fmac_f64_e32 v[46:47], v[40:41], v[44:45]
	s_delay_alu instid0(VALU_DEP_1) | instskip(NEXT) | instid1(VALU_DEP_1)
	v_add_f64_e32 v[58:59], v[56:57], v[46:47]
	v_add_f64_e64 v[60:61], v[54:55], -v[58:59]
	v_add_f64_e64 v[52:53], v[58:59], -v[56:57]
	s_delay_alu instid0(VALU_DEP_2) | instskip(NEXT) | instid1(VALU_DEP_2)
	v_add_f64_e64 v[54:55], v[54:55], -v[60:61]
	v_add_f64_e64 v[46:47], v[52:53], -v[46:47]
	s_delay_alu instid0(VALU_DEP_2) | instskip(NEXT) | instid1(VALU_DEP_1)
	v_add_f64_e64 v[54:55], v[54:55], -v[58:59]
	v_add_f64_e32 v[10:11], v[10:11], v[54:55]
	s_delay_alu instid0(VALU_DEP_1) | instskip(NEXT) | instid1(VALU_DEP_1)
	v_add_f64_e32 v[10:11], v[46:47], v[10:11]
	v_add_f64_e32 v[46:47], v[60:61], v[10:11]
	s_delay_alu instid0(VALU_DEP_1) | instskip(SKIP_1) | instid1(VALU_DEP_2)
	v_mul_f64_e32 v[52:53], v[50:51], v[46:47]
	v_add_f64_e64 v[58:59], v[60:61], -v[46:47]
	v_mul_f64_e32 v[54:55], v[48:49], v[52:53]
	s_delay_alu instid0(VALU_DEP_2) | instskip(NEXT) | instid1(VALU_DEP_2)
	v_add_f64_e32 v[10:11], v[10:11], v[58:59]
	v_fma_f64 v[48:49], v[52:53], v[48:49], -v[54:55]
	s_delay_alu instid0(VALU_DEP_1) | instskip(NEXT) | instid1(VALU_DEP_1)
	v_fmac_f64_e32 v[48:49], v[52:53], v[44:45]
	v_add_f64_e32 v[44:45], v[54:55], v[48:49]
	s_delay_alu instid0(VALU_DEP_1) | instskip(SKIP_1) | instid1(VALU_DEP_2)
	v_add_f64_e64 v[56:57], v[46:47], -v[44:45]
	v_add_f64_e64 v[54:55], v[44:45], -v[54:55]
	;; [unrolled: 1-line block ×3, first 2 shown]
	s_delay_alu instid0(VALU_DEP_1) | instskip(NEXT) | instid1(VALU_DEP_3)
	v_add_f64_e64 v[44:45], v[46:47], -v[44:45]
	v_add_f64_e64 v[46:47], v[54:55], -v[48:49]
	v_max_num_f64_e64 v[48:49], |v[2:3]|, |v[2:3]|
	s_delay_alu instid0(VALU_DEP_3) | instskip(SKIP_1) | instid1(VALU_DEP_2)
	v_add_f64_e32 v[10:11], v[10:11], v[44:45]
	v_add_f64_e32 v[44:45], v[40:41], v[52:53]
	;; [unrolled: 1-line block ×3, first 2 shown]
	s_delay_alu instid0(VALU_DEP_2) | instskip(SKIP_1) | instid1(VALU_DEP_3)
	v_add_f64_e64 v[40:41], v[44:45], -v[40:41]
	v_max_num_f64_e64 v[46:47], |v[4:5]|, |v[4:5]|
	v_add_f64_e32 v[10:11], v[56:57], v[10:11]
	s_delay_alu instid0(VALU_DEP_3) | instskip(NEXT) | instid1(VALU_DEP_2)
	v_add_f64_e64 v[40:41], v[52:53], -v[40:41]
	v_mul_f64_e32 v[10:11], v[50:51], v[10:11]
	s_delay_alu instid0(VALU_DEP_1) | instskip(SKIP_2) | instid1(VALU_DEP_3)
	v_add_f64_e32 v[10:11], v[40:41], v[10:11]
	v_max_num_f64_e32 v[40:41], v[48:49], v[46:47]
	v_min_num_f64_e32 v[46:47], v[48:49], v[46:47]
	v_add_f64_e32 v[48:49], v[44:45], v[10:11]
	s_delay_alu instid0(VALU_DEP_2) | instskip(NEXT) | instid1(VALU_DEP_2)
	v_div_scale_f64 v[50:51], null, v[40:41], v[40:41], v[46:47]
	v_mul_f64_e32 v[52:53], v[48:49], v[48:49]
	v_add_f64_e64 v[44:45], v[48:49], -v[44:45]
	s_delay_alu instid0(VALU_DEP_3) | instskip(NEXT) | instid1(VALU_DEP_2)
	v_rcp_f64_e32 v[54:55], v[50:51]
	v_fmamk_f64 v[56:57], v[52:53], 0x3fc3ab76bf559e2b, v[24:25]
	v_mul_f64_e32 v[58:59], v[48:49], v[52:53]
	s_delay_alu instid0(VALU_DEP_3) | instskip(NEXT) | instid1(VALU_DEP_3)
	v_add_f64_e64 v[10:11], v[10:11], -v[44:45]
	v_fmaak_f64 v[56:57], v[52:53], v[56:57], 0x3fc7474dd7f4df2e
	s_delay_alu instid0(TRANS32_DEP_1) | instskip(NEXT) | instid1(VALU_DEP_2)
	v_fma_f64 v[60:61], -v[50:51], v[54:55], 1.0
	v_fmaak_f64 v[56:57], v[52:53], v[56:57], 0x3fcc71c016291751
	s_delay_alu instid0(VALU_DEP_1) | instskip(NEXT) | instid1(VALU_DEP_1)
	v_fmaak_f64 v[56:57], v[52:53], v[56:57], 0x3fd249249b27acf1
	v_fmaak_f64 v[56:57], v[52:53], v[56:57], 0x3fd99999998ef7b6
	v_ldexp_f64 v[10:11], v[10:11], 1
	s_delay_alu instid0(VALU_DEP_2) | instskip(SKIP_2) | instid1(VALU_DEP_3)
	v_fmaak_f64 v[52:53], v[52:53], v[56:57], 0x3fe5555555555780
	v_ldexp_f64 v[56:57], v[48:49], 1
	v_fmac_f64_e32 v[54:55], v[54:55], v[60:61]
	v_mul_f64_e32 v[52:53], v[58:59], v[52:53]
	v_cvt_f64_i32_e32 v[58:59], v12
	v_ashrrev_i32_e32 v12, 31, v3
	s_delay_alu instid0(VALU_DEP_4) | instskip(NEXT) | instid1(VALU_DEP_4)
	v_fma_f64 v[60:61], -v[50:51], v[54:55], 1.0
	v_add_f64_e32 v[48:49], v[56:57], v[52:53]
	s_delay_alu instid0(VALU_DEP_4) | instskip(NEXT) | instid1(VALU_DEP_3)
	v_mul_f64_e32 v[62:63], 0x3fe62e42fefa39ef, v[58:59]
	v_fmac_f64_e32 v[54:55], v[54:55], v[60:61]
	s_delay_alu instid0(VALU_DEP_3) | instskip(SKIP_1) | instid1(VALU_DEP_4)
	v_add_f64_e64 v[44:45], v[48:49], -v[56:57]
	v_div_scale_f64 v[56:57], vcc_lo, v[46:47], v[40:41], v[46:47]
	v_fma_f64 v[60:61], v[58:59], s[30:31], -v[62:63]
	s_delay_alu instid0(VALU_DEP_3) | instskip(NEXT) | instid1(VALU_DEP_3)
	v_add_f64_e64 v[44:45], v[52:53], -v[44:45]
	v_mul_f64_e32 v[52:53], v[56:57], v[54:55]
	s_delay_alu instid0(VALU_DEP_3) | instskip(NEXT) | instid1(VALU_DEP_3)
	v_fmac_f64_e32 v[60:61], 0x3c7abc9e3b39803f, v[58:59]
	v_add_f64_e32 v[10:11], v[10:11], v[44:45]
	s_delay_alu instid0(VALU_DEP_3) | instskip(NEXT) | instid1(VALU_DEP_3)
	v_fma_f64 v[44:45], -v[50:51], v[52:53], v[56:57]
	v_add_f64_e32 v[50:51], v[62:63], v[60:61]
	s_delay_alu instid0(VALU_DEP_3) | instskip(NEXT) | instid1(VALU_DEP_3)
	v_add_f64_e32 v[56:57], v[48:49], v[10:11]
	v_div_fmas_f64 v[44:45], v[44:45], v[54:55], v[52:53]
	v_cmp_gt_i32_e32 vcc_lo, 0, v3
	s_delay_alu instid0(VALU_DEP_4) | instskip(SKIP_3) | instid1(VALU_DEP_1)
	v_add_f64_e64 v[54:55], v[50:51], -v[62:63]
	v_and_b32_e32 v3, 0x400921fb, v12
	v_cndmask_b32_e32 v21, 0x54442d18, v68, vcc_lo
	v_cndmask_b32_e32 v2, 0x3fe921fb, v69, vcc_lo
	v_bfi_b32 v2, 0x7fffffff, v2, v5
	v_add_f64_e32 v[52:53], v[50:51], v[56:57]
	v_div_fixup_f64 v[40:41], v[44:45], v[40:41], v[46:47]
	v_add_f64_e64 v[48:49], v[56:57], -v[48:49]
	v_add_f64_e64 v[54:55], v[60:61], -v[54:55]
	s_delay_alu instid0(VALU_DEP_4) | instskip(NEXT) | instid1(VALU_DEP_4)
	v_add_f64_e64 v[44:45], v[52:53], -v[50:51]
	v_mul_f64_e32 v[46:47], v[40:41], v[40:41]
	s_delay_alu instid0(VALU_DEP_4) | instskip(NEXT) | instid1(VALU_DEP_3)
	v_add_f64_e64 v[10:11], v[10:11], -v[48:49]
	v_add_f64_e64 v[58:59], v[52:53], -v[44:45]
	s_delay_alu instid0(VALU_DEP_3) | instskip(SKIP_1) | instid1(VALU_DEP_4)
	v_fmamk_f64 v[62:63], v[46:47], 0x3eeba404b5e68a13, v[26:27]
	v_add_f64_e64 v[44:45], v[56:57], -v[44:45]
	v_add_f64_e32 v[56:57], v[54:55], v[10:11]
	s_delay_alu instid0(VALU_DEP_3) | instskip(SKIP_1) | instid1(VALU_DEP_2)
	v_fmaak_f64 v[62:63], v[46:47], v[62:63], 0x3f4b2bb069efb384
	v_add_f64_e64 v[48:49], v[50:51], -v[58:59]
	v_fmaak_f64 v[50:51], v[46:47], v[62:63], 0xbf67952daf56de9b
	s_delay_alu instid0(VALU_DEP_1) | instskip(NEXT) | instid1(VALU_DEP_1)
	v_fmaak_f64 v[50:51], v[46:47], v[50:51], 0x3f7d6d43a595c56f
	v_fmaak_f64 v[50:51], v[46:47], v[50:51], 0xbf8c6ea4a57d9582
	s_delay_alu instid0(VALU_DEP_1) | instskip(NEXT) | instid1(VALU_DEP_1)
	v_fmaak_f64 v[50:51], v[46:47], v[50:51], 0x3f967e295f08b19f
	v_fmaak_f64 v[50:51], v[46:47], v[50:51], 0xbf9e9ae6fc27006a
	v_add_f64_e32 v[44:45], v[44:45], v[48:49]
	s_delay_alu instid0(VALU_DEP_2) | instskip(SKIP_1) | instid1(VALU_DEP_2)
	v_fmaak_f64 v[48:49], v[46:47], v[50:51], 0x3fa2c15b5711927a
	v_add_f64_e64 v[50:51], v[56:57], -v[54:55]
	v_fmaak_f64 v[48:49], v[46:47], v[48:49], 0xbfa59976e82d3ff0
	s_delay_alu instid0(VALU_DEP_1) | instskip(NEXT) | instid1(VALU_DEP_1)
	v_fmaak_f64 v[48:49], v[46:47], v[48:49], 0x3fa82d5d6ef28734
	v_fmaak_f64 v[48:49], v[46:47], v[48:49], 0xbfaae5ce6a214619
	s_delay_alu instid0(VALU_DEP_1) | instskip(SKIP_3) | instid1(VALU_DEP_4)
	v_fmaak_f64 v[48:49], v[46:47], v[48:49], 0x3fae1bb48427b883
	v_add_f64_e32 v[44:45], v[56:57], v[44:45]
	v_add_f64_e64 v[56:57], v[56:57], -v[50:51]
	v_add_f64_e64 v[10:11], v[10:11], -v[50:51]
	v_fmaak_f64 v[48:49], v[46:47], v[48:49], 0xbfb110e48b207f05
	s_delay_alu instid0(VALU_DEP_1) | instskip(NEXT) | instid1(VALU_DEP_1)
	v_fmaak_f64 v[48:49], v[46:47], v[48:49], 0x3fb3b13657b87036
	v_fmaak_f64 v[48:49], v[46:47], v[48:49], 0xbfb745d119378e4f
	s_delay_alu instid0(VALU_DEP_1) | instskip(SKIP_1) | instid1(VALU_DEP_2)
	v_fmaak_f64 v[48:49], v[46:47], v[48:49], 0x3fbc71c717e1913c
	v_add_f64_e32 v[58:59], v[52:53], v[44:45]
	v_fmaak_f64 v[48:49], v[46:47], v[48:49], 0xbfc2492492376b7d
	s_delay_alu instid0(VALU_DEP_1) | instskip(NEXT) | instid1(VALU_DEP_1)
	v_fmaak_f64 v[48:49], v[46:47], v[48:49], 0x3fc99999999952cc
	v_fmaak_f64 v[48:49], v[46:47], v[48:49], 0xbfd5555555555523
	s_delay_alu instid0(VALU_DEP_1) | instskip(SKIP_2) | instid1(VALU_DEP_3)
	v_mul_f64_e32 v[46:47], v[46:47], v[48:49]
	v_add_f64_e64 v[48:49], v[54:55], -v[56:57]
	v_add_f64_e64 v[50:51], v[58:59], -v[52:53]
	v_fmac_f64_e32 v[40:41], v[40:41], v[46:47]
	s_delay_alu instid0(VALU_DEP_3) | instskip(NEXT) | instid1(VALU_DEP_3)
	v_add_f64_e32 v[10:11], v[10:11], v[48:49]
	v_add_f64_e64 v[44:45], v[44:45], -v[50:51]
	s_delay_alu instid0(VALU_DEP_3) | instskip(NEXT) | instid1(VALU_DEP_1)
	v_add_f64_e64 v[46:47], -v[40:41], s[38:39]
	v_dual_add_f64 v[10:11], v[10:11], v[44:45] :: v_dual_cndmask_b32 v41, v41, v47, s4
	s_delay_alu instid0(VALU_DEP_2) | instskip(SKIP_1) | instid1(VALU_DEP_2)
	v_cndmask_b32_e64 v40, v40, v46, s4
	v_and_b32_e32 v46, 0x54442d18, v12
	v_add_f64_e64 v[44:45], -v[40:41], s[40:41]
	s_delay_alu instid0(VALU_DEP_1) | instskip(NEXT) | instid1(VALU_DEP_2)
	v_dual_add_f64 v[10:11], v[58:59], v[10:11] :: v_dual_cndmask_b32 v40, v40, v44, vcc_lo
	v_cndmask_b32_e32 v12, v41, v45, vcc_lo
	v_cmp_ngt_f64_e32 vcc_lo, -1.0, v[42:43]
	s_delay_alu instid0(VALU_DEP_3) | instskip(NEXT) | instid1(VALU_DEP_4)
	v_mul_f64_e32 v[10:11], 0.5, v[10:11]
                                        ; implicit-def: $vgpr44_vgpr45
	v_cndmask_b32_e64 v40, v40, v46, s5
	s_delay_alu instid0(VALU_DEP_4)
	v_cndmask_b32_e64 v3, v12, v3, s5
	s_and_b32 s5, s6, s7
                                        ; implicit-def: $vgpr46_vgpr47
	s_delay_alu instid0(VALU_DEP_3) | instid1(SALU_CYCLE_1)
	v_cndmask_b32_e64 v10, 0, v10, s5
	v_cmp_neq_f64_e64 s5, -1.0, v[42:43]
	v_cndmask_b32_e64 v11, 0x7ff00000, v11, s7
	s_delay_alu instid0(VALU_DEP_1) | instskip(SKIP_2) | instid1(VALU_DEP_2)
	v_cndmask_b32_e32 v11, 0x7ff80000, v11, vcc_lo
	s_and_b32 vcc_lo, s9, s10
	v_dual_cndmask_b32 v41, v3, v2 :: v_dual_cndmask_b32 v40, v40, v21
	v_cndmask_b32_e64 v11, 0xfff00000, v11, s5
.LBB191_193:                            ;   in Loop: Header=BB191_145 Depth=1
	s_and_not1_saveexec_b32 s54, s8
	s_cbranch_execz .LBB191_201
; %bb.194:                              ;   in Loop: Header=BB191_145 Depth=1
	v_mul_f64_e32 v[42:43], v[44:45], v[44:45]
                                        ; implicit-def: $vgpr10_vgpr11
                                        ; implicit-def: $vgpr40_vgpr41
	s_mov_b32 s5, exec_lo
	s_delay_alu instid0(VALU_DEP_1) | instskip(NEXT) | instid1(VALU_DEP_1)
	v_fmac_f64_e32 v[42:43], v[46:47], v[46:47]
	v_cmpx_ge_f64_e32 s[42:43], v[42:43]
	s_xor_b32 s7, exec_lo, s5
	s_cbranch_execz .LBB191_196
; %bb.195:                              ;   in Loop: Header=BB191_145 Depth=1
	v_frexp_mant_f64_e32 v[10:11], v[42:43]
	v_cmp_eq_f64_e64 s5, 0, v[4:5]
	v_cmp_neq_f64_e64 s6, 0, v[42:43]
	v_cmp_class_f64_e64 s8, v[4:5], 0x204
	v_cmp_class_f64_e64 s9, v[2:3], 0x204
	v_cmp_gt_f64_e32 vcc_lo, s[28:29], v[10:11]
	v_cndmask_b32_e64 v12, 0, 1, vcc_lo
	s_delay_alu instid0(VALU_DEP_1) | instskip(SKIP_1) | instid1(VALU_DEP_2)
	v_ldexp_f64 v[10:11], v[10:11], v12
	v_frexp_exp_i32_f64_e32 v12, v[42:43]
	v_add_f64_e32 v[40:41], 1.0, v[10:11]
	v_add_f64_e32 v[48:49], -1.0, v[10:11]
	s_delay_alu instid0(VALU_DEP_3) | instskip(NEXT) | instid1(VALU_DEP_3)
	v_subrev_co_ci_u32_e64 v12, null, 0, v12, vcc_lo
	v_rcp_f64_e32 v[44:45], v[40:41]
	v_add_f64_e32 v[50:51], -1.0, v[40:41]
	s_delay_alu instid0(VALU_DEP_1) | instskip(NEXT) | instid1(TRANS32_DEP_1)
	v_add_f64_e64 v[10:11], v[10:11], -v[50:51]
	v_fma_f64 v[46:47], -v[40:41], v[44:45], 1.0
	s_delay_alu instid0(VALU_DEP_1) | instskip(NEXT) | instid1(VALU_DEP_1)
	v_fmac_f64_e32 v[44:45], v[46:47], v[44:45]
	v_fma_f64 v[46:47], -v[40:41], v[44:45], 1.0
	s_delay_alu instid0(VALU_DEP_1) | instskip(NEXT) | instid1(VALU_DEP_1)
	v_fmac_f64_e32 v[44:45], v[46:47], v[44:45]
	v_mul_f64_e32 v[46:47], v[48:49], v[44:45]
	s_delay_alu instid0(VALU_DEP_1) | instskip(NEXT) | instid1(VALU_DEP_1)
	v_mul_f64_e32 v[52:53], v[40:41], v[46:47]
	v_fma_f64 v[40:41], v[46:47], v[40:41], -v[52:53]
	s_delay_alu instid0(VALU_DEP_1) | instskip(NEXT) | instid1(VALU_DEP_1)
	v_fmac_f64_e32 v[40:41], v[46:47], v[10:11]
	v_add_f64_e32 v[10:11], v[52:53], v[40:41]
	s_delay_alu instid0(VALU_DEP_1) | instskip(SKIP_1) | instid1(VALU_DEP_2)
	v_add_f64_e64 v[50:51], v[48:49], -v[10:11]
	v_add_f64_e64 v[52:53], v[10:11], -v[52:53]
	;; [unrolled: 1-line block ×3, first 2 shown]
	s_delay_alu instid0(VALU_DEP_2) | instskip(NEXT) | instid1(VALU_DEP_2)
	v_add_f64_e64 v[40:41], v[52:53], -v[40:41]
	v_add_f64_e64 v[10:11], v[48:49], -v[10:11]
	v_max_num_f64_e64 v[48:49], |v[2:3]|, |v[2:3]|
	s_delay_alu instid0(VALU_DEP_2) | instskip(SKIP_1) | instid1(VALU_DEP_2)
	v_add_f64_e32 v[10:11], v[40:41], v[10:11]
	v_max_num_f64_e64 v[40:41], |v[4:5]|, |v[4:5]|
	v_add_f64_e32 v[10:11], v[50:51], v[10:11]
	s_delay_alu instid0(VALU_DEP_1) | instskip(NEXT) | instid1(VALU_DEP_3)
	v_mul_f64_e32 v[10:11], v[44:45], v[10:11]
	v_max_num_f64_e32 v[44:45], v[48:49], v[40:41]
	v_min_num_f64_e32 v[40:41], v[48:49], v[40:41]
	s_delay_alu instid0(VALU_DEP_3) | instskip(NEXT) | instid1(VALU_DEP_2)
	v_add_f64_e32 v[48:49], v[46:47], v[10:11]
	v_div_scale_f64 v[50:51], null, v[44:45], v[44:45], v[40:41]
	s_delay_alu instid0(VALU_DEP_2) | instskip(NEXT) | instid1(VALU_DEP_2)
	v_mul_f64_e32 v[52:53], v[48:49], v[48:49]
	v_rcp_f64_e32 v[54:55], v[50:51]
	s_delay_alu instid0(VALU_DEP_1) | instskip(SKIP_1) | instid1(VALU_DEP_2)
	v_fmamk_f64 v[56:57], v[52:53], 0x3fc3ab76bf559e2b, v[24:25]
	v_mul_f64_e32 v[58:59], v[48:49], v[52:53]
	v_fmaak_f64 v[56:57], v[52:53], v[56:57], 0x3fc7474dd7f4df2e
	s_delay_alu instid0(TRANS32_DEP_1) | instskip(NEXT) | instid1(VALU_DEP_2)
	v_fma_f64 v[60:61], -v[50:51], v[54:55], 1.0
	v_fmaak_f64 v[56:57], v[52:53], v[56:57], 0x3fcc71c016291751
	s_delay_alu instid0(VALU_DEP_1) | instskip(NEXT) | instid1(VALU_DEP_1)
	v_fmaak_f64 v[56:57], v[52:53], v[56:57], 0x3fd249249b27acf1
	v_fmaak_f64 v[56:57], v[52:53], v[56:57], 0x3fd99999998ef7b6
	s_delay_alu instid0(VALU_DEP_1) | instskip(SKIP_2) | instid1(VALU_DEP_3)
	v_fmaak_f64 v[52:53], v[52:53], v[56:57], 0x3fe5555555555780
	v_ldexp_f64 v[56:57], v[48:49], 1
	v_fmac_f64_e32 v[54:55], v[54:55], v[60:61]
	v_mul_f64_e32 v[52:53], v[58:59], v[52:53]
	v_cvt_f64_i32_e32 v[58:59], v12
	v_ashrrev_i32_e32 v12, 31, v3
	v_add_f64_e64 v[46:47], v[48:49], -v[46:47]
	v_fma_f64 v[60:61], -v[50:51], v[54:55], 1.0
	v_add_f64_e32 v[48:49], v[56:57], v[52:53]
	v_mul_f64_e32 v[62:63], 0x3fe62e42fefa39ef, v[58:59]
	s_delay_alu instid0(VALU_DEP_4) | instskip(NEXT) | instid1(VALU_DEP_4)
	v_add_f64_e64 v[10:11], v[10:11], -v[46:47]
	v_fmac_f64_e32 v[54:55], v[54:55], v[60:61]
	s_delay_alu instid0(VALU_DEP_4) | instskip(SKIP_3) | instid1(VALU_DEP_4)
	v_add_f64_e64 v[46:47], v[48:49], -v[56:57]
	v_div_scale_f64 v[56:57], vcc_lo, v[40:41], v[44:45], v[40:41]
	v_fma_f64 v[60:61], v[58:59], s[30:31], -v[62:63]
	v_ldexp_f64 v[10:11], v[10:11], 1
	v_add_f64_e64 v[46:47], v[52:53], -v[46:47]
	s_delay_alu instid0(VALU_DEP_4) | instskip(NEXT) | instid1(VALU_DEP_4)
	v_mul_f64_e32 v[52:53], v[56:57], v[54:55]
	v_fmac_f64_e32 v[60:61], 0x3c7abc9e3b39803f, v[58:59]
	s_delay_alu instid0(VALU_DEP_3) | instskip(NEXT) | instid1(VALU_DEP_3)
	v_add_f64_e32 v[10:11], v[10:11], v[46:47]
	v_fma_f64 v[46:47], -v[50:51], v[52:53], v[56:57]
	s_delay_alu instid0(VALU_DEP_3) | instskip(NEXT) | instid1(VALU_DEP_3)
	v_add_f64_e32 v[50:51], v[62:63], v[60:61]
	v_add_f64_e32 v[56:57], v[48:49], v[10:11]
	s_delay_alu instid0(VALU_DEP_3) | instskip(SKIP_1) | instid1(VALU_DEP_4)
	v_div_fmas_f64 v[46:47], v[46:47], v[54:55], v[52:53]
	v_cmp_gt_i32_e32 vcc_lo, 0, v3
	v_add_f64_e64 v[54:55], v[50:51], -v[62:63]
	v_cndmask_b32_e32 v21, 0x54442d18, v68, vcc_lo
	v_add_f64_e32 v[52:53], v[50:51], v[56:57]
	v_div_fixup_f64 v[40:41], v[46:47], v[44:45], v[40:41]
	v_add_f64_e64 v[48:49], v[56:57], -v[48:49]
	v_add_f64_e64 v[54:55], v[60:61], -v[54:55]
	s_delay_alu instid0(VALU_DEP_4) | instskip(NEXT) | instid1(VALU_DEP_4)
	v_add_f64_e64 v[44:45], v[52:53], -v[50:51]
	v_mul_f64_e32 v[46:47], v[40:41], v[40:41]
	s_delay_alu instid0(VALU_DEP_4) | instskip(NEXT) | instid1(VALU_DEP_3)
	v_add_f64_e64 v[10:11], v[10:11], -v[48:49]
	v_add_f64_e64 v[58:59], v[52:53], -v[44:45]
	s_delay_alu instid0(VALU_DEP_3) | instskip(SKIP_1) | instid1(VALU_DEP_4)
	v_fmamk_f64 v[62:63], v[46:47], 0x3eeba404b5e68a13, v[26:27]
	v_add_f64_e64 v[44:45], v[56:57], -v[44:45]
	v_add_f64_e32 v[56:57], v[54:55], v[10:11]
	s_delay_alu instid0(VALU_DEP_3) | instskip(NEXT) | instid1(VALU_DEP_1)
	v_fmaak_f64 v[62:63], v[46:47], v[62:63], 0x3f4b2bb069efb384
	v_fmaak_f64 v[62:63], v[46:47], v[62:63], 0xbf67952daf56de9b
	v_add_f64_e64 v[48:49], v[50:51], -v[58:59]
	s_delay_alu instid0(VALU_DEP_2) | instskip(NEXT) | instid1(VALU_DEP_1)
	v_fmaak_f64 v[50:51], v[46:47], v[62:63], 0x3f7d6d43a595c56f
	v_fmaak_f64 v[50:51], v[46:47], v[50:51], 0xbf8c6ea4a57d9582
	s_delay_alu instid0(VALU_DEP_1) | instskip(NEXT) | instid1(VALU_DEP_1)
	v_fmaak_f64 v[50:51], v[46:47], v[50:51], 0x3f967e295f08b19f
	v_fmaak_f64 v[50:51], v[46:47], v[50:51], 0xbf9e9ae6fc27006a
	s_delay_alu instid0(VALU_DEP_1) | instskip(SKIP_1) | instid1(VALU_DEP_2)
	v_fmaak_f64 v[50:51], v[46:47], v[50:51], 0x3fa2c15b5711927a
	v_add_f64_e32 v[44:45], v[44:45], v[48:49]
	v_fmaak_f64 v[48:49], v[46:47], v[50:51], 0xbfa59976e82d3ff0
	v_add_f64_e64 v[50:51], v[56:57], -v[54:55]
	s_delay_alu instid0(VALU_DEP_2) | instskip(NEXT) | instid1(VALU_DEP_1)
	v_fmaak_f64 v[48:49], v[46:47], v[48:49], 0x3fa82d5d6ef28734
	v_fmaak_f64 v[48:49], v[46:47], v[48:49], 0xbfaae5ce6a214619
	s_delay_alu instid0(VALU_DEP_1) | instskip(NEXT) | instid1(VALU_DEP_1)
	v_fmaak_f64 v[48:49], v[46:47], v[48:49], 0x3fae1bb48427b883
	v_fmaak_f64 v[48:49], v[46:47], v[48:49], 0xbfb110e48b207f05
	v_add_f64_e32 v[44:45], v[56:57], v[44:45]
	v_add_f64_e64 v[56:57], v[56:57], -v[50:51]
	v_add_f64_e64 v[10:11], v[10:11], -v[50:51]
	s_delay_alu instid0(VALU_DEP_4) | instskip(NEXT) | instid1(VALU_DEP_1)
	v_fmaak_f64 v[48:49], v[46:47], v[48:49], 0x3fb3b13657b87036
	v_fmaak_f64 v[48:49], v[46:47], v[48:49], 0xbfb745d119378e4f
	s_delay_alu instid0(VALU_DEP_1) | instskip(NEXT) | instid1(VALU_DEP_1)
	v_fmaak_f64 v[48:49], v[46:47], v[48:49], 0x3fbc71c717e1913c
	v_fmaak_f64 v[48:49], v[46:47], v[48:49], 0xbfc2492492376b7d
	v_add_f64_e32 v[58:59], v[52:53], v[44:45]
	s_delay_alu instid0(VALU_DEP_2) | instskip(NEXT) | instid1(VALU_DEP_1)
	v_fmaak_f64 v[48:49], v[46:47], v[48:49], 0x3fc99999999952cc
	v_fmaak_f64 v[48:49], v[46:47], v[48:49], 0xbfd5555555555523
	s_delay_alu instid0(VALU_DEP_1) | instskip(SKIP_2) | instid1(VALU_DEP_3)
	v_mul_f64_e32 v[46:47], v[46:47], v[48:49]
	v_add_f64_e64 v[48:49], v[54:55], -v[56:57]
	v_add_f64_e64 v[50:51], v[58:59], -v[52:53]
	v_fmac_f64_e32 v[40:41], v[40:41], v[46:47]
	s_delay_alu instid0(VALU_DEP_3) | instskip(NEXT) | instid1(VALU_DEP_3)
	v_add_f64_e32 v[10:11], v[10:11], v[48:49]
	v_add_f64_e64 v[44:45], v[44:45], -v[50:51]
	s_delay_alu instid0(VALU_DEP_3) | instskip(NEXT) | instid1(VALU_DEP_1)
	v_add_f64_e64 v[46:47], -v[40:41], s[38:39]
	v_dual_add_f64 v[10:11], v[10:11], v[44:45] :: v_dual_cndmask_b32 v41, v41, v47, s4
	s_delay_alu instid0(VALU_DEP_2) | instskip(SKIP_1) | instid1(VALU_DEP_2)
	v_cndmask_b32_e64 v40, v40, v46, s4
	v_and_b32_e32 v46, 0x54442d18, v12
	v_add_f64_e64 v[44:45], -v[40:41], s[40:41]
	s_delay_alu instid0(VALU_DEP_1) | instskip(NEXT) | instid1(VALU_DEP_1)
	v_dual_add_f64 v[10:11], v[58:59], v[10:11] :: v_dual_cndmask_b32 v40, v40, v44, vcc_lo
	v_cndmask_b32_e64 v40, v40, v46, s5
                                        ; implicit-def: $vgpr46_vgpr47
	s_delay_alu instid0(VALU_DEP_2) | instskip(SKIP_4) | instid1(VALU_DEP_3)
	v_mul_f64_e32 v[2:3], 0.5, v[10:11]
	v_cndmask_b32_e32 v10, 0x3fe921fb, v69, vcc_lo
	v_and_b32_e32 v11, 0x400921fb, v12
	v_cndmask_b32_e32 v12, v41, v45, vcc_lo
	s_and_b32 vcc_lo, s8, s9
                                        ; implicit-def: $vgpr44_vgpr45
	v_bfi_b32 v10, 0x7fffffff, v10, v5
	v_cndmask_b32_e32 v40, v40, v21, vcc_lo
	s_delay_alu instid0(VALU_DEP_3) | instskip(NEXT) | instid1(VALU_DEP_1)
	v_cndmask_b32_e64 v11, v12, v11, s5
	v_cndmask_b32_e32 v41, v11, v10, vcc_lo
	v_cndmask_b32_e64 v11, 0xfff00000, v3, s6
	v_cndmask_b32_e64 v10, 0, v2, s6
.LBB191_196:                            ;   in Loop: Header=BB191_145 Depth=1
	s_and_not1_saveexec_b32 s55, s7
	s_cbranch_execz .LBB191_200
; %bb.197:                              ;   in Loop: Header=BB191_145 Depth=1
	v_and_b32_e32 v21, 0x7ffffff8, v47
	v_and_b32_e32 v41, 0x7ffffff8, v45
	v_mov_b32_e32 v40, v20
	s_mov_b32 s56, 0
	s_delay_alu instid0(VALU_DEP_3) | instskip(SKIP_1) | instid1(VALU_DEP_3)
	v_dual_add_f64 v[10:11], v[46:47], -v[20:21] :: v_dual_mov_b32 v48, v20
	v_mov_b32_e32 v46, v20
	v_add_f64_e64 v[42:43], v[44:45], -v[40:41]
	v_add_f64_e32 v[58:59], v[40:41], v[40:41]
	s_delay_alu instid0(VALU_DEP_4) | instskip(NEXT) | instid1(VALU_DEP_3)
	v_dual_mul_f64 v[44:45], v[40:41], v[40:41] :: v_dual_bitop2_b32 v47, -8, v11 bitop3:0x40
	v_dual_add_f64 v[50:51], v[20:21], v[20:21] :: v_dual_bitop2_b32 v49, -8, v43 bitop3:0x40
	s_delay_alu instid0(VALU_DEP_2) | instskip(SKIP_1) | instid1(VALU_DEP_3)
	v_add_f64_e64 v[60:61], v[10:11], -v[46:47]
	v_add_f64_e32 v[64:65], v[46:47], v[46:47]
	v_add_f64_e64 v[62:63], v[42:43], -v[48:49]
	v_add_f64_e32 v[66:67], v[48:49], v[48:49]
	v_mul_f64_e32 v[10:11], v[20:21], v[20:21]
	v_mul_f64_e32 v[42:43], v[58:59], v[48:49]
	;; [unrolled: 1-line block ×11, first 2 shown]
.LBB191_198:                            ;   Parent Loop BB191_145 Depth=1
                                        ; =>  This Inner Loop Header: Depth=2
	v_cmp_nlt_f64_e32 vcc_lo, v[10:11], v[44:45]
	v_dual_cndmask_b32 v63, v11, v45 :: v_dual_cndmask_b32 v62, v10, v44
	v_dual_cndmask_b32 v11, v45, v11 :: v_dual_cndmask_b32 v10, v44, v10
	s_delay_alu instid0(VALU_DEP_2) | instskip(NEXT) | instid1(VALU_DEP_1)
	v_cmp_nlt_f64_e64 s5, v[62:63], v[56:57]
	v_dual_cndmask_b32 v65, v63, v57, s5 :: v_dual_cndmask_b32 v64, v62, v56, s5
	v_dual_cndmask_b32 v45, v57, v63, s5 :: v_dual_cndmask_b32 v44, v56, v62, s5
	s_and_b32 s5, vcc_lo, s5
	s_delay_alu instid0(VALU_DEP_2) | instskip(NEXT) | instid1(VALU_DEP_1)
	v_cmp_nlt_f64_e64 s6, v[64:65], v[42:43]
	v_dual_cndmask_b32 v67, v65, v43, s6 :: v_dual_cndmask_b32 v66, v64, v42, s6
	v_dual_cndmask_b32 v57, v43, v65, s6 :: v_dual_cndmask_b32 v56, v42, v64, s6
	s_delay_alu instid0(VALU_DEP_2) | instskip(NEXT) | instid1(VALU_DEP_1)
	v_cmp_nlt_f64_e64 s7, v[66:67], v[54:55]
	v_dual_cndmask_b32 v71, v67, v55, s7 :: v_dual_cndmask_b32 v70, v66, v54, s7
	v_dual_cndmask_b32 v43, v55, v67, s7 :: v_dual_cndmask_b32 v42, v54, v66, s7
	s_and_b32 s6, s6, s7
	s_delay_alu instid0(VALU_DEP_2) | instskip(NEXT) | instid1(VALU_DEP_1)
	v_cmp_nlt_f64_e64 s8, v[70:71], v[40:41]
	v_dual_cndmask_b32 v73, v71, v41, s8 :: v_dual_cndmask_b32 v72, v70, v40, s8
	v_dual_cndmask_b32 v55, v41, v71, s8 :: v_dual_cndmask_b32 v54, v40, v70, s8
	s_delay_alu instid0(VALU_DEP_2) | instskip(NEXT) | instid1(VALU_DEP_1)
	v_cmp_nlt_f64_e64 s9, v[72:73], v[52:53]
	v_dual_cndmask_b32 v75, v73, v53, s9 :: v_dual_cndmask_b32 v74, v72, v52, s9
	s_and_b32 s7, s8, s9
	v_dual_cndmask_b32 v41, v53, v73, s9 :: v_dual_cndmask_b32 v40, v52, v72, s9
	s_delay_alu instid0(VALU_DEP_2) | instskip(NEXT) | instid1(VALU_DEP_1)
	v_cmp_nlt_f64_e64 s10, v[74:75], v[50:51]
	v_dual_cndmask_b32 v77, v75, v51, s10 :: v_dual_cndmask_b32 v76, v74, v50, s10
	s_and_b32 s7, s7, s10
	;; [unrolled: 5-line block ×6, first 2 shown]
	v_dual_cndmask_b32 v59, v61, v83, s14 :: v_dual_cndmask_b32 v58, v60, v82, s14
	s_and_b32 s6, s7, s6
	s_delay_alu instid0(VALU_DEP_2) | instskip(SKIP_1) | instid1(SALU_CYCLE_1)
	v_mov_b64_e32 v[60:61], v[62:63]
	s_and_b32 s5, s6, s5
	s_and_b32 s5, exec_lo, s5
	s_delay_alu instid0(SALU_CYCLE_1) | instskip(NEXT) | instid1(SALU_CYCLE_1)
	s_or_b32 s56, s5, s56
	s_and_not1_b32 exec_lo, exec_lo, s56
	s_cbranch_execnz .LBB191_198
; %bb.199:                              ;   in Loop: Header=BB191_145 Depth=1
	s_or_b32 exec_lo, exec_lo, s56
	v_add_f64_e32 v[10:11], -1.0, v[10:11]
	v_cmp_eq_f64_e64 s5, 0, v[4:5]
	v_cmp_class_f64_e64 s9, v[2:3], 0x204
	v_cmp_class_f64_e64 s8, v[4:5], 0x204
	s_delay_alu instid0(VALU_DEP_4) | instskip(NEXT) | instid1(VALU_DEP_1)
	v_add_f64_e32 v[10:11], v[10:11], v[44:45]
	v_add_f64_e32 v[10:11], v[10:11], v[56:57]
	s_delay_alu instid0(VALU_DEP_1) | instskip(NEXT) | instid1(VALU_DEP_1)
	v_add_f64_e32 v[10:11], v[10:11], v[42:43]
	v_add_f64_e32 v[10:11], v[10:11], v[54:55]
	s_delay_alu instid0(VALU_DEP_1) | instskip(NEXT) | instid1(VALU_DEP_1)
	v_add_f64_e32 v[10:11], v[10:11], v[40:41]
	v_add_f64_e32 v[10:11], v[10:11], v[52:53]
	s_delay_alu instid0(VALU_DEP_1) | instskip(NEXT) | instid1(VALU_DEP_1)
	v_add_f64_e32 v[10:11], v[10:11], v[50:51]
	v_add_f64_e32 v[10:11], v[10:11], v[48:49]
	s_delay_alu instid0(VALU_DEP_1) | instskip(NEXT) | instid1(VALU_DEP_1)
	v_add_f64_e32 v[10:11], v[10:11], v[46:47]
	v_add_f64_e32 v[10:11], v[10:11], v[58:59]
	s_delay_alu instid0(VALU_DEP_1) | instskip(NEXT) | instid1(VALU_DEP_1)
	v_add_f64_e32 v[42:43], v[62:63], v[10:11]
	v_add_f64_e32 v[10:11], 1.0, v[42:43]
	v_cmp_nge_f64_e64 s6, -1.0, v[42:43]
	v_cmp_neq_f64_e64 s7, 0x7ff00000, v[42:43]
	s_delay_alu instid0(VALU_DEP_3) | instskip(SKIP_2) | instid1(VALU_DEP_3)
	v_frexp_mant_f64_e32 v[40:41], v[10:11]
	v_frexp_exp_i32_f64_e32 v12, v[10:11]
	v_add_f64_e32 v[44:45], -1.0, v[10:11]
	v_cmp_gt_f64_e32 vcc_lo, s[28:29], v[40:41]
	s_delay_alu instid0(VALU_DEP_2) | instskip(SKIP_2) | instid1(VALU_DEP_3)
	v_add_f64_e64 v[40:41], v[44:45], -v[10:11]
	v_add_f64_e64 v[44:45], v[42:43], -v[44:45]
	v_subrev_co_ci_u32_e64 v12, null, 0, v12, vcc_lo
	v_add_f64_e32 v[40:41], 1.0, v[40:41]
	s_delay_alu instid0(VALU_DEP_2) | instskip(NEXT) | instid1(VALU_DEP_1)
	v_sub_nc_u32_e32 v21, 0, v12
	v_ldexp_f64 v[10:11], v[10:11], v21
	s_delay_alu instid0(VALU_DEP_3) | instskip(NEXT) | instid1(VALU_DEP_2)
	v_add_f64_e32 v[40:41], v[44:45], v[40:41]
	v_add_f64_e32 v[46:47], 1.0, v[10:11]
	v_add_f64_e32 v[52:53], -1.0, v[10:11]
	s_delay_alu instid0(VALU_DEP_3) | instskip(NEXT) | instid1(VALU_DEP_3)
	v_ldexp_f64 v[40:41], v[40:41], v21
	v_add_f64_e32 v[44:45], -1.0, v[46:47]
	s_delay_alu instid0(VALU_DEP_3) | instskip(NEXT) | instid1(VALU_DEP_2)
	v_add_f64_e32 v[54:55], 1.0, v[52:53]
	v_add_f64_e64 v[44:45], v[10:11], -v[44:45]
	s_delay_alu instid0(VALU_DEP_2) | instskip(NEXT) | instid1(VALU_DEP_2)
	v_add_f64_e64 v[10:11], v[10:11], -v[54:55]
	v_add_f64_e32 v[44:45], v[40:41], v[44:45]
	s_delay_alu instid0(VALU_DEP_2) | instskip(NEXT) | instid1(VALU_DEP_2)
	v_add_f64_e32 v[10:11], v[40:41], v[10:11]
	v_add_f64_e32 v[48:49], v[46:47], v[44:45]
	s_delay_alu instid0(VALU_DEP_2) | instskip(NEXT) | instid1(VALU_DEP_2)
	v_add_f64_e32 v[54:55], v[52:53], v[10:11]
	v_rcp_f64_e32 v[50:51], v[48:49]
	v_add_f64_e64 v[46:47], v[48:49], -v[46:47]
	s_delay_alu instid0(VALU_DEP_2) | instskip(NEXT) | instid1(VALU_DEP_2)
	v_add_f64_e64 v[52:53], v[54:55], -v[52:53]
	v_add_f64_e64 v[44:45], v[44:45], -v[46:47]
	s_delay_alu instid0(VALU_DEP_2) | instskip(NEXT) | instid1(TRANS32_DEP_1)
	v_add_f64_e64 v[10:11], v[10:11], -v[52:53]
	v_fma_f64 v[56:57], -v[48:49], v[50:51], 1.0
	s_delay_alu instid0(VALU_DEP_1) | instskip(NEXT) | instid1(VALU_DEP_1)
	v_fmac_f64_e32 v[50:51], v[56:57], v[50:51]
	v_fma_f64 v[40:41], -v[48:49], v[50:51], 1.0
	s_delay_alu instid0(VALU_DEP_1) | instskip(NEXT) | instid1(VALU_DEP_1)
	v_fmac_f64_e32 v[50:51], v[40:41], v[50:51]
	v_mul_f64_e32 v[40:41], v[54:55], v[50:51]
	s_delay_alu instid0(VALU_DEP_1) | instskip(NEXT) | instid1(VALU_DEP_1)
	v_mul_f64_e32 v[56:57], v[48:49], v[40:41]
	v_fma_f64 v[46:47], v[40:41], v[48:49], -v[56:57]
	s_delay_alu instid0(VALU_DEP_1) | instskip(NEXT) | instid1(VALU_DEP_1)
	v_fmac_f64_e32 v[46:47], v[40:41], v[44:45]
	v_add_f64_e32 v[58:59], v[56:57], v[46:47]
	s_delay_alu instid0(VALU_DEP_1) | instskip(SKIP_1) | instid1(VALU_DEP_2)
	v_add_f64_e64 v[60:61], v[54:55], -v[58:59]
	v_add_f64_e64 v[52:53], v[58:59], -v[56:57]
	;; [unrolled: 1-line block ×3, first 2 shown]
	s_delay_alu instid0(VALU_DEP_2) | instskip(NEXT) | instid1(VALU_DEP_2)
	v_add_f64_e64 v[46:47], v[52:53], -v[46:47]
	v_add_f64_e64 v[54:55], v[54:55], -v[58:59]
	s_delay_alu instid0(VALU_DEP_1) | instskip(NEXT) | instid1(VALU_DEP_1)
	v_add_f64_e32 v[10:11], v[10:11], v[54:55]
	v_add_f64_e32 v[10:11], v[46:47], v[10:11]
	s_delay_alu instid0(VALU_DEP_1) | instskip(NEXT) | instid1(VALU_DEP_1)
	v_add_f64_e32 v[46:47], v[60:61], v[10:11]
	v_mul_f64_e32 v[52:53], v[50:51], v[46:47]
	v_add_f64_e64 v[58:59], v[60:61], -v[46:47]
	s_delay_alu instid0(VALU_DEP_2) | instskip(NEXT) | instid1(VALU_DEP_2)
	v_mul_f64_e32 v[54:55], v[48:49], v[52:53]
	v_add_f64_e32 v[10:11], v[10:11], v[58:59]
	s_delay_alu instid0(VALU_DEP_2) | instskip(NEXT) | instid1(VALU_DEP_1)
	v_fma_f64 v[48:49], v[52:53], v[48:49], -v[54:55]
	v_fmac_f64_e32 v[48:49], v[52:53], v[44:45]
	s_delay_alu instid0(VALU_DEP_1) | instskip(NEXT) | instid1(VALU_DEP_1)
	v_add_f64_e32 v[44:45], v[54:55], v[48:49]
	v_add_f64_e64 v[56:57], v[46:47], -v[44:45]
	v_add_f64_e64 v[54:55], v[44:45], -v[54:55]
	s_delay_alu instid0(VALU_DEP_2) | instskip(NEXT) | instid1(VALU_DEP_1)
	v_add_f64_e64 v[46:47], v[46:47], -v[56:57]
	v_add_f64_e64 v[44:45], v[46:47], -v[44:45]
	s_delay_alu instid0(VALU_DEP_3) | instskip(SKIP_1) | instid1(VALU_DEP_3)
	v_add_f64_e64 v[46:47], v[54:55], -v[48:49]
	v_max_num_f64_e64 v[48:49], |v[2:3]|, |v[2:3]|
	v_add_f64_e32 v[10:11], v[10:11], v[44:45]
	v_add_f64_e32 v[44:45], v[40:41], v[52:53]
	s_delay_alu instid0(VALU_DEP_2) | instskip(NEXT) | instid1(VALU_DEP_2)
	v_add_f64_e32 v[10:11], v[46:47], v[10:11]
	v_add_f64_e64 v[40:41], v[44:45], -v[40:41]
	v_max_num_f64_e64 v[46:47], |v[4:5]|, |v[4:5]|
	s_delay_alu instid0(VALU_DEP_3) | instskip(NEXT) | instid1(VALU_DEP_3)
	v_add_f64_e32 v[10:11], v[56:57], v[10:11]
	v_add_f64_e64 v[40:41], v[52:53], -v[40:41]
	s_delay_alu instid0(VALU_DEP_2) | instskip(NEXT) | instid1(VALU_DEP_1)
	v_mul_f64_e32 v[10:11], v[50:51], v[10:11]
	v_add_f64_e32 v[10:11], v[40:41], v[10:11]
	v_max_num_f64_e32 v[40:41], v[48:49], v[46:47]
	v_min_num_f64_e32 v[46:47], v[48:49], v[46:47]
	s_delay_alu instid0(VALU_DEP_3) | instskip(NEXT) | instid1(VALU_DEP_2)
	v_add_f64_e32 v[48:49], v[44:45], v[10:11]
	v_div_scale_f64 v[50:51], null, v[40:41], v[40:41], v[46:47]
	s_delay_alu instid0(VALU_DEP_2) | instskip(SKIP_1) | instid1(VALU_DEP_3)
	v_mul_f64_e32 v[52:53], v[48:49], v[48:49]
	v_add_f64_e64 v[44:45], v[48:49], -v[44:45]
	v_rcp_f64_e32 v[54:55], v[50:51]
	s_delay_alu instid0(VALU_DEP_2) | instskip(SKIP_1) | instid1(VALU_DEP_3)
	v_fmamk_f64 v[56:57], v[52:53], 0x3fc3ab76bf559e2b, v[24:25]
	v_mul_f64_e32 v[58:59], v[48:49], v[52:53]
	v_add_f64_e64 v[10:11], v[10:11], -v[44:45]
	s_delay_alu instid0(VALU_DEP_3) | instskip(NEXT) | instid1(TRANS32_DEP_1)
	v_fmaak_f64 v[56:57], v[52:53], v[56:57], 0x3fc7474dd7f4df2e
	v_fma_f64 v[60:61], -v[50:51], v[54:55], 1.0
	s_delay_alu instid0(VALU_DEP_2) | instskip(NEXT) | instid1(VALU_DEP_1)
	v_fmaak_f64 v[56:57], v[52:53], v[56:57], 0x3fcc71c016291751
	v_fmaak_f64 v[56:57], v[52:53], v[56:57], 0x3fd249249b27acf1
	s_delay_alu instid0(VALU_DEP_1) | instskip(SKIP_1) | instid1(VALU_DEP_2)
	v_fmaak_f64 v[56:57], v[52:53], v[56:57], 0x3fd99999998ef7b6
	v_ldexp_f64 v[10:11], v[10:11], 1
	v_fmaak_f64 v[52:53], v[52:53], v[56:57], 0x3fe5555555555780
	v_ldexp_f64 v[56:57], v[48:49], 1
	v_fmac_f64_e32 v[54:55], v[54:55], v[60:61]
	s_delay_alu instid0(VALU_DEP_3) | instskip(SKIP_2) | instid1(VALU_DEP_4)
	v_mul_f64_e32 v[52:53], v[58:59], v[52:53]
	v_cvt_f64_i32_e32 v[58:59], v12
	v_ashrrev_i32_e32 v12, 31, v3
	v_fma_f64 v[60:61], -v[50:51], v[54:55], 1.0
	s_delay_alu instid0(VALU_DEP_4) | instskip(NEXT) | instid1(VALU_DEP_4)
	v_add_f64_e32 v[48:49], v[56:57], v[52:53]
	v_mul_f64_e32 v[62:63], 0x3fe62e42fefa39ef, v[58:59]
	s_delay_alu instid0(VALU_DEP_3) | instskip(NEXT) | instid1(VALU_DEP_3)
	v_fmac_f64_e32 v[54:55], v[54:55], v[60:61]
	v_add_f64_e64 v[44:45], v[48:49], -v[56:57]
	v_div_scale_f64 v[56:57], vcc_lo, v[46:47], v[40:41], v[46:47]
	s_delay_alu instid0(VALU_DEP_4) | instskip(NEXT) | instid1(VALU_DEP_3)
	v_fma_f64 v[60:61], v[58:59], s[30:31], -v[62:63]
	v_add_f64_e64 v[44:45], v[52:53], -v[44:45]
	s_delay_alu instid0(VALU_DEP_3) | instskip(NEXT) | instid1(VALU_DEP_3)
	v_mul_f64_e32 v[52:53], v[56:57], v[54:55]
	v_fmac_f64_e32 v[60:61], 0x3c7abc9e3b39803f, v[58:59]
	s_delay_alu instid0(VALU_DEP_3) | instskip(NEXT) | instid1(VALU_DEP_3)
	v_add_f64_e32 v[10:11], v[10:11], v[44:45]
	v_fma_f64 v[44:45], -v[50:51], v[52:53], v[56:57]
	s_delay_alu instid0(VALU_DEP_3) | instskip(NEXT) | instid1(VALU_DEP_3)
	v_add_f64_e32 v[50:51], v[62:63], v[60:61]
	v_add_f64_e32 v[56:57], v[48:49], v[10:11]
	s_delay_alu instid0(VALU_DEP_3) | instskip(SKIP_1) | instid1(VALU_DEP_4)
	v_div_fmas_f64 v[44:45], v[44:45], v[54:55], v[52:53]
	v_cmp_gt_i32_e32 vcc_lo, 0, v3
	v_add_f64_e64 v[54:55], v[50:51], -v[62:63]
	v_and_b32_e32 v3, 0x400921fb, v12
	v_cndmask_b32_e32 v21, 0x54442d18, v68, vcc_lo
	v_cndmask_b32_e32 v2, 0x3fe921fb, v69, vcc_lo
	s_delay_alu instid0(VALU_DEP_1) | instskip(SKIP_4) | instid1(VALU_DEP_4)
	v_bfi_b32 v2, 0x7fffffff, v2, v5
	v_add_f64_e32 v[52:53], v[50:51], v[56:57]
	v_div_fixup_f64 v[40:41], v[44:45], v[40:41], v[46:47]
	v_add_f64_e64 v[48:49], v[56:57], -v[48:49]
	v_add_f64_e64 v[54:55], v[60:61], -v[54:55]
	;; [unrolled: 1-line block ×3, first 2 shown]
	s_delay_alu instid0(VALU_DEP_4) | instskip(NEXT) | instid1(VALU_DEP_4)
	v_mul_f64_e32 v[46:47], v[40:41], v[40:41]
	v_add_f64_e64 v[10:11], v[10:11], -v[48:49]
	s_delay_alu instid0(VALU_DEP_3) | instskip(NEXT) | instid1(VALU_DEP_3)
	v_add_f64_e64 v[58:59], v[52:53], -v[44:45]
	v_fmamk_f64 v[62:63], v[46:47], 0x3eeba404b5e68a13, v[26:27]
	v_add_f64_e64 v[44:45], v[56:57], -v[44:45]
	s_delay_alu instid0(VALU_DEP_4) | instskip(NEXT) | instid1(VALU_DEP_3)
	v_add_f64_e32 v[56:57], v[54:55], v[10:11]
	v_fmaak_f64 v[62:63], v[46:47], v[62:63], 0x3f4b2bb069efb384
	v_add_f64_e64 v[48:49], v[50:51], -v[58:59]
	s_delay_alu instid0(VALU_DEP_2) | instskip(NEXT) | instid1(VALU_DEP_1)
	v_fmaak_f64 v[50:51], v[46:47], v[62:63], 0xbf67952daf56de9b
	v_fmaak_f64 v[50:51], v[46:47], v[50:51], 0x3f7d6d43a595c56f
	s_delay_alu instid0(VALU_DEP_1) | instskip(NEXT) | instid1(VALU_DEP_1)
	v_fmaak_f64 v[50:51], v[46:47], v[50:51], 0xbf8c6ea4a57d9582
	v_fmaak_f64 v[50:51], v[46:47], v[50:51], 0x3f967e295f08b19f
	s_delay_alu instid0(VALU_DEP_1) | instskip(SKIP_1) | instid1(VALU_DEP_2)
	v_fmaak_f64 v[50:51], v[46:47], v[50:51], 0xbf9e9ae6fc27006a
	v_add_f64_e32 v[44:45], v[44:45], v[48:49]
	v_fmaak_f64 v[48:49], v[46:47], v[50:51], 0x3fa2c15b5711927a
	v_add_f64_e64 v[50:51], v[56:57], -v[54:55]
	s_delay_alu instid0(VALU_DEP_2) | instskip(NEXT) | instid1(VALU_DEP_1)
	v_fmaak_f64 v[48:49], v[46:47], v[48:49], 0xbfa59976e82d3ff0
	v_fmaak_f64 v[48:49], v[46:47], v[48:49], 0x3fa82d5d6ef28734
	s_delay_alu instid0(VALU_DEP_1) | instskip(NEXT) | instid1(VALU_DEP_1)
	v_fmaak_f64 v[48:49], v[46:47], v[48:49], 0xbfaae5ce6a214619
	v_fmaak_f64 v[48:49], v[46:47], v[48:49], 0x3fae1bb48427b883
	v_add_f64_e32 v[44:45], v[56:57], v[44:45]
	v_add_f64_e64 v[56:57], v[56:57], -v[50:51]
	v_add_f64_e64 v[10:11], v[10:11], -v[50:51]
	s_delay_alu instid0(VALU_DEP_4) | instskip(NEXT) | instid1(VALU_DEP_1)
	v_fmaak_f64 v[48:49], v[46:47], v[48:49], 0xbfb110e48b207f05
	v_fmaak_f64 v[48:49], v[46:47], v[48:49], 0x3fb3b13657b87036
	s_delay_alu instid0(VALU_DEP_1) | instskip(NEXT) | instid1(VALU_DEP_1)
	v_fmaak_f64 v[48:49], v[46:47], v[48:49], 0xbfb745d119378e4f
	v_fmaak_f64 v[48:49], v[46:47], v[48:49], 0x3fbc71c717e1913c
	v_add_f64_e32 v[58:59], v[52:53], v[44:45]
	s_delay_alu instid0(VALU_DEP_2) | instskip(NEXT) | instid1(VALU_DEP_1)
	v_fmaak_f64 v[48:49], v[46:47], v[48:49], 0xbfc2492492376b7d
	v_fmaak_f64 v[48:49], v[46:47], v[48:49], 0x3fc99999999952cc
	s_delay_alu instid0(VALU_DEP_1) | instskip(NEXT) | instid1(VALU_DEP_1)
	v_fmaak_f64 v[48:49], v[46:47], v[48:49], 0xbfd5555555555523
	v_mul_f64_e32 v[46:47], v[46:47], v[48:49]
	v_add_f64_e64 v[48:49], v[54:55], -v[56:57]
	v_add_f64_e64 v[50:51], v[58:59], -v[52:53]
	s_delay_alu instid0(VALU_DEP_3) | instskip(NEXT) | instid1(VALU_DEP_3)
	v_fmac_f64_e32 v[40:41], v[40:41], v[46:47]
	v_add_f64_e32 v[10:11], v[10:11], v[48:49]
	s_delay_alu instid0(VALU_DEP_3) | instskip(NEXT) | instid1(VALU_DEP_3)
	v_add_f64_e64 v[44:45], v[44:45], -v[50:51]
	v_add_f64_e64 v[46:47], -v[40:41], s[38:39]
	s_delay_alu instid0(VALU_DEP_1) | instskip(NEXT) | instid1(VALU_DEP_2)
	v_dual_add_f64 v[10:11], v[10:11], v[44:45] :: v_dual_cndmask_b32 v41, v41, v47, s4
	v_cndmask_b32_e64 v40, v40, v46, s4
	v_and_b32_e32 v46, 0x54442d18, v12
	s_delay_alu instid0(VALU_DEP_2) | instskip(NEXT) | instid1(VALU_DEP_1)
	v_add_f64_e64 v[44:45], -v[40:41], s[40:41]
	v_dual_add_f64 v[10:11], v[58:59], v[10:11] :: v_dual_cndmask_b32 v40, v40, v44, vcc_lo
	s_delay_alu instid0(VALU_DEP_2) | instskip(SKIP_1) | instid1(VALU_DEP_3)
	v_cndmask_b32_e32 v12, v41, v45, vcc_lo
	v_cmp_ngt_f64_e32 vcc_lo, -1.0, v[42:43]
	v_mul_f64_e32 v[10:11], 0.5, v[10:11]
	s_delay_alu instid0(VALU_DEP_4) | instskip(NEXT) | instid1(VALU_DEP_4)
	v_cndmask_b32_e64 v40, v40, v46, s5
	v_cndmask_b32_e64 v3, v12, v3, s5
	s_and_b32 s5, s6, s7
	s_delay_alu instid0(VALU_DEP_3) | instid1(SALU_CYCLE_1)
	v_cndmask_b32_e64 v10, 0, v10, s5
	v_cmp_neq_f64_e64 s5, -1.0, v[42:43]
	v_cndmask_b32_e64 v11, 0x7ff00000, v11, s7
	s_delay_alu instid0(VALU_DEP_1) | instskip(SKIP_2) | instid1(VALU_DEP_2)
	v_cndmask_b32_e32 v11, 0x7ff80000, v11, vcc_lo
	s_and_b32 vcc_lo, s8, s9
	v_dual_cndmask_b32 v41, v3, v2 :: v_dual_cndmask_b32 v40, v40, v21
	v_cndmask_b32_e64 v11, 0xfff00000, v11, s5
.LBB191_200:                            ;   in Loop: Header=BB191_145 Depth=1
	s_or_b32 exec_lo, exec_lo, s55
.LBB191_201:                            ;   in Loop: Header=BB191_145 Depth=1
	s_delay_alu instid0(SALU_CYCLE_1)
	s_or_b32 exec_lo, exec_lo, s54
.LBB191_202:                            ;   in Loop: Header=BB191_145 Depth=1
	s_and_not1_saveexec_b32 s7, s53
	s_cbranch_execz .LBB191_204
; %bb.203:                              ;   in Loop: Header=BB191_145 Depth=1
	v_max_num_f64_e64 v[10:11], |v[4:5]|, |v[4:5]|
	v_max_num_f64_e64 v[40:41], |v[2:3]|, |v[2:3]|
	v_cmp_class_f64_e64 s8, v[2:3], 0x204
	v_cmp_class_f64_e64 s9, v[4:5], 0x204
	v_cmp_eq_f64_e64 s6, 0, v[4:5]
	s_delay_alu instid0(VALU_DEP_4) | instskip(SKIP_2) | instid1(VALU_DEP_2)
	v_max_num_f64_e32 v[42:43], v[40:41], v[10:11]
	v_min_num_f64_e32 v[10:11], v[40:41], v[10:11]
	s_or_b32 s5, s9, s8
	v_frexp_exp_i32_f64_e32 v12, v[42:43]
	s_delay_alu instid0(VALU_DEP_1) | instskip(NEXT) | instid1(VALU_DEP_1)
	v_sub_nc_u32_e32 v21, 0, v12
	v_ldexp_f64 v[44:45], |v[4:5]|, v21
	v_ldexp_f64 v[46:47], |v[2:3]|, v21
	s_delay_alu instid0(VALU_DEP_2) | instskip(NEXT) | instid1(VALU_DEP_1)
	v_mul_f64_e32 v[44:45], v[44:45], v[44:45]
	v_fmac_f64_e32 v[44:45], v[46:47], v[46:47]
	s_delay_alu instid0(VALU_DEP_1) | instskip(SKIP_1) | instid1(TRANS32_DEP_1)
	v_rsq_f64_e32 v[46:47], v[44:45]
	v_cmp_eq_f64_e32 vcc_lo, 0, v[44:45]
	v_mul_f64_e32 v[48:49], v[44:45], v[46:47]
	v_mul_f64_e32 v[46:47], 0.5, v[46:47]
	s_delay_alu instid0(VALU_DEP_1) | instskip(NEXT) | instid1(VALU_DEP_1)
	v_fma_f64 v[50:51], -v[46:47], v[48:49], 0.5
	v_fmac_f64_e32 v[48:49], v[48:49], v[50:51]
	v_fmac_f64_e32 v[46:47], v[46:47], v[50:51]
	s_delay_alu instid0(VALU_DEP_2) | instskip(NEXT) | instid1(VALU_DEP_1)
	v_fma_f64 v[50:51], -v[48:49], v[48:49], v[44:45]
	v_fmac_f64_e32 v[48:49], v[50:51], v[46:47]
	s_delay_alu instid0(VALU_DEP_1) | instskip(NEXT) | instid1(VALU_DEP_1)
	v_dual_cndmask_b32 v45, v49, v45 :: v_dual_cndmask_b32 v44, v48, v44
	v_ldexp_f64 v[44:45], v[44:45], v12
	v_ashrrev_i32_e32 v12, 31, v3
	s_delay_alu instid0(VALU_DEP_2) | instskip(NEXT) | instid1(VALU_DEP_3)
	v_cndmask_b32_e64 v45, v45, 0x7ff00000, s5
	v_cndmask_b32_e64 v44, v44, 0, s5
	s_delay_alu instid0(VALU_DEP_1) | instskip(SKIP_1) | instid1(VALU_DEP_2)
	v_frexp_mant_f64_e32 v[46:47], v[44:45]
	v_cmp_class_f64_e64 s5, v[44:45], 0x204
	v_cmp_gt_f64_e32 vcc_lo, s[28:29], v[46:47]
	v_cndmask_b32_e64 v2, 0, 1, vcc_lo
	s_delay_alu instid0(VALU_DEP_1) | instskip(SKIP_1) | instid1(VALU_DEP_2)
	v_ldexp_f64 v[46:47], v[46:47], v2
	v_frexp_exp_i32_f64_e32 v2, v[44:45]
	v_add_f64_e32 v[48:49], 1.0, v[46:47]
	v_add_f64_e32 v[54:55], -1.0, v[46:47]
	s_delay_alu instid0(VALU_DEP_3) | instskip(SKIP_1) | instid1(VALU_DEP_4)
	v_subrev_co_ci_u32_e64 v2, null, 0, v2, vcc_lo
	v_div_scale_f64 v[62:63], vcc_lo, v[10:11], v[42:43], v[10:11]
	v_rcp_f64_e32 v[50:51], v[48:49]
	v_add_f64_e32 v[56:57], -1.0, v[48:49]
	s_delay_alu instid0(VALU_DEP_1) | instskip(NEXT) | instid1(TRANS32_DEP_1)
	v_add_f64_e64 v[46:47], v[46:47], -v[56:57]
	v_fma_f64 v[52:53], -v[48:49], v[50:51], 1.0
	s_delay_alu instid0(VALU_DEP_1) | instskip(NEXT) | instid1(VALU_DEP_1)
	v_fmac_f64_e32 v[50:51], v[52:53], v[50:51]
	v_fma_f64 v[52:53], -v[48:49], v[50:51], 1.0
	s_delay_alu instid0(VALU_DEP_1) | instskip(NEXT) | instid1(VALU_DEP_1)
	v_fmac_f64_e32 v[50:51], v[52:53], v[50:51]
	v_mul_f64_e32 v[52:53], v[54:55], v[50:51]
	s_delay_alu instid0(VALU_DEP_1) | instskip(NEXT) | instid1(VALU_DEP_1)
	v_mul_f64_e32 v[58:59], v[48:49], v[52:53]
	v_fma_f64 v[48:49], v[52:53], v[48:49], -v[58:59]
	s_delay_alu instid0(VALU_DEP_1) | instskip(NEXT) | instid1(VALU_DEP_1)
	v_fmac_f64_e32 v[48:49], v[52:53], v[46:47]
	v_add_f64_e32 v[46:47], v[58:59], v[48:49]
	s_delay_alu instid0(VALU_DEP_1) | instskip(SKIP_1) | instid1(VALU_DEP_2)
	v_add_f64_e64 v[56:57], v[54:55], -v[46:47]
	v_add_f64_e64 v[58:59], v[46:47], -v[58:59]
	;; [unrolled: 1-line block ×3, first 2 shown]
	s_delay_alu instid0(VALU_DEP_2) | instskip(NEXT) | instid1(VALU_DEP_2)
	v_add_f64_e64 v[48:49], v[58:59], -v[48:49]
	v_add_f64_e64 v[46:47], v[54:55], -v[46:47]
	s_delay_alu instid0(VALU_DEP_1) | instskip(NEXT) | instid1(VALU_DEP_1)
	v_add_f64_e32 v[46:47], v[48:49], v[46:47]
	v_add_f64_e32 v[46:47], v[56:57], v[46:47]
	s_delay_alu instid0(VALU_DEP_1) | instskip(SKIP_1) | instid1(VALU_DEP_2)
	v_mul_f64_e32 v[40:41], v[50:51], v[46:47]
	v_div_scale_f64 v[46:47], null, v[42:43], v[42:43], v[10:11]
	v_add_f64_e32 v[48:49], v[52:53], v[40:41]
	s_delay_alu instid0(VALU_DEP_2) | instskip(NEXT) | instid1(VALU_DEP_1)
	v_rcp_f64_e32 v[50:51], v[46:47]
	v_mul_f64_e32 v[54:55], v[48:49], v[48:49]
	s_delay_alu instid0(TRANS32_DEP_1) | instskip(NEXT) | instid1(VALU_DEP_2)
	v_fma_f64 v[58:59], -v[46:47], v[50:51], 1.0
	v_fmamk_f64 v[56:57], v[54:55], 0x3fc3ab76bf559e2b, v[24:25]
	v_mul_f64_e32 v[60:61], v[48:49], v[54:55]
	s_delay_alu instid0(VALU_DEP_3) | instskip(NEXT) | instid1(VALU_DEP_3)
	v_fmac_f64_e32 v[50:51], v[50:51], v[58:59]
	v_fmaak_f64 v[56:57], v[54:55], v[56:57], 0x3fc7474dd7f4df2e
	s_delay_alu instid0(VALU_DEP_1) | instskip(NEXT) | instid1(VALU_DEP_1)
	v_fmaak_f64 v[56:57], v[54:55], v[56:57], 0x3fcc71c016291751
	v_fmaak_f64 v[56:57], v[54:55], v[56:57], 0x3fd249249b27acf1
	s_delay_alu instid0(VALU_DEP_1) | instskip(NEXT) | instid1(VALU_DEP_1)
	v_fmaak_f64 v[56:57], v[54:55], v[56:57], 0x3fd99999998ef7b6
	v_fmaak_f64 v[54:55], v[54:55], v[56:57], 0x3fe5555555555780
	v_ldexp_f64 v[56:57], v[48:49], 1
	v_add_f64_e64 v[48:49], v[48:49], -v[52:53]
	v_fma_f64 v[58:59], -v[46:47], v[50:51], 1.0
	s_delay_alu instid0(VALU_DEP_4) | instskip(SKIP_1) | instid1(VALU_DEP_4)
	v_mul_f64_e32 v[54:55], v[60:61], v[54:55]
	v_cvt_f64_i32_e32 v[60:61], v2
	v_add_f64_e64 v[40:41], v[40:41], -v[48:49]
	s_delay_alu instid0(VALU_DEP_4) | instskip(NEXT) | instid1(VALU_DEP_4)
	v_fmac_f64_e32 v[50:51], v[50:51], v[58:59]
	v_add_f64_e32 v[52:53], v[56:57], v[54:55]
	s_delay_alu instid0(VALU_DEP_4) | instskip(NEXT) | instid1(VALU_DEP_4)
	v_mul_f64_e32 v[58:59], 0x3fe62e42fefa39ef, v[60:61]
	v_ldexp_f64 v[40:41], v[40:41], 1
	s_delay_alu instid0(VALU_DEP_3) | instskip(SKIP_1) | instid1(VALU_DEP_4)
	v_add_f64_e64 v[48:49], v[52:53], -v[56:57]
	v_mul_f64_e32 v[56:57], v[62:63], v[50:51]
	v_fma_f64 v[64:65], v[60:61], s[30:31], -v[58:59]
	s_delay_alu instid0(VALU_DEP_3) | instskip(NEXT) | instid1(VALU_DEP_3)
	v_add_f64_e64 v[48:49], v[54:55], -v[48:49]
	v_fma_f64 v[46:47], -v[46:47], v[56:57], v[62:63]
	s_delay_alu instid0(VALU_DEP_3) | instskip(NEXT) | instid1(VALU_DEP_3)
	v_fmac_f64_e32 v[64:65], 0x3c7abc9e3b39803f, v[60:61]
	v_add_f64_e32 v[40:41], v[40:41], v[48:49]
	s_delay_alu instid0(VALU_DEP_3) | instskip(NEXT) | instid1(VALU_DEP_3)
	v_div_fmas_f64 v[46:47], v[46:47], v[50:51], v[56:57]
	v_add_f64_e32 v[48:49], v[58:59], v[64:65]
	v_cmp_gt_i32_e32 vcc_lo, 0, v3
	v_cndmask_b32_e32 v21, 0x54442d18, v68, vcc_lo
	v_add_f64_e32 v[50:51], v[52:53], v[40:41]
	v_div_fixup_f64 v[10:11], v[46:47], v[42:43], v[10:11]
	v_add_f64_e64 v[58:59], v[48:49], -v[58:59]
	s_delay_alu instid0(VALU_DEP_3) | instskip(NEXT) | instid1(VALU_DEP_3)
	v_add_f64_e32 v[42:43], v[48:49], v[50:51]
	v_mul_f64_e32 v[46:47], v[10:11], v[10:11]
	v_add_f64_e64 v[52:53], v[50:51], -v[52:53]
	s_delay_alu instid0(VALU_DEP_4) | instskip(NEXT) | instid1(VALU_DEP_4)
	v_add_f64_e64 v[58:59], v[64:65], -v[58:59]
	v_add_f64_e64 v[54:55], v[42:43], -v[48:49]
	s_delay_alu instid0(VALU_DEP_4) | instskip(NEXT) | instid1(VALU_DEP_4)
	v_fmamk_f64 v[56:57], v[46:47], 0x3eeba404b5e68a13, v[26:27]
	v_add_f64_e64 v[40:41], v[40:41], -v[52:53]
	s_delay_alu instid0(VALU_DEP_2) | instskip(NEXT) | instid1(VALU_DEP_1)
	v_fmaak_f64 v[56:57], v[46:47], v[56:57], 0x3f4b2bb069efb384
	v_fmaak_f64 v[56:57], v[46:47], v[56:57], 0xbf67952daf56de9b
	s_delay_alu instid0(VALU_DEP_1) | instskip(NEXT) | instid1(VALU_DEP_1)
	v_fmaak_f64 v[56:57], v[46:47], v[56:57], 0x3f7d6d43a595c56f
	v_fmaak_f64 v[56:57], v[46:47], v[56:57], 0xbf8c6ea4a57d9582
	v_add_f64_e64 v[60:61], v[42:43], -v[54:55]
	v_add_f64_e64 v[50:51], v[50:51], -v[54:55]
	v_add_f64_e32 v[54:55], v[58:59], v[40:41]
	s_delay_alu instid0(VALU_DEP_4) | instskip(NEXT) | instid1(VALU_DEP_1)
	v_fmaak_f64 v[56:57], v[46:47], v[56:57], 0x3f967e295f08b19f
	v_fmaak_f64 v[52:53], v[46:47], v[56:57], 0xbf9e9ae6fc27006a
	s_delay_alu instid0(VALU_DEP_1) | instskip(NEXT) | instid1(VALU_DEP_1)
	v_fmaak_f64 v[52:53], v[46:47], v[52:53], 0x3fa2c15b5711927a
	v_fmaak_f64 v[52:53], v[46:47], v[52:53], 0xbfa59976e82d3ff0
	s_delay_alu instid0(VALU_DEP_1) | instskip(SKIP_1) | instid1(VALU_DEP_2)
	v_fmaak_f64 v[52:53], v[46:47], v[52:53], 0x3fa82d5d6ef28734
	v_add_f64_e64 v[48:49], v[48:49], -v[60:61]
	v_fmaak_f64 v[52:53], v[46:47], v[52:53], 0xbfaae5ce6a214619
	s_delay_alu instid0(VALU_DEP_2) | instskip(NEXT) | instid1(VALU_DEP_2)
	v_add_f64_e32 v[48:49], v[50:51], v[48:49]
	v_fmaak_f64 v[50:51], v[46:47], v[52:53], 0x3fae1bb48427b883
	v_add_f64_e64 v[52:53], v[54:55], -v[58:59]
	s_delay_alu instid0(VALU_DEP_2) | instskip(NEXT) | instid1(VALU_DEP_1)
	v_fmaak_f64 v[50:51], v[46:47], v[50:51], 0xbfb110e48b207f05
	v_fmaak_f64 v[50:51], v[46:47], v[50:51], 0x3fb3b13657b87036
	s_delay_alu instid0(VALU_DEP_1) | instskip(NEXT) | instid1(VALU_DEP_1)
	v_fmaak_f64 v[50:51], v[46:47], v[50:51], 0xbfb745d119378e4f
	v_fmaak_f64 v[50:51], v[46:47], v[50:51], 0x3fbc71c717e1913c
	v_add_f64_e32 v[48:49], v[54:55], v[48:49]
	v_add_f64_e64 v[40:41], v[40:41], -v[52:53]
	s_delay_alu instid0(VALU_DEP_3) | instskip(NEXT) | instid1(VALU_DEP_1)
	v_fmaak_f64 v[50:51], v[46:47], v[50:51], 0xbfc2492492376b7d
	v_fmaak_f64 v[50:51], v[46:47], v[50:51], 0x3fc99999999952cc
	s_delay_alu instid0(VALU_DEP_1) | instskip(NEXT) | instid1(VALU_DEP_1)
	v_fmaak_f64 v[50:51], v[46:47], v[50:51], 0xbfd5555555555523
	v_mul_f64_e32 v[46:47], v[46:47], v[50:51]
	v_add_f64_e64 v[50:51], v[54:55], -v[52:53]
	v_add_f64_e32 v[54:55], v[42:43], v[48:49]
	s_delay_alu instid0(VALU_DEP_3) | instskip(NEXT) | instid1(VALU_DEP_3)
	v_fmac_f64_e32 v[10:11], v[10:11], v[46:47]
	v_add_f64_e64 v[46:47], v[58:59], -v[50:51]
	s_delay_alu instid0(VALU_DEP_3) | instskip(NEXT) | instid1(VALU_DEP_3)
	v_add_f64_e64 v[42:43], v[54:55], -v[42:43]
	v_add_f64_e64 v[50:51], -v[10:11], s[38:39]
	s_delay_alu instid0(VALU_DEP_3) | instskip(SKIP_4) | instid1(VALU_DEP_2)
	v_add_f64_e32 v[40:41], v[40:41], v[46:47]
	v_and_b32_e32 v46, 0x54442d18, v12
	v_and_b32_e32 v12, 0x400921fb, v12
	v_add_f64_e64 v[42:43], v[48:49], -v[42:43]
	v_dual_cndmask_b32 v11, v11, v51, s4 :: v_dual_cndmask_b32 v10, v10, v50, s4
	v_add_f64_e32 v[40:41], v[40:41], v[42:43]
	s_delay_alu instid0(VALU_DEP_2) | instskip(NEXT) | instid1(VALU_DEP_2)
	v_add_f64_e64 v[42:43], -v[10:11], s[40:41]
	v_add_f64_e32 v[2:3], v[54:55], v[40:41]
	s_delay_alu instid0(VALU_DEP_2) | instskip(SKIP_1) | instid1(VALU_DEP_4)
	v_cndmask_b32_e32 v10, v10, v42, vcc_lo
	v_cndmask_b32_e32 v40, 0x3fe921fb, v69, vcc_lo
	;; [unrolled: 1-line block ×3, first 2 shown]
	v_cmp_ngt_f64_e32 vcc_lo, 0, v[44:45]
	s_delay_alu instid0(VALU_DEP_4) | instskip(NEXT) | instid1(VALU_DEP_4)
	v_cndmask_b32_e64 v42, v10, v46, s6
	v_bfi_b32 v40, 0x7fffffff, v40, v5
	s_delay_alu instid0(VALU_DEP_4) | instskip(SKIP_2) | instid1(VALU_DEP_2)
	v_cndmask_b32_e64 v10, v11, v12, s6
	v_dual_cndmask_b32 v2, v2, v44, s5 :: v_dual_cndmask_b32 v3, v3, v45, s5
	v_cmp_nge_f64_e64 s5, 0, v[44:45]
	v_cndmask_b32_e32 v3, 0x7ff80000, v3, vcc_lo
	s_and_b32 vcc_lo, s9, s8
	v_cndmask_b32_e32 v41, v10, v40, vcc_lo
	v_dual_cndmask_b32 v40, v42, v21, vcc_lo :: v_dual_cndmask_b32 v10, 0, v2, s5
	v_cmp_neq_f64_e64 s5, 0, v[44:45]
	s_delay_alu instid0(VALU_DEP_1)
	v_cndmask_b32_e64 v11, 0xfff00000, v3, s5
.LBB191_204:                            ;   in Loop: Header=BB191_145 Depth=1
	s_or_b32 exec_lo, exec_lo, s7
                                        ; implicit-def: $vgpr44_vgpr45
.LBB191_205:                            ;   in Loop: Header=BB191_145 Depth=1
	s_and_not1_saveexec_b32 s7, s52
	s_cbranch_execz .LBB191_211
; %bb.206:                              ;   in Loop: Header=BB191_145 Depth=1
                                        ; implicit-def: $vgpr10_vgpr11
                                        ; implicit-def: $vgpr40_vgpr41
	s_mov_b32 s5, exec_lo
	v_cmpx_ngt_f64_e32 s[44:45], v[44:45]
	s_xor_b32 s8, exec_lo, s5
	s_cbranch_execz .LBB191_208
; %bb.207:                              ;   in Loop: Header=BB191_145 Depth=1
	v_mul_f64_e32 v[10:11], v[44:45], v[44:45]
	v_cmp_eq_f64_e64 s5, 0, v[4:5]
	v_cmp_class_f64_e64 s9, v[4:5], 0x204
	v_cmp_class_f64_e64 s10, v[2:3], 0x204
	s_delay_alu instid0(VALU_DEP_4) | instskip(NEXT) | instid1(VALU_DEP_1)
	v_add_f64_e32 v[40:41], 1.0, v[10:11]
	v_frexp_mant_f64_e32 v[42:43], v[40:41]
	v_frexp_exp_i32_f64_e32 v12, v[40:41]
	s_delay_alu instid0(VALU_DEP_2) | instskip(NEXT) | instid1(VALU_DEP_2)
	v_cmp_gt_f64_e32 vcc_lo, s[28:29], v[42:43]
	v_subrev_co_ci_u32_e64 v12, null, 0, v12, vcc_lo
	s_delay_alu instid0(VALU_DEP_1) | instskip(SKIP_1) | instid1(VALU_DEP_1)
	v_sub_nc_u32_e32 v21, 0, v12
	v_add_f64_e32 v[44:45], -1.0, v[40:41]
	v_add_f64_e64 v[42:43], v[44:45], -v[40:41]
	s_delay_alu instid0(VALU_DEP_3) | instskip(SKIP_1) | instid1(VALU_DEP_3)
	v_ldexp_f64 v[40:41], v[40:41], v21
	v_add_f64_e64 v[44:45], v[10:11], -v[44:45]
	v_add_f64_e32 v[42:43], 1.0, v[42:43]
	s_delay_alu instid0(VALU_DEP_3) | instskip(SKIP_1) | instid1(VALU_DEP_3)
	v_add_f64_e32 v[46:47], 1.0, v[40:41]
	v_add_f64_e32 v[52:53], -1.0, v[40:41]
	v_add_f64_e32 v[42:43], v[44:45], v[42:43]
	s_delay_alu instid0(VALU_DEP_3) | instskip(NEXT) | instid1(VALU_DEP_3)
	v_add_f64_e32 v[44:45], -1.0, v[46:47]
	v_add_f64_e32 v[54:55], 1.0, v[52:53]
	s_delay_alu instid0(VALU_DEP_3) | instskip(NEXT) | instid1(VALU_DEP_3)
	v_ldexp_f64 v[42:43], v[42:43], v21
	v_add_f64_e64 v[44:45], v[40:41], -v[44:45]
	s_delay_alu instid0(VALU_DEP_3) | instskip(NEXT) | instid1(VALU_DEP_2)
	v_add_f64_e64 v[40:41], v[40:41], -v[54:55]
	v_add_f64_e32 v[44:45], v[42:43], v[44:45]
	s_delay_alu instid0(VALU_DEP_2) | instskip(NEXT) | instid1(VALU_DEP_2)
	v_add_f64_e32 v[40:41], v[42:43], v[40:41]
	v_add_f64_e32 v[48:49], v[46:47], v[44:45]
	s_delay_alu instid0(VALU_DEP_2) | instskip(NEXT) | instid1(VALU_DEP_2)
	v_add_f64_e32 v[54:55], v[52:53], v[40:41]
	v_rcp_f64_e32 v[50:51], v[48:49]
	v_add_f64_e64 v[46:47], v[46:47], -v[48:49]
	s_delay_alu instid0(VALU_DEP_2) | instskip(NEXT) | instid1(VALU_DEP_2)
	v_add_f64_e64 v[52:53], v[52:53], -v[54:55]
	v_add_f64_e32 v[44:45], v[44:45], v[46:47]
	s_delay_alu instid0(VALU_DEP_2) | instskip(NEXT) | instid1(TRANS32_DEP_1)
	v_add_f64_e32 v[40:41], v[40:41], v[52:53]
	v_fma_f64 v[56:57], -v[48:49], v[50:51], 1.0
	s_delay_alu instid0(VALU_DEP_1) | instskip(NEXT) | instid1(VALU_DEP_1)
	v_fmac_f64_e32 v[50:51], v[56:57], v[50:51]
	v_fma_f64 v[42:43], -v[48:49], v[50:51], 1.0
	s_delay_alu instid0(VALU_DEP_1) | instskip(NEXT) | instid1(VALU_DEP_1)
	v_fmac_f64_e32 v[50:51], v[42:43], v[50:51]
	v_mul_f64_e32 v[42:43], v[54:55], v[50:51]
	s_delay_alu instid0(VALU_DEP_1) | instskip(NEXT) | instid1(VALU_DEP_1)
	v_mul_f64_e32 v[56:57], v[48:49], v[42:43]
	v_fma_f64 v[46:47], v[42:43], v[48:49], -v[56:57]
	s_delay_alu instid0(VALU_DEP_1) | instskip(NEXT) | instid1(VALU_DEP_1)
	v_fmac_f64_e32 v[46:47], v[42:43], v[44:45]
	v_add_f64_e32 v[58:59], v[56:57], v[46:47]
	s_delay_alu instid0(VALU_DEP_1) | instskip(SKIP_1) | instid1(VALU_DEP_2)
	v_add_f64_e64 v[60:61], v[54:55], -v[58:59]
	v_add_f64_e64 v[52:53], v[58:59], -v[56:57]
	;; [unrolled: 1-line block ×3, first 2 shown]
	s_delay_alu instid0(VALU_DEP_2) | instskip(NEXT) | instid1(VALU_DEP_2)
	v_add_f64_e64 v[46:47], v[52:53], -v[46:47]
	v_add_f64_e64 v[54:55], v[54:55], -v[58:59]
	s_delay_alu instid0(VALU_DEP_1) | instskip(NEXT) | instid1(VALU_DEP_1)
	v_add_f64_e32 v[40:41], v[40:41], v[54:55]
	v_add_f64_e32 v[40:41], v[46:47], v[40:41]
	s_delay_alu instid0(VALU_DEP_1) | instskip(NEXT) | instid1(VALU_DEP_1)
	v_add_f64_e32 v[46:47], v[60:61], v[40:41]
	v_mul_f64_e32 v[52:53], v[50:51], v[46:47]
	v_add_f64_e64 v[58:59], v[60:61], -v[46:47]
	s_delay_alu instid0(VALU_DEP_2) | instskip(NEXT) | instid1(VALU_DEP_2)
	v_mul_f64_e32 v[54:55], v[48:49], v[52:53]
	v_add_f64_e32 v[40:41], v[40:41], v[58:59]
	s_delay_alu instid0(VALU_DEP_2) | instskip(NEXT) | instid1(VALU_DEP_1)
	v_fma_f64 v[48:49], v[52:53], v[48:49], -v[54:55]
	v_fmac_f64_e32 v[48:49], v[52:53], v[44:45]
	s_delay_alu instid0(VALU_DEP_1) | instskip(NEXT) | instid1(VALU_DEP_1)
	v_add_f64_e32 v[44:45], v[54:55], v[48:49]
	v_add_f64_e64 v[56:57], v[46:47], -v[44:45]
	v_add_f64_e64 v[54:55], v[44:45], -v[54:55]
	s_delay_alu instid0(VALU_DEP_2) | instskip(NEXT) | instid1(VALU_DEP_1)
	v_add_f64_e64 v[46:47], v[46:47], -v[56:57]
	v_add_f64_e64 v[44:45], v[46:47], -v[44:45]
	s_delay_alu instid0(VALU_DEP_3) | instskip(SKIP_1) | instid1(VALU_DEP_3)
	v_add_f64_e64 v[46:47], v[54:55], -v[48:49]
	v_max_num_f64_e64 v[48:49], |v[2:3]|, |v[2:3]|
	v_add_f64_e32 v[40:41], v[40:41], v[44:45]
	v_add_f64_e32 v[44:45], v[42:43], v[52:53]
	s_delay_alu instid0(VALU_DEP_2) | instskip(NEXT) | instid1(VALU_DEP_2)
	v_add_f64_e32 v[40:41], v[46:47], v[40:41]
	v_add_f64_e64 v[42:43], v[44:45], -v[42:43]
	v_max_num_f64_e64 v[46:47], |v[4:5]|, |v[4:5]|
	s_delay_alu instid0(VALU_DEP_3) | instskip(NEXT) | instid1(VALU_DEP_3)
	v_add_f64_e32 v[40:41], v[56:57], v[40:41]
	v_add_f64_e64 v[42:43], v[52:53], -v[42:43]
	s_delay_alu instid0(VALU_DEP_2) | instskip(NEXT) | instid1(VALU_DEP_1)
	v_mul_f64_e32 v[40:41], v[50:51], v[40:41]
	v_add_f64_e32 v[40:41], v[42:43], v[40:41]
	v_max_num_f64_e32 v[42:43], v[48:49], v[46:47]
	v_min_num_f64_e32 v[46:47], v[48:49], v[46:47]
	s_delay_alu instid0(VALU_DEP_3) | instskip(NEXT) | instid1(VALU_DEP_2)
	v_add_f64_e32 v[48:49], v[44:45], v[40:41]
	v_div_scale_f64 v[50:51], null, v[42:43], v[42:43], v[46:47]
	s_delay_alu instid0(VALU_DEP_2) | instskip(SKIP_1) | instid1(VALU_DEP_3)
	v_mul_f64_e32 v[52:53], v[48:49], v[48:49]
	v_add_f64_e64 v[44:45], v[48:49], -v[44:45]
	v_rcp_f64_e32 v[54:55], v[50:51]
	s_delay_alu instid0(VALU_DEP_2) | instskip(SKIP_1) | instid1(VALU_DEP_3)
	v_fmamk_f64 v[56:57], v[52:53], 0x3fc3ab76bf559e2b, v[24:25]
	v_mul_f64_e32 v[58:59], v[48:49], v[52:53]
	v_add_f64_e64 v[40:41], v[40:41], -v[44:45]
	s_delay_alu instid0(VALU_DEP_3) | instskip(NEXT) | instid1(TRANS32_DEP_1)
	v_fmaak_f64 v[56:57], v[52:53], v[56:57], 0x3fc7474dd7f4df2e
	v_fma_f64 v[60:61], -v[50:51], v[54:55], 1.0
	s_delay_alu instid0(VALU_DEP_2) | instskip(NEXT) | instid1(VALU_DEP_1)
	v_fmaak_f64 v[56:57], v[52:53], v[56:57], 0x3fcc71c016291751
	v_fmaak_f64 v[56:57], v[52:53], v[56:57], 0x3fd249249b27acf1
	s_delay_alu instid0(VALU_DEP_1) | instskip(SKIP_1) | instid1(VALU_DEP_2)
	v_fmaak_f64 v[56:57], v[52:53], v[56:57], 0x3fd99999998ef7b6
	v_ldexp_f64 v[40:41], v[40:41], 1
	v_fmaak_f64 v[52:53], v[52:53], v[56:57], 0x3fe5555555555780
	v_ldexp_f64 v[56:57], v[48:49], 1
	v_fmac_f64_e32 v[54:55], v[54:55], v[60:61]
	s_delay_alu instid0(VALU_DEP_3) | instskip(SKIP_2) | instid1(VALU_DEP_4)
	v_mul_f64_e32 v[52:53], v[58:59], v[52:53]
	v_cvt_f64_i32_e32 v[58:59], v12
	v_ashrrev_i32_e32 v12, 31, v3
	v_fma_f64 v[60:61], -v[50:51], v[54:55], 1.0
	s_delay_alu instid0(VALU_DEP_4) | instskip(NEXT) | instid1(VALU_DEP_4)
	v_add_f64_e32 v[48:49], v[56:57], v[52:53]
	v_mul_f64_e32 v[62:63], 0x3fe62e42fefa39ef, v[58:59]
	s_delay_alu instid0(VALU_DEP_3) | instskip(NEXT) | instid1(VALU_DEP_3)
	v_fmac_f64_e32 v[54:55], v[54:55], v[60:61]
	v_add_f64_e64 v[44:45], v[48:49], -v[56:57]
	v_div_scale_f64 v[56:57], vcc_lo, v[46:47], v[42:43], v[46:47]
	s_delay_alu instid0(VALU_DEP_4) | instskip(NEXT) | instid1(VALU_DEP_3)
	v_fma_f64 v[60:61], v[58:59], s[30:31], -v[62:63]
	v_add_f64_e64 v[44:45], v[52:53], -v[44:45]
	s_delay_alu instid0(VALU_DEP_3) | instskip(NEXT) | instid1(VALU_DEP_3)
	v_mul_f64_e32 v[52:53], v[56:57], v[54:55]
	v_fmac_f64_e32 v[60:61], 0x3c7abc9e3b39803f, v[58:59]
	s_delay_alu instid0(VALU_DEP_3) | instskip(NEXT) | instid1(VALU_DEP_3)
	v_add_f64_e32 v[40:41], v[40:41], v[44:45]
	v_fma_f64 v[44:45], -v[50:51], v[52:53], v[56:57]
	s_delay_alu instid0(VALU_DEP_3) | instskip(NEXT) | instid1(VALU_DEP_3)
	v_add_f64_e32 v[50:51], v[62:63], v[60:61]
	v_add_f64_e32 v[56:57], v[48:49], v[40:41]
	s_delay_alu instid0(VALU_DEP_3) | instskip(SKIP_1) | instid1(VALU_DEP_4)
	v_div_fmas_f64 v[44:45], v[44:45], v[54:55], v[52:53]
	v_cmp_gt_i32_e32 vcc_lo, 0, v3
	v_add_f64_e64 v[54:55], v[50:51], -v[62:63]
	v_cndmask_b32_e32 v21, 0x54442d18, v68, vcc_lo
	v_add_f64_e32 v[52:53], v[50:51], v[56:57]
	v_div_fixup_f64 v[42:43], v[44:45], v[42:43], v[46:47]
	v_add_f64_e64 v[48:49], v[56:57], -v[48:49]
	v_add_f64_e64 v[54:55], v[60:61], -v[54:55]
	s_delay_alu instid0(VALU_DEP_4) | instskip(NEXT) | instid1(VALU_DEP_4)
	v_add_f64_e64 v[44:45], v[52:53], -v[50:51]
	v_mul_f64_e32 v[46:47], v[42:43], v[42:43]
	s_delay_alu instid0(VALU_DEP_4) | instskip(NEXT) | instid1(VALU_DEP_3)
	v_add_f64_e64 v[40:41], v[40:41], -v[48:49]
	v_add_f64_e64 v[58:59], v[52:53], -v[44:45]
	s_delay_alu instid0(VALU_DEP_3) | instskip(SKIP_1) | instid1(VALU_DEP_4)
	v_fmamk_f64 v[62:63], v[46:47], 0x3eeba404b5e68a13, v[26:27]
	v_add_f64_e64 v[44:45], v[56:57], -v[44:45]
	v_add_f64_e32 v[56:57], v[54:55], v[40:41]
	s_delay_alu instid0(VALU_DEP_3) | instskip(NEXT) | instid1(VALU_DEP_1)
	v_fmaak_f64 v[62:63], v[46:47], v[62:63], 0x3f4b2bb069efb384
	v_fmaak_f64 v[62:63], v[46:47], v[62:63], 0xbf67952daf56de9b
	v_add_f64_e64 v[48:49], v[50:51], -v[58:59]
	s_delay_alu instid0(VALU_DEP_2) | instskip(NEXT) | instid1(VALU_DEP_1)
	v_fmaak_f64 v[50:51], v[46:47], v[62:63], 0x3f7d6d43a595c56f
	v_fmaak_f64 v[50:51], v[46:47], v[50:51], 0xbf8c6ea4a57d9582
	s_delay_alu instid0(VALU_DEP_1) | instskip(NEXT) | instid1(VALU_DEP_1)
	v_fmaak_f64 v[50:51], v[46:47], v[50:51], 0x3f967e295f08b19f
	v_fmaak_f64 v[50:51], v[46:47], v[50:51], 0xbf9e9ae6fc27006a
	s_delay_alu instid0(VALU_DEP_1) | instskip(SKIP_1) | instid1(VALU_DEP_2)
	v_fmaak_f64 v[50:51], v[46:47], v[50:51], 0x3fa2c15b5711927a
	v_add_f64_e32 v[44:45], v[44:45], v[48:49]
	v_fmaak_f64 v[48:49], v[46:47], v[50:51], 0xbfa59976e82d3ff0
	v_add_f64_e64 v[50:51], v[56:57], -v[54:55]
	s_delay_alu instid0(VALU_DEP_2) | instskip(NEXT) | instid1(VALU_DEP_1)
	v_fmaak_f64 v[48:49], v[46:47], v[48:49], 0x3fa82d5d6ef28734
	v_fmaak_f64 v[48:49], v[46:47], v[48:49], 0xbfaae5ce6a214619
	s_delay_alu instid0(VALU_DEP_1) | instskip(NEXT) | instid1(VALU_DEP_1)
	v_fmaak_f64 v[48:49], v[46:47], v[48:49], 0x3fae1bb48427b883
	v_fmaak_f64 v[48:49], v[46:47], v[48:49], 0xbfb110e48b207f05
	v_add_f64_e32 v[44:45], v[56:57], v[44:45]
	v_add_f64_e64 v[56:57], v[56:57], -v[50:51]
	v_add_f64_e64 v[40:41], v[40:41], -v[50:51]
	s_delay_alu instid0(VALU_DEP_4) | instskip(NEXT) | instid1(VALU_DEP_1)
	v_fmaak_f64 v[48:49], v[46:47], v[48:49], 0x3fb3b13657b87036
	v_fmaak_f64 v[48:49], v[46:47], v[48:49], 0xbfb745d119378e4f
	s_delay_alu instid0(VALU_DEP_1) | instskip(NEXT) | instid1(VALU_DEP_1)
	v_fmaak_f64 v[48:49], v[46:47], v[48:49], 0x3fbc71c717e1913c
	v_fmaak_f64 v[48:49], v[46:47], v[48:49], 0xbfc2492492376b7d
	v_add_f64_e32 v[58:59], v[52:53], v[44:45]
	s_delay_alu instid0(VALU_DEP_2) | instskip(NEXT) | instid1(VALU_DEP_1)
	v_fmaak_f64 v[48:49], v[46:47], v[48:49], 0x3fc99999999952cc
	v_fmaak_f64 v[48:49], v[46:47], v[48:49], 0xbfd5555555555523
	s_delay_alu instid0(VALU_DEP_1) | instskip(SKIP_2) | instid1(VALU_DEP_3)
	v_mul_f64_e32 v[46:47], v[46:47], v[48:49]
	v_add_f64_e64 v[48:49], v[54:55], -v[56:57]
	v_add_f64_e64 v[50:51], v[58:59], -v[52:53]
	v_fmac_f64_e32 v[42:43], v[42:43], v[46:47]
	s_delay_alu instid0(VALU_DEP_3) | instskip(NEXT) | instid1(VALU_DEP_3)
	v_add_f64_e32 v[40:41], v[40:41], v[48:49]
	v_add_f64_e64 v[44:45], v[44:45], -v[50:51]
	s_delay_alu instid0(VALU_DEP_3) | instskip(NEXT) | instid1(VALU_DEP_1)
	v_add_f64_e64 v[46:47], -v[42:43], s[38:39]
	v_dual_add_f64 v[40:41], v[40:41], v[44:45] :: v_dual_cndmask_b32 v43, v43, v47, s4
	s_delay_alu instid0(VALU_DEP_2)
	v_cndmask_b32_e64 v42, v42, v46, s4
	v_cmp_neq_f64_e64 s6, 0x7ff00000, v[10:11]
	v_and_b32_e32 v46, 0x54442d18, v12
	v_cndmask_b32_e32 v10, 0x3fe921fb, v69, vcc_lo
	v_and_b32_e32 v11, 0x400921fb, v12
	v_add_f64_e64 v[44:45], -v[42:43], s[40:41]
	s_delay_alu instid0(VALU_DEP_3) | instskip(SKIP_1) | instid1(VALU_DEP_3)
	v_bfi_b32 v10, 0x7fffffff, v10, v5
	v_add_f64_e32 v[40:41], v[58:59], v[40:41]
	v_dual_cndmask_b32 v42, v42, v44, vcc_lo :: v_dual_cndmask_b32 v12, v43, v45, vcc_lo
	s_and_b32 vcc_lo, s9, s10
                                        ; implicit-def: $vgpr44_vgpr45
	s_delay_alu instid0(VALU_DEP_1) | instskip(NEXT) | instid1(VALU_DEP_2)
	v_dual_mul_f64 v[2:3], 0.5, v[40:41] :: v_dual_cndmask_b32 v11, v12, v11, s5
	v_cndmask_b32_e64 v40, v42, v46, s5
	s_delay_alu instid0(VALU_DEP_1) | instskip(NEXT) | instid1(VALU_DEP_3)
	v_dual_cndmask_b32 v41, v11, v10 :: v_dual_cndmask_b32 v40, v40, v21
	v_cndmask_b32_e64 v11, 0x7ff00000, v3, s6
	s_delay_alu instid0(VALU_DEP_4)
	v_cndmask_b32_e64 v10, 0, v2, s6
.LBB191_208:                            ;   in Loop: Header=BB191_145 Depth=1
	s_and_not1_saveexec_b32 s6, s8
	s_cbranch_execz .LBB191_210
; %bb.209:                              ;   in Loop: Header=BB191_145 Depth=1
	v_max_num_f64_e64 v[10:11], |v[4:5]|, |v[4:5]|
	v_max_num_f64_e64 v[40:41], |v[2:3]|, |v[2:3]|
	v_cmp_eq_f64_e64 s5, 0, v[4:5]
	v_cmp_class_f64_e64 s8, v[4:5], 0x204
	v_cmp_class_f64_e64 s9, v[2:3], 0x204
	v_ashrrev_i32_e32 v12, 31, v3
	v_max_num_f64_e32 v[42:43], v[40:41], v[10:11]
	v_min_num_f64_e32 v[10:11], v[40:41], v[10:11]
	s_delay_alu instid0(VALU_DEP_1) | instskip(SKIP_1) | instid1(VALU_DEP_2)
	v_div_scale_f64 v[40:41], null, v[42:43], v[42:43], v[10:11]
	v_div_scale_f64 v[50:51], vcc_lo, v[10:11], v[42:43], v[10:11]
	v_rcp_f64_e32 v[46:47], v[40:41]
	v_nop
	s_delay_alu instid0(TRANS32_DEP_1) | instskip(NEXT) | instid1(VALU_DEP_1)
	v_fma_f64 v[48:49], -v[40:41], v[46:47], 1.0
	v_fmac_f64_e32 v[46:47], v[46:47], v[48:49]
	s_delay_alu instid0(VALU_DEP_1) | instskip(NEXT) | instid1(VALU_DEP_1)
	v_fma_f64 v[48:49], -v[40:41], v[46:47], 1.0
	v_fmac_f64_e32 v[46:47], v[46:47], v[48:49]
	s_delay_alu instid0(VALU_DEP_1) | instskip(NEXT) | instid1(VALU_DEP_1)
	v_mul_f64_e32 v[48:49], v[50:51], v[46:47]
	v_fma_f64 v[40:41], -v[40:41], v[48:49], v[50:51]
	s_delay_alu instid0(VALU_DEP_1)
	v_div_fmas_f64 v[40:41], v[40:41], v[46:47], v[48:49]
	v_cmp_gt_i32_e32 vcc_lo, 0, v3
	v_and_b32_e32 v46, 0x54442d18, v12
	v_and_b32_e32 v3, 0x400921fb, v12
	v_cndmask_b32_e32 v2, 0x3fe921fb, v69, vcc_lo
	v_cndmask_b32_e32 v21, 0x54442d18, v68, vcc_lo
	s_delay_alu instid0(VALU_DEP_2) | instskip(SKIP_1) | instid1(VALU_DEP_1)
	v_bfi_b32 v2, 0x7fffffff, v2, v5
	v_div_fixup_f64 v[10:11], v[40:41], v[42:43], v[10:11]
	v_mul_f64_e32 v[40:41], v[10:11], v[10:11]
	s_delay_alu instid0(VALU_DEP_1) | instskip(NEXT) | instid1(VALU_DEP_1)
	v_fmamk_f64 v[42:43], v[40:41], 0x3eeba404b5e68a13, v[26:27]
	v_fmaak_f64 v[42:43], v[40:41], v[42:43], 0x3f4b2bb069efb384
	s_delay_alu instid0(VALU_DEP_1) | instskip(NEXT) | instid1(VALU_DEP_1)
	v_fmaak_f64 v[42:43], v[40:41], v[42:43], 0xbf67952daf56de9b
	v_fmaak_f64 v[42:43], v[40:41], v[42:43], 0x3f7d6d43a595c56f
	s_delay_alu instid0(VALU_DEP_1) | instskip(NEXT) | instid1(VALU_DEP_1)
	v_fmaak_f64 v[42:43], v[40:41], v[42:43], 0xbf8c6ea4a57d9582
	;; [unrolled: 3-line block ×9, first 2 shown]
	v_mul_f64_e32 v[40:41], v[40:41], v[42:43]
	s_delay_alu instid0(VALU_DEP_1) | instskip(NEXT) | instid1(VALU_DEP_1)
	v_fmac_f64_e32 v[10:11], v[10:11], v[40:41]
	v_add_f64_e64 v[40:41], -v[10:11], s[38:39]
	s_delay_alu instid0(VALU_DEP_1) | instskip(SKIP_1) | instid1(VALU_DEP_1)
	v_dual_cndmask_b32 v41, v11, v41, s4 :: v_dual_cndmask_b32 v40, v10, v40, s4
	v_mul_f64_e32 v[10:11], 0.5, v[44:45]
	v_mul_f64_e32 v[10:11], v[44:45], v[10:11]
	s_delay_alu instid0(VALU_DEP_3) | instskip(NEXT) | instid1(VALU_DEP_1)
	v_add_f64_e64 v[42:43], -v[40:41], s[40:41]
	v_dual_cndmask_b32 v40, v40, v42, vcc_lo :: v_dual_cndmask_b32 v12, v41, v43, vcc_lo
	s_and_b32 vcc_lo, s8, s9
	s_delay_alu instid0(VALU_DEP_1) | instskip(NEXT) | instid1(VALU_DEP_2)
	v_cndmask_b32_e64 v40, v40, v46, s5
	v_cndmask_b32_e64 v3, v12, v3, s5
	s_delay_alu instid0(VALU_DEP_1)
	v_dual_cndmask_b32 v40, v40, v21 :: v_dual_cndmask_b32 v41, v3, v2
.LBB191_210:                            ;   in Loop: Header=BB191_145 Depth=1
	s_or_b32 exec_lo, exec_lo, s6
.LBB191_211:                            ;   in Loop: Header=BB191_145 Depth=1
	s_delay_alu instid0(SALU_CYCLE_1)
	s_or_b32 exec_lo, exec_lo, s7
.LBB191_212:                            ;   in Loop: Header=BB191_145 Depth=1
	s_and_not1_saveexec_b32 s6, s33
	s_cbranch_execz .LBB191_214
; %bb.213:                              ;   in Loop: Header=BB191_145 Depth=1
	v_div_scale_f64 v[10:11], null, s[46:47], s[46:47], v[2:3]
	v_div_scale_f64 v[40:41], null, s[46:47], s[46:47], v[4:5]
	v_div_scale_f64 v[50:51], vcc_lo, v[2:3], s[46:47], v[2:3]
	s_delay_alu instid0(VALU_DEP_3) | instskip(NEXT) | instid1(VALU_DEP_2)
	v_rcp_f64_e32 v[42:43], v[10:11]
	v_rcp_f64_e32 v[44:45], v[40:41]
	s_delay_alu instid0(TRANS32_DEP_2) | instskip(NEXT) | instid1(TRANS32_DEP_1)
	v_fma_f64 v[46:47], -v[10:11], v[42:43], 1.0
	v_fma_f64 v[48:49], -v[40:41], v[44:45], 1.0
	s_delay_alu instid0(VALU_DEP_2) | instskip(NEXT) | instid1(VALU_DEP_2)
	v_fmac_f64_e32 v[42:43], v[42:43], v[46:47]
	v_fmac_f64_e32 v[44:45], v[44:45], v[48:49]
	s_delay_alu instid0(VALU_DEP_2) | instskip(NEXT) | instid1(VALU_DEP_2)
	v_fma_f64 v[46:47], -v[10:11], v[42:43], 1.0
	v_fma_f64 v[48:49], -v[40:41], v[44:45], 1.0
	s_delay_alu instid0(VALU_DEP_2) | instskip(SKIP_1) | instid1(VALU_DEP_3)
	v_fmac_f64_e32 v[42:43], v[42:43], v[46:47]
	v_div_scale_f64 v[46:47], s5, v[4:5], s[46:47], v[4:5]
	v_fmac_f64_e32 v[44:45], v[44:45], v[48:49]
	s_delay_alu instid0(VALU_DEP_3) | instskip(NEXT) | instid1(VALU_DEP_2)
	v_mul_f64_e32 v[48:49], v[50:51], v[42:43]
	v_mul_f64_e32 v[52:53], v[46:47], v[44:45]
	s_delay_alu instid0(VALU_DEP_2) | instskip(NEXT) | instid1(VALU_DEP_2)
	v_fma_f64 v[10:11], -v[10:11], v[48:49], v[50:51]
	v_fma_f64 v[40:41], -v[40:41], v[52:53], v[46:47]
	s_delay_alu instid0(VALU_DEP_2) | instskip(SKIP_1) | instid1(VALU_DEP_2)
	v_div_fmas_f64 v[10:11], v[10:11], v[42:43], v[48:49]
	s_mov_b32 vcc_lo, s5
	v_div_fmas_f64 v[40:41], v[40:41], v[44:45], v[52:53]
	s_delay_alu instid0(VALU_DEP_2) | instskip(NEXT) | instid1(VALU_DEP_2)
	v_div_fixup_f64 v[10:11], v[10:11], s[46:47], v[2:3]
	v_div_fixup_f64 v[40:41], v[40:41], s[46:47], v[4:5]
	s_delay_alu instid0(VALU_DEP_2) | instskip(NEXT) | instid1(VALU_DEP_2)
	v_cmp_class_f64_e64 s5, v[10:11], 0x204
	v_max_num_f64_e64 v[42:43], |v[10:11]|, |v[40:41]|
	v_cmp_class_f64_e64 s7, v[40:41], 0x204
	s_delay_alu instid0(VALU_DEP_2) | instskip(SKIP_2) | instid1(VALU_DEP_2)
	v_frexp_exp_i32_f64_e32 v12, v[42:43]
	s_or_b32 s5, s7, s5
	v_cmp_class_f64_e64 s7, v[2:3], 0x204
	v_sub_nc_u32_e32 v21, 0, v12
	s_delay_alu instid0(VALU_DEP_1) | instskip(SKIP_1) | instid1(VALU_DEP_2)
	v_ldexp_f64 v[42:43], |v[40:41]|, v21
	v_ldexp_f64 v[44:45], |v[10:11]|, v21
	v_mul_f64_e32 v[42:43], v[42:43], v[42:43]
	s_delay_alu instid0(VALU_DEP_1) | instskip(NEXT) | instid1(VALU_DEP_1)
	v_fmac_f64_e32 v[42:43], v[44:45], v[44:45]
	v_rsq_f64_e32 v[44:45], v[42:43]
	v_cmp_eq_f64_e32 vcc_lo, 0, v[42:43]
	s_delay_alu instid0(TRANS32_DEP_1) | instskip(SKIP_1) | instid1(VALU_DEP_1)
	v_mul_f64_e32 v[46:47], v[42:43], v[44:45]
	v_mul_f64_e32 v[44:45], 0.5, v[44:45]
	v_fma_f64 v[48:49], -v[44:45], v[46:47], 0.5
	s_delay_alu instid0(VALU_DEP_1) | instskip(SKIP_1) | instid1(VALU_DEP_2)
	v_fmac_f64_e32 v[46:47], v[46:47], v[48:49]
	v_fmac_f64_e32 v[44:45], v[44:45], v[48:49]
	v_fma_f64 v[48:49], -v[46:47], v[46:47], v[42:43]
	s_delay_alu instid0(VALU_DEP_1) | instskip(NEXT) | instid1(VALU_DEP_1)
	v_fmac_f64_e32 v[46:47], v[48:49], v[44:45]
	v_dual_cndmask_b32 v43, v47, v43 :: v_dual_cndmask_b32 v42, v46, v42
	v_cmp_o_f64_e32 vcc_lo, v[10:11], v[40:41]
	s_delay_alu instid0(VALU_DEP_2) | instskip(NEXT) | instid1(VALU_DEP_1)
	v_ldexp_f64 v[42:43], v[42:43], v12
	v_cndmask_b32_e32 v10, 0, v42, vcc_lo
	s_delay_alu instid0(VALU_DEP_2) | instskip(NEXT) | instid1(VALU_DEP_2)
	v_cndmask_b32_e32 v11, 0x7ff80000, v43, vcc_lo
	v_cndmask_b32_e64 v42, v10, 0, s5
	s_delay_alu instid0(VALU_DEP_2) | instskip(SKIP_1) | instid1(VALU_DEP_2)
	v_cndmask_b32_e64 v43, v11, 0x7ff00000, s5
	v_cmp_class_f64_e64 s5, v[4:5], 0x204
	v_frexp_mant_f64_e32 v[10:11], v[42:43]
	s_delay_alu instid0(VALU_DEP_1) | instskip(SKIP_1) | instid1(VALU_DEP_1)
	v_cmp_gt_f64_e32 vcc_lo, s[28:29], v[10:11]
	v_cndmask_b32_e64 v12, 0, 1, vcc_lo
	v_ldexp_f64 v[10:11], v[10:11], v12
	v_frexp_exp_i32_f64_e32 v12, v[42:43]
	s_delay_alu instid0(VALU_DEP_2) | instskip(SKIP_1) | instid1(VALU_DEP_3)
	v_add_f64_e32 v[40:41], 1.0, v[10:11]
	v_add_f64_e32 v[48:49], -1.0, v[10:11]
	v_subrev_co_ci_u32_e64 v12, null, 0, v12, vcc_lo
	s_delay_alu instid0(VALU_DEP_3) | instskip(SKIP_1) | instid1(VALU_DEP_1)
	v_rcp_f64_e32 v[44:45], v[40:41]
	v_add_f64_e32 v[50:51], -1.0, v[40:41]
	v_add_f64_e64 v[10:11], v[10:11], -v[50:51]
	s_delay_alu instid0(TRANS32_DEP_1) | instskip(NEXT) | instid1(VALU_DEP_1)
	v_fma_f64 v[46:47], -v[40:41], v[44:45], 1.0
	v_fmac_f64_e32 v[44:45], v[46:47], v[44:45]
	s_delay_alu instid0(VALU_DEP_1) | instskip(NEXT) | instid1(VALU_DEP_1)
	v_fma_f64 v[46:47], -v[40:41], v[44:45], 1.0
	v_fmac_f64_e32 v[44:45], v[46:47], v[44:45]
	s_delay_alu instid0(VALU_DEP_1) | instskip(NEXT) | instid1(VALU_DEP_1)
	v_mul_f64_e32 v[46:47], v[48:49], v[44:45]
	v_mul_f64_e32 v[52:53], v[40:41], v[46:47]
	s_delay_alu instid0(VALU_DEP_1) | instskip(NEXT) | instid1(VALU_DEP_1)
	v_fma_f64 v[40:41], v[46:47], v[40:41], -v[52:53]
	v_fmac_f64_e32 v[40:41], v[46:47], v[10:11]
	s_delay_alu instid0(VALU_DEP_1) | instskip(NEXT) | instid1(VALU_DEP_1)
	v_add_f64_e32 v[10:11], v[52:53], v[40:41]
	v_add_f64_e64 v[50:51], v[48:49], -v[10:11]
	v_add_f64_e64 v[52:53], v[10:11], -v[52:53]
	s_delay_alu instid0(VALU_DEP_2) | instskip(NEXT) | instid1(VALU_DEP_2)
	v_add_f64_e64 v[48:49], v[48:49], -v[50:51]
	v_add_f64_e64 v[40:41], v[52:53], -v[40:41]
	s_delay_alu instid0(VALU_DEP_2) | instskip(SKIP_1) | instid1(VALU_DEP_2)
	v_add_f64_e64 v[10:11], v[48:49], -v[10:11]
	v_max_num_f64_e64 v[48:49], |v[2:3]|, |v[2:3]|
	v_add_f64_e32 v[10:11], v[40:41], v[10:11]
	v_max_num_f64_e64 v[40:41], |v[4:5]|, |v[4:5]|
	s_delay_alu instid0(VALU_DEP_2) | instskip(NEXT) | instid1(VALU_DEP_1)
	v_add_f64_e32 v[10:11], v[50:51], v[10:11]
	v_mul_f64_e32 v[10:11], v[44:45], v[10:11]
	s_delay_alu instid0(VALU_DEP_3) | instskip(SKIP_1) | instid1(VALU_DEP_3)
	v_max_num_f64_e32 v[44:45], v[48:49], v[40:41]
	v_min_num_f64_e32 v[40:41], v[48:49], v[40:41]
	v_add_f64_e32 v[48:49], v[46:47], v[10:11]
	s_delay_alu instid0(VALU_DEP_2) | instskip(NEXT) | instid1(VALU_DEP_2)
	v_div_scale_f64 v[50:51], null, v[44:45], v[44:45], v[40:41]
	v_mul_f64_e32 v[52:53], v[48:49], v[48:49]
	v_add_f64_e64 v[46:47], v[48:49], -v[46:47]
	s_delay_alu instid0(VALU_DEP_3) | instskip(NEXT) | instid1(VALU_DEP_2)
	v_rcp_f64_e32 v[54:55], v[50:51]
	v_fmamk_f64 v[56:57], v[52:53], 0x3fc3ab76bf559e2b, v[24:25]
	v_mul_f64_e32 v[58:59], v[48:49], v[52:53]
	s_delay_alu instid0(VALU_DEP_3) | instskip(NEXT) | instid1(VALU_DEP_3)
	v_add_f64_e64 v[10:11], v[10:11], -v[46:47]
	v_fmaak_f64 v[56:57], v[52:53], v[56:57], 0x3fc7474dd7f4df2e
	s_delay_alu instid0(TRANS32_DEP_1) | instskip(NEXT) | instid1(VALU_DEP_2)
	v_fma_f64 v[60:61], -v[50:51], v[54:55], 1.0
	v_fmaak_f64 v[56:57], v[52:53], v[56:57], 0x3fcc71c016291751
	s_delay_alu instid0(VALU_DEP_1) | instskip(NEXT) | instid1(VALU_DEP_1)
	v_fmaak_f64 v[56:57], v[52:53], v[56:57], 0x3fd249249b27acf1
	v_fmaak_f64 v[56:57], v[52:53], v[56:57], 0x3fd99999998ef7b6
	v_ldexp_f64 v[10:11], v[10:11], 1
	s_delay_alu instid0(VALU_DEP_2) | instskip(SKIP_2) | instid1(VALU_DEP_3)
	v_fmaak_f64 v[52:53], v[52:53], v[56:57], 0x3fe5555555555780
	v_ldexp_f64 v[56:57], v[48:49], 1
	v_fmac_f64_e32 v[54:55], v[54:55], v[60:61]
	v_mul_f64_e32 v[52:53], v[58:59], v[52:53]
	v_cvt_f64_i32_e32 v[58:59], v12
	v_ashrrev_i32_e32 v12, 31, v3
	s_delay_alu instid0(VALU_DEP_4) | instskip(NEXT) | instid1(VALU_DEP_4)
	v_fma_f64 v[60:61], -v[50:51], v[54:55], 1.0
	v_add_f64_e32 v[48:49], v[56:57], v[52:53]
	s_delay_alu instid0(VALU_DEP_4) | instskip(NEXT) | instid1(VALU_DEP_3)
	v_mul_f64_e32 v[62:63], 0x3fe62e42fefa39ef, v[58:59]
	v_fmac_f64_e32 v[54:55], v[54:55], v[60:61]
	s_delay_alu instid0(VALU_DEP_3) | instskip(SKIP_1) | instid1(VALU_DEP_4)
	v_add_f64_e64 v[46:47], v[48:49], -v[56:57]
	v_div_scale_f64 v[56:57], vcc_lo, v[40:41], v[44:45], v[40:41]
	v_fma_f64 v[60:61], v[58:59], s[30:31], -v[62:63]
	s_delay_alu instid0(VALU_DEP_3) | instskip(NEXT) | instid1(VALU_DEP_3)
	v_add_f64_e64 v[46:47], v[52:53], -v[46:47]
	v_mul_f64_e32 v[52:53], v[56:57], v[54:55]
	s_delay_alu instid0(VALU_DEP_3) | instskip(NEXT) | instid1(VALU_DEP_3)
	v_fmac_f64_e32 v[60:61], 0x3c7abc9e3b39803f, v[58:59]
	v_add_f64_e32 v[10:11], v[10:11], v[46:47]
	s_delay_alu instid0(VALU_DEP_3) | instskip(NEXT) | instid1(VALU_DEP_3)
	v_fma_f64 v[46:47], -v[50:51], v[52:53], v[56:57]
	v_add_f64_e32 v[50:51], v[62:63], v[60:61]
	s_delay_alu instid0(VALU_DEP_3) | instskip(NEXT) | instid1(VALU_DEP_3)
	v_add_f64_e32 v[56:57], v[48:49], v[10:11]
	v_div_fmas_f64 v[46:47], v[46:47], v[54:55], v[52:53]
	v_cmp_class_f64_e64 vcc_lo, v[42:43], 0x204
	s_delay_alu instid0(VALU_DEP_4) | instskip(NEXT) | instid1(VALU_DEP_4)
	v_add_f64_e64 v[54:55], v[50:51], -v[62:63]
	v_add_f64_e32 v[52:53], v[50:51], v[56:57]
	s_delay_alu instid0(VALU_DEP_4) | instskip(SKIP_1) | instid1(VALU_DEP_4)
	v_div_fixup_f64 v[40:41], v[46:47], v[44:45], v[40:41]
	v_add_f64_e64 v[48:49], v[56:57], -v[48:49]
	v_add_f64_e64 v[54:55], v[60:61], -v[54:55]
	s_delay_alu instid0(VALU_DEP_4) | instskip(NEXT) | instid1(VALU_DEP_4)
	v_add_f64_e64 v[44:45], v[52:53], -v[50:51]
	v_mul_f64_e32 v[46:47], v[40:41], v[40:41]
	s_delay_alu instid0(VALU_DEP_4) | instskip(NEXT) | instid1(VALU_DEP_3)
	v_add_f64_e64 v[10:11], v[10:11], -v[48:49]
	v_add_f64_e64 v[58:59], v[52:53], -v[44:45]
	s_delay_alu instid0(VALU_DEP_3) | instskip(SKIP_1) | instid1(VALU_DEP_4)
	v_fmamk_f64 v[62:63], v[46:47], 0x3eeba404b5e68a13, v[26:27]
	v_add_f64_e64 v[44:45], v[56:57], -v[44:45]
	v_add_f64_e32 v[56:57], v[54:55], v[10:11]
	s_delay_alu instid0(VALU_DEP_3) | instskip(SKIP_1) | instid1(VALU_DEP_2)
	v_fmaak_f64 v[62:63], v[46:47], v[62:63], 0x3f4b2bb069efb384
	v_add_f64_e64 v[48:49], v[50:51], -v[58:59]
	v_fmaak_f64 v[50:51], v[46:47], v[62:63], 0xbf67952daf56de9b
	s_delay_alu instid0(VALU_DEP_1) | instskip(NEXT) | instid1(VALU_DEP_1)
	v_fmaak_f64 v[50:51], v[46:47], v[50:51], 0x3f7d6d43a595c56f
	v_fmaak_f64 v[50:51], v[46:47], v[50:51], 0xbf8c6ea4a57d9582
	s_delay_alu instid0(VALU_DEP_1) | instskip(SKIP_1) | instid1(VALU_DEP_2)
	v_fmaak_f64 v[50:51], v[46:47], v[50:51], 0x3f967e295f08b19f
	v_add_f64_e32 v[44:45], v[44:45], v[48:49]
	v_fmaak_f64 v[48:49], v[46:47], v[50:51], 0xbf9e9ae6fc27006a
	v_add_f64_e64 v[50:51], v[56:57], -v[54:55]
	s_delay_alu instid0(VALU_DEP_2) | instskip(NEXT) | instid1(VALU_DEP_1)
	v_fmaak_f64 v[48:49], v[46:47], v[48:49], 0x3fa2c15b5711927a
	v_fmaak_f64 v[48:49], v[46:47], v[48:49], 0xbfa59976e82d3ff0
	s_delay_alu instid0(VALU_DEP_1) | instskip(NEXT) | instid1(VALU_DEP_1)
	v_fmaak_f64 v[48:49], v[46:47], v[48:49], 0x3fa82d5d6ef28734
	v_fmaak_f64 v[48:49], v[46:47], v[48:49], 0xbfaae5ce6a214619
	v_add_f64_e32 v[44:45], v[56:57], v[44:45]
	v_add_f64_e64 v[56:57], v[56:57], -v[50:51]
	v_add_f64_e64 v[10:11], v[10:11], -v[50:51]
	s_delay_alu instid0(VALU_DEP_4) | instskip(NEXT) | instid1(VALU_DEP_1)
	v_fmaak_f64 v[48:49], v[46:47], v[48:49], 0x3fae1bb48427b883
	v_fmaak_f64 v[48:49], v[46:47], v[48:49], 0xbfb110e48b207f05
	s_delay_alu instid0(VALU_DEP_1) | instskip(NEXT) | instid1(VALU_DEP_1)
	v_fmaak_f64 v[48:49], v[46:47], v[48:49], 0x3fb3b13657b87036
	v_fmaak_f64 v[48:49], v[46:47], v[48:49], 0xbfb745d119378e4f
	s_delay_alu instid0(VALU_DEP_1) | instskip(SKIP_1) | instid1(VALU_DEP_2)
	v_fmaak_f64 v[48:49], v[46:47], v[48:49], 0x3fbc71c717e1913c
	v_add_f64_e32 v[58:59], v[52:53], v[44:45]
	v_fmaak_f64 v[48:49], v[46:47], v[48:49], 0xbfc2492492376b7d
	s_delay_alu instid0(VALU_DEP_1) | instskip(NEXT) | instid1(VALU_DEP_1)
	v_fmaak_f64 v[48:49], v[46:47], v[48:49], 0x3fc99999999952cc
	v_fmaak_f64 v[48:49], v[46:47], v[48:49], 0xbfd5555555555523
	s_delay_alu instid0(VALU_DEP_1) | instskip(SKIP_2) | instid1(VALU_DEP_3)
	v_mul_f64_e32 v[46:47], v[46:47], v[48:49]
	v_add_f64_e64 v[48:49], v[54:55], -v[56:57]
	v_add_f64_e64 v[50:51], v[58:59], -v[52:53]
	v_fmac_f64_e32 v[40:41], v[40:41], v[46:47]
	s_delay_alu instid0(VALU_DEP_3) | instskip(NEXT) | instid1(VALU_DEP_3)
	v_add_f64_e32 v[10:11], v[10:11], v[48:49]
	v_add_f64_e64 v[44:45], v[44:45], -v[50:51]
	s_delay_alu instid0(VALU_DEP_3) | instskip(NEXT) | instid1(VALU_DEP_1)
	v_add_f64_e64 v[46:47], -v[40:41], s[38:39]
	v_dual_add_f64 v[10:11], v[10:11], v[44:45] :: v_dual_cndmask_b32 v41, v41, v47, s4
	s_delay_alu instid0(VALU_DEP_2)
	v_cndmask_b32_e64 v40, v40, v46, s4
	v_cmp_gt_i32_e64 s4, 0, v3
	v_and_b32_e32 v46, 0x54442d18, v12
	v_and_b32_e32 v3, 0x400921fb, v12
	v_add_f64_e32 v[10:11], v[58:59], v[10:11]
	v_add_f64_e64 v[44:45], -v[40:41], s[40:41]
	v_cndmask_b32_e64 v21, 0x54442d18, v68, s4
	v_cndmask_b32_e64 v2, 0x3fe921fb, v69, s4
	s_delay_alu instid0(VALU_DEP_1) | instskip(SKIP_4) | instid1(VALU_DEP_4)
	v_bfi_b32 v2, 0x7fffffff, v2, v5
	v_dual_cndmask_b32 v11, v11, v43 :: v_dual_cndmask_b32 v10, v10, v42
	v_cmp_eq_f64_e32 vcc_lo, 0, v[4:5]
	v_dual_cndmask_b32 v40, v40, v44, s4 :: v_dual_cndmask_b32 v12, v41, v45, s4
	v_cmp_nge_f64_e64 s4, 0, v[42:43]
	v_add_f64_e32 v[10:11], 1.0, v[10:11]
	s_delay_alu instid0(VALU_DEP_3) | instskip(NEXT) | instid1(VALU_DEP_4)
	v_cndmask_b32_e32 v40, v40, v46, vcc_lo
	v_cndmask_b32_e32 v3, v12, v3, vcc_lo
	v_cmp_ngt_f64_e32 vcc_lo, 0, v[42:43]
	s_delay_alu instid0(VALU_DEP_4) | instskip(SKIP_4) | instid1(VALU_DEP_2)
	v_cndmask_b32_e64 v10, 0, v10, s4
	v_cmp_neq_f64_e64 s4, 0, v[42:43]
	v_cndmask_b32_e32 v11, 0x7ff80000, v11, vcc_lo
	s_and_b32 vcc_lo, s5, s7
	v_dual_cndmask_b32 v41, v3, v2 :: v_dual_cndmask_b32 v40, v40, v21
	v_cndmask_b32_e64 v11, 0xfff00000, v11, s4
.LBB191_214:                            ;   in Loop: Header=BB191_145 Depth=1
	s_or_b32 exec_lo, exec_lo, s6
.LBB191_215:                            ;   in Loop: Header=BB191_145 Depth=1
	s_and_not1_saveexec_b32 s4, s15
	s_cbranch_execz .LBB191_221
; %bb.216:                              ;   in Loop: Header=BB191_145 Depth=1
	v_cmp_ngt_f64_e64 s5, 0x20000000, |v[2:3]|
	v_cmp_ngt_f64_e64 s6, 0x20000000, |v[4:5]|
                                        ; implicit-def: $vgpr42_vgpr43
	s_or_b32 s5, s6, s5
	s_delay_alu instid0(SALU_CYCLE_1) | instskip(NEXT) | instid1(SALU_CYCLE_1)
	s_and_saveexec_b32 s6, s5
	s_xor_b32 s5, exec_lo, s6
	s_cbranch_execz .LBB191_218
; %bb.217:                              ;   in Loop: Header=BB191_145 Depth=1
	v_mul_f64_e32 v[42:43], v[2:3], v[2:3]
	s_delay_alu instid0(VALU_DEP_1)
	v_fmac_f64_e32 v[42:43], v[4:5], v[4:5]
.LBB191_218:                            ;   in Loop: Header=BB191_145 Depth=1
	s_and_not1_saveexec_b32 s5, s5
	s_cbranch_execz .LBB191_220
; %bb.219:                              ;   in Loop: Header=BB191_145 Depth=1
	v_mul_f64_e32 v[2:3], 4.0, v[2:3]
	v_mul_f64_e32 v[10:11], 4.0, v[4:5]
	s_delay_alu instid0(VALU_DEP_2) | instskip(NEXT) | instid1(VALU_DEP_1)
	v_mul_f64_e32 v[2:3], v[2:3], v[2:3]
	v_fmac_f64_e32 v[2:3], v[10:11], v[10:11]
	s_delay_alu instid0(VALU_DEP_1)
	v_ldexp_f64 v[42:43], v[2:3], -4
.LBB191_220:                            ;   in Loop: Header=BB191_145 Depth=1
	s_or_b32 exec_lo, exec_lo, s5
	s_delay_alu instid0(VALU_DEP_1) | instskip(NEXT) | instid1(VALU_DEP_1)
	v_frexp_mant_f64_e32 v[2:3], v[42:43]
	v_cmp_gt_f64_e32 vcc_lo, s[28:29], v[2:3]
	v_cndmask_b32_e64 v4, 0, 1, vcc_lo
	s_delay_alu instid0(VALU_DEP_1) | instskip(SKIP_1) | instid1(VALU_DEP_2)
	v_ldexp_f64 v[2:3], v[2:3], v4
	v_frexp_exp_i32_f64_e32 v4, v[42:43]
	v_add_f64_e32 v[10:11], 1.0, v[2:3]
	v_add_f64_e32 v[46:47], -1.0, v[2:3]
	s_delay_alu instid0(VALU_DEP_3) | instskip(SKIP_1) | instid1(VALU_DEP_4)
	v_subrev_co_ci_u32_e64 v4, null, 0, v4, vcc_lo
	v_cmp_class_f64_e64 vcc_lo, v[42:43], 0x204
	v_rcp_f64_e32 v[40:41], v[10:11]
	v_add_f64_e32 v[48:49], -1.0, v[10:11]
	s_delay_alu instid0(VALU_DEP_1) | instskip(NEXT) | instid1(TRANS32_DEP_1)
	v_add_f64_e64 v[2:3], v[2:3], -v[48:49]
	v_fma_f64 v[44:45], -v[10:11], v[40:41], 1.0
	s_delay_alu instid0(VALU_DEP_1) | instskip(NEXT) | instid1(VALU_DEP_1)
	v_fmac_f64_e32 v[40:41], v[44:45], v[40:41]
	v_fma_f64 v[44:45], -v[10:11], v[40:41], 1.0
	s_delay_alu instid0(VALU_DEP_1) | instskip(NEXT) | instid1(VALU_DEP_1)
	v_fmac_f64_e32 v[40:41], v[44:45], v[40:41]
	v_mul_f64_e32 v[44:45], v[46:47], v[40:41]
	s_delay_alu instid0(VALU_DEP_1) | instskip(NEXT) | instid1(VALU_DEP_1)
	v_mul_f64_e32 v[50:51], v[10:11], v[44:45]
	v_fma_f64 v[10:11], v[44:45], v[10:11], -v[50:51]
	s_delay_alu instid0(VALU_DEP_1) | instskip(NEXT) | instid1(VALU_DEP_1)
	v_fmac_f64_e32 v[10:11], v[44:45], v[2:3]
	v_add_f64_e32 v[2:3], v[50:51], v[10:11]
	s_delay_alu instid0(VALU_DEP_1) | instskip(SKIP_1) | instid1(VALU_DEP_2)
	v_add_f64_e64 v[48:49], v[46:47], -v[2:3]
	v_add_f64_e64 v[50:51], v[2:3], -v[50:51]
	;; [unrolled: 1-line block ×3, first 2 shown]
	s_delay_alu instid0(VALU_DEP_2) | instskip(NEXT) | instid1(VALU_DEP_2)
	v_add_f64_e64 v[10:11], v[50:51], -v[10:11]
	v_add_f64_e64 v[2:3], v[46:47], -v[2:3]
	s_delay_alu instid0(VALU_DEP_1) | instskip(NEXT) | instid1(VALU_DEP_1)
	v_add_f64_e32 v[2:3], v[10:11], v[2:3]
	v_add_f64_e32 v[2:3], v[48:49], v[2:3]
	s_delay_alu instid0(VALU_DEP_1) | instskip(NEXT) | instid1(VALU_DEP_1)
	v_mul_f64_e32 v[2:3], v[40:41], v[2:3]
	v_add_f64_e32 v[10:11], v[44:45], v[2:3]
	s_delay_alu instid0(VALU_DEP_1) | instskip(NEXT) | instid1(VALU_DEP_1)
	v_mul_f64_e32 v[40:41], v[10:11], v[10:11]
	v_fmamk_f64 v[46:47], v[40:41], 0x3fc3ab76bf559e2b, v[24:25]
	v_mul_f64_e32 v[48:49], v[10:11], v[40:41]
	s_delay_alu instid0(VALU_DEP_2) | instskip(NEXT) | instid1(VALU_DEP_1)
	v_fmaak_f64 v[46:47], v[40:41], v[46:47], 0x3fc7474dd7f4df2e
	v_fmaak_f64 v[46:47], v[40:41], v[46:47], 0x3fcc71c016291751
	s_delay_alu instid0(VALU_DEP_1) | instskip(NEXT) | instid1(VALU_DEP_1)
	v_fmaak_f64 v[46:47], v[40:41], v[46:47], 0x3fd249249b27acf1
	v_fmaak_f64 v[46:47], v[40:41], v[46:47], 0x3fd99999998ef7b6
	s_delay_alu instid0(VALU_DEP_1) | instskip(SKIP_2) | instid1(VALU_DEP_3)
	v_fmaak_f64 v[40:41], v[40:41], v[46:47], 0x3fe5555555555780
	v_ldexp_f64 v[46:47], v[10:11], 1
	v_add_f64_e64 v[10:11], v[10:11], -v[44:45]
	v_mul_f64_e32 v[40:41], v[48:49], v[40:41]
	v_cvt_f64_i32_e32 v[48:49], v4
	s_delay_alu instid0(VALU_DEP_3) | instskip(NEXT) | instid1(VALU_DEP_3)
	v_add_f64_e64 v[2:3], v[2:3], -v[10:11]
	v_add_f64_e32 v[44:45], v[46:47], v[40:41]
	s_delay_alu instid0(VALU_DEP_3) | instskip(NEXT) | instid1(VALU_DEP_3)
	v_mul_f64_e32 v[50:51], 0x3fe62e42fefa39ef, v[48:49]
	v_ldexp_f64 v[2:3], v[2:3], 1
	s_delay_alu instid0(VALU_DEP_3) | instskip(NEXT) | instid1(VALU_DEP_3)
	v_add_f64_e64 v[10:11], v[44:45], -v[46:47]
	v_fma_f64 v[46:47], v[48:49], s[30:31], -v[50:51]
	s_delay_alu instid0(VALU_DEP_2) | instskip(NEXT) | instid1(VALU_DEP_2)
	v_add_f64_e64 v[10:11], v[40:41], -v[10:11]
	v_fmac_f64_e32 v[46:47], 0x3c7abc9e3b39803f, v[48:49]
	s_delay_alu instid0(VALU_DEP_2) | instskip(NEXT) | instid1(VALU_DEP_2)
	v_add_f64_e32 v[2:3], v[2:3], v[10:11]
	v_add_f64_e32 v[10:11], v[50:51], v[46:47]
	s_delay_alu instid0(VALU_DEP_2) | instskip(NEXT) | instid1(VALU_DEP_2)
	v_add_f64_e32 v[40:41], v[44:45], v[2:3]
	v_add_f64_e64 v[50:51], v[10:11], -v[50:51]
	s_delay_alu instid0(VALU_DEP_2) | instskip(SKIP_1) | instid1(VALU_DEP_3)
	v_add_f64_e32 v[48:49], v[10:11], v[40:41]
	v_add_f64_e64 v[44:45], v[40:41], -v[44:45]
	v_add_f64_e64 v[46:47], v[46:47], -v[50:51]
	s_delay_alu instid0(VALU_DEP_3) | instskip(NEXT) | instid1(VALU_DEP_3)
	v_add_f64_e64 v[52:53], v[48:49], -v[10:11]
	v_add_f64_e64 v[2:3], v[2:3], -v[44:45]
	s_delay_alu instid0(VALU_DEP_2) | instskip(SKIP_1) | instid1(VALU_DEP_3)
	v_add_f64_e64 v[54:55], v[48:49], -v[52:53]
	v_add_f64_e64 v[40:41], v[40:41], -v[52:53]
	v_add_f64_e32 v[44:45], v[46:47], v[2:3]
	s_delay_alu instid0(VALU_DEP_3) | instskip(NEXT) | instid1(VALU_DEP_1)
	v_add_f64_e64 v[10:11], v[10:11], -v[54:55]
	v_add_f64_e32 v[10:11], v[40:41], v[10:11]
	s_delay_alu instid0(VALU_DEP_3) | instskip(NEXT) | instid1(VALU_DEP_2)
	v_add_f64_e64 v[40:41], v[44:45], -v[46:47]
	v_add_f64_e32 v[10:11], v[44:45], v[10:11]
	s_delay_alu instid0(VALU_DEP_2) | instskip(SKIP_1) | instid1(VALU_DEP_3)
	v_add_f64_e64 v[44:45], v[44:45], -v[40:41]
	v_add_f64_e64 v[2:3], v[2:3], -v[40:41]
	v_add_f64_e32 v[50:51], v[48:49], v[10:11]
	s_delay_alu instid0(VALU_DEP_3) | instskip(NEXT) | instid1(VALU_DEP_2)
	v_add_f64_e64 v[40:41], v[46:47], -v[44:45]
	v_add_f64_e64 v[44:45], v[50:51], -v[48:49]
	s_delay_alu instid0(VALU_DEP_2) | instskip(SKIP_1) | instid1(VALU_DEP_3)
	v_add_f64_e32 v[2:3], v[2:3], v[40:41]
	v_mov_b64_e32 v[40:41], 0x7ff8000000000000
	v_add_f64_e64 v[10:11], v[10:11], -v[44:45]
	s_delay_alu instid0(VALU_DEP_1) | instskip(NEXT) | instid1(VALU_DEP_1)
	v_add_f64_e32 v[2:3], v[2:3], v[10:11]
	v_add_f64_e32 v[2:3], v[50:51], v[2:3]
	s_delay_alu instid0(VALU_DEP_1) | instskip(SKIP_1) | instid1(VALU_DEP_2)
	v_dual_cndmask_b32 v2, v2, v42 :: v_dual_cndmask_b32 v3, v3, v43
	v_cmp_ngt_f64_e32 vcc_lo, 0, v[42:43]
	v_cndmask_b32_e32 v3, 0x7ff80000, v3, vcc_lo
	v_cmp_nge_f64_e32 vcc_lo, 0, v[42:43]
	s_delay_alu instid0(VALU_DEP_4) | instskip(SKIP_1) | instid1(VALU_DEP_4)
	v_cndmask_b32_e32 v10, 0, v2, vcc_lo
	v_cmp_neq_f64_e32 vcc_lo, 0, v[42:43]
	v_cndmask_b32_e32 v11, 0xfff00000, v3, vcc_lo
.LBB191_221:                            ;   in Loop: Header=BB191_145 Depth=1
	s_or_b32 exec_lo, exec_lo, s4
                                        ; implicit-def: $vgpr2_vgpr3
                                        ; implicit-def: $vgpr42_vgpr43
	s_delay_alu instid0(SALU_CYCLE_1)
	s_mov_b32 s4, exec_lo
	v_cmpx_o_f64_e32 v[14:15], v[16:17]
	s_xor_b32 s15, exec_lo, s4
	s_cbranch_execz .LBB191_249
; %bb.222:                              ;   in Loop: Header=BB191_145 Depth=1
	v_cmp_lt_f64_e64 s4, |v[14:15]|, |v[16:17]|
	v_and_b32_e32 v12, 0x7fffffff, v15
	v_and_b32_e32 v21, 0x7fffffff, v17
	v_mov_b32_e32 v4, v16
                                        ; implicit-def: $vgpr2_vgpr3
                                        ; implicit-def: $vgpr42_vgpr43
	s_mov_b32 s5, exec_lo
	s_delay_alu instid0(VALU_DEP_2) | instskip(NEXT) | instid1(VALU_DEP_1)
	v_dual_cndmask_b32 v47, v21, v12, s4 :: v_dual_cndmask_b32 v46, v16, v14, s4
	v_cmpx_nlt_f64_e32 s[22:23], v[46:47]
	s_xor_b32 s33, exec_lo, s5
	s_cbranch_execz .LBB191_246
; %bb.223:                              ;   in Loop: Header=BB191_145 Depth=1
	v_dual_cndmask_b32 v49, v12, v21, s4 :: v_dual_cndmask_b32 v48, v14, v4, s4
                                        ; implicit-def: $vgpr2_vgpr3
                                        ; implicit-def: $vgpr42_vgpr43
	s_mov_b32 s5, exec_lo
	s_delay_alu instid0(VALU_DEP_1)
	v_cmpx_neq_f64_e32 1.0, v[48:49]
	s_xor_b32 s52, exec_lo, s5
	s_cbranch_execz .LBB191_239
; %bb.224:                              ;   in Loop: Header=BB191_145 Depth=1
	v_max_num_f64_e32 v[2:3], v[46:47], v[46:47]
	v_max_num_f64_e32 v[42:43], v[48:49], v[48:49]
	s_delay_alu instid0(VALU_DEP_1) | instskip(SKIP_1) | instid1(VALU_DEP_2)
	v_min_num_f64_e32 v[44:45], v[42:43], v[2:3]
	v_max_num_f64_e32 v[2:3], v[42:43], v[2:3]
                                        ; implicit-def: $vgpr42_vgpr43
	v_cmp_ngt_f64_e32 vcc_lo, s[24:25], v[44:45]
	s_delay_alu instid0(VALU_DEP_2) | instskip(SKIP_1) | instid1(SALU_CYCLE_1)
	v_cmp_nlt_f64_e64 s5, s[26:27], v[2:3]
                                        ; implicit-def: $vgpr2_vgpr3
	s_and_b32 s5, s5, vcc_lo
	s_and_saveexec_b32 s6, s5
	s_delay_alu instid0(SALU_CYCLE_1)
	s_xor_b32 s53, exec_lo, s6
	s_cbranch_execz .LBB191_236
; %bb.225:                              ;   in Loop: Header=BB191_145 Depth=1
                                        ; implicit-def: $vgpr2_vgpr3
                                        ; implicit-def: $vgpr42_vgpr43
	s_mov_b32 s5, exec_lo
	v_cmpx_le_f64_e32 1.0, v[48:49]
	s_xor_b32 s8, exec_lo, s5
	s_cbranch_execz .LBB191_227
; %bb.226:                              ;   in Loop: Header=BB191_145 Depth=1
	v_add_f64_e32 v[2:3], -1.0, v[48:49]
	v_add_f64_e32 v[42:43], 1.0, v[48:49]
	v_cmp_eq_f64_e64 s5, 0, v[16:17]
	v_cmp_class_f64_e64 s10, v[14:15], 0x204
	v_cmp_class_f64_e64 s9, v[16:17], 0x204
	s_delay_alu instid0(VALU_DEP_4) | instskip(NEXT) | instid1(VALU_DEP_1)
	v_mul_f64_e32 v[44:45], v[2:3], v[42:43]
	v_fmac_f64_e32 v[44:45], v[46:47], v[46:47]
	s_delay_alu instid0(VALU_DEP_1) | instskip(SKIP_2) | instid1(VALU_DEP_3)
	v_add_f64_e32 v[2:3], 1.0, v[44:45]
	v_cmp_nge_f64_e64 s6, -1.0, v[44:45]
	v_cmp_neq_f64_e64 s7, 0x7ff00000, v[44:45]
	v_frexp_mant_f64_e32 v[42:43], v[2:3]
	v_frexp_exp_i32_f64_e32 v4, v[2:3]
	v_add_f64_e32 v[46:47], -1.0, v[2:3]
	s_delay_alu instid0(VALU_DEP_3) | instskip(NEXT) | instid1(VALU_DEP_2)
	v_cmp_gt_f64_e32 vcc_lo, s[28:29], v[42:43]
	v_add_f64_e64 v[42:43], v[46:47], -v[2:3]
	v_add_f64_e64 v[46:47], v[44:45], -v[46:47]
	v_subrev_co_ci_u32_e64 v4, null, 0, v4, vcc_lo
	s_delay_alu instid0(VALU_DEP_1) | instskip(NEXT) | instid1(VALU_DEP_1)
	v_dual_add_f64 v[42:43], 1.0, v[42:43] :: v_dual_sub_nc_u32 v12, 0, v4
	v_ldexp_f64 v[2:3], v[2:3], v12
	s_delay_alu instid0(VALU_DEP_2) | instskip(NEXT) | instid1(VALU_DEP_2)
	v_add_f64_e32 v[42:43], v[46:47], v[42:43]
	v_add_f64_e32 v[48:49], 1.0, v[2:3]
	v_add_f64_e32 v[54:55], -1.0, v[2:3]
	s_delay_alu instid0(VALU_DEP_3) | instskip(NEXT) | instid1(VALU_DEP_3)
	v_ldexp_f64 v[42:43], v[42:43], v12
	v_add_f64_e32 v[46:47], -1.0, v[48:49]
	s_delay_alu instid0(VALU_DEP_3) | instskip(NEXT) | instid1(VALU_DEP_2)
	v_add_f64_e32 v[56:57], 1.0, v[54:55]
	v_add_f64_e64 v[46:47], v[2:3], -v[46:47]
	s_delay_alu instid0(VALU_DEP_2) | instskip(NEXT) | instid1(VALU_DEP_2)
	v_add_f64_e64 v[2:3], v[2:3], -v[56:57]
	v_add_f64_e32 v[46:47], v[42:43], v[46:47]
	s_delay_alu instid0(VALU_DEP_2) | instskip(NEXT) | instid1(VALU_DEP_2)
	v_add_f64_e32 v[2:3], v[42:43], v[2:3]
	v_add_f64_e32 v[50:51], v[48:49], v[46:47]
	s_delay_alu instid0(VALU_DEP_2) | instskip(NEXT) | instid1(VALU_DEP_2)
	v_add_f64_e32 v[56:57], v[54:55], v[2:3]
	v_rcp_f64_e32 v[52:53], v[50:51]
	v_add_f64_e64 v[48:49], v[50:51], -v[48:49]
	s_delay_alu instid0(VALU_DEP_2) | instskip(NEXT) | instid1(VALU_DEP_2)
	v_add_f64_e64 v[54:55], v[56:57], -v[54:55]
	v_add_f64_e64 v[46:47], v[46:47], -v[48:49]
	s_delay_alu instid0(VALU_DEP_2) | instskip(NEXT) | instid1(TRANS32_DEP_1)
	v_add_f64_e64 v[2:3], v[2:3], -v[54:55]
	v_fma_f64 v[58:59], -v[50:51], v[52:53], 1.0
	s_delay_alu instid0(VALU_DEP_1) | instskip(NEXT) | instid1(VALU_DEP_1)
	v_fmac_f64_e32 v[52:53], v[58:59], v[52:53]
	v_fma_f64 v[42:43], -v[50:51], v[52:53], 1.0
	s_delay_alu instid0(VALU_DEP_1) | instskip(NEXT) | instid1(VALU_DEP_1)
	v_fmac_f64_e32 v[52:53], v[42:43], v[52:53]
	v_mul_f64_e32 v[42:43], v[56:57], v[52:53]
	s_delay_alu instid0(VALU_DEP_1) | instskip(NEXT) | instid1(VALU_DEP_1)
	v_mul_f64_e32 v[58:59], v[50:51], v[42:43]
	v_fma_f64 v[48:49], v[42:43], v[50:51], -v[58:59]
	s_delay_alu instid0(VALU_DEP_1) | instskip(NEXT) | instid1(VALU_DEP_1)
	v_fmac_f64_e32 v[48:49], v[42:43], v[46:47]
	v_add_f64_e32 v[60:61], v[58:59], v[48:49]
	s_delay_alu instid0(VALU_DEP_1) | instskip(SKIP_1) | instid1(VALU_DEP_2)
	v_add_f64_e64 v[62:63], v[56:57], -v[60:61]
	v_add_f64_e64 v[54:55], v[60:61], -v[58:59]
	;; [unrolled: 1-line block ×3, first 2 shown]
	s_delay_alu instid0(VALU_DEP_2) | instskip(NEXT) | instid1(VALU_DEP_2)
	v_add_f64_e64 v[48:49], v[54:55], -v[48:49]
	v_add_f64_e64 v[56:57], v[56:57], -v[60:61]
	s_delay_alu instid0(VALU_DEP_1) | instskip(NEXT) | instid1(VALU_DEP_1)
	v_add_f64_e32 v[2:3], v[2:3], v[56:57]
	v_add_f64_e32 v[2:3], v[48:49], v[2:3]
	s_delay_alu instid0(VALU_DEP_1) | instskip(NEXT) | instid1(VALU_DEP_1)
	v_add_f64_e32 v[48:49], v[62:63], v[2:3]
	v_mul_f64_e32 v[54:55], v[52:53], v[48:49]
	v_add_f64_e64 v[60:61], v[62:63], -v[48:49]
	s_delay_alu instid0(VALU_DEP_2) | instskip(NEXT) | instid1(VALU_DEP_2)
	v_mul_f64_e32 v[56:57], v[50:51], v[54:55]
	v_add_f64_e32 v[2:3], v[2:3], v[60:61]
	s_delay_alu instid0(VALU_DEP_2) | instskip(NEXT) | instid1(VALU_DEP_1)
	v_fma_f64 v[50:51], v[54:55], v[50:51], -v[56:57]
	v_fmac_f64_e32 v[50:51], v[54:55], v[46:47]
	s_delay_alu instid0(VALU_DEP_1) | instskip(NEXT) | instid1(VALU_DEP_1)
	v_add_f64_e32 v[46:47], v[56:57], v[50:51]
	v_add_f64_e64 v[58:59], v[48:49], -v[46:47]
	v_add_f64_e64 v[56:57], v[46:47], -v[56:57]
	s_delay_alu instid0(VALU_DEP_2) | instskip(NEXT) | instid1(VALU_DEP_1)
	v_add_f64_e64 v[48:49], v[48:49], -v[58:59]
	v_add_f64_e64 v[46:47], v[48:49], -v[46:47]
	s_delay_alu instid0(VALU_DEP_3) | instskip(SKIP_1) | instid1(VALU_DEP_3)
	v_add_f64_e64 v[48:49], v[56:57], -v[50:51]
	v_max_num_f64_e64 v[50:51], |v[14:15]|, |v[14:15]|
	v_add_f64_e32 v[2:3], v[2:3], v[46:47]
	v_add_f64_e32 v[46:47], v[42:43], v[54:55]
	s_delay_alu instid0(VALU_DEP_2) | instskip(NEXT) | instid1(VALU_DEP_2)
	v_add_f64_e32 v[2:3], v[48:49], v[2:3]
	v_add_f64_e64 v[42:43], v[46:47], -v[42:43]
	v_max_num_f64_e64 v[48:49], |v[16:17]|, |v[16:17]|
	s_delay_alu instid0(VALU_DEP_3) | instskip(NEXT) | instid1(VALU_DEP_3)
	v_add_f64_e32 v[2:3], v[58:59], v[2:3]
	v_add_f64_e64 v[42:43], v[54:55], -v[42:43]
	s_delay_alu instid0(VALU_DEP_2) | instskip(NEXT) | instid1(VALU_DEP_1)
	v_mul_f64_e32 v[2:3], v[52:53], v[2:3]
	v_add_f64_e32 v[2:3], v[42:43], v[2:3]
	v_max_num_f64_e32 v[42:43], v[50:51], v[48:49]
	v_min_num_f64_e32 v[48:49], v[50:51], v[48:49]
	s_delay_alu instid0(VALU_DEP_3) | instskip(NEXT) | instid1(VALU_DEP_2)
	v_add_f64_e32 v[50:51], v[46:47], v[2:3]
	v_div_scale_f64 v[52:53], null, v[42:43], v[42:43], v[48:49]
	s_delay_alu instid0(VALU_DEP_2) | instskip(SKIP_1) | instid1(VALU_DEP_3)
	v_mul_f64_e32 v[54:55], v[50:51], v[50:51]
	v_add_f64_e64 v[46:47], v[50:51], -v[46:47]
	v_rcp_f64_e32 v[56:57], v[52:53]
	s_delay_alu instid0(VALU_DEP_2) | instskip(SKIP_1) | instid1(VALU_DEP_3)
	v_fmamk_f64 v[58:59], v[54:55], 0x3fc3ab76bf559e2b, v[24:25]
	v_mul_f64_e32 v[60:61], v[50:51], v[54:55]
	v_add_f64_e64 v[2:3], v[2:3], -v[46:47]
	s_delay_alu instid0(VALU_DEP_3) | instskip(NEXT) | instid1(TRANS32_DEP_1)
	v_fmaak_f64 v[58:59], v[54:55], v[58:59], 0x3fc7474dd7f4df2e
	v_fma_f64 v[62:63], -v[52:53], v[56:57], 1.0
	s_delay_alu instid0(VALU_DEP_2) | instskip(NEXT) | instid1(VALU_DEP_1)
	v_fmaak_f64 v[58:59], v[54:55], v[58:59], 0x3fcc71c016291751
	v_fmaak_f64 v[58:59], v[54:55], v[58:59], 0x3fd249249b27acf1
	s_delay_alu instid0(VALU_DEP_1) | instskip(SKIP_1) | instid1(VALU_DEP_2)
	v_fmaak_f64 v[58:59], v[54:55], v[58:59], 0x3fd99999998ef7b6
	v_ldexp_f64 v[2:3], v[2:3], 1
	v_fmaak_f64 v[54:55], v[54:55], v[58:59], 0x3fe5555555555780
	v_ldexp_f64 v[58:59], v[50:51], 1
	v_fmac_f64_e32 v[56:57], v[56:57], v[62:63]
	s_delay_alu instid0(VALU_DEP_3) | instskip(SKIP_2) | instid1(VALU_DEP_1)
	v_mul_f64_e32 v[54:55], v[60:61], v[54:55]
	v_cvt_f64_i32_e32 v[60:61], v4
	v_ashrrev_i32_e32 v4, 31, v15
	v_and_b32_e32 v21, 0x54442d18, v4
	v_and_b32_e32 v4, 0x400921fb, v4
	v_fma_f64 v[62:63], -v[52:53], v[56:57], 1.0
	v_add_f64_e32 v[50:51], v[58:59], v[54:55]
	v_mul_f64_e32 v[64:65], 0x3fe62e42fefa39ef, v[60:61]
	s_delay_alu instid0(VALU_DEP_3) | instskip(NEXT) | instid1(VALU_DEP_3)
	v_fmac_f64_e32 v[56:57], v[56:57], v[62:63]
	v_add_f64_e64 v[46:47], v[50:51], -v[58:59]
	v_div_scale_f64 v[58:59], vcc_lo, v[48:49], v[42:43], v[48:49]
	s_delay_alu instid0(VALU_DEP_4) | instskip(NEXT) | instid1(VALU_DEP_3)
	v_fma_f64 v[62:63], v[60:61], s[30:31], -v[64:65]
	v_add_f64_e64 v[46:47], v[54:55], -v[46:47]
	s_delay_alu instid0(VALU_DEP_3) | instskip(NEXT) | instid1(VALU_DEP_3)
	v_mul_f64_e32 v[54:55], v[58:59], v[56:57]
	v_fmac_f64_e32 v[62:63], 0x3c7abc9e3b39803f, v[60:61]
	s_delay_alu instid0(VALU_DEP_3) | instskip(NEXT) | instid1(VALU_DEP_3)
	v_add_f64_e32 v[2:3], v[2:3], v[46:47]
	v_fma_f64 v[46:47], -v[52:53], v[54:55], v[58:59]
	s_delay_alu instid0(VALU_DEP_3) | instskip(NEXT) | instid1(VALU_DEP_3)
	v_add_f64_e32 v[52:53], v[64:65], v[62:63]
	v_add_f64_e32 v[58:59], v[50:51], v[2:3]
	s_delay_alu instid0(VALU_DEP_3) | instskip(SKIP_1) | instid1(VALU_DEP_4)
	v_div_fmas_f64 v[46:47], v[46:47], v[56:57], v[54:55]
	v_cmp_gt_i32_e32 vcc_lo, 0, v15
	v_add_f64_e64 v[56:57], v[52:53], -v[64:65]
	v_cndmask_b32_e32 v12, 0x54442d18, v68, vcc_lo
	v_cndmask_b32_e32 v14, 0x3fe921fb, v69, vcc_lo
	s_delay_alu instid0(VALU_DEP_1) | instskip(SKIP_4) | instid1(VALU_DEP_4)
	v_bfi_b32 v14, 0x7fffffff, v14, v17
	v_add_f64_e32 v[54:55], v[52:53], v[58:59]
	v_div_fixup_f64 v[42:43], v[46:47], v[42:43], v[48:49]
	v_add_f64_e64 v[50:51], v[58:59], -v[50:51]
	v_add_f64_e64 v[56:57], v[62:63], -v[56:57]
	;; [unrolled: 1-line block ×3, first 2 shown]
	s_delay_alu instid0(VALU_DEP_4) | instskip(NEXT) | instid1(VALU_DEP_4)
	v_mul_f64_e32 v[48:49], v[42:43], v[42:43]
	v_add_f64_e64 v[2:3], v[2:3], -v[50:51]
	s_delay_alu instid0(VALU_DEP_3) | instskip(NEXT) | instid1(VALU_DEP_3)
	v_add_f64_e64 v[60:61], v[54:55], -v[46:47]
	v_fmamk_f64 v[64:65], v[48:49], 0x3eeba404b5e68a13, v[26:27]
	v_add_f64_e64 v[46:47], v[58:59], -v[46:47]
	s_delay_alu instid0(VALU_DEP_4) | instskip(NEXT) | instid1(VALU_DEP_3)
	v_add_f64_e32 v[58:59], v[56:57], v[2:3]
	v_fmaak_f64 v[64:65], v[48:49], v[64:65], 0x3f4b2bb069efb384
	v_add_f64_e64 v[50:51], v[52:53], -v[60:61]
	s_delay_alu instid0(VALU_DEP_2) | instskip(NEXT) | instid1(VALU_DEP_1)
	v_fmaak_f64 v[52:53], v[48:49], v[64:65], 0xbf67952daf56de9b
	v_fmaak_f64 v[52:53], v[48:49], v[52:53], 0x3f7d6d43a595c56f
	s_delay_alu instid0(VALU_DEP_1) | instskip(NEXT) | instid1(VALU_DEP_1)
	v_fmaak_f64 v[52:53], v[48:49], v[52:53], 0xbf8c6ea4a57d9582
	v_fmaak_f64 v[52:53], v[48:49], v[52:53], 0x3f967e295f08b19f
	s_delay_alu instid0(VALU_DEP_1) | instskip(SKIP_1) | instid1(VALU_DEP_2)
	v_fmaak_f64 v[52:53], v[48:49], v[52:53], 0xbf9e9ae6fc27006a
	v_add_f64_e32 v[46:47], v[46:47], v[50:51]
	v_fmaak_f64 v[50:51], v[48:49], v[52:53], 0x3fa2c15b5711927a
	v_add_f64_e64 v[52:53], v[58:59], -v[56:57]
	s_delay_alu instid0(VALU_DEP_2) | instskip(NEXT) | instid1(VALU_DEP_1)
	v_fmaak_f64 v[50:51], v[48:49], v[50:51], 0xbfa59976e82d3ff0
	v_fmaak_f64 v[50:51], v[48:49], v[50:51], 0x3fa82d5d6ef28734
	s_delay_alu instid0(VALU_DEP_1) | instskip(NEXT) | instid1(VALU_DEP_1)
	v_fmaak_f64 v[50:51], v[48:49], v[50:51], 0xbfaae5ce6a214619
	v_fmaak_f64 v[50:51], v[48:49], v[50:51], 0x3fae1bb48427b883
	v_add_f64_e32 v[46:47], v[58:59], v[46:47]
	v_add_f64_e64 v[58:59], v[58:59], -v[52:53]
	v_add_f64_e64 v[2:3], v[2:3], -v[52:53]
	s_delay_alu instid0(VALU_DEP_4) | instskip(NEXT) | instid1(VALU_DEP_1)
	v_fmaak_f64 v[50:51], v[48:49], v[50:51], 0xbfb110e48b207f05
	v_fmaak_f64 v[50:51], v[48:49], v[50:51], 0x3fb3b13657b87036
	s_delay_alu instid0(VALU_DEP_1) | instskip(NEXT) | instid1(VALU_DEP_1)
	v_fmaak_f64 v[50:51], v[48:49], v[50:51], 0xbfb745d119378e4f
	v_fmaak_f64 v[50:51], v[48:49], v[50:51], 0x3fbc71c717e1913c
	v_add_f64_e32 v[60:61], v[54:55], v[46:47]
	s_delay_alu instid0(VALU_DEP_2) | instskip(NEXT) | instid1(VALU_DEP_1)
	v_fmaak_f64 v[50:51], v[48:49], v[50:51], 0xbfc2492492376b7d
	v_fmaak_f64 v[50:51], v[48:49], v[50:51], 0x3fc99999999952cc
	s_delay_alu instid0(VALU_DEP_1) | instskip(NEXT) | instid1(VALU_DEP_1)
	v_fmaak_f64 v[50:51], v[48:49], v[50:51], 0xbfd5555555555523
	v_mul_f64_e32 v[48:49], v[48:49], v[50:51]
	v_add_f64_e64 v[50:51], v[56:57], -v[58:59]
	v_add_f64_e64 v[52:53], v[60:61], -v[54:55]
	s_delay_alu instid0(VALU_DEP_3) | instskip(NEXT) | instid1(VALU_DEP_3)
	v_fmac_f64_e32 v[42:43], v[42:43], v[48:49]
	v_add_f64_e32 v[2:3], v[2:3], v[50:51]
	s_delay_alu instid0(VALU_DEP_3) | instskip(NEXT) | instid1(VALU_DEP_3)
	v_add_f64_e64 v[46:47], v[46:47], -v[52:53]
	v_add_f64_e64 v[48:49], -v[42:43], s[38:39]
	s_delay_alu instid0(VALU_DEP_2) | instskip(NEXT) | instid1(VALU_DEP_2)
	v_add_f64_e32 v[2:3], v[2:3], v[46:47]
	v_dual_cndmask_b32 v43, v43, v49, s4 :: v_dual_cndmask_b32 v42, v42, v48, s4
                                        ; implicit-def: $vgpr48_vgpr49
	s_delay_alu instid0(VALU_DEP_1) | instskip(NEXT) | instid1(VALU_DEP_3)
	v_add_f64_e64 v[46:47], -v[42:43], s[40:41]
	v_add_f64_e32 v[2:3], v[60:61], v[2:3]
	s_delay_alu instid0(VALU_DEP_2) | instskip(SKIP_1) | instid1(VALU_DEP_3)
	v_dual_cndmask_b32 v42, v42, v46 :: v_dual_cndmask_b32 v15, v43, v47
	v_cmp_ngt_f64_e32 vcc_lo, -1.0, v[44:45]
	v_mul_f64_e32 v[2:3], 0.5, v[2:3]
                                        ; implicit-def: $vgpr46_vgpr47
	s_delay_alu instid0(VALU_DEP_3)
	v_dual_cndmask_b32 v21, v42, v21, s5 :: v_dual_cndmask_b32 v4, v15, v4, s5
	s_and_b32 s5, s6, s7
	s_delay_alu instid0(VALU_DEP_2) | instid1(SALU_CYCLE_1)
	v_cndmask_b32_e64 v2, 0, v2, s5
	v_cmp_neq_f64_e64 s5, -1.0, v[44:45]
	s_delay_alu instid0(VALU_DEP_4) | instskip(NEXT) | instid1(VALU_DEP_1)
	v_cndmask_b32_e64 v3, 0x7ff00000, v3, s7
	v_cndmask_b32_e32 v3, 0x7ff80000, v3, vcc_lo
	s_and_b32 vcc_lo, s9, s10
	v_dual_cndmask_b32 v43, v4, v14 :: v_dual_cndmask_b32 v42, v21, v12
	s_delay_alu instid0(VALU_DEP_2)
	v_cndmask_b32_e64 v3, 0xfff00000, v3, s5
.LBB191_227:                            ;   in Loop: Header=BB191_145 Depth=1
	s_and_not1_saveexec_b32 s54, s8
	s_cbranch_execz .LBB191_235
; %bb.228:                              ;   in Loop: Header=BB191_145 Depth=1
	v_mul_f64_e32 v[44:45], v[46:47], v[46:47]
                                        ; implicit-def: $vgpr2_vgpr3
                                        ; implicit-def: $vgpr42_vgpr43
	s_mov_b32 s5, exec_lo
	s_delay_alu instid0(VALU_DEP_1) | instskip(NEXT) | instid1(VALU_DEP_1)
	v_fmac_f64_e32 v[44:45], v[48:49], v[48:49]
	v_cmpx_ge_f64_e32 s[42:43], v[44:45]
	s_xor_b32 s7, exec_lo, s5
	s_cbranch_execz .LBB191_230
; %bb.229:                              ;   in Loop: Header=BB191_145 Depth=1
	v_frexp_mant_f64_e32 v[2:3], v[44:45]
	v_cmp_eq_f64_e64 s5, 0, v[16:17]
	v_cmp_neq_f64_e64 s6, 0, v[44:45]
	v_cmp_class_f64_e64 s8, v[16:17], 0x204
	v_cmp_class_f64_e64 s9, v[14:15], 0x204
	v_cmp_gt_f64_e32 vcc_lo, s[28:29], v[2:3]
	v_cndmask_b32_e64 v4, 0, 1, vcc_lo
	s_delay_alu instid0(VALU_DEP_1) | instskip(SKIP_1) | instid1(VALU_DEP_2)
	v_ldexp_f64 v[2:3], v[2:3], v4
	v_frexp_exp_i32_f64_e32 v4, v[44:45]
	v_add_f64_e32 v[42:43], 1.0, v[2:3]
	v_add_f64_e32 v[50:51], -1.0, v[2:3]
	s_delay_alu instid0(VALU_DEP_3) | instskip(NEXT) | instid1(VALU_DEP_3)
	v_subrev_co_ci_u32_e64 v4, null, 0, v4, vcc_lo
	v_rcp_f64_e32 v[46:47], v[42:43]
	v_add_f64_e32 v[52:53], -1.0, v[42:43]
	s_delay_alu instid0(VALU_DEP_1) | instskip(NEXT) | instid1(TRANS32_DEP_1)
	v_add_f64_e64 v[2:3], v[2:3], -v[52:53]
	v_fma_f64 v[48:49], -v[42:43], v[46:47], 1.0
	s_delay_alu instid0(VALU_DEP_1) | instskip(NEXT) | instid1(VALU_DEP_1)
	v_fmac_f64_e32 v[46:47], v[48:49], v[46:47]
	v_fma_f64 v[48:49], -v[42:43], v[46:47], 1.0
	s_delay_alu instid0(VALU_DEP_1) | instskip(NEXT) | instid1(VALU_DEP_1)
	v_fmac_f64_e32 v[46:47], v[48:49], v[46:47]
	v_mul_f64_e32 v[48:49], v[50:51], v[46:47]
	s_delay_alu instid0(VALU_DEP_1) | instskip(NEXT) | instid1(VALU_DEP_1)
	v_mul_f64_e32 v[54:55], v[42:43], v[48:49]
	v_fma_f64 v[42:43], v[48:49], v[42:43], -v[54:55]
	s_delay_alu instid0(VALU_DEP_1) | instskip(NEXT) | instid1(VALU_DEP_1)
	v_fmac_f64_e32 v[42:43], v[48:49], v[2:3]
	v_add_f64_e32 v[2:3], v[54:55], v[42:43]
	s_delay_alu instid0(VALU_DEP_1) | instskip(SKIP_1) | instid1(VALU_DEP_2)
	v_add_f64_e64 v[52:53], v[50:51], -v[2:3]
	v_add_f64_e64 v[54:55], v[2:3], -v[54:55]
	;; [unrolled: 1-line block ×3, first 2 shown]
	s_delay_alu instid0(VALU_DEP_2) | instskip(NEXT) | instid1(VALU_DEP_2)
	v_add_f64_e64 v[42:43], v[54:55], -v[42:43]
	v_add_f64_e64 v[2:3], v[50:51], -v[2:3]
	v_max_num_f64_e64 v[50:51], |v[14:15]|, |v[14:15]|
	s_delay_alu instid0(VALU_DEP_2) | instskip(SKIP_1) | instid1(VALU_DEP_2)
	v_add_f64_e32 v[2:3], v[42:43], v[2:3]
	v_max_num_f64_e64 v[42:43], |v[16:17]|, |v[16:17]|
	v_add_f64_e32 v[2:3], v[52:53], v[2:3]
	s_delay_alu instid0(VALU_DEP_1) | instskip(NEXT) | instid1(VALU_DEP_3)
	v_mul_f64_e32 v[2:3], v[46:47], v[2:3]
	v_max_num_f64_e32 v[46:47], v[50:51], v[42:43]
	v_min_num_f64_e32 v[42:43], v[50:51], v[42:43]
	s_delay_alu instid0(VALU_DEP_3) | instskip(NEXT) | instid1(VALU_DEP_2)
	v_add_f64_e32 v[50:51], v[48:49], v[2:3]
	v_div_scale_f64 v[52:53], null, v[46:47], v[46:47], v[42:43]
	s_delay_alu instid0(VALU_DEP_2) | instskip(SKIP_1) | instid1(VALU_DEP_3)
	v_mul_f64_e32 v[54:55], v[50:51], v[50:51]
	v_add_f64_e64 v[48:49], v[50:51], -v[48:49]
	v_rcp_f64_e32 v[56:57], v[52:53]
	s_delay_alu instid0(VALU_DEP_2) | instskip(SKIP_1) | instid1(VALU_DEP_3)
	v_fmamk_f64 v[58:59], v[54:55], 0x3fc3ab76bf559e2b, v[24:25]
	v_mul_f64_e32 v[60:61], v[50:51], v[54:55]
	v_add_f64_e64 v[2:3], v[2:3], -v[48:49]
	s_delay_alu instid0(VALU_DEP_3) | instskip(NEXT) | instid1(TRANS32_DEP_1)
	v_fmaak_f64 v[58:59], v[54:55], v[58:59], 0x3fc7474dd7f4df2e
	v_fma_f64 v[62:63], -v[52:53], v[56:57], 1.0
	s_delay_alu instid0(VALU_DEP_2) | instskip(NEXT) | instid1(VALU_DEP_1)
	v_fmaak_f64 v[58:59], v[54:55], v[58:59], 0x3fcc71c016291751
	v_fmaak_f64 v[58:59], v[54:55], v[58:59], 0x3fd249249b27acf1
	s_delay_alu instid0(VALU_DEP_1) | instskip(SKIP_1) | instid1(VALU_DEP_2)
	v_fmaak_f64 v[58:59], v[54:55], v[58:59], 0x3fd99999998ef7b6
	v_ldexp_f64 v[2:3], v[2:3], 1
	v_fmaak_f64 v[54:55], v[54:55], v[58:59], 0x3fe5555555555780
	v_ldexp_f64 v[58:59], v[50:51], 1
	v_fmac_f64_e32 v[56:57], v[56:57], v[62:63]
	s_delay_alu instid0(VALU_DEP_3) | instskip(SKIP_2) | instid1(VALU_DEP_1)
	v_mul_f64_e32 v[54:55], v[60:61], v[54:55]
	v_cvt_f64_i32_e32 v[60:61], v4
	v_ashrrev_i32_e32 v4, 31, v15
	v_and_b32_e32 v21, 0x54442d18, v4
	v_and_b32_e32 v4, 0x400921fb, v4
	v_fma_f64 v[62:63], -v[52:53], v[56:57], 1.0
	v_add_f64_e32 v[50:51], v[58:59], v[54:55]
	v_mul_f64_e32 v[64:65], 0x3fe62e42fefa39ef, v[60:61]
	s_delay_alu instid0(VALU_DEP_3) | instskip(NEXT) | instid1(VALU_DEP_3)
	v_fmac_f64_e32 v[56:57], v[56:57], v[62:63]
	v_add_f64_e64 v[48:49], v[50:51], -v[58:59]
	v_div_scale_f64 v[58:59], vcc_lo, v[42:43], v[46:47], v[42:43]
	s_delay_alu instid0(VALU_DEP_4) | instskip(NEXT) | instid1(VALU_DEP_3)
	v_fma_f64 v[62:63], v[60:61], s[30:31], -v[64:65]
	v_add_f64_e64 v[48:49], v[54:55], -v[48:49]
	s_delay_alu instid0(VALU_DEP_3) | instskip(NEXT) | instid1(VALU_DEP_3)
	v_mul_f64_e32 v[54:55], v[58:59], v[56:57]
	v_fmac_f64_e32 v[62:63], 0x3c7abc9e3b39803f, v[60:61]
	s_delay_alu instid0(VALU_DEP_3) | instskip(NEXT) | instid1(VALU_DEP_3)
	v_add_f64_e32 v[2:3], v[2:3], v[48:49]
	v_fma_f64 v[48:49], -v[52:53], v[54:55], v[58:59]
	s_delay_alu instid0(VALU_DEP_3) | instskip(NEXT) | instid1(VALU_DEP_3)
	v_add_f64_e32 v[52:53], v[64:65], v[62:63]
	v_add_f64_e32 v[58:59], v[50:51], v[2:3]
	s_delay_alu instid0(VALU_DEP_3) | instskip(SKIP_1) | instid1(VALU_DEP_4)
	v_div_fmas_f64 v[48:49], v[48:49], v[56:57], v[54:55]
	v_cmp_gt_i32_e32 vcc_lo, 0, v15
	v_add_f64_e64 v[56:57], v[52:53], -v[64:65]
	v_cndmask_b32_e32 v14, 0x3fe921fb, v69, vcc_lo
	v_cndmask_b32_e32 v12, 0x54442d18, v68, vcc_lo
	s_delay_alu instid0(VALU_DEP_2) | instskip(SKIP_4) | instid1(VALU_DEP_4)
	v_bfi_b32 v14, 0x7fffffff, v14, v17
	v_add_f64_e32 v[54:55], v[52:53], v[58:59]
	v_div_fixup_f64 v[42:43], v[48:49], v[46:47], v[42:43]
	v_add_f64_e64 v[50:51], v[58:59], -v[50:51]
	v_add_f64_e64 v[56:57], v[62:63], -v[56:57]
	;; [unrolled: 1-line block ×3, first 2 shown]
	s_delay_alu instid0(VALU_DEP_4) | instskip(NEXT) | instid1(VALU_DEP_4)
	v_mul_f64_e32 v[48:49], v[42:43], v[42:43]
	v_add_f64_e64 v[2:3], v[2:3], -v[50:51]
	s_delay_alu instid0(VALU_DEP_3) | instskip(NEXT) | instid1(VALU_DEP_3)
	v_add_f64_e64 v[60:61], v[54:55], -v[46:47]
	v_fmamk_f64 v[64:65], v[48:49], 0x3eeba404b5e68a13, v[26:27]
	v_add_f64_e64 v[46:47], v[58:59], -v[46:47]
	s_delay_alu instid0(VALU_DEP_4) | instskip(NEXT) | instid1(VALU_DEP_3)
	v_add_f64_e32 v[58:59], v[56:57], v[2:3]
	v_fmaak_f64 v[64:65], v[48:49], v[64:65], 0x3f4b2bb069efb384
	s_delay_alu instid0(VALU_DEP_1) | instskip(SKIP_1) | instid1(VALU_DEP_2)
	v_fmaak_f64 v[64:65], v[48:49], v[64:65], 0xbf67952daf56de9b
	v_add_f64_e64 v[50:51], v[52:53], -v[60:61]
	v_fmaak_f64 v[52:53], v[48:49], v[64:65], 0x3f7d6d43a595c56f
	s_delay_alu instid0(VALU_DEP_1) | instskip(NEXT) | instid1(VALU_DEP_1)
	v_fmaak_f64 v[52:53], v[48:49], v[52:53], 0xbf8c6ea4a57d9582
	v_fmaak_f64 v[52:53], v[48:49], v[52:53], 0x3f967e295f08b19f
	s_delay_alu instid0(VALU_DEP_1) | instskip(NEXT) | instid1(VALU_DEP_1)
	v_fmaak_f64 v[52:53], v[48:49], v[52:53], 0xbf9e9ae6fc27006a
	v_fmaak_f64 v[52:53], v[48:49], v[52:53], 0x3fa2c15b5711927a
	v_add_f64_e32 v[46:47], v[46:47], v[50:51]
	s_delay_alu instid0(VALU_DEP_2) | instskip(SKIP_1) | instid1(VALU_DEP_2)
	v_fmaak_f64 v[50:51], v[48:49], v[52:53], 0xbfa59976e82d3ff0
	v_add_f64_e64 v[52:53], v[58:59], -v[56:57]
	v_fmaak_f64 v[50:51], v[48:49], v[50:51], 0x3fa82d5d6ef28734
	s_delay_alu instid0(VALU_DEP_1) | instskip(NEXT) | instid1(VALU_DEP_1)
	v_fmaak_f64 v[50:51], v[48:49], v[50:51], 0xbfaae5ce6a214619
	v_fmaak_f64 v[50:51], v[48:49], v[50:51], 0x3fae1bb48427b883
	s_delay_alu instid0(VALU_DEP_1) | instskip(SKIP_3) | instid1(VALU_DEP_4)
	v_fmaak_f64 v[50:51], v[48:49], v[50:51], 0xbfb110e48b207f05
	v_add_f64_e32 v[46:47], v[58:59], v[46:47]
	v_add_f64_e64 v[58:59], v[58:59], -v[52:53]
	v_add_f64_e64 v[2:3], v[2:3], -v[52:53]
	v_fmaak_f64 v[50:51], v[48:49], v[50:51], 0x3fb3b13657b87036
	s_delay_alu instid0(VALU_DEP_1) | instskip(NEXT) | instid1(VALU_DEP_1)
	v_fmaak_f64 v[50:51], v[48:49], v[50:51], 0xbfb745d119378e4f
	v_fmaak_f64 v[50:51], v[48:49], v[50:51], 0x3fbc71c717e1913c
	s_delay_alu instid0(VALU_DEP_1) | instskip(SKIP_1) | instid1(VALU_DEP_2)
	v_fmaak_f64 v[50:51], v[48:49], v[50:51], 0xbfc2492492376b7d
	v_add_f64_e32 v[60:61], v[54:55], v[46:47]
	v_fmaak_f64 v[50:51], v[48:49], v[50:51], 0x3fc99999999952cc
	s_delay_alu instid0(VALU_DEP_1) | instskip(NEXT) | instid1(VALU_DEP_1)
	v_fmaak_f64 v[50:51], v[48:49], v[50:51], 0xbfd5555555555523
	v_mul_f64_e32 v[48:49], v[48:49], v[50:51]
	v_add_f64_e64 v[50:51], v[56:57], -v[58:59]
	v_add_f64_e64 v[52:53], v[60:61], -v[54:55]
	s_delay_alu instid0(VALU_DEP_3) | instskip(NEXT) | instid1(VALU_DEP_3)
	v_fmac_f64_e32 v[42:43], v[42:43], v[48:49]
	v_add_f64_e32 v[2:3], v[2:3], v[50:51]
	s_delay_alu instid0(VALU_DEP_3) | instskip(NEXT) | instid1(VALU_DEP_3)
	v_add_f64_e64 v[46:47], v[46:47], -v[52:53]
	v_add_f64_e64 v[48:49], -v[42:43], s[38:39]
	s_delay_alu instid0(VALU_DEP_2) | instskip(NEXT) | instid1(VALU_DEP_2)
	v_add_f64_e32 v[2:3], v[2:3], v[46:47]
	v_dual_cndmask_b32 v43, v43, v49, s4 :: v_dual_cndmask_b32 v42, v42, v48, s4
                                        ; implicit-def: $vgpr48_vgpr49
	s_delay_alu instid0(VALU_DEP_1) | instskip(NEXT) | instid1(VALU_DEP_3)
	v_add_f64_e64 v[46:47], -v[42:43], s[40:41]
	v_add_f64_e32 v[2:3], v[60:61], v[2:3]
	s_delay_alu instid0(VALU_DEP_2) | instskip(SKIP_1) | instid1(VALU_DEP_1)
	v_dual_cndmask_b32 v42, v42, v46 :: v_dual_cndmask_b32 v15, v43, v47
	s_and_b32 vcc_lo, s8, s9
                                        ; implicit-def: $vgpr46_vgpr47
	v_dual_cndmask_b32 v21, v42, v21, s5 :: v_dual_cndmask_b32 v4, v15, v4, s5
	s_delay_alu instid0(VALU_DEP_1) | instskip(NEXT) | instid1(VALU_DEP_2)
	v_dual_mul_f64 v[2:3], 0.5, v[2:3] :: v_dual_cndmask_b32 v42, v21, v12, vcc_lo
	v_cndmask_b32_e32 v43, v4, v14, vcc_lo
	s_delay_alu instid0(VALU_DEP_2) | instskip(NEXT) | instid1(VALU_DEP_3)
	v_cndmask_b32_e64 v3, 0xfff00000, v3, s6
	v_cndmask_b32_e64 v2, 0, v2, s6
.LBB191_230:                            ;   in Loop: Header=BB191_145 Depth=1
	s_and_not1_saveexec_b32 s55, s7
	s_cbranch_execz .LBB191_234
; %bb.231:                              ;   in Loop: Header=BB191_145 Depth=1
	v_and_b32_e32 v21, 0x7ffffff8, v49
	v_and_b32_e32 v43, 0x7ffffff8, v47
	v_mov_b32_e32 v42, v20
	s_mov_b32 s56, 0
	v_mov_b32_e32 v50, v20
	v_add_f64_e64 v[2:3], v[48:49], -v[20:21]
	s_delay_alu instid0(VALU_DEP_3)
	v_dual_add_f64 v[44:45], v[46:47], -v[42:43] :: v_dual_mov_b32 v48, v20
	v_add_f64_e32 v[52:53], v[20:21], v[20:21]
	v_mul_f64_e32 v[46:47], v[42:43], v[42:43]
	v_add_f64_e32 v[60:61], v[42:43], v[42:43]
	v_and_b32_e32 v49, -8, v3
	v_and_b32_e32 v51, -8, v45
	s_delay_alu instid0(VALU_DEP_2) | instskip(SKIP_1) | instid1(VALU_DEP_3)
	v_add_f64_e64 v[62:63], v[2:3], -v[48:49]
	v_add_f64_e32 v[66:67], v[48:49], v[48:49]
	v_add_f64_e64 v[64:65], v[44:45], -v[50:51]
	v_add_f64_e32 v[70:71], v[50:51], v[50:51]
	v_mul_f64_e32 v[2:3], v[20:21], v[20:21]
	v_mul_f64_e32 v[58:59], v[52:53], v[48:49]
	;; [unrolled: 1-line block ×11, first 2 shown]
.LBB191_232:                            ;   Parent Loop BB191_145 Depth=1
                                        ; =>  This Inner Loop Header: Depth=2
	v_cmp_nlt_f64_e32 vcc_lo, v[2:3], v[46:47]
	v_dual_cndmask_b32 v65, v3, v47 :: v_dual_cndmask_b32 v64, v2, v46
	v_dual_cndmask_b32 v3, v47, v3 :: v_dual_cndmask_b32 v2, v46, v2
	s_delay_alu instid0(VALU_DEP_2) | instskip(NEXT) | instid1(VALU_DEP_1)
	v_cmp_nlt_f64_e64 s5, v[64:65], v[58:59]
	v_dual_cndmask_b32 v67, v65, v59, s5 :: v_dual_cndmask_b32 v66, v64, v58, s5
	v_dual_cndmask_b32 v47, v59, v65, s5 :: v_dual_cndmask_b32 v46, v58, v64, s5
	s_and_b32 s5, vcc_lo, s5
	s_delay_alu instid0(VALU_DEP_2) | instskip(NEXT) | instid1(VALU_DEP_1)
	v_cmp_nlt_f64_e64 s6, v[66:67], v[44:45]
	v_dual_cndmask_b32 v71, v67, v45, s6 :: v_dual_cndmask_b32 v70, v66, v44, s6
	v_dual_cndmask_b32 v59, v45, v67, s6 :: v_dual_cndmask_b32 v58, v44, v66, s6
	s_delay_alu instid0(VALU_DEP_2) | instskip(NEXT) | instid1(VALU_DEP_1)
	v_cmp_nlt_f64_e64 s7, v[70:71], v[56:57]
	v_dual_cndmask_b32 v73, v71, v57, s7 :: v_dual_cndmask_b32 v72, v70, v56, s7
	v_dual_cndmask_b32 v45, v57, v71, s7 :: v_dual_cndmask_b32 v44, v56, v70, s7
	s_and_b32 s6, s6, s7
	s_delay_alu instid0(VALU_DEP_2) | instskip(NEXT) | instid1(VALU_DEP_1)
	v_cmp_nlt_f64_e64 s8, v[72:73], v[42:43]
	v_dual_cndmask_b32 v75, v73, v43, s8 :: v_dual_cndmask_b32 v74, v72, v42, s8
	v_dual_cndmask_b32 v57, v43, v73, s8 :: v_dual_cndmask_b32 v56, v42, v72, s8
	s_delay_alu instid0(VALU_DEP_2) | instskip(NEXT) | instid1(VALU_DEP_1)
	v_cmp_nlt_f64_e64 s9, v[74:75], v[54:55]
	v_dual_cndmask_b32 v77, v75, v55, s9 :: v_dual_cndmask_b32 v76, v74, v54, s9
	s_and_b32 s7, s8, s9
	v_dual_cndmask_b32 v43, v55, v75, s9 :: v_dual_cndmask_b32 v42, v54, v74, s9
	s_delay_alu instid0(VALU_DEP_2) | instskip(NEXT) | instid1(VALU_DEP_1)
	v_cmp_nlt_f64_e64 s10, v[76:77], v[52:53]
	v_dual_cndmask_b32 v79, v77, v53, s10 :: v_dual_cndmask_b32 v78, v76, v52, s10
	s_and_b32 s7, s7, s10
	;; [unrolled: 5-line block ×6, first 2 shown]
	v_dual_cndmask_b32 v61, v63, v85, s14 :: v_dual_cndmask_b32 v60, v62, v84, s14
	s_and_b32 s6, s7, s6
	s_delay_alu instid0(VALU_DEP_2) | instskip(SKIP_1) | instid1(SALU_CYCLE_1)
	v_mov_b64_e32 v[62:63], v[64:65]
	s_and_b32 s5, s6, s5
	s_and_b32 s5, exec_lo, s5
	s_delay_alu instid0(SALU_CYCLE_1) | instskip(NEXT) | instid1(SALU_CYCLE_1)
	s_or_b32 s56, s5, s56
	s_and_not1_b32 exec_lo, exec_lo, s56
	s_cbranch_execnz .LBB191_232
; %bb.233:                              ;   in Loop: Header=BB191_145 Depth=1
	s_or_b32 exec_lo, exec_lo, s56
	v_add_f64_e32 v[2:3], -1.0, v[2:3]
	v_cmp_eq_f64_e64 s5, 0, v[16:17]
	v_cmp_class_f64_e64 s9, v[14:15], 0x204
	v_cmp_class_f64_e64 s8, v[16:17], 0x204
	s_delay_alu instid0(VALU_DEP_4) | instskip(NEXT) | instid1(VALU_DEP_1)
	v_add_f64_e32 v[2:3], v[2:3], v[46:47]
	v_add_f64_e32 v[2:3], v[2:3], v[58:59]
	s_delay_alu instid0(VALU_DEP_1) | instskip(NEXT) | instid1(VALU_DEP_1)
	v_add_f64_e32 v[2:3], v[2:3], v[44:45]
	v_add_f64_e32 v[2:3], v[2:3], v[56:57]
	s_delay_alu instid0(VALU_DEP_1) | instskip(NEXT) | instid1(VALU_DEP_1)
	;; [unrolled: 3-line block ×5, first 2 shown]
	v_add_f64_e32 v[44:45], v[64:65], v[2:3]
	v_add_f64_e32 v[2:3], 1.0, v[44:45]
	s_delay_alu instid0(VALU_DEP_1) | instskip(SKIP_2) | instid1(VALU_DEP_3)
	v_frexp_mant_f64_e32 v[42:43], v[2:3]
	v_frexp_exp_i32_f64_e32 v4, v[2:3]
	v_add_f64_e32 v[46:47], -1.0, v[2:3]
	v_cmp_gt_f64_e32 vcc_lo, s[28:29], v[42:43]
	s_delay_alu instid0(VALU_DEP_2) | instskip(SKIP_2) | instid1(VALU_DEP_1)
	v_add_f64_e64 v[42:43], v[46:47], -v[2:3]
	v_add_f64_e64 v[46:47], v[44:45], -v[46:47]
	v_subrev_co_ci_u32_e64 v4, null, 0, v4, vcc_lo
	v_dual_add_f64 v[42:43], 1.0, v[42:43] :: v_dual_sub_nc_u32 v12, 0, v4
	s_delay_alu instid0(VALU_DEP_1) | instskip(NEXT) | instid1(VALU_DEP_2)
	v_ldexp_f64 v[2:3], v[2:3], v12
	v_add_f64_e32 v[42:43], v[46:47], v[42:43]
	s_delay_alu instid0(VALU_DEP_2) | instskip(SKIP_1) | instid1(VALU_DEP_3)
	v_add_f64_e32 v[48:49], 1.0, v[2:3]
	v_add_f64_e32 v[54:55], -1.0, v[2:3]
	v_ldexp_f64 v[42:43], v[42:43], v12
	s_delay_alu instid0(VALU_DEP_3) | instskip(NEXT) | instid1(VALU_DEP_3)
	v_add_f64_e32 v[46:47], -1.0, v[48:49]
	v_add_f64_e32 v[56:57], 1.0, v[54:55]
	s_delay_alu instid0(VALU_DEP_2) | instskip(NEXT) | instid1(VALU_DEP_2)
	v_add_f64_e64 v[46:47], v[2:3], -v[46:47]
	v_add_f64_e64 v[2:3], v[2:3], -v[56:57]
	s_delay_alu instid0(VALU_DEP_2) | instskip(NEXT) | instid1(VALU_DEP_2)
	v_add_f64_e32 v[46:47], v[42:43], v[46:47]
	v_add_f64_e32 v[2:3], v[42:43], v[2:3]
	s_delay_alu instid0(VALU_DEP_2) | instskip(NEXT) | instid1(VALU_DEP_2)
	v_add_f64_e32 v[50:51], v[48:49], v[46:47]
	v_add_f64_e32 v[56:57], v[54:55], v[2:3]
	s_delay_alu instid0(VALU_DEP_2) | instskip(SKIP_1) | instid1(VALU_DEP_2)
	v_rcp_f64_e32 v[52:53], v[50:51]
	v_add_f64_e64 v[48:49], v[50:51], -v[48:49]
	v_add_f64_e64 v[54:55], v[56:57], -v[54:55]
	s_delay_alu instid0(VALU_DEP_2) | instskip(NEXT) | instid1(VALU_DEP_2)
	v_add_f64_e64 v[46:47], v[46:47], -v[48:49]
	v_add_f64_e64 v[2:3], v[2:3], -v[54:55]
	s_delay_alu instid0(TRANS32_DEP_1) | instskip(NEXT) | instid1(VALU_DEP_1)
	v_fma_f64 v[58:59], -v[50:51], v[52:53], 1.0
	v_fmac_f64_e32 v[52:53], v[58:59], v[52:53]
	s_delay_alu instid0(VALU_DEP_1) | instskip(NEXT) | instid1(VALU_DEP_1)
	v_fma_f64 v[42:43], -v[50:51], v[52:53], 1.0
	v_fmac_f64_e32 v[52:53], v[42:43], v[52:53]
	s_delay_alu instid0(VALU_DEP_1) | instskip(NEXT) | instid1(VALU_DEP_1)
	v_mul_f64_e32 v[42:43], v[56:57], v[52:53]
	v_mul_f64_e32 v[58:59], v[50:51], v[42:43]
	s_delay_alu instid0(VALU_DEP_1) | instskip(NEXT) | instid1(VALU_DEP_1)
	v_fma_f64 v[48:49], v[42:43], v[50:51], -v[58:59]
	v_fmac_f64_e32 v[48:49], v[42:43], v[46:47]
	s_delay_alu instid0(VALU_DEP_1) | instskip(NEXT) | instid1(VALU_DEP_1)
	v_add_f64_e32 v[60:61], v[58:59], v[48:49]
	v_add_f64_e64 v[62:63], v[56:57], -v[60:61]
	v_add_f64_e64 v[54:55], v[60:61], -v[58:59]
	s_delay_alu instid0(VALU_DEP_2) | instskip(NEXT) | instid1(VALU_DEP_2)
	v_add_f64_e64 v[56:57], v[56:57], -v[62:63]
	v_add_f64_e64 v[48:49], v[54:55], -v[48:49]
	s_delay_alu instid0(VALU_DEP_2) | instskip(NEXT) | instid1(VALU_DEP_1)
	v_add_f64_e64 v[56:57], v[56:57], -v[60:61]
	v_add_f64_e32 v[2:3], v[2:3], v[56:57]
	s_delay_alu instid0(VALU_DEP_1) | instskip(NEXT) | instid1(VALU_DEP_1)
	v_add_f64_e32 v[2:3], v[48:49], v[2:3]
	v_add_f64_e32 v[48:49], v[62:63], v[2:3]
	s_delay_alu instid0(VALU_DEP_1) | instskip(SKIP_1) | instid1(VALU_DEP_2)
	v_mul_f64_e32 v[54:55], v[52:53], v[48:49]
	v_add_f64_e64 v[60:61], v[62:63], -v[48:49]
	v_mul_f64_e32 v[56:57], v[50:51], v[54:55]
	s_delay_alu instid0(VALU_DEP_2) | instskip(NEXT) | instid1(VALU_DEP_2)
	v_add_f64_e32 v[2:3], v[2:3], v[60:61]
	v_fma_f64 v[50:51], v[54:55], v[50:51], -v[56:57]
	s_delay_alu instid0(VALU_DEP_1) | instskip(NEXT) | instid1(VALU_DEP_1)
	v_fmac_f64_e32 v[50:51], v[54:55], v[46:47]
	v_add_f64_e32 v[46:47], v[56:57], v[50:51]
	s_delay_alu instid0(VALU_DEP_1) | instskip(SKIP_1) | instid1(VALU_DEP_2)
	v_add_f64_e64 v[58:59], v[48:49], -v[46:47]
	v_add_f64_e64 v[56:57], v[46:47], -v[56:57]
	v_add_f64_e64 v[48:49], v[48:49], -v[58:59]
	s_delay_alu instid0(VALU_DEP_1) | instskip(NEXT) | instid1(VALU_DEP_3)
	v_add_f64_e64 v[46:47], v[48:49], -v[46:47]
	v_add_f64_e64 v[48:49], v[56:57], -v[50:51]
	v_max_num_f64_e64 v[50:51], |v[14:15]|, |v[14:15]|
	s_delay_alu instid0(VALU_DEP_3) | instskip(SKIP_1) | instid1(VALU_DEP_2)
	v_add_f64_e32 v[2:3], v[2:3], v[46:47]
	v_add_f64_e32 v[46:47], v[42:43], v[54:55]
	;; [unrolled: 1-line block ×3, first 2 shown]
	s_delay_alu instid0(VALU_DEP_2) | instskip(SKIP_1) | instid1(VALU_DEP_3)
	v_add_f64_e64 v[42:43], v[46:47], -v[42:43]
	v_max_num_f64_e64 v[48:49], |v[16:17]|, |v[16:17]|
	v_add_f64_e32 v[2:3], v[58:59], v[2:3]
	s_delay_alu instid0(VALU_DEP_3) | instskip(NEXT) | instid1(VALU_DEP_2)
	v_add_f64_e64 v[42:43], v[54:55], -v[42:43]
	v_mul_f64_e32 v[2:3], v[52:53], v[2:3]
	s_delay_alu instid0(VALU_DEP_1) | instskip(SKIP_2) | instid1(VALU_DEP_3)
	v_add_f64_e32 v[2:3], v[42:43], v[2:3]
	v_max_num_f64_e32 v[42:43], v[50:51], v[48:49]
	v_min_num_f64_e32 v[48:49], v[50:51], v[48:49]
	v_add_f64_e32 v[50:51], v[46:47], v[2:3]
	s_delay_alu instid0(VALU_DEP_2) | instskip(NEXT) | instid1(VALU_DEP_2)
	v_div_scale_f64 v[52:53], null, v[42:43], v[42:43], v[48:49]
	v_mul_f64_e32 v[54:55], v[50:51], v[50:51]
	v_add_f64_e64 v[46:47], v[50:51], -v[46:47]
	s_delay_alu instid0(VALU_DEP_3) | instskip(NEXT) | instid1(VALU_DEP_2)
	v_rcp_f64_e32 v[56:57], v[52:53]
	v_fmamk_f64 v[58:59], v[54:55], 0x3fc3ab76bf559e2b, v[24:25]
	v_mul_f64_e32 v[60:61], v[50:51], v[54:55]
	s_delay_alu instid0(VALU_DEP_3) | instskip(NEXT) | instid1(VALU_DEP_3)
	v_add_f64_e64 v[2:3], v[2:3], -v[46:47]
	v_fmaak_f64 v[58:59], v[54:55], v[58:59], 0x3fc7474dd7f4df2e
	s_delay_alu instid0(TRANS32_DEP_1) | instskip(NEXT) | instid1(VALU_DEP_2)
	v_fma_f64 v[62:63], -v[52:53], v[56:57], 1.0
	v_fmaak_f64 v[58:59], v[54:55], v[58:59], 0x3fcc71c016291751
	s_delay_alu instid0(VALU_DEP_1) | instskip(NEXT) | instid1(VALU_DEP_1)
	v_fmaak_f64 v[58:59], v[54:55], v[58:59], 0x3fd249249b27acf1
	v_fmaak_f64 v[58:59], v[54:55], v[58:59], 0x3fd99999998ef7b6
	v_ldexp_f64 v[2:3], v[2:3], 1
	s_delay_alu instid0(VALU_DEP_2) | instskip(SKIP_2) | instid1(VALU_DEP_3)
	v_fmaak_f64 v[54:55], v[54:55], v[58:59], 0x3fe5555555555780
	v_ldexp_f64 v[58:59], v[50:51], 1
	v_fmac_f64_e32 v[56:57], v[56:57], v[62:63]
	v_mul_f64_e32 v[54:55], v[60:61], v[54:55]
	v_cvt_f64_i32_e32 v[60:61], v4
	v_ashrrev_i32_e32 v4, 31, v15
	s_delay_alu instid0(VALU_DEP_1) | instskip(SKIP_4) | instid1(VALU_DEP_3)
	v_and_b32_e32 v21, 0x54442d18, v4
	v_and_b32_e32 v4, 0x400921fb, v4
	v_fma_f64 v[62:63], -v[52:53], v[56:57], 1.0
	v_add_f64_e32 v[50:51], v[58:59], v[54:55]
	v_mul_f64_e32 v[64:65], 0x3fe62e42fefa39ef, v[60:61]
	v_fmac_f64_e32 v[56:57], v[56:57], v[62:63]
	s_delay_alu instid0(VALU_DEP_3) | instskip(SKIP_1) | instid1(VALU_DEP_4)
	v_add_f64_e64 v[46:47], v[50:51], -v[58:59]
	v_div_scale_f64 v[58:59], vcc_lo, v[48:49], v[42:43], v[48:49]
	v_fma_f64 v[62:63], v[60:61], s[30:31], -v[64:65]
	s_delay_alu instid0(VALU_DEP_3) | instskip(NEXT) | instid1(VALU_DEP_3)
	v_add_f64_e64 v[46:47], v[54:55], -v[46:47]
	v_mul_f64_e32 v[54:55], v[58:59], v[56:57]
	s_delay_alu instid0(VALU_DEP_3) | instskip(NEXT) | instid1(VALU_DEP_3)
	v_fmac_f64_e32 v[62:63], 0x3c7abc9e3b39803f, v[60:61]
	v_add_f64_e32 v[2:3], v[2:3], v[46:47]
	s_delay_alu instid0(VALU_DEP_3) | instskip(NEXT) | instid1(VALU_DEP_3)
	v_fma_f64 v[46:47], -v[52:53], v[54:55], v[58:59]
	v_add_f64_e32 v[52:53], v[64:65], v[62:63]
	s_delay_alu instid0(VALU_DEP_3) | instskip(NEXT) | instid1(VALU_DEP_3)
	v_add_f64_e32 v[58:59], v[50:51], v[2:3]
	v_div_fmas_f64 v[46:47], v[46:47], v[56:57], v[54:55]
	v_cmp_gt_i32_e32 vcc_lo, 0, v15
	s_delay_alu instid0(VALU_DEP_4) | instskip(SKIP_2) | instid1(VALU_DEP_1)
	v_add_f64_e64 v[56:57], v[52:53], -v[64:65]
	v_cndmask_b32_e32 v12, 0x54442d18, v68, vcc_lo
	v_cndmask_b32_e32 v14, 0x3fe921fb, v69, vcc_lo
	v_bfi_b32 v14, 0x7fffffff, v14, v17
	v_add_f64_e32 v[54:55], v[52:53], v[58:59]
	v_div_fixup_f64 v[42:43], v[46:47], v[42:43], v[48:49]
	v_add_f64_e64 v[50:51], v[58:59], -v[50:51]
	v_add_f64_e64 v[56:57], v[62:63], -v[56:57]
	s_delay_alu instid0(VALU_DEP_4) | instskip(NEXT) | instid1(VALU_DEP_4)
	v_add_f64_e64 v[46:47], v[54:55], -v[52:53]
	v_mul_f64_e32 v[48:49], v[42:43], v[42:43]
	s_delay_alu instid0(VALU_DEP_4) | instskip(NEXT) | instid1(VALU_DEP_3)
	v_add_f64_e64 v[2:3], v[2:3], -v[50:51]
	v_add_f64_e64 v[60:61], v[54:55], -v[46:47]
	s_delay_alu instid0(VALU_DEP_3) | instskip(SKIP_1) | instid1(VALU_DEP_4)
	v_fmamk_f64 v[64:65], v[48:49], 0x3eeba404b5e68a13, v[26:27]
	v_add_f64_e64 v[46:47], v[58:59], -v[46:47]
	v_add_f64_e32 v[58:59], v[56:57], v[2:3]
	s_delay_alu instid0(VALU_DEP_3) | instskip(SKIP_1) | instid1(VALU_DEP_2)
	v_fmaak_f64 v[64:65], v[48:49], v[64:65], 0x3f4b2bb069efb384
	v_add_f64_e64 v[50:51], v[52:53], -v[60:61]
	v_fmaak_f64 v[52:53], v[48:49], v[64:65], 0xbf67952daf56de9b
	s_delay_alu instid0(VALU_DEP_1) | instskip(NEXT) | instid1(VALU_DEP_1)
	v_fmaak_f64 v[52:53], v[48:49], v[52:53], 0x3f7d6d43a595c56f
	v_fmaak_f64 v[52:53], v[48:49], v[52:53], 0xbf8c6ea4a57d9582
	s_delay_alu instid0(VALU_DEP_1) | instskip(NEXT) | instid1(VALU_DEP_1)
	v_fmaak_f64 v[52:53], v[48:49], v[52:53], 0x3f967e295f08b19f
	v_fmaak_f64 v[52:53], v[48:49], v[52:53], 0xbf9e9ae6fc27006a
	v_add_f64_e32 v[46:47], v[46:47], v[50:51]
	s_delay_alu instid0(VALU_DEP_2) | instskip(SKIP_1) | instid1(VALU_DEP_2)
	v_fmaak_f64 v[50:51], v[48:49], v[52:53], 0x3fa2c15b5711927a
	v_add_f64_e64 v[52:53], v[58:59], -v[56:57]
	v_fmaak_f64 v[50:51], v[48:49], v[50:51], 0xbfa59976e82d3ff0
	s_delay_alu instid0(VALU_DEP_1) | instskip(NEXT) | instid1(VALU_DEP_1)
	v_fmaak_f64 v[50:51], v[48:49], v[50:51], 0x3fa82d5d6ef28734
	v_fmaak_f64 v[50:51], v[48:49], v[50:51], 0xbfaae5ce6a214619
	s_delay_alu instid0(VALU_DEP_1) | instskip(SKIP_3) | instid1(VALU_DEP_4)
	v_fmaak_f64 v[50:51], v[48:49], v[50:51], 0x3fae1bb48427b883
	v_add_f64_e32 v[46:47], v[58:59], v[46:47]
	v_add_f64_e64 v[58:59], v[58:59], -v[52:53]
	v_add_f64_e64 v[2:3], v[2:3], -v[52:53]
	v_fmaak_f64 v[50:51], v[48:49], v[50:51], 0xbfb110e48b207f05
	s_delay_alu instid0(VALU_DEP_1) | instskip(NEXT) | instid1(VALU_DEP_1)
	v_fmaak_f64 v[50:51], v[48:49], v[50:51], 0x3fb3b13657b87036
	v_fmaak_f64 v[50:51], v[48:49], v[50:51], 0xbfb745d119378e4f
	s_delay_alu instid0(VALU_DEP_1) | instskip(SKIP_1) | instid1(VALU_DEP_2)
	v_fmaak_f64 v[50:51], v[48:49], v[50:51], 0x3fbc71c717e1913c
	v_add_f64_e32 v[60:61], v[54:55], v[46:47]
	v_fmaak_f64 v[50:51], v[48:49], v[50:51], 0xbfc2492492376b7d
	s_delay_alu instid0(VALU_DEP_1) | instskip(NEXT) | instid1(VALU_DEP_1)
	v_fmaak_f64 v[50:51], v[48:49], v[50:51], 0x3fc99999999952cc
	v_fmaak_f64 v[50:51], v[48:49], v[50:51], 0xbfd5555555555523
	s_delay_alu instid0(VALU_DEP_1) | instskip(SKIP_2) | instid1(VALU_DEP_3)
	v_mul_f64_e32 v[48:49], v[48:49], v[50:51]
	v_add_f64_e64 v[50:51], v[56:57], -v[58:59]
	v_add_f64_e64 v[52:53], v[60:61], -v[54:55]
	v_fmac_f64_e32 v[42:43], v[42:43], v[48:49]
	s_delay_alu instid0(VALU_DEP_3) | instskip(NEXT) | instid1(VALU_DEP_3)
	v_add_f64_e32 v[2:3], v[2:3], v[50:51]
	v_add_f64_e64 v[46:47], v[46:47], -v[52:53]
	s_delay_alu instid0(VALU_DEP_3) | instskip(NEXT) | instid1(VALU_DEP_2)
	v_add_f64_e64 v[48:49], -v[42:43], s[38:39]
	v_add_f64_e32 v[2:3], v[2:3], v[46:47]
	s_delay_alu instid0(VALU_DEP_2) | instskip(SKIP_2) | instid1(VALU_DEP_3)
	v_dual_cndmask_b32 v43, v43, v49, s4 :: v_dual_cndmask_b32 v42, v42, v48, s4
	v_cmp_nge_f64_e64 s6, -1.0, v[44:45]
	v_cmp_neq_f64_e64 s7, 0x7ff00000, v[44:45]
	v_add_f64_e64 v[46:47], -v[42:43], s[40:41]
	v_add_f64_e32 v[2:3], v[60:61], v[2:3]
	s_delay_alu instid0(VALU_DEP_2) | instskip(SKIP_1) | instid1(VALU_DEP_2)
	v_dual_cndmask_b32 v42, v42, v46 :: v_dual_cndmask_b32 v15, v43, v47
	v_cmp_ngt_f64_e32 vcc_lo, -1.0, v[44:45]
	v_dual_mul_f64 v[2:3], 0.5, v[2:3] :: v_dual_cndmask_b32 v21, v42, v21, s5
	s_delay_alu instid0(VALU_DEP_3)
	v_cndmask_b32_e64 v4, v15, v4, s5
	s_and_b32 s5, s6, s7
	s_delay_alu instid0(VALU_DEP_2) | instid1(SALU_CYCLE_1)
	v_cndmask_b32_e64 v2, 0, v2, s5
	v_cmp_neq_f64_e64 s5, -1.0, v[44:45]
	s_delay_alu instid0(VALU_DEP_4) | instskip(NEXT) | instid1(VALU_DEP_1)
	v_cndmask_b32_e64 v3, 0x7ff00000, v3, s7
	v_cndmask_b32_e32 v3, 0x7ff80000, v3, vcc_lo
	s_and_b32 vcc_lo, s8, s9
	v_dual_cndmask_b32 v43, v4, v14 :: v_dual_cndmask_b32 v42, v21, v12
	s_delay_alu instid0(VALU_DEP_2)
	v_cndmask_b32_e64 v3, 0xfff00000, v3, s5
.LBB191_234:                            ;   in Loop: Header=BB191_145 Depth=1
	s_or_b32 exec_lo, exec_lo, s55
.LBB191_235:                            ;   in Loop: Header=BB191_145 Depth=1
	s_delay_alu instid0(SALU_CYCLE_1)
	s_or_b32 exec_lo, exec_lo, s54
.LBB191_236:                            ;   in Loop: Header=BB191_145 Depth=1
	s_and_not1_saveexec_b32 s7, s53
	s_cbranch_execz .LBB191_238
; %bb.237:                              ;   in Loop: Header=BB191_145 Depth=1
	v_max_num_f64_e64 v[2:3], |v[16:17]|, |v[16:17]|
	v_max_num_f64_e64 v[42:43], |v[14:15]|, |v[14:15]|
	v_cmp_class_f64_e64 s8, v[14:15], 0x204
	v_cmp_class_f64_e64 s9, v[16:17], 0x204
	v_cmp_eq_f64_e64 s6, 0, v[16:17]
	s_delay_alu instid0(VALU_DEP_4) | instskip(SKIP_2) | instid1(VALU_DEP_2)
	v_max_num_f64_e32 v[44:45], v[42:43], v[2:3]
	v_min_num_f64_e32 v[2:3], v[42:43], v[2:3]
	s_or_b32 s5, s9, s8
	v_frexp_exp_i32_f64_e32 v4, v[44:45]
	s_delay_alu instid0(VALU_DEP_1) | instskip(NEXT) | instid1(VALU_DEP_1)
	v_sub_nc_u32_e32 v12, 0, v4
	v_ldexp_f64 v[46:47], |v[16:17]|, v12
	v_ldexp_f64 v[48:49], |v[14:15]|, v12
	s_delay_alu instid0(VALU_DEP_2) | instskip(NEXT) | instid1(VALU_DEP_1)
	v_mul_f64_e32 v[46:47], v[46:47], v[46:47]
	v_fmac_f64_e32 v[46:47], v[48:49], v[48:49]
	s_delay_alu instid0(VALU_DEP_1) | instskip(SKIP_1) | instid1(TRANS32_DEP_1)
	v_rsq_f64_e32 v[48:49], v[46:47]
	v_cmp_eq_f64_e32 vcc_lo, 0, v[46:47]
	v_mul_f64_e32 v[50:51], v[46:47], v[48:49]
	v_mul_f64_e32 v[48:49], 0.5, v[48:49]
	s_delay_alu instid0(VALU_DEP_1) | instskip(NEXT) | instid1(VALU_DEP_1)
	v_fma_f64 v[52:53], -v[48:49], v[50:51], 0.5
	v_fmac_f64_e32 v[50:51], v[50:51], v[52:53]
	v_fmac_f64_e32 v[48:49], v[48:49], v[52:53]
	s_delay_alu instid0(VALU_DEP_2) | instskip(NEXT) | instid1(VALU_DEP_1)
	v_fma_f64 v[52:53], -v[50:51], v[50:51], v[46:47]
	v_fmac_f64_e32 v[50:51], v[52:53], v[48:49]
	s_delay_alu instid0(VALU_DEP_1) | instskip(NEXT) | instid1(VALU_DEP_1)
	v_dual_cndmask_b32 v47, v51, v47 :: v_dual_cndmask_b32 v46, v50, v46
	v_ldexp_f64 v[46:47], v[46:47], v4
	s_delay_alu instid0(VALU_DEP_1) | instskip(NEXT) | instid1(VALU_DEP_2)
	v_cndmask_b32_e64 v47, v47, 0x7ff00000, s5
	v_cndmask_b32_e64 v46, v46, 0, s5
	s_delay_alu instid0(VALU_DEP_1) | instskip(SKIP_1) | instid1(VALU_DEP_2)
	v_frexp_mant_f64_e32 v[48:49], v[46:47]
	v_cmp_class_f64_e64 s5, v[46:47], 0x204
	v_cmp_gt_f64_e32 vcc_lo, s[28:29], v[48:49]
	v_cndmask_b32_e64 v4, 0, 1, vcc_lo
	s_delay_alu instid0(VALU_DEP_1) | instskip(SKIP_1) | instid1(VALU_DEP_2)
	v_ldexp_f64 v[48:49], v[48:49], v4
	v_frexp_exp_i32_f64_e32 v4, v[46:47]
	v_add_f64_e32 v[50:51], 1.0, v[48:49]
	v_add_f64_e32 v[56:57], -1.0, v[48:49]
	s_delay_alu instid0(VALU_DEP_3) | instskip(SKIP_1) | instid1(VALU_DEP_4)
	v_subrev_co_ci_u32_e64 v4, null, 0, v4, vcc_lo
	v_div_scale_f64 v[64:65], vcc_lo, v[2:3], v[44:45], v[2:3]
	v_rcp_f64_e32 v[52:53], v[50:51]
	v_add_f64_e32 v[58:59], -1.0, v[50:51]
	s_delay_alu instid0(VALU_DEP_1) | instskip(NEXT) | instid1(TRANS32_DEP_1)
	v_add_f64_e64 v[48:49], v[48:49], -v[58:59]
	v_fma_f64 v[54:55], -v[50:51], v[52:53], 1.0
	s_delay_alu instid0(VALU_DEP_1) | instskip(NEXT) | instid1(VALU_DEP_1)
	v_fmac_f64_e32 v[52:53], v[54:55], v[52:53]
	v_fma_f64 v[54:55], -v[50:51], v[52:53], 1.0
	s_delay_alu instid0(VALU_DEP_1) | instskip(NEXT) | instid1(VALU_DEP_1)
	v_fmac_f64_e32 v[52:53], v[54:55], v[52:53]
	v_mul_f64_e32 v[54:55], v[56:57], v[52:53]
	s_delay_alu instid0(VALU_DEP_1) | instskip(NEXT) | instid1(VALU_DEP_1)
	v_mul_f64_e32 v[60:61], v[50:51], v[54:55]
	v_fma_f64 v[50:51], v[54:55], v[50:51], -v[60:61]
	s_delay_alu instid0(VALU_DEP_1) | instskip(NEXT) | instid1(VALU_DEP_1)
	v_fmac_f64_e32 v[50:51], v[54:55], v[48:49]
	v_add_f64_e32 v[48:49], v[60:61], v[50:51]
	s_delay_alu instid0(VALU_DEP_1) | instskip(SKIP_1) | instid1(VALU_DEP_2)
	v_add_f64_e64 v[58:59], v[56:57], -v[48:49]
	v_add_f64_e64 v[60:61], v[48:49], -v[60:61]
	;; [unrolled: 1-line block ×3, first 2 shown]
	s_delay_alu instid0(VALU_DEP_2) | instskip(NEXT) | instid1(VALU_DEP_2)
	v_add_f64_e64 v[50:51], v[60:61], -v[50:51]
	v_add_f64_e64 v[48:49], v[56:57], -v[48:49]
	s_delay_alu instid0(VALU_DEP_1) | instskip(NEXT) | instid1(VALU_DEP_1)
	v_add_f64_e32 v[48:49], v[50:51], v[48:49]
	v_add_f64_e32 v[48:49], v[58:59], v[48:49]
	s_delay_alu instid0(VALU_DEP_1) | instskip(SKIP_1) | instid1(VALU_DEP_2)
	v_mul_f64_e32 v[42:43], v[52:53], v[48:49]
	v_div_scale_f64 v[48:49], null, v[44:45], v[44:45], v[2:3]
	v_add_f64_e32 v[50:51], v[54:55], v[42:43]
	s_delay_alu instid0(VALU_DEP_2) | instskip(NEXT) | instid1(VALU_DEP_1)
	v_rcp_f64_e32 v[52:53], v[48:49]
	v_mul_f64_e32 v[56:57], v[50:51], v[50:51]
	s_delay_alu instid0(TRANS32_DEP_1) | instskip(NEXT) | instid1(VALU_DEP_2)
	v_fma_f64 v[60:61], -v[48:49], v[52:53], 1.0
	v_fmamk_f64 v[58:59], v[56:57], 0x3fc3ab76bf559e2b, v[24:25]
	v_mul_f64_e32 v[62:63], v[50:51], v[56:57]
	s_delay_alu instid0(VALU_DEP_3) | instskip(NEXT) | instid1(VALU_DEP_3)
	v_fmac_f64_e32 v[52:53], v[52:53], v[60:61]
	v_fmaak_f64 v[58:59], v[56:57], v[58:59], 0x3fc7474dd7f4df2e
	s_delay_alu instid0(VALU_DEP_1) | instskip(NEXT) | instid1(VALU_DEP_1)
	v_fmaak_f64 v[58:59], v[56:57], v[58:59], 0x3fcc71c016291751
	v_fmaak_f64 v[58:59], v[56:57], v[58:59], 0x3fd249249b27acf1
	s_delay_alu instid0(VALU_DEP_1) | instskip(NEXT) | instid1(VALU_DEP_1)
	v_fmaak_f64 v[58:59], v[56:57], v[58:59], 0x3fd99999998ef7b6
	v_fmaak_f64 v[56:57], v[56:57], v[58:59], 0x3fe5555555555780
	v_ldexp_f64 v[58:59], v[50:51], 1
	v_add_f64_e64 v[50:51], v[50:51], -v[54:55]
	v_fma_f64 v[60:61], -v[48:49], v[52:53], 1.0
	s_delay_alu instid0(VALU_DEP_4) | instskip(SKIP_2) | instid1(VALU_DEP_1)
	v_mul_f64_e32 v[56:57], v[62:63], v[56:57]
	v_cvt_f64_i32_e32 v[62:63], v4
	v_ashrrev_i32_e32 v4, 31, v15
	v_and_b32_e32 v21, 0x54442d18, v4
	v_and_b32_e32 v4, 0x400921fb, v4
	v_add_f64_e64 v[42:43], v[42:43], -v[50:51]
	v_fmac_f64_e32 v[52:53], v[52:53], v[60:61]
	v_add_f64_e32 v[54:55], v[58:59], v[56:57]
	v_mul_f64_e32 v[60:61], 0x3fe62e42fefa39ef, v[62:63]
	s_delay_alu instid0(VALU_DEP_4) | instskip(NEXT) | instid1(VALU_DEP_3)
	v_ldexp_f64 v[42:43], v[42:43], 1
	v_add_f64_e64 v[50:51], v[54:55], -v[58:59]
	v_mul_f64_e32 v[58:59], v[64:65], v[52:53]
	s_delay_alu instid0(VALU_DEP_4) | instskip(NEXT) | instid1(VALU_DEP_3)
	v_fma_f64 v[66:67], v[62:63], s[30:31], -v[60:61]
	v_add_f64_e64 v[50:51], v[56:57], -v[50:51]
	s_delay_alu instid0(VALU_DEP_3) | instskip(NEXT) | instid1(VALU_DEP_3)
	v_fma_f64 v[48:49], -v[48:49], v[58:59], v[64:65]
	v_fmac_f64_e32 v[66:67], 0x3c7abc9e3b39803f, v[62:63]
	s_delay_alu instid0(VALU_DEP_3) | instskip(NEXT) | instid1(VALU_DEP_3)
	v_add_f64_e32 v[42:43], v[42:43], v[50:51]
	v_div_fmas_f64 v[48:49], v[48:49], v[52:53], v[58:59]
	s_delay_alu instid0(VALU_DEP_3)
	v_add_f64_e32 v[50:51], v[60:61], v[66:67]
	v_cmp_gt_i32_e32 vcc_lo, 0, v15
	v_cndmask_b32_e32 v12, 0x54442d18, v68, vcc_lo
	v_add_f64_e32 v[52:53], v[54:55], v[42:43]
	v_div_fixup_f64 v[2:3], v[48:49], v[44:45], v[2:3]
	v_add_f64_e64 v[60:61], v[50:51], -v[60:61]
	s_delay_alu instid0(VALU_DEP_3) | instskip(NEXT) | instid1(VALU_DEP_3)
	v_add_f64_e32 v[44:45], v[50:51], v[52:53]
	v_mul_f64_e32 v[48:49], v[2:3], v[2:3]
	v_add_f64_e64 v[54:55], v[52:53], -v[54:55]
	s_delay_alu instid0(VALU_DEP_4) | instskip(NEXT) | instid1(VALU_DEP_4)
	v_add_f64_e64 v[60:61], v[66:67], -v[60:61]
	v_add_f64_e64 v[56:57], v[44:45], -v[50:51]
	s_delay_alu instid0(VALU_DEP_4) | instskip(NEXT) | instid1(VALU_DEP_4)
	v_fmamk_f64 v[58:59], v[48:49], 0x3eeba404b5e68a13, v[26:27]
	v_add_f64_e64 v[42:43], v[42:43], -v[54:55]
	s_delay_alu instid0(VALU_DEP_2) | instskip(NEXT) | instid1(VALU_DEP_1)
	v_fmaak_f64 v[58:59], v[48:49], v[58:59], 0x3f4b2bb069efb384
	v_fmaak_f64 v[58:59], v[48:49], v[58:59], 0xbf67952daf56de9b
	s_delay_alu instid0(VALU_DEP_1) | instskip(NEXT) | instid1(VALU_DEP_1)
	v_fmaak_f64 v[58:59], v[48:49], v[58:59], 0x3f7d6d43a595c56f
	v_fmaak_f64 v[58:59], v[48:49], v[58:59], 0xbf8c6ea4a57d9582
	v_add_f64_e64 v[62:63], v[44:45], -v[56:57]
	v_add_f64_e64 v[52:53], v[52:53], -v[56:57]
	v_add_f64_e32 v[56:57], v[60:61], v[42:43]
	s_delay_alu instid0(VALU_DEP_4) | instskip(NEXT) | instid1(VALU_DEP_1)
	v_fmaak_f64 v[58:59], v[48:49], v[58:59], 0x3f967e295f08b19f
	v_fmaak_f64 v[54:55], v[48:49], v[58:59], 0xbf9e9ae6fc27006a
	s_delay_alu instid0(VALU_DEP_1) | instskip(NEXT) | instid1(VALU_DEP_1)
	v_fmaak_f64 v[54:55], v[48:49], v[54:55], 0x3fa2c15b5711927a
	v_fmaak_f64 v[54:55], v[48:49], v[54:55], 0xbfa59976e82d3ff0
	s_delay_alu instid0(VALU_DEP_1) | instskip(SKIP_1) | instid1(VALU_DEP_2)
	v_fmaak_f64 v[54:55], v[48:49], v[54:55], 0x3fa82d5d6ef28734
	v_add_f64_e64 v[50:51], v[50:51], -v[62:63]
	v_fmaak_f64 v[54:55], v[48:49], v[54:55], 0xbfaae5ce6a214619
	s_delay_alu instid0(VALU_DEP_2) | instskip(NEXT) | instid1(VALU_DEP_2)
	v_add_f64_e32 v[50:51], v[52:53], v[50:51]
	v_fmaak_f64 v[52:53], v[48:49], v[54:55], 0x3fae1bb48427b883
	v_add_f64_e64 v[54:55], v[56:57], -v[60:61]
	s_delay_alu instid0(VALU_DEP_2) | instskip(NEXT) | instid1(VALU_DEP_1)
	v_fmaak_f64 v[52:53], v[48:49], v[52:53], 0xbfb110e48b207f05
	v_fmaak_f64 v[52:53], v[48:49], v[52:53], 0x3fb3b13657b87036
	s_delay_alu instid0(VALU_DEP_1) | instskip(NEXT) | instid1(VALU_DEP_1)
	v_fmaak_f64 v[52:53], v[48:49], v[52:53], 0xbfb745d119378e4f
	v_fmaak_f64 v[52:53], v[48:49], v[52:53], 0x3fbc71c717e1913c
	v_add_f64_e32 v[50:51], v[56:57], v[50:51]
	v_add_f64_e64 v[42:43], v[42:43], -v[54:55]
	s_delay_alu instid0(VALU_DEP_3) | instskip(NEXT) | instid1(VALU_DEP_1)
	v_fmaak_f64 v[52:53], v[48:49], v[52:53], 0xbfc2492492376b7d
	v_fmaak_f64 v[52:53], v[48:49], v[52:53], 0x3fc99999999952cc
	s_delay_alu instid0(VALU_DEP_1) | instskip(NEXT) | instid1(VALU_DEP_1)
	v_fmaak_f64 v[52:53], v[48:49], v[52:53], 0xbfd5555555555523
	v_mul_f64_e32 v[48:49], v[48:49], v[52:53]
	v_add_f64_e64 v[52:53], v[56:57], -v[54:55]
	v_add_f64_e32 v[56:57], v[44:45], v[50:51]
	s_delay_alu instid0(VALU_DEP_3) | instskip(NEXT) | instid1(VALU_DEP_3)
	v_fmac_f64_e32 v[2:3], v[2:3], v[48:49]
	v_add_f64_e64 v[48:49], v[60:61], -v[52:53]
	s_delay_alu instid0(VALU_DEP_3) | instskip(NEXT) | instid1(VALU_DEP_3)
	v_add_f64_e64 v[44:45], v[56:57], -v[44:45]
	v_add_f64_e64 v[52:53], -v[2:3], s[38:39]
	s_delay_alu instid0(VALU_DEP_3) | instskip(NEXT) | instid1(VALU_DEP_3)
	v_add_f64_e32 v[42:43], v[42:43], v[48:49]
	v_add_f64_e64 v[44:45], v[50:51], -v[44:45]
	s_delay_alu instid0(VALU_DEP_3) | instskip(NEXT) | instid1(VALU_DEP_2)
	v_dual_cndmask_b32 v3, v3, v53, s4 :: v_dual_cndmask_b32 v2, v2, v52, s4
	v_add_f64_e32 v[42:43], v[42:43], v[44:45]
	s_delay_alu instid0(VALU_DEP_2) | instskip(NEXT) | instid1(VALU_DEP_1)
	v_add_f64_e64 v[44:45], -v[2:3], s[40:41]
	v_dual_add_f64 v[14:15], v[56:57], v[42:43] :: v_dual_cndmask_b32 v2, v2, v44, vcc_lo
	v_cndmask_b32_e32 v42, 0x3fe921fb, v69, vcc_lo
	s_delay_alu instid0(VALU_DEP_3) | instskip(SKIP_1) | instid1(VALU_DEP_4)
	v_cndmask_b32_e32 v3, v3, v45, vcc_lo
	v_cmp_ngt_f64_e32 vcc_lo, 0, v[46:47]
	v_cndmask_b32_e64 v21, v2, v21, s6
	s_delay_alu instid0(VALU_DEP_4) | instskip(NEXT) | instid1(VALU_DEP_4)
	v_bfi_b32 v42, 0x7fffffff, v42, v17
	v_dual_cndmask_b32 v2, v3, v4, s6 :: v_dual_cndmask_b32 v14, v14, v46, s5
	v_cndmask_b32_e64 v15, v15, v47, s5
	v_cmp_nge_f64_e64 s5, 0, v[46:47]
	s_delay_alu instid0(VALU_DEP_2) | instskip(SKIP_4) | instid1(VALU_DEP_1)
	v_cndmask_b32_e32 v3, 0x7ff80000, v15, vcc_lo
	s_and_b32 vcc_lo, s9, s8
	v_dual_cndmask_b32 v43, v2, v42 :: v_dual_cndmask_b32 v42, v21, v12
	v_cndmask_b32_e64 v2, 0, v14, s5
	v_cmp_neq_f64_e64 s5, 0, v[46:47]
	v_cndmask_b32_e64 v3, 0xfff00000, v3, s5
.LBB191_238:                            ;   in Loop: Header=BB191_145 Depth=1
	s_or_b32 exec_lo, exec_lo, s7
                                        ; implicit-def: $vgpr46_vgpr47
.LBB191_239:                            ;   in Loop: Header=BB191_145 Depth=1
	s_and_not1_saveexec_b32 s7, s52
	s_cbranch_execz .LBB191_245
; %bb.240:                              ;   in Loop: Header=BB191_145 Depth=1
                                        ; implicit-def: $vgpr2_vgpr3
                                        ; implicit-def: $vgpr42_vgpr43
	s_mov_b32 s5, exec_lo
	v_cmpx_ngt_f64_e32 s[44:45], v[46:47]
	s_xor_b32 s8, exec_lo, s5
	s_cbranch_execz .LBB191_242
; %bb.241:                              ;   in Loop: Header=BB191_145 Depth=1
	v_mul_f64_e32 v[2:3], v[46:47], v[46:47]
	v_cmp_eq_f64_e64 s5, 0, v[16:17]
	v_cmp_class_f64_e64 s9, v[16:17], 0x204
	v_cmp_class_f64_e64 s10, v[14:15], 0x204
	s_delay_alu instid0(VALU_DEP_4) | instskip(NEXT) | instid1(VALU_DEP_1)
	v_add_f64_e32 v[42:43], 1.0, v[2:3]
	v_frexp_mant_f64_e32 v[44:45], v[42:43]
	v_frexp_exp_i32_f64_e32 v4, v[42:43]
	v_add_f64_e32 v[46:47], -1.0, v[42:43]
	s_delay_alu instid0(VALU_DEP_3) | instskip(NEXT) | instid1(VALU_DEP_2)
	v_cmp_gt_f64_e32 vcc_lo, s[28:29], v[44:45]
	v_add_f64_e64 v[44:45], v[46:47], -v[42:43]
	s_delay_alu instid0(VALU_DEP_4) | instskip(NEXT) | instid1(VALU_DEP_2)
	v_subrev_co_ci_u32_e64 v4, null, 0, v4, vcc_lo
	v_add_f64_e32 v[44:45], 1.0, v[44:45]
	s_delay_alu instid0(VALU_DEP_2) | instskip(SKIP_1) | instid1(VALU_DEP_2)
	v_dual_add_f64 v[46:47], v[2:3], -v[46:47] :: v_dual_sub_nc_u32 v12, 0, v4
	v_cmp_neq_f64_e64 s6, 0x7ff00000, v[2:3]
	v_ldexp_f64 v[42:43], v[42:43], v12
	s_delay_alu instid0(VALU_DEP_3) | instskip(NEXT) | instid1(VALU_DEP_2)
	v_add_f64_e32 v[44:45], v[46:47], v[44:45]
	v_add_f64_e32 v[48:49], 1.0, v[42:43]
	v_add_f64_e32 v[54:55], -1.0, v[42:43]
	s_delay_alu instid0(VALU_DEP_3) | instskip(NEXT) | instid1(VALU_DEP_3)
	v_ldexp_f64 v[44:45], v[44:45], v12
	v_add_f64_e32 v[46:47], -1.0, v[48:49]
	s_delay_alu instid0(VALU_DEP_3) | instskip(NEXT) | instid1(VALU_DEP_2)
	v_add_f64_e32 v[56:57], 1.0, v[54:55]
	v_add_f64_e64 v[46:47], v[42:43], -v[46:47]
	s_delay_alu instid0(VALU_DEP_2) | instskip(NEXT) | instid1(VALU_DEP_2)
	v_add_f64_e64 v[42:43], v[42:43], -v[56:57]
	v_add_f64_e32 v[46:47], v[44:45], v[46:47]
	s_delay_alu instid0(VALU_DEP_2) | instskip(NEXT) | instid1(VALU_DEP_2)
	v_add_f64_e32 v[42:43], v[44:45], v[42:43]
	v_add_f64_e32 v[50:51], v[48:49], v[46:47]
	s_delay_alu instid0(VALU_DEP_2) | instskip(NEXT) | instid1(VALU_DEP_2)
	v_add_f64_e32 v[56:57], v[54:55], v[42:43]
	v_rcp_f64_e32 v[52:53], v[50:51]
	v_add_f64_e64 v[48:49], v[48:49], -v[50:51]
	s_delay_alu instid0(VALU_DEP_2) | instskip(NEXT) | instid1(VALU_DEP_2)
	v_add_f64_e64 v[54:55], v[54:55], -v[56:57]
	v_add_f64_e32 v[46:47], v[46:47], v[48:49]
	s_delay_alu instid0(VALU_DEP_2) | instskip(NEXT) | instid1(TRANS32_DEP_1)
	v_add_f64_e32 v[42:43], v[42:43], v[54:55]
	v_fma_f64 v[58:59], -v[50:51], v[52:53], 1.0
	s_delay_alu instid0(VALU_DEP_1) | instskip(NEXT) | instid1(VALU_DEP_1)
	v_fmac_f64_e32 v[52:53], v[58:59], v[52:53]
	v_fma_f64 v[44:45], -v[50:51], v[52:53], 1.0
	s_delay_alu instid0(VALU_DEP_1) | instskip(NEXT) | instid1(VALU_DEP_1)
	v_fmac_f64_e32 v[52:53], v[44:45], v[52:53]
	v_mul_f64_e32 v[44:45], v[56:57], v[52:53]
	s_delay_alu instid0(VALU_DEP_1) | instskip(NEXT) | instid1(VALU_DEP_1)
	v_mul_f64_e32 v[58:59], v[50:51], v[44:45]
	v_fma_f64 v[48:49], v[44:45], v[50:51], -v[58:59]
	s_delay_alu instid0(VALU_DEP_1) | instskip(NEXT) | instid1(VALU_DEP_1)
	v_fmac_f64_e32 v[48:49], v[44:45], v[46:47]
	v_add_f64_e32 v[60:61], v[58:59], v[48:49]
	s_delay_alu instid0(VALU_DEP_1) | instskip(SKIP_1) | instid1(VALU_DEP_2)
	v_add_f64_e64 v[62:63], v[56:57], -v[60:61]
	v_add_f64_e64 v[54:55], v[60:61], -v[58:59]
	;; [unrolled: 1-line block ×3, first 2 shown]
	s_delay_alu instid0(VALU_DEP_2) | instskip(NEXT) | instid1(VALU_DEP_2)
	v_add_f64_e64 v[48:49], v[54:55], -v[48:49]
	v_add_f64_e64 v[56:57], v[56:57], -v[60:61]
	s_delay_alu instid0(VALU_DEP_1) | instskip(NEXT) | instid1(VALU_DEP_1)
	v_add_f64_e32 v[42:43], v[42:43], v[56:57]
	v_add_f64_e32 v[42:43], v[48:49], v[42:43]
	s_delay_alu instid0(VALU_DEP_1) | instskip(NEXT) | instid1(VALU_DEP_1)
	v_add_f64_e32 v[48:49], v[62:63], v[42:43]
	v_mul_f64_e32 v[54:55], v[52:53], v[48:49]
	v_add_f64_e64 v[60:61], v[62:63], -v[48:49]
	s_delay_alu instid0(VALU_DEP_2) | instskip(NEXT) | instid1(VALU_DEP_2)
	v_mul_f64_e32 v[56:57], v[50:51], v[54:55]
	v_add_f64_e32 v[42:43], v[42:43], v[60:61]
	s_delay_alu instid0(VALU_DEP_2) | instskip(NEXT) | instid1(VALU_DEP_1)
	v_fma_f64 v[50:51], v[54:55], v[50:51], -v[56:57]
	v_fmac_f64_e32 v[50:51], v[54:55], v[46:47]
	s_delay_alu instid0(VALU_DEP_1) | instskip(NEXT) | instid1(VALU_DEP_1)
	v_add_f64_e32 v[46:47], v[56:57], v[50:51]
	v_add_f64_e64 v[58:59], v[48:49], -v[46:47]
	v_add_f64_e64 v[56:57], v[46:47], -v[56:57]
	s_delay_alu instid0(VALU_DEP_2) | instskip(NEXT) | instid1(VALU_DEP_1)
	v_add_f64_e64 v[48:49], v[48:49], -v[58:59]
	v_add_f64_e64 v[46:47], v[48:49], -v[46:47]
	s_delay_alu instid0(VALU_DEP_3) | instskip(SKIP_1) | instid1(VALU_DEP_3)
	v_add_f64_e64 v[48:49], v[56:57], -v[50:51]
	v_max_num_f64_e64 v[50:51], |v[14:15]|, |v[14:15]|
	v_add_f64_e32 v[42:43], v[42:43], v[46:47]
	v_add_f64_e32 v[46:47], v[44:45], v[54:55]
	s_delay_alu instid0(VALU_DEP_2) | instskip(NEXT) | instid1(VALU_DEP_2)
	v_add_f64_e32 v[42:43], v[48:49], v[42:43]
	v_add_f64_e64 v[44:45], v[46:47], -v[44:45]
	v_max_num_f64_e64 v[48:49], |v[16:17]|, |v[16:17]|
	s_delay_alu instid0(VALU_DEP_3) | instskip(NEXT) | instid1(VALU_DEP_3)
	v_add_f64_e32 v[42:43], v[58:59], v[42:43]
	v_add_f64_e64 v[44:45], v[54:55], -v[44:45]
	s_delay_alu instid0(VALU_DEP_2) | instskip(NEXT) | instid1(VALU_DEP_1)
	v_mul_f64_e32 v[42:43], v[52:53], v[42:43]
	v_add_f64_e32 v[42:43], v[44:45], v[42:43]
	v_max_num_f64_e32 v[44:45], v[50:51], v[48:49]
	v_min_num_f64_e32 v[48:49], v[50:51], v[48:49]
	s_delay_alu instid0(VALU_DEP_3) | instskip(NEXT) | instid1(VALU_DEP_2)
	v_add_f64_e32 v[50:51], v[46:47], v[42:43]
	v_div_scale_f64 v[52:53], null, v[44:45], v[44:45], v[48:49]
	s_delay_alu instid0(VALU_DEP_2) | instskip(SKIP_1) | instid1(VALU_DEP_3)
	v_mul_f64_e32 v[54:55], v[50:51], v[50:51]
	v_add_f64_e64 v[46:47], v[50:51], -v[46:47]
	v_rcp_f64_e32 v[56:57], v[52:53]
	s_delay_alu instid0(VALU_DEP_2) | instskip(SKIP_1) | instid1(VALU_DEP_3)
	v_fmamk_f64 v[58:59], v[54:55], 0x3fc3ab76bf559e2b, v[24:25]
	v_mul_f64_e32 v[60:61], v[50:51], v[54:55]
	v_add_f64_e64 v[42:43], v[42:43], -v[46:47]
	s_delay_alu instid0(VALU_DEP_3) | instskip(NEXT) | instid1(TRANS32_DEP_1)
	v_fmaak_f64 v[58:59], v[54:55], v[58:59], 0x3fc7474dd7f4df2e
	v_fma_f64 v[62:63], -v[52:53], v[56:57], 1.0
	s_delay_alu instid0(VALU_DEP_2) | instskip(NEXT) | instid1(VALU_DEP_1)
	v_fmaak_f64 v[58:59], v[54:55], v[58:59], 0x3fcc71c016291751
	v_fmaak_f64 v[58:59], v[54:55], v[58:59], 0x3fd249249b27acf1
	s_delay_alu instid0(VALU_DEP_1) | instskip(SKIP_1) | instid1(VALU_DEP_2)
	v_fmaak_f64 v[58:59], v[54:55], v[58:59], 0x3fd99999998ef7b6
	v_ldexp_f64 v[42:43], v[42:43], 1
	v_fmaak_f64 v[54:55], v[54:55], v[58:59], 0x3fe5555555555780
	v_ldexp_f64 v[58:59], v[50:51], 1
	v_fmac_f64_e32 v[56:57], v[56:57], v[62:63]
	s_delay_alu instid0(VALU_DEP_3) | instskip(SKIP_2) | instid1(VALU_DEP_1)
	v_mul_f64_e32 v[54:55], v[60:61], v[54:55]
	v_cvt_f64_i32_e32 v[60:61], v4
	v_ashrrev_i32_e32 v4, 31, v15
	v_and_b32_e32 v21, 0x54442d18, v4
	v_and_b32_e32 v3, 0x400921fb, v4
	v_fma_f64 v[62:63], -v[52:53], v[56:57], 1.0
	v_add_f64_e32 v[50:51], v[58:59], v[54:55]
	v_mul_f64_e32 v[64:65], 0x3fe62e42fefa39ef, v[60:61]
	s_delay_alu instid0(VALU_DEP_3) | instskip(NEXT) | instid1(VALU_DEP_3)
	v_fmac_f64_e32 v[56:57], v[56:57], v[62:63]
	v_add_f64_e64 v[46:47], v[50:51], -v[58:59]
	v_div_scale_f64 v[58:59], vcc_lo, v[48:49], v[44:45], v[48:49]
	s_delay_alu instid0(VALU_DEP_4) | instskip(NEXT) | instid1(VALU_DEP_3)
	v_fma_f64 v[62:63], v[60:61], s[30:31], -v[64:65]
	v_add_f64_e64 v[46:47], v[54:55], -v[46:47]
	s_delay_alu instid0(VALU_DEP_3) | instskip(NEXT) | instid1(VALU_DEP_3)
	v_mul_f64_e32 v[54:55], v[58:59], v[56:57]
	v_fmac_f64_e32 v[62:63], 0x3c7abc9e3b39803f, v[60:61]
	s_delay_alu instid0(VALU_DEP_3) | instskip(NEXT) | instid1(VALU_DEP_3)
	v_add_f64_e32 v[42:43], v[42:43], v[46:47]
	v_fma_f64 v[46:47], -v[52:53], v[54:55], v[58:59]
	s_delay_alu instid0(VALU_DEP_3) | instskip(NEXT) | instid1(VALU_DEP_3)
	v_add_f64_e32 v[52:53], v[64:65], v[62:63]
	v_add_f64_e32 v[58:59], v[50:51], v[42:43]
	s_delay_alu instid0(VALU_DEP_3) | instskip(SKIP_1) | instid1(VALU_DEP_4)
	v_div_fmas_f64 v[46:47], v[46:47], v[56:57], v[54:55]
	v_cmp_gt_i32_e32 vcc_lo, 0, v15
	v_add_f64_e64 v[56:57], v[52:53], -v[64:65]
	v_cndmask_b32_e32 v2, 0x3fe921fb, v69, vcc_lo
	v_cndmask_b32_e32 v12, 0x54442d18, v68, vcc_lo
	s_delay_alu instid0(VALU_DEP_2) | instskip(SKIP_4) | instid1(VALU_DEP_4)
	v_bfi_b32 v2, 0x7fffffff, v2, v17
	v_add_f64_e32 v[54:55], v[52:53], v[58:59]
	v_div_fixup_f64 v[44:45], v[46:47], v[44:45], v[48:49]
	v_add_f64_e64 v[50:51], v[58:59], -v[50:51]
	v_add_f64_e64 v[56:57], v[62:63], -v[56:57]
	;; [unrolled: 1-line block ×3, first 2 shown]
	s_delay_alu instid0(VALU_DEP_4) | instskip(NEXT) | instid1(VALU_DEP_4)
	v_mul_f64_e32 v[48:49], v[44:45], v[44:45]
	v_add_f64_e64 v[42:43], v[42:43], -v[50:51]
	s_delay_alu instid0(VALU_DEP_3) | instskip(NEXT) | instid1(VALU_DEP_3)
	v_add_f64_e64 v[60:61], v[54:55], -v[46:47]
	v_fmamk_f64 v[64:65], v[48:49], 0x3eeba404b5e68a13, v[26:27]
	v_add_f64_e64 v[46:47], v[58:59], -v[46:47]
	s_delay_alu instid0(VALU_DEP_4) | instskip(NEXT) | instid1(VALU_DEP_3)
	v_add_f64_e32 v[58:59], v[56:57], v[42:43]
	v_fmaak_f64 v[64:65], v[48:49], v[64:65], 0x3f4b2bb069efb384
	s_delay_alu instid0(VALU_DEP_1) | instskip(SKIP_1) | instid1(VALU_DEP_2)
	v_fmaak_f64 v[64:65], v[48:49], v[64:65], 0xbf67952daf56de9b
	v_add_f64_e64 v[50:51], v[52:53], -v[60:61]
	v_fmaak_f64 v[52:53], v[48:49], v[64:65], 0x3f7d6d43a595c56f
	s_delay_alu instid0(VALU_DEP_1) | instskip(NEXT) | instid1(VALU_DEP_1)
	v_fmaak_f64 v[52:53], v[48:49], v[52:53], 0xbf8c6ea4a57d9582
	v_fmaak_f64 v[52:53], v[48:49], v[52:53], 0x3f967e295f08b19f
	s_delay_alu instid0(VALU_DEP_1) | instskip(NEXT) | instid1(VALU_DEP_1)
	v_fmaak_f64 v[52:53], v[48:49], v[52:53], 0xbf9e9ae6fc27006a
	v_fmaak_f64 v[52:53], v[48:49], v[52:53], 0x3fa2c15b5711927a
	v_add_f64_e32 v[46:47], v[46:47], v[50:51]
	s_delay_alu instid0(VALU_DEP_2) | instskip(SKIP_1) | instid1(VALU_DEP_2)
	v_fmaak_f64 v[50:51], v[48:49], v[52:53], 0xbfa59976e82d3ff0
	v_add_f64_e64 v[52:53], v[58:59], -v[56:57]
	v_fmaak_f64 v[50:51], v[48:49], v[50:51], 0x3fa82d5d6ef28734
	s_delay_alu instid0(VALU_DEP_1) | instskip(NEXT) | instid1(VALU_DEP_1)
	v_fmaak_f64 v[50:51], v[48:49], v[50:51], 0xbfaae5ce6a214619
	v_fmaak_f64 v[50:51], v[48:49], v[50:51], 0x3fae1bb48427b883
	s_delay_alu instid0(VALU_DEP_1) | instskip(SKIP_3) | instid1(VALU_DEP_4)
	v_fmaak_f64 v[50:51], v[48:49], v[50:51], 0xbfb110e48b207f05
	v_add_f64_e32 v[46:47], v[58:59], v[46:47]
	v_add_f64_e64 v[58:59], v[58:59], -v[52:53]
	v_add_f64_e64 v[42:43], v[42:43], -v[52:53]
	v_fmaak_f64 v[50:51], v[48:49], v[50:51], 0x3fb3b13657b87036
	s_delay_alu instid0(VALU_DEP_1) | instskip(NEXT) | instid1(VALU_DEP_1)
	v_fmaak_f64 v[50:51], v[48:49], v[50:51], 0xbfb745d119378e4f
	v_fmaak_f64 v[50:51], v[48:49], v[50:51], 0x3fbc71c717e1913c
	s_delay_alu instid0(VALU_DEP_1) | instskip(SKIP_1) | instid1(VALU_DEP_2)
	v_fmaak_f64 v[50:51], v[48:49], v[50:51], 0xbfc2492492376b7d
	v_add_f64_e32 v[60:61], v[54:55], v[46:47]
	v_fmaak_f64 v[50:51], v[48:49], v[50:51], 0x3fc99999999952cc
	s_delay_alu instid0(VALU_DEP_1) | instskip(NEXT) | instid1(VALU_DEP_1)
	v_fmaak_f64 v[50:51], v[48:49], v[50:51], 0xbfd5555555555523
	v_mul_f64_e32 v[48:49], v[48:49], v[50:51]
	v_add_f64_e64 v[50:51], v[56:57], -v[58:59]
	v_add_f64_e64 v[52:53], v[60:61], -v[54:55]
	s_delay_alu instid0(VALU_DEP_3) | instskip(NEXT) | instid1(VALU_DEP_3)
	v_fmac_f64_e32 v[44:45], v[44:45], v[48:49]
	v_add_f64_e32 v[42:43], v[42:43], v[50:51]
	s_delay_alu instid0(VALU_DEP_3) | instskip(NEXT) | instid1(VALU_DEP_3)
	v_add_f64_e64 v[46:47], v[46:47], -v[52:53]
	v_add_f64_e64 v[48:49], -v[44:45], s[38:39]
	s_delay_alu instid0(VALU_DEP_1) | instskip(NEXT) | instid1(VALU_DEP_2)
	v_dual_add_f64 v[42:43], v[42:43], v[46:47] :: v_dual_cndmask_b32 v45, v45, v49, s4
	v_cndmask_b32_e64 v44, v44, v48, s4
	s_delay_alu instid0(VALU_DEP_1) | instskip(NEXT) | instid1(VALU_DEP_3)
	v_add_f64_e64 v[46:47], -v[44:45], s[40:41]
	v_add_f64_e32 v[42:43], v[60:61], v[42:43]
	s_delay_alu instid0(VALU_DEP_2) | instskip(SKIP_1) | instid1(VALU_DEP_1)
	v_dual_cndmask_b32 v44, v44, v46, vcc_lo :: v_dual_cndmask_b32 v4, v45, v47, vcc_lo
	s_and_b32 vcc_lo, s9, s10
                                        ; implicit-def: $vgpr46_vgpr47
	v_cndmask_b32_e64 v21, v44, v21, s5
	s_delay_alu instid0(VALU_DEP_2) | instskip(NEXT) | instid1(VALU_DEP_4)
	v_cndmask_b32_e64 v3, v4, v3, s5
	v_mul_f64_e32 v[14:15], 0.5, v[42:43]
	s_delay_alu instid0(VALU_DEP_2) | instskip(NEXT) | instid1(VALU_DEP_2)
	v_dual_cndmask_b32 v43, v3, v2 :: v_dual_cndmask_b32 v42, v21, v12
	v_cndmask_b32_e64 v3, 0x7ff00000, v15, s6
	s_delay_alu instid0(VALU_DEP_3)
	v_cndmask_b32_e64 v2, 0, v14, s6
.LBB191_242:                            ;   in Loop: Header=BB191_145 Depth=1
	s_and_not1_saveexec_b32 s6, s8
	s_cbranch_execz .LBB191_244
; %bb.243:                              ;   in Loop: Header=BB191_145 Depth=1
	v_max_num_f64_e64 v[2:3], |v[16:17]|, |v[16:17]|
	v_max_num_f64_e64 v[42:43], |v[14:15]|, |v[14:15]|
	v_cmp_class_f64_e64 s9, v[14:15], 0x204
	v_cmp_eq_f64_e64 s5, 0, v[16:17]
	v_cmp_class_f64_e64 s8, v[16:17], 0x204
	v_ashrrev_i32_e32 v4, 31, v15
	s_delay_alu instid0(VALU_DEP_1) | instskip(SKIP_3) | instid1(VALU_DEP_1)
	v_and_b32_e32 v21, 0x54442d18, v4
	v_and_b32_e32 v4, 0x400921fb, v4
	v_max_num_f64_e32 v[44:45], v[42:43], v[2:3]
	v_min_num_f64_e32 v[2:3], v[42:43], v[2:3]
	v_div_scale_f64 v[42:43], null, v[44:45], v[44:45], v[2:3]
	v_div_scale_f64 v[52:53], vcc_lo, v[2:3], v[44:45], v[2:3]
	s_delay_alu instid0(VALU_DEP_2) | instskip(SKIP_1) | instid1(TRANS32_DEP_1)
	v_rcp_f64_e32 v[48:49], v[42:43]
	v_nop
	v_fma_f64 v[50:51], -v[42:43], v[48:49], 1.0
	s_delay_alu instid0(VALU_DEP_1) | instskip(NEXT) | instid1(VALU_DEP_1)
	v_fmac_f64_e32 v[48:49], v[48:49], v[50:51]
	v_fma_f64 v[50:51], -v[42:43], v[48:49], 1.0
	s_delay_alu instid0(VALU_DEP_1) | instskip(NEXT) | instid1(VALU_DEP_1)
	v_fmac_f64_e32 v[48:49], v[48:49], v[50:51]
	v_mul_f64_e32 v[50:51], v[52:53], v[48:49]
	s_delay_alu instid0(VALU_DEP_1) | instskip(NEXT) | instid1(VALU_DEP_1)
	v_fma_f64 v[42:43], -v[42:43], v[50:51], v[52:53]
	v_div_fmas_f64 v[42:43], v[42:43], v[48:49], v[50:51]
	v_cmp_gt_i32_e32 vcc_lo, 0, v15
	v_cndmask_b32_e32 v14, 0x3fe921fb, v69, vcc_lo
	v_cndmask_b32_e32 v12, 0x54442d18, v68, vcc_lo
	s_delay_alu instid0(VALU_DEP_2) | instskip(SKIP_1) | instid1(VALU_DEP_1)
	v_bfi_b32 v14, 0x7fffffff, v14, v17
	v_div_fixup_f64 v[2:3], v[42:43], v[44:45], v[2:3]
	v_mul_f64_e32 v[42:43], v[2:3], v[2:3]
	s_delay_alu instid0(VALU_DEP_1) | instskip(NEXT) | instid1(VALU_DEP_1)
	v_fmamk_f64 v[44:45], v[42:43], 0x3eeba404b5e68a13, v[26:27]
	v_fmaak_f64 v[44:45], v[42:43], v[44:45], 0x3f4b2bb069efb384
	s_delay_alu instid0(VALU_DEP_1) | instskip(NEXT) | instid1(VALU_DEP_1)
	v_fmaak_f64 v[44:45], v[42:43], v[44:45], 0xbf67952daf56de9b
	v_fmaak_f64 v[44:45], v[42:43], v[44:45], 0x3f7d6d43a595c56f
	s_delay_alu instid0(VALU_DEP_1) | instskip(NEXT) | instid1(VALU_DEP_1)
	v_fmaak_f64 v[44:45], v[42:43], v[44:45], 0xbf8c6ea4a57d9582
	v_fmaak_f64 v[44:45], v[42:43], v[44:45], 0x3f967e295f08b19f
	s_delay_alu instid0(VALU_DEP_1) | instskip(NEXT) | instid1(VALU_DEP_1)
	v_fmaak_f64 v[44:45], v[42:43], v[44:45], 0xbf9e9ae6fc27006a
	v_fmaak_f64 v[44:45], v[42:43], v[44:45], 0x3fa2c15b5711927a
	s_delay_alu instid0(VALU_DEP_1) | instskip(NEXT) | instid1(VALU_DEP_1)
	v_fmaak_f64 v[44:45], v[42:43], v[44:45], 0xbfa59976e82d3ff0
	v_fmaak_f64 v[44:45], v[42:43], v[44:45], 0x3fa82d5d6ef28734
	s_delay_alu instid0(VALU_DEP_1) | instskip(NEXT) | instid1(VALU_DEP_1)
	v_fmaak_f64 v[44:45], v[42:43], v[44:45], 0xbfaae5ce6a214619
	v_fmaak_f64 v[44:45], v[42:43], v[44:45], 0x3fae1bb48427b883
	s_delay_alu instid0(VALU_DEP_1) | instskip(NEXT) | instid1(VALU_DEP_1)
	v_fmaak_f64 v[44:45], v[42:43], v[44:45], 0xbfb110e48b207f05
	v_fmaak_f64 v[44:45], v[42:43], v[44:45], 0x3fb3b13657b87036
	s_delay_alu instid0(VALU_DEP_1) | instskip(NEXT) | instid1(VALU_DEP_1)
	v_fmaak_f64 v[44:45], v[42:43], v[44:45], 0xbfb745d119378e4f
	v_fmaak_f64 v[44:45], v[42:43], v[44:45], 0x3fbc71c717e1913c
	s_delay_alu instid0(VALU_DEP_1) | instskip(NEXT) | instid1(VALU_DEP_1)
	v_fmaak_f64 v[44:45], v[42:43], v[44:45], 0xbfc2492492376b7d
	v_fmaak_f64 v[44:45], v[42:43], v[44:45], 0x3fc99999999952cc
	s_delay_alu instid0(VALU_DEP_1) | instskip(NEXT) | instid1(VALU_DEP_1)
	v_fmaak_f64 v[44:45], v[42:43], v[44:45], 0xbfd5555555555523
	v_mul_f64_e32 v[42:43], v[42:43], v[44:45]
	s_delay_alu instid0(VALU_DEP_1) | instskip(NEXT) | instid1(VALU_DEP_1)
	v_fmac_f64_e32 v[2:3], v[2:3], v[42:43]
	v_add_f64_e64 v[42:43], -v[2:3], s[38:39]
	s_delay_alu instid0(VALU_DEP_1) | instskip(NEXT) | instid1(VALU_DEP_1)
	v_dual_cndmask_b32 v43, v3, v43, s4 :: v_dual_cndmask_b32 v42, v2, v42, s4
	v_add_f64_e64 v[44:45], -v[42:43], s[40:41]
	s_delay_alu instid0(VALU_DEP_1) | instskip(NEXT) | instid1(VALU_DEP_2)
	v_dual_mul_f64 v[2:3], 0.5, v[46:47] :: v_dual_cndmask_b32 v15, v43, v45, vcc_lo
	v_cndmask_b32_e32 v42, v42, v44, vcc_lo
	s_and_b32 vcc_lo, s8, s9
	s_delay_alu instid0(VALU_DEP_1) | instskip(NEXT) | instid1(VALU_DEP_1)
	v_dual_cndmask_b32 v4, v15, v4, s5 :: v_dual_cndmask_b32 v21, v42, v21, s5
	v_dual_cndmask_b32 v43, v4, v14 :: v_dual_cndmask_b32 v42, v21, v12
	s_delay_alu instid0(VALU_DEP_4)
	v_mul_f64_e32 v[2:3], v[46:47], v[2:3]
.LBB191_244:                            ;   in Loop: Header=BB191_145 Depth=1
	s_or_b32 exec_lo, exec_lo, s6
.LBB191_245:                            ;   in Loop: Header=BB191_145 Depth=1
	s_delay_alu instid0(SALU_CYCLE_1)
	s_or_b32 exec_lo, exec_lo, s7
.LBB191_246:                            ;   in Loop: Header=BB191_145 Depth=1
	s_and_not1_saveexec_b32 s6, s33
	s_cbranch_execz .LBB191_248
; %bb.247:                              ;   in Loop: Header=BB191_145 Depth=1
	v_div_scale_f64 v[2:3], null, s[46:47], s[46:47], v[14:15]
	v_div_scale_f64 v[42:43], null, s[46:47], s[46:47], v[16:17]
	v_div_scale_f64 v[52:53], vcc_lo, v[14:15], s[46:47], v[14:15]
	s_delay_alu instid0(VALU_DEP_3) | instskip(NEXT) | instid1(VALU_DEP_2)
	v_rcp_f64_e32 v[44:45], v[2:3]
	v_rcp_f64_e32 v[46:47], v[42:43]
	s_delay_alu instid0(TRANS32_DEP_2) | instskip(NEXT) | instid1(TRANS32_DEP_1)
	v_fma_f64 v[48:49], -v[2:3], v[44:45], 1.0
	v_fma_f64 v[50:51], -v[42:43], v[46:47], 1.0
	s_delay_alu instid0(VALU_DEP_2) | instskip(NEXT) | instid1(VALU_DEP_2)
	v_fmac_f64_e32 v[44:45], v[44:45], v[48:49]
	v_fmac_f64_e32 v[46:47], v[46:47], v[50:51]
	s_delay_alu instid0(VALU_DEP_2) | instskip(NEXT) | instid1(VALU_DEP_2)
	v_fma_f64 v[48:49], -v[2:3], v[44:45], 1.0
	v_fma_f64 v[50:51], -v[42:43], v[46:47], 1.0
	s_delay_alu instid0(VALU_DEP_2) | instskip(SKIP_1) | instid1(VALU_DEP_3)
	v_fmac_f64_e32 v[44:45], v[44:45], v[48:49]
	v_div_scale_f64 v[48:49], s5, v[16:17], s[46:47], v[16:17]
	v_fmac_f64_e32 v[46:47], v[46:47], v[50:51]
	s_delay_alu instid0(VALU_DEP_3) | instskip(NEXT) | instid1(VALU_DEP_2)
	v_mul_f64_e32 v[50:51], v[52:53], v[44:45]
	v_mul_f64_e32 v[54:55], v[48:49], v[46:47]
	s_delay_alu instid0(VALU_DEP_2) | instskip(NEXT) | instid1(VALU_DEP_2)
	v_fma_f64 v[2:3], -v[2:3], v[50:51], v[52:53]
	v_fma_f64 v[42:43], -v[42:43], v[54:55], v[48:49]
	s_delay_alu instid0(VALU_DEP_2) | instskip(SKIP_1) | instid1(VALU_DEP_2)
	v_div_fmas_f64 v[2:3], v[2:3], v[44:45], v[50:51]
	s_mov_b32 vcc_lo, s5
	v_div_fmas_f64 v[42:43], v[42:43], v[46:47], v[54:55]
	s_delay_alu instid0(VALU_DEP_2) | instskip(NEXT) | instid1(VALU_DEP_2)
	v_div_fixup_f64 v[2:3], v[2:3], s[46:47], v[14:15]
	v_div_fixup_f64 v[42:43], v[42:43], s[46:47], v[16:17]
	s_delay_alu instid0(VALU_DEP_2) | instskip(NEXT) | instid1(VALU_DEP_2)
	v_cmp_class_f64_e64 s5, v[2:3], 0x204
	v_max_num_f64_e64 v[44:45], |v[2:3]|, |v[42:43]|
	v_cmp_class_f64_e64 s7, v[42:43], 0x204
	s_delay_alu instid0(VALU_DEP_2) | instskip(SKIP_2) | instid1(VALU_DEP_2)
	v_frexp_exp_i32_f64_e32 v4, v[44:45]
	s_or_b32 s5, s7, s5
	v_cmp_class_f64_e64 s7, v[14:15], 0x204
	v_sub_nc_u32_e32 v12, 0, v4
	s_delay_alu instid0(VALU_DEP_1) | instskip(SKIP_1) | instid1(VALU_DEP_2)
	v_ldexp_f64 v[44:45], |v[42:43]|, v12
	v_ldexp_f64 v[46:47], |v[2:3]|, v12
	v_mul_f64_e32 v[44:45], v[44:45], v[44:45]
	s_delay_alu instid0(VALU_DEP_1) | instskip(NEXT) | instid1(VALU_DEP_1)
	v_fmac_f64_e32 v[44:45], v[46:47], v[46:47]
	v_rsq_f64_e32 v[46:47], v[44:45]
	v_cmp_eq_f64_e32 vcc_lo, 0, v[44:45]
	s_delay_alu instid0(TRANS32_DEP_1) | instskip(SKIP_1) | instid1(VALU_DEP_1)
	v_mul_f64_e32 v[48:49], v[44:45], v[46:47]
	v_mul_f64_e32 v[46:47], 0.5, v[46:47]
	v_fma_f64 v[50:51], -v[46:47], v[48:49], 0.5
	s_delay_alu instid0(VALU_DEP_1) | instskip(SKIP_1) | instid1(VALU_DEP_2)
	v_fmac_f64_e32 v[48:49], v[48:49], v[50:51]
	v_fmac_f64_e32 v[46:47], v[46:47], v[50:51]
	v_fma_f64 v[50:51], -v[48:49], v[48:49], v[44:45]
	s_delay_alu instid0(VALU_DEP_1) | instskip(NEXT) | instid1(VALU_DEP_1)
	v_fmac_f64_e32 v[48:49], v[50:51], v[46:47]
	v_dual_cndmask_b32 v45, v49, v45 :: v_dual_cndmask_b32 v44, v48, v44
	v_cmp_o_f64_e32 vcc_lo, v[2:3], v[42:43]
	s_delay_alu instid0(VALU_DEP_2) | instskip(NEXT) | instid1(VALU_DEP_1)
	v_ldexp_f64 v[44:45], v[44:45], v4
	v_cndmask_b32_e32 v2, 0, v44, vcc_lo
	s_delay_alu instid0(VALU_DEP_2) | instskip(NEXT) | instid1(VALU_DEP_2)
	v_cndmask_b32_e32 v3, 0x7ff80000, v45, vcc_lo
	v_cndmask_b32_e64 v44, v2, 0, s5
	s_delay_alu instid0(VALU_DEP_2) | instskip(SKIP_1) | instid1(VALU_DEP_2)
	v_cndmask_b32_e64 v45, v3, 0x7ff00000, s5
	v_cmp_class_f64_e64 s5, v[16:17], 0x204
	v_frexp_mant_f64_e32 v[2:3], v[44:45]
	s_delay_alu instid0(VALU_DEP_1) | instskip(SKIP_1) | instid1(VALU_DEP_1)
	v_cmp_gt_f64_e32 vcc_lo, s[28:29], v[2:3]
	v_cndmask_b32_e64 v4, 0, 1, vcc_lo
	v_ldexp_f64 v[2:3], v[2:3], v4
	v_frexp_exp_i32_f64_e32 v4, v[44:45]
	s_delay_alu instid0(VALU_DEP_2) | instskip(SKIP_1) | instid1(VALU_DEP_3)
	v_add_f64_e32 v[42:43], 1.0, v[2:3]
	v_add_f64_e32 v[50:51], -1.0, v[2:3]
	v_subrev_co_ci_u32_e64 v4, null, 0, v4, vcc_lo
	s_delay_alu instid0(VALU_DEP_3) | instskip(SKIP_1) | instid1(VALU_DEP_1)
	v_rcp_f64_e32 v[46:47], v[42:43]
	v_add_f64_e32 v[52:53], -1.0, v[42:43]
	v_add_f64_e64 v[2:3], v[2:3], -v[52:53]
	s_delay_alu instid0(TRANS32_DEP_1) | instskip(NEXT) | instid1(VALU_DEP_1)
	v_fma_f64 v[48:49], -v[42:43], v[46:47], 1.0
	v_fmac_f64_e32 v[46:47], v[48:49], v[46:47]
	s_delay_alu instid0(VALU_DEP_1) | instskip(NEXT) | instid1(VALU_DEP_1)
	v_fma_f64 v[48:49], -v[42:43], v[46:47], 1.0
	v_fmac_f64_e32 v[46:47], v[48:49], v[46:47]
	s_delay_alu instid0(VALU_DEP_1) | instskip(NEXT) | instid1(VALU_DEP_1)
	v_mul_f64_e32 v[48:49], v[50:51], v[46:47]
	v_mul_f64_e32 v[54:55], v[42:43], v[48:49]
	s_delay_alu instid0(VALU_DEP_1) | instskip(NEXT) | instid1(VALU_DEP_1)
	v_fma_f64 v[42:43], v[48:49], v[42:43], -v[54:55]
	v_fmac_f64_e32 v[42:43], v[48:49], v[2:3]
	s_delay_alu instid0(VALU_DEP_1) | instskip(NEXT) | instid1(VALU_DEP_1)
	v_add_f64_e32 v[2:3], v[54:55], v[42:43]
	v_add_f64_e64 v[52:53], v[50:51], -v[2:3]
	v_add_f64_e64 v[54:55], v[2:3], -v[54:55]
	s_delay_alu instid0(VALU_DEP_2) | instskip(NEXT) | instid1(VALU_DEP_2)
	v_add_f64_e64 v[50:51], v[50:51], -v[52:53]
	v_add_f64_e64 v[42:43], v[54:55], -v[42:43]
	s_delay_alu instid0(VALU_DEP_2) | instskip(SKIP_1) | instid1(VALU_DEP_2)
	v_add_f64_e64 v[2:3], v[50:51], -v[2:3]
	v_max_num_f64_e64 v[50:51], |v[14:15]|, |v[14:15]|
	v_add_f64_e32 v[2:3], v[42:43], v[2:3]
	v_max_num_f64_e64 v[42:43], |v[16:17]|, |v[16:17]|
	s_delay_alu instid0(VALU_DEP_2) | instskip(NEXT) | instid1(VALU_DEP_1)
	v_add_f64_e32 v[2:3], v[52:53], v[2:3]
	v_mul_f64_e32 v[2:3], v[46:47], v[2:3]
	s_delay_alu instid0(VALU_DEP_3) | instskip(SKIP_1) | instid1(VALU_DEP_3)
	v_max_num_f64_e32 v[46:47], v[50:51], v[42:43]
	v_min_num_f64_e32 v[42:43], v[50:51], v[42:43]
	v_add_f64_e32 v[50:51], v[48:49], v[2:3]
	s_delay_alu instid0(VALU_DEP_2) | instskip(NEXT) | instid1(VALU_DEP_2)
	v_div_scale_f64 v[52:53], null, v[46:47], v[46:47], v[42:43]
	v_mul_f64_e32 v[54:55], v[50:51], v[50:51]
	v_add_f64_e64 v[48:49], v[50:51], -v[48:49]
	s_delay_alu instid0(VALU_DEP_3) | instskip(NEXT) | instid1(VALU_DEP_2)
	v_rcp_f64_e32 v[56:57], v[52:53]
	v_fmamk_f64 v[58:59], v[54:55], 0x3fc3ab76bf559e2b, v[24:25]
	v_mul_f64_e32 v[60:61], v[50:51], v[54:55]
	s_delay_alu instid0(VALU_DEP_3) | instskip(NEXT) | instid1(VALU_DEP_3)
	v_add_f64_e64 v[2:3], v[2:3], -v[48:49]
	v_fmaak_f64 v[58:59], v[54:55], v[58:59], 0x3fc7474dd7f4df2e
	s_delay_alu instid0(TRANS32_DEP_1) | instskip(NEXT) | instid1(VALU_DEP_2)
	v_fma_f64 v[62:63], -v[52:53], v[56:57], 1.0
	v_fmaak_f64 v[58:59], v[54:55], v[58:59], 0x3fcc71c016291751
	s_delay_alu instid0(VALU_DEP_1) | instskip(NEXT) | instid1(VALU_DEP_1)
	v_fmaak_f64 v[58:59], v[54:55], v[58:59], 0x3fd249249b27acf1
	v_fmaak_f64 v[58:59], v[54:55], v[58:59], 0x3fd99999998ef7b6
	v_ldexp_f64 v[2:3], v[2:3], 1
	s_delay_alu instid0(VALU_DEP_2) | instskip(SKIP_2) | instid1(VALU_DEP_3)
	v_fmaak_f64 v[54:55], v[54:55], v[58:59], 0x3fe5555555555780
	v_ldexp_f64 v[58:59], v[50:51], 1
	v_fmac_f64_e32 v[56:57], v[56:57], v[62:63]
	v_mul_f64_e32 v[54:55], v[60:61], v[54:55]
	v_cvt_f64_i32_e32 v[60:61], v4
	v_ashrrev_i32_e32 v4, 31, v15
	s_delay_alu instid0(VALU_DEP_1) | instskip(SKIP_4) | instid1(VALU_DEP_3)
	v_and_b32_e32 v21, 0x54442d18, v4
	v_and_b32_e32 v4, 0x400921fb, v4
	v_fma_f64 v[62:63], -v[52:53], v[56:57], 1.0
	v_add_f64_e32 v[50:51], v[58:59], v[54:55]
	v_mul_f64_e32 v[64:65], 0x3fe62e42fefa39ef, v[60:61]
	v_fmac_f64_e32 v[56:57], v[56:57], v[62:63]
	s_delay_alu instid0(VALU_DEP_3) | instskip(SKIP_1) | instid1(VALU_DEP_4)
	v_add_f64_e64 v[48:49], v[50:51], -v[58:59]
	v_div_scale_f64 v[58:59], vcc_lo, v[42:43], v[46:47], v[42:43]
	v_fma_f64 v[62:63], v[60:61], s[30:31], -v[64:65]
	s_delay_alu instid0(VALU_DEP_3) | instskip(NEXT) | instid1(VALU_DEP_3)
	v_add_f64_e64 v[48:49], v[54:55], -v[48:49]
	v_mul_f64_e32 v[54:55], v[58:59], v[56:57]
	s_delay_alu instid0(VALU_DEP_3) | instskip(NEXT) | instid1(VALU_DEP_3)
	v_fmac_f64_e32 v[62:63], 0x3c7abc9e3b39803f, v[60:61]
	v_add_f64_e32 v[2:3], v[2:3], v[48:49]
	s_delay_alu instid0(VALU_DEP_3) | instskip(NEXT) | instid1(VALU_DEP_3)
	v_fma_f64 v[48:49], -v[52:53], v[54:55], v[58:59]
	v_add_f64_e32 v[52:53], v[64:65], v[62:63]
	s_delay_alu instid0(VALU_DEP_3) | instskip(NEXT) | instid1(VALU_DEP_3)
	v_add_f64_e32 v[58:59], v[50:51], v[2:3]
	v_div_fmas_f64 v[48:49], v[48:49], v[56:57], v[54:55]
	v_cmp_class_f64_e64 vcc_lo, v[44:45], 0x204
	s_delay_alu instid0(VALU_DEP_4) | instskip(NEXT) | instid1(VALU_DEP_4)
	v_add_f64_e64 v[56:57], v[52:53], -v[64:65]
	v_add_f64_e32 v[54:55], v[52:53], v[58:59]
	s_delay_alu instid0(VALU_DEP_4) | instskip(SKIP_1) | instid1(VALU_DEP_4)
	v_div_fixup_f64 v[42:43], v[48:49], v[46:47], v[42:43]
	v_add_f64_e64 v[50:51], v[58:59], -v[50:51]
	v_add_f64_e64 v[56:57], v[62:63], -v[56:57]
	s_delay_alu instid0(VALU_DEP_4) | instskip(NEXT) | instid1(VALU_DEP_4)
	v_add_f64_e64 v[46:47], v[54:55], -v[52:53]
	v_mul_f64_e32 v[48:49], v[42:43], v[42:43]
	s_delay_alu instid0(VALU_DEP_4) | instskip(NEXT) | instid1(VALU_DEP_3)
	v_add_f64_e64 v[2:3], v[2:3], -v[50:51]
	v_add_f64_e64 v[60:61], v[54:55], -v[46:47]
	s_delay_alu instid0(VALU_DEP_3) | instskip(SKIP_1) | instid1(VALU_DEP_4)
	v_fmamk_f64 v[64:65], v[48:49], 0x3eeba404b5e68a13, v[26:27]
	v_add_f64_e64 v[46:47], v[58:59], -v[46:47]
	v_add_f64_e32 v[58:59], v[56:57], v[2:3]
	s_delay_alu instid0(VALU_DEP_3) | instskip(SKIP_1) | instid1(VALU_DEP_2)
	v_fmaak_f64 v[64:65], v[48:49], v[64:65], 0x3f4b2bb069efb384
	v_add_f64_e64 v[50:51], v[52:53], -v[60:61]
	v_fmaak_f64 v[52:53], v[48:49], v[64:65], 0xbf67952daf56de9b
	s_delay_alu instid0(VALU_DEP_1) | instskip(NEXT) | instid1(VALU_DEP_1)
	v_fmaak_f64 v[52:53], v[48:49], v[52:53], 0x3f7d6d43a595c56f
	v_fmaak_f64 v[52:53], v[48:49], v[52:53], 0xbf8c6ea4a57d9582
	s_delay_alu instid0(VALU_DEP_1) | instskip(SKIP_1) | instid1(VALU_DEP_2)
	v_fmaak_f64 v[52:53], v[48:49], v[52:53], 0x3f967e295f08b19f
	v_add_f64_e32 v[46:47], v[46:47], v[50:51]
	v_fmaak_f64 v[50:51], v[48:49], v[52:53], 0xbf9e9ae6fc27006a
	v_add_f64_e64 v[52:53], v[58:59], -v[56:57]
	s_delay_alu instid0(VALU_DEP_2) | instskip(NEXT) | instid1(VALU_DEP_1)
	v_fmaak_f64 v[50:51], v[48:49], v[50:51], 0x3fa2c15b5711927a
	v_fmaak_f64 v[50:51], v[48:49], v[50:51], 0xbfa59976e82d3ff0
	s_delay_alu instid0(VALU_DEP_1) | instskip(NEXT) | instid1(VALU_DEP_1)
	v_fmaak_f64 v[50:51], v[48:49], v[50:51], 0x3fa82d5d6ef28734
	v_fmaak_f64 v[50:51], v[48:49], v[50:51], 0xbfaae5ce6a214619
	v_add_f64_e32 v[46:47], v[58:59], v[46:47]
	v_add_f64_e64 v[58:59], v[58:59], -v[52:53]
	v_add_f64_e64 v[2:3], v[2:3], -v[52:53]
	s_delay_alu instid0(VALU_DEP_4) | instskip(NEXT) | instid1(VALU_DEP_1)
	v_fmaak_f64 v[50:51], v[48:49], v[50:51], 0x3fae1bb48427b883
	v_fmaak_f64 v[50:51], v[48:49], v[50:51], 0xbfb110e48b207f05
	s_delay_alu instid0(VALU_DEP_1) | instskip(NEXT) | instid1(VALU_DEP_1)
	v_fmaak_f64 v[50:51], v[48:49], v[50:51], 0x3fb3b13657b87036
	v_fmaak_f64 v[50:51], v[48:49], v[50:51], 0xbfb745d119378e4f
	s_delay_alu instid0(VALU_DEP_1) | instskip(SKIP_1) | instid1(VALU_DEP_2)
	v_fmaak_f64 v[50:51], v[48:49], v[50:51], 0x3fbc71c717e1913c
	v_add_f64_e32 v[60:61], v[54:55], v[46:47]
	v_fmaak_f64 v[50:51], v[48:49], v[50:51], 0xbfc2492492376b7d
	s_delay_alu instid0(VALU_DEP_1) | instskip(NEXT) | instid1(VALU_DEP_1)
	v_fmaak_f64 v[50:51], v[48:49], v[50:51], 0x3fc99999999952cc
	v_fmaak_f64 v[50:51], v[48:49], v[50:51], 0xbfd5555555555523
	s_delay_alu instid0(VALU_DEP_1) | instskip(SKIP_2) | instid1(VALU_DEP_3)
	v_mul_f64_e32 v[48:49], v[48:49], v[50:51]
	v_add_f64_e64 v[50:51], v[56:57], -v[58:59]
	v_add_f64_e64 v[52:53], v[60:61], -v[54:55]
	v_fmac_f64_e32 v[42:43], v[42:43], v[48:49]
	s_delay_alu instid0(VALU_DEP_3) | instskip(NEXT) | instid1(VALU_DEP_3)
	v_add_f64_e32 v[2:3], v[2:3], v[50:51]
	v_add_f64_e64 v[46:47], v[46:47], -v[52:53]
	s_delay_alu instid0(VALU_DEP_3) | instskip(NEXT) | instid1(VALU_DEP_2)
	v_add_f64_e64 v[48:49], -v[42:43], s[38:39]
	v_add_f64_e32 v[2:3], v[2:3], v[46:47]
	s_delay_alu instid0(VALU_DEP_2) | instskip(SKIP_1) | instid1(VALU_DEP_3)
	v_dual_cndmask_b32 v43, v43, v49, s4 :: v_dual_cndmask_b32 v42, v42, v48, s4
	v_cmp_gt_i32_e64 s4, 0, v15
	v_add_f64_e32 v[2:3], v[60:61], v[2:3]
	s_delay_alu instid0(VALU_DEP_3) | instskip(NEXT) | instid1(VALU_DEP_3)
	v_add_f64_e64 v[46:47], -v[42:43], s[40:41]
	v_cndmask_b32_e64 v12, 0x54442d18, v68, s4
	v_cndmask_b32_e64 v14, 0x3fe921fb, v69, s4
	s_delay_alu instid0(VALU_DEP_1) | instskip(SKIP_4) | instid1(VALU_DEP_2)
	v_bfi_b32 v14, 0x7fffffff, v14, v17
	v_dual_cndmask_b32 v3, v3, v45 :: v_dual_cndmask_b32 v2, v2, v44
	v_cmp_eq_f64_e32 vcc_lo, 0, v[16:17]
	v_dual_cndmask_b32 v42, v42, v46, s4 :: v_dual_cndmask_b32 v15, v43, v47, s4
	v_cmp_nge_f64_e64 s4, 0, v[44:45]
	v_dual_add_f64 v[2:3], 1.0, v[2:3] :: v_dual_cndmask_b32 v21, v42, v21, vcc_lo
	s_delay_alu instid0(VALU_DEP_3) | instskip(SKIP_1) | instid1(VALU_DEP_3)
	v_cndmask_b32_e32 v4, v15, v4, vcc_lo
	v_cmp_ngt_f64_e32 vcc_lo, 0, v[44:45]
	v_cndmask_b32_e64 v2, 0, v2, s4
	v_cmp_neq_f64_e64 s4, 0, v[44:45]
	v_cndmask_b32_e32 v3, 0x7ff80000, v3, vcc_lo
	s_and_b32 vcc_lo, s5, s7
	v_dual_cndmask_b32 v43, v4, v14 :: v_dual_cndmask_b32 v42, v21, v12
	s_delay_alu instid0(VALU_DEP_2)
	v_cndmask_b32_e64 v3, 0xfff00000, v3, s4
.LBB191_248:                            ;   in Loop: Header=BB191_145 Depth=1
	s_or_b32 exec_lo, exec_lo, s6
.LBB191_249:                            ;   in Loop: Header=BB191_145 Depth=1
	s_and_not1_saveexec_b32 s4, s15
	s_cbranch_execz .LBB191_255
; %bb.250:                              ;   in Loop: Header=BB191_145 Depth=1
	v_cmp_ngt_f64_e64 s5, 0x20000000, |v[14:15]|
	v_cmp_ngt_f64_e64 s6, 0x20000000, |v[16:17]|
                                        ; implicit-def: $vgpr44_vgpr45
	s_or_b32 s5, s6, s5
	s_delay_alu instid0(SALU_CYCLE_1) | instskip(NEXT) | instid1(SALU_CYCLE_1)
	s_and_saveexec_b32 s6, s5
	s_xor_b32 s5, exec_lo, s6
	s_cbranch_execz .LBB191_252
; %bb.251:                              ;   in Loop: Header=BB191_145 Depth=1
	v_mul_f64_e32 v[44:45], v[14:15], v[14:15]
	s_delay_alu instid0(VALU_DEP_1)
	v_fmac_f64_e32 v[44:45], v[16:17], v[16:17]
.LBB191_252:                            ;   in Loop: Header=BB191_145 Depth=1
	s_and_not1_saveexec_b32 s5, s5
	s_cbranch_execz .LBB191_254
; %bb.253:                              ;   in Loop: Header=BB191_145 Depth=1
	v_mul_f64_e32 v[2:3], 4.0, v[14:15]
	v_mul_f64_e32 v[14:15], 4.0, v[16:17]
	s_delay_alu instid0(VALU_DEP_2) | instskip(NEXT) | instid1(VALU_DEP_1)
	v_mul_f64_e32 v[2:3], v[2:3], v[2:3]
	v_fmac_f64_e32 v[2:3], v[14:15], v[14:15]
	s_delay_alu instid0(VALU_DEP_1)
	v_ldexp_f64 v[44:45], v[2:3], -4
.LBB191_254:                            ;   in Loop: Header=BB191_145 Depth=1
	s_or_b32 exec_lo, exec_lo, s5
	s_delay_alu instid0(VALU_DEP_1) | instskip(NEXT) | instid1(VALU_DEP_1)
	v_frexp_mant_f64_e32 v[2:3], v[44:45]
	v_cmp_gt_f64_e32 vcc_lo, s[28:29], v[2:3]
	v_cndmask_b32_e64 v4, 0, 1, vcc_lo
	s_delay_alu instid0(VALU_DEP_1) | instskip(SKIP_1) | instid1(VALU_DEP_1)
	v_ldexp_f64 v[2:3], v[2:3], v4
	v_frexp_exp_i32_f64_e32 v4, v[44:45]
	v_subrev_co_ci_u32_e64 v4, null, 0, v4, vcc_lo
	v_cmp_class_f64_e64 vcc_lo, v[44:45], 0x204
	s_delay_alu instid0(VALU_DEP_4) | instskip(SKIP_1) | instid1(VALU_DEP_2)
	v_add_f64_e32 v[14:15], 1.0, v[2:3]
	v_add_f64_e32 v[48:49], -1.0, v[2:3]
	v_rcp_f64_e32 v[42:43], v[14:15]
	v_add_f64_e32 v[50:51], -1.0, v[14:15]
	s_delay_alu instid0(VALU_DEP_1) | instskip(NEXT) | instid1(TRANS32_DEP_1)
	v_add_f64_e64 v[2:3], v[2:3], -v[50:51]
	v_fma_f64 v[46:47], -v[14:15], v[42:43], 1.0
	s_delay_alu instid0(VALU_DEP_1) | instskip(NEXT) | instid1(VALU_DEP_1)
	v_fmac_f64_e32 v[42:43], v[46:47], v[42:43]
	v_fma_f64 v[46:47], -v[14:15], v[42:43], 1.0
	s_delay_alu instid0(VALU_DEP_1) | instskip(NEXT) | instid1(VALU_DEP_1)
	v_fmac_f64_e32 v[42:43], v[46:47], v[42:43]
	v_mul_f64_e32 v[46:47], v[48:49], v[42:43]
	s_delay_alu instid0(VALU_DEP_1) | instskip(NEXT) | instid1(VALU_DEP_1)
	v_mul_f64_e32 v[52:53], v[14:15], v[46:47]
	v_fma_f64 v[14:15], v[46:47], v[14:15], -v[52:53]
	s_delay_alu instid0(VALU_DEP_1) | instskip(NEXT) | instid1(VALU_DEP_1)
	v_fmac_f64_e32 v[14:15], v[46:47], v[2:3]
	v_add_f64_e32 v[2:3], v[52:53], v[14:15]
	s_delay_alu instid0(VALU_DEP_1) | instskip(SKIP_1) | instid1(VALU_DEP_2)
	v_add_f64_e64 v[50:51], v[48:49], -v[2:3]
	v_add_f64_e64 v[52:53], v[2:3], -v[52:53]
	;; [unrolled: 1-line block ×3, first 2 shown]
	s_delay_alu instid0(VALU_DEP_2) | instskip(NEXT) | instid1(VALU_DEP_2)
	v_add_f64_e64 v[14:15], v[52:53], -v[14:15]
	v_add_f64_e64 v[2:3], v[48:49], -v[2:3]
	s_delay_alu instid0(VALU_DEP_1) | instskip(NEXT) | instid1(VALU_DEP_1)
	v_add_f64_e32 v[2:3], v[14:15], v[2:3]
	v_add_f64_e32 v[2:3], v[50:51], v[2:3]
	s_delay_alu instid0(VALU_DEP_1) | instskip(NEXT) | instid1(VALU_DEP_1)
	v_mul_f64_e32 v[2:3], v[42:43], v[2:3]
	v_add_f64_e32 v[14:15], v[46:47], v[2:3]
	s_delay_alu instid0(VALU_DEP_1) | instskip(NEXT) | instid1(VALU_DEP_1)
	v_mul_f64_e32 v[42:43], v[14:15], v[14:15]
	v_fmamk_f64 v[48:49], v[42:43], 0x3fc3ab76bf559e2b, v[24:25]
	v_mul_f64_e32 v[50:51], v[14:15], v[42:43]
	s_delay_alu instid0(VALU_DEP_2) | instskip(NEXT) | instid1(VALU_DEP_1)
	v_fmaak_f64 v[48:49], v[42:43], v[48:49], 0x3fc7474dd7f4df2e
	v_fmaak_f64 v[48:49], v[42:43], v[48:49], 0x3fcc71c016291751
	s_delay_alu instid0(VALU_DEP_1) | instskip(NEXT) | instid1(VALU_DEP_1)
	v_fmaak_f64 v[48:49], v[42:43], v[48:49], 0x3fd249249b27acf1
	v_fmaak_f64 v[48:49], v[42:43], v[48:49], 0x3fd99999998ef7b6
	s_delay_alu instid0(VALU_DEP_1) | instskip(SKIP_2) | instid1(VALU_DEP_3)
	v_fmaak_f64 v[42:43], v[42:43], v[48:49], 0x3fe5555555555780
	v_ldexp_f64 v[48:49], v[14:15], 1
	v_add_f64_e64 v[14:15], v[14:15], -v[46:47]
	v_mul_f64_e32 v[42:43], v[50:51], v[42:43]
	v_cvt_f64_i32_e32 v[50:51], v4
	s_delay_alu instid0(VALU_DEP_3) | instskip(NEXT) | instid1(VALU_DEP_3)
	v_add_f64_e64 v[2:3], v[2:3], -v[14:15]
	v_add_f64_e32 v[46:47], v[48:49], v[42:43]
	s_delay_alu instid0(VALU_DEP_3) | instskip(NEXT) | instid1(VALU_DEP_3)
	v_mul_f64_e32 v[52:53], 0x3fe62e42fefa39ef, v[50:51]
	v_ldexp_f64 v[2:3], v[2:3], 1
	s_delay_alu instid0(VALU_DEP_3) | instskip(NEXT) | instid1(VALU_DEP_3)
	v_add_f64_e64 v[14:15], v[46:47], -v[48:49]
	v_fma_f64 v[48:49], v[50:51], s[30:31], -v[52:53]
	s_delay_alu instid0(VALU_DEP_2) | instskip(NEXT) | instid1(VALU_DEP_2)
	v_add_f64_e64 v[14:15], v[42:43], -v[14:15]
	v_fmac_f64_e32 v[48:49], 0x3c7abc9e3b39803f, v[50:51]
	s_delay_alu instid0(VALU_DEP_2) | instskip(NEXT) | instid1(VALU_DEP_2)
	v_add_f64_e32 v[2:3], v[2:3], v[14:15]
	v_add_f64_e32 v[14:15], v[52:53], v[48:49]
	s_delay_alu instid0(VALU_DEP_2) | instskip(NEXT) | instid1(VALU_DEP_2)
	v_add_f64_e32 v[42:43], v[46:47], v[2:3]
	v_add_f64_e64 v[52:53], v[14:15], -v[52:53]
	s_delay_alu instid0(VALU_DEP_2) | instskip(SKIP_1) | instid1(VALU_DEP_3)
	v_add_f64_e32 v[50:51], v[14:15], v[42:43]
	v_add_f64_e64 v[46:47], v[42:43], -v[46:47]
	v_add_f64_e64 v[48:49], v[48:49], -v[52:53]
	s_delay_alu instid0(VALU_DEP_3) | instskip(NEXT) | instid1(VALU_DEP_3)
	v_add_f64_e64 v[54:55], v[50:51], -v[14:15]
	v_add_f64_e64 v[2:3], v[2:3], -v[46:47]
	s_delay_alu instid0(VALU_DEP_2) | instskip(SKIP_1) | instid1(VALU_DEP_3)
	v_add_f64_e64 v[56:57], v[50:51], -v[54:55]
	v_add_f64_e64 v[42:43], v[42:43], -v[54:55]
	v_add_f64_e32 v[46:47], v[48:49], v[2:3]
	s_delay_alu instid0(VALU_DEP_3) | instskip(NEXT) | instid1(VALU_DEP_1)
	v_add_f64_e64 v[14:15], v[14:15], -v[56:57]
	v_add_f64_e32 v[14:15], v[42:43], v[14:15]
	s_delay_alu instid0(VALU_DEP_3) | instskip(NEXT) | instid1(VALU_DEP_2)
	v_add_f64_e64 v[42:43], v[46:47], -v[48:49]
	v_add_f64_e32 v[14:15], v[46:47], v[14:15]
	s_delay_alu instid0(VALU_DEP_2) | instskip(SKIP_1) | instid1(VALU_DEP_3)
	v_add_f64_e64 v[46:47], v[46:47], -v[42:43]
	v_add_f64_e64 v[2:3], v[2:3], -v[42:43]
	v_add_f64_e32 v[52:53], v[50:51], v[14:15]
	s_delay_alu instid0(VALU_DEP_3) | instskip(NEXT) | instid1(VALU_DEP_2)
	v_add_f64_e64 v[42:43], v[48:49], -v[46:47]
	v_add_f64_e64 v[46:47], v[52:53], -v[50:51]
	s_delay_alu instid0(VALU_DEP_2) | instskip(SKIP_1) | instid1(VALU_DEP_3)
	v_add_f64_e32 v[2:3], v[2:3], v[42:43]
	v_mov_b64_e32 v[42:43], 0x7ff8000000000000
	v_add_f64_e64 v[14:15], v[14:15], -v[46:47]
	s_delay_alu instid0(VALU_DEP_1) | instskip(NEXT) | instid1(VALU_DEP_1)
	v_add_f64_e32 v[2:3], v[2:3], v[14:15]
	v_add_f64_e32 v[2:3], v[52:53], v[2:3]
	s_delay_alu instid0(VALU_DEP_1) | instskip(SKIP_1) | instid1(VALU_DEP_2)
	v_dual_cndmask_b32 v2, v2, v44 :: v_dual_cndmask_b32 v3, v3, v45
	v_cmp_ngt_f64_e32 vcc_lo, 0, v[44:45]
	v_cndmask_b32_e32 v3, 0x7ff80000, v3, vcc_lo
	v_cmp_nge_f64_e32 vcc_lo, 0, v[44:45]
	s_delay_alu instid0(VALU_DEP_4) | instskip(SKIP_1) | instid1(VALU_DEP_4)
	v_cndmask_b32_e32 v2, 0, v2, vcc_lo
	v_cmp_neq_f64_e32 vcc_lo, 0, v[44:45]
	v_cndmask_b32_e32 v3, 0xfff00000, v3, vcc_lo
.LBB191_255:                            ;   in Loop: Header=BB191_145 Depth=1
	s_or_b32 exec_lo, exec_lo, s4
                                        ; implicit-def: $vgpr14_vgpr15
                                        ; implicit-def: $vgpr44_vgpr45
	s_delay_alu instid0(SALU_CYCLE_1)
	s_mov_b32 s4, exec_lo
	v_cmpx_o_f64_e32 v[6:7], v[8:9]
	s_xor_b32 s15, exec_lo, s4
	s_cbranch_execnz .LBB191_261
; %bb.256:                              ;   in Loop: Header=BB191_145 Depth=1
	s_and_not1_saveexec_b32 s4, s15
	s_cbranch_execnz .LBB191_288
.LBB191_257:                            ;   in Loop: Header=BB191_145 Depth=1
	s_or_b32 exec_lo, exec_lo, s4
	s_and_saveexec_b32 s4, s1
	s_delay_alu instid0(SALU_CYCLE_1)
	s_xor_b32 s1, exec_lo, s4
	s_cbranch_execnz .LBB191_293
.LBB191_258:                            ;   in Loop: Header=BB191_145 Depth=1
	s_or_b32 exec_lo, exec_lo, s1
	s_and_saveexec_b32 s1, s0
	s_cbranch_execnz .LBB191_294
.LBB191_259:                            ;   in Loop: Header=BB191_145 Depth=1
	s_or_b32 exec_lo, exec_lo, s1
	s_and_saveexec_b32 s0, s2
	s_cbranch_execnz .LBB191_295
.LBB191_260:                            ;   in Loop: Header=BB191_145 Depth=1
	s_or_b32 exec_lo, exec_lo, s0
	s_and_saveexec_b32 s0, s3
	s_cbranch_execz .LBB191_144
	s_branch .LBB191_296
.LBB191_261:                            ;   in Loop: Header=BB191_145 Depth=1
	v_cmp_lt_f64_e64 s4, |v[6:7]|, |v[8:9]|
	v_and_b32_e32 v12, 0x7fffffff, v7
	v_and_b32_e32 v21, 0x7fffffff, v9
	v_mov_b32_e32 v4, v8
                                        ; implicit-def: $vgpr14_vgpr15
                                        ; implicit-def: $vgpr44_vgpr45
	s_mov_b32 s5, exec_lo
	s_delay_alu instid0(VALU_DEP_2) | instskip(NEXT) | instid1(VALU_DEP_1)
	v_dual_cndmask_b32 v49, v21, v12, s4 :: v_dual_cndmask_b32 v48, v8, v6, s4
	v_cmpx_nlt_f64_e32 s[22:23], v[48:49]
	s_xor_b32 s33, exec_lo, s5
	s_cbranch_execz .LBB191_285
; %bb.262:                              ;   in Loop: Header=BB191_145 Depth=1
	v_dual_cndmask_b32 v51, v12, v21, s4 :: v_dual_cndmask_b32 v50, v6, v4, s4
                                        ; implicit-def: $vgpr14_vgpr15
                                        ; implicit-def: $vgpr44_vgpr45
	s_mov_b32 s5, exec_lo
	s_delay_alu instid0(VALU_DEP_1)
	v_cmpx_neq_f64_e32 1.0, v[50:51]
	s_xor_b32 s52, exec_lo, s5
	s_cbranch_execz .LBB191_278
; %bb.263:                              ;   in Loop: Header=BB191_145 Depth=1
	v_max_num_f64_e32 v[14:15], v[48:49], v[48:49]
	v_max_num_f64_e32 v[44:45], v[50:51], v[50:51]
	s_delay_alu instid0(VALU_DEP_1) | instskip(SKIP_1) | instid1(VALU_DEP_2)
	v_min_num_f64_e32 v[46:47], v[44:45], v[14:15]
	v_max_num_f64_e32 v[14:15], v[44:45], v[14:15]
                                        ; implicit-def: $vgpr44_vgpr45
	v_cmp_ngt_f64_e32 vcc_lo, s[24:25], v[46:47]
	s_delay_alu instid0(VALU_DEP_2) | instskip(SKIP_1) | instid1(SALU_CYCLE_1)
	v_cmp_nlt_f64_e64 s5, s[26:27], v[14:15]
                                        ; implicit-def: $vgpr14_vgpr15
	s_and_b32 s5, s5, vcc_lo
	s_and_saveexec_b32 s6, s5
	s_delay_alu instid0(SALU_CYCLE_1)
	s_xor_b32 s53, exec_lo, s6
	s_cbranch_execz .LBB191_275
; %bb.264:                              ;   in Loop: Header=BB191_145 Depth=1
                                        ; implicit-def: $vgpr14_vgpr15
                                        ; implicit-def: $vgpr44_vgpr45
	s_mov_b32 s5, exec_lo
	v_cmpx_le_f64_e32 1.0, v[50:51]
	s_xor_b32 s8, exec_lo, s5
	s_cbranch_execz .LBB191_266
; %bb.265:                              ;   in Loop: Header=BB191_145 Depth=1
	v_add_f64_e32 v[14:15], -1.0, v[50:51]
	v_cmp_eq_f64_e64 s5, 0, v[8:9]
	v_add_f64_e32 v[44:45], 1.0, v[50:51]
	v_cmp_class_f64_e64 s10, v[6:7], 0x204
	v_cmp_class_f64_e64 s9, v[8:9], 0x204
	s_delay_alu instid0(VALU_DEP_3) | instskip(NEXT) | instid1(VALU_DEP_1)
	v_mul_f64_e32 v[46:47], v[14:15], v[44:45]
	v_fmac_f64_e32 v[46:47], v[48:49], v[48:49]
	s_delay_alu instid0(VALU_DEP_1) | instskip(SKIP_2) | instid1(VALU_DEP_3)
	v_add_f64_e32 v[14:15], 1.0, v[46:47]
	v_cmp_nge_f64_e64 s6, -1.0, v[46:47]
	v_cmp_neq_f64_e64 s7, 0x7ff00000, v[46:47]
	v_frexp_mant_f64_e32 v[44:45], v[14:15]
	v_frexp_exp_i32_f64_e32 v4, v[14:15]
	v_add_f64_e32 v[48:49], -1.0, v[14:15]
	s_delay_alu instid0(VALU_DEP_3) | instskip(NEXT) | instid1(VALU_DEP_2)
	v_cmp_gt_f64_e32 vcc_lo, s[28:29], v[44:45]
	v_add_f64_e64 v[44:45], v[48:49], -v[14:15]
	v_add_f64_e64 v[48:49], v[46:47], -v[48:49]
	v_subrev_co_ci_u32_e64 v4, null, 0, v4, vcc_lo
	s_delay_alu instid0(VALU_DEP_3) | instskip(NEXT) | instid1(VALU_DEP_2)
	v_add_f64_e32 v[44:45], 1.0, v[44:45]
	v_sub_nc_u32_e32 v12, 0, v4
	s_delay_alu instid0(VALU_DEP_1) | instskip(NEXT) | instid1(VALU_DEP_3)
	v_ldexp_f64 v[14:15], v[14:15], v12
	v_add_f64_e32 v[44:45], v[48:49], v[44:45]
	s_delay_alu instid0(VALU_DEP_2) | instskip(SKIP_1) | instid1(VALU_DEP_3)
	v_add_f64_e32 v[50:51], 1.0, v[14:15]
	v_add_f64_e32 v[56:57], -1.0, v[14:15]
	v_ldexp_f64 v[44:45], v[44:45], v12
	s_delay_alu instid0(VALU_DEP_3) | instskip(NEXT) | instid1(VALU_DEP_3)
	v_add_f64_e32 v[48:49], -1.0, v[50:51]
	v_add_f64_e32 v[58:59], 1.0, v[56:57]
	s_delay_alu instid0(VALU_DEP_2) | instskip(NEXT) | instid1(VALU_DEP_2)
	v_add_f64_e64 v[48:49], v[14:15], -v[48:49]
	v_add_f64_e64 v[14:15], v[14:15], -v[58:59]
	s_delay_alu instid0(VALU_DEP_2) | instskip(NEXT) | instid1(VALU_DEP_2)
	v_add_f64_e32 v[48:49], v[44:45], v[48:49]
	v_add_f64_e32 v[14:15], v[44:45], v[14:15]
	s_delay_alu instid0(VALU_DEP_2) | instskip(NEXT) | instid1(VALU_DEP_2)
	v_add_f64_e32 v[52:53], v[50:51], v[48:49]
	v_add_f64_e32 v[58:59], v[56:57], v[14:15]
	s_delay_alu instid0(VALU_DEP_2) | instskip(SKIP_1) | instid1(VALU_DEP_2)
	v_rcp_f64_e32 v[54:55], v[52:53]
	v_add_f64_e64 v[50:51], v[52:53], -v[50:51]
	v_add_f64_e64 v[56:57], v[58:59], -v[56:57]
	s_delay_alu instid0(VALU_DEP_2) | instskip(NEXT) | instid1(VALU_DEP_2)
	v_add_f64_e64 v[48:49], v[48:49], -v[50:51]
	v_add_f64_e64 v[14:15], v[14:15], -v[56:57]
	s_delay_alu instid0(TRANS32_DEP_1) | instskip(NEXT) | instid1(VALU_DEP_1)
	v_fma_f64 v[60:61], -v[52:53], v[54:55], 1.0
	v_fmac_f64_e32 v[54:55], v[60:61], v[54:55]
	s_delay_alu instid0(VALU_DEP_1) | instskip(NEXT) | instid1(VALU_DEP_1)
	v_fma_f64 v[44:45], -v[52:53], v[54:55], 1.0
	v_fmac_f64_e32 v[54:55], v[44:45], v[54:55]
	s_delay_alu instid0(VALU_DEP_1) | instskip(NEXT) | instid1(VALU_DEP_1)
	v_mul_f64_e32 v[44:45], v[58:59], v[54:55]
	v_mul_f64_e32 v[60:61], v[52:53], v[44:45]
	s_delay_alu instid0(VALU_DEP_1) | instskip(NEXT) | instid1(VALU_DEP_1)
	v_fma_f64 v[50:51], v[44:45], v[52:53], -v[60:61]
	v_fmac_f64_e32 v[50:51], v[44:45], v[48:49]
	s_delay_alu instid0(VALU_DEP_1) | instskip(NEXT) | instid1(VALU_DEP_1)
	v_add_f64_e32 v[62:63], v[60:61], v[50:51]
	v_add_f64_e64 v[64:65], v[58:59], -v[62:63]
	v_add_f64_e64 v[56:57], v[62:63], -v[60:61]
	s_delay_alu instid0(VALU_DEP_2) | instskip(NEXT) | instid1(VALU_DEP_2)
	v_add_f64_e64 v[58:59], v[58:59], -v[64:65]
	v_add_f64_e64 v[50:51], v[56:57], -v[50:51]
	s_delay_alu instid0(VALU_DEP_2) | instskip(NEXT) | instid1(VALU_DEP_1)
	v_add_f64_e64 v[58:59], v[58:59], -v[62:63]
	v_add_f64_e32 v[14:15], v[14:15], v[58:59]
	s_delay_alu instid0(VALU_DEP_1) | instskip(NEXT) | instid1(VALU_DEP_1)
	v_add_f64_e32 v[14:15], v[50:51], v[14:15]
	v_add_f64_e32 v[50:51], v[64:65], v[14:15]
	s_delay_alu instid0(VALU_DEP_1) | instskip(SKIP_1) | instid1(VALU_DEP_2)
	v_mul_f64_e32 v[56:57], v[54:55], v[50:51]
	v_add_f64_e64 v[62:63], v[64:65], -v[50:51]
	v_mul_f64_e32 v[58:59], v[52:53], v[56:57]
	s_delay_alu instid0(VALU_DEP_2) | instskip(NEXT) | instid1(VALU_DEP_2)
	v_add_f64_e32 v[14:15], v[14:15], v[62:63]
	v_fma_f64 v[52:53], v[56:57], v[52:53], -v[58:59]
	s_delay_alu instid0(VALU_DEP_1) | instskip(NEXT) | instid1(VALU_DEP_1)
	v_fmac_f64_e32 v[52:53], v[56:57], v[48:49]
	v_add_f64_e32 v[48:49], v[58:59], v[52:53]
	s_delay_alu instid0(VALU_DEP_1) | instskip(SKIP_1) | instid1(VALU_DEP_2)
	v_add_f64_e64 v[60:61], v[50:51], -v[48:49]
	v_add_f64_e64 v[58:59], v[48:49], -v[58:59]
	;; [unrolled: 1-line block ×3, first 2 shown]
	s_delay_alu instid0(VALU_DEP_1) | instskip(NEXT) | instid1(VALU_DEP_3)
	v_add_f64_e64 v[48:49], v[50:51], -v[48:49]
	v_add_f64_e64 v[50:51], v[58:59], -v[52:53]
	v_max_num_f64_e64 v[52:53], |v[6:7]|, |v[6:7]|
	s_delay_alu instid0(VALU_DEP_3) | instskip(SKIP_1) | instid1(VALU_DEP_2)
	v_add_f64_e32 v[14:15], v[14:15], v[48:49]
	v_add_f64_e32 v[48:49], v[44:45], v[56:57]
	;; [unrolled: 1-line block ×3, first 2 shown]
	s_delay_alu instid0(VALU_DEP_2) | instskip(SKIP_1) | instid1(VALU_DEP_3)
	v_add_f64_e64 v[44:45], v[48:49], -v[44:45]
	v_max_num_f64_e64 v[50:51], |v[8:9]|, |v[8:9]|
	v_add_f64_e32 v[14:15], v[60:61], v[14:15]
	s_delay_alu instid0(VALU_DEP_3) | instskip(NEXT) | instid1(VALU_DEP_2)
	v_add_f64_e64 v[44:45], v[56:57], -v[44:45]
	v_mul_f64_e32 v[14:15], v[54:55], v[14:15]
	s_delay_alu instid0(VALU_DEP_1) | instskip(SKIP_2) | instid1(VALU_DEP_3)
	v_add_f64_e32 v[14:15], v[44:45], v[14:15]
	v_max_num_f64_e32 v[44:45], v[52:53], v[50:51]
	v_min_num_f64_e32 v[50:51], v[52:53], v[50:51]
	v_add_f64_e32 v[52:53], v[48:49], v[14:15]
	s_delay_alu instid0(VALU_DEP_2) | instskip(NEXT) | instid1(VALU_DEP_2)
	v_div_scale_f64 v[54:55], null, v[44:45], v[44:45], v[50:51]
	v_mul_f64_e32 v[56:57], v[52:53], v[52:53]
	v_add_f64_e64 v[48:49], v[52:53], -v[48:49]
	s_delay_alu instid0(VALU_DEP_3) | instskip(NEXT) | instid1(VALU_DEP_2)
	v_rcp_f64_e32 v[58:59], v[54:55]
	v_fmamk_f64 v[60:61], v[56:57], 0x3fc3ab76bf559e2b, v[24:25]
	v_mul_f64_e32 v[62:63], v[52:53], v[56:57]
	s_delay_alu instid0(VALU_DEP_3) | instskip(NEXT) | instid1(VALU_DEP_3)
	v_add_f64_e64 v[14:15], v[14:15], -v[48:49]
	v_fmaak_f64 v[60:61], v[56:57], v[60:61], 0x3fc7474dd7f4df2e
	s_delay_alu instid0(TRANS32_DEP_1) | instskip(NEXT) | instid1(VALU_DEP_2)
	v_fma_f64 v[64:65], -v[54:55], v[58:59], 1.0
	v_fmaak_f64 v[60:61], v[56:57], v[60:61], 0x3fcc71c016291751
	s_delay_alu instid0(VALU_DEP_1) | instskip(NEXT) | instid1(VALU_DEP_1)
	v_fmaak_f64 v[60:61], v[56:57], v[60:61], 0x3fd249249b27acf1
	v_fmaak_f64 v[60:61], v[56:57], v[60:61], 0x3fd99999998ef7b6
	v_ldexp_f64 v[14:15], v[14:15], 1
	s_delay_alu instid0(VALU_DEP_2) | instskip(SKIP_2) | instid1(VALU_DEP_3)
	v_fmaak_f64 v[56:57], v[56:57], v[60:61], 0x3fe5555555555780
	v_ldexp_f64 v[60:61], v[52:53], 1
	v_fmac_f64_e32 v[58:59], v[58:59], v[64:65]
	v_mul_f64_e32 v[56:57], v[62:63], v[56:57]
	v_cvt_f64_i32_e32 v[62:63], v4
	v_ashrrev_i32_e32 v4, 31, v7
	s_delay_alu instid0(VALU_DEP_1) | instskip(SKIP_4) | instid1(VALU_DEP_3)
	v_and_b32_e32 v16, 0x54442d18, v4
	v_and_b32_e32 v4, 0x400921fb, v4
	v_fma_f64 v[64:65], -v[54:55], v[58:59], 1.0
	v_add_f64_e32 v[52:53], v[60:61], v[56:57]
	v_mul_f64_e32 v[66:67], 0x3fe62e42fefa39ef, v[62:63]
	v_fmac_f64_e32 v[58:59], v[58:59], v[64:65]
	s_delay_alu instid0(VALU_DEP_3) | instskip(SKIP_1) | instid1(VALU_DEP_4)
	v_add_f64_e64 v[48:49], v[52:53], -v[60:61]
	v_div_scale_f64 v[60:61], vcc_lo, v[50:51], v[44:45], v[50:51]
	v_fma_f64 v[64:65], v[62:63], s[30:31], -v[66:67]
	s_delay_alu instid0(VALU_DEP_3) | instskip(NEXT) | instid1(VALU_DEP_3)
	v_add_f64_e64 v[48:49], v[56:57], -v[48:49]
	v_mul_f64_e32 v[56:57], v[60:61], v[58:59]
	s_delay_alu instid0(VALU_DEP_3) | instskip(NEXT) | instid1(VALU_DEP_3)
	v_fmac_f64_e32 v[64:65], 0x3c7abc9e3b39803f, v[62:63]
	v_add_f64_e32 v[14:15], v[14:15], v[48:49]
	s_delay_alu instid0(VALU_DEP_3) | instskip(NEXT) | instid1(VALU_DEP_3)
	v_fma_f64 v[48:49], -v[54:55], v[56:57], v[60:61]
	v_add_f64_e32 v[54:55], v[66:67], v[64:65]
	s_delay_alu instid0(VALU_DEP_3) | instskip(NEXT) | instid1(VALU_DEP_3)
	v_add_f64_e32 v[60:61], v[52:53], v[14:15]
	v_div_fmas_f64 v[48:49], v[48:49], v[58:59], v[56:57]
	v_cmp_gt_i32_e32 vcc_lo, 0, v7
	s_delay_alu instid0(VALU_DEP_4) | instskip(SKIP_2) | instid1(VALU_DEP_1)
	v_add_f64_e64 v[58:59], v[54:55], -v[66:67]
	v_cndmask_b32_e32 v12, 0x54442d18, v68, vcc_lo
	v_cndmask_b32_e32 v6, 0x3fe921fb, v69, vcc_lo
	v_bfi_b32 v6, 0x7fffffff, v6, v9
	v_add_f64_e32 v[56:57], v[54:55], v[60:61]
	v_div_fixup_f64 v[44:45], v[48:49], v[44:45], v[50:51]
	v_add_f64_e64 v[52:53], v[60:61], -v[52:53]
	v_add_f64_e64 v[58:59], v[64:65], -v[58:59]
	s_delay_alu instid0(VALU_DEP_4) | instskip(NEXT) | instid1(VALU_DEP_4)
	v_add_f64_e64 v[48:49], v[56:57], -v[54:55]
	v_mul_f64_e32 v[50:51], v[44:45], v[44:45]
	s_delay_alu instid0(VALU_DEP_4) | instskip(NEXT) | instid1(VALU_DEP_3)
	v_add_f64_e64 v[14:15], v[14:15], -v[52:53]
	v_add_f64_e64 v[62:63], v[56:57], -v[48:49]
	s_delay_alu instid0(VALU_DEP_3) | instskip(SKIP_1) | instid1(VALU_DEP_4)
	v_fmamk_f64 v[66:67], v[50:51], 0x3eeba404b5e68a13, v[26:27]
	v_add_f64_e64 v[48:49], v[60:61], -v[48:49]
	v_add_f64_e32 v[60:61], v[58:59], v[14:15]
	s_delay_alu instid0(VALU_DEP_3) | instskip(SKIP_1) | instid1(VALU_DEP_2)
	v_fmaak_f64 v[66:67], v[50:51], v[66:67], 0x3f4b2bb069efb384
	v_add_f64_e64 v[52:53], v[54:55], -v[62:63]
	v_fmaak_f64 v[54:55], v[50:51], v[66:67], 0xbf67952daf56de9b
	s_delay_alu instid0(VALU_DEP_1) | instskip(NEXT) | instid1(VALU_DEP_1)
	v_fmaak_f64 v[54:55], v[50:51], v[54:55], 0x3f7d6d43a595c56f
	v_fmaak_f64 v[54:55], v[50:51], v[54:55], 0xbf8c6ea4a57d9582
	s_delay_alu instid0(VALU_DEP_1) | instskip(NEXT) | instid1(VALU_DEP_1)
	v_fmaak_f64 v[54:55], v[50:51], v[54:55], 0x3f967e295f08b19f
	v_fmaak_f64 v[54:55], v[50:51], v[54:55], 0xbf9e9ae6fc27006a
	v_add_f64_e32 v[48:49], v[48:49], v[52:53]
	s_delay_alu instid0(VALU_DEP_2) | instskip(SKIP_1) | instid1(VALU_DEP_2)
	v_fmaak_f64 v[52:53], v[50:51], v[54:55], 0x3fa2c15b5711927a
	v_add_f64_e64 v[54:55], v[60:61], -v[58:59]
	v_fmaak_f64 v[52:53], v[50:51], v[52:53], 0xbfa59976e82d3ff0
	s_delay_alu instid0(VALU_DEP_1) | instskip(NEXT) | instid1(VALU_DEP_1)
	v_fmaak_f64 v[52:53], v[50:51], v[52:53], 0x3fa82d5d6ef28734
	v_fmaak_f64 v[52:53], v[50:51], v[52:53], 0xbfaae5ce6a214619
	s_delay_alu instid0(VALU_DEP_1) | instskip(SKIP_3) | instid1(VALU_DEP_4)
	v_fmaak_f64 v[52:53], v[50:51], v[52:53], 0x3fae1bb48427b883
	v_add_f64_e32 v[48:49], v[60:61], v[48:49]
	v_add_f64_e64 v[60:61], v[60:61], -v[54:55]
	v_add_f64_e64 v[14:15], v[14:15], -v[54:55]
	v_fmaak_f64 v[52:53], v[50:51], v[52:53], 0xbfb110e48b207f05
	s_delay_alu instid0(VALU_DEP_1) | instskip(NEXT) | instid1(VALU_DEP_1)
	v_fmaak_f64 v[52:53], v[50:51], v[52:53], 0x3fb3b13657b87036
	v_fmaak_f64 v[52:53], v[50:51], v[52:53], 0xbfb745d119378e4f
	s_delay_alu instid0(VALU_DEP_1) | instskip(SKIP_1) | instid1(VALU_DEP_2)
	v_fmaak_f64 v[52:53], v[50:51], v[52:53], 0x3fbc71c717e1913c
	v_add_f64_e32 v[62:63], v[56:57], v[48:49]
	v_fmaak_f64 v[52:53], v[50:51], v[52:53], 0xbfc2492492376b7d
	s_delay_alu instid0(VALU_DEP_1) | instskip(NEXT) | instid1(VALU_DEP_1)
	v_fmaak_f64 v[52:53], v[50:51], v[52:53], 0x3fc99999999952cc
	v_fmaak_f64 v[52:53], v[50:51], v[52:53], 0xbfd5555555555523
	s_delay_alu instid0(VALU_DEP_1) | instskip(SKIP_2) | instid1(VALU_DEP_3)
	v_mul_f64_e32 v[50:51], v[50:51], v[52:53]
	v_add_f64_e64 v[52:53], v[58:59], -v[60:61]
	v_add_f64_e64 v[54:55], v[62:63], -v[56:57]
	v_fmac_f64_e32 v[44:45], v[44:45], v[50:51]
	s_delay_alu instid0(VALU_DEP_3) | instskip(NEXT) | instid1(VALU_DEP_3)
	v_add_f64_e32 v[14:15], v[14:15], v[52:53]
	v_add_f64_e64 v[48:49], v[48:49], -v[54:55]
	s_delay_alu instid0(VALU_DEP_3) | instskip(NEXT) | instid1(VALU_DEP_1)
	v_add_f64_e64 v[50:51], -v[44:45], s[38:39]
	v_dual_add_f64 v[14:15], v[14:15], v[48:49] :: v_dual_cndmask_b32 v45, v45, v51, s4
	s_delay_alu instid0(VALU_DEP_2) | instskip(NEXT) | instid1(VALU_DEP_1)
	v_cndmask_b32_e64 v44, v44, v50, s4
                                        ; implicit-def: $vgpr50_vgpr51
	v_add_f64_e64 v[48:49], -v[44:45], s[40:41]
	s_delay_alu instid0(VALU_DEP_1) | instskip(NEXT) | instid1(VALU_DEP_2)
	v_dual_add_f64 v[14:15], v[62:63], v[14:15] :: v_dual_cndmask_b32 v21, v44, v48, vcc_lo
	v_cndmask_b32_e32 v7, v45, v49, vcc_lo
	v_cmp_ngt_f64_e32 vcc_lo, -1.0, v[46:47]
	s_delay_alu instid0(VALU_DEP_3) | instskip(NEXT) | instid1(VALU_DEP_4)
	v_mul_f64_e32 v[14:15], 0.5, v[14:15]
                                        ; implicit-def: $vgpr48_vgpr49
	v_cndmask_b32_e64 v16, v21, v16, s5
	s_delay_alu instid0(VALU_DEP_4)
	v_cndmask_b32_e64 v4, v7, v4, s5
	s_and_b32 s5, s6, s7
	s_delay_alu instid0(VALU_DEP_3) | instid1(SALU_CYCLE_1)
	v_cndmask_b32_e64 v14, 0, v14, s5
	v_cmp_neq_f64_e64 s5, -1.0, v[46:47]
	v_cndmask_b32_e64 v15, 0x7ff00000, v15, s7
	s_delay_alu instid0(VALU_DEP_1) | instskip(SKIP_3) | instid1(VALU_DEP_3)
	v_cndmask_b32_e32 v7, 0x7ff80000, v15, vcc_lo
	s_and_b32 vcc_lo, s9, s10
	v_cndmask_b32_e32 v45, v4, v6, vcc_lo
	v_cndmask_b32_e32 v44, v16, v12, vcc_lo
	v_cndmask_b32_e64 v15, 0xfff00000, v7, s5
.LBB191_266:                            ;   in Loop: Header=BB191_145 Depth=1
	s_and_not1_saveexec_b32 s54, s8
	s_cbranch_execz .LBB191_274
; %bb.267:                              ;   in Loop: Header=BB191_145 Depth=1
	v_mul_f64_e32 v[46:47], v[48:49], v[48:49]
                                        ; implicit-def: $vgpr14_vgpr15
                                        ; implicit-def: $vgpr44_vgpr45
	s_mov_b32 s5, exec_lo
	s_delay_alu instid0(VALU_DEP_1) | instskip(NEXT) | instid1(VALU_DEP_1)
	v_fmac_f64_e32 v[46:47], v[50:51], v[50:51]
	v_cmpx_ge_f64_e32 s[42:43], v[46:47]
	s_xor_b32 s7, exec_lo, s5
	s_cbranch_execz .LBB191_269
; %bb.268:                              ;   in Loop: Header=BB191_145 Depth=1
	v_frexp_mant_f64_e32 v[14:15], v[46:47]
	v_cmp_eq_f64_e64 s5, 0, v[8:9]
	v_cmp_neq_f64_e64 s6, 0, v[46:47]
	v_cmp_class_f64_e64 s8, v[8:9], 0x204
	v_cmp_class_f64_e64 s9, v[6:7], 0x204
	v_cmp_gt_f64_e32 vcc_lo, s[28:29], v[14:15]
	v_cndmask_b32_e64 v4, 0, 1, vcc_lo
	s_delay_alu instid0(VALU_DEP_1) | instskip(SKIP_1) | instid1(VALU_DEP_2)
	v_ldexp_f64 v[14:15], v[14:15], v4
	v_frexp_exp_i32_f64_e32 v4, v[46:47]
	v_add_f64_e32 v[44:45], 1.0, v[14:15]
	v_add_f64_e32 v[52:53], -1.0, v[14:15]
	s_delay_alu instid0(VALU_DEP_3) | instskip(NEXT) | instid1(VALU_DEP_3)
	v_subrev_co_ci_u32_e64 v4, null, 0, v4, vcc_lo
	v_rcp_f64_e32 v[48:49], v[44:45]
	v_add_f64_e32 v[54:55], -1.0, v[44:45]
	s_delay_alu instid0(VALU_DEP_1) | instskip(NEXT) | instid1(TRANS32_DEP_1)
	v_add_f64_e64 v[14:15], v[14:15], -v[54:55]
	v_fma_f64 v[50:51], -v[44:45], v[48:49], 1.0
	s_delay_alu instid0(VALU_DEP_1) | instskip(NEXT) | instid1(VALU_DEP_1)
	v_fmac_f64_e32 v[48:49], v[50:51], v[48:49]
	v_fma_f64 v[50:51], -v[44:45], v[48:49], 1.0
	s_delay_alu instid0(VALU_DEP_1) | instskip(NEXT) | instid1(VALU_DEP_1)
	v_fmac_f64_e32 v[48:49], v[50:51], v[48:49]
	v_mul_f64_e32 v[50:51], v[52:53], v[48:49]
	s_delay_alu instid0(VALU_DEP_1) | instskip(NEXT) | instid1(VALU_DEP_1)
	v_mul_f64_e32 v[56:57], v[44:45], v[50:51]
	v_fma_f64 v[44:45], v[50:51], v[44:45], -v[56:57]
	s_delay_alu instid0(VALU_DEP_1) | instskip(NEXT) | instid1(VALU_DEP_1)
	v_fmac_f64_e32 v[44:45], v[50:51], v[14:15]
	v_add_f64_e32 v[14:15], v[56:57], v[44:45]
	s_delay_alu instid0(VALU_DEP_1) | instskip(SKIP_1) | instid1(VALU_DEP_2)
	v_add_f64_e64 v[54:55], v[52:53], -v[14:15]
	v_add_f64_e64 v[56:57], v[14:15], -v[56:57]
	;; [unrolled: 1-line block ×3, first 2 shown]
	s_delay_alu instid0(VALU_DEP_2) | instskip(NEXT) | instid1(VALU_DEP_2)
	v_add_f64_e64 v[44:45], v[56:57], -v[44:45]
	v_add_f64_e64 v[14:15], v[52:53], -v[14:15]
	v_max_num_f64_e64 v[52:53], |v[6:7]|, |v[6:7]|
	s_delay_alu instid0(VALU_DEP_2) | instskip(SKIP_1) | instid1(VALU_DEP_2)
	v_add_f64_e32 v[14:15], v[44:45], v[14:15]
	v_max_num_f64_e64 v[44:45], |v[8:9]|, |v[8:9]|
	v_add_f64_e32 v[14:15], v[54:55], v[14:15]
	s_delay_alu instid0(VALU_DEP_1) | instskip(NEXT) | instid1(VALU_DEP_3)
	v_mul_f64_e32 v[14:15], v[48:49], v[14:15]
	v_max_num_f64_e32 v[48:49], v[52:53], v[44:45]
	v_min_num_f64_e32 v[44:45], v[52:53], v[44:45]
	s_delay_alu instid0(VALU_DEP_3) | instskip(NEXT) | instid1(VALU_DEP_2)
	v_add_f64_e32 v[52:53], v[50:51], v[14:15]
	v_div_scale_f64 v[54:55], null, v[48:49], v[48:49], v[44:45]
	s_delay_alu instid0(VALU_DEP_2) | instskip(NEXT) | instid1(VALU_DEP_2)
	v_mul_f64_e32 v[56:57], v[52:53], v[52:53]
	v_rcp_f64_e32 v[58:59], v[54:55]
	s_delay_alu instid0(VALU_DEP_1) | instskip(SKIP_1) | instid1(VALU_DEP_2)
	v_fmamk_f64 v[60:61], v[56:57], 0x3fc3ab76bf559e2b, v[24:25]
	v_mul_f64_e32 v[62:63], v[52:53], v[56:57]
	v_fmaak_f64 v[60:61], v[56:57], v[60:61], 0x3fc7474dd7f4df2e
	s_delay_alu instid0(TRANS32_DEP_1) | instskip(NEXT) | instid1(VALU_DEP_2)
	v_fma_f64 v[64:65], -v[54:55], v[58:59], 1.0
	v_fmaak_f64 v[60:61], v[56:57], v[60:61], 0x3fcc71c016291751
	s_delay_alu instid0(VALU_DEP_1) | instskip(NEXT) | instid1(VALU_DEP_1)
	v_fmaak_f64 v[60:61], v[56:57], v[60:61], 0x3fd249249b27acf1
	v_fmaak_f64 v[60:61], v[56:57], v[60:61], 0x3fd99999998ef7b6
	s_delay_alu instid0(VALU_DEP_1) | instskip(SKIP_2) | instid1(VALU_DEP_3)
	v_fmaak_f64 v[56:57], v[56:57], v[60:61], 0x3fe5555555555780
	v_ldexp_f64 v[60:61], v[52:53], 1
	v_fmac_f64_e32 v[58:59], v[58:59], v[64:65]
	v_mul_f64_e32 v[56:57], v[62:63], v[56:57]
	v_cvt_f64_i32_e32 v[62:63], v4
	v_ashrrev_i32_e32 v4, 31, v7
	v_add_f64_e64 v[50:51], v[52:53], -v[50:51]
	s_delay_alu instid0(VALU_DEP_2)
	v_and_b32_e32 v16, 0x54442d18, v4
	v_and_b32_e32 v4, 0x400921fb, v4
	v_fma_f64 v[64:65], -v[54:55], v[58:59], 1.0
	v_add_f64_e32 v[52:53], v[60:61], v[56:57]
	v_mul_f64_e32 v[66:67], 0x3fe62e42fefa39ef, v[62:63]
	v_add_f64_e64 v[14:15], v[14:15], -v[50:51]
	s_delay_alu instid0(VALU_DEP_4) | instskip(NEXT) | instid1(VALU_DEP_4)
	v_fmac_f64_e32 v[58:59], v[58:59], v[64:65]
	v_add_f64_e64 v[50:51], v[52:53], -v[60:61]
	v_div_scale_f64 v[60:61], vcc_lo, v[44:45], v[48:49], v[44:45]
	v_fma_f64 v[64:65], v[62:63], s[30:31], -v[66:67]
	v_ldexp_f64 v[14:15], v[14:15], 1
	s_delay_alu instid0(VALU_DEP_4) | instskip(NEXT) | instid1(VALU_DEP_4)
	v_add_f64_e64 v[50:51], v[56:57], -v[50:51]
	v_mul_f64_e32 v[56:57], v[60:61], v[58:59]
	s_delay_alu instid0(VALU_DEP_4) | instskip(NEXT) | instid1(VALU_DEP_3)
	v_fmac_f64_e32 v[64:65], 0x3c7abc9e3b39803f, v[62:63]
	v_add_f64_e32 v[14:15], v[14:15], v[50:51]
	s_delay_alu instid0(VALU_DEP_3) | instskip(NEXT) | instid1(VALU_DEP_3)
	v_fma_f64 v[50:51], -v[54:55], v[56:57], v[60:61]
	v_add_f64_e32 v[54:55], v[66:67], v[64:65]
	s_delay_alu instid0(VALU_DEP_3) | instskip(NEXT) | instid1(VALU_DEP_3)
	v_add_f64_e32 v[60:61], v[52:53], v[14:15]
	v_div_fmas_f64 v[50:51], v[50:51], v[58:59], v[56:57]
	v_cmp_gt_i32_e32 vcc_lo, 0, v7
	s_delay_alu instid0(VALU_DEP_4)
	v_add_f64_e64 v[58:59], v[54:55], -v[66:67]
	v_cndmask_b32_e32 v12, 0x54442d18, v68, vcc_lo
	v_add_f64_e32 v[56:57], v[54:55], v[60:61]
	v_div_fixup_f64 v[44:45], v[50:51], v[48:49], v[44:45]
	v_add_f64_e64 v[52:53], v[60:61], -v[52:53]
	v_add_f64_e64 v[58:59], v[64:65], -v[58:59]
	s_delay_alu instid0(VALU_DEP_4) | instskip(NEXT) | instid1(VALU_DEP_4)
	v_add_f64_e64 v[48:49], v[56:57], -v[54:55]
	v_mul_f64_e32 v[50:51], v[44:45], v[44:45]
	s_delay_alu instid0(VALU_DEP_4) | instskip(NEXT) | instid1(VALU_DEP_3)
	v_add_f64_e64 v[14:15], v[14:15], -v[52:53]
	v_add_f64_e64 v[62:63], v[56:57], -v[48:49]
	s_delay_alu instid0(VALU_DEP_3) | instskip(SKIP_1) | instid1(VALU_DEP_4)
	v_fmamk_f64 v[66:67], v[50:51], 0x3eeba404b5e68a13, v[26:27]
	v_add_f64_e64 v[48:49], v[60:61], -v[48:49]
	v_add_f64_e32 v[60:61], v[58:59], v[14:15]
	s_delay_alu instid0(VALU_DEP_3) | instskip(NEXT) | instid1(VALU_DEP_1)
	v_fmaak_f64 v[66:67], v[50:51], v[66:67], 0x3f4b2bb069efb384
	v_fmaak_f64 v[66:67], v[50:51], v[66:67], 0xbf67952daf56de9b
	v_add_f64_e64 v[52:53], v[54:55], -v[62:63]
	s_delay_alu instid0(VALU_DEP_2) | instskip(NEXT) | instid1(VALU_DEP_1)
	v_fmaak_f64 v[54:55], v[50:51], v[66:67], 0x3f7d6d43a595c56f
	v_fmaak_f64 v[54:55], v[50:51], v[54:55], 0xbf8c6ea4a57d9582
	s_delay_alu instid0(VALU_DEP_1) | instskip(NEXT) | instid1(VALU_DEP_1)
	v_fmaak_f64 v[54:55], v[50:51], v[54:55], 0x3f967e295f08b19f
	v_fmaak_f64 v[54:55], v[50:51], v[54:55], 0xbf9e9ae6fc27006a
	s_delay_alu instid0(VALU_DEP_1) | instskip(SKIP_1) | instid1(VALU_DEP_2)
	v_fmaak_f64 v[54:55], v[50:51], v[54:55], 0x3fa2c15b5711927a
	v_add_f64_e32 v[48:49], v[48:49], v[52:53]
	v_fmaak_f64 v[52:53], v[50:51], v[54:55], 0xbfa59976e82d3ff0
	v_add_f64_e64 v[54:55], v[60:61], -v[58:59]
	s_delay_alu instid0(VALU_DEP_2) | instskip(NEXT) | instid1(VALU_DEP_1)
	v_fmaak_f64 v[52:53], v[50:51], v[52:53], 0x3fa82d5d6ef28734
	v_fmaak_f64 v[52:53], v[50:51], v[52:53], 0xbfaae5ce6a214619
	s_delay_alu instid0(VALU_DEP_1) | instskip(NEXT) | instid1(VALU_DEP_1)
	v_fmaak_f64 v[52:53], v[50:51], v[52:53], 0x3fae1bb48427b883
	v_fmaak_f64 v[52:53], v[50:51], v[52:53], 0xbfb110e48b207f05
	v_add_f64_e32 v[48:49], v[60:61], v[48:49]
	v_add_f64_e64 v[60:61], v[60:61], -v[54:55]
	v_add_f64_e64 v[14:15], v[14:15], -v[54:55]
	s_delay_alu instid0(VALU_DEP_4) | instskip(NEXT) | instid1(VALU_DEP_1)
	v_fmaak_f64 v[52:53], v[50:51], v[52:53], 0x3fb3b13657b87036
	v_fmaak_f64 v[52:53], v[50:51], v[52:53], 0xbfb745d119378e4f
	s_delay_alu instid0(VALU_DEP_1) | instskip(NEXT) | instid1(VALU_DEP_1)
	v_fmaak_f64 v[52:53], v[50:51], v[52:53], 0x3fbc71c717e1913c
	v_fmaak_f64 v[52:53], v[50:51], v[52:53], 0xbfc2492492376b7d
	v_add_f64_e32 v[62:63], v[56:57], v[48:49]
	s_delay_alu instid0(VALU_DEP_2) | instskip(NEXT) | instid1(VALU_DEP_1)
	v_fmaak_f64 v[52:53], v[50:51], v[52:53], 0x3fc99999999952cc
	v_fmaak_f64 v[52:53], v[50:51], v[52:53], 0xbfd5555555555523
	s_delay_alu instid0(VALU_DEP_1) | instskip(SKIP_2) | instid1(VALU_DEP_3)
	v_mul_f64_e32 v[50:51], v[50:51], v[52:53]
	v_add_f64_e64 v[52:53], v[58:59], -v[60:61]
	v_add_f64_e64 v[54:55], v[62:63], -v[56:57]
	v_fmac_f64_e32 v[44:45], v[44:45], v[50:51]
	s_delay_alu instid0(VALU_DEP_3) | instskip(NEXT) | instid1(VALU_DEP_3)
	v_add_f64_e32 v[14:15], v[14:15], v[52:53]
	v_add_f64_e64 v[48:49], v[48:49], -v[54:55]
	s_delay_alu instid0(VALU_DEP_3) | instskip(NEXT) | instid1(VALU_DEP_1)
	v_add_f64_e64 v[50:51], -v[44:45], s[38:39]
	v_dual_add_f64 v[14:15], v[14:15], v[48:49] :: v_dual_cndmask_b32 v45, v45, v51, s4
	s_delay_alu instid0(VALU_DEP_2) | instskip(NEXT) | instid1(VALU_DEP_1)
	v_cndmask_b32_e64 v44, v44, v50, s4
                                        ; implicit-def: $vgpr50_vgpr51
	v_add_f64_e64 v[48:49], -v[44:45], s[40:41]
	s_delay_alu instid0(VALU_DEP_1) | instskip(NEXT) | instid1(VALU_DEP_1)
	v_dual_add_f64 v[14:15], v[62:63], v[14:15] :: v_dual_cndmask_b32 v21, v44, v48, vcc_lo
	v_dual_mul_f64 v[6:7], 0.5, v[14:15] :: v_dual_cndmask_b32 v16, v21, v16, s5
	v_cndmask_b32_e32 v14, 0x3fe921fb, v69, vcc_lo
	s_delay_alu instid0(VALU_DEP_4) | instskip(SKIP_1) | instid1(VALU_DEP_3)
	v_cndmask_b32_e32 v15, v45, v49, vcc_lo
	s_and_b32 vcc_lo, s8, s9
                                        ; implicit-def: $vgpr48_vgpr49
	v_cndmask_b32_e32 v44, v16, v12, vcc_lo
	s_delay_alu instid0(VALU_DEP_3) | instskip(NEXT) | instid1(VALU_DEP_3)
	v_bfi_b32 v14, 0x7fffffff, v14, v9
	v_cndmask_b32_e64 v4, v15, v4, s5
	s_delay_alu instid0(VALU_DEP_1)
	v_cndmask_b32_e32 v45, v4, v14, vcc_lo
	v_cndmask_b32_e64 v15, 0xfff00000, v7, s6
	v_cndmask_b32_e64 v14, 0, v6, s6
.LBB191_269:                            ;   in Loop: Header=BB191_145 Depth=1
	s_and_not1_saveexec_b32 s55, s7
	s_cbranch_execz .LBB191_273
; %bb.270:                              ;   in Loop: Header=BB191_145 Depth=1
	v_and_b32_e32 v21, 0x7ffffff8, v51
	v_and_b32_e32 v45, 0x7ffffff8, v49
	v_mov_b32_e32 v44, v20
	s_mov_b32 s56, 0
	s_delay_alu instid0(VALU_DEP_3) | instskip(SKIP_1) | instid1(VALU_DEP_3)
	v_dual_add_f64 v[14:15], v[50:51], -v[20:21] :: v_dual_mov_b32 v52, v20
	v_mov_b32_e32 v50, v20
	v_add_f64_e64 v[46:47], v[48:49], -v[44:45]
	v_add_f64_e32 v[62:63], v[44:45], v[44:45]
	s_delay_alu instid0(VALU_DEP_4) | instskip(NEXT) | instid1(VALU_DEP_3)
	v_dual_mul_f64 v[48:49], v[44:45], v[44:45] :: v_dual_bitop2_b32 v51, -8, v15 bitop3:0x40
	v_dual_add_f64 v[54:55], v[20:21], v[20:21] :: v_dual_bitop2_b32 v53, -8, v47 bitop3:0x40
	s_delay_alu instid0(VALU_DEP_2) | instskip(SKIP_1) | instid1(VALU_DEP_3)
	v_add_f64_e64 v[64:65], v[14:15], -v[50:51]
	v_add_f64_e32 v[70:71], v[50:51], v[50:51]
	v_add_f64_e64 v[66:67], v[46:47], -v[52:53]
	v_add_f64_e32 v[72:73], v[52:53], v[52:53]
	v_mul_f64_e32 v[14:15], v[20:21], v[20:21]
	v_mul_f64_e32 v[46:47], v[62:63], v[52:53]
	;; [unrolled: 1-line block ×11, first 2 shown]
.LBB191_271:                            ;   Parent Loop BB191_145 Depth=1
                                        ; =>  This Inner Loop Header: Depth=2
	v_cmp_nlt_f64_e32 vcc_lo, v[14:15], v[48:49]
	v_dual_cndmask_b32 v67, v15, v49 :: v_dual_cndmask_b32 v66, v14, v48
	v_dual_cndmask_b32 v15, v49, v15 :: v_dual_cndmask_b32 v14, v48, v14
	s_delay_alu instid0(VALU_DEP_2) | instskip(NEXT) | instid1(VALU_DEP_1)
	v_cmp_nlt_f64_e64 s5, v[66:67], v[60:61]
	v_dual_cndmask_b32 v71, v67, v61, s5 :: v_dual_cndmask_b32 v70, v66, v60, s5
	v_dual_cndmask_b32 v49, v61, v67, s5 :: v_dual_cndmask_b32 v48, v60, v66, s5
	s_and_b32 s5, vcc_lo, s5
	s_delay_alu instid0(VALU_DEP_2) | instskip(NEXT) | instid1(VALU_DEP_1)
	v_cmp_nlt_f64_e64 s6, v[70:71], v[46:47]
	v_dual_cndmask_b32 v73, v71, v47, s6 :: v_dual_cndmask_b32 v72, v70, v46, s6
	v_dual_cndmask_b32 v61, v47, v71, s6 :: v_dual_cndmask_b32 v60, v46, v70, s6
	s_delay_alu instid0(VALU_DEP_2) | instskip(NEXT) | instid1(VALU_DEP_1)
	v_cmp_nlt_f64_e64 s7, v[72:73], v[58:59]
	v_dual_cndmask_b32 v75, v73, v59, s7 :: v_dual_cndmask_b32 v74, v72, v58, s7
	v_dual_cndmask_b32 v47, v59, v73, s7 :: v_dual_cndmask_b32 v46, v58, v72, s7
	s_and_b32 s6, s6, s7
	s_delay_alu instid0(VALU_DEP_2) | instskip(NEXT) | instid1(VALU_DEP_1)
	v_cmp_nlt_f64_e64 s8, v[74:75], v[44:45]
	v_dual_cndmask_b32 v77, v75, v45, s8 :: v_dual_cndmask_b32 v76, v74, v44, s8
	v_dual_cndmask_b32 v59, v45, v75, s8 :: v_dual_cndmask_b32 v58, v44, v74, s8
	s_delay_alu instid0(VALU_DEP_2) | instskip(NEXT) | instid1(VALU_DEP_1)
	v_cmp_nlt_f64_e64 s9, v[76:77], v[56:57]
	v_dual_cndmask_b32 v79, v77, v57, s9 :: v_dual_cndmask_b32 v78, v76, v56, s9
	s_and_b32 s7, s8, s9
	v_dual_cndmask_b32 v45, v57, v77, s9 :: v_dual_cndmask_b32 v44, v56, v76, s9
	s_delay_alu instid0(VALU_DEP_2) | instskip(NEXT) | instid1(VALU_DEP_1)
	v_cmp_nlt_f64_e64 s10, v[78:79], v[54:55]
	v_dual_cndmask_b32 v81, v79, v55, s10 :: v_dual_cndmask_b32 v80, v78, v54, s10
	s_and_b32 s7, s7, s10
	v_dual_cndmask_b32 v57, v55, v79, s10 :: v_dual_cndmask_b32 v56, v54, v78, s10
	s_delay_alu instid0(VALU_DEP_2) | instskip(NEXT) | instid1(VALU_DEP_1)
	v_cmp_nlt_f64_e64 s11, v[80:81], v[52:53]
	v_dual_cndmask_b32 v83, v81, v53, s11 :: v_dual_cndmask_b32 v82, v80, v52, s11
	s_and_b32 s7, s7, s11
	v_dual_cndmask_b32 v55, v53, v81, s11 :: v_dual_cndmask_b32 v54, v52, v80, s11
	s_delay_alu instid0(VALU_DEP_2) | instskip(NEXT) | instid1(VALU_DEP_1)
	v_cmp_nlt_f64_e64 s12, v[82:83], v[50:51]
	v_dual_cndmask_b32 v85, v83, v51, s12 :: v_dual_cndmask_b32 v84, v82, v50, s12
	s_and_b32 s7, s7, s12
	v_dual_cndmask_b32 v53, v51, v83, s12 :: v_dual_cndmask_b32 v52, v50, v82, s12
	s_delay_alu instid0(VALU_DEP_2) | instskip(NEXT) | instid1(VALU_DEP_1)
	v_cmp_nlt_f64_e64 s13, v[84:85], v[62:63]
	v_dual_cndmask_b32 v87, v85, v63, s13 :: v_dual_cndmask_b32 v86, v84, v62, s13
	s_and_b32 s7, s7, s13
	v_dual_cndmask_b32 v51, v63, v85, s13 :: v_dual_cndmask_b32 v50, v62, v84, s13
	s_delay_alu instid0(VALU_DEP_2) | instskip(NEXT) | instid1(VALU_DEP_1)
	v_cmp_nlt_f64_e64 s14, v[86:87], v[64:65]
	v_dual_cndmask_b32 v67, v87, v65, s14 :: v_dual_cndmask_b32 v66, v86, v64, s14
	s_and_b32 s7, s7, s14
	v_dual_cndmask_b32 v63, v65, v87, s14 :: v_dual_cndmask_b32 v62, v64, v86, s14
	s_and_b32 s6, s7, s6
	s_delay_alu instid0(VALU_DEP_2) | instskip(SKIP_1) | instid1(SALU_CYCLE_1)
	v_mov_b64_e32 v[64:65], v[66:67]
	s_and_b32 s5, s6, s5
	s_and_b32 s5, exec_lo, s5
	s_delay_alu instid0(SALU_CYCLE_1) | instskip(NEXT) | instid1(SALU_CYCLE_1)
	s_or_b32 s56, s5, s56
	s_and_not1_b32 exec_lo, exec_lo, s56
	s_cbranch_execnz .LBB191_271
; %bb.272:                              ;   in Loop: Header=BB191_145 Depth=1
	s_or_b32 exec_lo, exec_lo, s56
	v_add_f64_e32 v[14:15], -1.0, v[14:15]
	v_cmp_eq_f64_e64 s5, 0, v[8:9]
	v_cmp_class_f64_e64 s9, v[6:7], 0x204
	v_cmp_class_f64_e64 s8, v[8:9], 0x204
	s_delay_alu instid0(VALU_DEP_4) | instskip(NEXT) | instid1(VALU_DEP_1)
	v_add_f64_e32 v[14:15], v[14:15], v[48:49]
	v_add_f64_e32 v[14:15], v[14:15], v[60:61]
	s_delay_alu instid0(VALU_DEP_1) | instskip(NEXT) | instid1(VALU_DEP_1)
	v_add_f64_e32 v[14:15], v[14:15], v[46:47]
	v_add_f64_e32 v[14:15], v[14:15], v[58:59]
	s_delay_alu instid0(VALU_DEP_1) | instskip(NEXT) | instid1(VALU_DEP_1)
	;; [unrolled: 3-line block ×5, first 2 shown]
	v_add_f64_e32 v[46:47], v[66:67], v[14:15]
	v_add_f64_e32 v[14:15], 1.0, v[46:47]
	v_cmp_nge_f64_e64 s6, -1.0, v[46:47]
	v_cmp_neq_f64_e64 s7, 0x7ff00000, v[46:47]
	s_delay_alu instid0(VALU_DEP_3) | instskip(SKIP_2) | instid1(VALU_DEP_3)
	v_frexp_mant_f64_e32 v[44:45], v[14:15]
	v_frexp_exp_i32_f64_e32 v4, v[14:15]
	v_add_f64_e32 v[48:49], -1.0, v[14:15]
	v_cmp_gt_f64_e32 vcc_lo, s[28:29], v[44:45]
	s_delay_alu instid0(VALU_DEP_2) | instskip(SKIP_2) | instid1(VALU_DEP_3)
	v_add_f64_e64 v[44:45], v[48:49], -v[14:15]
	v_add_f64_e64 v[48:49], v[46:47], -v[48:49]
	v_subrev_co_ci_u32_e64 v4, null, 0, v4, vcc_lo
	v_add_f64_e32 v[44:45], 1.0, v[44:45]
	s_delay_alu instid0(VALU_DEP_2) | instskip(NEXT) | instid1(VALU_DEP_1)
	v_sub_nc_u32_e32 v12, 0, v4
	v_ldexp_f64 v[14:15], v[14:15], v12
	s_delay_alu instid0(VALU_DEP_3) | instskip(NEXT) | instid1(VALU_DEP_2)
	v_add_f64_e32 v[44:45], v[48:49], v[44:45]
	v_add_f64_e32 v[50:51], 1.0, v[14:15]
	v_add_f64_e32 v[56:57], -1.0, v[14:15]
	s_delay_alu instid0(VALU_DEP_3) | instskip(NEXT) | instid1(VALU_DEP_3)
	v_ldexp_f64 v[44:45], v[44:45], v12
	v_add_f64_e32 v[48:49], -1.0, v[50:51]
	s_delay_alu instid0(VALU_DEP_3) | instskip(NEXT) | instid1(VALU_DEP_2)
	v_add_f64_e32 v[58:59], 1.0, v[56:57]
	v_add_f64_e64 v[48:49], v[14:15], -v[48:49]
	s_delay_alu instid0(VALU_DEP_2) | instskip(NEXT) | instid1(VALU_DEP_2)
	v_add_f64_e64 v[14:15], v[14:15], -v[58:59]
	v_add_f64_e32 v[48:49], v[44:45], v[48:49]
	s_delay_alu instid0(VALU_DEP_2) | instskip(NEXT) | instid1(VALU_DEP_2)
	v_add_f64_e32 v[14:15], v[44:45], v[14:15]
	v_add_f64_e32 v[52:53], v[50:51], v[48:49]
	s_delay_alu instid0(VALU_DEP_2) | instskip(NEXT) | instid1(VALU_DEP_2)
	v_add_f64_e32 v[58:59], v[56:57], v[14:15]
	v_rcp_f64_e32 v[54:55], v[52:53]
	v_add_f64_e64 v[50:51], v[52:53], -v[50:51]
	s_delay_alu instid0(VALU_DEP_2) | instskip(NEXT) | instid1(VALU_DEP_2)
	v_add_f64_e64 v[56:57], v[58:59], -v[56:57]
	v_add_f64_e64 v[48:49], v[48:49], -v[50:51]
	s_delay_alu instid0(VALU_DEP_2) | instskip(NEXT) | instid1(TRANS32_DEP_1)
	v_add_f64_e64 v[14:15], v[14:15], -v[56:57]
	v_fma_f64 v[60:61], -v[52:53], v[54:55], 1.0
	s_delay_alu instid0(VALU_DEP_1) | instskip(NEXT) | instid1(VALU_DEP_1)
	v_fmac_f64_e32 v[54:55], v[60:61], v[54:55]
	v_fma_f64 v[44:45], -v[52:53], v[54:55], 1.0
	s_delay_alu instid0(VALU_DEP_1) | instskip(NEXT) | instid1(VALU_DEP_1)
	v_fmac_f64_e32 v[54:55], v[44:45], v[54:55]
	v_mul_f64_e32 v[44:45], v[58:59], v[54:55]
	s_delay_alu instid0(VALU_DEP_1) | instskip(NEXT) | instid1(VALU_DEP_1)
	v_mul_f64_e32 v[60:61], v[52:53], v[44:45]
	v_fma_f64 v[50:51], v[44:45], v[52:53], -v[60:61]
	s_delay_alu instid0(VALU_DEP_1) | instskip(NEXT) | instid1(VALU_DEP_1)
	v_fmac_f64_e32 v[50:51], v[44:45], v[48:49]
	v_add_f64_e32 v[62:63], v[60:61], v[50:51]
	s_delay_alu instid0(VALU_DEP_1) | instskip(SKIP_1) | instid1(VALU_DEP_2)
	v_add_f64_e64 v[64:65], v[58:59], -v[62:63]
	v_add_f64_e64 v[56:57], v[62:63], -v[60:61]
	;; [unrolled: 1-line block ×3, first 2 shown]
	s_delay_alu instid0(VALU_DEP_2) | instskip(NEXT) | instid1(VALU_DEP_2)
	v_add_f64_e64 v[50:51], v[56:57], -v[50:51]
	v_add_f64_e64 v[58:59], v[58:59], -v[62:63]
	s_delay_alu instid0(VALU_DEP_1) | instskip(NEXT) | instid1(VALU_DEP_1)
	v_add_f64_e32 v[14:15], v[14:15], v[58:59]
	v_add_f64_e32 v[14:15], v[50:51], v[14:15]
	s_delay_alu instid0(VALU_DEP_1) | instskip(NEXT) | instid1(VALU_DEP_1)
	v_add_f64_e32 v[50:51], v[64:65], v[14:15]
	v_mul_f64_e32 v[56:57], v[54:55], v[50:51]
	v_add_f64_e64 v[62:63], v[64:65], -v[50:51]
	s_delay_alu instid0(VALU_DEP_2) | instskip(NEXT) | instid1(VALU_DEP_2)
	v_mul_f64_e32 v[58:59], v[52:53], v[56:57]
	v_add_f64_e32 v[14:15], v[14:15], v[62:63]
	s_delay_alu instid0(VALU_DEP_2) | instskip(NEXT) | instid1(VALU_DEP_1)
	v_fma_f64 v[52:53], v[56:57], v[52:53], -v[58:59]
	v_fmac_f64_e32 v[52:53], v[56:57], v[48:49]
	s_delay_alu instid0(VALU_DEP_1) | instskip(NEXT) | instid1(VALU_DEP_1)
	v_add_f64_e32 v[48:49], v[58:59], v[52:53]
	v_add_f64_e64 v[60:61], v[50:51], -v[48:49]
	v_add_f64_e64 v[58:59], v[48:49], -v[58:59]
	s_delay_alu instid0(VALU_DEP_2) | instskip(NEXT) | instid1(VALU_DEP_1)
	v_add_f64_e64 v[50:51], v[50:51], -v[60:61]
	v_add_f64_e64 v[48:49], v[50:51], -v[48:49]
	s_delay_alu instid0(VALU_DEP_3) | instskip(SKIP_1) | instid1(VALU_DEP_3)
	v_add_f64_e64 v[50:51], v[58:59], -v[52:53]
	v_max_num_f64_e64 v[52:53], |v[6:7]|, |v[6:7]|
	v_add_f64_e32 v[14:15], v[14:15], v[48:49]
	v_add_f64_e32 v[48:49], v[44:45], v[56:57]
	s_delay_alu instid0(VALU_DEP_2) | instskip(NEXT) | instid1(VALU_DEP_2)
	v_add_f64_e32 v[14:15], v[50:51], v[14:15]
	v_add_f64_e64 v[44:45], v[48:49], -v[44:45]
	v_max_num_f64_e64 v[50:51], |v[8:9]|, |v[8:9]|
	s_delay_alu instid0(VALU_DEP_3) | instskip(NEXT) | instid1(VALU_DEP_3)
	v_add_f64_e32 v[14:15], v[60:61], v[14:15]
	v_add_f64_e64 v[44:45], v[56:57], -v[44:45]
	s_delay_alu instid0(VALU_DEP_2) | instskip(NEXT) | instid1(VALU_DEP_1)
	v_mul_f64_e32 v[14:15], v[54:55], v[14:15]
	v_add_f64_e32 v[14:15], v[44:45], v[14:15]
	v_max_num_f64_e32 v[44:45], v[52:53], v[50:51]
	v_min_num_f64_e32 v[50:51], v[52:53], v[50:51]
	s_delay_alu instid0(VALU_DEP_3) | instskip(NEXT) | instid1(VALU_DEP_2)
	v_add_f64_e32 v[52:53], v[48:49], v[14:15]
	v_div_scale_f64 v[54:55], null, v[44:45], v[44:45], v[50:51]
	s_delay_alu instid0(VALU_DEP_2) | instskip(SKIP_1) | instid1(VALU_DEP_3)
	v_mul_f64_e32 v[56:57], v[52:53], v[52:53]
	v_add_f64_e64 v[48:49], v[52:53], -v[48:49]
	v_rcp_f64_e32 v[58:59], v[54:55]
	s_delay_alu instid0(VALU_DEP_2) | instskip(SKIP_1) | instid1(VALU_DEP_3)
	v_fmamk_f64 v[60:61], v[56:57], 0x3fc3ab76bf559e2b, v[24:25]
	v_mul_f64_e32 v[62:63], v[52:53], v[56:57]
	v_add_f64_e64 v[14:15], v[14:15], -v[48:49]
	s_delay_alu instid0(VALU_DEP_3) | instskip(NEXT) | instid1(TRANS32_DEP_1)
	v_fmaak_f64 v[60:61], v[56:57], v[60:61], 0x3fc7474dd7f4df2e
	v_fma_f64 v[64:65], -v[54:55], v[58:59], 1.0
	s_delay_alu instid0(VALU_DEP_2) | instskip(NEXT) | instid1(VALU_DEP_1)
	v_fmaak_f64 v[60:61], v[56:57], v[60:61], 0x3fcc71c016291751
	v_fmaak_f64 v[60:61], v[56:57], v[60:61], 0x3fd249249b27acf1
	s_delay_alu instid0(VALU_DEP_1) | instskip(SKIP_1) | instid1(VALU_DEP_2)
	v_fmaak_f64 v[60:61], v[56:57], v[60:61], 0x3fd99999998ef7b6
	v_ldexp_f64 v[14:15], v[14:15], 1
	v_fmaak_f64 v[56:57], v[56:57], v[60:61], 0x3fe5555555555780
	v_ldexp_f64 v[60:61], v[52:53], 1
	v_fmac_f64_e32 v[58:59], v[58:59], v[64:65]
	s_delay_alu instid0(VALU_DEP_3) | instskip(SKIP_2) | instid1(VALU_DEP_1)
	v_mul_f64_e32 v[56:57], v[62:63], v[56:57]
	v_cvt_f64_i32_e32 v[62:63], v4
	v_ashrrev_i32_e32 v4, 31, v7
	v_and_b32_e32 v16, 0x54442d18, v4
	v_and_b32_e32 v4, 0x400921fb, v4
	v_fma_f64 v[64:65], -v[54:55], v[58:59], 1.0
	v_add_f64_e32 v[52:53], v[60:61], v[56:57]
	v_mul_f64_e32 v[66:67], 0x3fe62e42fefa39ef, v[62:63]
	s_delay_alu instid0(VALU_DEP_3) | instskip(NEXT) | instid1(VALU_DEP_3)
	v_fmac_f64_e32 v[58:59], v[58:59], v[64:65]
	v_add_f64_e64 v[48:49], v[52:53], -v[60:61]
	v_div_scale_f64 v[60:61], vcc_lo, v[50:51], v[44:45], v[50:51]
	s_delay_alu instid0(VALU_DEP_4) | instskip(NEXT) | instid1(VALU_DEP_3)
	v_fma_f64 v[64:65], v[62:63], s[30:31], -v[66:67]
	v_add_f64_e64 v[48:49], v[56:57], -v[48:49]
	s_delay_alu instid0(VALU_DEP_3) | instskip(NEXT) | instid1(VALU_DEP_3)
	v_mul_f64_e32 v[56:57], v[60:61], v[58:59]
	v_fmac_f64_e32 v[64:65], 0x3c7abc9e3b39803f, v[62:63]
	s_delay_alu instid0(VALU_DEP_3) | instskip(NEXT) | instid1(VALU_DEP_3)
	v_add_f64_e32 v[14:15], v[14:15], v[48:49]
	v_fma_f64 v[48:49], -v[54:55], v[56:57], v[60:61]
	s_delay_alu instid0(VALU_DEP_3) | instskip(NEXT) | instid1(VALU_DEP_3)
	v_add_f64_e32 v[54:55], v[66:67], v[64:65]
	v_add_f64_e32 v[60:61], v[52:53], v[14:15]
	s_delay_alu instid0(VALU_DEP_3) | instskip(SKIP_1) | instid1(VALU_DEP_4)
	v_div_fmas_f64 v[48:49], v[48:49], v[58:59], v[56:57]
	v_cmp_gt_i32_e32 vcc_lo, 0, v7
	v_add_f64_e64 v[58:59], v[54:55], -v[66:67]
	v_cndmask_b32_e32 v12, 0x54442d18, v68, vcc_lo
	v_cndmask_b32_e32 v6, 0x3fe921fb, v69, vcc_lo
	s_delay_alu instid0(VALU_DEP_1) | instskip(SKIP_4) | instid1(VALU_DEP_4)
	v_bfi_b32 v6, 0x7fffffff, v6, v9
	v_add_f64_e32 v[56:57], v[54:55], v[60:61]
	v_div_fixup_f64 v[44:45], v[48:49], v[44:45], v[50:51]
	v_add_f64_e64 v[52:53], v[60:61], -v[52:53]
	v_add_f64_e64 v[58:59], v[64:65], -v[58:59]
	;; [unrolled: 1-line block ×3, first 2 shown]
	s_delay_alu instid0(VALU_DEP_4) | instskip(NEXT) | instid1(VALU_DEP_4)
	v_mul_f64_e32 v[50:51], v[44:45], v[44:45]
	v_add_f64_e64 v[14:15], v[14:15], -v[52:53]
	s_delay_alu instid0(VALU_DEP_3) | instskip(NEXT) | instid1(VALU_DEP_3)
	v_add_f64_e64 v[62:63], v[56:57], -v[48:49]
	v_fmamk_f64 v[66:67], v[50:51], 0x3eeba404b5e68a13, v[26:27]
	v_add_f64_e64 v[48:49], v[60:61], -v[48:49]
	s_delay_alu instid0(VALU_DEP_4) | instskip(NEXT) | instid1(VALU_DEP_3)
	v_add_f64_e32 v[60:61], v[58:59], v[14:15]
	v_fmaak_f64 v[66:67], v[50:51], v[66:67], 0x3f4b2bb069efb384
	v_add_f64_e64 v[52:53], v[54:55], -v[62:63]
	s_delay_alu instid0(VALU_DEP_2) | instskip(NEXT) | instid1(VALU_DEP_1)
	v_fmaak_f64 v[54:55], v[50:51], v[66:67], 0xbf67952daf56de9b
	v_fmaak_f64 v[54:55], v[50:51], v[54:55], 0x3f7d6d43a595c56f
	s_delay_alu instid0(VALU_DEP_1) | instskip(NEXT) | instid1(VALU_DEP_1)
	v_fmaak_f64 v[54:55], v[50:51], v[54:55], 0xbf8c6ea4a57d9582
	v_fmaak_f64 v[54:55], v[50:51], v[54:55], 0x3f967e295f08b19f
	s_delay_alu instid0(VALU_DEP_1) | instskip(SKIP_1) | instid1(VALU_DEP_2)
	v_fmaak_f64 v[54:55], v[50:51], v[54:55], 0xbf9e9ae6fc27006a
	v_add_f64_e32 v[48:49], v[48:49], v[52:53]
	v_fmaak_f64 v[52:53], v[50:51], v[54:55], 0x3fa2c15b5711927a
	v_add_f64_e64 v[54:55], v[60:61], -v[58:59]
	s_delay_alu instid0(VALU_DEP_2) | instskip(NEXT) | instid1(VALU_DEP_1)
	v_fmaak_f64 v[52:53], v[50:51], v[52:53], 0xbfa59976e82d3ff0
	v_fmaak_f64 v[52:53], v[50:51], v[52:53], 0x3fa82d5d6ef28734
	s_delay_alu instid0(VALU_DEP_1) | instskip(NEXT) | instid1(VALU_DEP_1)
	v_fmaak_f64 v[52:53], v[50:51], v[52:53], 0xbfaae5ce6a214619
	v_fmaak_f64 v[52:53], v[50:51], v[52:53], 0x3fae1bb48427b883
	v_add_f64_e32 v[48:49], v[60:61], v[48:49]
	v_add_f64_e64 v[60:61], v[60:61], -v[54:55]
	v_add_f64_e64 v[14:15], v[14:15], -v[54:55]
	s_delay_alu instid0(VALU_DEP_4) | instskip(NEXT) | instid1(VALU_DEP_1)
	v_fmaak_f64 v[52:53], v[50:51], v[52:53], 0xbfb110e48b207f05
	v_fmaak_f64 v[52:53], v[50:51], v[52:53], 0x3fb3b13657b87036
	s_delay_alu instid0(VALU_DEP_1) | instskip(NEXT) | instid1(VALU_DEP_1)
	v_fmaak_f64 v[52:53], v[50:51], v[52:53], 0xbfb745d119378e4f
	v_fmaak_f64 v[52:53], v[50:51], v[52:53], 0x3fbc71c717e1913c
	v_add_f64_e32 v[62:63], v[56:57], v[48:49]
	s_delay_alu instid0(VALU_DEP_2) | instskip(NEXT) | instid1(VALU_DEP_1)
	v_fmaak_f64 v[52:53], v[50:51], v[52:53], 0xbfc2492492376b7d
	v_fmaak_f64 v[52:53], v[50:51], v[52:53], 0x3fc99999999952cc
	s_delay_alu instid0(VALU_DEP_1) | instskip(NEXT) | instid1(VALU_DEP_1)
	v_fmaak_f64 v[52:53], v[50:51], v[52:53], 0xbfd5555555555523
	v_mul_f64_e32 v[50:51], v[50:51], v[52:53]
	v_add_f64_e64 v[52:53], v[58:59], -v[60:61]
	v_add_f64_e64 v[54:55], v[62:63], -v[56:57]
	s_delay_alu instid0(VALU_DEP_3) | instskip(NEXT) | instid1(VALU_DEP_3)
	v_fmac_f64_e32 v[44:45], v[44:45], v[50:51]
	v_add_f64_e32 v[14:15], v[14:15], v[52:53]
	s_delay_alu instid0(VALU_DEP_3) | instskip(NEXT) | instid1(VALU_DEP_3)
	v_add_f64_e64 v[48:49], v[48:49], -v[54:55]
	v_add_f64_e64 v[50:51], -v[44:45], s[38:39]
	s_delay_alu instid0(VALU_DEP_1) | instskip(NEXT) | instid1(VALU_DEP_2)
	v_dual_add_f64 v[14:15], v[14:15], v[48:49] :: v_dual_cndmask_b32 v45, v45, v51, s4
	v_cndmask_b32_e64 v44, v44, v50, s4
	s_delay_alu instid0(VALU_DEP_1) | instskip(NEXT) | instid1(VALU_DEP_1)
	v_add_f64_e64 v[48:49], -v[44:45], s[40:41]
	v_dual_add_f64 v[14:15], v[62:63], v[14:15] :: v_dual_cndmask_b32 v21, v44, v48, vcc_lo
	s_delay_alu instid0(VALU_DEP_2) | instskip(SKIP_1) | instid1(VALU_DEP_3)
	v_cndmask_b32_e32 v7, v45, v49, vcc_lo
	v_cmp_ngt_f64_e32 vcc_lo, -1.0, v[46:47]
	v_dual_mul_f64 v[14:15], 0.5, v[14:15] :: v_dual_cndmask_b32 v16, v21, v16, s5
	s_delay_alu instid0(VALU_DEP_3)
	v_cndmask_b32_e64 v4, v7, v4, s5
	s_and_b32 s5, s6, s7
	s_delay_alu instid0(VALU_DEP_2) | instid1(SALU_CYCLE_1)
	v_cndmask_b32_e64 v14, 0, v14, s5
	v_cmp_neq_f64_e64 s5, -1.0, v[46:47]
	s_delay_alu instid0(VALU_DEP_4) | instskip(NEXT) | instid1(VALU_DEP_1)
	v_cndmask_b32_e64 v15, 0x7ff00000, v15, s7
	v_cndmask_b32_e32 v7, 0x7ff80000, v15, vcc_lo
	s_and_b32 vcc_lo, s8, s9
	v_cndmask_b32_e32 v45, v4, v6, vcc_lo
	v_cndmask_b32_e32 v44, v16, v12, vcc_lo
	s_delay_alu instid0(VALU_DEP_3)
	v_cndmask_b32_e64 v15, 0xfff00000, v7, s5
.LBB191_273:                            ;   in Loop: Header=BB191_145 Depth=1
	s_or_b32 exec_lo, exec_lo, s55
.LBB191_274:                            ;   in Loop: Header=BB191_145 Depth=1
	s_delay_alu instid0(SALU_CYCLE_1)
	s_or_b32 exec_lo, exec_lo, s54
.LBB191_275:                            ;   in Loop: Header=BB191_145 Depth=1
	s_and_not1_saveexec_b32 s7, s53
	s_cbranch_execz .LBB191_277
; %bb.276:                              ;   in Loop: Header=BB191_145 Depth=1
	v_max_num_f64_e64 v[14:15], |v[8:9]|, |v[8:9]|
	v_max_num_f64_e64 v[44:45], |v[6:7]|, |v[6:7]|
	v_cmp_class_f64_e64 s8, v[6:7], 0x204
	v_cmp_class_f64_e64 s9, v[8:9], 0x204
	v_cmp_eq_f64_e64 s6, 0, v[8:9]
	s_delay_alu instid0(VALU_DEP_4) | instskip(SKIP_2) | instid1(VALU_DEP_2)
	v_max_num_f64_e32 v[46:47], v[44:45], v[14:15]
	v_min_num_f64_e32 v[14:15], v[44:45], v[14:15]
	s_or_b32 s5, s9, s8
	v_frexp_exp_i32_f64_e32 v4, v[46:47]
	s_delay_alu instid0(VALU_DEP_1) | instskip(NEXT) | instid1(VALU_DEP_1)
	v_sub_nc_u32_e32 v12, 0, v4
	v_ldexp_f64 v[48:49], |v[8:9]|, v12
	v_ldexp_f64 v[50:51], |v[6:7]|, v12
	s_delay_alu instid0(VALU_DEP_2) | instskip(NEXT) | instid1(VALU_DEP_1)
	v_mul_f64_e32 v[48:49], v[48:49], v[48:49]
	v_fmac_f64_e32 v[48:49], v[50:51], v[50:51]
	s_delay_alu instid0(VALU_DEP_1) | instskip(SKIP_1) | instid1(TRANS32_DEP_1)
	v_rsq_f64_e32 v[50:51], v[48:49]
	v_cmp_eq_f64_e32 vcc_lo, 0, v[48:49]
	v_mul_f64_e32 v[52:53], v[48:49], v[50:51]
	v_mul_f64_e32 v[50:51], 0.5, v[50:51]
	s_delay_alu instid0(VALU_DEP_1) | instskip(NEXT) | instid1(VALU_DEP_1)
	v_fma_f64 v[54:55], -v[50:51], v[52:53], 0.5
	v_fmac_f64_e32 v[52:53], v[52:53], v[54:55]
	v_fmac_f64_e32 v[50:51], v[50:51], v[54:55]
	s_delay_alu instid0(VALU_DEP_2) | instskip(NEXT) | instid1(VALU_DEP_1)
	v_fma_f64 v[54:55], -v[52:53], v[52:53], v[48:49]
	v_fmac_f64_e32 v[52:53], v[54:55], v[50:51]
	s_delay_alu instid0(VALU_DEP_1) | instskip(NEXT) | instid1(VALU_DEP_1)
	v_dual_cndmask_b32 v49, v53, v49 :: v_dual_cndmask_b32 v48, v52, v48
	v_ldexp_f64 v[48:49], v[48:49], v4
	s_delay_alu instid0(VALU_DEP_1) | instskip(NEXT) | instid1(VALU_DEP_2)
	v_cndmask_b32_e64 v49, v49, 0x7ff00000, s5
	v_cndmask_b32_e64 v48, v48, 0, s5
	s_delay_alu instid0(VALU_DEP_1) | instskip(SKIP_1) | instid1(VALU_DEP_2)
	v_frexp_mant_f64_e32 v[50:51], v[48:49]
	v_cmp_class_f64_e64 s5, v[48:49], 0x204
	v_cmp_gt_f64_e32 vcc_lo, s[28:29], v[50:51]
	v_cndmask_b32_e64 v4, 0, 1, vcc_lo
	s_delay_alu instid0(VALU_DEP_1) | instskip(SKIP_1) | instid1(VALU_DEP_2)
	v_ldexp_f64 v[50:51], v[50:51], v4
	v_frexp_exp_i32_f64_e32 v4, v[48:49]
	v_add_f64_e32 v[52:53], 1.0, v[50:51]
	v_add_f64_e32 v[58:59], -1.0, v[50:51]
	s_delay_alu instid0(VALU_DEP_3) | instskip(SKIP_1) | instid1(VALU_DEP_4)
	v_subrev_co_ci_u32_e64 v4, null, 0, v4, vcc_lo
	v_div_scale_f64 v[66:67], vcc_lo, v[14:15], v[46:47], v[14:15]
	v_rcp_f64_e32 v[54:55], v[52:53]
	v_add_f64_e32 v[60:61], -1.0, v[52:53]
	s_delay_alu instid0(VALU_DEP_1) | instskip(NEXT) | instid1(TRANS32_DEP_1)
	v_add_f64_e64 v[50:51], v[50:51], -v[60:61]
	v_fma_f64 v[56:57], -v[52:53], v[54:55], 1.0
	s_delay_alu instid0(VALU_DEP_1) | instskip(NEXT) | instid1(VALU_DEP_1)
	v_fmac_f64_e32 v[54:55], v[56:57], v[54:55]
	v_fma_f64 v[56:57], -v[52:53], v[54:55], 1.0
	s_delay_alu instid0(VALU_DEP_1) | instskip(NEXT) | instid1(VALU_DEP_1)
	v_fmac_f64_e32 v[54:55], v[56:57], v[54:55]
	v_mul_f64_e32 v[56:57], v[58:59], v[54:55]
	s_delay_alu instid0(VALU_DEP_1) | instskip(NEXT) | instid1(VALU_DEP_1)
	v_mul_f64_e32 v[62:63], v[52:53], v[56:57]
	v_fma_f64 v[52:53], v[56:57], v[52:53], -v[62:63]
	s_delay_alu instid0(VALU_DEP_1) | instskip(NEXT) | instid1(VALU_DEP_1)
	v_fmac_f64_e32 v[52:53], v[56:57], v[50:51]
	v_add_f64_e32 v[50:51], v[62:63], v[52:53]
	s_delay_alu instid0(VALU_DEP_1) | instskip(SKIP_1) | instid1(VALU_DEP_2)
	v_add_f64_e64 v[60:61], v[58:59], -v[50:51]
	v_add_f64_e64 v[62:63], v[50:51], -v[62:63]
	;; [unrolled: 1-line block ×3, first 2 shown]
	s_delay_alu instid0(VALU_DEP_2) | instskip(NEXT) | instid1(VALU_DEP_2)
	v_add_f64_e64 v[52:53], v[62:63], -v[52:53]
	v_add_f64_e64 v[50:51], v[58:59], -v[50:51]
	s_delay_alu instid0(VALU_DEP_1) | instskip(NEXT) | instid1(VALU_DEP_1)
	v_add_f64_e32 v[50:51], v[52:53], v[50:51]
	v_add_f64_e32 v[50:51], v[60:61], v[50:51]
	s_delay_alu instid0(VALU_DEP_1) | instskip(SKIP_1) | instid1(VALU_DEP_2)
	v_mul_f64_e32 v[44:45], v[54:55], v[50:51]
	v_div_scale_f64 v[50:51], null, v[46:47], v[46:47], v[14:15]
	v_add_f64_e32 v[52:53], v[56:57], v[44:45]
	s_delay_alu instid0(VALU_DEP_2) | instskip(NEXT) | instid1(VALU_DEP_1)
	v_rcp_f64_e32 v[54:55], v[50:51]
	v_mul_f64_e32 v[58:59], v[52:53], v[52:53]
	s_delay_alu instid0(TRANS32_DEP_1) | instskip(NEXT) | instid1(VALU_DEP_2)
	v_fma_f64 v[62:63], -v[50:51], v[54:55], 1.0
	v_fmamk_f64 v[60:61], v[58:59], 0x3fc3ab76bf559e2b, v[24:25]
	v_mul_f64_e32 v[64:65], v[52:53], v[58:59]
	s_delay_alu instid0(VALU_DEP_3) | instskip(NEXT) | instid1(VALU_DEP_3)
	v_fmac_f64_e32 v[54:55], v[54:55], v[62:63]
	v_fmaak_f64 v[60:61], v[58:59], v[60:61], 0x3fc7474dd7f4df2e
	s_delay_alu instid0(VALU_DEP_1) | instskip(NEXT) | instid1(VALU_DEP_1)
	v_fmaak_f64 v[60:61], v[58:59], v[60:61], 0x3fcc71c016291751
	v_fmaak_f64 v[60:61], v[58:59], v[60:61], 0x3fd249249b27acf1
	s_delay_alu instid0(VALU_DEP_1) | instskip(NEXT) | instid1(VALU_DEP_1)
	v_fmaak_f64 v[60:61], v[58:59], v[60:61], 0x3fd99999998ef7b6
	v_fmaak_f64 v[58:59], v[58:59], v[60:61], 0x3fe5555555555780
	v_ldexp_f64 v[60:61], v[52:53], 1
	v_add_f64_e64 v[52:53], v[52:53], -v[56:57]
	v_fma_f64 v[62:63], -v[50:51], v[54:55], 1.0
	s_delay_alu instid0(VALU_DEP_4) | instskip(SKIP_2) | instid1(VALU_DEP_1)
	v_mul_f64_e32 v[58:59], v[64:65], v[58:59]
	v_cvt_f64_i32_e32 v[64:65], v4
	v_ashrrev_i32_e32 v4, 31, v7
	v_and_b32_e32 v16, 0x54442d18, v4
	v_and_b32_e32 v4, 0x400921fb, v4
	v_add_f64_e64 v[44:45], v[44:45], -v[52:53]
	v_fmac_f64_e32 v[54:55], v[54:55], v[62:63]
	v_add_f64_e32 v[56:57], v[60:61], v[58:59]
	v_mul_f64_e32 v[62:63], 0x3fe62e42fefa39ef, v[64:65]
	s_delay_alu instid0(VALU_DEP_4) | instskip(NEXT) | instid1(VALU_DEP_3)
	v_ldexp_f64 v[44:45], v[44:45], 1
	v_add_f64_e64 v[52:53], v[56:57], -v[60:61]
	v_mul_f64_e32 v[60:61], v[66:67], v[54:55]
	s_delay_alu instid0(VALU_DEP_4) | instskip(NEXT) | instid1(VALU_DEP_3)
	v_fma_f64 v[70:71], v[64:65], s[30:31], -v[62:63]
	v_add_f64_e64 v[52:53], v[58:59], -v[52:53]
	s_delay_alu instid0(VALU_DEP_3) | instskip(NEXT) | instid1(VALU_DEP_3)
	v_fma_f64 v[50:51], -v[50:51], v[60:61], v[66:67]
	v_fmac_f64_e32 v[70:71], 0x3c7abc9e3b39803f, v[64:65]
	s_delay_alu instid0(VALU_DEP_3) | instskip(NEXT) | instid1(VALU_DEP_3)
	v_add_f64_e32 v[44:45], v[44:45], v[52:53]
	v_div_fmas_f64 v[50:51], v[50:51], v[54:55], v[60:61]
	s_delay_alu instid0(VALU_DEP_3) | instskip(SKIP_3) | instid1(VALU_DEP_1)
	v_add_f64_e32 v[52:53], v[62:63], v[70:71]
	v_cmp_gt_i32_e32 vcc_lo, 0, v7
	v_cndmask_b32_e32 v12, 0x54442d18, v68, vcc_lo
	v_cndmask_b32_e32 v21, 0x3fe921fb, v69, vcc_lo
	v_bfi_b32 v21, 0x7fffffff, v21, v9
	v_add_f64_e32 v[54:55], v[56:57], v[44:45]
	v_div_fixup_f64 v[14:15], v[50:51], v[46:47], v[14:15]
	v_add_f64_e64 v[62:63], v[52:53], -v[62:63]
	s_delay_alu instid0(VALU_DEP_3) | instskip(NEXT) | instid1(VALU_DEP_3)
	v_add_f64_e32 v[46:47], v[52:53], v[54:55]
	v_mul_f64_e32 v[50:51], v[14:15], v[14:15]
	v_add_f64_e64 v[56:57], v[54:55], -v[56:57]
	s_delay_alu instid0(VALU_DEP_4) | instskip(NEXT) | instid1(VALU_DEP_4)
	v_add_f64_e64 v[62:63], v[70:71], -v[62:63]
	v_add_f64_e64 v[58:59], v[46:47], -v[52:53]
	s_delay_alu instid0(VALU_DEP_4) | instskip(NEXT) | instid1(VALU_DEP_4)
	v_fmamk_f64 v[60:61], v[50:51], 0x3eeba404b5e68a13, v[26:27]
	v_add_f64_e64 v[44:45], v[44:45], -v[56:57]
	s_delay_alu instid0(VALU_DEP_2) | instskip(NEXT) | instid1(VALU_DEP_1)
	v_fmaak_f64 v[60:61], v[50:51], v[60:61], 0x3f4b2bb069efb384
	v_fmaak_f64 v[60:61], v[50:51], v[60:61], 0xbf67952daf56de9b
	s_delay_alu instid0(VALU_DEP_1) | instskip(NEXT) | instid1(VALU_DEP_1)
	v_fmaak_f64 v[60:61], v[50:51], v[60:61], 0x3f7d6d43a595c56f
	v_fmaak_f64 v[60:61], v[50:51], v[60:61], 0xbf8c6ea4a57d9582
	v_add_f64_e64 v[64:65], v[46:47], -v[58:59]
	v_add_f64_e64 v[54:55], v[54:55], -v[58:59]
	v_add_f64_e32 v[58:59], v[62:63], v[44:45]
	s_delay_alu instid0(VALU_DEP_4) | instskip(NEXT) | instid1(VALU_DEP_1)
	v_fmaak_f64 v[60:61], v[50:51], v[60:61], 0x3f967e295f08b19f
	v_fmaak_f64 v[56:57], v[50:51], v[60:61], 0xbf9e9ae6fc27006a
	s_delay_alu instid0(VALU_DEP_1) | instskip(NEXT) | instid1(VALU_DEP_1)
	v_fmaak_f64 v[56:57], v[50:51], v[56:57], 0x3fa2c15b5711927a
	v_fmaak_f64 v[56:57], v[50:51], v[56:57], 0xbfa59976e82d3ff0
	s_delay_alu instid0(VALU_DEP_1) | instskip(SKIP_1) | instid1(VALU_DEP_2)
	v_fmaak_f64 v[56:57], v[50:51], v[56:57], 0x3fa82d5d6ef28734
	v_add_f64_e64 v[52:53], v[52:53], -v[64:65]
	v_fmaak_f64 v[56:57], v[50:51], v[56:57], 0xbfaae5ce6a214619
	s_delay_alu instid0(VALU_DEP_2) | instskip(NEXT) | instid1(VALU_DEP_2)
	v_add_f64_e32 v[52:53], v[54:55], v[52:53]
	v_fmaak_f64 v[54:55], v[50:51], v[56:57], 0x3fae1bb48427b883
	v_add_f64_e64 v[56:57], v[58:59], -v[62:63]
	s_delay_alu instid0(VALU_DEP_2) | instskip(NEXT) | instid1(VALU_DEP_1)
	v_fmaak_f64 v[54:55], v[50:51], v[54:55], 0xbfb110e48b207f05
	v_fmaak_f64 v[54:55], v[50:51], v[54:55], 0x3fb3b13657b87036
	s_delay_alu instid0(VALU_DEP_1) | instskip(NEXT) | instid1(VALU_DEP_1)
	v_fmaak_f64 v[54:55], v[50:51], v[54:55], 0xbfb745d119378e4f
	v_fmaak_f64 v[54:55], v[50:51], v[54:55], 0x3fbc71c717e1913c
	v_add_f64_e32 v[52:53], v[58:59], v[52:53]
	v_add_f64_e64 v[44:45], v[44:45], -v[56:57]
	s_delay_alu instid0(VALU_DEP_3) | instskip(NEXT) | instid1(VALU_DEP_1)
	v_fmaak_f64 v[54:55], v[50:51], v[54:55], 0xbfc2492492376b7d
	v_fmaak_f64 v[54:55], v[50:51], v[54:55], 0x3fc99999999952cc
	s_delay_alu instid0(VALU_DEP_1) | instskip(NEXT) | instid1(VALU_DEP_1)
	v_fmaak_f64 v[54:55], v[50:51], v[54:55], 0xbfd5555555555523
	v_mul_f64_e32 v[50:51], v[50:51], v[54:55]
	v_add_f64_e64 v[54:55], v[58:59], -v[56:57]
	v_add_f64_e32 v[58:59], v[46:47], v[52:53]
	s_delay_alu instid0(VALU_DEP_3) | instskip(NEXT) | instid1(VALU_DEP_3)
	v_fmac_f64_e32 v[14:15], v[14:15], v[50:51]
	v_add_f64_e64 v[50:51], v[62:63], -v[54:55]
	s_delay_alu instid0(VALU_DEP_3) | instskip(NEXT) | instid1(VALU_DEP_3)
	v_add_f64_e64 v[46:47], v[58:59], -v[46:47]
	v_add_f64_e64 v[54:55], -v[14:15], s[38:39]
	s_delay_alu instid0(VALU_DEP_3) | instskip(NEXT) | instid1(VALU_DEP_3)
	v_add_f64_e32 v[44:45], v[44:45], v[50:51]
	v_add_f64_e64 v[46:47], v[52:53], -v[46:47]
	s_delay_alu instid0(VALU_DEP_3) | instskip(NEXT) | instid1(VALU_DEP_2)
	v_dual_cndmask_b32 v15, v15, v55, s4 :: v_dual_cndmask_b32 v14, v14, v54, s4
	v_add_f64_e32 v[44:45], v[44:45], v[46:47]
	s_delay_alu instid0(VALU_DEP_2) | instskip(NEXT) | instid1(VALU_DEP_2)
	v_add_f64_e64 v[46:47], -v[14:15], s[40:41]
	v_add_f64_e32 v[6:7], v[58:59], v[44:45]
	s_delay_alu instid0(VALU_DEP_2) | instskip(SKIP_1) | instid1(VALU_DEP_2)
	v_dual_cndmask_b32 v14, v14, v46 :: v_dual_cndmask_b32 v15, v15, v47
	v_cmp_ngt_f64_e32 vcc_lo, 0, v[48:49]
	v_cndmask_b32_e64 v16, v14, v16, s6
	s_delay_alu instid0(VALU_DEP_3) | instskip(SKIP_2) | instid1(VALU_DEP_2)
	v_cndmask_b32_e64 v4, v15, v4, s6
	v_dual_cndmask_b32 v6, v6, v48, s5 :: v_dual_cndmask_b32 v7, v7, v49, s5
	v_cmp_nge_f64_e64 s5, 0, v[48:49]
	v_cndmask_b32_e32 v7, 0x7ff80000, v7, vcc_lo
	s_and_b32 vcc_lo, s9, s8
	v_cndmask_b32_e32 v45, v4, v21, vcc_lo
	v_dual_cndmask_b32 v44, v16, v12, vcc_lo :: v_dual_cndmask_b32 v14, 0, v6, s5
	v_cmp_neq_f64_e64 s5, 0, v[48:49]
	s_delay_alu instid0(VALU_DEP_1)
	v_cndmask_b32_e64 v15, 0xfff00000, v7, s5
.LBB191_277:                            ;   in Loop: Header=BB191_145 Depth=1
	s_or_b32 exec_lo, exec_lo, s7
                                        ; implicit-def: $vgpr48_vgpr49
.LBB191_278:                            ;   in Loop: Header=BB191_145 Depth=1
	s_and_not1_saveexec_b32 s7, s52
	s_cbranch_execz .LBB191_284
; %bb.279:                              ;   in Loop: Header=BB191_145 Depth=1
                                        ; implicit-def: $vgpr14_vgpr15
                                        ; implicit-def: $vgpr44_vgpr45
	s_mov_b32 s5, exec_lo
	v_cmpx_ngt_f64_e32 s[44:45], v[48:49]
	s_xor_b32 s8, exec_lo, s5
	s_cbranch_execz .LBB191_281
; %bb.280:                              ;   in Loop: Header=BB191_145 Depth=1
	v_mul_f64_e32 v[14:15], v[48:49], v[48:49]
	v_cmp_eq_f64_e64 s5, 0, v[8:9]
	v_cmp_class_f64_e64 s9, v[8:9], 0x204
	v_cmp_class_f64_e64 s10, v[6:7], 0x204
	s_delay_alu instid0(VALU_DEP_4) | instskip(NEXT) | instid1(VALU_DEP_1)
	v_add_f64_e32 v[44:45], 1.0, v[14:15]
	v_frexp_mant_f64_e32 v[46:47], v[44:45]
	v_frexp_exp_i32_f64_e32 v4, v[44:45]
	s_delay_alu instid0(VALU_DEP_2) | instskip(NEXT) | instid1(VALU_DEP_2)
	v_cmp_gt_f64_e32 vcc_lo, s[28:29], v[46:47]
	v_subrev_co_ci_u32_e64 v4, null, 0, v4, vcc_lo
	s_delay_alu instid0(VALU_DEP_1) | instskip(SKIP_1) | instid1(VALU_DEP_1)
	v_sub_nc_u32_e32 v12, 0, v4
	v_add_f64_e32 v[48:49], -1.0, v[44:45]
	v_add_f64_e64 v[46:47], v[48:49], -v[44:45]
	s_delay_alu instid0(VALU_DEP_3) | instskip(SKIP_1) | instid1(VALU_DEP_3)
	v_ldexp_f64 v[44:45], v[44:45], v12
	v_add_f64_e64 v[48:49], v[14:15], -v[48:49]
	v_add_f64_e32 v[46:47], 1.0, v[46:47]
	s_delay_alu instid0(VALU_DEP_3) | instskip(SKIP_1) | instid1(VALU_DEP_3)
	v_add_f64_e32 v[50:51], 1.0, v[44:45]
	v_add_f64_e32 v[56:57], -1.0, v[44:45]
	v_add_f64_e32 v[46:47], v[48:49], v[46:47]
	s_delay_alu instid0(VALU_DEP_3) | instskip(NEXT) | instid1(VALU_DEP_3)
	v_add_f64_e32 v[48:49], -1.0, v[50:51]
	v_add_f64_e32 v[58:59], 1.0, v[56:57]
	s_delay_alu instid0(VALU_DEP_3) | instskip(NEXT) | instid1(VALU_DEP_3)
	v_ldexp_f64 v[46:47], v[46:47], v12
	v_add_f64_e64 v[48:49], v[44:45], -v[48:49]
	s_delay_alu instid0(VALU_DEP_3) | instskip(NEXT) | instid1(VALU_DEP_2)
	v_add_f64_e64 v[44:45], v[44:45], -v[58:59]
	v_add_f64_e32 v[48:49], v[46:47], v[48:49]
	s_delay_alu instid0(VALU_DEP_2) | instskip(NEXT) | instid1(VALU_DEP_2)
	v_add_f64_e32 v[44:45], v[46:47], v[44:45]
	v_add_f64_e32 v[52:53], v[50:51], v[48:49]
	s_delay_alu instid0(VALU_DEP_2) | instskip(NEXT) | instid1(VALU_DEP_2)
	v_add_f64_e32 v[58:59], v[56:57], v[44:45]
	v_rcp_f64_e32 v[54:55], v[52:53]
	v_add_f64_e64 v[50:51], v[50:51], -v[52:53]
	s_delay_alu instid0(VALU_DEP_2) | instskip(NEXT) | instid1(VALU_DEP_2)
	v_add_f64_e64 v[56:57], v[56:57], -v[58:59]
	v_add_f64_e32 v[48:49], v[48:49], v[50:51]
	s_delay_alu instid0(VALU_DEP_2) | instskip(NEXT) | instid1(TRANS32_DEP_1)
	v_add_f64_e32 v[44:45], v[44:45], v[56:57]
	v_fma_f64 v[60:61], -v[52:53], v[54:55], 1.0
	s_delay_alu instid0(VALU_DEP_1) | instskip(NEXT) | instid1(VALU_DEP_1)
	v_fmac_f64_e32 v[54:55], v[60:61], v[54:55]
	v_fma_f64 v[46:47], -v[52:53], v[54:55], 1.0
	s_delay_alu instid0(VALU_DEP_1) | instskip(NEXT) | instid1(VALU_DEP_1)
	v_fmac_f64_e32 v[54:55], v[46:47], v[54:55]
	v_mul_f64_e32 v[46:47], v[58:59], v[54:55]
	s_delay_alu instid0(VALU_DEP_1) | instskip(NEXT) | instid1(VALU_DEP_1)
	v_mul_f64_e32 v[60:61], v[52:53], v[46:47]
	v_fma_f64 v[50:51], v[46:47], v[52:53], -v[60:61]
	s_delay_alu instid0(VALU_DEP_1) | instskip(NEXT) | instid1(VALU_DEP_1)
	v_fmac_f64_e32 v[50:51], v[46:47], v[48:49]
	v_add_f64_e32 v[62:63], v[60:61], v[50:51]
	s_delay_alu instid0(VALU_DEP_1) | instskip(SKIP_1) | instid1(VALU_DEP_2)
	v_add_f64_e64 v[64:65], v[58:59], -v[62:63]
	v_add_f64_e64 v[56:57], v[62:63], -v[60:61]
	;; [unrolled: 1-line block ×3, first 2 shown]
	s_delay_alu instid0(VALU_DEP_2) | instskip(NEXT) | instid1(VALU_DEP_2)
	v_add_f64_e64 v[50:51], v[56:57], -v[50:51]
	v_add_f64_e64 v[58:59], v[58:59], -v[62:63]
	s_delay_alu instid0(VALU_DEP_1) | instskip(NEXT) | instid1(VALU_DEP_1)
	v_add_f64_e32 v[44:45], v[44:45], v[58:59]
	v_add_f64_e32 v[44:45], v[50:51], v[44:45]
	s_delay_alu instid0(VALU_DEP_1) | instskip(NEXT) | instid1(VALU_DEP_1)
	v_add_f64_e32 v[50:51], v[64:65], v[44:45]
	v_mul_f64_e32 v[56:57], v[54:55], v[50:51]
	v_add_f64_e64 v[62:63], v[64:65], -v[50:51]
	s_delay_alu instid0(VALU_DEP_2) | instskip(NEXT) | instid1(VALU_DEP_2)
	v_mul_f64_e32 v[58:59], v[52:53], v[56:57]
	v_add_f64_e32 v[44:45], v[44:45], v[62:63]
	s_delay_alu instid0(VALU_DEP_2) | instskip(NEXT) | instid1(VALU_DEP_1)
	v_fma_f64 v[52:53], v[56:57], v[52:53], -v[58:59]
	v_fmac_f64_e32 v[52:53], v[56:57], v[48:49]
	s_delay_alu instid0(VALU_DEP_1) | instskip(NEXT) | instid1(VALU_DEP_1)
	v_add_f64_e32 v[48:49], v[58:59], v[52:53]
	v_add_f64_e64 v[60:61], v[50:51], -v[48:49]
	v_add_f64_e64 v[58:59], v[48:49], -v[58:59]
	s_delay_alu instid0(VALU_DEP_2) | instskip(NEXT) | instid1(VALU_DEP_1)
	v_add_f64_e64 v[50:51], v[50:51], -v[60:61]
	v_add_f64_e64 v[48:49], v[50:51], -v[48:49]
	s_delay_alu instid0(VALU_DEP_3) | instskip(SKIP_1) | instid1(VALU_DEP_3)
	v_add_f64_e64 v[50:51], v[58:59], -v[52:53]
	v_max_num_f64_e64 v[52:53], |v[6:7]|, |v[6:7]|
	v_add_f64_e32 v[44:45], v[44:45], v[48:49]
	v_add_f64_e32 v[48:49], v[46:47], v[56:57]
	s_delay_alu instid0(VALU_DEP_2) | instskip(NEXT) | instid1(VALU_DEP_2)
	v_add_f64_e32 v[44:45], v[50:51], v[44:45]
	v_add_f64_e64 v[46:47], v[48:49], -v[46:47]
	v_max_num_f64_e64 v[50:51], |v[8:9]|, |v[8:9]|
	s_delay_alu instid0(VALU_DEP_3) | instskip(NEXT) | instid1(VALU_DEP_3)
	v_add_f64_e32 v[44:45], v[60:61], v[44:45]
	v_add_f64_e64 v[46:47], v[56:57], -v[46:47]
	s_delay_alu instid0(VALU_DEP_2) | instskip(NEXT) | instid1(VALU_DEP_1)
	v_mul_f64_e32 v[44:45], v[54:55], v[44:45]
	v_add_f64_e32 v[44:45], v[46:47], v[44:45]
	v_max_num_f64_e32 v[46:47], v[52:53], v[50:51]
	v_min_num_f64_e32 v[50:51], v[52:53], v[50:51]
	s_delay_alu instid0(VALU_DEP_3) | instskip(NEXT) | instid1(VALU_DEP_2)
	v_add_f64_e32 v[52:53], v[48:49], v[44:45]
	v_div_scale_f64 v[54:55], null, v[46:47], v[46:47], v[50:51]
	s_delay_alu instid0(VALU_DEP_2) | instskip(SKIP_1) | instid1(VALU_DEP_3)
	v_mul_f64_e32 v[56:57], v[52:53], v[52:53]
	v_add_f64_e64 v[48:49], v[52:53], -v[48:49]
	v_rcp_f64_e32 v[58:59], v[54:55]
	s_delay_alu instid0(VALU_DEP_2) | instskip(SKIP_1) | instid1(VALU_DEP_3)
	v_fmamk_f64 v[60:61], v[56:57], 0x3fc3ab76bf559e2b, v[24:25]
	v_mul_f64_e32 v[62:63], v[52:53], v[56:57]
	v_add_f64_e64 v[44:45], v[44:45], -v[48:49]
	s_delay_alu instid0(VALU_DEP_3) | instskip(NEXT) | instid1(TRANS32_DEP_1)
	v_fmaak_f64 v[60:61], v[56:57], v[60:61], 0x3fc7474dd7f4df2e
	v_fma_f64 v[64:65], -v[54:55], v[58:59], 1.0
	s_delay_alu instid0(VALU_DEP_2) | instskip(NEXT) | instid1(VALU_DEP_1)
	v_fmaak_f64 v[60:61], v[56:57], v[60:61], 0x3fcc71c016291751
	v_fmaak_f64 v[60:61], v[56:57], v[60:61], 0x3fd249249b27acf1
	s_delay_alu instid0(VALU_DEP_1) | instskip(SKIP_1) | instid1(VALU_DEP_2)
	v_fmaak_f64 v[60:61], v[56:57], v[60:61], 0x3fd99999998ef7b6
	v_ldexp_f64 v[44:45], v[44:45], 1
	v_fmaak_f64 v[56:57], v[56:57], v[60:61], 0x3fe5555555555780
	v_ldexp_f64 v[60:61], v[52:53], 1
	v_fmac_f64_e32 v[58:59], v[58:59], v[64:65]
	s_delay_alu instid0(VALU_DEP_3) | instskip(SKIP_2) | instid1(VALU_DEP_1)
	v_mul_f64_e32 v[56:57], v[62:63], v[56:57]
	v_cvt_f64_i32_e32 v[62:63], v4
	v_ashrrev_i32_e32 v4, 31, v7
	v_and_b32_e32 v16, 0x54442d18, v4
	v_and_b32_e32 v4, 0x400921fb, v4
	v_fma_f64 v[64:65], -v[54:55], v[58:59], 1.0
	v_add_f64_e32 v[52:53], v[60:61], v[56:57]
	v_mul_f64_e32 v[66:67], 0x3fe62e42fefa39ef, v[62:63]
	s_delay_alu instid0(VALU_DEP_3) | instskip(NEXT) | instid1(VALU_DEP_3)
	v_fmac_f64_e32 v[58:59], v[58:59], v[64:65]
	v_add_f64_e64 v[48:49], v[52:53], -v[60:61]
	v_div_scale_f64 v[60:61], vcc_lo, v[50:51], v[46:47], v[50:51]
	s_delay_alu instid0(VALU_DEP_4) | instskip(NEXT) | instid1(VALU_DEP_3)
	v_fma_f64 v[64:65], v[62:63], s[30:31], -v[66:67]
	v_add_f64_e64 v[48:49], v[56:57], -v[48:49]
	s_delay_alu instid0(VALU_DEP_3) | instskip(NEXT) | instid1(VALU_DEP_3)
	v_mul_f64_e32 v[56:57], v[60:61], v[58:59]
	v_fmac_f64_e32 v[64:65], 0x3c7abc9e3b39803f, v[62:63]
	s_delay_alu instid0(VALU_DEP_3) | instskip(NEXT) | instid1(VALU_DEP_3)
	v_add_f64_e32 v[44:45], v[44:45], v[48:49]
	v_fma_f64 v[48:49], -v[54:55], v[56:57], v[60:61]
	s_delay_alu instid0(VALU_DEP_3) | instskip(NEXT) | instid1(VALU_DEP_3)
	v_add_f64_e32 v[54:55], v[66:67], v[64:65]
	v_add_f64_e32 v[60:61], v[52:53], v[44:45]
	s_delay_alu instid0(VALU_DEP_3) | instskip(SKIP_1) | instid1(VALU_DEP_4)
	v_div_fmas_f64 v[48:49], v[48:49], v[58:59], v[56:57]
	v_cmp_gt_i32_e32 vcc_lo, 0, v7
	v_add_f64_e64 v[58:59], v[54:55], -v[66:67]
	v_cndmask_b32_e32 v12, 0x54442d18, v68, vcc_lo
	v_add_f64_e32 v[56:57], v[54:55], v[60:61]
	v_div_fixup_f64 v[46:47], v[48:49], v[46:47], v[50:51]
	v_add_f64_e64 v[52:53], v[60:61], -v[52:53]
	v_add_f64_e64 v[58:59], v[64:65], -v[58:59]
	s_delay_alu instid0(VALU_DEP_4) | instskip(NEXT) | instid1(VALU_DEP_4)
	v_add_f64_e64 v[48:49], v[56:57], -v[54:55]
	v_mul_f64_e32 v[50:51], v[46:47], v[46:47]
	s_delay_alu instid0(VALU_DEP_4) | instskip(NEXT) | instid1(VALU_DEP_3)
	v_add_f64_e64 v[44:45], v[44:45], -v[52:53]
	v_add_f64_e64 v[62:63], v[56:57], -v[48:49]
	s_delay_alu instid0(VALU_DEP_3) | instskip(SKIP_1) | instid1(VALU_DEP_4)
	v_fmamk_f64 v[66:67], v[50:51], 0x3eeba404b5e68a13, v[26:27]
	v_add_f64_e64 v[48:49], v[60:61], -v[48:49]
	v_add_f64_e32 v[60:61], v[58:59], v[44:45]
	s_delay_alu instid0(VALU_DEP_3) | instskip(NEXT) | instid1(VALU_DEP_1)
	v_fmaak_f64 v[66:67], v[50:51], v[66:67], 0x3f4b2bb069efb384
	v_fmaak_f64 v[66:67], v[50:51], v[66:67], 0xbf67952daf56de9b
	v_add_f64_e64 v[52:53], v[54:55], -v[62:63]
	s_delay_alu instid0(VALU_DEP_2) | instskip(NEXT) | instid1(VALU_DEP_1)
	v_fmaak_f64 v[54:55], v[50:51], v[66:67], 0x3f7d6d43a595c56f
	v_fmaak_f64 v[54:55], v[50:51], v[54:55], 0xbf8c6ea4a57d9582
	s_delay_alu instid0(VALU_DEP_1) | instskip(NEXT) | instid1(VALU_DEP_1)
	v_fmaak_f64 v[54:55], v[50:51], v[54:55], 0x3f967e295f08b19f
	v_fmaak_f64 v[54:55], v[50:51], v[54:55], 0xbf9e9ae6fc27006a
	s_delay_alu instid0(VALU_DEP_1) | instskip(SKIP_1) | instid1(VALU_DEP_2)
	v_fmaak_f64 v[54:55], v[50:51], v[54:55], 0x3fa2c15b5711927a
	v_add_f64_e32 v[48:49], v[48:49], v[52:53]
	v_fmaak_f64 v[52:53], v[50:51], v[54:55], 0xbfa59976e82d3ff0
	v_add_f64_e64 v[54:55], v[60:61], -v[58:59]
	s_delay_alu instid0(VALU_DEP_2) | instskip(NEXT) | instid1(VALU_DEP_1)
	v_fmaak_f64 v[52:53], v[50:51], v[52:53], 0x3fa82d5d6ef28734
	v_fmaak_f64 v[52:53], v[50:51], v[52:53], 0xbfaae5ce6a214619
	s_delay_alu instid0(VALU_DEP_1) | instskip(NEXT) | instid1(VALU_DEP_1)
	v_fmaak_f64 v[52:53], v[50:51], v[52:53], 0x3fae1bb48427b883
	v_fmaak_f64 v[52:53], v[50:51], v[52:53], 0xbfb110e48b207f05
	v_add_f64_e32 v[48:49], v[60:61], v[48:49]
	v_add_f64_e64 v[60:61], v[60:61], -v[54:55]
	v_add_f64_e64 v[44:45], v[44:45], -v[54:55]
	s_delay_alu instid0(VALU_DEP_4) | instskip(NEXT) | instid1(VALU_DEP_1)
	v_fmaak_f64 v[52:53], v[50:51], v[52:53], 0x3fb3b13657b87036
	v_fmaak_f64 v[52:53], v[50:51], v[52:53], 0xbfb745d119378e4f
	s_delay_alu instid0(VALU_DEP_1) | instskip(NEXT) | instid1(VALU_DEP_1)
	v_fmaak_f64 v[52:53], v[50:51], v[52:53], 0x3fbc71c717e1913c
	v_fmaak_f64 v[52:53], v[50:51], v[52:53], 0xbfc2492492376b7d
	v_add_f64_e32 v[62:63], v[56:57], v[48:49]
	s_delay_alu instid0(VALU_DEP_2) | instskip(NEXT) | instid1(VALU_DEP_1)
	v_fmaak_f64 v[52:53], v[50:51], v[52:53], 0x3fc99999999952cc
	v_fmaak_f64 v[52:53], v[50:51], v[52:53], 0xbfd5555555555523
	s_delay_alu instid0(VALU_DEP_1) | instskip(SKIP_2) | instid1(VALU_DEP_3)
	v_mul_f64_e32 v[50:51], v[50:51], v[52:53]
	v_add_f64_e64 v[52:53], v[58:59], -v[60:61]
	v_add_f64_e64 v[54:55], v[62:63], -v[56:57]
	v_fmac_f64_e32 v[46:47], v[46:47], v[50:51]
	s_delay_alu instid0(VALU_DEP_3) | instskip(NEXT) | instid1(VALU_DEP_3)
	v_add_f64_e32 v[44:45], v[44:45], v[52:53]
	v_add_f64_e64 v[48:49], v[48:49], -v[54:55]
	s_delay_alu instid0(VALU_DEP_3) | instskip(NEXT) | instid1(VALU_DEP_1)
	v_add_f64_e64 v[50:51], -v[46:47], s[38:39]
	v_dual_add_f64 v[44:45], v[44:45], v[48:49] :: v_dual_cndmask_b32 v47, v47, v51, s4
	s_delay_alu instid0(VALU_DEP_2) | instskip(SKIP_2) | instid1(VALU_DEP_3)
	v_cndmask_b32_e64 v46, v46, v50, s4
	v_cmp_neq_f64_e64 s6, 0x7ff00000, v[14:15]
	v_cndmask_b32_e32 v14, 0x3fe921fb, v69, vcc_lo
	v_add_f64_e64 v[48:49], -v[46:47], s[40:41]
	s_delay_alu instid0(VALU_DEP_2) | instskip(SKIP_1) | instid1(VALU_DEP_3)
	v_bfi_b32 v14, 0x7fffffff, v14, v9
	v_add_f64_e32 v[44:45], v[62:63], v[44:45]
	v_dual_cndmask_b32 v21, v46, v48, vcc_lo :: v_dual_cndmask_b32 v15, v47, v49, vcc_lo
	s_and_b32 vcc_lo, s9, s10
                                        ; implicit-def: $vgpr48_vgpr49
	s_delay_alu instid0(VALU_DEP_1) | instskip(NEXT) | instid1(VALU_DEP_2)
	v_cndmask_b32_e64 v16, v21, v16, s5
	v_cndmask_b32_e64 v4, v15, v4, s5
	s_delay_alu instid0(VALU_DEP_1) | instskip(NEXT) | instid1(VALU_DEP_3)
	v_dual_mul_f64 v[6:7], 0.5, v[44:45] :: v_dual_cndmask_b32 v45, v4, v14, vcc_lo
	v_cndmask_b32_e32 v44, v16, v12, vcc_lo
	s_delay_alu instid0(VALU_DEP_2) | instskip(NEXT) | instid1(VALU_DEP_3)
	v_cndmask_b32_e64 v15, 0x7ff00000, v7, s6
	v_cndmask_b32_e64 v14, 0, v6, s6
.LBB191_281:                            ;   in Loop: Header=BB191_145 Depth=1
	s_and_not1_saveexec_b32 s6, s8
	s_cbranch_execz .LBB191_283
; %bb.282:                              ;   in Loop: Header=BB191_145 Depth=1
	v_max_num_f64_e64 v[14:15], |v[8:9]|, |v[8:9]|
	v_max_num_f64_e64 v[44:45], |v[6:7]|, |v[6:7]|
	v_ashrrev_i32_e32 v4, 31, v7
	v_cmp_eq_f64_e64 s5, 0, v[8:9]
	v_cmp_class_f64_e64 s8, v[8:9], 0x204
	v_cmp_class_f64_e64 s9, v[6:7], 0x204
	s_delay_alu instid0(VALU_DEP_4) | instskip(SKIP_3) | instid1(VALU_DEP_1)
	v_and_b32_e32 v16, 0x54442d18, v4
	v_and_b32_e32 v4, 0x400921fb, v4
	v_max_num_f64_e32 v[46:47], v[44:45], v[14:15]
	v_min_num_f64_e32 v[14:15], v[44:45], v[14:15]
	v_div_scale_f64 v[44:45], null, v[46:47], v[46:47], v[14:15]
	v_div_scale_f64 v[54:55], vcc_lo, v[14:15], v[46:47], v[14:15]
	s_delay_alu instid0(VALU_DEP_2) | instskip(SKIP_1) | instid1(TRANS32_DEP_1)
	v_rcp_f64_e32 v[50:51], v[44:45]
	v_nop
	v_fma_f64 v[52:53], -v[44:45], v[50:51], 1.0
	s_delay_alu instid0(VALU_DEP_1) | instskip(NEXT) | instid1(VALU_DEP_1)
	v_fmac_f64_e32 v[50:51], v[50:51], v[52:53]
	v_fma_f64 v[52:53], -v[44:45], v[50:51], 1.0
	s_delay_alu instid0(VALU_DEP_1) | instskip(NEXT) | instid1(VALU_DEP_1)
	v_fmac_f64_e32 v[50:51], v[50:51], v[52:53]
	v_mul_f64_e32 v[52:53], v[54:55], v[50:51]
	s_delay_alu instid0(VALU_DEP_1) | instskip(NEXT) | instid1(VALU_DEP_1)
	v_fma_f64 v[44:45], -v[44:45], v[52:53], v[54:55]
	v_div_fmas_f64 v[44:45], v[44:45], v[50:51], v[52:53]
	v_cmp_gt_i32_e32 vcc_lo, 0, v7
	v_cndmask_b32_e32 v6, 0x3fe921fb, v69, vcc_lo
	v_cndmask_b32_e32 v12, 0x54442d18, v68, vcc_lo
	s_delay_alu instid0(VALU_DEP_2) | instskip(SKIP_1) | instid1(VALU_DEP_1)
	v_bfi_b32 v6, 0x7fffffff, v6, v9
	v_div_fixup_f64 v[14:15], v[44:45], v[46:47], v[14:15]
	v_mul_f64_e32 v[44:45], v[14:15], v[14:15]
	s_delay_alu instid0(VALU_DEP_1) | instskip(NEXT) | instid1(VALU_DEP_1)
	v_fmamk_f64 v[46:47], v[44:45], 0x3eeba404b5e68a13, v[26:27]
	v_fmaak_f64 v[46:47], v[44:45], v[46:47], 0x3f4b2bb069efb384
	s_delay_alu instid0(VALU_DEP_1) | instskip(NEXT) | instid1(VALU_DEP_1)
	v_fmaak_f64 v[46:47], v[44:45], v[46:47], 0xbf67952daf56de9b
	v_fmaak_f64 v[46:47], v[44:45], v[46:47], 0x3f7d6d43a595c56f
	s_delay_alu instid0(VALU_DEP_1) | instskip(NEXT) | instid1(VALU_DEP_1)
	v_fmaak_f64 v[46:47], v[44:45], v[46:47], 0xbf8c6ea4a57d9582
	;; [unrolled: 3-line block ×9, first 2 shown]
	v_mul_f64_e32 v[44:45], v[44:45], v[46:47]
	s_delay_alu instid0(VALU_DEP_1) | instskip(NEXT) | instid1(VALU_DEP_1)
	v_fmac_f64_e32 v[14:15], v[14:15], v[44:45]
	v_add_f64_e64 v[44:45], -v[14:15], s[38:39]
	s_delay_alu instid0(VALU_DEP_1) | instskip(SKIP_1) | instid1(VALU_DEP_1)
	v_dual_cndmask_b32 v45, v15, v45, s4 :: v_dual_cndmask_b32 v44, v14, v44, s4
	v_mul_f64_e32 v[14:15], 0.5, v[48:49]
	v_mul_f64_e32 v[14:15], v[48:49], v[14:15]
	s_delay_alu instid0(VALU_DEP_3) | instskip(NEXT) | instid1(VALU_DEP_1)
	v_add_f64_e64 v[46:47], -v[44:45], s[40:41]
	v_dual_cndmask_b32 v21, v44, v46, vcc_lo :: v_dual_cndmask_b32 v7, v45, v47, vcc_lo
	s_and_b32 vcc_lo, s8, s9
	s_delay_alu instid0(VALU_DEP_1) | instskip(NEXT) | instid1(VALU_DEP_2)
	v_cndmask_b32_e64 v16, v21, v16, s5
	v_cndmask_b32_e64 v4, v7, v4, s5
	s_delay_alu instid0(VALU_DEP_2) | instskip(NEXT) | instid1(VALU_DEP_2)
	v_cndmask_b32_e32 v44, v16, v12, vcc_lo
	v_cndmask_b32_e32 v45, v4, v6, vcc_lo
.LBB191_283:                            ;   in Loop: Header=BB191_145 Depth=1
	s_or_b32 exec_lo, exec_lo, s6
.LBB191_284:                            ;   in Loop: Header=BB191_145 Depth=1
	s_delay_alu instid0(SALU_CYCLE_1)
	s_or_b32 exec_lo, exec_lo, s7
.LBB191_285:                            ;   in Loop: Header=BB191_145 Depth=1
	s_and_not1_saveexec_b32 s6, s33
	s_cbranch_execz .LBB191_287
; %bb.286:                              ;   in Loop: Header=BB191_145 Depth=1
	v_div_scale_f64 v[14:15], null, s[46:47], s[46:47], v[6:7]
	v_div_scale_f64 v[44:45], null, s[46:47], s[46:47], v[8:9]
	v_div_scale_f64 v[54:55], vcc_lo, v[6:7], s[46:47], v[6:7]
	s_delay_alu instid0(VALU_DEP_3) | instskip(NEXT) | instid1(VALU_DEP_2)
	v_rcp_f64_e32 v[46:47], v[14:15]
	v_rcp_f64_e32 v[48:49], v[44:45]
	s_delay_alu instid0(TRANS32_DEP_2) | instskip(NEXT) | instid1(TRANS32_DEP_1)
	v_fma_f64 v[50:51], -v[14:15], v[46:47], 1.0
	v_fma_f64 v[52:53], -v[44:45], v[48:49], 1.0
	s_delay_alu instid0(VALU_DEP_2) | instskip(NEXT) | instid1(VALU_DEP_2)
	v_fmac_f64_e32 v[46:47], v[46:47], v[50:51]
	v_fmac_f64_e32 v[48:49], v[48:49], v[52:53]
	s_delay_alu instid0(VALU_DEP_2) | instskip(NEXT) | instid1(VALU_DEP_2)
	v_fma_f64 v[50:51], -v[14:15], v[46:47], 1.0
	v_fma_f64 v[52:53], -v[44:45], v[48:49], 1.0
	s_delay_alu instid0(VALU_DEP_2) | instskip(SKIP_1) | instid1(VALU_DEP_3)
	v_fmac_f64_e32 v[46:47], v[46:47], v[50:51]
	v_div_scale_f64 v[50:51], s5, v[8:9], s[46:47], v[8:9]
	v_fmac_f64_e32 v[48:49], v[48:49], v[52:53]
	s_delay_alu instid0(VALU_DEP_3) | instskip(NEXT) | instid1(VALU_DEP_2)
	v_mul_f64_e32 v[52:53], v[54:55], v[46:47]
	v_mul_f64_e32 v[56:57], v[50:51], v[48:49]
	s_delay_alu instid0(VALU_DEP_2) | instskip(NEXT) | instid1(VALU_DEP_2)
	v_fma_f64 v[14:15], -v[14:15], v[52:53], v[54:55]
	v_fma_f64 v[44:45], -v[44:45], v[56:57], v[50:51]
	s_delay_alu instid0(VALU_DEP_2) | instskip(SKIP_1) | instid1(VALU_DEP_2)
	v_div_fmas_f64 v[14:15], v[14:15], v[46:47], v[52:53]
	s_mov_b32 vcc_lo, s5
	v_div_fmas_f64 v[44:45], v[44:45], v[48:49], v[56:57]
	s_delay_alu instid0(VALU_DEP_2) | instskip(NEXT) | instid1(VALU_DEP_2)
	v_div_fixup_f64 v[14:15], v[14:15], s[46:47], v[6:7]
	v_div_fixup_f64 v[44:45], v[44:45], s[46:47], v[8:9]
	s_delay_alu instid0(VALU_DEP_2) | instskip(NEXT) | instid1(VALU_DEP_2)
	v_cmp_class_f64_e64 s5, v[14:15], 0x204
	v_max_num_f64_e64 v[46:47], |v[14:15]|, |v[44:45]|
	v_cmp_class_f64_e64 s7, v[44:45], 0x204
	s_delay_alu instid0(VALU_DEP_2) | instskip(SKIP_2) | instid1(VALU_DEP_2)
	v_frexp_exp_i32_f64_e32 v4, v[46:47]
	s_or_b32 s5, s7, s5
	v_cmp_class_f64_e64 s7, v[6:7], 0x204
	v_sub_nc_u32_e32 v12, 0, v4
	s_delay_alu instid0(VALU_DEP_1) | instskip(SKIP_1) | instid1(VALU_DEP_2)
	v_ldexp_f64 v[46:47], |v[44:45]|, v12
	v_ldexp_f64 v[48:49], |v[14:15]|, v12
	v_mul_f64_e32 v[46:47], v[46:47], v[46:47]
	s_delay_alu instid0(VALU_DEP_1) | instskip(NEXT) | instid1(VALU_DEP_1)
	v_fmac_f64_e32 v[46:47], v[48:49], v[48:49]
	v_rsq_f64_e32 v[48:49], v[46:47]
	v_cmp_eq_f64_e32 vcc_lo, 0, v[46:47]
	s_delay_alu instid0(TRANS32_DEP_1) | instskip(SKIP_1) | instid1(VALU_DEP_1)
	v_mul_f64_e32 v[50:51], v[46:47], v[48:49]
	v_mul_f64_e32 v[48:49], 0.5, v[48:49]
	v_fma_f64 v[52:53], -v[48:49], v[50:51], 0.5
	s_delay_alu instid0(VALU_DEP_1) | instskip(SKIP_1) | instid1(VALU_DEP_2)
	v_fmac_f64_e32 v[50:51], v[50:51], v[52:53]
	v_fmac_f64_e32 v[48:49], v[48:49], v[52:53]
	v_fma_f64 v[52:53], -v[50:51], v[50:51], v[46:47]
	s_delay_alu instid0(VALU_DEP_1) | instskip(NEXT) | instid1(VALU_DEP_1)
	v_fmac_f64_e32 v[50:51], v[52:53], v[48:49]
	v_dual_cndmask_b32 v47, v51, v47 :: v_dual_cndmask_b32 v46, v50, v46
	v_cmp_o_f64_e32 vcc_lo, v[14:15], v[44:45]
	s_delay_alu instid0(VALU_DEP_2) | instskip(NEXT) | instid1(VALU_DEP_1)
	v_ldexp_f64 v[46:47], v[46:47], v4
	v_cndmask_b32_e32 v4, 0, v46, vcc_lo
	s_delay_alu instid0(VALU_DEP_2) | instskip(NEXT) | instid1(VALU_DEP_2)
	v_cndmask_b32_e32 v12, 0x7ff80000, v47, vcc_lo
	v_cndmask_b32_e64 v46, v4, 0, s5
	s_delay_alu instid0(VALU_DEP_2) | instskip(SKIP_1) | instid1(VALU_DEP_2)
	v_cndmask_b32_e64 v47, v12, 0x7ff00000, s5
	v_cmp_class_f64_e64 s5, v[8:9], 0x204
	v_frexp_mant_f64_e32 v[14:15], v[46:47]
	s_delay_alu instid0(VALU_DEP_1) | instskip(SKIP_1) | instid1(VALU_DEP_1)
	v_cmp_gt_f64_e32 vcc_lo, s[28:29], v[14:15]
	v_cndmask_b32_e64 v4, 0, 1, vcc_lo
	v_ldexp_f64 v[14:15], v[14:15], v4
	v_frexp_exp_i32_f64_e32 v4, v[46:47]
	s_delay_alu instid0(VALU_DEP_2) | instskip(SKIP_1) | instid1(VALU_DEP_3)
	v_add_f64_e32 v[44:45], 1.0, v[14:15]
	v_add_f64_e32 v[52:53], -1.0, v[14:15]
	v_subrev_co_ci_u32_e64 v4, null, 0, v4, vcc_lo
	s_delay_alu instid0(VALU_DEP_3) | instskip(SKIP_1) | instid1(VALU_DEP_1)
	v_rcp_f64_e32 v[48:49], v[44:45]
	v_add_f64_e32 v[54:55], -1.0, v[44:45]
	v_add_f64_e64 v[14:15], v[14:15], -v[54:55]
	s_delay_alu instid0(TRANS32_DEP_1) | instskip(NEXT) | instid1(VALU_DEP_1)
	v_fma_f64 v[50:51], -v[44:45], v[48:49], 1.0
	v_fmac_f64_e32 v[48:49], v[50:51], v[48:49]
	s_delay_alu instid0(VALU_DEP_1) | instskip(NEXT) | instid1(VALU_DEP_1)
	v_fma_f64 v[50:51], -v[44:45], v[48:49], 1.0
	v_fmac_f64_e32 v[48:49], v[50:51], v[48:49]
	s_delay_alu instid0(VALU_DEP_1) | instskip(NEXT) | instid1(VALU_DEP_1)
	v_mul_f64_e32 v[50:51], v[52:53], v[48:49]
	v_mul_f64_e32 v[56:57], v[44:45], v[50:51]
	s_delay_alu instid0(VALU_DEP_1) | instskip(NEXT) | instid1(VALU_DEP_1)
	v_fma_f64 v[44:45], v[50:51], v[44:45], -v[56:57]
	v_fmac_f64_e32 v[44:45], v[50:51], v[14:15]
	s_delay_alu instid0(VALU_DEP_1) | instskip(NEXT) | instid1(VALU_DEP_1)
	v_add_f64_e32 v[14:15], v[56:57], v[44:45]
	v_add_f64_e64 v[54:55], v[52:53], -v[14:15]
	v_add_f64_e64 v[56:57], v[14:15], -v[56:57]
	s_delay_alu instid0(VALU_DEP_2) | instskip(NEXT) | instid1(VALU_DEP_2)
	v_add_f64_e64 v[52:53], v[52:53], -v[54:55]
	v_add_f64_e64 v[44:45], v[56:57], -v[44:45]
	s_delay_alu instid0(VALU_DEP_2) | instskip(SKIP_1) | instid1(VALU_DEP_2)
	v_add_f64_e64 v[14:15], v[52:53], -v[14:15]
	v_max_num_f64_e64 v[52:53], |v[6:7]|, |v[6:7]|
	v_add_f64_e32 v[14:15], v[44:45], v[14:15]
	v_max_num_f64_e64 v[44:45], |v[8:9]|, |v[8:9]|
	s_delay_alu instid0(VALU_DEP_2) | instskip(NEXT) | instid1(VALU_DEP_1)
	v_add_f64_e32 v[14:15], v[54:55], v[14:15]
	v_mul_f64_e32 v[14:15], v[48:49], v[14:15]
	s_delay_alu instid0(VALU_DEP_3) | instskip(SKIP_1) | instid1(VALU_DEP_3)
	v_max_num_f64_e32 v[48:49], v[52:53], v[44:45]
	v_min_num_f64_e32 v[44:45], v[52:53], v[44:45]
	v_add_f64_e32 v[52:53], v[50:51], v[14:15]
	s_delay_alu instid0(VALU_DEP_2) | instskip(NEXT) | instid1(VALU_DEP_2)
	v_div_scale_f64 v[54:55], null, v[48:49], v[48:49], v[44:45]
	v_mul_f64_e32 v[56:57], v[52:53], v[52:53]
	v_add_f64_e64 v[50:51], v[52:53], -v[50:51]
	s_delay_alu instid0(VALU_DEP_3) | instskip(NEXT) | instid1(VALU_DEP_2)
	v_rcp_f64_e32 v[58:59], v[54:55]
	v_fmamk_f64 v[60:61], v[56:57], 0x3fc3ab76bf559e2b, v[24:25]
	v_mul_f64_e32 v[62:63], v[52:53], v[56:57]
	s_delay_alu instid0(VALU_DEP_3) | instskip(NEXT) | instid1(VALU_DEP_3)
	v_add_f64_e64 v[14:15], v[14:15], -v[50:51]
	v_fmaak_f64 v[60:61], v[56:57], v[60:61], 0x3fc7474dd7f4df2e
	s_delay_alu instid0(TRANS32_DEP_1) | instskip(NEXT) | instid1(VALU_DEP_2)
	v_fma_f64 v[64:65], -v[54:55], v[58:59], 1.0
	v_fmaak_f64 v[60:61], v[56:57], v[60:61], 0x3fcc71c016291751
	s_delay_alu instid0(VALU_DEP_1) | instskip(NEXT) | instid1(VALU_DEP_1)
	v_fmaak_f64 v[60:61], v[56:57], v[60:61], 0x3fd249249b27acf1
	v_fmaak_f64 v[60:61], v[56:57], v[60:61], 0x3fd99999998ef7b6
	v_ldexp_f64 v[14:15], v[14:15], 1
	s_delay_alu instid0(VALU_DEP_2) | instskip(SKIP_2) | instid1(VALU_DEP_3)
	v_fmaak_f64 v[56:57], v[56:57], v[60:61], 0x3fe5555555555780
	v_ldexp_f64 v[60:61], v[52:53], 1
	v_fmac_f64_e32 v[58:59], v[58:59], v[64:65]
	v_mul_f64_e32 v[56:57], v[62:63], v[56:57]
	v_cvt_f64_i32_e32 v[62:63], v4
	v_ashrrev_i32_e32 v4, 31, v7
	s_delay_alu instid0(VALU_DEP_1) | instskip(SKIP_4) | instid1(VALU_DEP_3)
	v_and_b32_e32 v16, 0x54442d18, v4
	v_and_b32_e32 v4, 0x400921fb, v4
	v_fma_f64 v[64:65], -v[54:55], v[58:59], 1.0
	v_add_f64_e32 v[52:53], v[60:61], v[56:57]
	v_mul_f64_e32 v[66:67], 0x3fe62e42fefa39ef, v[62:63]
	v_fmac_f64_e32 v[58:59], v[58:59], v[64:65]
	s_delay_alu instid0(VALU_DEP_3) | instskip(SKIP_1) | instid1(VALU_DEP_4)
	v_add_f64_e64 v[50:51], v[52:53], -v[60:61]
	v_div_scale_f64 v[60:61], vcc_lo, v[44:45], v[48:49], v[44:45]
	v_fma_f64 v[64:65], v[62:63], s[30:31], -v[66:67]
	s_delay_alu instid0(VALU_DEP_3) | instskip(NEXT) | instid1(VALU_DEP_3)
	v_add_f64_e64 v[50:51], v[56:57], -v[50:51]
	v_mul_f64_e32 v[56:57], v[60:61], v[58:59]
	s_delay_alu instid0(VALU_DEP_3) | instskip(NEXT) | instid1(VALU_DEP_3)
	v_fmac_f64_e32 v[64:65], 0x3c7abc9e3b39803f, v[62:63]
	v_add_f64_e32 v[14:15], v[14:15], v[50:51]
	s_delay_alu instid0(VALU_DEP_3) | instskip(NEXT) | instid1(VALU_DEP_3)
	v_fma_f64 v[50:51], -v[54:55], v[56:57], v[60:61]
	v_add_f64_e32 v[54:55], v[66:67], v[64:65]
	s_delay_alu instid0(VALU_DEP_3) | instskip(NEXT) | instid1(VALU_DEP_3)
	v_add_f64_e32 v[60:61], v[52:53], v[14:15]
	v_div_fmas_f64 v[50:51], v[50:51], v[58:59], v[56:57]
	v_cmp_class_f64_e64 vcc_lo, v[46:47], 0x204
	s_delay_alu instid0(VALU_DEP_4) | instskip(NEXT) | instid1(VALU_DEP_4)
	v_add_f64_e64 v[58:59], v[54:55], -v[66:67]
	v_add_f64_e32 v[56:57], v[54:55], v[60:61]
	s_delay_alu instid0(VALU_DEP_4) | instskip(SKIP_1) | instid1(VALU_DEP_4)
	v_div_fixup_f64 v[44:45], v[50:51], v[48:49], v[44:45]
	v_add_f64_e64 v[52:53], v[60:61], -v[52:53]
	v_add_f64_e64 v[58:59], v[64:65], -v[58:59]
	s_delay_alu instid0(VALU_DEP_4) | instskip(NEXT) | instid1(VALU_DEP_4)
	v_add_f64_e64 v[48:49], v[56:57], -v[54:55]
	v_mul_f64_e32 v[50:51], v[44:45], v[44:45]
	s_delay_alu instid0(VALU_DEP_4) | instskip(NEXT) | instid1(VALU_DEP_3)
	v_add_f64_e64 v[14:15], v[14:15], -v[52:53]
	v_add_f64_e64 v[62:63], v[56:57], -v[48:49]
	s_delay_alu instid0(VALU_DEP_3) | instskip(SKIP_1) | instid1(VALU_DEP_4)
	v_fmamk_f64 v[66:67], v[50:51], 0x3eeba404b5e68a13, v[26:27]
	v_add_f64_e64 v[48:49], v[60:61], -v[48:49]
	v_add_f64_e32 v[60:61], v[58:59], v[14:15]
	s_delay_alu instid0(VALU_DEP_3) | instskip(SKIP_1) | instid1(VALU_DEP_2)
	v_fmaak_f64 v[66:67], v[50:51], v[66:67], 0x3f4b2bb069efb384
	v_add_f64_e64 v[52:53], v[54:55], -v[62:63]
	v_fmaak_f64 v[54:55], v[50:51], v[66:67], 0xbf67952daf56de9b
	s_delay_alu instid0(VALU_DEP_1) | instskip(NEXT) | instid1(VALU_DEP_1)
	v_fmaak_f64 v[54:55], v[50:51], v[54:55], 0x3f7d6d43a595c56f
	v_fmaak_f64 v[54:55], v[50:51], v[54:55], 0xbf8c6ea4a57d9582
	s_delay_alu instid0(VALU_DEP_1) | instskip(SKIP_1) | instid1(VALU_DEP_2)
	v_fmaak_f64 v[54:55], v[50:51], v[54:55], 0x3f967e295f08b19f
	v_add_f64_e32 v[48:49], v[48:49], v[52:53]
	v_fmaak_f64 v[52:53], v[50:51], v[54:55], 0xbf9e9ae6fc27006a
	v_add_f64_e64 v[54:55], v[60:61], -v[58:59]
	s_delay_alu instid0(VALU_DEP_2) | instskip(NEXT) | instid1(VALU_DEP_1)
	v_fmaak_f64 v[52:53], v[50:51], v[52:53], 0x3fa2c15b5711927a
	v_fmaak_f64 v[52:53], v[50:51], v[52:53], 0xbfa59976e82d3ff0
	s_delay_alu instid0(VALU_DEP_1) | instskip(NEXT) | instid1(VALU_DEP_1)
	v_fmaak_f64 v[52:53], v[50:51], v[52:53], 0x3fa82d5d6ef28734
	v_fmaak_f64 v[52:53], v[50:51], v[52:53], 0xbfaae5ce6a214619
	v_add_f64_e32 v[48:49], v[60:61], v[48:49]
	v_add_f64_e64 v[60:61], v[60:61], -v[54:55]
	v_add_f64_e64 v[14:15], v[14:15], -v[54:55]
	s_delay_alu instid0(VALU_DEP_4) | instskip(NEXT) | instid1(VALU_DEP_1)
	v_fmaak_f64 v[52:53], v[50:51], v[52:53], 0x3fae1bb48427b883
	v_fmaak_f64 v[52:53], v[50:51], v[52:53], 0xbfb110e48b207f05
	s_delay_alu instid0(VALU_DEP_1) | instskip(NEXT) | instid1(VALU_DEP_1)
	v_fmaak_f64 v[52:53], v[50:51], v[52:53], 0x3fb3b13657b87036
	v_fmaak_f64 v[52:53], v[50:51], v[52:53], 0xbfb745d119378e4f
	s_delay_alu instid0(VALU_DEP_1) | instskip(SKIP_1) | instid1(VALU_DEP_2)
	v_fmaak_f64 v[52:53], v[50:51], v[52:53], 0x3fbc71c717e1913c
	v_add_f64_e32 v[62:63], v[56:57], v[48:49]
	v_fmaak_f64 v[52:53], v[50:51], v[52:53], 0xbfc2492492376b7d
	s_delay_alu instid0(VALU_DEP_1) | instskip(NEXT) | instid1(VALU_DEP_1)
	v_fmaak_f64 v[52:53], v[50:51], v[52:53], 0x3fc99999999952cc
	v_fmaak_f64 v[52:53], v[50:51], v[52:53], 0xbfd5555555555523
	s_delay_alu instid0(VALU_DEP_1) | instskip(SKIP_2) | instid1(VALU_DEP_3)
	v_mul_f64_e32 v[50:51], v[50:51], v[52:53]
	v_add_f64_e64 v[52:53], v[58:59], -v[60:61]
	v_add_f64_e64 v[54:55], v[62:63], -v[56:57]
	v_fmac_f64_e32 v[44:45], v[44:45], v[50:51]
	s_delay_alu instid0(VALU_DEP_3) | instskip(NEXT) | instid1(VALU_DEP_3)
	v_add_f64_e32 v[14:15], v[14:15], v[52:53]
	v_add_f64_e64 v[48:49], v[48:49], -v[54:55]
	s_delay_alu instid0(VALU_DEP_3) | instskip(NEXT) | instid1(VALU_DEP_1)
	v_add_f64_e64 v[50:51], -v[44:45], s[38:39]
	v_dual_add_f64 v[14:15], v[14:15], v[48:49] :: v_dual_cndmask_b32 v45, v45, v51, s4
	s_delay_alu instid0(VALU_DEP_2) | instskip(SKIP_1) | instid1(VALU_DEP_3)
	v_cndmask_b32_e64 v44, v44, v50, s4
	v_cmp_gt_i32_e64 s4, 0, v7
	v_add_f64_e32 v[14:15], v[62:63], v[14:15]
	s_delay_alu instid0(VALU_DEP_3) | instskip(NEXT) | instid1(VALU_DEP_3)
	v_add_f64_e64 v[48:49], -v[44:45], s[40:41]
	v_cndmask_b32_e64 v12, 0x54442d18, v68, s4
	v_cndmask_b32_e64 v6, 0x3fe921fb, v69, s4
	s_delay_alu instid0(VALU_DEP_1) | instskip(SKIP_4) | instid1(VALU_DEP_2)
	v_bfi_b32 v6, 0x7fffffff, v6, v9
	v_dual_cndmask_b32 v15, v15, v47 :: v_dual_cndmask_b32 v14, v14, v46
	v_cmp_eq_f64_e32 vcc_lo, 0, v[8:9]
	v_dual_cndmask_b32 v21, v44, v48, s4 :: v_dual_cndmask_b32 v7, v45, v49, s4
	v_cmp_nge_f64_e64 s4, 0, v[46:47]
	v_dual_add_f64 v[14:15], 1.0, v[14:15] :: v_dual_cndmask_b32 v16, v21, v16, vcc_lo
	s_delay_alu instid0(VALU_DEP_3) | instskip(SKIP_1) | instid1(VALU_DEP_3)
	v_cndmask_b32_e32 v4, v7, v4, vcc_lo
	v_cmp_ngt_f64_e32 vcc_lo, 0, v[46:47]
	v_cndmask_b32_e64 v14, 0, v14, s4
	v_cmp_neq_f64_e64 s4, 0, v[46:47]
	v_cndmask_b32_e32 v7, 0x7ff80000, v15, vcc_lo
	s_and_b32 vcc_lo, s5, s7
	v_cndmask_b32_e32 v45, v4, v6, vcc_lo
	v_cndmask_b32_e32 v44, v16, v12, vcc_lo
	s_delay_alu instid0(VALU_DEP_3)
	v_cndmask_b32_e64 v15, 0xfff00000, v7, s4
.LBB191_287:                            ;   in Loop: Header=BB191_145 Depth=1
	s_or_b32 exec_lo, exec_lo, s6
	s_and_not1_saveexec_b32 s4, s15
	s_cbranch_execz .LBB191_257
.LBB191_288:                            ;   in Loop: Header=BB191_145 Depth=1
	v_cmp_ngt_f64_e64 s5, 0x20000000, |v[6:7]|
	v_cmp_ngt_f64_e64 s6, 0x20000000, |v[8:9]|
                                        ; implicit-def: $vgpr46_vgpr47
	s_or_b32 s5, s6, s5
	s_delay_alu instid0(SALU_CYCLE_1) | instskip(NEXT) | instid1(SALU_CYCLE_1)
	s_and_saveexec_b32 s6, s5
	s_xor_b32 s5, exec_lo, s6
	s_cbranch_execz .LBB191_290
; %bb.289:                              ;   in Loop: Header=BB191_145 Depth=1
	v_mul_f64_e32 v[46:47], v[6:7], v[6:7]
	s_delay_alu instid0(VALU_DEP_1)
	v_fmac_f64_e32 v[46:47], v[8:9], v[8:9]
.LBB191_290:                            ;   in Loop: Header=BB191_145 Depth=1
	s_and_not1_saveexec_b32 s5, s5
	s_cbranch_execz .LBB191_292
; %bb.291:                              ;   in Loop: Header=BB191_145 Depth=1
	v_mul_f64_e32 v[6:7], 4.0, v[6:7]
	v_mul_f64_e32 v[14:15], 4.0, v[8:9]
	s_delay_alu instid0(VALU_DEP_2) | instskip(NEXT) | instid1(VALU_DEP_1)
	v_mul_f64_e32 v[6:7], v[6:7], v[6:7]
	v_fmac_f64_e32 v[6:7], v[14:15], v[14:15]
	s_delay_alu instid0(VALU_DEP_1)
	v_ldexp_f64 v[46:47], v[6:7], -4
.LBB191_292:                            ;   in Loop: Header=BB191_145 Depth=1
	s_or_b32 exec_lo, exec_lo, s5
	s_delay_alu instid0(VALU_DEP_1) | instskip(NEXT) | instid1(VALU_DEP_1)
	v_frexp_mant_f64_e32 v[6:7], v[46:47]
	v_cmp_gt_f64_e32 vcc_lo, s[28:29], v[6:7]
	v_cndmask_b32_e64 v4, 0, 1, vcc_lo
	s_delay_alu instid0(VALU_DEP_1) | instskip(SKIP_1) | instid1(VALU_DEP_2)
	v_ldexp_f64 v[6:7], v[6:7], v4
	v_frexp_exp_i32_f64_e32 v4, v[46:47]
	v_add_f64_e32 v[14:15], 1.0, v[6:7]
	v_add_f64_e32 v[50:51], -1.0, v[6:7]
	s_delay_alu instid0(VALU_DEP_3) | instskip(SKIP_1) | instid1(VALU_DEP_4)
	v_subrev_co_ci_u32_e64 v4, null, 0, v4, vcc_lo
	v_cmp_class_f64_e64 vcc_lo, v[46:47], 0x204
	v_rcp_f64_e32 v[44:45], v[14:15]
	v_add_f64_e32 v[52:53], -1.0, v[14:15]
	s_delay_alu instid0(VALU_DEP_1) | instskip(NEXT) | instid1(TRANS32_DEP_1)
	v_add_f64_e64 v[6:7], v[6:7], -v[52:53]
	v_fma_f64 v[48:49], -v[14:15], v[44:45], 1.0
	s_delay_alu instid0(VALU_DEP_1) | instskip(NEXT) | instid1(VALU_DEP_1)
	v_fmac_f64_e32 v[44:45], v[48:49], v[44:45]
	v_fma_f64 v[48:49], -v[14:15], v[44:45], 1.0
	s_delay_alu instid0(VALU_DEP_1) | instskip(NEXT) | instid1(VALU_DEP_1)
	v_fmac_f64_e32 v[44:45], v[48:49], v[44:45]
	v_mul_f64_e32 v[48:49], v[50:51], v[44:45]
	s_delay_alu instid0(VALU_DEP_1) | instskip(NEXT) | instid1(VALU_DEP_1)
	v_mul_f64_e32 v[54:55], v[14:15], v[48:49]
	v_fma_f64 v[14:15], v[48:49], v[14:15], -v[54:55]
	s_delay_alu instid0(VALU_DEP_1) | instskip(NEXT) | instid1(VALU_DEP_1)
	v_fmac_f64_e32 v[14:15], v[48:49], v[6:7]
	v_add_f64_e32 v[6:7], v[54:55], v[14:15]
	s_delay_alu instid0(VALU_DEP_1) | instskip(SKIP_1) | instid1(VALU_DEP_2)
	v_add_f64_e64 v[52:53], v[50:51], -v[6:7]
	v_add_f64_e64 v[54:55], v[6:7], -v[54:55]
	;; [unrolled: 1-line block ×3, first 2 shown]
	s_delay_alu instid0(VALU_DEP_2) | instskip(NEXT) | instid1(VALU_DEP_2)
	v_add_f64_e64 v[14:15], v[54:55], -v[14:15]
	v_add_f64_e64 v[6:7], v[50:51], -v[6:7]
	s_delay_alu instid0(VALU_DEP_1) | instskip(NEXT) | instid1(VALU_DEP_1)
	v_add_f64_e32 v[6:7], v[14:15], v[6:7]
	v_add_f64_e32 v[6:7], v[52:53], v[6:7]
	s_delay_alu instid0(VALU_DEP_1) | instskip(NEXT) | instid1(VALU_DEP_1)
	v_mul_f64_e32 v[6:7], v[44:45], v[6:7]
	v_add_f64_e32 v[14:15], v[48:49], v[6:7]
	s_delay_alu instid0(VALU_DEP_1) | instskip(NEXT) | instid1(VALU_DEP_1)
	v_mul_f64_e32 v[44:45], v[14:15], v[14:15]
	v_fmamk_f64 v[50:51], v[44:45], 0x3fc3ab76bf559e2b, v[24:25]
	v_mul_f64_e32 v[52:53], v[14:15], v[44:45]
	s_delay_alu instid0(VALU_DEP_2) | instskip(NEXT) | instid1(VALU_DEP_1)
	v_fmaak_f64 v[50:51], v[44:45], v[50:51], 0x3fc7474dd7f4df2e
	v_fmaak_f64 v[50:51], v[44:45], v[50:51], 0x3fcc71c016291751
	s_delay_alu instid0(VALU_DEP_1) | instskip(NEXT) | instid1(VALU_DEP_1)
	v_fmaak_f64 v[50:51], v[44:45], v[50:51], 0x3fd249249b27acf1
	v_fmaak_f64 v[50:51], v[44:45], v[50:51], 0x3fd99999998ef7b6
	s_delay_alu instid0(VALU_DEP_1) | instskip(SKIP_2) | instid1(VALU_DEP_3)
	v_fmaak_f64 v[44:45], v[44:45], v[50:51], 0x3fe5555555555780
	v_ldexp_f64 v[50:51], v[14:15], 1
	v_add_f64_e64 v[14:15], v[14:15], -v[48:49]
	v_mul_f64_e32 v[44:45], v[52:53], v[44:45]
	v_cvt_f64_i32_e32 v[52:53], v4
	s_delay_alu instid0(VALU_DEP_3) | instskip(NEXT) | instid1(VALU_DEP_3)
	v_add_f64_e64 v[6:7], v[6:7], -v[14:15]
	v_add_f64_e32 v[48:49], v[50:51], v[44:45]
	s_delay_alu instid0(VALU_DEP_3) | instskip(NEXT) | instid1(VALU_DEP_3)
	v_mul_f64_e32 v[54:55], 0x3fe62e42fefa39ef, v[52:53]
	v_ldexp_f64 v[6:7], v[6:7], 1
	s_delay_alu instid0(VALU_DEP_3) | instskip(NEXT) | instid1(VALU_DEP_3)
	v_add_f64_e64 v[14:15], v[48:49], -v[50:51]
	v_fma_f64 v[50:51], v[52:53], s[30:31], -v[54:55]
	s_delay_alu instid0(VALU_DEP_2) | instskip(NEXT) | instid1(VALU_DEP_2)
	v_add_f64_e64 v[14:15], v[44:45], -v[14:15]
	v_fmac_f64_e32 v[50:51], 0x3c7abc9e3b39803f, v[52:53]
	s_delay_alu instid0(VALU_DEP_2) | instskip(NEXT) | instid1(VALU_DEP_2)
	v_add_f64_e32 v[6:7], v[6:7], v[14:15]
	v_add_f64_e32 v[14:15], v[54:55], v[50:51]
	s_delay_alu instid0(VALU_DEP_2) | instskip(NEXT) | instid1(VALU_DEP_2)
	v_add_f64_e32 v[44:45], v[48:49], v[6:7]
	v_add_f64_e64 v[54:55], v[14:15], -v[54:55]
	s_delay_alu instid0(VALU_DEP_2) | instskip(SKIP_1) | instid1(VALU_DEP_3)
	v_add_f64_e32 v[52:53], v[14:15], v[44:45]
	v_add_f64_e64 v[48:49], v[44:45], -v[48:49]
	v_add_f64_e64 v[50:51], v[50:51], -v[54:55]
	s_delay_alu instid0(VALU_DEP_3) | instskip(NEXT) | instid1(VALU_DEP_3)
	v_add_f64_e64 v[56:57], v[52:53], -v[14:15]
	v_add_f64_e64 v[6:7], v[6:7], -v[48:49]
	s_delay_alu instid0(VALU_DEP_2) | instskip(SKIP_1) | instid1(VALU_DEP_3)
	v_add_f64_e64 v[58:59], v[52:53], -v[56:57]
	v_add_f64_e64 v[44:45], v[44:45], -v[56:57]
	v_add_f64_e32 v[48:49], v[50:51], v[6:7]
	s_delay_alu instid0(VALU_DEP_3) | instskip(NEXT) | instid1(VALU_DEP_1)
	v_add_f64_e64 v[14:15], v[14:15], -v[58:59]
	v_add_f64_e32 v[14:15], v[44:45], v[14:15]
	s_delay_alu instid0(VALU_DEP_3) | instskip(NEXT) | instid1(VALU_DEP_2)
	v_add_f64_e64 v[44:45], v[48:49], -v[50:51]
	v_add_f64_e32 v[14:15], v[48:49], v[14:15]
	s_delay_alu instid0(VALU_DEP_2) | instskip(SKIP_1) | instid1(VALU_DEP_3)
	v_add_f64_e64 v[48:49], v[48:49], -v[44:45]
	v_add_f64_e64 v[6:7], v[6:7], -v[44:45]
	v_add_f64_e32 v[54:55], v[52:53], v[14:15]
	s_delay_alu instid0(VALU_DEP_3) | instskip(NEXT) | instid1(VALU_DEP_2)
	v_add_f64_e64 v[44:45], v[50:51], -v[48:49]
	v_add_f64_e64 v[48:49], v[54:55], -v[52:53]
	s_delay_alu instid0(VALU_DEP_2) | instskip(SKIP_1) | instid1(VALU_DEP_3)
	v_add_f64_e32 v[6:7], v[6:7], v[44:45]
	v_mov_b64_e32 v[44:45], 0x7ff8000000000000
	v_add_f64_e64 v[14:15], v[14:15], -v[48:49]
	s_delay_alu instid0(VALU_DEP_1) | instskip(NEXT) | instid1(VALU_DEP_1)
	v_add_f64_e32 v[6:7], v[6:7], v[14:15]
	v_add_f64_e32 v[6:7], v[54:55], v[6:7]
	s_delay_alu instid0(VALU_DEP_1) | instskip(SKIP_1) | instid1(VALU_DEP_2)
	v_dual_cndmask_b32 v4, v6, v46, vcc_lo :: v_dual_cndmask_b32 v6, v7, v47, vcc_lo
	v_cmp_ngt_f64_e32 vcc_lo, 0, v[46:47]
	v_cndmask_b32_e32 v6, 0x7ff80000, v6, vcc_lo
	v_cmp_nge_f64_e32 vcc_lo, 0, v[46:47]
	s_delay_alu instid0(VALU_DEP_4) | instskip(SKIP_1) | instid1(VALU_DEP_4)
	v_cndmask_b32_e32 v14, 0, v4, vcc_lo
	v_cmp_neq_f64_e32 vcc_lo, 0, v[46:47]
	v_cndmask_b32_e32 v15, 0xfff00000, v6, vcc_lo
	s_or_b32 exec_lo, exec_lo, s4
	s_and_saveexec_b32 s4, s1
	s_delay_alu instid0(SALU_CYCLE_1)
	s_xor_b32 s1, exec_lo, s4
	s_cbranch_execz .LBB191_258
.LBB191_293:                            ;   in Loop: Header=BB191_145 Depth=1
	v_bfi_b32 v39, 0x7fffffff, v39, v13
	s_delay_alu instid0(VALU_DEP_1) | instskip(SKIP_1) | instid1(VALU_DEP_2)
	v_fma_f64 v[6:7], 0, v[38:39], v[36:37]
	v_fmac_f64_e32 v[38:39], 0x80000000, v[36:37]
	v_mul_f64_e32 v[36:37], 0x3ff71547652b82fe, v[6:7]
	s_delay_alu instid0(VALU_DEP_2)
	v_mul_f64_e32 v[38:39], 0x3ff71547652b82fe, v[38:39]
	v_lshl_add_u64 v[6:7], v[28:29], 4, s[18:19]
	global_store_b128 v[6:7], v[36:39], off
	s_wait_xcnt 0x0
	s_or_b32 exec_lo, exec_lo, s1
	s_and_saveexec_b32 s1, s0
	s_cbranch_execz .LBB191_259
.LBB191_294:                            ;   in Loop: Header=BB191_145 Depth=1
	v_bfi_b32 v41, 0x7fffffff, v41, v5
	s_delay_alu instid0(VALU_DEP_1) | instskip(SKIP_2) | instid1(VALU_DEP_3)
	v_fma_f64 v[4:5], 0, v[40:41], v[10:11]
	v_fmac_f64_e32 v[40:41], 0x80000000, v[10:11]
	v_lshl_add_u64 v[10:11], v[30:31], 4, s[18:19]
	v_mul_f64_e32 v[4:5], 0x3ff71547652b82fe, v[4:5]
	s_delay_alu instid0(VALU_DEP_3)
	v_mul_f64_e32 v[6:7], 0x3ff71547652b82fe, v[40:41]
	global_store_b128 v[10:11], v[4:7], off
	s_wait_xcnt 0x0
	s_or_b32 exec_lo, exec_lo, s1
	s_and_saveexec_b32 s0, s2
	s_cbranch_execz .LBB191_260
.LBB191_295:                            ;   in Loop: Header=BB191_145 Depth=1
	v_bfi_b32 v43, 0x7fffffff, v43, v17
	v_lshl_add_u64 v[6:7], v[32:33], 4, s[18:19]
	s_delay_alu instid0(VALU_DEP_2) | instskip(SKIP_1) | instid1(VALU_DEP_2)
	v_fma_f64 v[4:5], 0, v[42:43], v[2:3]
	v_fmac_f64_e32 v[42:43], 0x80000000, v[2:3]
	v_mul_f64_e32 v[2:3], 0x3ff71547652b82fe, v[4:5]
	s_delay_alu instid0(VALU_DEP_2)
	v_mul_f64_e32 v[4:5], 0x3ff71547652b82fe, v[42:43]
	global_store_b128 v[6:7], v[2:5], off
	s_wait_xcnt 0x0
	s_or_b32 exec_lo, exec_lo, s0
	s_and_saveexec_b32 s0, s3
	s_cbranch_execz .LBB191_144
.LBB191_296:                            ;   in Loop: Header=BB191_145 Depth=1
	v_bfi_b32 v45, 0x7fffffff, v45, v9
	v_lshl_add_u64 v[6:7], v[34:35], 4, s[18:19]
	s_delay_alu instid0(VALU_DEP_2) | instskip(SKIP_1) | instid1(VALU_DEP_2)
	v_fma_f64 v[2:3], 0, v[44:45], v[14:15]
	v_fmac_f64_e32 v[44:45], 0x80000000, v[14:15]
	v_mul_f64_e32 v[2:3], 0x3ff71547652b82fe, v[2:3]
	s_delay_alu instid0(VALU_DEP_2)
	v_mul_f64_e32 v[4:5], 0x3ff71547652b82fe, v[44:45]
	global_store_b128 v[6:7], v[2:5], off
	s_branch .LBB191_144
.LBB191_297:
	s_sendmsg sendmsg(MSG_DEALLOC_VGPRS)
	s_endpgm
	.section	.rodata,"a",@progbits
	.p2align	6, 0x0
	.amdhsa_kernel _ZN2at6native12_GLOBAL__N_125multi_tensor_apply_kernelINS1_18TensorListMetadataILi2EEENS1_14UnaryOpFunctorIN3c107complexIdEELi2ELi1ELi1EEEJNS0_4Log2IS8_EEEEEvT_T0_DpT1_
		.amdhsa_group_segment_fixed_size 0
		.amdhsa_private_segment_fixed_size 0
		.amdhsa_kernarg_size 3408
		.amdhsa_user_sgpr_count 2
		.amdhsa_user_sgpr_dispatch_ptr 0
		.amdhsa_user_sgpr_queue_ptr 0
		.amdhsa_user_sgpr_kernarg_segment_ptr 1
		.amdhsa_user_sgpr_dispatch_id 0
		.amdhsa_user_sgpr_kernarg_preload_length 0
		.amdhsa_user_sgpr_kernarg_preload_offset 0
		.amdhsa_user_sgpr_private_segment_size 0
		.amdhsa_wavefront_size32 1
		.amdhsa_uses_dynamic_stack 0
		.amdhsa_enable_private_segment 0
		.amdhsa_system_sgpr_workgroup_id_x 1
		.amdhsa_system_sgpr_workgroup_id_y 0
		.amdhsa_system_sgpr_workgroup_id_z 0
		.amdhsa_system_sgpr_workgroup_info 0
		.amdhsa_system_vgpr_workitem_id 0
		.amdhsa_next_free_vgpr 88
		.amdhsa_next_free_sgpr 57
		.amdhsa_named_barrier_count 0
		.amdhsa_reserve_vcc 1
		.amdhsa_float_round_mode_32 0
		.amdhsa_float_round_mode_16_64 0
		.amdhsa_float_denorm_mode_32 3
		.amdhsa_float_denorm_mode_16_64 3
		.amdhsa_fp16_overflow 0
		.amdhsa_memory_ordered 1
		.amdhsa_forward_progress 1
		.amdhsa_inst_pref_size 255
		.amdhsa_round_robin_scheduling 0
		.amdhsa_exception_fp_ieee_invalid_op 0
		.amdhsa_exception_fp_denorm_src 0
		.amdhsa_exception_fp_ieee_div_zero 0
		.amdhsa_exception_fp_ieee_overflow 0
		.amdhsa_exception_fp_ieee_underflow 0
		.amdhsa_exception_fp_ieee_inexact 0
		.amdhsa_exception_int_div_zero 0
	.end_amdhsa_kernel
	.section	.text._ZN2at6native12_GLOBAL__N_125multi_tensor_apply_kernelINS1_18TensorListMetadataILi2EEENS1_14UnaryOpFunctorIN3c107complexIdEELi2ELi1ELi1EEEJNS0_4Log2IS8_EEEEEvT_T0_DpT1_,"axG",@progbits,_ZN2at6native12_GLOBAL__N_125multi_tensor_apply_kernelINS1_18TensorListMetadataILi2EEENS1_14UnaryOpFunctorIN3c107complexIdEELi2ELi1ELi1EEEJNS0_4Log2IS8_EEEEEvT_T0_DpT1_,comdat
.Lfunc_end191:
	.size	_ZN2at6native12_GLOBAL__N_125multi_tensor_apply_kernelINS1_18TensorListMetadataILi2EEENS1_14UnaryOpFunctorIN3c107complexIdEELi2ELi1ELi1EEEJNS0_4Log2IS8_EEEEEvT_T0_DpT1_, .Lfunc_end191-_ZN2at6native12_GLOBAL__N_125multi_tensor_apply_kernelINS1_18TensorListMetadataILi2EEENS1_14UnaryOpFunctorIN3c107complexIdEELi2ELi1ELi1EEEJNS0_4Log2IS8_EEEEEvT_T0_DpT1_
                                        ; -- End function
	.set _ZN2at6native12_GLOBAL__N_125multi_tensor_apply_kernelINS1_18TensorListMetadataILi2EEENS1_14UnaryOpFunctorIN3c107complexIdEELi2ELi1ELi1EEEJNS0_4Log2IS8_EEEEEvT_T0_DpT1_.num_vgpr, 88
	.set _ZN2at6native12_GLOBAL__N_125multi_tensor_apply_kernelINS1_18TensorListMetadataILi2EEENS1_14UnaryOpFunctorIN3c107complexIdEELi2ELi1ELi1EEEJNS0_4Log2IS8_EEEEEvT_T0_DpT1_.num_agpr, 0
	.set _ZN2at6native12_GLOBAL__N_125multi_tensor_apply_kernelINS1_18TensorListMetadataILi2EEENS1_14UnaryOpFunctorIN3c107complexIdEELi2ELi1ELi1EEEJNS0_4Log2IS8_EEEEEvT_T0_DpT1_.numbered_sgpr, 57
	.set _ZN2at6native12_GLOBAL__N_125multi_tensor_apply_kernelINS1_18TensorListMetadataILi2EEENS1_14UnaryOpFunctorIN3c107complexIdEELi2ELi1ELi1EEEJNS0_4Log2IS8_EEEEEvT_T0_DpT1_.num_named_barrier, 0
	.set _ZN2at6native12_GLOBAL__N_125multi_tensor_apply_kernelINS1_18TensorListMetadataILi2EEENS1_14UnaryOpFunctorIN3c107complexIdEELi2ELi1ELi1EEEJNS0_4Log2IS8_EEEEEvT_T0_DpT1_.private_seg_size, 0
	.set _ZN2at6native12_GLOBAL__N_125multi_tensor_apply_kernelINS1_18TensorListMetadataILi2EEENS1_14UnaryOpFunctorIN3c107complexIdEELi2ELi1ELi1EEEJNS0_4Log2IS8_EEEEEvT_T0_DpT1_.uses_vcc, 1
	.set _ZN2at6native12_GLOBAL__N_125multi_tensor_apply_kernelINS1_18TensorListMetadataILi2EEENS1_14UnaryOpFunctorIN3c107complexIdEELi2ELi1ELi1EEEJNS0_4Log2IS8_EEEEEvT_T0_DpT1_.uses_flat_scratch, 0
	.set _ZN2at6native12_GLOBAL__N_125multi_tensor_apply_kernelINS1_18TensorListMetadataILi2EEENS1_14UnaryOpFunctorIN3c107complexIdEELi2ELi1ELi1EEEJNS0_4Log2IS8_EEEEEvT_T0_DpT1_.has_dyn_sized_stack, 0
	.set _ZN2at6native12_GLOBAL__N_125multi_tensor_apply_kernelINS1_18TensorListMetadataILi2EEENS1_14UnaryOpFunctorIN3c107complexIdEELi2ELi1ELi1EEEJNS0_4Log2IS8_EEEEEvT_T0_DpT1_.has_recursion, 0
	.set _ZN2at6native12_GLOBAL__N_125multi_tensor_apply_kernelINS1_18TensorListMetadataILi2EEENS1_14UnaryOpFunctorIN3c107complexIdEELi2ELi1ELi1EEEJNS0_4Log2IS8_EEEEEvT_T0_DpT1_.has_indirect_call, 0
	.section	.AMDGPU.csdata,"",@progbits
; Kernel info:
; codeLenInByte = 90576
; TotalNumSgprs: 59
; NumVgprs: 88
; ScratchSize: 0
; MemoryBound: 1
; FloatMode: 240
; IeeeMode: 1
; LDSByteSize: 0 bytes/workgroup (compile time only)
; SGPRBlocks: 0
; VGPRBlocks: 5
; NumSGPRsForWavesPerEU: 59
; NumVGPRsForWavesPerEU: 88
; NamedBarCnt: 0
; Occupancy: 10
; WaveLimiterHint : 0
; COMPUTE_PGM_RSRC2:SCRATCH_EN: 0
; COMPUTE_PGM_RSRC2:USER_SGPR: 2
; COMPUTE_PGM_RSRC2:TRAP_HANDLER: 0
; COMPUTE_PGM_RSRC2:TGID_X_EN: 1
; COMPUTE_PGM_RSRC2:TGID_Y_EN: 0
; COMPUTE_PGM_RSRC2:TGID_Z_EN: 0
; COMPUTE_PGM_RSRC2:TIDIG_COMP_CNT: 0
	.section	.text._ZN2at6native12_GLOBAL__N_125multi_tensor_apply_kernelINS1_18TensorListMetadataILi2EEENS1_14UnaryOpFunctorIN3c107complexIfEELi2ELi1ELi1EEEJNS0_4Log2IS8_EEEEEvT_T0_DpT1_,"axG",@progbits,_ZN2at6native12_GLOBAL__N_125multi_tensor_apply_kernelINS1_18TensorListMetadataILi2EEENS1_14UnaryOpFunctorIN3c107complexIfEELi2ELi1ELi1EEEJNS0_4Log2IS8_EEEEEvT_T0_DpT1_,comdat
	.globl	_ZN2at6native12_GLOBAL__N_125multi_tensor_apply_kernelINS1_18TensorListMetadataILi2EEENS1_14UnaryOpFunctorIN3c107complexIfEELi2ELi1ELi1EEEJNS0_4Log2IS8_EEEEEvT_T0_DpT1_ ; -- Begin function _ZN2at6native12_GLOBAL__N_125multi_tensor_apply_kernelINS1_18TensorListMetadataILi2EEENS1_14UnaryOpFunctorIN3c107complexIfEELi2ELi1ELi1EEEJNS0_4Log2IS8_EEEEEvT_T0_DpT1_
	.p2align	8
	.type	_ZN2at6native12_GLOBAL__N_125multi_tensor_apply_kernelINS1_18TensorListMetadataILi2EEENS1_14UnaryOpFunctorIN3c107complexIfEELi2ELi1ELi1EEEJNS0_4Log2IS8_EEEEEvT_T0_DpT1_,@function
_ZN2at6native12_GLOBAL__N_125multi_tensor_apply_kernelINS1_18TensorListMetadataILi2EEENS1_14UnaryOpFunctorIN3c107complexIfEELi2ELi1ELi1EEEJNS0_4Log2IS8_EEEEEvT_T0_DpT1_: ; @_ZN2at6native12_GLOBAL__N_125multi_tensor_apply_kernelINS1_18TensorListMetadataILi2EEENS1_14UnaryOpFunctorIN3c107complexIfEELi2ELi1ELi1EEEJNS0_4Log2IS8_EEEEEvT_T0_DpT1_
; %bb.0:
	s_bfe_u32 s2, ttmp6, 0x4000c
	s_and_b32 s3, ttmp6, 15
	s_add_co_i32 s2, s2, 1
	s_getreg_b32 s4, hwreg(HW_REG_IB_STS2, 6, 4)
	s_mul_i32 s2, ttmp9, s2
	s_delay_alu instid0(SALU_CYCLE_1)
	s_add_co_i32 s3, s3, s2
	s_cmp_eq_u32 s4, 0
	s_cselect_b32 s2, ttmp9, s3
	s_mov_b32 s3, 0
	s_load_u8 s12, s[0:1], s2 offset:0x600
	s_add_nc_u64 s[4:5], s[0:1], s[2:3]
	s_mul_u64 s[6:7], s[2:3], 3
	s_delay_alu instid0(SALU_CYCLE_1)
	s_add_nc_u64 s[4:5], s[4:5], s[6:7]
	s_load_b32 s6, s[4:5], 0x740
	s_wait_kmcnt 0x0
	s_clause 0x2
	s_load_b64 s[8:9], s[0:1], s12 offset:0x0 scale_offset
	s_load_b64 s[10:11], s[0:1], s12 offset:0x200 scale_offset
	s_load_b64 s[16:17], s[0:1], s12 offset:0x400 scale_offset
	s_ashr_i32 s7, s6, 31
	s_delay_alu instid0(SALU_CYCLE_1)
	s_lshl_b64 s[4:5], s[6:7], 19
	s_lshl_b64 s[6:7], s[6:7], 16
	s_wait_kmcnt 0x0
	s_add_nc_u64 s[14:15], s[10:11], s[4:5]
	s_add_nc_u64 s[12:13], s[8:9], s[4:5]
	s_and_b32 s4, s16, 3
	s_and_b64 s[8:9], s[14:15], 31
	s_mov_b32 s5, s3
	s_and_b32 s2, s12, 31
	s_or_b64 s[4:5], s[8:9], s[4:5]
	s_sub_nc_u64 s[10:11], s[16:17], s[6:7]
	s_or_b64 s[2:3], s[4:5], s[2:3]
	s_delay_alu instid0(SALU_CYCLE_1)
	s_cmp_eq_u64 s[2:3], 0
	s_mov_b32 s2, -1
	s_cbranch_scc0 .LBB192_141
; %bb.1:
	v_min_i64 v[10:11], 0x10000, s[10:11]
	v_dual_mov_b32 v3, 0 :: v_dual_lshlrev_b32 v2, 2, v0
	s_mov_b32 s19, exec_lo
	s_delay_alu instid0(VALU_DEP_1)
	v_cmpx_lt_i64_e64 v[2:3], v[10:11]
	s_cbranch_execz .LBB192_140
; %bb.2:
	s_load_b32 s2, s[0:1], 0xc5c
	v_dual_mov_b32 v1, v3 :: v_dual_mov_b32 v14, 0x3f317218
	v_mov_b64_e32 v[12:13], 0x3f800000bf800000
	v_mov_b32_e32 v32, 0x4016cbe4
	s_mov_b32 s17, 0
	s_delay_alu instid0(VALU_DEP_3)
	v_mov_b64_e32 v[16:17], v[0:1]
	s_mov_b32 s20, 0x3e9b6dac
	s_mov_b32 s21, 0x3b2d2a58
	;; [unrolled: 1-line block ×4, first 2 shown]
	s_wait_kmcnt 0x0
	s_and_b32 s16, s2, 0xffff
	s_branch .LBB192_5
.LBB192_3:                              ;   in Loop: Header=BB192_5 Depth=1
	s_or_b32 exec_lo, exec_lo, s3
	s_delay_alu instid0(VALU_DEP_1) | instskip(SKIP_2) | instid1(VALU_DEP_2)
	v_cmp_gt_f32_e32 vcc_lo, 0x800000, v2
	v_cndmask_b32_e64 v4, 0, 32, vcc_lo
	v_cndmask_b32_e64 v15, 0, 0x41b17218, vcc_lo
	v_ldexp_f32 v2, v2, v4
	s_delay_alu instid0(VALU_DEP_1) | instskip(SKIP_1) | instid1(TRANS32_DEP_1)
	v_log_f32_e32 v2, v2
	v_nop
	v_mul_f32_e32 v4, 0x3f317217, v2
	v_cmp_gt_f32_e64 vcc_lo, 0x7f800000, |v2|
	s_delay_alu instid0(VALU_DEP_2) | instskip(NEXT) | instid1(VALU_DEP_1)
	v_fma_f32 v4, 0x3f317217, v2, -v4
	v_fmac_f32_e32 v4, 0x3377d1cf, v2
	s_delay_alu instid0(VALU_DEP_1) | instskip(NEXT) | instid1(VALU_DEP_1)
	v_fmac_f32_e32 v4, 0x3f317217, v2
	v_cndmask_b32_e32 v2, v2, v4, vcc_lo
	s_delay_alu instid0(VALU_DEP_1)
	v_dual_sub_f32 v27, v2, v15 :: v_dual_mov_b32 v2, 0x7fc00000
.LBB192_4:                              ;   in Loop: Header=BB192_5 Depth=1
	s_or_b32 exec_lo, exec_lo, s2
	v_bfi_b32 v24, 0x7fffffff, v8, v3
	v_dual_mov_b32 v8, v25 :: v_dual_mov_b32 v4, v23
	v_bfi_b32 v22, 0x7fffffff, v6, v9
	v_bfi_b32 v20, 0x7fffffff, v1, v7
	s_delay_alu instid0(VALU_DEP_4) | instskip(SKIP_1) | instid1(VALU_DEP_4)
	v_dual_mov_b32 v9, v24 :: v_dual_mov_b32 v6, v21
	v_bfi_b32 v26, 0x7fffffff, v2, v5
	v_dual_mov_b32 v28, v27 :: v_dual_mov_b32 v5, v22
	s_delay_alu instid0(VALU_DEP_3) | instskip(SKIP_1) | instid1(VALU_DEP_4)
	v_pk_fma_f32 v[2:3], v[24:25], 0, v[8:9] op_sel_hi:[1,0,1] neg_lo:[1,0,0] neg_hi:[1,0,0]
	v_add_nc_u64_e32 v[16:17], s[16:17], v[16:17]
	v_dual_mov_b32 v7, v20 :: v_dual_mov_b32 v29, v26
	v_pk_fma_f32 v[8:9], v[24:25], 0, v[8:9] op_sel_hi:[1,0,1]
	v_pk_fma_f32 v[30:31], v[22:23], 0, v[4:5] op_sel_hi:[1,0,1] neg_lo:[1,0,0] neg_hi:[1,0,0]
	v_mov_b32_e32 v9, v3
	v_pk_fma_f32 v[4:5], v[22:23], 0, v[4:5] op_sel_hi:[1,0,1]
	v_lshlrev_b64_e32 v[24:25], 2, v[16:17]
	v_pk_fma_f32 v[22:23], v[20:21], 0, v[6:7] op_sel_hi:[1,0,1] neg_lo:[1,0,0] neg_hi:[1,0,0]
	v_mov_b32_e32 v5, v31
	v_pk_mul_f32 v[2:3], v[8:9], s[18:19] op_sel_hi:[1,0]
	v_pk_fma_f32 v[8:9], v[26:27], 0, v[28:29] op_sel_hi:[1,0,1] neg_lo:[1,0,0] neg_hi:[1,0,0]
	v_pk_fma_f32 v[6:7], v[20:21], 0, v[6:7] op_sel_hi:[1,0,1]
	v_mov_b32_e32 v7, v23
	v_pk_fma_f32 v[20:21], v[26:27], 0, v[28:29] op_sel_hi:[1,0,1]
	v_cmp_ge_i64_e32 vcc_lo, v[24:25], v[10:11]
	v_mov_b32_e32 v21, v9
	v_add_nc_u64_e32 v[18:19], s[14:15], v[18:19]
	v_pk_mul_f32 v[8:9], v[4:5], s[18:19] op_sel_hi:[1,0]
	v_pk_mul_f32 v[6:7], v[6:7], s[18:19] op_sel_hi:[1,0]
	s_delay_alu instid0(VALU_DEP_4)
	v_pk_mul_f32 v[4:5], v[20:21], s[18:19] op_sel_hi:[1,0]
	s_or_b32 s22, vcc_lo, s22
	s_clause 0x1
	global_store_b128 v[18:19], v[6:9], off
	global_store_b128 v[18:19], v[2:5], off offset:16
	s_wait_xcnt 0x0
	s_and_not1_b32 exec_lo, exec_lo, s22
	s_cbranch_execz .LBB192_140
.LBB192_5:                              ; =>This Loop Header: Depth=1
                                        ;     Child Loop BB192_16 Depth 2
                                        ;     Child Loop BB192_50 Depth 2
	;; [unrolled: 1-line block ×4, first 2 shown]
	v_lshlrev_b64_e32 v[18:19], 5, v[16:17]
                                        ; implicit-def: $vgpr1
	s_mov_b32 s2, exec_lo
	s_delay_alu instid0(VALU_DEP_1)
	v_add_nc_u64_e32 v[20:21], s[12:13], v[18:19]
	s_clause 0x1
	global_load_b128 v[6:9], v[20:21], off
	global_load_b128 v[2:5], v[20:21], off offset:16
                                        ; implicit-def: $vgpr21
	s_wait_loadcnt 0x1
	s_wait_xcnt 0x0
	v_cmpx_o_f32_e32 v7, v6
	s_xor_b32 s23, exec_lo, s2
	s_cbranch_execz .LBB192_33
; %bb.6:                                ;   in Loop: Header=BB192_5 Depth=1
	v_cmp_lt_f32_e64 s2, |v6|, |v7|
                                        ; implicit-def: $vgpr21
                                        ; implicit-def: $vgpr1
	s_mov_b32 s4, exec_lo
	v_cndmask_b32_e64 v15, v7, v6, s2
	s_delay_alu instid0(VALU_DEP_1)
	v_cmpx_nlt_f32_e64 0x77f684df, |v15|
	s_xor_b32 s24, exec_lo, s4
	s_cbranch_execz .LBB192_30
; %bb.7:                                ;   in Loop: Header=BB192_5 Depth=1
	v_cndmask_b32_e64 v1, v6, v7, s2
	v_and_b32_e32 v22, 0x7fffffff, v15
                                        ; implicit-def: $vgpr21
	s_mov_b32 s3, exec_lo
	s_delay_alu instid0(VALU_DEP_2) | instskip(NEXT) | instid1(VALU_DEP_1)
	v_and_b32_e32 v23, 0x7fffffff, v1
                                        ; implicit-def: $vgpr1
	v_cmpx_neq_f32_e32 1.0, v23
	s_xor_b32 s25, exec_lo, s3
	s_cbranch_execz .LBB192_23
; %bb.8:                                ;   in Loop: Header=BB192_5 Depth=1
	v_dual_max_num_f32 v1, v22, v22 :: v_dual_max_num_f32 v15, v23, v23
                                        ; implicit-def: $vgpr21
	s_delay_alu instid0(VALU_DEP_1) | instskip(NEXT) | instid1(VALU_DEP_1)
	v_dual_min_num_f32 v20, v15, v1 :: v_dual_max_num_f32 v1, v15, v1
	v_cmp_ngt_f32_e32 vcc_lo, 0x358637bd, v20
	s_delay_alu instid0(VALU_DEP_2) | instskip(SKIP_1) | instid1(SALU_CYCLE_1)
	v_cmp_nlt_f32_e64 s3, 0x49742400, v1
                                        ; implicit-def: $vgpr1
	s_and_b32 s3, s3, vcc_lo
	s_and_saveexec_b32 s4, s3
	s_delay_alu instid0(SALU_CYCLE_1)
	s_xor_b32 s26, exec_lo, s4
	s_cbranch_execz .LBB192_20
; %bb.9:                                ;   in Loop: Header=BB192_5 Depth=1
                                        ; implicit-def: $vgpr21
                                        ; implicit-def: $vgpr1
	s_mov_b32 s3, exec_lo
	v_cmpx_le_f32_e32 1.0, v23
	s_xor_b32 s4, exec_lo, s3
	s_cbranch_execz .LBB192_11
; %bb.10:                               ;   in Loop: Header=BB192_5 Depth=1
	v_pk_add_f32 v[20:21], v[22:23], v[12:13] op_sel:[1,0]
	v_mov_b32_e32 v24, v22
	v_cmp_class_f32_e64 s5, v6, 0x204
	s_delay_alu instid0(VALU_DEP_3) | instskip(SKIP_1) | instid1(VALU_DEP_1)
	v_dual_mov_b32 v23, v20 :: v_dual_mov_b32 v25, v21
	v_mul_f32_e32 v20, v20, v21
	v_pk_fma_f32 v[20:21], v[22:23], v[24:25], v[20:21] op_sel_hi:[1,1,0]
	s_delay_alu instid0(VALU_DEP_1) | instskip(SKIP_1) | instid1(VALU_DEP_2)
	v_add_f32_e32 v23, 1.0, v20
	v_cmp_neq_f32_e64 s3, -1.0, v20
	v_add_f32_e32 v21, -1.0, v23
	s_delay_alu instid0(VALU_DEP_1) | instskip(SKIP_2) | instid1(VALU_DEP_1)
	v_mov_b32_e32 v22, v21
	v_cvt_f64_f32_e32 v[24:25], v23
	v_frexp_mant_f32_e32 v15, v23
	v_cmp_gt_f32_e32 vcc_lo, 0x3f2aaaab, v15
	s_delay_alu instid0(VALU_DEP_3) | instskip(NEXT) | instid1(VALU_DEP_1)
	v_frexp_exp_i32_f64_e32 v1, v[24:25]
	v_subrev_co_ci_u32_e64 v1, null, 0, v1, vcc_lo
	v_cmp_neq_f32_e32 vcc_lo, 0x7f800000, v20
	s_delay_alu instid0(VALU_DEP_2) | instskip(SKIP_1) | instid1(VALU_DEP_2)
	v_sub_nc_u32_e32 v15, 0, v1
	v_pk_add_f32 v[24:25], v[20:21], v[22:23] neg_lo:[0,1] neg_hi:[0,1]
	v_ldexp_f32 v21, v23, v15
	s_delay_alu instid0(VALU_DEP_2) | instskip(NEXT) | instid1(VALU_DEP_2)
	v_add_f32_e32 v22, 1.0, v25
	v_add_f32_e32 v25, 1.0, v21
	s_delay_alu instid0(VALU_DEP_1) | instskip(SKIP_1) | instid1(VALU_DEP_2)
	v_dual_add_f32 v23, -1.0, v25 :: v_dual_add_f32 v22, v24, v22
	v_add_f32_e32 v27, -1.0, v21
	v_ldexp_f32 v15, v22, v15
	s_delay_alu instid0(VALU_DEP_3) | instskip(NEXT) | instid1(VALU_DEP_1)
	v_sub_f32_e32 v22, v21, v23
	v_dual_add_f32 v23, 1.0, v27 :: v_dual_add_f32 v22, v15, v22
	s_delay_alu instid0(VALU_DEP_1) | instskip(NEXT) | instid1(VALU_DEP_1)
	v_add_f32_e32 v28, v25, v22
	v_dual_sub_f32 v21, v21, v23 :: v_dual_sub_f32 v25, v28, v25
	s_delay_alu instid0(VALU_DEP_1) | instskip(SKIP_1) | instid1(VALU_DEP_1)
	v_add_f32_e32 v15, v15, v21
	v_rcp_f32_e32 v21, v28
	v_add_f32_e32 v23, v27, v15
	s_delay_alu instid0(TRANS32_DEP_1) | instid1(VALU_DEP_1)
	v_mul_f32_e32 v29, v23, v21
	s_delay_alu instid0(VALU_DEP_1) | instskip(SKIP_1) | instid1(VALU_DEP_1)
	v_mul_f32_e32 v24, v28, v29
	v_dual_sub_f32 v30, v22, v25 :: v_dual_sub_f32 v31, v23, v27
	v_dual_fma_f32 v26, v29, v28, -v24 :: v_dual_sub_f32 v15, v15, v31
	s_delay_alu instid0(VALU_DEP_1) | instskip(NEXT) | instid1(VALU_DEP_1)
	v_fmac_f32_e32 v26, v29, v30
	v_add_f32_e32 v22, v24, v26
	s_delay_alu instid0(VALU_DEP_1) | instskip(NEXT) | instid1(VALU_DEP_1)
	v_dual_sub_f32 v25, v23, v22 :: v_dual_mov_b32 v27, v22
	v_pk_add_f32 v[22:23], v[22:23], v[24:25] neg_lo:[0,1] neg_hi:[0,1]
	s_delay_alu instid0(VALU_DEP_1) | instskip(NEXT) | instid1(VALU_DEP_1)
	v_pk_add_f32 v[22:23], v[22:23], v[26:27] neg_lo:[0,1] neg_hi:[0,1]
	v_add_f32_e32 v15, v15, v23
	s_delay_alu instid0(VALU_DEP_1) | instskip(NEXT) | instid1(VALU_DEP_1)
	v_add_f32_e32 v15, v22, v15
	v_add_f32_e32 v23, v25, v15
	s_delay_alu instid0(VALU_DEP_1) | instskip(NEXT) | instid1(VALU_DEP_1)
	v_mul_f32_e32 v31, v21, v23
	v_mul_f32_e32 v26, v28, v31
	s_delay_alu instid0(VALU_DEP_1) | instskip(NEXT) | instid1(VALU_DEP_1)
	v_fma_f32 v24, v31, v28, -v26
	v_dual_fmac_f32 v24, v31, v30 :: v_dual_sub_f32 v28, v25, v23
	s_delay_alu instid0(VALU_DEP_1) | instskip(NEXT) | instid1(VALU_DEP_2)
	v_add_f32_e32 v22, v26, v24
	v_dual_add_f32 v15, v15, v28 :: v_dual_add_f32 v28, v29, v31
	s_delay_alu instid0(VALU_DEP_2) | instskip(NEXT) | instid1(VALU_DEP_1)
	v_dual_sub_f32 v27, v23, v22 :: v_dual_mov_b32 v25, v22
	v_pk_add_f32 v[22:23], v[22:23], v[26:27] neg_lo:[0,1] neg_hi:[0,1]
	s_delay_alu instid0(VALU_DEP_1) | instskip(NEXT) | instid1(VALU_DEP_1)
	v_pk_add_f32 v[22:23], v[22:23], v[24:25] neg_lo:[0,1] neg_hi:[0,1]
	v_add_f32_e32 v15, v15, v23
	s_delay_alu instid0(VALU_DEP_1) | instskip(NEXT) | instid1(VALU_DEP_1)
	v_dual_add_f32 v15, v22, v15 :: v_dual_sub_f32 v22, v28, v29
	v_sub_f32_e32 v22, v31, v22
	s_delay_alu instid0(VALU_DEP_2) | instskip(NEXT) | instid1(VALU_DEP_1)
	v_add_f32_e32 v15, v27, v15
	v_mul_f32_e32 v15, v21, v15
	s_delay_alu instid0(VALU_DEP_1) | instskip(SKIP_1) | instid1(VALU_DEP_2)
	v_add_f32_e32 v21, v22, v15
	v_cvt_f32_i32_e32 v22, v1
	v_add_f32_e32 v29, v28, v21
	s_delay_alu instid0(VALU_DEP_1) | instskip(SKIP_1) | instid1(VALU_DEP_2)
	v_mul_f32_e32 v15, v29, v29
	v_ldexp_f32 v27, v29, 1
	v_dual_fmaak_f32 v24, s20, v15, 0x3ecc95a3 :: v_dual_mul_f32 v23, v29, v15
	s_delay_alu instid0(VALU_DEP_1) | instskip(NEXT) | instid1(VALU_DEP_1)
	v_fmaak_f32 v15, v15, v24, 0x3f2aaada
	v_pk_mul_f32 v[24:25], v[22:23], v[14:15]
	s_delay_alu instid0(VALU_DEP_1) | instskip(NEXT) | instid1(VALU_DEP_1)
	v_fma_f32 v26, 0x3f317218, v22, -v24
	v_fmac_f32_e32 v26, 0xb102e308, v22
	s_delay_alu instid0(VALU_DEP_1) | instskip(SKIP_1) | instid1(VALU_DEP_1)
	v_pk_add_f32 v[22:23], v[24:25], v[26:27]
	v_dual_sub_f32 v1, v29, v28 :: v_dual_mov_b32 v28, v24
	v_dual_sub_f32 v15, v23, v27 :: v_dual_sub_f32 v1, v21, v1
	s_delay_alu instid0(VALU_DEP_3) | instskip(NEXT) | instid1(VALU_DEP_2)
	v_dual_mov_b32 v27, v22 :: v_dual_mov_b32 v38, v23
	v_sub_f32_e32 v15, v25, v15
	s_delay_alu instid0(VALU_DEP_3) | instskip(SKIP_1) | instid1(VALU_DEP_2)
	v_ldexp_f32 v1, v1, 1
	v_pk_add_f32 v[24:25], v[22:23], v[24:25] neg_lo:[0,1] neg_hi:[0,1]
	v_add_f32_e32 v29, v1, v15
	v_max_num_f32_e64 v1, |v7|, |v7|
	v_max_num_f32_e64 v15, |v6|, |v6|
	s_delay_alu instid0(VALU_DEP_1) | instskip(NEXT) | instid1(VALU_DEP_4)
	v_max_num_f32_e32 v21, v15, v1
	v_pk_add_f32 v[30:31], v[22:23], v[28:29]
	v_min_num_f32_e32 v1, v15, v1
	s_delay_alu instid0(VALU_DEP_3) | instskip(NEXT) | instid1(VALU_DEP_3)
	v_frexp_exp_i32_f32_e32 v15, v21
	v_mov_b32_e32 v25, v31
	s_delay_alu instid0(VALU_DEP_3) | instskip(SKIP_1) | instid1(VALU_DEP_3)
	v_frexp_exp_i32_f32_e32 v33, v1
	v_frexp_mant_f32_e32 v21, v21
	v_pk_add_f32 v[34:35], v[26:27], v[24:25]
	s_delay_alu instid0(VALU_DEP_3) | instskip(SKIP_4) | instid1(VALU_DEP_1)
	v_sub_nc_u32_e32 v15, v33, v15
	v_frexp_mant_f32_e32 v40, v1
	v_pk_add_f32 v[24:25], v[26:27], v[24:25] neg_lo:[0,1] neg_hi:[0,1]
	v_rcp_f32_e32 v21, v21
	v_dual_mov_b32 v28, v35 :: v_dual_mov_b32 v25, v35
	v_pk_add_f32 v[36:37], v[28:29], v[22:23] neg_lo:[0,1] neg_hi:[0,1]
	v_dual_mov_b32 v34, v31 :: v_dual_mov_b32 v23, v22
	s_delay_alu instid0(VALU_DEP_2) | instskip(SKIP_1) | instid1(VALU_DEP_2)
	v_dual_mov_b32 v22, v29 :: v_dual_mov_b32 v39, v36
	v_mov_b32_e32 v1, v36
	v_pk_add_f32 v[26:27], v[34:35], v[38:39] neg_lo:[0,1] neg_hi:[0,1]
	s_delay_alu instid0(VALU_DEP_2) | instskip(SKIP_1) | instid1(VALU_DEP_3)
	v_pk_add_f32 v[30:31], v[30:31], v[0:1] neg_lo:[0,1] neg_hi:[0,1]
	v_mov_b32_e32 v30, v24
	v_pk_add_f32 v[22:23], v[22:23], v[26:27] neg_lo:[0,1] neg_hi:[0,1]
	s_delay_alu instid0(VALU_DEP_1) | instskip(NEXT) | instid1(VALU_DEP_1)
	v_pk_add_f32 v[26:27], v[30:31], v[22:23]
	v_dual_mul_f32 v21, v40, v21 :: v_dual_mov_b32 v30, v27
	s_delay_alu instid0(VALU_DEP_1) | instskip(NEXT) | instid1(VALU_DEP_2)
	v_ldexp_f32 v1, v21, v15
	v_pk_add_f32 v[30:31], v[26:27], v[30:31]
	s_delay_alu instid0(VALU_DEP_2) | instskip(NEXT) | instid1(VALU_DEP_2)
	v_mul_f32_e32 v15, v1, v1
	v_pk_add_f32 v[28:29], v[28:29], v[30:31]
	s_delay_alu instid0(VALU_DEP_1) | instskip(NEXT) | instid1(VALU_DEP_1)
	v_dual_mov_b32 v23, v30 :: v_dual_mov_b32 v27, v28
	v_pk_add_f32 v[34:35], v[26:27], v[24:25] neg_lo:[0,1] neg_hi:[0,1]
	s_delay_alu instid0(VALU_DEP_1) | instskip(SKIP_1) | instid1(VALU_DEP_3)
	v_sub_f32_e32 v25, v26, v34
	v_fmaak_f32 v21, s21, v15, 0xbc7a590c
	v_pk_add_f32 v[22:23], v[22:23], v[34:35] neg_lo:[0,1] neg_hi:[0,1]
	s_delay_alu instid0(VALU_DEP_3) | instskip(NEXT) | instid1(VALU_DEP_1)
	v_sub_f32_e32 v24, v24, v25
	v_dual_fmaak_f32 v21, v15, v21, 0x3d29fb3f :: v_dual_add_f32 v22, v22, v24
	s_delay_alu instid0(VALU_DEP_1) | instskip(NEXT) | instid1(VALU_DEP_1)
	v_fmaak_f32 v21, v15, v21, 0xbd97d4d7
	v_fmaak_f32 v21, v15, v21, 0x3dd931b2
	s_delay_alu instid0(VALU_DEP_1) | instskip(NEXT) | instid1(VALU_DEP_1)
	v_fmaak_f32 v21, v15, v21, 0xbe1160e6
	v_fmaak_f32 v21, v15, v21, 0x3e4cb8bf
	s_delay_alu instid0(VALU_DEP_1) | instskip(NEXT) | instid1(VALU_DEP_1)
	v_fmaak_f32 v21, v15, v21, 0xbeaaaa62
	v_dual_mul_f32 v15, v15, v21 :: v_dual_add_f32 v21, v22, v23
	s_delay_alu instid0(VALU_DEP_1) | instskip(NEXT) | instid1(VALU_DEP_1)
	v_dual_fmac_f32 v1, v1, v15 :: v_dual_add_f32 v15, v28, v21
	v_sub_f32_e32 v21, 0x3fc90fdb, v1
	s_delay_alu instid0(VALU_DEP_2) | instskip(SKIP_1) | instid1(VALU_DEP_3)
	v_cndmask_b32_e32 v15, 0x7f800000, v15, vcc_lo
	v_cmp_gt_i32_e32 vcc_lo, 0, v6
	v_cndmask_b32_e64 v1, v1, v21, s2
	v_cndmask_b32_e64 v21, 0, 0x40490fdb, vcc_lo
	v_cmp_ngt_f32_e32 vcc_lo, -1.0, v20
	s_delay_alu instid0(VALU_DEP_3) | instskip(SKIP_2) | instid1(VALU_DEP_2)
	v_sub_f32_e32 v22, 0x40490fdb, v1
	v_cndmask_b32_e32 v15, 0x7fc00000, v15, vcc_lo
	v_cmp_gt_f32_e32 vcc_lo, 0, v6
	v_cndmask_b32_e64 v15, 0xff800000, v15, s3
	s_delay_alu instid0(VALU_DEP_4)
	v_cndmask_b32_e32 v1, v1, v22, vcc_lo
	v_cndmask_b32_e32 v22, 0x3f490fdb, v32, vcc_lo
	v_cmp_gt_f32_e64 vcc_lo, 0x33800000, |v20|
	v_cmp_class_f32_e64 s3, v7, 0x204
	v_cndmask_b32_e32 v15, v15, v20, vcc_lo
	v_cmp_eq_f32_e32 vcc_lo, 0, v7
	v_cndmask_b32_e32 v1, v1, v21, vcc_lo
	s_and_b32 vcc_lo, s5, s3
	s_delay_alu instid0(VALU_DEP_1) | instid1(SALU_CYCLE_1)
	v_dual_mul_f32 v21, 0.5, v15 :: v_dual_cndmask_b32 v1, v1, v22, vcc_lo
                                        ; implicit-def: $vgpr22_vgpr23
.LBB192_11:                             ;   in Loop: Header=BB192_5 Depth=1
	s_and_not1_saveexec_b32 s27, s4
	s_cbranch_execz .LBB192_19
; %bb.12:                               ;   in Loop: Header=BB192_5 Depth=1
	v_pk_mul_f32 v[20:21], v[22:23], v[22:23]
                                        ; implicit-def: $vgpr1
	s_mov_b32 s3, exec_lo
	s_delay_alu instid0(VALU_DEP_1) | instskip(NEXT) | instid1(VALU_DEP_1)
	v_add_f32_e32 v15, v21, v20
                                        ; implicit-def: $vgpr21
	v_cmpx_ge_f32_e32 0x3f333333, v15
	s_xor_b32 s4, exec_lo, s3
	s_cbranch_execz .LBB192_14
; %bb.13:                               ;   in Loop: Header=BB192_5 Depth=1
	v_max_num_f32_e64 v1, |v7|, |v7|
	v_max_num_f32_e64 v20, |v6|, |v6|
	v_cmp_gt_f32_e32 vcc_lo, 0x800000, v15
	v_cmp_gt_i32_e64 s3, 0, v6
	v_cmp_class_f32_e64 s5, v6, 0x204
	v_cmp_class_f32_e64 s6, v7, 0x204
	v_dual_max_num_f32 v21, v20, v1 :: v_dual_min_num_f32 v1, v20, v1
	v_cndmask_b32_e64 v23, 0, 0x41b17218, vcc_lo
	s_delay_alu instid0(VALU_DEP_2) | instskip(SKIP_1) | instid1(VALU_DEP_2)
	v_frexp_mant_f32_e32 v22, v21
	v_frexp_exp_i32_f32_e32 v20, v21
	v_rcp_f32_e32 v21, v22
	v_nop
	v_frexp_exp_i32_f32_e32 v22, v1
	v_frexp_mant_f32_e32 v1, v1
	s_delay_alu instid0(TRANS32_DEP_1) | instid1(VALU_DEP_1)
	v_dual_mul_f32 v1, v1, v21 :: v_dual_sub_nc_u32 v20, v22, v20
	v_cndmask_b32_e64 v22, 0, 32, vcc_lo
	s_delay_alu instid0(VALU_DEP_2) | instskip(NEXT) | instid1(VALU_DEP_2)
	v_ldexp_f32 v1, v1, v20
	v_ldexp_f32 v15, v15, v22
	s_delay_alu instid0(VALU_DEP_1) | instskip(NEXT) | instid1(VALU_DEP_2)
	v_log_f32_e32 v15, v15
	v_mul_f32_e32 v20, v1, v1
	s_delay_alu instid0(VALU_DEP_1) | instskip(NEXT) | instid1(TRANS32_DEP_1)
	v_fmaak_f32 v21, s21, v20, 0xbc7a590c
	v_cmp_gt_f32_e64 vcc_lo, 0x7f800000, |v15|
	s_delay_alu instid0(VALU_DEP_2) | instskip(NEXT) | instid1(VALU_DEP_1)
	v_fmaak_f32 v21, v20, v21, 0x3d29fb3f
	v_fmaak_f32 v21, v20, v21, 0xbd97d4d7
	s_delay_alu instid0(VALU_DEP_1) | instskip(NEXT) | instid1(VALU_DEP_1)
	v_fmaak_f32 v21, v20, v21, 0x3dd931b2
	v_fmaak_f32 v21, v20, v21, 0xbe1160e6
	s_delay_alu instid0(VALU_DEP_1) | instskip(NEXT) | instid1(VALU_DEP_1)
	;; [unrolled: 3-line block ×3, first 2 shown]
	v_dual_mul_f32 v20, v20, v21 :: v_dual_mul_f32 v21, 0x3f317217, v15
	v_fmac_f32_e32 v1, v1, v20
	s_delay_alu instid0(VALU_DEP_2) | instskip(NEXT) | instid1(VALU_DEP_1)
	v_fma_f32 v20, 0x3f317217, v15, -v21
	v_fmac_f32_e32 v20, 0x3377d1cf, v15
	s_delay_alu instid0(VALU_DEP_3) | instskip(NEXT) | instid1(VALU_DEP_1)
	v_sub_f32_e32 v21, 0x3fc90fdb, v1
	v_cndmask_b32_e64 v1, v1, v21, s2
	v_cndmask_b32_e64 v21, 0, 0x40490fdb, s3
	v_cmp_eq_f32_e64 s3, 0, v7
	s_delay_alu instid0(VALU_DEP_3) | instskip(SKIP_1) | instid1(VALU_DEP_1)
	v_sub_f32_e32 v22, 0x40490fdb, v1
	v_fmac_f32_e32 v20, 0x3f317217, v15
	v_cndmask_b32_e32 v15, v15, v20, vcc_lo
	v_cmp_gt_f32_e32 vcc_lo, 0, v6
	s_delay_alu instid0(VALU_DEP_2) | instskip(SKIP_2) | instid1(VALU_DEP_2)
	v_dual_cndmask_b32 v1, v1, v22, vcc_lo :: v_dual_sub_f32 v15, v15, v23
	v_cndmask_b32_e32 v20, 0x3f490fdb, v32, vcc_lo
	s_and_b32 vcc_lo, s5, s6
                                        ; implicit-def: $vgpr22
	v_dual_cndmask_b32 v1, v1, v21, s3 :: v_dual_mul_f32 v21, 0.5, v15
	s_delay_alu instid0(VALU_DEP_1)
	v_cndmask_b32_e32 v1, v1, v20, vcc_lo
.LBB192_14:                             ;   in Loop: Header=BB192_5 Depth=1
	s_and_not1_saveexec_b32 s28, s4
	s_cbranch_execz .LBB192_18
; %bb.15:                               ;   in Loop: Header=BB192_5 Depth=1
	v_and_b32_e32 v21, 0x7fff0000, v22
	v_and_b32_e32 v20, 0x7fff0000, v23
	s_mov_b32 s29, 0
	s_delay_alu instid0(VALU_DEP_1) | instskip(SKIP_2) | instid1(VALU_DEP_2)
	v_dual_add_f32 v28, v21, v21 :: v_dual_add_f32 v15, v20, v20
	v_pk_add_f32 v[22:23], v[22:23], v[20:21] op_sel:[1,0] op_sel_hi:[0,1] neg_lo:[0,1] neg_hi:[0,1]
	v_pk_mul_f32 v[20:21], v[20:21], v[20:21]
	v_and_b32_e32 v25, 0xffff0000, v23
	s_delay_alu instid0(VALU_DEP_3) | instskip(NEXT) | instid1(VALU_DEP_1)
	v_and_b32_e32 v24, 0xffff0000, v22
	v_dual_add_f32 v31, v25, v25 :: v_dual_add_f32 v30, v24, v24
	v_pk_add_f32 v[22:23], v[22:23], v[24:25] neg_lo:[0,1] neg_hi:[0,1]
	v_dual_mul_f32 v1, v15, v24 :: v_dual_mul_f32 v27, v28, v25
	v_pk_mul_f32 v[24:25], v[24:25], v[24:25]
	s_delay_alu instid0(VALU_DEP_3)
	v_dual_mul_f32 v26, v15, v22 :: v_dual_mul_f32 v29, v28, v23
	v_dual_mul_f32 v15, v30, v22 :: v_dual_mul_f32 v28, v31, v23
	v_pk_mul_f32 v[22:23], v[22:23], v[22:23]
.LBB192_16:                             ;   Parent Loop BB192_5 Depth=1
                                        ; =>  This Inner Loop Header: Depth=2
	v_cmp_nlt_f32_e32 vcc_lo, v20, v21
	v_dual_cndmask_b32 v30, v20, v21, vcc_lo :: v_dual_cndmask_b32 v20, v21, v20, vcc_lo
	s_delay_alu instid0(VALU_DEP_1) | instskip(NEXT) | instid1(VALU_DEP_1)
	v_cmp_nlt_f32_e64 s3, v30, v1
	v_dual_cndmask_b32 v31, v30, v1, s3 :: v_dual_cndmask_b32 v21, v1, v30, s3
	s_and_b32 s3, vcc_lo, s3
	s_delay_alu instid0(VALU_DEP_1) | instskip(NEXT) | instid1(VALU_DEP_1)
	v_cmp_nlt_f32_e64 s4, v31, v27
	v_cndmask_b32_e64 v33, v31, v27, s4
	v_cndmask_b32_e64 v1, v27, v31, s4
	s_delay_alu instid0(VALU_DEP_2) | instskip(NEXT) | instid1(VALU_DEP_1)
	v_cmp_nlt_f32_e64 s5, v33, v24
	v_cndmask_b32_e64 v30, v33, v24, s5
	s_and_b32 s30, s4, s5
	s_delay_alu instid0(VALU_DEP_1) | instskip(NEXT) | instid1(VALU_DEP_1)
	v_cmp_nlt_f32_e64 s6, v30, v25
	v_cndmask_b32_e64 v31, v30, v25, s6
	v_dual_cndmask_b32 v27, v24, v33, s5 :: v_dual_cndmask_b32 v24, v25, v30, s6
	s_delay_alu instid0(VALU_DEP_2) | instskip(NEXT) | instid1(VALU_DEP_1)
	v_cmp_nlt_f32_e64 s7, v31, v26
	v_cndmask_b32_e64 v34, v31, v26, s7
	s_and_b32 s6, s6, s7
	s_delay_alu instid0(VALU_DEP_1) | instskip(NEXT) | instid1(VALU_DEP_1)
	v_cmp_nlt_f32_e64 s8, v34, v29
	v_cndmask_b32_e64 v35, v34, v29, s8
	s_and_b32 s6, s6, s8
	s_delay_alu instid0(VALU_DEP_1) | instskip(NEXT) | instid1(VALU_DEP_1)
	v_cmp_nlt_f32_e64 s9, v35, v15
	v_cndmask_b32_e64 v33, v35, v15, s9
	v_dual_cndmask_b32 v25, v26, v31, s7 :: v_dual_cndmask_b32 v26, v29, v34, s8
	s_and_b32 s7, s6, s9
	v_cndmask_b32_e64 v29, v15, v35, s9
	s_delay_alu instid0(VALU_DEP_3) | instskip(NEXT) | instid1(VALU_DEP_1)
	v_cmp_nlt_f32_e64 s4, v33, v28
	v_dual_cndmask_b32 v30, v33, v28, s4 :: v_dual_cndmask_b32 v15, v28, v33, s4
	s_and_b32 s4, s7, s4
	s_delay_alu instid0(VALU_DEP_1) | instskip(NEXT) | instid1(VALU_DEP_1)
	v_cmp_nlt_f32_e64 s5, v30, v22
	v_cndmask_b32_e64 v31, v30, v22, s5
	s_and_b32 s4, s4, s5
	s_delay_alu instid0(VALU_DEP_1) | instskip(NEXT) | instid1(VALU_DEP_1)
	v_cmp_nlt_f32_e64 s6, v31, v23
	v_dual_cndmask_b32 v28, v22, v30, s5 :: v_dual_cndmask_b32 v22, v23, v31, s6
	s_and_b32 s4, s4, s6
	v_cndmask_b32_e64 v23, v31, v23, s6
	s_and_b32 s4, s4, s30
	s_delay_alu instid0(SALU_CYCLE_1) | instskip(NEXT) | instid1(SALU_CYCLE_1)
	s_and_b32 s3, s4, s3
	s_and_b32 s3, exec_lo, s3
	s_delay_alu instid0(SALU_CYCLE_1) | instskip(NEXT) | instid1(SALU_CYCLE_1)
	s_or_b32 s29, s3, s29
	s_and_not1_b32 exec_lo, exec_lo, s29
	s_cbranch_execnz .LBB192_16
; %bb.17:                               ;   in Loop: Header=BB192_5 Depth=1
	s_or_b32 exec_lo, exec_lo, s29
	v_add_f32_e32 v20, -1.0, v20
	v_cmp_class_f32_e64 s4, v6, 0x204
	s_delay_alu instid0(VALU_DEP_2) | instskip(NEXT) | instid1(VALU_DEP_1)
	v_add_f32_e32 v20, v20, v21
	v_add_f32_e32 v1, v20, v1
	s_delay_alu instid0(VALU_DEP_1) | instskip(NEXT) | instid1(VALU_DEP_1)
	v_add_f32_e32 v1, v1, v27
	v_add_f32_e32 v1, v1, v24
	s_delay_alu instid0(VALU_DEP_1) | instskip(NEXT) | instid1(VALU_DEP_1)
	;; [unrolled: 3-line block ×5, first 2 shown]
	v_add_f32_e32 v20, v23, v1
	v_add_f32_e32 v23, 1.0, v20
	s_delay_alu instid0(VALU_DEP_1) | instskip(SKIP_2) | instid1(VALU_DEP_2)
	v_cvt_f64_f32_e32 v[24:25], v23
	v_frexp_mant_f32_e32 v15, v23
	v_add_f32_e32 v21, -1.0, v23
	v_cmp_gt_f32_e32 vcc_lo, 0x3f2aaaab, v15
	s_delay_alu instid0(VALU_DEP_2) | instskip(SKIP_2) | instid1(VALU_DEP_3)
	v_mov_b32_e32 v22, v21
	v_cmp_neq_f32_e64 s3, -1.0, v20
	v_frexp_exp_i32_f64_e32 v1, v[24:25]
	v_pk_add_f32 v[24:25], v[20:21], v[22:23] neg_lo:[0,1] neg_hi:[0,1]
	s_delay_alu instid0(VALU_DEP_1) | instskip(NEXT) | instid1(VALU_DEP_1)
	v_add_f32_e32 v22, 1.0, v25
	v_add_f32_e32 v22, v24, v22
	s_delay_alu instid0(VALU_DEP_4) | instskip(SKIP_1) | instid1(VALU_DEP_2)
	v_subrev_co_ci_u32_e64 v1, null, 0, v1, vcc_lo
	v_cmp_neq_f32_e32 vcc_lo, 0x7f800000, v20
	v_sub_nc_u32_e32 v15, 0, v1
	s_delay_alu instid0(VALU_DEP_1) | instskip(SKIP_1) | instid1(VALU_DEP_2)
	v_ldexp_f32 v21, v23, v15
	v_ldexp_f32 v15, v22, v15
	v_dual_add_f32 v25, 1.0, v21 :: v_dual_add_f32 v27, -1.0, v21
	s_delay_alu instid0(VALU_DEP_1) | instskip(NEXT) | instid1(VALU_DEP_1)
	v_add_f32_e32 v23, -1.0, v25
	v_sub_f32_e32 v22, v21, v23
	s_delay_alu instid0(VALU_DEP_1) | instskip(NEXT) | instid1(VALU_DEP_1)
	v_dual_add_f32 v23, 1.0, v27 :: v_dual_add_f32 v22, v15, v22
	v_add_f32_e32 v28, v25, v22
	s_delay_alu instid0(VALU_DEP_1) | instskip(NEXT) | instid1(VALU_DEP_1)
	v_dual_sub_f32 v21, v21, v23 :: v_dual_sub_f32 v25, v28, v25
	v_add_f32_e32 v15, v15, v21
	v_rcp_f32_e32 v21, v28
	s_delay_alu instid0(VALU_DEP_1)
	v_add_f32_e32 v23, v27, v15
	s_delay_alu instid0(TRANS32_DEP_1) | instid1(VALU_DEP_1)
	v_mul_f32_e32 v29, v23, v21
	s_delay_alu instid0(VALU_DEP_1) | instskip(SKIP_1) | instid1(VALU_DEP_1)
	v_mul_f32_e32 v24, v28, v29
	v_dual_sub_f32 v30, v22, v25 :: v_dual_sub_f32 v31, v23, v27
	v_dual_fma_f32 v26, v29, v28, -v24 :: v_dual_sub_f32 v15, v15, v31
	s_delay_alu instid0(VALU_DEP_1) | instskip(NEXT) | instid1(VALU_DEP_1)
	v_fmac_f32_e32 v26, v29, v30
	v_add_f32_e32 v22, v24, v26
	s_delay_alu instid0(VALU_DEP_1) | instskip(NEXT) | instid1(VALU_DEP_1)
	v_dual_sub_f32 v25, v23, v22 :: v_dual_mov_b32 v27, v22
	v_pk_add_f32 v[22:23], v[22:23], v[24:25] neg_lo:[0,1] neg_hi:[0,1]
	s_delay_alu instid0(VALU_DEP_1) | instskip(NEXT) | instid1(VALU_DEP_1)
	v_pk_add_f32 v[22:23], v[22:23], v[26:27] neg_lo:[0,1] neg_hi:[0,1]
	v_add_f32_e32 v15, v15, v23
	s_delay_alu instid0(VALU_DEP_1) | instskip(NEXT) | instid1(VALU_DEP_1)
	v_add_f32_e32 v15, v22, v15
	v_add_f32_e32 v23, v25, v15
	s_delay_alu instid0(VALU_DEP_1) | instskip(NEXT) | instid1(VALU_DEP_1)
	v_mul_f32_e32 v31, v21, v23
	v_mul_f32_e32 v26, v28, v31
	s_delay_alu instid0(VALU_DEP_1) | instskip(NEXT) | instid1(VALU_DEP_1)
	v_fma_f32 v24, v31, v28, -v26
	v_dual_fmac_f32 v24, v31, v30 :: v_dual_sub_f32 v28, v25, v23
	s_delay_alu instid0(VALU_DEP_1) | instskip(NEXT) | instid1(VALU_DEP_2)
	v_add_f32_e32 v22, v26, v24
	v_dual_add_f32 v15, v15, v28 :: v_dual_add_f32 v28, v29, v31
	s_delay_alu instid0(VALU_DEP_2) | instskip(NEXT) | instid1(VALU_DEP_1)
	v_dual_sub_f32 v27, v23, v22 :: v_dual_mov_b32 v25, v22
	v_pk_add_f32 v[22:23], v[22:23], v[26:27] neg_lo:[0,1] neg_hi:[0,1]
	s_delay_alu instid0(VALU_DEP_1) | instskip(NEXT) | instid1(VALU_DEP_1)
	v_pk_add_f32 v[22:23], v[22:23], v[24:25] neg_lo:[0,1] neg_hi:[0,1]
	v_add_f32_e32 v15, v15, v23
	s_delay_alu instid0(VALU_DEP_1) | instskip(NEXT) | instid1(VALU_DEP_1)
	v_dual_add_f32 v15, v22, v15 :: v_dual_sub_f32 v22, v28, v29
	v_sub_f32_e32 v22, v31, v22
	s_delay_alu instid0(VALU_DEP_2) | instskip(NEXT) | instid1(VALU_DEP_1)
	v_add_f32_e32 v15, v27, v15
	v_mul_f32_e32 v15, v21, v15
	s_delay_alu instid0(VALU_DEP_1) | instskip(SKIP_1) | instid1(VALU_DEP_2)
	v_add_f32_e32 v21, v22, v15
	v_cvt_f32_i32_e32 v22, v1
	v_add_f32_e32 v29, v28, v21
	s_delay_alu instid0(VALU_DEP_1) | instskip(SKIP_1) | instid1(VALU_DEP_2)
	v_mul_f32_e32 v15, v29, v29
	v_ldexp_f32 v27, v29, 1
	v_dual_fmaak_f32 v24, s20, v15, 0x3ecc95a3 :: v_dual_mul_f32 v23, v29, v15
	s_delay_alu instid0(VALU_DEP_1) | instskip(NEXT) | instid1(VALU_DEP_1)
	v_fmaak_f32 v15, v15, v24, 0x3f2aaada
	v_pk_mul_f32 v[24:25], v[22:23], v[14:15]
	s_delay_alu instid0(VALU_DEP_1) | instskip(NEXT) | instid1(VALU_DEP_1)
	v_fma_f32 v26, 0x3f317218, v22, -v24
	v_fmac_f32_e32 v26, 0xb102e308, v22
	s_delay_alu instid0(VALU_DEP_1) | instskip(SKIP_1) | instid1(VALU_DEP_1)
	v_pk_add_f32 v[22:23], v[24:25], v[26:27]
	v_dual_sub_f32 v1, v29, v28 :: v_dual_mov_b32 v28, v24
	v_dual_sub_f32 v15, v23, v27 :: v_dual_sub_f32 v1, v21, v1
	s_delay_alu instid0(VALU_DEP_3) | instskip(NEXT) | instid1(VALU_DEP_2)
	v_dual_mov_b32 v27, v22 :: v_dual_mov_b32 v38, v23
	v_sub_f32_e32 v15, v25, v15
	s_delay_alu instid0(VALU_DEP_3) | instskip(SKIP_1) | instid1(VALU_DEP_2)
	v_ldexp_f32 v1, v1, 1
	v_pk_add_f32 v[24:25], v[22:23], v[24:25] neg_lo:[0,1] neg_hi:[0,1]
	v_add_f32_e32 v29, v1, v15
	v_max_num_f32_e64 v1, |v7|, |v7|
	v_max_num_f32_e64 v15, |v6|, |v6|
	s_delay_alu instid0(VALU_DEP_1) | instskip(NEXT) | instid1(VALU_DEP_4)
	v_max_num_f32_e32 v21, v15, v1
	v_pk_add_f32 v[30:31], v[22:23], v[28:29]
	v_min_num_f32_e32 v1, v15, v1
	s_delay_alu instid0(VALU_DEP_3) | instskip(NEXT) | instid1(VALU_DEP_3)
	v_frexp_exp_i32_f32_e32 v15, v21
	v_mov_b32_e32 v25, v31
	s_delay_alu instid0(VALU_DEP_3) | instskip(SKIP_1) | instid1(VALU_DEP_3)
	v_frexp_exp_i32_f32_e32 v33, v1
	v_frexp_mant_f32_e32 v21, v21
	v_pk_add_f32 v[34:35], v[26:27], v[24:25]
	s_delay_alu instid0(VALU_DEP_3) | instskip(SKIP_4) | instid1(VALU_DEP_1)
	v_sub_nc_u32_e32 v15, v33, v15
	v_frexp_mant_f32_e32 v40, v1
	v_pk_add_f32 v[24:25], v[26:27], v[24:25] neg_lo:[0,1] neg_hi:[0,1]
	v_rcp_f32_e32 v21, v21
	v_dual_mov_b32 v28, v35 :: v_dual_mov_b32 v25, v35
	v_pk_add_f32 v[36:37], v[28:29], v[22:23] neg_lo:[0,1] neg_hi:[0,1]
	v_dual_mov_b32 v34, v31 :: v_dual_mov_b32 v23, v22
	s_delay_alu instid0(VALU_DEP_2) | instskip(SKIP_1) | instid1(VALU_DEP_2)
	v_dual_mov_b32 v22, v29 :: v_dual_mov_b32 v39, v36
	v_mov_b32_e32 v1, v36
	v_pk_add_f32 v[26:27], v[34:35], v[38:39] neg_lo:[0,1] neg_hi:[0,1]
	s_delay_alu instid0(VALU_DEP_2) | instskip(SKIP_1) | instid1(VALU_DEP_3)
	v_pk_add_f32 v[30:31], v[30:31], v[0:1] neg_lo:[0,1] neg_hi:[0,1]
	v_mov_b32_e32 v30, v24
	v_pk_add_f32 v[22:23], v[22:23], v[26:27] neg_lo:[0,1] neg_hi:[0,1]
	s_delay_alu instid0(VALU_DEP_1) | instskip(NEXT) | instid1(VALU_DEP_1)
	v_pk_add_f32 v[26:27], v[30:31], v[22:23]
	v_dual_mul_f32 v21, v40, v21 :: v_dual_mov_b32 v30, v27
	s_delay_alu instid0(VALU_DEP_1) | instskip(NEXT) | instid1(VALU_DEP_2)
	v_ldexp_f32 v1, v21, v15
	v_pk_add_f32 v[30:31], v[26:27], v[30:31]
	s_delay_alu instid0(VALU_DEP_2) | instskip(NEXT) | instid1(VALU_DEP_2)
	v_mul_f32_e32 v15, v1, v1
	v_pk_add_f32 v[28:29], v[28:29], v[30:31]
	s_delay_alu instid0(VALU_DEP_1) | instskip(NEXT) | instid1(VALU_DEP_1)
	v_dual_mov_b32 v23, v30 :: v_dual_mov_b32 v27, v28
	v_pk_add_f32 v[34:35], v[26:27], v[24:25] neg_lo:[0,1] neg_hi:[0,1]
	s_delay_alu instid0(VALU_DEP_1) | instskip(SKIP_1) | instid1(VALU_DEP_3)
	v_sub_f32_e32 v25, v26, v34
	v_fmaak_f32 v21, s21, v15, 0xbc7a590c
	v_pk_add_f32 v[22:23], v[22:23], v[34:35] neg_lo:[0,1] neg_hi:[0,1]
	s_delay_alu instid0(VALU_DEP_3) | instskip(NEXT) | instid1(VALU_DEP_1)
	v_sub_f32_e32 v24, v24, v25
	v_dual_fmaak_f32 v21, v15, v21, 0x3d29fb3f :: v_dual_add_f32 v22, v22, v24
	s_delay_alu instid0(VALU_DEP_1) | instskip(NEXT) | instid1(VALU_DEP_1)
	v_fmaak_f32 v21, v15, v21, 0xbd97d4d7
	v_fmaak_f32 v21, v15, v21, 0x3dd931b2
	s_delay_alu instid0(VALU_DEP_1) | instskip(NEXT) | instid1(VALU_DEP_1)
	v_fmaak_f32 v21, v15, v21, 0xbe1160e6
	v_fmaak_f32 v21, v15, v21, 0x3e4cb8bf
	s_delay_alu instid0(VALU_DEP_1) | instskip(NEXT) | instid1(VALU_DEP_1)
	v_fmaak_f32 v21, v15, v21, 0xbeaaaa62
	v_dual_mul_f32 v15, v15, v21 :: v_dual_add_f32 v21, v22, v23
	s_delay_alu instid0(VALU_DEP_1) | instskip(NEXT) | instid1(VALU_DEP_1)
	v_dual_fmac_f32 v1, v1, v15 :: v_dual_add_f32 v15, v28, v21
	v_sub_f32_e32 v21, 0x3fc90fdb, v1
	s_delay_alu instid0(VALU_DEP_2) | instskip(SKIP_1) | instid1(VALU_DEP_3)
	v_cndmask_b32_e32 v15, 0x7f800000, v15, vcc_lo
	v_cmp_gt_i32_e32 vcc_lo, 0, v6
	v_cndmask_b32_e64 v1, v1, v21, s2
	v_cndmask_b32_e64 v21, 0, 0x40490fdb, vcc_lo
	v_cmp_ngt_f32_e32 vcc_lo, -1.0, v20
	s_delay_alu instid0(VALU_DEP_3) | instskip(SKIP_2) | instid1(VALU_DEP_2)
	v_sub_f32_e32 v22, 0x40490fdb, v1
	v_cndmask_b32_e32 v15, 0x7fc00000, v15, vcc_lo
	v_cmp_gt_f32_e32 vcc_lo, 0, v6
	v_cndmask_b32_e64 v15, 0xff800000, v15, s3
	s_delay_alu instid0(VALU_DEP_4)
	v_cndmask_b32_e32 v1, v1, v22, vcc_lo
	v_cndmask_b32_e32 v22, 0x3f490fdb, v32, vcc_lo
	v_cmp_gt_f32_e64 vcc_lo, 0x33800000, |v20|
	v_cmp_class_f32_e64 s3, v7, 0x204
	v_cndmask_b32_e32 v15, v15, v20, vcc_lo
	v_cmp_eq_f32_e32 vcc_lo, 0, v7
	v_cndmask_b32_e32 v1, v1, v21, vcc_lo
	s_and_b32 vcc_lo, s4, s3
	s_delay_alu instid0(VALU_DEP_1) | instid1(SALU_CYCLE_1)
	v_dual_mul_f32 v21, 0.5, v15 :: v_dual_cndmask_b32 v1, v1, v22, vcc_lo
.LBB192_18:                             ;   in Loop: Header=BB192_5 Depth=1
	s_or_b32 exec_lo, exec_lo, s28
.LBB192_19:                             ;   in Loop: Header=BB192_5 Depth=1
	s_delay_alu instid0(SALU_CYCLE_1)
	s_or_b32 exec_lo, exec_lo, s27
.LBB192_20:                             ;   in Loop: Header=BB192_5 Depth=1
	s_and_not1_saveexec_b32 s4, s26
	s_cbranch_execz .LBB192_22
; %bb.21:                               ;   in Loop: Header=BB192_5 Depth=1
	v_max_num_f32_e64 v1, |v7|, |v7|
	v_max_num_f32_e64 v15, |v6|, |v6|
	v_cmp_gt_i32_e64 s3, 0, v6
	v_cmp_class_f32_e64 s5, v6, 0x204
	v_cmp_class_f32_e64 s6, v7, 0x204
	s_delay_alu instid0(VALU_DEP_4) | instskip(NEXT) | instid1(VALU_DEP_1)
	v_dual_max_num_f32 v22, v15, v1 :: v_dual_min_num_f32 v1, v15, v1
	v_cvt_f64_f32_e32 v[20:21], v22
	v_frexp_exp_i32_f32_e32 v15, v22
	s_delay_alu instid0(VALU_DEP_3) | instskip(SKIP_4) | instid1(VALU_DEP_1)
	v_frexp_exp_i32_f32_e32 v23, v1
	v_frexp_mant_f32_e32 v1, v1
	v_cmp_neq_f32_e32 vcc_lo, 0x7f800000, v22
	v_frexp_exp_i32_f64_e32 v20, v[20:21]
	v_frexp_mant_f32_e32 v21, v22
	v_rcp_f32_e32 v21, v21
	v_nop
	s_delay_alu instid0(TRANS32_DEP_1) | instskip(NEXT) | instid1(VALU_DEP_1)
	v_dual_sub_nc_u32 v15, v23, v15 :: v_dual_mul_f32 v1, v1, v21
	v_ldexp_f32 v1, v1, v15
	s_delay_alu instid0(VALU_DEP_1) | instskip(NEXT) | instid1(VALU_DEP_1)
	v_dual_mul_f32 v21, v1, v1 :: v_dual_sub_nc_u32 v15, 0, v20
	v_ldexp_f32 v23, |v7|, v15
	s_delay_alu instid0(VALU_DEP_2) | instskip(SKIP_1) | instid1(VALU_DEP_2)
	v_fmaak_f32 v24, s21, v21, 0xbc7a590c
	v_ldexp_f32 v15, |v6|, v15
	v_dual_mul_f32 v23, v23, v23 :: v_dual_fmaak_f32 v24, v21, v24, 0x3d29fb3f
	s_delay_alu instid0(VALU_DEP_1) | instskip(NEXT) | instid1(VALU_DEP_2)
	v_fmac_f32_e32 v23, v15, v15
	v_fmaak_f32 v15, v21, v24, 0xbd97d4d7
	s_delay_alu instid0(VALU_DEP_2) | instskip(NEXT) | instid1(VALU_DEP_1)
	v_sqrt_f32_e32 v23, v23
	v_fmaak_f32 v15, v21, v15, 0x3dd931b2
	s_delay_alu instid0(VALU_DEP_1) | instskip(NEXT) | instid1(TRANS32_DEP_1)
	v_fmaak_f32 v15, v21, v15, 0xbe1160e6
	v_ldexp_f32 v20, v23, v20
	s_delay_alu instid0(VALU_DEP_2) | instskip(NEXT) | instid1(VALU_DEP_1)
	v_fmaak_f32 v15, v21, v15, 0x3e4cb8bf
	v_fmaak_f32 v15, v21, v15, 0xbeaaaa62
	s_delay_alu instid0(VALU_DEP_1) | instskip(NEXT) | instid1(VALU_DEP_1)
	v_dual_cndmask_b32 v20, 0x7f800000, v20 :: v_dual_mul_f32 v15, v21, v15
	v_cmp_gt_f32_e32 vcc_lo, 0x800000, v20
	v_cndmask_b32_e64 v22, 0, 32, vcc_lo
	v_cndmask_b32_e64 v23, 0, 0x41b17218, vcc_lo
	s_delay_alu instid0(VALU_DEP_2) | instskip(NEXT) | instid1(VALU_DEP_1)
	v_ldexp_f32 v20, v20, v22
	v_log_f32_e32 v20, v20
	v_nop
	s_delay_alu instid0(TRANS32_DEP_1) | instskip(SKIP_2) | instid1(VALU_DEP_1)
	v_cmp_gt_f32_e64 vcc_lo, 0x7f800000, |v20|
	v_fmac_f32_e32 v1, v1, v15
	v_mul_f32_e32 v15, 0x3f317217, v20
	v_fma_f32 v15, 0x3f317217, v20, -v15
	s_delay_alu instid0(VALU_DEP_1) | instskip(NEXT) | instid1(VALU_DEP_1)
	v_fmac_f32_e32 v15, 0x3377d1cf, v20
	v_fmac_f32_e32 v15, 0x3f317217, v20
	s_delay_alu instid0(VALU_DEP_1) | instskip(SKIP_2) | instid1(VALU_DEP_2)
	v_cndmask_b32_e32 v15, v20, v15, vcc_lo
	v_sub_f32_e32 v21, 0x3fc90fdb, v1
	v_cmp_eq_f32_e32 vcc_lo, 0, v7
	v_cndmask_b32_e64 v1, v1, v21, s2
	v_cndmask_b32_e64 v21, 0, 0x40490fdb, s3
	v_cmp_gt_f32_e64 s3, 0, v6
	s_delay_alu instid0(VALU_DEP_3) | instskip(NEXT) | instid1(VALU_DEP_1)
	v_sub_f32_e32 v22, 0x40490fdb, v1
	v_cndmask_b32_e64 v1, v1, v22, s3
	v_cndmask_b32_e64 v22, 0x3f490fdb, v32, s3
	s_delay_alu instid0(VALU_DEP_2)
	v_cndmask_b32_e32 v1, v1, v21, vcc_lo
	s_and_b32 vcc_lo, s5, s6
	s_delay_alu instid0(VALU_DEP_1) | instid1(SALU_CYCLE_1)
	v_dual_sub_f32 v21, v15, v23 :: v_dual_cndmask_b32 v1, v1, v22, vcc_lo
.LBB192_22:                             ;   in Loop: Header=BB192_5 Depth=1
	s_or_b32 exec_lo, exec_lo, s4
                                        ; implicit-def: $vgpr22
.LBB192_23:                             ;   in Loop: Header=BB192_5 Depth=1
	s_and_not1_saveexec_b32 s4, s25
	s_cbranch_execz .LBB192_29
; %bb.24:                               ;   in Loop: Header=BB192_5 Depth=1
                                        ; implicit-def: $vgpr21
                                        ; implicit-def: $vgpr1
	s_mov_b32 s3, exec_lo
	v_cmpx_ngt_f32_e32 0x1fec1e4a, v22
	s_xor_b32 s5, exec_lo, s3
	s_cbranch_execz .LBB192_26
; %bb.25:                               ;   in Loop: Header=BB192_5 Depth=1
	v_pk_mul_f32 v[20:21], v[22:23], v[22:23]
	v_max_num_f32_e64 v33, |v6|, |v6|
	v_cmp_class_f32_e64 s6, v6, 0x204
	s_delay_alu instid0(VALU_DEP_3) | instskip(SKIP_1) | instid1(VALU_DEP_2)
	v_add_f32_e32 v23, 1.0, v20
	v_cmp_neq_f32_e64 s3, 0x7f800000, v20
	v_add_f32_e32 v21, -1.0, v23
	s_delay_alu instid0(VALU_DEP_1) | instskip(SKIP_2) | instid1(VALU_DEP_1)
	v_mov_b32_e32 v22, v21
	v_cvt_f64_f32_e32 v[24:25], v23
	v_frexp_mant_f32_e32 v15, v23
	v_cmp_gt_f32_e32 vcc_lo, 0x3f2aaaab, v15
	s_delay_alu instid0(VALU_DEP_3) | instskip(NEXT) | instid1(VALU_DEP_1)
	v_frexp_exp_i32_f64_e32 v1, v[24:25]
	v_subrev_co_ci_u32_e64 v1, null, 0, v1, vcc_lo
	v_cmp_gt_i32_e32 vcc_lo, 0, v6
	s_delay_alu instid0(VALU_DEP_2) | instskip(SKIP_1) | instid1(VALU_DEP_2)
	v_sub_nc_u32_e32 v15, 0, v1
	v_pk_add_f32 v[24:25], v[20:21], v[22:23] neg_lo:[0,1] neg_hi:[0,1]
	v_ldexp_f32 v21, v23, v15
	s_delay_alu instid0(VALU_DEP_2) | instskip(NEXT) | instid1(VALU_DEP_2)
	v_add_f32_e32 v22, 1.0, v25
	v_add_f32_e32 v25, 1.0, v21
	s_delay_alu instid0(VALU_DEP_1) | instskip(SKIP_1) | instid1(VALU_DEP_2)
	v_dual_add_f32 v23, -1.0, v25 :: v_dual_add_f32 v22, v24, v22
	v_add_f32_e32 v27, -1.0, v21
	v_ldexp_f32 v15, v22, v15
	s_delay_alu instid0(VALU_DEP_3) | instskip(NEXT) | instid1(VALU_DEP_1)
	v_sub_f32_e32 v22, v21, v23
	v_dual_add_f32 v23, 1.0, v27 :: v_dual_add_f32 v22, v15, v22
	s_delay_alu instid0(VALU_DEP_1) | instskip(NEXT) | instid1(VALU_DEP_2)
	v_add_f32_e32 v28, v25, v22
	v_sub_f32_e32 v21, v21, v23
	s_delay_alu instid0(VALU_DEP_1) | instskip(NEXT) | instid1(VALU_DEP_3)
	v_add_f32_e32 v15, v15, v21
	v_rcp_f32_e32 v21, v28
	s_delay_alu instid0(VALU_DEP_1)
	v_dual_sub_f32 v25, v25, v28 :: v_dual_add_f32 v23, v27, v15
	s_delay_alu instid0(TRANS32_DEP_1) | instid1(VALU_DEP_1)
	v_mul_f32_e32 v29, v23, v21
	s_delay_alu instid0(VALU_DEP_1) | instskip(NEXT) | instid1(VALU_DEP_1)
	v_dual_sub_f32 v31, v27, v23 :: v_dual_mul_f32 v24, v28, v29
	v_dual_add_f32 v30, v22, v25 :: v_dual_add_f32 v15, v15, v31
	s_delay_alu instid0(VALU_DEP_2) | instskip(NEXT) | instid1(VALU_DEP_1)
	v_fma_f32 v26, v29, v28, -v24
	v_fmac_f32_e32 v26, v29, v30
	s_delay_alu instid0(VALU_DEP_1) | instskip(NEXT) | instid1(VALU_DEP_1)
	v_add_f32_e32 v22, v24, v26
	v_dual_sub_f32 v25, v23, v22 :: v_dual_mov_b32 v27, v22
	s_delay_alu instid0(VALU_DEP_1) | instskip(NEXT) | instid1(VALU_DEP_1)
	v_pk_add_f32 v[22:23], v[22:23], v[24:25] neg_lo:[0,1] neg_hi:[0,1]
	v_pk_add_f32 v[22:23], v[22:23], v[26:27] neg_lo:[0,1] neg_hi:[0,1]
	s_delay_alu instid0(VALU_DEP_1) | instskip(NEXT) | instid1(VALU_DEP_1)
	v_add_f32_e32 v15, v15, v23
	v_add_f32_e32 v15, v22, v15
	s_delay_alu instid0(VALU_DEP_1) | instskip(NEXT) | instid1(VALU_DEP_1)
	v_add_f32_e32 v23, v25, v15
	v_mul_f32_e32 v31, v21, v23
	s_delay_alu instid0(VALU_DEP_1) | instskip(NEXT) | instid1(VALU_DEP_1)
	v_mul_f32_e32 v26, v28, v31
	v_fma_f32 v24, v31, v28, -v26
	s_delay_alu instid0(VALU_DEP_1) | instskip(NEXT) | instid1(VALU_DEP_1)
	v_dual_fmac_f32 v24, v31, v30 :: v_dual_sub_f32 v28, v25, v23
	v_add_f32_e32 v22, v26, v24
	s_delay_alu instid0(VALU_DEP_2) | instskip(NEXT) | instid1(VALU_DEP_2)
	v_dual_add_f32 v15, v15, v28 :: v_dual_add_f32 v28, v29, v31
	v_dual_sub_f32 v27, v23, v22 :: v_dual_mov_b32 v25, v22
	s_delay_alu instid0(VALU_DEP_1) | instskip(NEXT) | instid1(VALU_DEP_1)
	v_pk_add_f32 v[22:23], v[22:23], v[26:27] neg_lo:[0,1] neg_hi:[0,1]
	v_pk_add_f32 v[22:23], v[22:23], v[24:25] neg_lo:[0,1] neg_hi:[0,1]
	s_delay_alu instid0(VALU_DEP_1) | instskip(NEXT) | instid1(VALU_DEP_1)
	v_add_f32_e32 v15, v15, v23
	v_dual_add_f32 v15, v22, v15 :: v_dual_sub_f32 v22, v28, v29
	s_delay_alu instid0(VALU_DEP_1) | instskip(NEXT) | instid1(VALU_DEP_2)
	v_sub_f32_e32 v22, v31, v22
	v_add_f32_e32 v15, v27, v15
	s_delay_alu instid0(VALU_DEP_1) | instskip(NEXT) | instid1(VALU_DEP_1)
	v_mul_f32_e32 v15, v21, v15
	v_add_f32_e32 v21, v22, v15
	v_cvt_f32_i32_e32 v22, v1
	s_delay_alu instid0(VALU_DEP_2) | instskip(NEXT) | instid1(VALU_DEP_1)
	v_add_f32_e32 v29, v28, v21
	v_mul_f32_e32 v15, v29, v29
	v_ldexp_f32 v27, v29, 1
	s_delay_alu instid0(VALU_DEP_2) | instskip(NEXT) | instid1(VALU_DEP_1)
	v_dual_fmaak_f32 v24, s20, v15, 0x3ecc95a3 :: v_dual_mul_f32 v23, v29, v15
	v_fmaak_f32 v15, v15, v24, 0x3f2aaada
	s_delay_alu instid0(VALU_DEP_1) | instskip(NEXT) | instid1(VALU_DEP_1)
	v_pk_mul_f32 v[24:25], v[22:23], v[14:15]
	v_fma_f32 v26, 0x3f317218, v22, -v24
	s_delay_alu instid0(VALU_DEP_1) | instskip(NEXT) | instid1(VALU_DEP_1)
	v_fmac_f32_e32 v26, 0xb102e308, v22
	v_pk_add_f32 v[22:23], v[24:25], v[26:27]
	v_dual_sub_f32 v1, v29, v28 :: v_dual_mov_b32 v28, v24
	s_delay_alu instid0(VALU_DEP_1) | instskip(NEXT) | instid1(VALU_DEP_3)
	v_dual_sub_f32 v15, v23, v27 :: v_dual_sub_f32 v1, v21, v1
	v_mov_b32_e32 v27, v22
	v_max_num_f32_e64 v21, |v7|, |v7|
	s_delay_alu instid0(VALU_DEP_3) | instskip(NEXT) | instid1(VALU_DEP_4)
	v_dual_mov_b32 v38, v23 :: v_dual_sub_f32 v15, v25, v15
	v_ldexp_f32 v1, v1, 1
	v_pk_add_f32 v[24:25], v[22:23], v[24:25] neg_lo:[0,1] neg_hi:[0,1]
	s_delay_alu instid0(VALU_DEP_2) | instskip(SKIP_1) | instid1(VALU_DEP_2)
	v_add_f32_e32 v29, v1, v15
	v_dual_max_num_f32 v1, v33, v21 :: v_dual_min_num_f32 v21, v33, v21
	v_pk_add_f32 v[30:31], v[22:23], v[28:29]
	s_delay_alu instid0(VALU_DEP_2) | instskip(SKIP_1) | instid1(VALU_DEP_4)
	v_frexp_mant_f32_e32 v15, v1
	v_frexp_exp_i32_f32_e32 v1, v1
	v_frexp_exp_i32_f32_e32 v33, v21
	v_frexp_mant_f32_e32 v21, v21
	v_mov_b32_e32 v25, v31
	v_rcp_f32_e32 v15, v15
	s_delay_alu instid0(VALU_DEP_3) | instskip(NEXT) | instid1(VALU_DEP_2)
	v_sub_nc_u32_e32 v1, v33, v1
	v_pk_add_f32 v[34:35], v[26:27], v[24:25]
	v_mov_b32_e32 v34, v31
	v_pk_add_f32 v[24:25], v[26:27], v[24:25] neg_lo:[0,1] neg_hi:[0,1]
	s_delay_alu instid0(TRANS32_DEP_1) | instid1(VALU_DEP_3)
	v_dual_mul_f32 v15, v21, v15 :: v_dual_mov_b32 v28, v35
	s_delay_alu instid0(VALU_DEP_1) | instskip(NEXT) | instid1(VALU_DEP_2)
	v_ldexp_f32 v15, v15, v1
	v_pk_add_f32 v[36:37], v[28:29], v[22:23] neg_lo:[0,1] neg_hi:[0,1]
	v_dual_mov_b32 v23, v22 :: v_dual_mov_b32 v22, v29
	s_delay_alu instid0(VALU_DEP_2) | instskip(SKIP_1) | instid1(VALU_DEP_2)
	v_dual_mul_f32 v21, v15, v15 :: v_dual_mov_b32 v39, v36
	v_mov_b32_e32 v1, v36
	v_pk_add_f32 v[26:27], v[34:35], v[38:39] neg_lo:[0,1] neg_hi:[0,1]
	s_delay_alu instid0(VALU_DEP_2) | instskip(SKIP_1) | instid1(VALU_DEP_3)
	v_pk_add_f32 v[30:31], v[30:31], v[0:1] neg_lo:[0,1] neg_hi:[0,1]
	v_mov_b32_e32 v30, v24
	v_pk_add_f32 v[22:23], v[22:23], v[26:27] neg_lo:[0,1] neg_hi:[0,1]
	s_delay_alu instid0(VALU_DEP_1) | instskip(NEXT) | instid1(VALU_DEP_1)
	v_pk_add_f32 v[26:27], v[30:31], v[22:23]
	v_dual_fmaak_f32 v1, s21, v21, 0xbc7a590c :: v_dual_mov_b32 v30, v27
	s_delay_alu instid0(VALU_DEP_1) | instskip(NEXT) | instid1(VALU_DEP_2)
	v_fmaak_f32 v1, v21, v1, 0x3d29fb3f
	v_pk_add_f32 v[30:31], v[26:27], v[30:31]
	s_delay_alu instid0(VALU_DEP_2) | instskip(NEXT) | instid1(VALU_DEP_2)
	v_fmaak_f32 v1, v21, v1, 0xbd97d4d7
	v_pk_add_f32 v[28:29], v[28:29], v[30:31]
	s_delay_alu instid0(VALU_DEP_2) | instskip(NEXT) | instid1(VALU_DEP_2)
	v_fmaak_f32 v1, v21, v1, 0x3dd931b2
	v_dual_mov_b32 v25, v35 :: v_dual_mov_b32 v27, v28
	s_delay_alu instid0(VALU_DEP_2) | instskip(NEXT) | instid1(VALU_DEP_2)
	v_fmaak_f32 v1, v21, v1, 0xbe1160e6
	v_pk_add_f32 v[34:35], v[26:27], v[24:25] neg_lo:[0,1] neg_hi:[0,1]
	s_delay_alu instid0(VALU_DEP_2) | instskip(NEXT) | instid1(VALU_DEP_1)
	v_fmaak_f32 v1, v21, v1, 0x3e4cb8bf
	v_fmaak_f32 v1, v21, v1, 0xbeaaaa62
	s_delay_alu instid0(VALU_DEP_1) | instskip(NEXT) | instid1(VALU_DEP_4)
	v_dual_mov_b32 v23, v30 :: v_dual_mul_f32 v1, v21, v1
	v_sub_f32_e32 v25, v26, v34
	s_delay_alu instid0(VALU_DEP_2) | instskip(NEXT) | instid1(VALU_DEP_3)
	v_pk_add_f32 v[22:23], v[22:23], v[34:35] neg_lo:[0,1] neg_hi:[0,1]
	v_fmac_f32_e32 v15, v15, v1
	s_delay_alu instid0(VALU_DEP_3) | instskip(NEXT) | instid1(VALU_DEP_1)
	v_sub_f32_e32 v21, v24, v25
	v_add_f32_e32 v1, v22, v21
	s_delay_alu instid0(VALU_DEP_3) | instskip(NEXT) | instid1(VALU_DEP_1)
	v_sub_f32_e32 v21, 0x3fc90fdb, v15
	v_dual_cndmask_b32 v15, v15, v21, s2 :: v_dual_add_f32 v1, v1, v23
	v_cndmask_b32_e64 v21, 0, 0x40490fdb, vcc_lo
	v_cmp_gt_f32_e32 vcc_lo, 0, v6
	s_delay_alu instid0(VALU_DEP_3) | instskip(NEXT) | instid1(VALU_DEP_1)
	v_dual_sub_f32 v22, 0x40490fdb, v15 :: v_dual_add_f32 v1, v28, v1
	v_cndmask_b32_e64 v1, 0x7f800000, v1, s3
	s_delay_alu instid0(VALU_DEP_2)
	v_cndmask_b32_e32 v15, v15, v22, vcc_lo
	v_cndmask_b32_e32 v22, 0x3f490fdb, v32, vcc_lo
	v_cmp_gt_f32_e64 vcc_lo, 0x33800000, |v20|
	v_cmp_class_f32_e64 s3, v7, 0x204
	v_cndmask_b32_e32 v1, v1, v20, vcc_lo
	v_cmp_eq_f32_e32 vcc_lo, 0, v7
	v_cndmask_b32_e32 v15, v15, v21, vcc_lo
	s_and_b32 vcc_lo, s6, s3
	s_delay_alu instid0(VALU_DEP_1) | instid1(SALU_CYCLE_1)
	v_dual_mul_f32 v21, 0.5, v1 :: v_dual_cndmask_b32 v1, v15, v22, vcc_lo
                                        ; implicit-def: $vgpr22
.LBB192_26:                             ;   in Loop: Header=BB192_5 Depth=1
	s_and_not1_saveexec_b32 s5, s5
	s_cbranch_execz .LBB192_28
; %bb.27:                               ;   in Loop: Header=BB192_5 Depth=1
	v_max_num_f32_e64 v1, |v7|, |v7|
	v_max_num_f32_e64 v15, |v6|, |v6|
	v_cmp_eq_f32_e64 s3, 0, v7
	v_cmp_gt_i32_e32 vcc_lo, 0, v6
	v_cmp_class_f32_e64 s6, v6, 0x204
	v_cmp_class_f32_e64 s7, v7, 0x204
	v_dual_max_num_f32 v20, v15, v1 :: v_dual_min_num_f32 v1, v15, v1
	s_delay_alu instid0(VALU_DEP_1) | instskip(SKIP_1) | instid1(VALU_DEP_2)
	v_frexp_mant_f32_e32 v21, v20
	v_frexp_exp_i32_f32_e32 v15, v20
	v_rcp_f32_e32 v20, v21
	v_nop
	v_frexp_exp_i32_f32_e32 v21, v1
	v_frexp_mant_f32_e32 v1, v1
	s_delay_alu instid0(VALU_DEP_2)
	v_sub_nc_u32_e32 v15, v21, v15
	s_delay_alu instid0(TRANS32_DEP_1) | instid1(VALU_DEP_2)
	v_mul_f32_e32 v1, v1, v20
	s_delay_alu instid0(VALU_DEP_1) | instskip(NEXT) | instid1(VALU_DEP_1)
	v_ldexp_f32 v1, v1, v15
	v_mul_f32_e32 v15, v1, v1
	s_delay_alu instid0(VALU_DEP_1) | instskip(NEXT) | instid1(VALU_DEP_1)
	v_fmaak_f32 v20, s21, v15, 0xbc7a590c
	v_fmaak_f32 v20, v15, v20, 0x3d29fb3f
	s_delay_alu instid0(VALU_DEP_1) | instskip(NEXT) | instid1(VALU_DEP_1)
	v_fmaak_f32 v20, v15, v20, 0xbd97d4d7
	v_fmaak_f32 v20, v15, v20, 0x3dd931b2
	;; [unrolled: 3-line block ×3, first 2 shown]
	s_delay_alu instid0(VALU_DEP_1) | instskip(NEXT) | instid1(VALU_DEP_1)
	v_fmaak_f32 v20, v15, v20, 0xbeaaaa62
	v_mul_f32_e32 v15, v15, v20
	v_cndmask_b32_e64 v20, 0, 0x40490fdb, vcc_lo
	v_cmp_gt_f32_e32 vcc_lo, 0, v6
	s_delay_alu instid0(VALU_DEP_3) | instskip(NEXT) | instid1(VALU_DEP_1)
	v_fmac_f32_e32 v1, v1, v15
	v_sub_f32_e32 v15, 0x3fc90fdb, v1
	s_delay_alu instid0(VALU_DEP_1) | instskip(NEXT) | instid1(VALU_DEP_1)
	v_cndmask_b32_e64 v1, v1, v15, s2
	v_sub_f32_e32 v15, 0x40490fdb, v1
	s_delay_alu instid0(VALU_DEP_1) | instskip(NEXT) | instid1(VALU_DEP_1)
	v_dual_cndmask_b32 v1, v1, v15, vcc_lo :: v_dual_mul_f32 v15, 0.5, v22
	v_cndmask_b32_e64 v1, v1, v20, s3
	v_cndmask_b32_e32 v20, 0x3f490fdb, v32, vcc_lo
	s_and_b32 vcc_lo, s6, s7
	s_delay_alu instid0(VALU_DEP_1) | instid1(SALU_CYCLE_1)
	v_dual_mul_f32 v21, v22, v15 :: v_dual_cndmask_b32 v1, v1, v20, vcc_lo
.LBB192_28:                             ;   in Loop: Header=BB192_5 Depth=1
	s_or_b32 exec_lo, exec_lo, s5
.LBB192_29:                             ;   in Loop: Header=BB192_5 Depth=1
	s_delay_alu instid0(SALU_CYCLE_1)
	s_or_b32 exec_lo, exec_lo, s4
.LBB192_30:                             ;   in Loop: Header=BB192_5 Depth=1
	s_and_not1_saveexec_b32 s4, s24
	s_cbranch_execz .LBB192_32
; %bb.31:                               ;   in Loop: Header=BB192_5 Depth=1
	v_div_scale_f32 v1, null, 0x402df854, 0x402df854, v6
	v_div_scale_f32 v15, null, 0x402df854, 0x402df854, v7
	v_div_scale_f32 v24, vcc_lo, v6, 0x402df854, v6
	s_delay_alu instid0(VALU_DEP_3) | instskip(NEXT) | instid1(VALU_DEP_2)
	v_rcp_f32_e32 v20, v1
	v_rcp_f32_e32 v21, v15
	v_cmp_class_f32_e64 s5, v7, 0x204
	s_delay_alu instid0(TRANS32_DEP_2) | instskip(NEXT) | instid1(TRANS32_DEP_1)
	v_fma_f32 v22, -v1, v20, 1.0
	v_fma_f32 v23, -v15, v21, 1.0
	s_delay_alu instid0(VALU_DEP_1) | instskip(SKIP_1) | instid1(VALU_DEP_1)
	v_dual_fmac_f32 v20, v22, v20 :: v_dual_fmac_f32 v21, v23, v21
	v_div_scale_f32 v22, s3, v7, 0x402df854, v7
	v_dual_mul_f32 v23, v24, v20 :: v_dual_mul_f32 v25, v22, v21
	s_delay_alu instid0(VALU_DEP_1) | instskip(NEXT) | instid1(VALU_DEP_1)
	v_dual_fma_f32 v26, -v1, v23, v24 :: v_dual_fma_f32 v27, -v15, v25, v22
	v_dual_fmac_f32 v23, v26, v20 :: v_dual_fmac_f32 v25, v27, v21
	s_delay_alu instid0(VALU_DEP_1) | instskip(NEXT) | instid1(VALU_DEP_1)
	v_dual_fma_f32 v1, -v1, v23, v24 :: v_dual_fma_f32 v15, -v15, v25, v22
	v_div_fmas_f32 v1, v1, v20, v23
	s_mov_b32 vcc_lo, s3
	v_max_num_f32_e64 v23, |v6|, |v6|
	s_delay_alu instid0(VALU_DEP_3) | instskip(SKIP_2) | instid1(VALU_DEP_3)
	v_div_fmas_f32 v15, v15, v21, v25
	v_cmp_class_f32_e64 s3, v6, 0x204
	v_div_fixup_f32 v1, v1, 0x402df854, v6
	v_div_fixup_f32 v15, v15, 0x402df854, v7
	s_delay_alu instid0(VALU_DEP_1) | instskip(NEXT) | instid1(VALU_DEP_1)
	v_max_num_f32_e64 v22, |v1|, |v15|
	v_cvt_f64_f32_e32 v[20:21], v22
	v_cmp_neq_f32_e32 vcc_lo, 0x7f800000, v22
	s_delay_alu instid0(VALU_DEP_2) | instskip(SKIP_1) | instid1(VALU_DEP_1)
	v_frexp_exp_i32_f64_e32 v20, v[20:21]
	v_max_num_f32_e64 v21, |v7|, |v7|
	v_dual_max_num_f32 v24, v23, v21 :: v_dual_min_num_f32 v21, v23, v21
	s_delay_alu instid0(VALU_DEP_1) | instskip(SKIP_1) | instid1(VALU_DEP_2)
	v_frexp_mant_f32_e32 v25, v24
	v_frexp_exp_i32_f32_e32 v23, v24
	v_rcp_f32_e32 v24, v25
	v_nop
	v_frexp_exp_i32_f32_e32 v25, v21
	v_frexp_mant_f32_e32 v21, v21
	s_delay_alu instid0(VALU_DEP_2)
	v_sub_nc_u32_e32 v23, v25, v23
	s_delay_alu instid0(TRANS32_DEP_1) | instid1(VALU_DEP_2)
	v_mul_f32_e32 v21, v21, v24
	v_sub_nc_u32_e32 v24, 0, v20
	s_delay_alu instid0(VALU_DEP_1) | instskip(SKIP_1) | instid1(VALU_DEP_2)
	v_ldexp_f32 v15, |v15|, v24
	v_ldexp_f32 v1, |v1|, v24
	v_mul_f32_e32 v15, v15, v15
	v_ldexp_f32 v21, v21, v23
	s_delay_alu instid0(VALU_DEP_2) | instskip(NEXT) | instid1(VALU_DEP_1)
	v_fmac_f32_e32 v15, v1, v1
	v_sqrt_f32_e32 v15, v15
	v_nop
	s_delay_alu instid0(TRANS32_DEP_1) | instskip(NEXT) | instid1(VALU_DEP_1)
	v_ldexp_f32 v15, v15, v20
	v_cndmask_b32_e32 v15, 0x7f800000, v15, vcc_lo
	s_delay_alu instid0(VALU_DEP_1) | instskip(SKIP_1) | instid1(VALU_DEP_1)
	v_cmp_gt_f32_e32 vcc_lo, 0x800000, v15
	v_cndmask_b32_e64 v20, 0, 32, vcc_lo
	v_ldexp_f32 v15, v15, v20
	s_delay_alu instid0(VALU_DEP_1) | instskip(SKIP_1) | instid1(TRANS32_DEP_1)
	v_log_f32_e32 v15, v15
	v_nop
	v_dual_mul_f32 v23, v21, v21 :: v_dual_mul_f32 v20, 0x3f317217, v15
	s_delay_alu instid0(VALU_DEP_1) | instskip(NEXT) | instid1(VALU_DEP_1)
	v_fmaak_f32 v24, s21, v23, 0xbc7a590c
	v_fmaak_f32 v1, v23, v24, 0x3d29fb3f
	s_delay_alu instid0(VALU_DEP_1) | instskip(NEXT) | instid1(VALU_DEP_1)
	v_fmaak_f32 v1, v23, v1, 0xbd97d4d7
	v_fmaak_f32 v1, v23, v1, 0x3dd931b2
	;; [unrolled: 3-line block ×3, first 2 shown]
	s_delay_alu instid0(VALU_DEP_1) | instskip(NEXT) | instid1(VALU_DEP_1)
	v_fmaak_f32 v1, v23, v1, 0xbeaaaa62
	v_mul_f32_e32 v1, v23, v1
	v_cndmask_b32_e64 v23, 0, 0x41b17218, vcc_lo
	v_cmp_gt_f32_e64 vcc_lo, 0x7f800000, |v15|
	s_delay_alu instid0(VALU_DEP_3) | instskip(SKIP_1) | instid1(VALU_DEP_1)
	v_fmac_f32_e32 v21, v21, v1
	v_fma_f32 v1, 0x3f317217, v15, -v20
	v_fmac_f32_e32 v1, 0x3377d1cf, v15
	s_delay_alu instid0(VALU_DEP_1) | instskip(NEXT) | instid1(VALU_DEP_1)
	v_fmac_f32_e32 v1, 0x3f317217, v15
	v_cndmask_b32_e32 v1, v15, v1, vcc_lo
	v_sub_f32_e32 v20, 0x3fc90fdb, v21
	v_cmp_eq_f32_e32 vcc_lo, 0, v7
	s_delay_alu instid0(VALU_DEP_3) | instskip(NEXT) | instid1(VALU_DEP_3)
	v_sub_f32_e32 v1, v1, v23
	v_cndmask_b32_e64 v20, v21, v20, s2
	v_cmp_gt_i32_e64 s2, 0, v6
	s_delay_alu instid0(VALU_DEP_2) | instskip(NEXT) | instid1(VALU_DEP_2)
	v_sub_f32_e32 v22, 0x40490fdb, v20
	v_cndmask_b32_e64 v21, 0, 0x40490fdb, s2
	v_cmp_gt_f32_e64 s2, 0, v6
	s_delay_alu instid0(VALU_DEP_1) | instskip(SKIP_1) | instid1(VALU_DEP_2)
	v_cndmask_b32_e64 v15, v20, v22, s2
	v_cndmask_b32_e64 v20, 0x3f490fdb, v32, s2
	v_cndmask_b32_e32 v15, v15, v21, vcc_lo
	s_and_b32 vcc_lo, s3, s5
	s_delay_alu instid0(VALU_DEP_1) | instid1(SALU_CYCLE_1)
	v_dual_add_f32 v21, 1.0, v1 :: v_dual_cndmask_b32 v1, v15, v20, vcc_lo
.LBB192_32:                             ;   in Loop: Header=BB192_5 Depth=1
	s_or_b32 exec_lo, exec_lo, s4
.LBB192_33:                             ;   in Loop: Header=BB192_5 Depth=1
	s_and_not1_saveexec_b32 s2, s23
	s_cbranch_execz .LBB192_39
; %bb.34:                               ;   in Loop: Header=BB192_5 Depth=1
	v_cmp_ngt_f32_e64 s3, 0x20000000, |v6|
	v_cmp_ngt_f32_e64 s4, 0x20000000, |v7|
                                        ; implicit-def: $vgpr1
	s_or_b32 s3, s3, s4
	s_delay_alu instid0(SALU_CYCLE_1) | instskip(NEXT) | instid1(SALU_CYCLE_1)
	s_and_saveexec_b32 s4, s3
	s_xor_b32 s3, exec_lo, s4
; %bb.35:                               ;   in Loop: Header=BB192_5 Depth=1
	v_pk_mul_f32 v[20:21], v[6:7], v[6:7]
	s_delay_alu instid0(VALU_DEP_1)
	v_add_f32_e32 v1, v20, v21
; %bb.36:                               ;   in Loop: Header=BB192_5 Depth=1
	s_and_not1_saveexec_b32 s3, s3
; %bb.37:                               ;   in Loop: Header=BB192_5 Depth=1
	v_pk_mul_f32 v[20:21], v[6:7], 4.0 op_sel_hi:[1,0]
	s_delay_alu instid0(VALU_DEP_1) | instskip(NEXT) | instid1(VALU_DEP_1)
	v_pk_mul_f32 v[20:21], v[20:21], v[20:21]
	v_add_f32_e32 v1, v20, v21
	s_delay_alu instid0(VALU_DEP_1)
	v_mul_f32_e32 v1, 0x3d800000, v1
; %bb.38:                               ;   in Loop: Header=BB192_5 Depth=1
	s_or_b32 exec_lo, exec_lo, s3
	s_delay_alu instid0(VALU_DEP_1) | instskip(SKIP_2) | instid1(VALU_DEP_2)
	v_cmp_gt_f32_e32 vcc_lo, 0x800000, v1
	v_cndmask_b32_e64 v6, 0, 32, vcc_lo
	v_cndmask_b32_e64 v15, 0, 0x41b17218, vcc_lo
	v_ldexp_f32 v1, v1, v6
	s_delay_alu instid0(VALU_DEP_1) | instskip(SKIP_1) | instid1(TRANS32_DEP_1)
	v_log_f32_e32 v1, v1
	v_nop
	v_mul_f32_e32 v6, 0x3f317217, v1
	v_cmp_gt_f32_e64 vcc_lo, 0x7f800000, |v1|
	s_delay_alu instid0(VALU_DEP_2) | instskip(NEXT) | instid1(VALU_DEP_1)
	v_fma_f32 v6, 0x3f317217, v1, -v6
	v_fmac_f32_e32 v6, 0x3377d1cf, v1
	s_delay_alu instid0(VALU_DEP_1) | instskip(NEXT) | instid1(VALU_DEP_1)
	v_fmac_f32_e32 v6, 0x3f317217, v1
	v_cndmask_b32_e32 v1, v1, v6, vcc_lo
	s_delay_alu instid0(VALU_DEP_1)
	v_sub_f32_e32 v21, v1, v15
	v_mov_b32_e32 v1, 0x7fc00000
.LBB192_39:                             ;   in Loop: Header=BB192_5 Depth=1
	s_or_b32 exec_lo, exec_lo, s2
                                        ; implicit-def: $vgpr23
                                        ; implicit-def: $vgpr6
	s_delay_alu instid0(SALU_CYCLE_1)
	s_mov_b32 s2, exec_lo
	v_cmpx_o_f32_e32 v9, v8
	s_xor_b32 s23, exec_lo, s2
	s_cbranch_execz .LBB192_67
; %bb.40:                               ;   in Loop: Header=BB192_5 Depth=1
	v_cmp_lt_f32_e64 s2, |v8|, |v9|
                                        ; implicit-def: $vgpr23
                                        ; implicit-def: $vgpr6
	s_mov_b32 s4, exec_lo
	v_cndmask_b32_e64 v15, v9, v8, s2
	s_delay_alu instid0(VALU_DEP_1)
	v_cmpx_nlt_f32_e64 0x77f684df, |v15|
	s_xor_b32 s24, exec_lo, s4
	s_cbranch_execz .LBB192_64
; %bb.41:                               ;   in Loop: Header=BB192_5 Depth=1
	v_cndmask_b32_e64 v6, v8, v9, s2
	v_and_b32_e32 v24, 0x7fffffff, v15
                                        ; implicit-def: $vgpr23
	s_mov_b32 s3, exec_lo
	s_delay_alu instid0(VALU_DEP_2) | instskip(NEXT) | instid1(VALU_DEP_1)
	v_and_b32_e32 v25, 0x7fffffff, v6
                                        ; implicit-def: $vgpr6
	v_cmpx_neq_f32_e32 1.0, v25
	s_xor_b32 s25, exec_lo, s3
	s_cbranch_execz .LBB192_57
; %bb.42:                               ;   in Loop: Header=BB192_5 Depth=1
	v_dual_max_num_f32 v6, v24, v24 :: v_dual_max_num_f32 v15, v25, v25
                                        ; implicit-def: $vgpr23
	s_delay_alu instid0(VALU_DEP_1) | instskip(NEXT) | instid1(VALU_DEP_1)
	v_dual_min_num_f32 v20, v15, v6 :: v_dual_max_num_f32 v6, v15, v6
	v_cmp_ngt_f32_e32 vcc_lo, 0x358637bd, v20
	s_delay_alu instid0(VALU_DEP_2) | instskip(SKIP_1) | instid1(SALU_CYCLE_1)
	v_cmp_nlt_f32_e64 s3, 0x49742400, v6
                                        ; implicit-def: $vgpr6
	s_and_b32 s3, s3, vcc_lo
	s_and_saveexec_b32 s4, s3
	s_delay_alu instid0(SALU_CYCLE_1)
	s_xor_b32 s26, exec_lo, s4
	s_cbranch_execz .LBB192_54
; %bb.43:                               ;   in Loop: Header=BB192_5 Depth=1
                                        ; implicit-def: $vgpr23
                                        ; implicit-def: $vgpr6
	s_mov_b32 s3, exec_lo
	v_cmpx_le_f32_e32 1.0, v25
	s_xor_b32 s4, exec_lo, s3
	s_cbranch_execz .LBB192_45
; %bb.44:                               ;   in Loop: Header=BB192_5 Depth=1
	v_pk_add_f32 v[22:23], v[24:25], v[12:13] op_sel:[1,0]
	v_mov_b32_e32 v26, v24
	v_cmp_class_f32_e64 s5, v8, 0x204
	s_delay_alu instid0(VALU_DEP_3) | instskip(SKIP_1) | instid1(VALU_DEP_1)
	v_dual_mov_b32 v25, v22 :: v_dual_mov_b32 v27, v23
	v_mul_f32_e32 v6, v22, v23
	v_pk_fma_f32 v[22:23], v[24:25], v[26:27], v[6:7] op_sel_hi:[1,1,0]
	s_delay_alu instid0(VALU_DEP_1) | instskip(SKIP_1) | instid1(VALU_DEP_2)
	v_add_f32_e32 v25, 1.0, v22
	v_cmp_neq_f32_e64 s3, -1.0, v22
	v_add_f32_e32 v23, -1.0, v25
	s_delay_alu instid0(VALU_DEP_1) | instskip(SKIP_2) | instid1(VALU_DEP_1)
	v_mov_b32_e32 v24, v23
	v_cvt_f64_f32_e32 v[26:27], v25
	v_frexp_mant_f32_e32 v15, v25
	v_cmp_gt_f32_e32 vcc_lo, 0x3f2aaaab, v15
	s_delay_alu instid0(VALU_DEP_3) | instskip(NEXT) | instid1(VALU_DEP_1)
	v_frexp_exp_i32_f64_e32 v6, v[26:27]
	v_subrev_co_ci_u32_e64 v6, null, 0, v6, vcc_lo
	v_cmp_neq_f32_e32 vcc_lo, 0x7f800000, v22
	s_delay_alu instid0(VALU_DEP_2) | instskip(SKIP_1) | instid1(VALU_DEP_2)
	v_sub_nc_u32_e32 v15, 0, v6
	v_pk_add_f32 v[26:27], v[22:23], v[24:25] neg_lo:[0,1] neg_hi:[0,1]
	v_ldexp_f32 v20, v25, v15
	s_delay_alu instid0(VALU_DEP_1) | instskip(NEXT) | instid1(VALU_DEP_1)
	v_dual_add_f32 v23, 1.0, v27 :: v_dual_add_f32 v24, 1.0, v20
	v_dual_add_f32 v23, v26, v23 :: v_dual_add_f32 v25, -1.0, v24
	v_add_f32_e32 v29, -1.0, v20
	s_delay_alu instid0(VALU_DEP_2) | instskip(NEXT) | instid1(VALU_DEP_3)
	v_ldexp_f32 v15, v23, v15
	v_sub_f32_e32 v23, v20, v25
	s_delay_alu instid0(VALU_DEP_1) | instskip(NEXT) | instid1(VALU_DEP_1)
	v_dual_add_f32 v25, 1.0, v29 :: v_dual_add_f32 v23, v15, v23
	v_sub_f32_e32 v20, v20, v25
	s_delay_alu instid0(VALU_DEP_1) | instskip(NEXT) | instid1(VALU_DEP_1)
	v_dual_add_f32 v30, v24, v23 :: v_dual_add_f32 v15, v15, v20
	v_rcp_f32_e32 v20, v30
	s_delay_alu instid0(VALU_DEP_1)
	v_add_f32_e32 v25, v29, v15
	s_delay_alu instid0(TRANS32_DEP_1) | instid1(VALU_DEP_1)
	v_dual_sub_f32 v33, v25, v29 :: v_dual_mul_f32 v31, v25, v20
	s_delay_alu instid0(VALU_DEP_1) | instskip(NEXT) | instid1(VALU_DEP_1)
	v_dual_sub_f32 v24, v30, v24 :: v_dual_sub_f32 v15, v15, v33
	v_dual_mul_f32 v26, v30, v31 :: v_dual_sub_f32 v23, v23, v24
	s_delay_alu instid0(VALU_DEP_1) | instskip(NEXT) | instid1(VALU_DEP_1)
	v_fma_f32 v28, v31, v30, -v26
	v_fmac_f32_e32 v28, v31, v23
	s_delay_alu instid0(VALU_DEP_1) | instskip(NEXT) | instid1(VALU_DEP_1)
	v_add_f32_e32 v24, v26, v28
	v_dual_sub_f32 v27, v25, v24 :: v_dual_mov_b32 v29, v24
	s_delay_alu instid0(VALU_DEP_1) | instskip(NEXT) | instid1(VALU_DEP_1)
	v_pk_add_f32 v[24:25], v[24:25], v[26:27] neg_lo:[0,1] neg_hi:[0,1]
	v_pk_add_f32 v[24:25], v[24:25], v[28:29] neg_lo:[0,1] neg_hi:[0,1]
	s_delay_alu instid0(VALU_DEP_1) | instskip(NEXT) | instid1(VALU_DEP_1)
	v_add_f32_e32 v15, v15, v25
	v_add_f32_e32 v15, v24, v15
	s_delay_alu instid0(VALU_DEP_1) | instskip(NEXT) | instid1(VALU_DEP_1)
	v_add_f32_e32 v25, v27, v15
	v_mul_f32_e32 v33, v20, v25
	s_delay_alu instid0(VALU_DEP_1) | instskip(NEXT) | instid1(VALU_DEP_1)
	v_mul_f32_e32 v28, v30, v33
	v_fma_f32 v26, v33, v30, -v28
	s_delay_alu instid0(VALU_DEP_1) | instskip(NEXT) | instid1(VALU_DEP_1)
	v_fmac_f32_e32 v26, v33, v23
	v_dual_add_f32 v24, v28, v26 :: v_dual_sub_f32 v23, v27, v25
	s_delay_alu instid0(VALU_DEP_1) | instskip(NEXT) | instid1(VALU_DEP_2)
	v_dual_sub_f32 v29, v25, v24 :: v_dual_mov_b32 v27, v24
	v_add_f32_e32 v15, v15, v23
	s_delay_alu instid0(VALU_DEP_2) | instskip(NEXT) | instid1(VALU_DEP_1)
	v_pk_add_f32 v[24:25], v[24:25], v[28:29] neg_lo:[0,1] neg_hi:[0,1]
	v_pk_add_f32 v[24:25], v[24:25], v[26:27] neg_lo:[0,1] neg_hi:[0,1]
	s_delay_alu instid0(VALU_DEP_1) | instskip(NEXT) | instid1(VALU_DEP_1)
	v_add_f32_e32 v15, v15, v25
	v_dual_add_f32 v23, v31, v33 :: v_dual_add_f32 v15, v24, v15
	s_delay_alu instid0(VALU_DEP_1) | instskip(NEXT) | instid1(VALU_DEP_2)
	v_sub_f32_e32 v24, v23, v31
	v_add_f32_e32 v15, v29, v15
	s_delay_alu instid0(VALU_DEP_1) | instskip(NEXT) | instid1(VALU_DEP_1)
	v_dual_sub_f32 v24, v33, v24 :: v_dual_mul_f32 v15, v20, v15
	v_add_f32_e32 v20, v24, v15
	v_cvt_f32_i32_e32 v24, v6
	s_delay_alu instid0(VALU_DEP_2) | instskip(NEXT) | instid1(VALU_DEP_1)
	v_add_f32_e32 v30, v23, v20
	v_mul_f32_e32 v15, v30, v30
	v_ldexp_f32 v29, v30, 1
	v_sub_f32_e32 v6, v30, v23
	s_delay_alu instid0(VALU_DEP_3) | instskip(NEXT) | instid1(VALU_DEP_2)
	v_dual_fmaak_f32 v26, s20, v15, 0x3ecc95a3 :: v_dual_mul_f32 v25, v30, v15
	v_sub_f32_e32 v6, v20, v6
	s_delay_alu instid0(VALU_DEP_2) | instskip(NEXT) | instid1(VALU_DEP_2)
	v_fmaak_f32 v15, v15, v26, 0x3f2aaada
	v_ldexp_f32 v6, v6, 1
	s_delay_alu instid0(VALU_DEP_2) | instskip(NEXT) | instid1(VALU_DEP_1)
	v_pk_mul_f32 v[26:27], v[24:25], v[14:15]
	v_fma_f32 v28, 0x3f317218, v24, -v26
	v_mov_b32_e32 v30, v26
	s_delay_alu instid0(VALU_DEP_2) | instskip(NEXT) | instid1(VALU_DEP_1)
	v_fmac_f32_e32 v28, 0xb102e308, v24
	v_pk_add_f32 v[24:25], v[26:27], v[28:29]
	s_delay_alu instid0(VALU_DEP_1) | instskip(NEXT) | instid1(VALU_DEP_1)
	v_dual_sub_f32 v15, v25, v29 :: v_dual_mov_b32 v29, v24
	v_dual_mov_b32 v40, v25 :: v_dual_sub_f32 v15, v27, v15
	v_pk_add_f32 v[26:27], v[24:25], v[26:27] neg_lo:[0,1] neg_hi:[0,1]
	s_delay_alu instid0(VALU_DEP_2) | instskip(SKIP_2) | instid1(VALU_DEP_3)
	v_add_f32_e32 v31, v6, v15
	v_max_num_f32_e64 v6, |v9|, |v9|
	v_max_num_f32_e64 v15, |v8|, |v8|
	v_pk_add_f32 v[34:35], v[24:25], v[30:31]
	s_delay_alu instid0(VALU_DEP_2) | instskip(NEXT) | instid1(VALU_DEP_2)
	v_dual_max_num_f32 v20, v15, v6 :: v_dual_min_num_f32 v15, v15, v6
	v_mov_b32_e32 v27, v35
	s_delay_alu instid0(VALU_DEP_2) | instskip(SKIP_1) | instid1(VALU_DEP_4)
	v_frexp_exp_i32_f32_e32 v23, v20
	v_frexp_mant_f32_e32 v20, v20
	v_frexp_exp_i32_f32_e32 v30, v15
	s_delay_alu instid0(VALU_DEP_4) | instskip(SKIP_3) | instid1(VALU_DEP_3)
	v_pk_add_f32 v[36:37], v[28:29], v[26:27]
	v_frexp_mant_f32_e32 v33, v15
	v_pk_add_f32 v[26:27], v[28:29], v[26:27] neg_lo:[0,1] neg_hi:[0,1]
	v_rcp_f32_e32 v20, v20
	v_dual_mov_b32 v6, v37 :: v_dual_sub_nc_u32 v23, v30, v23
	v_mov_b32_e32 v27, v37
	s_delay_alu instid0(VALU_DEP_2) | instskip(SKIP_1) | instid1(TRANS32_DEP_1)
	v_pk_add_f32 v[38:39], v[6:7], v[24:25] neg_lo:[0,1] neg_hi:[0,1]
	v_dual_mov_b32 v36, v35 :: v_dual_mov_b32 v25, v24
	v_dual_mov_b32 v24, v31 :: v_dual_mul_f32 v20, v33, v20
	s_delay_alu instid0(VALU_DEP_3) | instskip(NEXT) | instid1(VALU_DEP_1)
	v_dual_mov_b32 v15, v38 :: v_dual_mov_b32 v41, v38
	v_pk_add_f32 v[30:31], v[34:35], v[14:15] neg_lo:[0,1] neg_hi:[0,1]
	s_delay_alu instid0(VALU_DEP_2) | instskip(NEXT) | instid1(VALU_DEP_4)
	v_pk_add_f32 v[28:29], v[36:37], v[40:41] neg_lo:[0,1] neg_hi:[0,1]
	v_ldexp_f32 v15, v20, v23
	v_mov_b32_e32 v30, v26
	s_delay_alu instid0(VALU_DEP_3) | instskip(NEXT) | instid1(VALU_DEP_3)
	v_pk_add_f32 v[24:25], v[24:25], v[28:29] neg_lo:[0,1] neg_hi:[0,1]
	v_mul_f32_e32 v23, v15, v15
	s_delay_alu instid0(VALU_DEP_2) | instskip(NEXT) | instid1(VALU_DEP_1)
	v_pk_add_f32 v[28:29], v[30:31], v[24:25]
	v_dual_fmaak_f32 v25, s21, v23, 0xbc7a590c :: v_dual_mov_b32 v20, v29
	s_delay_alu instid0(VALU_DEP_1) | instskip(NEXT) | instid1(VALU_DEP_2)
	v_pk_add_f32 v[30:31], v[28:29], v[20:21]
	v_fmaak_f32 v20, v23, v25, 0x3d29fb3f
	s_delay_alu instid0(VALU_DEP_2) | instskip(NEXT) | instid1(VALU_DEP_2)
	v_pk_add_f32 v[34:35], v[6:7], v[30:31]
	v_dual_fmaak_f32 v6, v23, v20, 0xbd97d4d7 :: v_dual_mov_b32 v25, v30
	s_delay_alu instid0(VALU_DEP_1) | instskip(NEXT) | instid1(VALU_DEP_1)
	v_dual_mov_b32 v29, v34 :: v_dual_fmaak_f32 v6, v23, v6, 0x3dd931b2
	v_pk_add_f32 v[36:37], v[28:29], v[26:27] neg_lo:[0,1] neg_hi:[0,1]
	s_delay_alu instid0(VALU_DEP_2) | instskip(NEXT) | instid1(VALU_DEP_2)
	v_fmaak_f32 v6, v23, v6, 0xbe1160e6
	v_pk_add_f32 v[24:25], v[24:25], v[36:37] neg_lo:[0,1] neg_hi:[0,1]
	s_delay_alu instid0(VALU_DEP_2) | instskip(NEXT) | instid1(VALU_DEP_1)
	v_fmaak_f32 v6, v23, v6, 0x3e4cb8bf
	v_fmaak_f32 v6, v23, v6, 0xbeaaaa62
	s_delay_alu instid0(VALU_DEP_1) | instskip(NEXT) | instid1(VALU_DEP_1)
	v_dual_sub_f32 v20, v28, v36 :: v_dual_mul_f32 v6, v23, v6
	v_dual_sub_f32 v20, v26, v20 :: v_dual_fmac_f32 v15, v15, v6
	s_delay_alu instid0(VALU_DEP_1) | instskip(NEXT) | instid1(VALU_DEP_1)
	v_add_f32_e32 v20, v24, v20
	v_add_f32_e32 v20, v20, v25
	s_delay_alu instid0(VALU_DEP_1) | instskip(NEXT) | instid1(VALU_DEP_4)
	v_add_f32_e32 v6, v34, v20
	v_sub_f32_e32 v20, 0x3fc90fdb, v15
	s_delay_alu instid0(VALU_DEP_1) | instskip(NEXT) | instid1(VALU_DEP_3)
	v_cndmask_b32_e64 v15, v15, v20, s2
	v_cndmask_b32_e32 v6, 0x7f800000, v6, vcc_lo
	v_cmp_gt_i32_e32 vcc_lo, 0, v8
	s_delay_alu instid0(VALU_DEP_3) | instskip(SKIP_4) | instid1(VALU_DEP_2)
	v_sub_f32_e32 v23, 0x40490fdb, v15
	v_cndmask_b32_e64 v20, 0, 0x40490fdb, vcc_lo
	v_cmp_ngt_f32_e32 vcc_lo, -1.0, v22
	v_cndmask_b32_e32 v6, 0x7fc00000, v6, vcc_lo
	v_cmp_gt_f32_e32 vcc_lo, 0, v8
	v_cndmask_b32_e64 v6, 0xff800000, v6, s3
	v_cndmask_b32_e32 v15, v15, v23, vcc_lo
	v_cndmask_b32_e32 v24, 0x3f490fdb, v32, vcc_lo
	v_cmp_gt_f32_e64 vcc_lo, 0x33800000, |v22|
	v_cmp_class_f32_e64 s3, v9, 0x204
	v_cndmask_b32_e32 v6, v6, v22, vcc_lo
	v_cmp_eq_f32_e32 vcc_lo, 0, v9
	v_cndmask_b32_e32 v15, v15, v20, vcc_lo
	s_and_b32 vcc_lo, s5, s3
	s_delay_alu instid0(VALU_DEP_1)
	v_dual_mul_f32 v23, 0.5, v6 :: v_dual_cndmask_b32 v6, v15, v24
                                        ; implicit-def: $vgpr24_vgpr25
.LBB192_45:                             ;   in Loop: Header=BB192_5 Depth=1
	s_and_not1_saveexec_b32 s27, s4
	s_cbranch_execz .LBB192_53
; %bb.46:                               ;   in Loop: Header=BB192_5 Depth=1
	v_pk_mul_f32 v[22:23], v[24:25], v[24:25]
                                        ; implicit-def: $vgpr6
	s_mov_b32 s3, exec_lo
	s_delay_alu instid0(VALU_DEP_1) | instskip(NEXT) | instid1(VALU_DEP_1)
	v_add_f32_e32 v15, v23, v22
                                        ; implicit-def: $vgpr23
	v_cmpx_ge_f32_e32 0x3f333333, v15
	s_xor_b32 s4, exec_lo, s3
	s_cbranch_execz .LBB192_48
; %bb.47:                               ;   in Loop: Header=BB192_5 Depth=1
	v_max_num_f32_e64 v6, |v9|, |v9|
	v_max_num_f32_e64 v20, |v8|, |v8|
	v_cmp_gt_f32_e32 vcc_lo, 0x800000, v15
	v_cmp_gt_i32_e64 s3, 0, v8
	v_cmp_class_f32_e64 s5, v8, 0x204
	v_cmp_class_f32_e64 s6, v9, 0x204
	v_dual_max_num_f32 v22, v20, v6 :: v_dual_min_num_f32 v6, v20, v6
	v_cndmask_b32_e64 v24, 0, 0x41b17218, vcc_lo
	s_delay_alu instid0(VALU_DEP_2) | instskip(SKIP_1) | instid1(VALU_DEP_2)
	v_frexp_mant_f32_e32 v23, v22
	v_frexp_exp_i32_f32_e32 v20, v22
	v_rcp_f32_e32 v22, v23
	v_nop
	v_frexp_exp_i32_f32_e32 v23, v6
	v_frexp_mant_f32_e32 v6, v6
	s_delay_alu instid0(TRANS32_DEP_1) | instid1(VALU_DEP_1)
	v_dual_sub_nc_u32 v20, v23, v20 :: v_dual_mul_f32 v6, v6, v22
	v_cndmask_b32_e64 v23, 0, 32, vcc_lo
	s_delay_alu instid0(VALU_DEP_2) | instskip(NEXT) | instid1(VALU_DEP_2)
	v_ldexp_f32 v6, v6, v20
	v_ldexp_f32 v15, v15, v23
	s_delay_alu instid0(VALU_DEP_2) | instskip(NEXT) | instid1(VALU_DEP_2)
	v_mul_f32_e32 v20, v6, v6
	v_log_f32_e32 v15, v15
	s_delay_alu instid0(VALU_DEP_1) | instskip(NEXT) | instid1(TRANS32_DEP_1)
	v_fmaak_f32 v22, s21, v20, 0xbc7a590c
	v_cmp_gt_f32_e64 vcc_lo, 0x7f800000, |v15|
	s_delay_alu instid0(VALU_DEP_2) | instskip(NEXT) | instid1(VALU_DEP_1)
	v_fmaak_f32 v22, v20, v22, 0x3d29fb3f
	v_fmaak_f32 v22, v20, v22, 0xbd97d4d7
	s_delay_alu instid0(VALU_DEP_1) | instskip(NEXT) | instid1(VALU_DEP_1)
	v_fmaak_f32 v22, v20, v22, 0x3dd931b2
	v_fmaak_f32 v22, v20, v22, 0xbe1160e6
	s_delay_alu instid0(VALU_DEP_1) | instskip(NEXT) | instid1(VALU_DEP_1)
	v_fmaak_f32 v22, v20, v22, 0x3e4cb8bf
	v_fmaak_f32 v22, v20, v22, 0xbeaaaa62
	s_delay_alu instid0(VALU_DEP_1) | instskip(SKIP_1) | instid1(VALU_DEP_2)
	v_mul_f32_e32 v20, v20, v22
	v_mul_f32_e32 v22, 0x3f317217, v15
	v_fmac_f32_e32 v6, v6, v20
	s_delay_alu instid0(VALU_DEP_2) | instskip(NEXT) | instid1(VALU_DEP_2)
	v_fma_f32 v20, 0x3f317217, v15, -v22
	v_sub_f32_e32 v22, 0x3fc90fdb, v6
	s_delay_alu instid0(VALU_DEP_2) | instskip(NEXT) | instid1(VALU_DEP_2)
	v_fmac_f32_e32 v20, 0x3377d1cf, v15
	v_cndmask_b32_e64 v6, v6, v22, s2
	s_delay_alu instid0(VALU_DEP_2) | instskip(SKIP_2) | instid1(VALU_DEP_4)
	v_fmac_f32_e32 v20, 0x3f317217, v15
	v_cndmask_b32_e64 v22, 0, 0x40490fdb, s3
	v_cmp_eq_f32_e64 s3, 0, v9
	v_sub_f32_e32 v23, 0x40490fdb, v6
	s_delay_alu instid0(VALU_DEP_4) | instskip(SKIP_1) | instid1(VALU_DEP_2)
	v_cndmask_b32_e32 v15, v15, v20, vcc_lo
	v_cmp_gt_f32_e32 vcc_lo, 0, v8
	v_dual_sub_f32 v15, v15, v24 :: v_dual_cndmask_b32 v6, v6, v23
	v_cndmask_b32_e32 v20, 0x3f490fdb, v32, vcc_lo
	s_and_b32 vcc_lo, s5, s6
                                        ; implicit-def: $vgpr24
	s_delay_alu instid0(VALU_DEP_2) | instskip(NEXT) | instid1(VALU_DEP_1)
	v_dual_mul_f32 v23, 0.5, v15 :: v_dual_cndmask_b32 v6, v6, v22, s3
	v_cndmask_b32_e32 v6, v6, v20, vcc_lo
.LBB192_48:                             ;   in Loop: Header=BB192_5 Depth=1
	s_and_not1_saveexec_b32 s28, s4
	s_cbranch_execz .LBB192_52
; %bb.49:                               ;   in Loop: Header=BB192_5 Depth=1
	v_and_b32_e32 v23, 0x7fff0000, v24
	v_and_b32_e32 v22, 0x7fff0000, v25
	s_mov_b32 s29, 0
	s_delay_alu instid0(VALU_DEP_1) | instskip(SKIP_2) | instid1(VALU_DEP_2)
	v_dual_add_f32 v29, v23, v23 :: v_dual_add_f32 v15, v22, v22
	v_pk_add_f32 v[24:25], v[24:25], v[22:23] op_sel:[1,0] op_sel_hi:[0,1] neg_lo:[0,1] neg_hi:[0,1]
	v_pk_mul_f32 v[22:23], v[22:23], v[22:23]
	v_and_b32_e32 v27, 0xffff0000, v25
	s_delay_alu instid0(VALU_DEP_3) | instskip(NEXT) | instid1(VALU_DEP_1)
	v_and_b32_e32 v26, 0xffff0000, v24
	v_dual_add_f32 v33, v27, v27 :: v_dual_add_f32 v31, v26, v26
	v_pk_add_f32 v[24:25], v[24:25], v[26:27] neg_lo:[0,1] neg_hi:[0,1]
	v_dual_mul_f32 v6, v15, v26 :: v_dual_mul_f32 v28, v29, v27
	v_pk_mul_f32 v[26:27], v[26:27], v[26:27]
	s_delay_alu instid0(VALU_DEP_3)
	v_dual_mul_f32 v20, v15, v24 :: v_dual_mul_f32 v30, v29, v25
	v_dual_mul_f32 v15, v31, v24 :: v_dual_mul_f32 v29, v33, v25
	v_pk_mul_f32 v[24:25], v[24:25], v[24:25]
.LBB192_50:                             ;   Parent Loop BB192_5 Depth=1
                                        ; =>  This Inner Loop Header: Depth=2
	v_cmp_nlt_f32_e32 vcc_lo, v22, v23
	v_dual_cndmask_b32 v31, v22, v23 :: v_dual_cndmask_b32 v22, v23, v22
	s_delay_alu instid0(VALU_DEP_1) | instskip(NEXT) | instid1(VALU_DEP_1)
	v_cmp_nlt_f32_e64 s3, v31, v6
	v_dual_cndmask_b32 v33, v31, v6, s3 :: v_dual_cndmask_b32 v23, v6, v31, s3
	s_and_b32 s3, vcc_lo, s3
	s_delay_alu instid0(VALU_DEP_1) | instskip(NEXT) | instid1(VALU_DEP_1)
	v_cmp_nlt_f32_e64 s4, v33, v28
	v_dual_cndmask_b32 v34, v33, v28, s4 :: v_dual_cndmask_b32 v6, v28, v33, s4
	s_delay_alu instid0(VALU_DEP_1) | instskip(NEXT) | instid1(VALU_DEP_1)
	v_cmp_nlt_f32_e64 s5, v34, v26
	v_cndmask_b32_e64 v31, v34, v26, s5
	s_and_b32 s30, s4, s5
	v_cndmask_b32_e64 v28, v26, v34, s5
	s_delay_alu instid0(VALU_DEP_2) | instskip(NEXT) | instid1(VALU_DEP_1)
	v_cmp_nlt_f32_e64 s6, v31, v27
	v_cndmask_b32_e64 v33, v31, v27, s6
	s_delay_alu instid0(VALU_DEP_1) | instskip(NEXT) | instid1(VALU_DEP_1)
	v_cmp_nlt_f32_e64 s7, v33, v20
	v_dual_cndmask_b32 v35, v33, v20, s7 :: v_dual_cndmask_b32 v26, v27, v31, s6
	v_cndmask_b32_e64 v27, v20, v33, s7
	s_and_b32 s6, s6, s7
	s_delay_alu instid0(VALU_DEP_2) | instskip(NEXT) | instid1(VALU_DEP_1)
	v_cmp_nlt_f32_e64 s8, v35, v30
	v_cndmask_b32_e64 v36, v35, v30, s8
	s_and_b32 s6, s6, s8
	s_delay_alu instid0(VALU_DEP_1) | instskip(NEXT) | instid1(VALU_DEP_1)
	v_cmp_nlt_f32_e64 s9, v36, v15
	v_cndmask_b32_e64 v34, v36, v15, s9
	s_and_b32 s7, s6, s9
	s_delay_alu instid0(VALU_DEP_1) | instskip(NEXT) | instid1(VALU_DEP_1)
	v_cmp_nlt_f32_e64 s4, v34, v29
	v_cndmask_b32_e64 v31, v34, v29, s4
	v_dual_cndmask_b32 v20, v30, v35, s8 :: v_dual_cndmask_b32 v30, v15, v36, s9
	s_delay_alu instid0(VALU_DEP_2) | instskip(NEXT) | instid1(VALU_DEP_1)
	v_cmp_nlt_f32_e64 s5, v31, v24
	v_dual_cndmask_b32 v33, v31, v24, s5 :: v_dual_cndmask_b32 v15, v29, v34, s4
	v_cndmask_b32_e64 v29, v24, v31, s5
	s_and_b32 s4, s7, s4
	s_delay_alu instid0(SALU_CYCLE_1) | instskip(NEXT) | instid1(VALU_DEP_2)
	s_and_b32 s4, s4, s5
	v_cmp_nlt_f32_e64 s6, v33, v25
	s_and_b32 s4, s4, s6
	v_cndmask_b32_e64 v24, v25, v33, s6
	s_and_b32 s4, s4, s30
	v_cndmask_b32_e64 v25, v33, v25, s6
	s_and_b32 s3, s4, s3
	s_delay_alu instid0(SALU_CYCLE_1) | instskip(NEXT) | instid1(SALU_CYCLE_1)
	s_and_b32 s3, exec_lo, s3
	s_or_b32 s29, s3, s29
	s_delay_alu instid0(SALU_CYCLE_1)
	s_and_not1_b32 exec_lo, exec_lo, s29
	s_cbranch_execnz .LBB192_50
; %bb.51:                               ;   in Loop: Header=BB192_5 Depth=1
	s_or_b32 exec_lo, exec_lo, s29
	v_add_f32_e32 v22, -1.0, v22
	v_cmp_class_f32_e64 s4, v8, 0x204
	s_delay_alu instid0(VALU_DEP_2) | instskip(NEXT) | instid1(VALU_DEP_1)
	v_add_f32_e32 v22, v22, v23
	v_add_f32_e32 v6, v22, v6
	s_delay_alu instid0(VALU_DEP_1) | instskip(NEXT) | instid1(VALU_DEP_1)
	v_add_f32_e32 v6, v6, v28
	v_add_f32_e32 v6, v6, v26
	s_delay_alu instid0(VALU_DEP_1) | instskip(NEXT) | instid1(VALU_DEP_1)
	;; [unrolled: 3-line block ×5, first 2 shown]
	v_add_f32_e32 v22, v25, v6
	v_add_f32_e32 v25, 1.0, v22
	s_delay_alu instid0(VALU_DEP_1) | instskip(SKIP_2) | instid1(VALU_DEP_2)
	v_cvt_f64_f32_e32 v[26:27], v25
	v_frexp_mant_f32_e32 v15, v25
	v_add_f32_e32 v23, -1.0, v25
	v_cmp_gt_f32_e32 vcc_lo, 0x3f2aaaab, v15
	s_delay_alu instid0(VALU_DEP_2) | instskip(SKIP_1) | instid1(VALU_DEP_1)
	v_mov_b32_e32 v24, v23
	v_frexp_exp_i32_f64_e32 v6, v[26:27]
	v_subrev_co_ci_u32_e64 v6, null, 0, v6, vcc_lo
	s_delay_alu instid0(VALU_DEP_1) | instskip(NEXT) | instid1(VALU_DEP_4)
	v_sub_nc_u32_e32 v15, 0, v6
	v_pk_add_f32 v[26:27], v[22:23], v[24:25] neg_lo:[0,1] neg_hi:[0,1]
	v_cmp_neq_f32_e32 vcc_lo, 0x7f800000, v22
	v_cmp_neq_f32_e64 s3, -1.0, v22
	s_delay_alu instid0(VALU_DEP_4) | instskip(NEXT) | instid1(VALU_DEP_1)
	v_ldexp_f32 v20, v25, v15
	v_dual_add_f32 v23, 1.0, v27 :: v_dual_add_f32 v24, 1.0, v20
	s_delay_alu instid0(VALU_DEP_1) | instskip(NEXT) | instid1(VALU_DEP_2)
	v_dual_add_f32 v23, v26, v23 :: v_dual_add_f32 v29, -1.0, v20
	v_add_f32_e32 v25, -1.0, v24
	s_delay_alu instid0(VALU_DEP_2) | instskip(NEXT) | instid1(VALU_DEP_2)
	v_ldexp_f32 v15, v23, v15
	v_sub_f32_e32 v23, v20, v25
	s_delay_alu instid0(VALU_DEP_4) | instskip(NEXT) | instid1(VALU_DEP_1)
	v_add_f32_e32 v25, 1.0, v29
	v_dual_sub_f32 v20, v20, v25 :: v_dual_add_f32 v23, v15, v23
	s_delay_alu instid0(VALU_DEP_1) | instskip(NEXT) | instid1(VALU_DEP_1)
	v_add_f32_e32 v15, v15, v20
	v_add_f32_e32 v25, v29, v15
	s_delay_alu instid0(VALU_DEP_3) | instskip(NEXT) | instid1(VALU_DEP_1)
	v_add_f32_e32 v30, v24, v23
	v_rcp_f32_e32 v20, v30
	v_nop
	s_delay_alu instid0(TRANS32_DEP_1) | instskip(SKIP_1) | instid1(VALU_DEP_1)
	v_mul_f32_e32 v31, v25, v20
	v_dual_sub_f32 v24, v30, v24 :: v_dual_sub_f32 v33, v25, v29
	v_dual_mul_f32 v26, v30, v31 :: v_dual_sub_f32 v23, v23, v24
	s_delay_alu instid0(VALU_DEP_2) | instskip(NEXT) | instid1(VALU_DEP_2)
	v_sub_f32_e32 v15, v15, v33
	v_fma_f32 v28, v31, v30, -v26
	s_delay_alu instid0(VALU_DEP_1) | instskip(NEXT) | instid1(VALU_DEP_1)
	v_fmac_f32_e32 v28, v31, v23
	v_add_f32_e32 v24, v26, v28
	s_delay_alu instid0(VALU_DEP_1) | instskip(NEXT) | instid1(VALU_DEP_1)
	v_dual_sub_f32 v27, v25, v24 :: v_dual_mov_b32 v29, v24
	v_pk_add_f32 v[24:25], v[24:25], v[26:27] neg_lo:[0,1] neg_hi:[0,1]
	s_delay_alu instid0(VALU_DEP_1) | instskip(NEXT) | instid1(VALU_DEP_1)
	v_pk_add_f32 v[24:25], v[24:25], v[28:29] neg_lo:[0,1] neg_hi:[0,1]
	v_add_f32_e32 v15, v15, v25
	s_delay_alu instid0(VALU_DEP_1) | instskip(NEXT) | instid1(VALU_DEP_1)
	v_add_f32_e32 v15, v24, v15
	v_add_f32_e32 v25, v27, v15
	s_delay_alu instid0(VALU_DEP_1) | instskip(NEXT) | instid1(VALU_DEP_1)
	v_mul_f32_e32 v33, v20, v25
	v_mul_f32_e32 v28, v30, v33
	s_delay_alu instid0(VALU_DEP_1) | instskip(NEXT) | instid1(VALU_DEP_1)
	v_fma_f32 v26, v33, v30, -v28
	v_dual_fmac_f32 v26, v33, v23 :: v_dual_sub_f32 v23, v27, v25
	s_delay_alu instid0(VALU_DEP_1) | instskip(NEXT) | instid1(VALU_DEP_1)
	v_dual_add_f32 v24, v28, v26 :: v_dual_add_f32 v15, v15, v23
	v_dual_sub_f32 v29, v25, v24 :: v_dual_mov_b32 v27, v24
	s_delay_alu instid0(VALU_DEP_1) | instskip(NEXT) | instid1(VALU_DEP_1)
	v_pk_add_f32 v[24:25], v[24:25], v[28:29] neg_lo:[0,1] neg_hi:[0,1]
	v_pk_add_f32 v[24:25], v[24:25], v[26:27] neg_lo:[0,1] neg_hi:[0,1]
	s_delay_alu instid0(VALU_DEP_1) | instskip(NEXT) | instid1(VALU_DEP_1)
	v_add_f32_e32 v15, v15, v25
	v_dual_add_f32 v23, v31, v33 :: v_dual_add_f32 v15, v24, v15
	s_delay_alu instid0(VALU_DEP_1) | instskip(NEXT) | instid1(VALU_DEP_2)
	v_sub_f32_e32 v24, v23, v31
	v_add_f32_e32 v15, v29, v15
	s_delay_alu instid0(VALU_DEP_1) | instskip(NEXT) | instid1(VALU_DEP_1)
	v_dual_sub_f32 v24, v33, v24 :: v_dual_mul_f32 v15, v20, v15
	v_add_f32_e32 v20, v24, v15
	v_cvt_f32_i32_e32 v24, v6
	s_delay_alu instid0(VALU_DEP_2) | instskip(NEXT) | instid1(VALU_DEP_1)
	v_add_f32_e32 v30, v23, v20
	v_mul_f32_e32 v15, v30, v30
	v_ldexp_f32 v29, v30, 1
	v_sub_f32_e32 v6, v30, v23
	s_delay_alu instid0(VALU_DEP_3) | instskip(NEXT) | instid1(VALU_DEP_1)
	v_dual_fmaak_f32 v26, s20, v15, 0x3ecc95a3 :: v_dual_mul_f32 v25, v30, v15
	v_fmaak_f32 v15, v15, v26, 0x3f2aaada
	s_delay_alu instid0(VALU_DEP_1) | instskip(NEXT) | instid1(VALU_DEP_1)
	v_pk_mul_f32 v[26:27], v[24:25], v[14:15]
	v_fma_f32 v28, 0x3f317218, v24, -v26
	v_mov_b32_e32 v30, v26
	s_delay_alu instid0(VALU_DEP_2) | instskip(NEXT) | instid1(VALU_DEP_1)
	v_fmac_f32_e32 v28, 0xb102e308, v24
	v_pk_add_f32 v[24:25], v[26:27], v[28:29]
	s_delay_alu instid0(VALU_DEP_1) | instskip(NEXT) | instid1(VALU_DEP_1)
	v_dual_sub_f32 v6, v20, v6 :: v_dual_sub_f32 v15, v25, v29
	v_ldexp_f32 v6, v6, 1
	s_delay_alu instid0(VALU_DEP_3) | instskip(NEXT) | instid1(VALU_DEP_3)
	v_dual_mov_b32 v29, v24 :: v_dual_mov_b32 v40, v25
	v_sub_f32_e32 v15, v27, v15
	v_pk_add_f32 v[26:27], v[24:25], v[26:27] neg_lo:[0,1] neg_hi:[0,1]
	s_delay_alu instid0(VALU_DEP_2) | instskip(SKIP_2) | instid1(VALU_DEP_3)
	v_add_f32_e32 v31, v6, v15
	v_max_num_f32_e64 v6, |v9|, |v9|
	v_max_num_f32_e64 v15, |v8|, |v8|
	v_pk_add_f32 v[34:35], v[24:25], v[30:31]
	s_delay_alu instid0(VALU_DEP_2) | instskip(NEXT) | instid1(VALU_DEP_2)
	v_dual_max_num_f32 v20, v15, v6 :: v_dual_min_num_f32 v15, v15, v6
	v_mov_b32_e32 v27, v35
	s_delay_alu instid0(VALU_DEP_2) | instskip(SKIP_1) | instid1(VALU_DEP_4)
	v_frexp_exp_i32_f32_e32 v23, v20
	v_frexp_mant_f32_e32 v20, v20
	v_frexp_exp_i32_f32_e32 v30, v15
	s_delay_alu instid0(VALU_DEP_4) | instskip(SKIP_1) | instid1(VALU_DEP_4)
	v_pk_add_f32 v[36:37], v[28:29], v[26:27]
	v_frexp_mant_f32_e32 v33, v15
	v_rcp_f32_e32 v20, v20
	s_delay_alu instid0(VALU_DEP_2) | instskip(SKIP_2) | instid1(VALU_DEP_3)
	v_dual_mov_b32 v6, v37 :: v_dual_sub_nc_u32 v23, v30, v23
	v_pk_add_f32 v[26:27], v[28:29], v[26:27] neg_lo:[0,1] neg_hi:[0,1]
	v_mov_b32_e32 v27, v37
	v_pk_add_f32 v[38:39], v[6:7], v[24:25] neg_lo:[0,1] neg_hi:[0,1]
	v_dual_mov_b32 v36, v35 :: v_dual_mov_b32 v25, v24
	s_delay_alu instid0(TRANS32_DEP_1) | instskip(NEXT) | instid1(VALU_DEP_3)
	v_dual_mov_b32 v24, v31 :: v_dual_mul_f32 v20, v33, v20
	v_dual_mov_b32 v15, v38 :: v_dual_mov_b32 v41, v38
	s_delay_alu instid0(VALU_DEP_1) | instskip(NEXT) | instid1(VALU_DEP_2)
	v_pk_add_f32 v[30:31], v[34:35], v[14:15] neg_lo:[0,1] neg_hi:[0,1]
	v_pk_add_f32 v[28:29], v[36:37], v[40:41] neg_lo:[0,1] neg_hi:[0,1]
	s_delay_alu instid0(VALU_DEP_4) | instskip(SKIP_1) | instid1(VALU_DEP_3)
	v_ldexp_f32 v15, v20, v23
	v_mov_b32_e32 v30, v26
	v_pk_add_f32 v[24:25], v[24:25], v[28:29] neg_lo:[0,1] neg_hi:[0,1]
	s_delay_alu instid0(VALU_DEP_3) | instskip(NEXT) | instid1(VALU_DEP_2)
	v_mul_f32_e32 v23, v15, v15
	v_pk_add_f32 v[28:29], v[30:31], v[24:25]
	s_delay_alu instid0(VALU_DEP_1) | instskip(NEXT) | instid1(VALU_DEP_1)
	v_dual_fmaak_f32 v25, s21, v23, 0xbc7a590c :: v_dual_mov_b32 v20, v29
	v_pk_add_f32 v[30:31], v[28:29], v[20:21]
	s_delay_alu instid0(VALU_DEP_2) | instskip(NEXT) | instid1(VALU_DEP_2)
	v_fmaak_f32 v20, v23, v25, 0x3d29fb3f
	v_pk_add_f32 v[34:35], v[6:7], v[30:31]
	s_delay_alu instid0(VALU_DEP_2) | instskip(NEXT) | instid1(VALU_DEP_1)
	v_dual_fmaak_f32 v6, v23, v20, 0xbd97d4d7 :: v_dual_mov_b32 v25, v30
	v_dual_mov_b32 v29, v34 :: v_dual_fmaak_f32 v6, v23, v6, 0x3dd931b2
	s_delay_alu instid0(VALU_DEP_1) | instskip(NEXT) | instid1(VALU_DEP_2)
	v_pk_add_f32 v[36:37], v[28:29], v[26:27] neg_lo:[0,1] neg_hi:[0,1]
	v_fmaak_f32 v6, v23, v6, 0xbe1160e6
	s_delay_alu instid0(VALU_DEP_2) | instskip(NEXT) | instid1(VALU_DEP_2)
	v_pk_add_f32 v[24:25], v[24:25], v[36:37] neg_lo:[0,1] neg_hi:[0,1]
	v_fmaak_f32 v6, v23, v6, 0x3e4cb8bf
	s_delay_alu instid0(VALU_DEP_1) | instskip(NEXT) | instid1(VALU_DEP_1)
	v_fmaak_f32 v6, v23, v6, 0xbeaaaa62
	v_dual_sub_f32 v20, v28, v36 :: v_dual_mul_f32 v6, v23, v6
	s_delay_alu instid0(VALU_DEP_1) | instskip(NEXT) | instid1(VALU_DEP_1)
	v_dual_sub_f32 v20, v26, v20 :: v_dual_fmac_f32 v15, v15, v6
	v_add_f32_e32 v20, v24, v20
	s_delay_alu instid0(VALU_DEP_1) | instskip(NEXT) | instid1(VALU_DEP_1)
	v_add_f32_e32 v20, v20, v25
	v_add_f32_e32 v6, v34, v20
	s_delay_alu instid0(VALU_DEP_4) | instskip(NEXT) | instid1(VALU_DEP_1)
	v_sub_f32_e32 v20, 0x3fc90fdb, v15
	v_cndmask_b32_e64 v15, v15, v20, s2
	s_delay_alu instid0(VALU_DEP_3) | instskip(SKIP_1) | instid1(VALU_DEP_3)
	v_cndmask_b32_e32 v6, 0x7f800000, v6, vcc_lo
	v_cmp_gt_i32_e32 vcc_lo, 0, v8
	v_sub_f32_e32 v23, 0x40490fdb, v15
	v_cndmask_b32_e64 v20, 0, 0x40490fdb, vcc_lo
	v_cmp_ngt_f32_e32 vcc_lo, -1.0, v22
	v_cndmask_b32_e32 v6, 0x7fc00000, v6, vcc_lo
	v_cmp_gt_f32_e32 vcc_lo, 0, v8
	s_delay_alu instid0(VALU_DEP_2)
	v_cndmask_b32_e64 v6, 0xff800000, v6, s3
	v_cndmask_b32_e32 v15, v15, v23, vcc_lo
	v_cndmask_b32_e32 v24, 0x3f490fdb, v32, vcc_lo
	v_cmp_gt_f32_e64 vcc_lo, 0x33800000, |v22|
	v_cmp_class_f32_e64 s3, v9, 0x204
	v_cndmask_b32_e32 v6, v6, v22, vcc_lo
	v_cmp_eq_f32_e32 vcc_lo, 0, v9
	v_cndmask_b32_e32 v15, v15, v20, vcc_lo
	s_and_b32 vcc_lo, s4, s3
	s_delay_alu instid0(VALU_DEP_1)
	v_dual_mul_f32 v23, 0.5, v6 :: v_dual_cndmask_b32 v6, v15, v24
.LBB192_52:                             ;   in Loop: Header=BB192_5 Depth=1
	s_or_b32 exec_lo, exec_lo, s28
.LBB192_53:                             ;   in Loop: Header=BB192_5 Depth=1
	s_delay_alu instid0(SALU_CYCLE_1)
	s_or_b32 exec_lo, exec_lo, s27
.LBB192_54:                             ;   in Loop: Header=BB192_5 Depth=1
	s_and_not1_saveexec_b32 s4, s26
	s_cbranch_execz .LBB192_56
; %bb.55:                               ;   in Loop: Header=BB192_5 Depth=1
	v_max_num_f32_e64 v6, |v9|, |v9|
	v_max_num_f32_e64 v15, |v8|, |v8|
	v_cmp_gt_i32_e64 s3, 0, v8
	v_cmp_class_f32_e64 s5, v8, 0x204
	v_cmp_class_f32_e64 s6, v9, 0x204
	s_delay_alu instid0(VALU_DEP_4) | instskip(NEXT) | instid1(VALU_DEP_1)
	v_dual_max_num_f32 v20, v15, v6 :: v_dual_min_num_f32 v6, v15, v6
	v_cvt_f64_f32_e32 v[22:23], v20
	v_frexp_exp_i32_f32_e32 v15, v20
	s_delay_alu instid0(VALU_DEP_3) | instskip(SKIP_2) | instid1(VALU_DEP_3)
	v_frexp_exp_i32_f32_e32 v24, v6
	v_frexp_mant_f32_e32 v6, v6
	v_cmp_neq_f32_e32 vcc_lo, 0x7f800000, v20
	v_sub_nc_u32_e32 v15, v24, v15
	v_frexp_exp_i32_f64_e32 v22, v[22:23]
	v_frexp_mant_f32_e32 v23, v20
	s_delay_alu instid0(VALU_DEP_1) | instskip(SKIP_1) | instid1(TRANS32_DEP_1)
	v_rcp_f32_e32 v23, v23
	v_nop
	v_mul_f32_e32 v6, v6, v23
	s_delay_alu instid0(VALU_DEP_1) | instskip(NEXT) | instid1(VALU_DEP_1)
	v_ldexp_f32 v6, v6, v15
	v_mul_f32_e32 v23, v6, v6
	v_sub_nc_u32_e32 v15, 0, v22
	s_delay_alu instid0(VALU_DEP_1) | instskip(NEXT) | instid1(VALU_DEP_3)
	v_ldexp_f32 v24, |v9|, v15
	v_fmaak_f32 v25, s21, v23, 0xbc7a590c
	v_ldexp_f32 v15, |v8|, v15
	s_delay_alu instid0(VALU_DEP_2) | instskip(NEXT) | instid1(VALU_DEP_1)
	v_dual_mul_f32 v24, v24, v24 :: v_dual_fmaak_f32 v25, v23, v25, 0x3d29fb3f
	v_fmac_f32_e32 v24, v15, v15
	s_delay_alu instid0(VALU_DEP_2) | instskip(NEXT) | instid1(VALU_DEP_2)
	v_fmaak_f32 v15, v23, v25, 0xbd97d4d7
	v_sqrt_f32_e32 v24, v24
	s_delay_alu instid0(VALU_DEP_1) | instskip(NEXT) | instid1(VALU_DEP_1)
	v_fmaak_f32 v15, v23, v15, 0x3dd931b2
	v_fmaak_f32 v15, v23, v15, 0xbe1160e6
	s_delay_alu instid0(TRANS32_DEP_1) | instskip(NEXT) | instid1(VALU_DEP_2)
	v_ldexp_f32 v22, v24, v22
	v_fmaak_f32 v15, v23, v15, 0x3e4cb8bf
	s_delay_alu instid0(VALU_DEP_1) | instskip(NEXT) | instid1(VALU_DEP_1)
	v_fmaak_f32 v15, v23, v15, 0xbeaaaa62
	v_dual_cndmask_b32 v20, 0x7f800000, v22 :: v_dual_mul_f32 v15, v23, v15
	s_delay_alu instid0(VALU_DEP_1) | instskip(NEXT) | instid1(VALU_DEP_2)
	v_cmp_gt_f32_e32 vcc_lo, 0x800000, v20
	v_fmac_f32_e32 v6, v6, v15
	v_cndmask_b32_e64 v22, 0, 32, vcc_lo
	s_delay_alu instid0(VALU_DEP_1) | instskip(NEXT) | instid1(VALU_DEP_1)
	v_ldexp_f32 v20, v20, v22
	v_log_f32_e32 v20, v20
	v_nop
	s_delay_alu instid0(TRANS32_DEP_1) | instskip(NEXT) | instid1(VALU_DEP_1)
	v_mul_f32_e32 v15, 0x3f317217, v20
	v_fma_f32 v15, 0x3f317217, v20, -v15
	s_delay_alu instid0(VALU_DEP_1) | instskip(NEXT) | instid1(VALU_DEP_1)
	v_fmac_f32_e32 v15, 0x3377d1cf, v20
	v_fmac_f32_e32 v15, 0x3f317217, v20
	v_sub_f32_e32 v22, 0x3fc90fdb, v6
	s_delay_alu instid0(VALU_DEP_1) | instskip(SKIP_2) | instid1(VALU_DEP_3)
	v_cndmask_b32_e64 v6, v6, v22, s2
	v_cndmask_b32_e64 v22, 0, 0x40490fdb, s3
	v_cmp_gt_f32_e64 s3, 0, v8
	v_sub_f32_e32 v23, 0x40490fdb, v6
	s_delay_alu instid0(VALU_DEP_2) | instskip(NEXT) | instid1(VALU_DEP_2)
	v_cndmask_b32_e64 v24, 0x3f490fdb, v32, s3
	v_cndmask_b32_e64 v6, v6, v23, s3
	v_cndmask_b32_e64 v23, 0, 0x41b17218, vcc_lo
	v_cmp_gt_f32_e64 vcc_lo, 0x7f800000, |v20|
	v_cndmask_b32_e32 v15, v20, v15, vcc_lo
	v_cmp_eq_f32_e32 vcc_lo, 0, v9
	s_delay_alu instid0(VALU_DEP_2) | instskip(SKIP_1) | instid1(VALU_DEP_1)
	v_dual_sub_f32 v23, v15, v23 :: v_dual_cndmask_b32 v6, v6, v22
	s_and_b32 vcc_lo, s5, s6
	v_cndmask_b32_e32 v6, v6, v24, vcc_lo
.LBB192_56:                             ;   in Loop: Header=BB192_5 Depth=1
	s_or_b32 exec_lo, exec_lo, s4
                                        ; implicit-def: $vgpr24
.LBB192_57:                             ;   in Loop: Header=BB192_5 Depth=1
	s_and_not1_saveexec_b32 s4, s25
	s_cbranch_execz .LBB192_63
; %bb.58:                               ;   in Loop: Header=BB192_5 Depth=1
                                        ; implicit-def: $vgpr23
                                        ; implicit-def: $vgpr6
	s_mov_b32 s3, exec_lo
	v_cmpx_ngt_f32_e32 0x1fec1e4a, v24
	s_xor_b32 s5, exec_lo, s3
	s_cbranch_execz .LBB192_60
; %bb.59:                               ;   in Loop: Header=BB192_5 Depth=1
	v_pk_mul_f32 v[22:23], v[24:25], v[24:25]
	v_cmp_class_f32_e64 s6, v8, 0x204
	s_delay_alu instid0(VALU_DEP_2) | instskip(SKIP_1) | instid1(VALU_DEP_2)
	v_add_f32_e32 v25, 1.0, v22
	v_cmp_neq_f32_e64 s3, 0x7f800000, v22
	v_add_f32_e32 v23, -1.0, v25
	s_delay_alu instid0(VALU_DEP_1) | instskip(SKIP_2) | instid1(VALU_DEP_1)
	v_mov_b32_e32 v24, v23
	v_cvt_f64_f32_e32 v[26:27], v25
	v_frexp_mant_f32_e32 v15, v25
	v_cmp_gt_f32_e32 vcc_lo, 0x3f2aaaab, v15
	s_delay_alu instid0(VALU_DEP_3) | instskip(NEXT) | instid1(VALU_DEP_1)
	v_frexp_exp_i32_f64_e32 v6, v[26:27]
	v_subrev_co_ci_u32_e64 v6, null, 0, v6, vcc_lo
	v_cmp_gt_i32_e32 vcc_lo, 0, v8
	s_delay_alu instid0(VALU_DEP_2) | instskip(SKIP_1) | instid1(VALU_DEP_2)
	v_sub_nc_u32_e32 v15, 0, v6
	v_pk_add_f32 v[26:27], v[22:23], v[24:25] neg_lo:[0,1] neg_hi:[0,1]
	v_ldexp_f32 v20, v25, v15
	s_delay_alu instid0(VALU_DEP_1) | instskip(NEXT) | instid1(VALU_DEP_1)
	v_dual_add_f32 v23, 1.0, v27 :: v_dual_add_f32 v24, 1.0, v20
	v_dual_add_f32 v23, v26, v23 :: v_dual_add_f32 v25, -1.0, v24
	v_add_f32_e32 v29, -1.0, v20
	s_delay_alu instid0(VALU_DEP_2) | instskip(NEXT) | instid1(VALU_DEP_3)
	v_ldexp_f32 v15, v23, v15
	v_sub_f32_e32 v23, v20, v25
	s_delay_alu instid0(VALU_DEP_1) | instskip(NEXT) | instid1(VALU_DEP_1)
	v_dual_add_f32 v25, 1.0, v29 :: v_dual_add_f32 v23, v15, v23
	v_sub_f32_e32 v20, v20, v25
	s_delay_alu instid0(VALU_DEP_1) | instskip(NEXT) | instid1(VALU_DEP_1)
	v_dual_add_f32 v30, v24, v23 :: v_dual_add_f32 v15, v15, v20
	v_rcp_f32_e32 v20, v30
	s_delay_alu instid0(VALU_DEP_1) | instskip(NEXT) | instid1(VALU_DEP_1)
	v_dual_add_f32 v25, v29, v15 :: v_dual_sub_f32 v24, v24, v30
	v_sub_f32_e32 v33, v29, v25
	s_delay_alu instid0(TRANS32_DEP_1) | instskip(NEXT) | instid1(VALU_DEP_3)
	v_mul_f32_e32 v31, v25, v20
	v_add_f32_e32 v23, v23, v24
	s_delay_alu instid0(VALU_DEP_2) | instskip(NEXT) | instid1(VALU_DEP_1)
	v_dual_add_f32 v15, v15, v33 :: v_dual_mul_f32 v26, v30, v31
	v_fma_f32 v28, v31, v30, -v26
	s_delay_alu instid0(VALU_DEP_1) | instskip(NEXT) | instid1(VALU_DEP_1)
	v_fmac_f32_e32 v28, v31, v23
	v_add_f32_e32 v24, v26, v28
	s_delay_alu instid0(VALU_DEP_1) | instskip(NEXT) | instid1(VALU_DEP_1)
	v_dual_sub_f32 v27, v25, v24 :: v_dual_mov_b32 v29, v24
	v_pk_add_f32 v[24:25], v[24:25], v[26:27] neg_lo:[0,1] neg_hi:[0,1]
	s_delay_alu instid0(VALU_DEP_1) | instskip(NEXT) | instid1(VALU_DEP_1)
	v_pk_add_f32 v[24:25], v[24:25], v[28:29] neg_lo:[0,1] neg_hi:[0,1]
	v_add_f32_e32 v15, v15, v25
	s_delay_alu instid0(VALU_DEP_1) | instskip(NEXT) | instid1(VALU_DEP_1)
	v_add_f32_e32 v15, v24, v15
	v_add_f32_e32 v25, v27, v15
	s_delay_alu instid0(VALU_DEP_1) | instskip(NEXT) | instid1(VALU_DEP_1)
	v_mul_f32_e32 v33, v20, v25
	v_mul_f32_e32 v28, v30, v33
	s_delay_alu instid0(VALU_DEP_1) | instskip(NEXT) | instid1(VALU_DEP_1)
	v_fma_f32 v26, v33, v30, -v28
	v_dual_fmac_f32 v26, v33, v23 :: v_dual_sub_f32 v23, v27, v25
	s_delay_alu instid0(VALU_DEP_1) | instskip(NEXT) | instid1(VALU_DEP_1)
	v_dual_add_f32 v24, v28, v26 :: v_dual_add_f32 v15, v15, v23
	v_dual_sub_f32 v29, v25, v24 :: v_dual_mov_b32 v27, v24
	s_delay_alu instid0(VALU_DEP_1) | instskip(NEXT) | instid1(VALU_DEP_1)
	v_pk_add_f32 v[24:25], v[24:25], v[28:29] neg_lo:[0,1] neg_hi:[0,1]
	v_pk_add_f32 v[24:25], v[24:25], v[26:27] neg_lo:[0,1] neg_hi:[0,1]
	s_delay_alu instid0(VALU_DEP_1) | instskip(NEXT) | instid1(VALU_DEP_1)
	v_add_f32_e32 v15, v15, v25
	v_dual_add_f32 v23, v31, v33 :: v_dual_add_f32 v15, v24, v15
	s_delay_alu instid0(VALU_DEP_1) | instskip(NEXT) | instid1(VALU_DEP_2)
	v_sub_f32_e32 v24, v23, v31
	v_add_f32_e32 v15, v29, v15
	s_delay_alu instid0(VALU_DEP_1) | instskip(NEXT) | instid1(VALU_DEP_1)
	v_dual_sub_f32 v24, v33, v24 :: v_dual_mul_f32 v15, v20, v15
	v_add_f32_e32 v20, v24, v15
	v_cvt_f32_i32_e32 v24, v6
	s_delay_alu instid0(VALU_DEP_2) | instskip(NEXT) | instid1(VALU_DEP_1)
	v_add_f32_e32 v30, v23, v20
	v_mul_f32_e32 v15, v30, v30
	v_ldexp_f32 v29, v30, 1
	v_sub_f32_e32 v6, v30, v23
	v_max_num_f32_e64 v23, |v8|, |v8|
	s_delay_alu instid0(VALU_DEP_4) | instskip(NEXT) | instid1(VALU_DEP_1)
	v_dual_fmaak_f32 v26, s20, v15, 0x3ecc95a3 :: v_dual_mul_f32 v25, v30, v15
	v_fmaak_f32 v15, v15, v26, 0x3f2aaada
	s_delay_alu instid0(VALU_DEP_1) | instskip(NEXT) | instid1(VALU_DEP_1)
	v_pk_mul_f32 v[26:27], v[24:25], v[14:15]
	v_fma_f32 v28, 0x3f317218, v24, -v26
	v_mov_b32_e32 v30, v26
	s_delay_alu instid0(VALU_DEP_2) | instskip(NEXT) | instid1(VALU_DEP_1)
	v_fmac_f32_e32 v28, 0xb102e308, v24
	v_pk_add_f32 v[24:25], v[26:27], v[28:29]
	v_sub_f32_e32 v6, v20, v6
	v_max_num_f32_e64 v20, |v9|, |v9|
	s_delay_alu instid0(VALU_DEP_3) | instskip(NEXT) | instid1(VALU_DEP_3)
	v_sub_f32_e32 v15, v25, v29
	v_ldexp_f32 v6, v6, 1
	s_delay_alu instid0(VALU_DEP_2) | instskip(SKIP_1) | instid1(VALU_DEP_2)
	v_dual_mov_b32 v40, v25 :: v_dual_sub_f32 v15, v27, v15
	v_pk_add_f32 v[26:27], v[24:25], v[26:27] neg_lo:[0,1] neg_hi:[0,1]
	v_dual_add_f32 v31, v6, v15 :: v_dual_max_num_f32 v6, v23, v20
	s_delay_alu instid0(VALU_DEP_1) | instskip(SKIP_1) | instid1(VALU_DEP_3)
	v_pk_add_f32 v[34:35], v[24:25], v[30:31]
	v_mov_b32_e32 v29, v24
	v_frexp_mant_f32_e32 v15, v6
	s_delay_alu instid0(VALU_DEP_3) | instskip(NEXT) | instid1(VALU_DEP_2)
	v_mov_b32_e32 v27, v35
	v_rcp_f32_e32 v15, v15
	s_delay_alu instid0(VALU_DEP_1)
	v_pk_add_f32 v[36:37], v[28:29], v[26:27]
	v_min_num_f32_e32 v20, v23, v20
	v_frexp_exp_i32_f32_e32 v23, v6
	v_mov_b32_e32 v36, v35
	v_pk_add_f32 v[26:27], v[28:29], v[26:27] neg_lo:[0,1] neg_hi:[0,1]
	v_mov_b32_e32 v6, v37
	v_frexp_exp_i32_f32_e32 v30, v20
	v_frexp_mant_f32_e32 v20, v20
	s_delay_alu instid0(VALU_DEP_3) | instskip(NEXT) | instid1(VALU_DEP_3)
	v_pk_add_f32 v[38:39], v[6:7], v[24:25] neg_lo:[0,1] neg_hi:[0,1]
	v_sub_nc_u32_e32 v23, v30, v23
	s_delay_alu instid0(VALU_DEP_3) | instskip(SKIP_1) | instid1(VALU_DEP_4)
	v_mul_f32_e32 v15, v20, v15
	v_dual_mov_b32 v25, v24 :: v_dual_mov_b32 v24, v31
	v_mov_b32_e32 v41, v38
	s_delay_alu instid0(VALU_DEP_3) | instskip(SKIP_1) | instid1(VALU_DEP_3)
	v_ldexp_f32 v23, v15, v23
	v_mov_b32_e32 v15, v38
	v_pk_add_f32 v[28:29], v[36:37], v[40:41] neg_lo:[0,1] neg_hi:[0,1]
	s_delay_alu instid0(VALU_DEP_3) | instskip(NEXT) | instid1(VALU_DEP_3)
	v_mul_f32_e32 v33, v23, v23
	v_pk_add_f32 v[30:31], v[34:35], v[14:15] neg_lo:[0,1] neg_hi:[0,1]
	v_mov_b32_e32 v30, v26
	s_delay_alu instid0(VALU_DEP_4) | instskip(NEXT) | instid1(VALU_DEP_1)
	v_pk_add_f32 v[24:25], v[24:25], v[28:29] neg_lo:[0,1] neg_hi:[0,1]
	v_pk_add_f32 v[28:29], v[30:31], v[24:25]
	s_delay_alu instid0(VALU_DEP_1) | instskip(NEXT) | instid1(VALU_DEP_1)
	v_dual_fmaak_f32 v15, s21, v33, 0xbc7a590c :: v_dual_mov_b32 v20, v29
	v_fmaak_f32 v15, v33, v15, 0x3d29fb3f
	s_delay_alu instid0(VALU_DEP_2) | instskip(SKIP_2) | instid1(VALU_DEP_3)
	v_pk_add_f32 v[30:31], v[28:29], v[20:21]
	v_cndmask_b32_e64 v20, 0, 0x40490fdb, vcc_lo
	v_cmp_gt_f32_e32 vcc_lo, 0, v8
	v_pk_add_f32 v[34:35], v[6:7], v[30:31]
	v_dual_mov_b32 v27, v37 :: v_dual_mov_b32 v25, v30
	s_delay_alu instid0(VALU_DEP_2) | instskip(NEXT) | instid1(VALU_DEP_1)
	v_mov_b32_e32 v29, v34
	v_pk_add_f32 v[36:37], v[28:29], v[26:27] neg_lo:[0,1] neg_hi:[0,1]
	s_delay_alu instid0(VALU_DEP_1) | instskip(SKIP_1) | instid1(VALU_DEP_1)
	v_pk_add_f32 v[24:25], v[24:25], v[36:37] neg_lo:[0,1] neg_hi:[0,1]
	v_fmaak_f32 v15, v33, v15, 0xbd97d4d7
	v_fmaak_f32 v15, v33, v15, 0x3dd931b2
	s_delay_alu instid0(VALU_DEP_1) | instskip(NEXT) | instid1(VALU_DEP_1)
	v_dual_fmaak_f32 v6, v33, v15, 0xbe1160e6 :: v_dual_sub_f32 v15, v28, v36
	v_dual_fmaak_f32 v6, v33, v6, 0x3e4cb8bf :: v_dual_sub_f32 v15, v26, v15
	s_delay_alu instid0(VALU_DEP_1) | instskip(NEXT) | instid1(VALU_DEP_1)
	v_fmaak_f32 v6, v33, v6, 0xbeaaaa62
	v_mul_f32_e32 v6, v33, v6
	s_delay_alu instid0(VALU_DEP_1) | instskip(SKIP_1) | instid1(VALU_DEP_2)
	v_dual_fmac_f32 v23, v23, v6 :: v_dual_add_f32 v6, v24, v15
	v_cndmask_b32_e32 v24, 0x3f490fdb, v32, vcc_lo
	v_sub_f32_e32 v15, 0x3fc90fdb, v23
	s_delay_alu instid0(VALU_DEP_1) | instskip(NEXT) | instid1(VALU_DEP_1)
	v_dual_cndmask_b32 v15, v23, v15, s2 :: v_dual_add_f32 v6, v6, v25
	v_dual_sub_f32 v23, 0x40490fdb, v15 :: v_dual_add_f32 v6, v34, v6
	s_delay_alu instid0(VALU_DEP_1) | instskip(NEXT) | instid1(VALU_DEP_2)
	v_cndmask_b32_e32 v15, v15, v23, vcc_lo
	v_cndmask_b32_e64 v6, 0x7f800000, v6, s3
	v_cmp_gt_f32_e64 vcc_lo, 0x33800000, |v22|
	v_cmp_class_f32_e64 s3, v9, 0x204
	s_delay_alu instid0(VALU_DEP_3) | instskip(SKIP_1) | instid1(VALU_DEP_2)
	v_cndmask_b32_e32 v6, v6, v22, vcc_lo
	v_cmp_eq_f32_e32 vcc_lo, 0, v9
	v_dual_mul_f32 v23, 0.5, v6 :: v_dual_cndmask_b32 v15, v15, v20, vcc_lo
	s_and_b32 vcc_lo, s6, s3
	s_delay_alu instid0(VALU_DEP_1)
	v_cndmask_b32_e32 v6, v15, v24, vcc_lo
                                        ; implicit-def: $vgpr24
.LBB192_60:                             ;   in Loop: Header=BB192_5 Depth=1
	s_and_not1_saveexec_b32 s5, s5
	s_cbranch_execz .LBB192_62
; %bb.61:                               ;   in Loop: Header=BB192_5 Depth=1
	v_max_num_f32_e64 v6, |v9|, |v9|
	v_max_num_f32_e64 v15, |v8|, |v8|
	v_cmp_eq_f32_e64 s3, 0, v9
	v_cmp_gt_i32_e32 vcc_lo, 0, v8
	v_cmp_class_f32_e64 s6, v8, 0x204
	v_cmp_class_f32_e64 s7, v9, 0x204
	v_dual_max_num_f32 v20, v15, v6 :: v_dual_min_num_f32 v6, v15, v6
	s_delay_alu instid0(VALU_DEP_1) | instskip(SKIP_1) | instid1(VALU_DEP_2)
	v_frexp_mant_f32_e32 v22, v20
	v_frexp_exp_i32_f32_e32 v15, v20
	v_rcp_f32_e32 v20, v22
	v_nop
	v_frexp_exp_i32_f32_e32 v22, v6
	v_frexp_mant_f32_e32 v6, v6
	s_delay_alu instid0(VALU_DEP_2)
	v_sub_nc_u32_e32 v15, v22, v15
	s_delay_alu instid0(TRANS32_DEP_1) | instid1(VALU_DEP_2)
	v_mul_f32_e32 v6, v6, v20
	s_delay_alu instid0(VALU_DEP_1) | instskip(NEXT) | instid1(VALU_DEP_1)
	v_ldexp_f32 v6, v6, v15
	v_mul_f32_e32 v15, v6, v6
	s_delay_alu instid0(VALU_DEP_1) | instskip(NEXT) | instid1(VALU_DEP_1)
	v_fmaak_f32 v20, s21, v15, 0xbc7a590c
	v_fmaak_f32 v20, v15, v20, 0x3d29fb3f
	s_delay_alu instid0(VALU_DEP_1) | instskip(NEXT) | instid1(VALU_DEP_1)
	v_fmaak_f32 v20, v15, v20, 0xbd97d4d7
	v_fmaak_f32 v20, v15, v20, 0x3dd931b2
	;; [unrolled: 3-line block ×3, first 2 shown]
	s_delay_alu instid0(VALU_DEP_1) | instskip(NEXT) | instid1(VALU_DEP_1)
	v_fmaak_f32 v20, v15, v20, 0xbeaaaa62
	v_mul_f32_e32 v15, v15, v20
	v_cndmask_b32_e64 v20, 0, 0x40490fdb, vcc_lo
	v_cmp_gt_f32_e32 vcc_lo, 0, v8
	s_delay_alu instid0(VALU_DEP_3) | instskip(NEXT) | instid1(VALU_DEP_1)
	v_fmac_f32_e32 v6, v6, v15
	v_sub_f32_e32 v15, 0x3fc90fdb, v6
	s_delay_alu instid0(VALU_DEP_1) | instskip(NEXT) | instid1(VALU_DEP_1)
	v_cndmask_b32_e64 v6, v6, v15, s2
	v_sub_f32_e32 v15, 0x40490fdb, v6
	s_delay_alu instid0(VALU_DEP_1) | instskip(NEXT) | instid1(VALU_DEP_1)
	v_dual_cndmask_b32 v6, v6, v15 :: v_dual_mul_f32 v15, 0.5, v24
	v_cndmask_b32_e64 v6, v6, v20, s3
	v_cndmask_b32_e32 v20, 0x3f490fdb, v32, vcc_lo
	s_and_b32 vcc_lo, s6, s7
	s_delay_alu instid0(VALU_DEP_1)
	v_dual_mul_f32 v23, v24, v15 :: v_dual_cndmask_b32 v6, v6, v20
.LBB192_62:                             ;   in Loop: Header=BB192_5 Depth=1
	s_or_b32 exec_lo, exec_lo, s5
.LBB192_63:                             ;   in Loop: Header=BB192_5 Depth=1
	s_delay_alu instid0(SALU_CYCLE_1)
	s_or_b32 exec_lo, exec_lo, s4
.LBB192_64:                             ;   in Loop: Header=BB192_5 Depth=1
	s_and_not1_saveexec_b32 s4, s24
	s_cbranch_execz .LBB192_66
; %bb.65:                               ;   in Loop: Header=BB192_5 Depth=1
	v_div_scale_f32 v6, null, 0x402df854, 0x402df854, v8
	v_div_scale_f32 v15, null, 0x402df854, 0x402df854, v9
	v_div_scale_f32 v25, vcc_lo, v8, 0x402df854, v8
	s_delay_alu instid0(VALU_DEP_3) | instskip(NEXT) | instid1(VALU_DEP_2)
	v_rcp_f32_e32 v20, v6
	v_rcp_f32_e32 v22, v15
	v_cmp_class_f32_e64 s5, v9, 0x204
	s_delay_alu instid0(TRANS32_DEP_2) | instskip(NEXT) | instid1(TRANS32_DEP_1)
	v_fma_f32 v23, -v6, v20, 1.0
	v_fma_f32 v24, -v15, v22, 1.0
	s_delay_alu instid0(VALU_DEP_1) | instskip(SKIP_1) | instid1(VALU_DEP_1)
	v_dual_fmac_f32 v20, v23, v20 :: v_dual_fmac_f32 v22, v24, v22
	v_div_scale_f32 v23, s3, v9, 0x402df854, v9
	v_dual_mul_f32 v24, v25, v20 :: v_dual_mul_f32 v26, v23, v22
	s_delay_alu instid0(VALU_DEP_1) | instskip(NEXT) | instid1(VALU_DEP_1)
	v_dual_fma_f32 v27, -v6, v24, v25 :: v_dual_fma_f32 v28, -v15, v26, v23
	v_dual_fmac_f32 v24, v27, v20 :: v_dual_fmac_f32 v26, v28, v22
	s_delay_alu instid0(VALU_DEP_1) | instskip(NEXT) | instid1(VALU_DEP_1)
	v_dual_fma_f32 v6, -v6, v24, v25 :: v_dual_fma_f32 v15, -v15, v26, v23
	v_div_fmas_f32 v6, v6, v20, v24
	s_mov_b32 vcc_lo, s3
	v_max_num_f32_e64 v24, |v8|, |v8|
	s_delay_alu instid0(VALU_DEP_3) | instskip(SKIP_2) | instid1(VALU_DEP_3)
	v_div_fmas_f32 v15, v15, v22, v26
	v_cmp_class_f32_e64 s3, v8, 0x204
	v_div_fixup_f32 v6, v6, 0x402df854, v8
	v_div_fixup_f32 v15, v15, 0x402df854, v9
	s_delay_alu instid0(VALU_DEP_1) | instskip(NEXT) | instid1(VALU_DEP_1)
	v_max_num_f32_e64 v20, |v6|, |v15|
	v_cvt_f64_f32_e32 v[22:23], v20
	v_cmp_neq_f32_e32 vcc_lo, 0x7f800000, v20
	s_delay_alu instid0(VALU_DEP_2) | instskip(SKIP_1) | instid1(VALU_DEP_1)
	v_frexp_exp_i32_f64_e32 v22, v[22:23]
	v_max_num_f32_e64 v23, |v9|, |v9|
	v_dual_max_num_f32 v25, v24, v23 :: v_dual_min_num_f32 v23, v24, v23
	s_delay_alu instid0(VALU_DEP_1) | instskip(SKIP_1) | instid1(VALU_DEP_2)
	v_frexp_mant_f32_e32 v26, v25
	v_frexp_exp_i32_f32_e32 v24, v25
	v_rcp_f32_e32 v25, v26
	v_nop
	v_frexp_exp_i32_f32_e32 v26, v23
	v_frexp_mant_f32_e32 v23, v23
	s_delay_alu instid0(TRANS32_DEP_1) | instid1(VALU_DEP_1)
	v_dual_mul_f32 v23, v23, v25 :: v_dual_sub_nc_u32 v24, v26, v24
	s_delay_alu instid0(VALU_DEP_1) | instskip(NEXT) | instid1(VALU_DEP_1)
	v_ldexp_f32 v23, v23, v24
	v_dual_mul_f32 v24, v23, v23 :: v_dual_sub_nc_u32 v25, 0, v22
	s_delay_alu instid0(VALU_DEP_1) | instskip(SKIP_1) | instid1(VALU_DEP_3)
	v_ldexp_f32 v15, |v15|, v25
	v_ldexp_f32 v6, |v6|, v25
	v_fmaak_f32 v25, s21, v24, 0xbc7a590c
	s_delay_alu instid0(VALU_DEP_3) | instskip(NEXT) | instid1(VALU_DEP_1)
	v_mul_f32_e32 v15, v15, v15
	v_dual_fmac_f32 v15, v6, v6 :: v_dual_fmaak_f32 v6, v24, v25, 0x3d29fb3f
	s_delay_alu instid0(VALU_DEP_1) | instskip(NEXT) | instid1(VALU_DEP_2)
	v_fmaak_f32 v6, v24, v6, 0xbd97d4d7
	v_sqrt_f32_e32 v15, v15
	s_delay_alu instid0(VALU_DEP_1) | instskip(NEXT) | instid1(TRANS32_DEP_1)
	v_fmaak_f32 v6, v24, v6, 0x3dd931b2
	v_ldexp_f32 v15, v15, v22
	s_delay_alu instid0(VALU_DEP_2) | instskip(NEXT) | instid1(VALU_DEP_2)
	v_fmaak_f32 v6, v24, v6, 0xbe1160e6
	v_cndmask_b32_e32 v15, 0x7f800000, v15, vcc_lo
	s_delay_alu instid0(VALU_DEP_2) | instskip(NEXT) | instid1(VALU_DEP_2)
	v_fmaak_f32 v6, v24, v6, 0x3e4cb8bf
	v_cmp_gt_f32_e32 vcc_lo, 0x800000, v15
	s_delay_alu instid0(VALU_DEP_2) | instskip(SKIP_1) | instid1(VALU_DEP_2)
	v_fmaak_f32 v6, v24, v6, 0xbeaaaa62
	v_cndmask_b32_e64 v20, 0, 32, vcc_lo
	v_mul_f32_e32 v6, v24, v6
	v_cndmask_b32_e64 v24, 0, 0x41b17218, vcc_lo
	s_delay_alu instid0(VALU_DEP_3) | instskip(NEXT) | instid1(VALU_DEP_3)
	v_ldexp_f32 v15, v15, v20
	v_fmac_f32_e32 v23, v23, v6
	s_delay_alu instid0(VALU_DEP_2) | instskip(SKIP_1) | instid1(TRANS32_DEP_1)
	v_log_f32_e32 v15, v15
	v_nop
	v_mul_f32_e32 v20, 0x3f317217, v15
	v_cmp_gt_f32_e64 vcc_lo, 0x7f800000, |v15|
	s_delay_alu instid0(VALU_DEP_2) | instskip(NEXT) | instid1(VALU_DEP_1)
	v_fma_f32 v6, 0x3f317217, v15, -v20
	v_fmac_f32_e32 v6, 0x3377d1cf, v15
	s_delay_alu instid0(VALU_DEP_1) | instskip(NEXT) | instid1(VALU_DEP_1)
	v_fmac_f32_e32 v6, 0x3f317217, v15
	v_cndmask_b32_e32 v6, v15, v6, vcc_lo
	v_cmp_eq_f32_e32 vcc_lo, 0, v9
	v_sub_f32_e32 v20, 0x3fc90fdb, v23
	s_delay_alu instid0(VALU_DEP_3) | instskip(NEXT) | instid1(VALU_DEP_2)
	v_sub_f32_e32 v6, v6, v24
	v_cndmask_b32_e64 v20, v23, v20, s2
	v_cmp_gt_i32_e64 s2, 0, v8
	s_delay_alu instid0(VALU_DEP_2) | instskip(NEXT) | instid1(VALU_DEP_2)
	v_sub_f32_e32 v23, 0x40490fdb, v20
	v_cndmask_b32_e64 v22, 0, 0x40490fdb, s2
	v_cmp_gt_f32_e64 s2, 0, v8
	s_delay_alu instid0(VALU_DEP_1) | instskip(SKIP_2) | instid1(VALU_DEP_3)
	v_cndmask_b32_e64 v15, v20, v23, s2
	v_cndmask_b32_e64 v20, 0x3f490fdb, v32, s2
	v_add_f32_e32 v23, 1.0, v6
	v_cndmask_b32_e32 v15, v15, v22, vcc_lo
	s_and_b32 vcc_lo, s3, s5
	s_delay_alu instid0(VALU_DEP_1)
	v_cndmask_b32_e32 v6, v15, v20, vcc_lo
.LBB192_66:                             ;   in Loop: Header=BB192_5 Depth=1
	s_or_b32 exec_lo, exec_lo, s4
.LBB192_67:                             ;   in Loop: Header=BB192_5 Depth=1
	s_and_not1_saveexec_b32 s2, s23
	s_cbranch_execz .LBB192_73
; %bb.68:                               ;   in Loop: Header=BB192_5 Depth=1
	v_cmp_ngt_f32_e64 s3, 0x20000000, |v8|
	v_cmp_ngt_f32_e64 s4, 0x20000000, |v9|
                                        ; implicit-def: $vgpr6
	s_or_b32 s3, s3, s4
	s_delay_alu instid0(SALU_CYCLE_1) | instskip(NEXT) | instid1(SALU_CYCLE_1)
	s_and_saveexec_b32 s4, s3
	s_xor_b32 s3, exec_lo, s4
; %bb.69:                               ;   in Loop: Header=BB192_5 Depth=1
	v_pk_mul_f32 v[22:23], v[8:9], v[8:9]
	s_delay_alu instid0(VALU_DEP_1)
	v_add_f32_e32 v6, v22, v23
; %bb.70:                               ;   in Loop: Header=BB192_5 Depth=1
	s_and_not1_saveexec_b32 s3, s3
; %bb.71:                               ;   in Loop: Header=BB192_5 Depth=1
	v_pk_mul_f32 v[22:23], v[8:9], 4.0 op_sel_hi:[1,0]
	s_delay_alu instid0(VALU_DEP_1) | instskip(NEXT) | instid1(VALU_DEP_1)
	v_pk_mul_f32 v[22:23], v[22:23], v[22:23]
	v_add_f32_e32 v6, v22, v23
	s_delay_alu instid0(VALU_DEP_1)
	v_mul_f32_e32 v6, 0x3d800000, v6
; %bb.72:                               ;   in Loop: Header=BB192_5 Depth=1
	s_or_b32 exec_lo, exec_lo, s3
	s_delay_alu instid0(VALU_DEP_1) | instskip(SKIP_2) | instid1(VALU_DEP_2)
	v_cmp_gt_f32_e32 vcc_lo, 0x800000, v6
	v_cndmask_b32_e64 v8, 0, 32, vcc_lo
	v_cndmask_b32_e64 v15, 0, 0x41b17218, vcc_lo
	v_ldexp_f32 v6, v6, v8
	s_delay_alu instid0(VALU_DEP_1) | instskip(SKIP_1) | instid1(TRANS32_DEP_1)
	v_log_f32_e32 v6, v6
	v_nop
	v_mul_f32_e32 v8, 0x3f317217, v6
	v_cmp_gt_f32_e64 vcc_lo, 0x7f800000, |v6|
	s_delay_alu instid0(VALU_DEP_2) | instskip(NEXT) | instid1(VALU_DEP_1)
	v_fma_f32 v8, 0x3f317217, v6, -v8
	v_fmac_f32_e32 v8, 0x3377d1cf, v6
	s_delay_alu instid0(VALU_DEP_1) | instskip(NEXT) | instid1(VALU_DEP_1)
	v_fmac_f32_e32 v8, 0x3f317217, v6
	v_cndmask_b32_e32 v6, v6, v8, vcc_lo
	s_delay_alu instid0(VALU_DEP_1)
	v_dual_sub_f32 v23, v6, v15 :: v_dual_mov_b32 v6, 0x7fc00000
.LBB192_73:                             ;   in Loop: Header=BB192_5 Depth=1
	s_or_b32 exec_lo, exec_lo, s2
                                        ; implicit-def: $vgpr25
                                        ; implicit-def: $vgpr8
	s_delay_alu instid0(SALU_CYCLE_1)
	s_mov_b32 s2, exec_lo
	s_wait_loadcnt 0x0
	v_cmpx_o_f32_e32 v3, v2
	s_xor_b32 s23, exec_lo, s2
	s_cbranch_execz .LBB192_101
; %bb.74:                               ;   in Loop: Header=BB192_5 Depth=1
	v_cmp_lt_f32_e64 s2, |v2|, |v3|
                                        ; implicit-def: $vgpr25
                                        ; implicit-def: $vgpr8
	s_mov_b32 s4, exec_lo
	v_cndmask_b32_e64 v15, v3, v2, s2
	s_delay_alu instid0(VALU_DEP_1)
	v_cmpx_nlt_f32_e64 0x77f684df, |v15|
	s_xor_b32 s24, exec_lo, s4
	s_cbranch_execz .LBB192_98
; %bb.75:                               ;   in Loop: Header=BB192_5 Depth=1
	v_cndmask_b32_e64 v8, v2, v3, s2
	v_and_b32_e32 v26, 0x7fffffff, v15
                                        ; implicit-def: $vgpr25
	s_mov_b32 s3, exec_lo
	s_delay_alu instid0(VALU_DEP_2) | instskip(NEXT) | instid1(VALU_DEP_1)
	v_and_b32_e32 v27, 0x7fffffff, v8
                                        ; implicit-def: $vgpr8
	v_cmpx_neq_f32_e32 1.0, v27
	s_xor_b32 s25, exec_lo, s3
	s_cbranch_execz .LBB192_91
; %bb.76:                               ;   in Loop: Header=BB192_5 Depth=1
	v_dual_max_num_f32 v8, v26, v26 :: v_dual_max_num_f32 v15, v27, v27
                                        ; implicit-def: $vgpr25
	s_delay_alu instid0(VALU_DEP_1) | instskip(NEXT) | instid1(VALU_DEP_1)
	v_dual_min_num_f32 v20, v15, v8 :: v_dual_max_num_f32 v8, v15, v8
	v_cmp_ngt_f32_e32 vcc_lo, 0x358637bd, v20
	s_delay_alu instid0(VALU_DEP_2) | instskip(SKIP_1) | instid1(SALU_CYCLE_1)
	v_cmp_nlt_f32_e64 s3, 0x49742400, v8
                                        ; implicit-def: $vgpr8
	s_and_b32 s3, s3, vcc_lo
	s_and_saveexec_b32 s4, s3
	s_delay_alu instid0(SALU_CYCLE_1)
	s_xor_b32 s26, exec_lo, s4
	s_cbranch_execz .LBB192_88
; %bb.77:                               ;   in Loop: Header=BB192_5 Depth=1
                                        ; implicit-def: $vgpr25
                                        ; implicit-def: $vgpr8
	s_mov_b32 s3, exec_lo
	v_cmpx_le_f32_e32 1.0, v27
	s_xor_b32 s4, exec_lo, s3
	s_cbranch_execz .LBB192_79
; %bb.78:                               ;   in Loop: Header=BB192_5 Depth=1
	v_pk_add_f32 v[24:25], v[26:27], v[12:13] op_sel:[1,0]
	v_mov_b32_e32 v28, v26
	v_cmp_class_f32_e64 s5, v2, 0x204
	s_delay_alu instid0(VALU_DEP_3) | instskip(SKIP_1) | instid1(VALU_DEP_1)
	v_dual_mov_b32 v27, v24 :: v_dual_mov_b32 v29, v25
	v_mul_f32_e32 v8, v24, v25
	v_pk_fma_f32 v[24:25], v[26:27], v[28:29], v[8:9] op_sel_hi:[1,1,0]
	s_delay_alu instid0(VALU_DEP_1) | instskip(SKIP_1) | instid1(VALU_DEP_2)
	v_add_f32_e32 v27, 1.0, v24
	v_cmp_neq_f32_e64 s3, -1.0, v24
	v_add_f32_e32 v25, -1.0, v27
	s_delay_alu instid0(VALU_DEP_1) | instskip(SKIP_2) | instid1(VALU_DEP_1)
	v_mov_b32_e32 v26, v25
	v_cvt_f64_f32_e32 v[28:29], v27
	v_frexp_mant_f32_e32 v15, v27
	v_cmp_gt_f32_e32 vcc_lo, 0x3f2aaaab, v15
	s_delay_alu instid0(VALU_DEP_3) | instskip(NEXT) | instid1(VALU_DEP_1)
	v_frexp_exp_i32_f64_e32 v8, v[28:29]
	v_subrev_co_ci_u32_e64 v8, null, 0, v8, vcc_lo
	v_cmp_neq_f32_e32 vcc_lo, 0x7f800000, v24
	s_delay_alu instid0(VALU_DEP_2) | instskip(SKIP_1) | instid1(VALU_DEP_2)
	v_sub_nc_u32_e32 v15, 0, v8
	v_pk_add_f32 v[28:29], v[24:25], v[26:27] neg_lo:[0,1] neg_hi:[0,1]
	v_ldexp_f32 v20, v27, v15
	s_delay_alu instid0(VALU_DEP_1) | instskip(NEXT) | instid1(VALU_DEP_1)
	v_dual_add_f32 v22, 1.0, v29 :: v_dual_add_f32 v25, 1.0, v20
	v_dual_add_f32 v22, v28, v22 :: v_dual_add_f32 v26, -1.0, v25
	v_add_f32_e32 v31, -1.0, v20
	s_delay_alu instid0(VALU_DEP_2) | instskip(NEXT) | instid1(VALU_DEP_2)
	v_ldexp_f32 v15, v22, v15
	v_dual_sub_f32 v22, v20, v26 :: v_dual_add_f32 v26, 1.0, v31
	s_delay_alu instid0(VALU_DEP_1) | instskip(NEXT) | instid1(VALU_DEP_2)
	v_add_f32_e32 v22, v15, v22
	v_sub_f32_e32 v20, v20, v26
	s_delay_alu instid0(VALU_DEP_1) | instskip(NEXT) | instid1(VALU_DEP_1)
	v_dual_add_f32 v33, v25, v22 :: v_dual_add_f32 v15, v15, v20
	v_rcp_f32_e32 v20, v33
	s_delay_alu instid0(VALU_DEP_1)
	v_dual_add_f32 v27, v31, v15 :: v_dual_sub_f32 v25, v33, v25
	s_delay_alu instid0(TRANS32_DEP_1) | instid1(VALU_DEP_1)
	v_dual_mul_f32 v34, v27, v20 :: v_dual_sub_f32 v22, v22, v25
	s_delay_alu instid0(VALU_DEP_1) | instskip(NEXT) | instid1(VALU_DEP_1)
	v_dual_sub_f32 v25, v27, v31 :: v_dual_mul_f32 v28, v33, v34
	v_sub_f32_e32 v15, v15, v25
	s_delay_alu instid0(VALU_DEP_2) | instskip(NEXT) | instid1(VALU_DEP_1)
	v_fma_f32 v30, v34, v33, -v28
	v_fmac_f32_e32 v30, v34, v22
	s_delay_alu instid0(VALU_DEP_1) | instskip(NEXT) | instid1(VALU_DEP_1)
	v_add_f32_e32 v26, v28, v30
	v_dual_sub_f32 v29, v27, v26 :: v_dual_mov_b32 v31, v26
	s_delay_alu instid0(VALU_DEP_1) | instskip(NEXT) | instid1(VALU_DEP_1)
	v_pk_add_f32 v[26:27], v[26:27], v[28:29] neg_lo:[0,1] neg_hi:[0,1]
	v_pk_add_f32 v[26:27], v[26:27], v[30:31] neg_lo:[0,1] neg_hi:[0,1]
	s_delay_alu instid0(VALU_DEP_1) | instskip(NEXT) | instid1(VALU_DEP_1)
	v_add_f32_e32 v15, v15, v27
	v_add_f32_e32 v15, v26, v15
	s_delay_alu instid0(VALU_DEP_1) | instskip(NEXT) | instid1(VALU_DEP_1)
	v_add_f32_e32 v27, v29, v15
	v_mul_f32_e32 v25, v20, v27
	s_delay_alu instid0(VALU_DEP_1) | instskip(NEXT) | instid1(VALU_DEP_1)
	v_mul_f32_e32 v30, v33, v25
	v_fma_f32 v28, v25, v33, -v30
	s_delay_alu instid0(VALU_DEP_1) | instskip(NEXT) | instid1(VALU_DEP_1)
	v_fmac_f32_e32 v28, v25, v22
	v_dual_add_f32 v26, v30, v28 :: v_dual_sub_f32 v22, v29, v27
	s_delay_alu instid0(VALU_DEP_1) | instskip(NEXT) | instid1(VALU_DEP_2)
	v_dual_sub_f32 v31, v27, v26 :: v_dual_mov_b32 v29, v26
	v_add_f32_e32 v15, v15, v22
	s_delay_alu instid0(VALU_DEP_2) | instskip(NEXT) | instid1(VALU_DEP_1)
	v_pk_add_f32 v[26:27], v[26:27], v[30:31] neg_lo:[0,1] neg_hi:[0,1]
	v_pk_add_f32 v[26:27], v[26:27], v[28:29] neg_lo:[0,1] neg_hi:[0,1]
	s_delay_alu instid0(VALU_DEP_1) | instskip(NEXT) | instid1(VALU_DEP_1)
	v_add_f32_e32 v15, v15, v27
	v_add_f32_e32 v15, v26, v15
	s_delay_alu instid0(VALU_DEP_1) | instskip(NEXT) | instid1(VALU_DEP_1)
	v_dual_add_f32 v22, v34, v25 :: v_dual_add_f32 v15, v31, v15
	v_dual_sub_f32 v26, v22, v34 :: v_dual_mul_f32 v15, v20, v15
	s_delay_alu instid0(VALU_DEP_1) | instskip(SKIP_1) | instid1(VALU_DEP_2)
	v_sub_f32_e32 v25, v25, v26
	v_cvt_f32_i32_e32 v26, v8
	v_add_f32_e32 v20, v25, v15
	s_delay_alu instid0(VALU_DEP_1) | instskip(NEXT) | instid1(VALU_DEP_1)
	v_add_f32_e32 v25, v22, v20
	v_mul_f32_e32 v15, v25, v25
	s_delay_alu instid0(VALU_DEP_1) | instskip(SKIP_2) | instid1(VALU_DEP_3)
	v_dual_fmaak_f32 v28, s20, v15, 0x3ecc95a3 :: v_dual_mul_f32 v27, v25, v15
	v_sub_f32_e32 v8, v25, v22
	v_ldexp_f32 v31, v25, 1
	v_fmaak_f32 v15, v15, v28, 0x3f2aaada
	s_delay_alu instid0(VALU_DEP_1) | instskip(NEXT) | instid1(VALU_DEP_1)
	v_pk_mul_f32 v[28:29], v[26:27], v[14:15]
	v_fma_f32 v30, 0x3f317218, v26, -v28
	v_mov_b32_e32 v34, v28
	s_delay_alu instid0(VALU_DEP_2) | instskip(NEXT) | instid1(VALU_DEP_1)
	v_fmac_f32_e32 v30, 0xb102e308, v26
	v_pk_add_f32 v[26:27], v[28:29], v[30:31]
	s_delay_alu instid0(VALU_DEP_1) | instskip(NEXT) | instid1(VALU_DEP_1)
	v_dual_sub_f32 v8, v20, v8 :: v_dual_sub_f32 v15, v27, v31
	v_ldexp_f32 v8, v8, 1
	s_delay_alu instid0(VALU_DEP_3) | instskip(NEXT) | instid1(VALU_DEP_3)
	v_dual_mov_b32 v31, v26 :: v_dual_mov_b32 v42, v27
	v_sub_f32_e32 v15, v29, v15
	v_pk_add_f32 v[28:29], v[26:27], v[28:29] neg_lo:[0,1] neg_hi:[0,1]
	s_delay_alu instid0(VALU_DEP_2) | instskip(SKIP_2) | instid1(VALU_DEP_3)
	v_add_f32_e32 v35, v8, v15
	v_max_num_f32_e64 v8, |v3|, |v3|
	v_max_num_f32_e64 v15, |v2|, |v2|
	v_pk_add_f32 v[36:37], v[26:27], v[34:35]
	s_delay_alu instid0(VALU_DEP_1) | instskip(NEXT) | instid1(VALU_DEP_1)
	v_dual_max_num_f32 v20, v15, v8 :: v_dual_mov_b32 v29, v37
	v_frexp_exp_i32_f32_e32 v22, v20
	v_min_num_f32_e32 v15, v15, v8
	v_frexp_mant_f32_e32 v20, v20
	s_delay_alu instid0(VALU_DEP_4) | instskip(SKIP_1) | instid1(VALU_DEP_4)
	v_pk_add_f32 v[38:39], v[30:31], v[28:29]
	v_pk_add_f32 v[28:29], v[30:31], v[28:29] neg_lo:[0,1] neg_hi:[0,1]
	v_frexp_exp_i32_f32_e32 v25, v15
	s_delay_alu instid0(VALU_DEP_4) | instskip(NEXT) | instid1(VALU_DEP_3)
	v_rcp_f32_e32 v20, v20
	v_dual_mov_b32 v8, v39 :: v_dual_mov_b32 v29, v39
	s_delay_alu instid0(VALU_DEP_2) | instskip(SKIP_1) | instid1(VALU_DEP_3)
	v_sub_nc_u32_e32 v22, v25, v22
	v_frexp_mant_f32_e32 v33, v15
	v_pk_add_f32 v[40:41], v[8:9], v[26:27] neg_lo:[0,1] neg_hi:[0,1]
	v_dual_mov_b32 v38, v37 :: v_dual_mov_b32 v27, v26
	s_delay_alu instid0(TRANS32_DEP_1) | instid1(VALU_DEP_3)
	v_dual_mov_b32 v26, v35 :: v_dual_mul_f32 v20, v33, v20
	s_delay_alu instid0(VALU_DEP_3) | instskip(NEXT) | instid1(VALU_DEP_1)
	v_dual_mov_b32 v15, v40 :: v_dual_mov_b32 v43, v40
	v_pk_add_f32 v[34:35], v[36:37], v[14:15] neg_lo:[0,1] neg_hi:[0,1]
	s_delay_alu instid0(VALU_DEP_2) | instskip(NEXT) | instid1(VALU_DEP_4)
	v_pk_add_f32 v[30:31], v[38:39], v[42:43] neg_lo:[0,1] neg_hi:[0,1]
	v_ldexp_f32 v15, v20, v22
	v_mov_b32_e32 v34, v28
	s_delay_alu instid0(VALU_DEP_3) | instskip(NEXT) | instid1(VALU_DEP_3)
	v_pk_add_f32 v[26:27], v[26:27], v[30:31] neg_lo:[0,1] neg_hi:[0,1]
	v_mul_f32_e32 v22, v15, v15
	s_delay_alu instid0(VALU_DEP_2) | instskip(NEXT) | instid1(VALU_DEP_1)
	v_pk_add_f32 v[30:31], v[34:35], v[26:27]
	v_dual_fmaak_f32 v25, s21, v22, 0xbc7a590c :: v_dual_mov_b32 v20, v31
	s_delay_alu instid0(VALU_DEP_1) | instskip(NEXT) | instid1(VALU_DEP_2)
	v_pk_add_f32 v[34:35], v[30:31], v[20:21]
	v_fmaak_f32 v20, v22, v25, 0x3d29fb3f
	s_delay_alu instid0(VALU_DEP_2) | instskip(NEXT) | instid1(VALU_DEP_1)
	v_pk_add_f32 v[36:37], v[8:9], v[34:35]
	v_dual_fmaak_f32 v8, v22, v20, 0xbd97d4d7 :: v_dual_mov_b32 v31, v36
	s_delay_alu instid0(VALU_DEP_1) | instskip(NEXT) | instid1(VALU_DEP_2)
	v_fmaak_f32 v8, v22, v8, 0x3dd931b2
	v_pk_add_f32 v[38:39], v[30:31], v[28:29] neg_lo:[0,1] neg_hi:[0,1]
	s_delay_alu instid0(VALU_DEP_2) | instskip(NEXT) | instid1(VALU_DEP_1)
	v_fmaak_f32 v8, v22, v8, 0xbe1160e6
	v_fmaak_f32 v8, v22, v8, 0x3e4cb8bf
	s_delay_alu instid0(VALU_DEP_1) | instskip(NEXT) | instid1(VALU_DEP_1)
	v_fmaak_f32 v8, v22, v8, 0xbeaaaa62
	v_mul_f32_e32 v8, v22, v8
	s_delay_alu instid0(VALU_DEP_1) | instskip(NEXT) | instid1(VALU_DEP_1)
	v_dual_sub_f32 v20, v30, v38 :: v_dual_fmac_f32 v15, v15, v8
	v_dual_mov_b32 v27, v34 :: v_dual_sub_f32 v20, v28, v20
	s_delay_alu instid0(VALU_DEP_1) | instskip(NEXT) | instid1(VALU_DEP_1)
	v_pk_add_f32 v[26:27], v[26:27], v[38:39] neg_lo:[0,1] neg_hi:[0,1]
	v_add_f32_e32 v20, v26, v20
	s_delay_alu instid0(VALU_DEP_1) | instskip(NEXT) | instid1(VALU_DEP_1)
	v_add_f32_e32 v20, v20, v27
                                        ; implicit-def: $vgpr26_vgpr27
	v_add_f32_e32 v8, v36, v20
	v_sub_f32_e32 v20, 0x3fc90fdb, v15
	s_delay_alu instid0(VALU_DEP_1) | instskip(NEXT) | instid1(VALU_DEP_3)
	v_cndmask_b32_e64 v15, v15, v20, s2
	v_cndmask_b32_e32 v8, 0x7f800000, v8, vcc_lo
	v_cmp_gt_i32_e32 vcc_lo, 0, v2
	v_cndmask_b32_e64 v20, 0, 0x40490fdb, vcc_lo
	v_cmp_ngt_f32_e32 vcc_lo, -1.0, v24
	v_sub_f32_e32 v22, 0x40490fdb, v15
	v_cndmask_b32_e32 v8, 0x7fc00000, v8, vcc_lo
	v_cmp_gt_f32_e32 vcc_lo, 0, v2
	s_delay_alu instid0(VALU_DEP_2) | instskip(NEXT) | instid1(VALU_DEP_4)
	v_cndmask_b32_e64 v8, 0xff800000, v8, s3
	v_cndmask_b32_e32 v15, v15, v22, vcc_lo
	v_cndmask_b32_e32 v22, 0x3f490fdb, v32, vcc_lo
	v_cmp_gt_f32_e64 vcc_lo, 0x33800000, |v24|
	v_cmp_class_f32_e64 s3, v3, 0x204
	v_cndmask_b32_e32 v8, v8, v24, vcc_lo
	v_cmp_eq_f32_e32 vcc_lo, 0, v3
	s_delay_alu instid0(VALU_DEP_2) | instskip(SKIP_2) | instid1(VALU_DEP_1)
	v_mul_f32_e32 v25, 0.5, v8
	v_cndmask_b32_e32 v15, v15, v20, vcc_lo
	s_and_b32 vcc_lo, s5, s3
	v_cndmask_b32_e32 v8, v15, v22, vcc_lo
.LBB192_79:                             ;   in Loop: Header=BB192_5 Depth=1
	s_and_not1_saveexec_b32 s27, s4
	s_cbranch_execz .LBB192_87
; %bb.80:                               ;   in Loop: Header=BB192_5 Depth=1
	v_pk_mul_f32 v[24:25], v[26:27], v[26:27]
                                        ; implicit-def: $vgpr8
	s_mov_b32 s3, exec_lo
	s_delay_alu instid0(VALU_DEP_1) | instskip(NEXT) | instid1(VALU_DEP_1)
	v_add_f32_e32 v15, v25, v24
                                        ; implicit-def: $vgpr25
	v_cmpx_ge_f32_e32 0x3f333333, v15
	s_xor_b32 s4, exec_lo, s3
	s_cbranch_execz .LBB192_82
; %bb.81:                               ;   in Loop: Header=BB192_5 Depth=1
	v_max_num_f32_e64 v8, |v3|, |v3|
	v_max_num_f32_e64 v20, |v2|, |v2|
	v_cmp_gt_f32_e32 vcc_lo, 0x800000, v15
	v_cmp_gt_i32_e64 s3, 0, v2
	v_cmp_class_f32_e64 s5, v2, 0x204
	v_cmp_class_f32_e64 s6, v3, 0x204
	v_dual_max_num_f32 v22, v20, v8 :: v_dual_min_num_f32 v8, v20, v8
	v_cndmask_b32_e64 v25, 0, 0x41b17218, vcc_lo
                                        ; implicit-def: $vgpr26
	s_delay_alu instid0(VALU_DEP_2) | instskip(SKIP_1) | instid1(VALU_DEP_2)
	v_frexp_mant_f32_e32 v24, v22
	v_frexp_exp_i32_f32_e32 v20, v22
	v_rcp_f32_e32 v22, v24
	v_nop
	v_frexp_exp_i32_f32_e32 v24, v8
	v_frexp_mant_f32_e32 v8, v8
	s_delay_alu instid0(VALU_DEP_2) | instskip(SKIP_1) | instid1(VALU_DEP_1)
	v_sub_nc_u32_e32 v20, v24, v20
	v_cndmask_b32_e64 v24, 0, 32, vcc_lo
	v_ldexp_f32 v15, v15, v24
	s_delay_alu instid0(VALU_DEP_1) | instskip(SKIP_1) | instid1(TRANS32_DEP_1)
	v_log_f32_e32 v15, v15
	v_nop
	v_cmp_gt_f32_e64 vcc_lo, 0x7f800000, |v15|
	v_mul_f32_e32 v8, v8, v22
	s_delay_alu instid0(VALU_DEP_1) | instskip(NEXT) | instid1(VALU_DEP_1)
	v_ldexp_f32 v8, v8, v20
	v_mul_f32_e32 v20, v8, v8
	s_delay_alu instid0(VALU_DEP_1) | instskip(NEXT) | instid1(VALU_DEP_1)
	v_fmaak_f32 v22, s21, v20, 0xbc7a590c
	v_fmaak_f32 v22, v20, v22, 0x3d29fb3f
	s_delay_alu instid0(VALU_DEP_1) | instskip(NEXT) | instid1(VALU_DEP_1)
	v_fmaak_f32 v22, v20, v22, 0xbd97d4d7
	v_fmaak_f32 v22, v20, v22, 0x3dd931b2
	;; [unrolled: 3-line block ×3, first 2 shown]
	s_delay_alu instid0(VALU_DEP_1) | instskip(NEXT) | instid1(VALU_DEP_1)
	v_fmaak_f32 v22, v20, v22, 0xbeaaaa62
	v_mul_f32_e32 v20, v20, v22
	v_mul_f32_e32 v22, 0x3f317217, v15
	s_delay_alu instid0(VALU_DEP_2) | instskip(NEXT) | instid1(VALU_DEP_2)
	v_fmac_f32_e32 v8, v8, v20
	v_fma_f32 v20, 0x3f317217, v15, -v22
	s_delay_alu instid0(VALU_DEP_2) | instskip(NEXT) | instid1(VALU_DEP_2)
	v_sub_f32_e32 v22, 0x3fc90fdb, v8
	v_fmac_f32_e32 v20, 0x3377d1cf, v15
	s_delay_alu instid0(VALU_DEP_2) | instskip(NEXT) | instid1(VALU_DEP_2)
	v_cndmask_b32_e64 v8, v8, v22, s2
	v_fmac_f32_e32 v20, 0x3f317217, v15
	v_cndmask_b32_e64 v22, 0, 0x40490fdb, s3
	v_cmp_eq_f32_e64 s3, 0, v3
	s_delay_alu instid0(VALU_DEP_4) | instskip(NEXT) | instid1(VALU_DEP_4)
	v_sub_f32_e32 v24, 0x40490fdb, v8
	v_cndmask_b32_e32 v15, v15, v20, vcc_lo
	v_cmp_gt_f32_e32 vcc_lo, 0, v2
	s_delay_alu instid0(VALU_DEP_2) | instskip(SKIP_2) | instid1(VALU_DEP_2)
	v_dual_sub_f32 v15, v15, v25 :: v_dual_cndmask_b32 v8, v8, v24
	v_cndmask_b32_e32 v20, 0x3f490fdb, v32, vcc_lo
	s_and_b32 vcc_lo, s5, s6
	v_dual_mul_f32 v25, 0.5, v15 :: v_dual_cndmask_b32 v8, v8, v22, s3
	s_delay_alu instid0(VALU_DEP_1)
	v_cndmask_b32_e32 v8, v8, v20, vcc_lo
.LBB192_82:                             ;   in Loop: Header=BB192_5 Depth=1
	s_and_not1_saveexec_b32 s28, s4
	s_cbranch_execz .LBB192_86
; %bb.83:                               ;   in Loop: Header=BB192_5 Depth=1
	v_and_b32_e32 v25, 0x7fff0000, v26
	v_and_b32_e32 v24, 0x7fff0000, v27
	s_mov_b32 s29, 0
	s_delay_alu instid0(VALU_DEP_1) | instskip(SKIP_2) | instid1(VALU_DEP_2)
	v_dual_add_f32 v30, v25, v25 :: v_dual_add_f32 v15, v24, v24
	v_pk_add_f32 v[26:27], v[26:27], v[24:25] op_sel:[1,0] op_sel_hi:[0,1] neg_lo:[0,1] neg_hi:[0,1]
	v_pk_mul_f32 v[24:25], v[24:25], v[24:25]
	v_and_b32_e32 v29, 0xffff0000, v27
	s_delay_alu instid0(VALU_DEP_3) | instskip(NEXT) | instid1(VALU_DEP_1)
	v_and_b32_e32 v28, 0xffff0000, v26
	v_dual_add_f32 v34, v29, v29 :: v_dual_add_f32 v33, v28, v28
	v_pk_add_f32 v[26:27], v[26:27], v[28:29] neg_lo:[0,1] neg_hi:[0,1]
	v_dual_mul_f32 v8, v15, v28 :: v_dual_mul_f32 v22, v30, v29
	v_pk_mul_f32 v[28:29], v[28:29], v[28:29]
	s_delay_alu instid0(VALU_DEP_3)
	v_dual_mul_f32 v20, v15, v26 :: v_dual_mul_f32 v31, v30, v27
	v_dual_mul_f32 v15, v33, v26 :: v_dual_mul_f32 v30, v34, v27
	v_pk_mul_f32 v[26:27], v[26:27], v[26:27]
.LBB192_84:                             ;   Parent Loop BB192_5 Depth=1
                                        ; =>  This Inner Loop Header: Depth=2
	v_cmp_nlt_f32_e32 vcc_lo, v24, v25
	v_dual_cndmask_b32 v33, v24, v25 :: v_dual_cndmask_b32 v24, v25, v24
	s_delay_alu instid0(VALU_DEP_1) | instskip(NEXT) | instid1(VALU_DEP_1)
	v_cmp_nlt_f32_e64 s3, v33, v8
	v_dual_cndmask_b32 v34, v33, v8, s3 :: v_dual_cndmask_b32 v25, v8, v33, s3
	s_and_b32 s3, vcc_lo, s3
	s_delay_alu instid0(VALU_DEP_1) | instskip(NEXT) | instid1(VALU_DEP_1)
	v_cmp_nlt_f32_e64 s4, v34, v22
	v_cndmask_b32_e64 v35, v34, v22, s4
	v_cndmask_b32_e64 v8, v22, v34, s4
	s_delay_alu instid0(VALU_DEP_2) | instskip(NEXT) | instid1(VALU_DEP_1)
	v_cmp_nlt_f32_e64 s5, v35, v28
	v_cndmask_b32_e64 v33, v35, v28, s5
	s_and_b32 s30, s4, s5
	s_delay_alu instid0(VALU_DEP_1) | instskip(NEXT) | instid1(VALU_DEP_1)
	v_cmp_nlt_f32_e64 s6, v33, v29
	v_dual_cndmask_b32 v34, v33, v29, s6 :: v_dual_cndmask_b32 v22, v28, v35, s5
	v_cndmask_b32_e64 v28, v29, v33, s6
	s_delay_alu instid0(VALU_DEP_2) | instskip(NEXT) | instid1(VALU_DEP_1)
	v_cmp_nlt_f32_e64 s7, v34, v20
	v_cndmask_b32_e64 v36, v34, v20, s7
	s_and_b32 s6, s6, s7
	v_cndmask_b32_e64 v29, v20, v34, s7
	s_delay_alu instid0(VALU_DEP_2) | instskip(NEXT) | instid1(VALU_DEP_1)
	v_cmp_nlt_f32_e64 s8, v36, v31
	v_cndmask_b32_e64 v37, v36, v31, s8
	s_and_b32 s6, s6, s8
	s_delay_alu instid0(VALU_DEP_1) | instskip(NEXT) | instid1(VALU_DEP_1)
	v_cmp_nlt_f32_e64 s9, v37, v15
	v_cndmask_b32_e64 v35, v37, v15, s9
	s_and_b32 s7, s6, s9
	s_delay_alu instid0(VALU_DEP_1) | instskip(NEXT) | instid1(VALU_DEP_1)
	v_cmp_nlt_f32_e64 s4, v35, v30
	v_cndmask_b32_e64 v33, v35, v30, s4
	v_cndmask_b32_e64 v20, v31, v36, s8
	v_dual_cndmask_b32 v31, v15, v37, s9 :: v_dual_cndmask_b32 v15, v30, v35, s4
	s_and_b32 s4, s7, s4
	s_delay_alu instid0(VALU_DEP_3) | instskip(NEXT) | instid1(VALU_DEP_1)
	v_cmp_nlt_f32_e64 s5, v33, v26
	v_cndmask_b32_e64 v34, v33, v26, s5
	s_and_b32 s4, s4, s5
	s_delay_alu instid0(VALU_DEP_1) | instskip(NEXT) | instid1(VALU_DEP_1)
	v_cmp_nlt_f32_e64 s6, v34, v27
	v_dual_cndmask_b32 v30, v26, v33, s5 :: v_dual_cndmask_b32 v26, v27, v34, s6
	s_and_b32 s4, s4, s6
	v_cndmask_b32_e64 v27, v34, v27, s6
	s_and_b32 s4, s4, s30
	s_delay_alu instid0(SALU_CYCLE_1) | instskip(NEXT) | instid1(SALU_CYCLE_1)
	s_and_b32 s3, s4, s3
	s_and_b32 s3, exec_lo, s3
	s_delay_alu instid0(SALU_CYCLE_1) | instskip(NEXT) | instid1(SALU_CYCLE_1)
	s_or_b32 s29, s3, s29
	s_and_not1_b32 exec_lo, exec_lo, s29
	s_cbranch_execnz .LBB192_84
; %bb.85:                               ;   in Loop: Header=BB192_5 Depth=1
	s_or_b32 exec_lo, exec_lo, s29
	v_add_f32_e32 v24, -1.0, v24
	v_cmp_class_f32_e64 s4, v2, 0x204
	s_delay_alu instid0(VALU_DEP_2) | instskip(NEXT) | instid1(VALU_DEP_1)
	v_add_f32_e32 v24, v24, v25
	v_add_f32_e32 v8, v24, v8
	s_delay_alu instid0(VALU_DEP_1) | instskip(NEXT) | instid1(VALU_DEP_1)
	v_add_f32_e32 v8, v8, v22
	v_add_f32_e32 v8, v8, v28
	s_delay_alu instid0(VALU_DEP_1) | instskip(NEXT) | instid1(VALU_DEP_1)
	;; [unrolled: 3-line block ×5, first 2 shown]
	v_add_f32_e32 v24, v27, v8
	v_add_f32_e32 v27, 1.0, v24
	s_delay_alu instid0(VALU_DEP_1) | instskip(SKIP_2) | instid1(VALU_DEP_2)
	v_cvt_f64_f32_e32 v[28:29], v27
	v_frexp_mant_f32_e32 v15, v27
	v_add_f32_e32 v25, -1.0, v27
	v_cmp_gt_f32_e32 vcc_lo, 0x3f2aaaab, v15
	s_delay_alu instid0(VALU_DEP_2) | instskip(SKIP_1) | instid1(VALU_DEP_1)
	v_mov_b32_e32 v26, v25
	v_frexp_exp_i32_f64_e32 v8, v[28:29]
	v_subrev_co_ci_u32_e64 v8, null, 0, v8, vcc_lo
	s_delay_alu instid0(VALU_DEP_1) | instskip(NEXT) | instid1(VALU_DEP_4)
	v_sub_nc_u32_e32 v15, 0, v8
	v_pk_add_f32 v[28:29], v[24:25], v[26:27] neg_lo:[0,1] neg_hi:[0,1]
	v_cmp_neq_f32_e32 vcc_lo, 0x7f800000, v24
	v_cmp_neq_f32_e64 s3, -1.0, v24
	s_delay_alu instid0(VALU_DEP_4) | instskip(NEXT) | instid1(VALU_DEP_1)
	v_ldexp_f32 v20, v27, v15
	v_dual_add_f32 v22, 1.0, v29 :: v_dual_add_f32 v25, 1.0, v20
	s_delay_alu instid0(VALU_DEP_1) | instskip(NEXT) | instid1(VALU_DEP_2)
	v_dual_add_f32 v31, -1.0, v20 :: v_dual_add_f32 v22, v28, v22
	v_add_f32_e32 v26, -1.0, v25
	s_delay_alu instid0(VALU_DEP_2) | instskip(NEXT) | instid1(VALU_DEP_2)
	v_ldexp_f32 v15, v22, v15
	v_dual_sub_f32 v22, v20, v26 :: v_dual_add_f32 v26, 1.0, v31
	s_delay_alu instid0(VALU_DEP_1) | instskip(NEXT) | instid1(VALU_DEP_1)
	v_sub_f32_e32 v20, v20, v26
	v_dual_add_f32 v22, v15, v22 :: v_dual_add_f32 v15, v15, v20
	s_delay_alu instid0(VALU_DEP_1) | instskip(NEXT) | instid1(VALU_DEP_1)
	v_dual_add_f32 v27, v31, v15 :: v_dual_add_f32 v33, v25, v22
	v_rcp_f32_e32 v20, v33
	v_nop
	s_delay_alu instid0(TRANS32_DEP_1) | instskip(NEXT) | instid1(VALU_DEP_1)
	v_dual_mul_f32 v34, v27, v20 :: v_dual_sub_f32 v25, v33, v25
	v_dual_mul_f32 v28, v33, v34 :: v_dual_sub_f32 v22, v22, v25
	s_delay_alu instid0(VALU_DEP_1) | instskip(NEXT) | instid1(VALU_DEP_1)
	v_dual_sub_f32 v25, v27, v31 :: v_dual_fma_f32 v30, v34, v33, -v28
	v_dual_sub_f32 v15, v15, v25 :: v_dual_fmac_f32 v30, v34, v22
	s_delay_alu instid0(VALU_DEP_1) | instskip(NEXT) | instid1(VALU_DEP_1)
	v_add_f32_e32 v26, v28, v30
	v_dual_sub_f32 v29, v27, v26 :: v_dual_mov_b32 v31, v26
	s_delay_alu instid0(VALU_DEP_1) | instskip(NEXT) | instid1(VALU_DEP_1)
	v_pk_add_f32 v[26:27], v[26:27], v[28:29] neg_lo:[0,1] neg_hi:[0,1]
	v_pk_add_f32 v[26:27], v[26:27], v[30:31] neg_lo:[0,1] neg_hi:[0,1]
	s_delay_alu instid0(VALU_DEP_1) | instskip(NEXT) | instid1(VALU_DEP_1)
	v_add_f32_e32 v15, v15, v27
	v_add_f32_e32 v15, v26, v15
	s_delay_alu instid0(VALU_DEP_1) | instskip(NEXT) | instid1(VALU_DEP_1)
	v_add_f32_e32 v27, v29, v15
	v_mul_f32_e32 v25, v20, v27
	s_delay_alu instid0(VALU_DEP_1) | instskip(NEXT) | instid1(VALU_DEP_1)
	v_mul_f32_e32 v30, v33, v25
	v_fma_f32 v28, v25, v33, -v30
	s_delay_alu instid0(VALU_DEP_1) | instskip(NEXT) | instid1(VALU_DEP_1)
	v_fmac_f32_e32 v28, v25, v22
	v_dual_add_f32 v26, v30, v28 :: v_dual_sub_f32 v22, v29, v27
	s_delay_alu instid0(VALU_DEP_1) | instskip(NEXT) | instid1(VALU_DEP_2)
	v_dual_sub_f32 v31, v27, v26 :: v_dual_mov_b32 v29, v26
	v_add_f32_e32 v15, v15, v22
	s_delay_alu instid0(VALU_DEP_2) | instskip(NEXT) | instid1(VALU_DEP_1)
	v_pk_add_f32 v[26:27], v[26:27], v[30:31] neg_lo:[0,1] neg_hi:[0,1]
	v_pk_add_f32 v[26:27], v[26:27], v[28:29] neg_lo:[0,1] neg_hi:[0,1]
	s_delay_alu instid0(VALU_DEP_1) | instskip(NEXT) | instid1(VALU_DEP_1)
	v_add_f32_e32 v15, v15, v27
	v_add_f32_e32 v15, v26, v15
	s_delay_alu instid0(VALU_DEP_1) | instskip(NEXT) | instid1(VALU_DEP_1)
	v_dual_add_f32 v22, v34, v25 :: v_dual_add_f32 v15, v31, v15
	v_dual_sub_f32 v26, v22, v34 :: v_dual_mul_f32 v15, v20, v15
	s_delay_alu instid0(VALU_DEP_1) | instskip(SKIP_1) | instid1(VALU_DEP_2)
	v_sub_f32_e32 v25, v25, v26
	v_cvt_f32_i32_e32 v26, v8
	v_add_f32_e32 v20, v25, v15
	s_delay_alu instid0(VALU_DEP_1) | instskip(NEXT) | instid1(VALU_DEP_1)
	v_add_f32_e32 v25, v22, v20
	v_mul_f32_e32 v15, v25, v25
	s_delay_alu instid0(VALU_DEP_1) | instskip(SKIP_2) | instid1(VALU_DEP_3)
	v_dual_fmaak_f32 v28, s20, v15, 0x3ecc95a3 :: v_dual_mul_f32 v27, v25, v15
	v_sub_f32_e32 v8, v25, v22
	v_ldexp_f32 v31, v25, 1
	v_fmaak_f32 v15, v15, v28, 0x3f2aaada
	s_delay_alu instid0(VALU_DEP_1) | instskip(NEXT) | instid1(VALU_DEP_1)
	v_pk_mul_f32 v[28:29], v[26:27], v[14:15]
	v_fma_f32 v30, 0x3f317218, v26, -v28
	v_mov_b32_e32 v34, v28
	s_delay_alu instid0(VALU_DEP_2) | instskip(NEXT) | instid1(VALU_DEP_1)
	v_fmac_f32_e32 v30, 0xb102e308, v26
	v_pk_add_f32 v[26:27], v[28:29], v[30:31]
	s_delay_alu instid0(VALU_DEP_1) | instskip(NEXT) | instid1(VALU_DEP_1)
	v_dual_sub_f32 v8, v20, v8 :: v_dual_sub_f32 v15, v27, v31
	v_ldexp_f32 v8, v8, 1
	s_delay_alu instid0(VALU_DEP_3) | instskip(NEXT) | instid1(VALU_DEP_3)
	v_dual_mov_b32 v31, v26 :: v_dual_mov_b32 v42, v27
	v_sub_f32_e32 v15, v29, v15
	v_pk_add_f32 v[28:29], v[26:27], v[28:29] neg_lo:[0,1] neg_hi:[0,1]
	s_delay_alu instid0(VALU_DEP_2) | instskip(SKIP_2) | instid1(VALU_DEP_3)
	v_add_f32_e32 v35, v8, v15
	v_max_num_f32_e64 v8, |v3|, |v3|
	v_max_num_f32_e64 v15, |v2|, |v2|
	v_pk_add_f32 v[36:37], v[26:27], v[34:35]
	s_delay_alu instid0(VALU_DEP_1) | instskip(NEXT) | instid1(VALU_DEP_1)
	v_dual_max_num_f32 v20, v15, v8 :: v_dual_mov_b32 v29, v37
	v_frexp_exp_i32_f32_e32 v22, v20
	v_min_num_f32_e32 v15, v15, v8
	v_frexp_mant_f32_e32 v20, v20
	s_delay_alu instid0(VALU_DEP_4) | instskip(SKIP_1) | instid1(VALU_DEP_4)
	v_pk_add_f32 v[38:39], v[30:31], v[28:29]
	v_pk_add_f32 v[28:29], v[30:31], v[28:29] neg_lo:[0,1] neg_hi:[0,1]
	v_frexp_exp_i32_f32_e32 v25, v15
	s_delay_alu instid0(VALU_DEP_4) | instskip(NEXT) | instid1(VALU_DEP_3)
	v_rcp_f32_e32 v20, v20
	v_dual_mov_b32 v8, v39 :: v_dual_mov_b32 v29, v39
	s_delay_alu instid0(VALU_DEP_2) | instskip(SKIP_1) | instid1(VALU_DEP_3)
	v_sub_nc_u32_e32 v22, v25, v22
	v_frexp_mant_f32_e32 v33, v15
	v_pk_add_f32 v[40:41], v[8:9], v[26:27] neg_lo:[0,1] neg_hi:[0,1]
	v_dual_mov_b32 v38, v37 :: v_dual_mov_b32 v27, v26
	s_delay_alu instid0(TRANS32_DEP_1) | instid1(VALU_DEP_3)
	v_dual_mov_b32 v26, v35 :: v_dual_mul_f32 v20, v33, v20
	s_delay_alu instid0(VALU_DEP_3) | instskip(NEXT) | instid1(VALU_DEP_1)
	v_dual_mov_b32 v15, v40 :: v_dual_mov_b32 v43, v40
	v_pk_add_f32 v[34:35], v[36:37], v[14:15] neg_lo:[0,1] neg_hi:[0,1]
	s_delay_alu instid0(VALU_DEP_2) | instskip(NEXT) | instid1(VALU_DEP_4)
	v_pk_add_f32 v[30:31], v[38:39], v[42:43] neg_lo:[0,1] neg_hi:[0,1]
	v_ldexp_f32 v15, v20, v22
	v_mov_b32_e32 v34, v28
	s_delay_alu instid0(VALU_DEP_3) | instskip(NEXT) | instid1(VALU_DEP_3)
	v_pk_add_f32 v[26:27], v[26:27], v[30:31] neg_lo:[0,1] neg_hi:[0,1]
	v_mul_f32_e32 v22, v15, v15
	s_delay_alu instid0(VALU_DEP_2) | instskip(NEXT) | instid1(VALU_DEP_1)
	v_pk_add_f32 v[30:31], v[34:35], v[26:27]
	v_dual_fmaak_f32 v25, s21, v22, 0xbc7a590c :: v_dual_mov_b32 v20, v31
	s_delay_alu instid0(VALU_DEP_1) | instskip(NEXT) | instid1(VALU_DEP_2)
	v_pk_add_f32 v[34:35], v[30:31], v[20:21]
	v_fmaak_f32 v20, v22, v25, 0x3d29fb3f
	s_delay_alu instid0(VALU_DEP_2) | instskip(NEXT) | instid1(VALU_DEP_1)
	v_pk_add_f32 v[36:37], v[8:9], v[34:35]
	v_dual_fmaak_f32 v8, v22, v20, 0xbd97d4d7 :: v_dual_mov_b32 v31, v36
	s_delay_alu instid0(VALU_DEP_1) | instskip(NEXT) | instid1(VALU_DEP_2)
	v_fmaak_f32 v8, v22, v8, 0x3dd931b2
	v_pk_add_f32 v[38:39], v[30:31], v[28:29] neg_lo:[0,1] neg_hi:[0,1]
	s_delay_alu instid0(VALU_DEP_2) | instskip(NEXT) | instid1(VALU_DEP_1)
	v_fmaak_f32 v8, v22, v8, 0xbe1160e6
	v_fmaak_f32 v8, v22, v8, 0x3e4cb8bf
	s_delay_alu instid0(VALU_DEP_1) | instskip(NEXT) | instid1(VALU_DEP_1)
	v_fmaak_f32 v8, v22, v8, 0xbeaaaa62
	v_mul_f32_e32 v8, v22, v8
	s_delay_alu instid0(VALU_DEP_1) | instskip(NEXT) | instid1(VALU_DEP_1)
	v_dual_sub_f32 v20, v30, v38 :: v_dual_fmac_f32 v15, v15, v8
	v_dual_mov_b32 v27, v34 :: v_dual_sub_f32 v20, v28, v20
	s_delay_alu instid0(VALU_DEP_1) | instskip(NEXT) | instid1(VALU_DEP_1)
	v_pk_add_f32 v[26:27], v[26:27], v[38:39] neg_lo:[0,1] neg_hi:[0,1]
	v_add_f32_e32 v20, v26, v20
	s_delay_alu instid0(VALU_DEP_1) | instskip(NEXT) | instid1(VALU_DEP_1)
	v_add_f32_e32 v20, v20, v27
	v_add_f32_e32 v8, v36, v20
	v_sub_f32_e32 v20, 0x3fc90fdb, v15
	s_delay_alu instid0(VALU_DEP_1) | instskip(NEXT) | instid1(VALU_DEP_3)
	v_cndmask_b32_e64 v15, v15, v20, s2
	v_cndmask_b32_e32 v8, 0x7f800000, v8, vcc_lo
	v_cmp_gt_i32_e32 vcc_lo, 0, v2
	v_cndmask_b32_e64 v20, 0, 0x40490fdb, vcc_lo
	v_cmp_ngt_f32_e32 vcc_lo, -1.0, v24
	v_sub_f32_e32 v22, 0x40490fdb, v15
	v_cndmask_b32_e32 v8, 0x7fc00000, v8, vcc_lo
	v_cmp_gt_f32_e32 vcc_lo, 0, v2
	s_delay_alu instid0(VALU_DEP_2) | instskip(NEXT) | instid1(VALU_DEP_4)
	v_cndmask_b32_e64 v8, 0xff800000, v8, s3
	v_cndmask_b32_e32 v15, v15, v22, vcc_lo
	v_cndmask_b32_e32 v22, 0x3f490fdb, v32, vcc_lo
	v_cmp_gt_f32_e64 vcc_lo, 0x33800000, |v24|
	v_cmp_class_f32_e64 s3, v3, 0x204
	v_cndmask_b32_e32 v8, v8, v24, vcc_lo
	v_cmp_eq_f32_e32 vcc_lo, 0, v3
	s_delay_alu instid0(VALU_DEP_2) | instskip(SKIP_2) | instid1(VALU_DEP_1)
	v_mul_f32_e32 v25, 0.5, v8
	v_cndmask_b32_e32 v15, v15, v20, vcc_lo
	s_and_b32 vcc_lo, s4, s3
	v_cndmask_b32_e32 v8, v15, v22, vcc_lo
.LBB192_86:                             ;   in Loop: Header=BB192_5 Depth=1
	s_or_b32 exec_lo, exec_lo, s28
.LBB192_87:                             ;   in Loop: Header=BB192_5 Depth=1
	s_delay_alu instid0(SALU_CYCLE_1)
	s_or_b32 exec_lo, exec_lo, s27
.LBB192_88:                             ;   in Loop: Header=BB192_5 Depth=1
	s_and_not1_saveexec_b32 s4, s26
	s_cbranch_execz .LBB192_90
; %bb.89:                               ;   in Loop: Header=BB192_5 Depth=1
	v_max_num_f32_e64 v8, |v3|, |v3|
	v_max_num_f32_e64 v15, |v2|, |v2|
	v_cmp_gt_i32_e64 s3, 0, v2
	v_cmp_class_f32_e64 s5, v2, 0x204
	v_cmp_class_f32_e64 s6, v3, 0x204
	s_delay_alu instid0(VALU_DEP_4) | instskip(NEXT) | instid1(VALU_DEP_1)
	v_dual_max_num_f32 v20, v15, v8 :: v_dual_min_num_f32 v8, v15, v8
	v_cvt_f64_f32_e32 v[24:25], v20
	v_frexp_exp_i32_f32_e32 v15, v20
	v_cmp_neq_f32_e32 vcc_lo, 0x7f800000, v20
	s_delay_alu instid0(VALU_DEP_3) | instskip(SKIP_3) | instid1(VALU_DEP_3)
	v_frexp_exp_i32_f64_e32 v22, v[24:25]
	v_frexp_mant_f32_e32 v24, v20
	v_frexp_exp_i32_f32_e32 v25, v8
	v_frexp_mant_f32_e32 v8, v8
	v_rcp_f32_e32 v24, v24
	v_nop
	s_delay_alu instid0(TRANS32_DEP_1) | instskip(NEXT) | instid1(VALU_DEP_1)
	v_dual_mul_f32 v8, v8, v24 :: v_dual_sub_nc_u32 v15, v25, v15
	v_ldexp_f32 v8, v8, v15
	s_delay_alu instid0(VALU_DEP_1) | instskip(NEXT) | instid1(VALU_DEP_1)
	v_dual_mul_f32 v24, v8, v8 :: v_dual_sub_nc_u32 v15, 0, v22
	v_ldexp_f32 v25, |v3|, v15
	s_delay_alu instid0(VALU_DEP_2) | instskip(SKIP_1) | instid1(VALU_DEP_2)
	v_fmaak_f32 v26, s21, v24, 0xbc7a590c
	v_ldexp_f32 v15, |v2|, v15
	v_dual_mul_f32 v25, v25, v25 :: v_dual_fmaak_f32 v26, v24, v26, 0x3d29fb3f
	s_delay_alu instid0(VALU_DEP_1) | instskip(NEXT) | instid1(VALU_DEP_2)
	v_fmac_f32_e32 v25, v15, v15
	v_fmaak_f32 v15, v24, v26, 0xbd97d4d7
	s_delay_alu instid0(VALU_DEP_2) | instskip(NEXT) | instid1(VALU_DEP_1)
	v_sqrt_f32_e32 v25, v25
	v_fmaak_f32 v15, v24, v15, 0x3dd931b2
	s_delay_alu instid0(VALU_DEP_1) | instskip(NEXT) | instid1(TRANS32_DEP_1)
	v_fmaak_f32 v15, v24, v15, 0xbe1160e6
	v_ldexp_f32 v22, v25, v22
	s_delay_alu instid0(VALU_DEP_2) | instskip(NEXT) | instid1(VALU_DEP_1)
	v_fmaak_f32 v15, v24, v15, 0x3e4cb8bf
	v_fmaak_f32 v15, v24, v15, 0xbeaaaa62
	s_delay_alu instid0(VALU_DEP_1) | instskip(NEXT) | instid1(VALU_DEP_1)
	v_dual_cndmask_b32 v20, 0x7f800000, v22 :: v_dual_mul_f32 v15, v24, v15
	v_cmp_gt_f32_e32 vcc_lo, 0x800000, v20
	v_cndmask_b32_e64 v22, 0, 32, vcc_lo
	v_cndmask_b32_e64 v25, 0, 0x41b17218, vcc_lo
	s_delay_alu instid0(VALU_DEP_2) | instskip(NEXT) | instid1(VALU_DEP_1)
	v_ldexp_f32 v20, v20, v22
	v_log_f32_e32 v20, v20
	v_nop
	s_delay_alu instid0(TRANS32_DEP_1) | instskip(SKIP_1) | instid1(VALU_DEP_2)
	v_dual_fmac_f32 v8, v8, v15 :: v_dual_mul_f32 v15, 0x3f317217, v20
	v_cmp_gt_f32_e64 vcc_lo, 0x7f800000, |v20|
	v_fma_f32 v15, 0x3f317217, v20, -v15
	s_delay_alu instid0(VALU_DEP_1) | instskip(NEXT) | instid1(VALU_DEP_1)
	v_fmac_f32_e32 v15, 0x3377d1cf, v20
	v_fmac_f32_e32 v15, 0x3f317217, v20
	s_delay_alu instid0(VALU_DEP_1) | instskip(NEXT) | instid1(VALU_DEP_1)
	v_dual_sub_f32 v22, 0x3fc90fdb, v8 :: v_dual_cndmask_b32 v15, v20, v15
	v_cndmask_b32_e64 v8, v8, v22, s2
	v_cndmask_b32_e64 v22, 0, 0x40490fdb, s3
	v_cmp_gt_f32_e64 s3, 0, v2
	v_cmp_eq_f32_e32 vcc_lo, 0, v3
	s_delay_alu instid0(VALU_DEP_4) | instskip(NEXT) | instid1(VALU_DEP_1)
	v_dual_sub_f32 v25, v15, v25 :: v_dual_sub_f32 v24, 0x40490fdb, v8
	v_cndmask_b32_e64 v8, v8, v24, s3
	v_cndmask_b32_e64 v24, 0x3f490fdb, v32, s3
	s_delay_alu instid0(VALU_DEP_2) | instskip(SKIP_1) | instid1(VALU_DEP_1)
	v_cndmask_b32_e32 v8, v8, v22, vcc_lo
	s_and_b32 vcc_lo, s5, s6
	v_cndmask_b32_e32 v8, v8, v24, vcc_lo
.LBB192_90:                             ;   in Loop: Header=BB192_5 Depth=1
	s_or_b32 exec_lo, exec_lo, s4
                                        ; implicit-def: $vgpr26
.LBB192_91:                             ;   in Loop: Header=BB192_5 Depth=1
	s_and_not1_saveexec_b32 s4, s25
	s_cbranch_execz .LBB192_97
; %bb.92:                               ;   in Loop: Header=BB192_5 Depth=1
                                        ; implicit-def: $vgpr25
                                        ; implicit-def: $vgpr8
	s_mov_b32 s3, exec_lo
	v_cmpx_ngt_f32_e32 0x1fec1e4a, v26
	s_xor_b32 s5, exec_lo, s3
	s_cbranch_execz .LBB192_94
; %bb.93:                               ;   in Loop: Header=BB192_5 Depth=1
	v_pk_mul_f32 v[24:25], v[26:27], v[26:27]
	v_cmp_class_f32_e64 s6, v2, 0x204
	s_delay_alu instid0(VALU_DEP_2) | instskip(SKIP_1) | instid1(VALU_DEP_2)
	v_add_f32_e32 v27, 1.0, v24
	v_cmp_neq_f32_e64 s3, 0x7f800000, v24
	v_add_f32_e32 v25, -1.0, v27
	s_delay_alu instid0(VALU_DEP_1) | instskip(SKIP_2) | instid1(VALU_DEP_1)
	v_mov_b32_e32 v26, v25
	v_cvt_f64_f32_e32 v[28:29], v27
	v_frexp_mant_f32_e32 v15, v27
	v_cmp_gt_f32_e32 vcc_lo, 0x3f2aaaab, v15
	s_delay_alu instid0(VALU_DEP_3) | instskip(NEXT) | instid1(VALU_DEP_1)
	v_frexp_exp_i32_f64_e32 v8, v[28:29]
	v_subrev_co_ci_u32_e64 v8, null, 0, v8, vcc_lo
	v_cmp_gt_i32_e32 vcc_lo, 0, v2
	s_delay_alu instid0(VALU_DEP_2) | instskip(SKIP_1) | instid1(VALU_DEP_2)
	v_sub_nc_u32_e32 v15, 0, v8
	v_pk_add_f32 v[28:29], v[24:25], v[26:27] neg_lo:[0,1] neg_hi:[0,1]
	v_ldexp_f32 v20, v27, v15
	s_delay_alu instid0(VALU_DEP_1) | instskip(NEXT) | instid1(VALU_DEP_1)
	v_dual_add_f32 v22, 1.0, v29 :: v_dual_add_f32 v25, 1.0, v20
	v_dual_add_f32 v22, v28, v22 :: v_dual_add_f32 v26, -1.0, v25
	v_add_f32_e32 v31, -1.0, v20
	s_delay_alu instid0(VALU_DEP_2) | instskip(NEXT) | instid1(VALU_DEP_2)
	v_ldexp_f32 v15, v22, v15
	v_dual_sub_f32 v22, v20, v26 :: v_dual_add_f32 v26, 1.0, v31
	s_delay_alu instid0(VALU_DEP_1) | instskip(NEXT) | instid1(VALU_DEP_2)
	v_add_f32_e32 v22, v15, v22
	v_sub_f32_e32 v20, v20, v26
	s_delay_alu instid0(VALU_DEP_1) | instskip(NEXT) | instid1(VALU_DEP_1)
	v_dual_add_f32 v33, v25, v22 :: v_dual_add_f32 v15, v15, v20
	v_rcp_f32_e32 v20, v33
	s_delay_alu instid0(VALU_DEP_1)
	v_dual_add_f32 v27, v31, v15 :: v_dual_sub_f32 v25, v25, v33
	s_delay_alu instid0(TRANS32_DEP_1) | instid1(VALU_DEP_1)
	v_dual_mul_f32 v34, v27, v20 :: v_dual_add_f32 v22, v22, v25
	s_delay_alu instid0(VALU_DEP_1) | instskip(NEXT) | instid1(VALU_DEP_1)
	v_dual_sub_f32 v25, v31, v27 :: v_dual_mul_f32 v28, v33, v34
	v_add_f32_e32 v15, v15, v25
	s_delay_alu instid0(VALU_DEP_2) | instskip(NEXT) | instid1(VALU_DEP_1)
	v_fma_f32 v30, v34, v33, -v28
	v_fmac_f32_e32 v30, v34, v22
	s_delay_alu instid0(VALU_DEP_1) | instskip(NEXT) | instid1(VALU_DEP_1)
	v_add_f32_e32 v26, v28, v30
	v_dual_sub_f32 v29, v27, v26 :: v_dual_mov_b32 v31, v26
	s_delay_alu instid0(VALU_DEP_1) | instskip(NEXT) | instid1(VALU_DEP_1)
	v_pk_add_f32 v[26:27], v[26:27], v[28:29] neg_lo:[0,1] neg_hi:[0,1]
	v_pk_add_f32 v[26:27], v[26:27], v[30:31] neg_lo:[0,1] neg_hi:[0,1]
	s_delay_alu instid0(VALU_DEP_1) | instskip(NEXT) | instid1(VALU_DEP_1)
	v_add_f32_e32 v15, v15, v27
	v_add_f32_e32 v15, v26, v15
	s_delay_alu instid0(VALU_DEP_1) | instskip(NEXT) | instid1(VALU_DEP_1)
	v_add_f32_e32 v27, v29, v15
	v_mul_f32_e32 v25, v20, v27
	s_delay_alu instid0(VALU_DEP_1) | instskip(NEXT) | instid1(VALU_DEP_1)
	v_mul_f32_e32 v30, v33, v25
	v_fma_f32 v28, v25, v33, -v30
	s_delay_alu instid0(VALU_DEP_1) | instskip(NEXT) | instid1(VALU_DEP_1)
	v_fmac_f32_e32 v28, v25, v22
	v_dual_add_f32 v26, v30, v28 :: v_dual_sub_f32 v22, v29, v27
	s_delay_alu instid0(VALU_DEP_1) | instskip(NEXT) | instid1(VALU_DEP_2)
	v_dual_sub_f32 v31, v27, v26 :: v_dual_mov_b32 v29, v26
	v_add_f32_e32 v15, v15, v22
	s_delay_alu instid0(VALU_DEP_2) | instskip(NEXT) | instid1(VALU_DEP_1)
	v_pk_add_f32 v[26:27], v[26:27], v[30:31] neg_lo:[0,1] neg_hi:[0,1]
	v_pk_add_f32 v[26:27], v[26:27], v[28:29] neg_lo:[0,1] neg_hi:[0,1]
	s_delay_alu instid0(VALU_DEP_1) | instskip(NEXT) | instid1(VALU_DEP_1)
	v_add_f32_e32 v15, v15, v27
	v_add_f32_e32 v15, v26, v15
	s_delay_alu instid0(VALU_DEP_1) | instskip(NEXT) | instid1(VALU_DEP_1)
	v_dual_add_f32 v22, v34, v25 :: v_dual_add_f32 v15, v31, v15
	v_dual_sub_f32 v26, v22, v34 :: v_dual_mul_f32 v15, v20, v15
	s_delay_alu instid0(VALU_DEP_1) | instskip(SKIP_1) | instid1(VALU_DEP_2)
	v_sub_f32_e32 v25, v25, v26
	v_cvt_f32_i32_e32 v26, v8
	v_add_f32_e32 v20, v25, v15
	s_delay_alu instid0(VALU_DEP_1) | instskip(NEXT) | instid1(VALU_DEP_1)
	v_add_f32_e32 v25, v22, v20
	v_mul_f32_e32 v15, v25, v25
	s_delay_alu instid0(VALU_DEP_1) | instskip(SKIP_3) | instid1(VALU_DEP_4)
	v_dual_fmaak_f32 v28, s20, v15, 0x3ecc95a3 :: v_dual_mul_f32 v27, v25, v15
	v_ldexp_f32 v31, v25, 1
	v_sub_f32_e32 v8, v25, v22
	v_max_num_f32_e64 v22, |v2|, |v2|
	v_fmaak_f32 v15, v15, v28, 0x3f2aaada
	s_delay_alu instid0(VALU_DEP_1) | instskip(NEXT) | instid1(VALU_DEP_1)
	v_pk_mul_f32 v[28:29], v[26:27], v[14:15]
	v_fma_f32 v30, 0x3f317218, v26, -v28
	v_mov_b32_e32 v34, v28
	s_delay_alu instid0(VALU_DEP_2) | instskip(NEXT) | instid1(VALU_DEP_1)
	v_fmac_f32_e32 v30, 0xb102e308, v26
	v_pk_add_f32 v[26:27], v[28:29], v[30:31]
	v_sub_f32_e32 v8, v20, v8
	v_max_num_f32_e64 v20, |v3|, |v3|
	s_delay_alu instid0(VALU_DEP_3) | instskip(NEXT) | instid1(VALU_DEP_3)
	v_sub_f32_e32 v15, v27, v31
	v_ldexp_f32 v8, v8, 1
	s_delay_alu instid0(VALU_DEP_2) | instskip(SKIP_1) | instid1(VALU_DEP_2)
	v_sub_f32_e32 v15, v29, v15
	v_pk_add_f32 v[28:29], v[26:27], v[28:29] neg_lo:[0,1] neg_hi:[0,1]
	v_dual_add_f32 v35, v8, v15 :: v_dual_max_num_f32 v8, v22, v20
	s_delay_alu instid0(VALU_DEP_1) | instskip(SKIP_1) | instid1(VALU_DEP_3)
	v_pk_add_f32 v[36:37], v[26:27], v[34:35]
	v_mov_b32_e32 v31, v26
	v_frexp_mant_f32_e32 v15, v8
	s_delay_alu instid0(VALU_DEP_3) | instskip(NEXT) | instid1(VALU_DEP_2)
	v_dual_mov_b32 v42, v27 :: v_dual_mov_b32 v29, v37
	v_rcp_f32_e32 v15, v15
	s_delay_alu instid0(VALU_DEP_1)
	v_pk_add_f32 v[38:39], v[30:31], v[28:29]
	v_min_num_f32_e32 v20, v22, v20
	v_frexp_exp_i32_f32_e32 v22, v8
	v_mov_b32_e32 v38, v37
	v_pk_add_f32 v[28:29], v[30:31], v[28:29] neg_lo:[0,1] neg_hi:[0,1]
	v_mov_b32_e32 v8, v39
	v_frexp_exp_i32_f32_e32 v25, v20
	v_frexp_mant_f32_e32 v20, v20
	v_mov_b32_e32 v29, v39
	s_delay_alu instid0(VALU_DEP_4) | instskip(NEXT) | instid1(VALU_DEP_3)
	v_pk_add_f32 v[40:41], v[8:9], v[26:27] neg_lo:[0,1] neg_hi:[0,1]
	v_dual_mul_f32 v15, v20, v15 :: v_dual_sub_nc_u32 v22, v25, v22
	v_dual_mov_b32 v27, v26 :: v_dual_mov_b32 v26, v35
	s_delay_alu instid0(VALU_DEP_3) | instskip(NEXT) | instid1(VALU_DEP_3)
	v_mov_b32_e32 v43, v40
	v_ldexp_f32 v22, v15, v22
	v_mov_b32_e32 v15, v40
	s_delay_alu instid0(VALU_DEP_3) | instskip(NEXT) | instid1(VALU_DEP_3)
	v_pk_add_f32 v[30:31], v[38:39], v[42:43] neg_lo:[0,1] neg_hi:[0,1]
	v_mul_f32_e32 v25, v22, v22
	s_delay_alu instid0(VALU_DEP_3) | instskip(SKIP_1) | instid1(VALU_DEP_4)
	v_pk_add_f32 v[34:35], v[36:37], v[14:15] neg_lo:[0,1] neg_hi:[0,1]
	v_mov_b32_e32 v34, v28
	v_pk_add_f32 v[26:27], v[26:27], v[30:31] neg_lo:[0,1] neg_hi:[0,1]
	s_delay_alu instid0(VALU_DEP_1) | instskip(NEXT) | instid1(VALU_DEP_1)
	v_pk_add_f32 v[30:31], v[34:35], v[26:27]
	v_dual_fmaak_f32 v15, s21, v25, 0xbc7a590c :: v_dual_mov_b32 v20, v31
	s_delay_alu instid0(VALU_DEP_1) | instskip(NEXT) | instid1(VALU_DEP_2)
	v_fmaak_f32 v15, v25, v15, 0x3d29fb3f
	v_pk_add_f32 v[34:35], v[30:31], v[20:21]
	s_delay_alu instid0(VALU_DEP_2) | instskip(SKIP_2) | instid1(VALU_DEP_4)
	v_fmaak_f32 v15, v25, v15, 0xbd97d4d7
	v_cndmask_b32_e64 v20, 0, 0x40490fdb, vcc_lo
	v_cmp_gt_f32_e32 vcc_lo, 0, v2
	v_pk_add_f32 v[36:37], v[8:9], v[34:35]
	s_delay_alu instid0(VALU_DEP_4) | instskip(NEXT) | instid1(VALU_DEP_1)
	v_fmaak_f32 v15, v25, v15, 0x3dd931b2
	v_dual_mov_b32 v27, v34 :: v_dual_fmaak_f32 v8, v25, v15, 0xbe1160e6
	s_delay_alu instid0(VALU_DEP_1) | instskip(NEXT) | instid1(VALU_DEP_1)
	v_dual_mov_b32 v31, v36 :: v_dual_fmaak_f32 v8, v25, v8, 0x3e4cb8bf
	v_pk_add_f32 v[38:39], v[30:31], v[28:29] neg_lo:[0,1] neg_hi:[0,1]
	s_delay_alu instid0(VALU_DEP_2) | instskip(NEXT) | instid1(VALU_DEP_2)
	v_fmaak_f32 v8, v25, v8, 0xbeaaaa62
	v_pk_add_f32 v[26:27], v[26:27], v[38:39] neg_lo:[0,1] neg_hi:[0,1]
	s_delay_alu instid0(VALU_DEP_2) | instskip(NEXT) | instid1(VALU_DEP_1)
	v_dual_sub_f32 v15, v30, v38 :: v_dual_mul_f32 v8, v25, v8
	v_dual_sub_f32 v15, v28, v15 :: v_dual_fmac_f32 v22, v22, v8
	s_delay_alu instid0(VALU_DEP_1) | instskip(NEXT) | instid1(VALU_DEP_1)
	v_add_f32_e32 v8, v26, v15
                                        ; implicit-def: $vgpr26
	v_dual_sub_f32 v15, 0x3fc90fdb, v22 :: v_dual_add_f32 v8, v8, v27
	s_delay_alu instid0(VALU_DEP_1) | instskip(NEXT) | instid1(VALU_DEP_1)
	v_add_f32_e32 v8, v36, v8
	v_cndmask_b32_e64 v8, 0x7f800000, v8, s3
	s_delay_alu instid0(VALU_DEP_3) | instskip(SKIP_1) | instid1(VALU_DEP_2)
	v_cndmask_b32_e64 v15, v22, v15, s2
	v_cmp_class_f32_e64 s3, v3, 0x204
	v_sub_f32_e32 v22, 0x40490fdb, v15
	s_delay_alu instid0(VALU_DEP_1) | instskip(SKIP_4) | instid1(VALU_DEP_2)
	v_cndmask_b32_e32 v15, v15, v22, vcc_lo
	v_cndmask_b32_e32 v22, 0x3f490fdb, v32, vcc_lo
	v_cmp_gt_f32_e64 vcc_lo, 0x33800000, |v24|
	v_cndmask_b32_e32 v8, v8, v24, vcc_lo
	v_cmp_eq_f32_e32 vcc_lo, 0, v3
	v_mul_f32_e32 v25, 0.5, v8
	v_cndmask_b32_e32 v15, v15, v20, vcc_lo
	s_and_b32 vcc_lo, s6, s3
	s_delay_alu instid0(VALU_DEP_1)
	v_cndmask_b32_e32 v8, v15, v22, vcc_lo
.LBB192_94:                             ;   in Loop: Header=BB192_5 Depth=1
	s_and_not1_saveexec_b32 s5, s5
	s_cbranch_execz .LBB192_96
; %bb.95:                               ;   in Loop: Header=BB192_5 Depth=1
	v_max_num_f32_e64 v8, |v3|, |v3|
	v_max_num_f32_e64 v15, |v2|, |v2|
	v_cmp_eq_f32_e64 s3, 0, v3
	v_cmp_gt_i32_e32 vcc_lo, 0, v2
	v_cmp_class_f32_e64 s6, v2, 0x204
	v_cmp_class_f32_e64 s7, v3, 0x204
	v_dual_max_num_f32 v20, v15, v8 :: v_dual_min_num_f32 v8, v15, v8
	s_delay_alu instid0(VALU_DEP_1) | instskip(SKIP_1) | instid1(VALU_DEP_2)
	v_frexp_mant_f32_e32 v22, v20
	v_frexp_exp_i32_f32_e32 v15, v20
	v_rcp_f32_e32 v20, v22
	v_nop
	v_frexp_exp_i32_f32_e32 v22, v8
	v_frexp_mant_f32_e32 v8, v8
	s_delay_alu instid0(TRANS32_DEP_1) | instid1(VALU_DEP_1)
	v_dual_mul_f32 v8, v8, v20 :: v_dual_sub_nc_u32 v15, v22, v15
	s_delay_alu instid0(VALU_DEP_1) | instskip(NEXT) | instid1(VALU_DEP_1)
	v_ldexp_f32 v8, v8, v15
	v_mul_f32_e32 v15, v8, v8
	s_delay_alu instid0(VALU_DEP_1) | instskip(NEXT) | instid1(VALU_DEP_1)
	v_fmaak_f32 v20, s21, v15, 0xbc7a590c
	v_fmaak_f32 v20, v15, v20, 0x3d29fb3f
	s_delay_alu instid0(VALU_DEP_1) | instskip(NEXT) | instid1(VALU_DEP_1)
	v_fmaak_f32 v20, v15, v20, 0xbd97d4d7
	v_fmaak_f32 v20, v15, v20, 0x3dd931b2
	;; [unrolled: 3-line block ×3, first 2 shown]
	s_delay_alu instid0(VALU_DEP_1) | instskip(NEXT) | instid1(VALU_DEP_1)
	v_fmaak_f32 v20, v15, v20, 0xbeaaaa62
	v_mul_f32_e32 v15, v15, v20
	v_cndmask_b32_e64 v20, 0, 0x40490fdb, vcc_lo
	v_cmp_gt_f32_e32 vcc_lo, 0, v2
	s_delay_alu instid0(VALU_DEP_3) | instskip(NEXT) | instid1(VALU_DEP_1)
	v_fmac_f32_e32 v8, v8, v15
	v_sub_f32_e32 v15, 0x3fc90fdb, v8
	s_delay_alu instid0(VALU_DEP_1) | instskip(NEXT) | instid1(VALU_DEP_1)
	v_cndmask_b32_e64 v8, v8, v15, s2
	v_sub_f32_e32 v15, 0x40490fdb, v8
	s_delay_alu instid0(VALU_DEP_1) | instskip(NEXT) | instid1(VALU_DEP_1)
	v_dual_cndmask_b32 v8, v8, v15 :: v_dual_mul_f32 v15, 0.5, v26
	v_cndmask_b32_e64 v8, v8, v20, s3
	v_cndmask_b32_e32 v20, 0x3f490fdb, v32, vcc_lo
	s_and_b32 vcc_lo, s6, s7
	s_delay_alu instid0(VALU_DEP_1)
	v_dual_mul_f32 v25, v26, v15 :: v_dual_cndmask_b32 v8, v8, v20
.LBB192_96:                             ;   in Loop: Header=BB192_5 Depth=1
	s_or_b32 exec_lo, exec_lo, s5
.LBB192_97:                             ;   in Loop: Header=BB192_5 Depth=1
	s_delay_alu instid0(SALU_CYCLE_1)
	s_or_b32 exec_lo, exec_lo, s4
.LBB192_98:                             ;   in Loop: Header=BB192_5 Depth=1
	s_and_not1_saveexec_b32 s4, s24
	s_cbranch_execz .LBB192_100
; %bb.99:                               ;   in Loop: Header=BB192_5 Depth=1
	v_div_scale_f32 v8, null, 0x402df854, 0x402df854, v2
	v_div_scale_f32 v15, null, 0x402df854, 0x402df854, v3
	v_div_scale_f32 v26, vcc_lo, v2, 0x402df854, v2
	s_delay_alu instid0(VALU_DEP_3) | instskip(NEXT) | instid1(VALU_DEP_2)
	v_rcp_f32_e32 v20, v8
	v_rcp_f32_e32 v22, v15
	v_cmp_class_f32_e64 s5, v3, 0x204
	s_delay_alu instid0(TRANS32_DEP_2) | instskip(NEXT) | instid1(TRANS32_DEP_1)
	v_fma_f32 v24, -v8, v20, 1.0
	v_fma_f32 v25, -v15, v22, 1.0
	s_delay_alu instid0(VALU_DEP_1) | instskip(SKIP_1) | instid1(VALU_DEP_1)
	v_dual_fmac_f32 v20, v24, v20 :: v_dual_fmac_f32 v22, v25, v22
	v_div_scale_f32 v24, s3, v3, 0x402df854, v3
	v_dual_mul_f32 v25, v26, v20 :: v_dual_mul_f32 v27, v24, v22
	s_delay_alu instid0(VALU_DEP_1) | instskip(NEXT) | instid1(VALU_DEP_1)
	v_dual_fma_f32 v28, -v8, v25, v26 :: v_dual_fma_f32 v29, -v15, v27, v24
	v_dual_fmac_f32 v25, v28, v20 :: v_dual_fmac_f32 v27, v29, v22
	s_delay_alu instid0(VALU_DEP_1) | instskip(NEXT) | instid1(VALU_DEP_1)
	v_dual_fma_f32 v8, -v8, v25, v26 :: v_dual_fma_f32 v15, -v15, v27, v24
	v_div_fmas_f32 v8, v8, v20, v25
	s_mov_b32 vcc_lo, s3
	v_cmp_class_f32_e64 s3, v2, 0x204
	s_delay_alu instid0(VALU_DEP_3) | instskip(NEXT) | instid1(VALU_DEP_3)
	v_div_fmas_f32 v15, v15, v22, v27
	v_div_fixup_f32 v8, v8, 0x402df854, v2
	s_delay_alu instid0(VALU_DEP_2) | instskip(NEXT) | instid1(VALU_DEP_1)
	v_div_fixup_f32 v15, v15, 0x402df854, v3
	v_max_num_f32_e64 v20, |v8|, |v15|
	s_delay_alu instid0(VALU_DEP_1) | instskip(SKIP_1) | instid1(VALU_DEP_2)
	v_cvt_f64_f32_e32 v[24:25], v20
	v_cmp_neq_f32_e32 vcc_lo, 0x7f800000, v20
	v_frexp_exp_i32_f64_e32 v22, v[24:25]
	v_max_num_f32_e64 v24, |v3|, |v3|
	v_max_num_f32_e64 v25, |v2|, |v2|
	s_delay_alu instid0(VALU_DEP_1) | instskip(NEXT) | instid1(VALU_DEP_1)
	v_dual_max_num_f32 v26, v25, v24 :: v_dual_min_num_f32 v24, v25, v24
	v_frexp_mant_f32_e32 v27, v26
	v_frexp_exp_i32_f32_e32 v25, v26
	s_delay_alu instid0(VALU_DEP_2)
	v_rcp_f32_e32 v26, v27
	v_nop
	v_frexp_exp_i32_f32_e32 v27, v24
	v_frexp_mant_f32_e32 v24, v24
	s_delay_alu instid0(TRANS32_DEP_1) | instid1(VALU_DEP_1)
	v_dual_mul_f32 v24, v24, v26 :: v_dual_sub_nc_u32 v25, v27, v25
	s_delay_alu instid0(VALU_DEP_1) | instskip(NEXT) | instid1(VALU_DEP_1)
	v_ldexp_f32 v24, v24, v25
	v_dual_mul_f32 v25, v24, v24 :: v_dual_sub_nc_u32 v26, 0, v22
	s_delay_alu instid0(VALU_DEP_1) | instskip(SKIP_1) | instid1(VALU_DEP_2)
	v_ldexp_f32 v15, |v15|, v26
	v_ldexp_f32 v8, |v8|, v26
	v_dual_fmaak_f32 v26, s21, v25, 0xbc7a590c :: v_dual_mul_f32 v15, v15, v15
	s_delay_alu instid0(VALU_DEP_1) | instskip(NEXT) | instid1(VALU_DEP_1)
	v_dual_fmac_f32 v15, v8, v8 :: v_dual_fmaak_f32 v8, v25, v26, 0x3d29fb3f
	v_sqrt_f32_e32 v15, v15
	s_delay_alu instid0(VALU_DEP_1) | instskip(NEXT) | instid1(VALU_DEP_1)
	v_fmaak_f32 v8, v25, v8, 0xbd97d4d7
	v_fmaak_f32 v8, v25, v8, 0x3dd931b2
	s_delay_alu instid0(TRANS32_DEP_1) | instskip(NEXT) | instid1(VALU_DEP_2)
	v_ldexp_f32 v15, v15, v22
	v_fmaak_f32 v8, v25, v8, 0xbe1160e6
	s_delay_alu instid0(VALU_DEP_1) | instskip(NEXT) | instid1(VALU_DEP_1)
	v_fmaak_f32 v8, v25, v8, 0x3e4cb8bf
	v_fmaak_f32 v8, v25, v8, 0xbeaaaa62
	s_delay_alu instid0(VALU_DEP_1) | instskip(NEXT) | instid1(VALU_DEP_1)
	v_dual_cndmask_b32 v15, 0x7f800000, v15 :: v_dual_mul_f32 v8, v25, v8
	v_cmp_gt_f32_e32 vcc_lo, 0x800000, v15
	v_cndmask_b32_e64 v20, 0, 32, vcc_lo
	v_cndmask_b32_e64 v25, 0, 0x41b17218, vcc_lo
	s_delay_alu instid0(VALU_DEP_2) | instskip(NEXT) | instid1(VALU_DEP_1)
	v_ldexp_f32 v15, v15, v20
	v_log_f32_e32 v15, v15
	v_nop
	s_delay_alu instid0(TRANS32_DEP_1) | instskip(SKIP_2) | instid1(VALU_DEP_3)
	v_mul_f32_e32 v20, 0x3f317217, v15
	v_cmp_gt_f32_e64 vcc_lo, 0x7f800000, |v15|
	v_fmac_f32_e32 v24, v24, v8
	v_fma_f32 v8, 0x3f317217, v15, -v20
	s_delay_alu instid0(VALU_DEP_1) | instskip(NEXT) | instid1(VALU_DEP_1)
	v_fmac_f32_e32 v8, 0x3377d1cf, v15
	v_fmac_f32_e32 v8, 0x3f317217, v15
	s_delay_alu instid0(VALU_DEP_1) | instskip(SKIP_2) | instid1(VALU_DEP_3)
	v_cndmask_b32_e32 v8, v15, v8, vcc_lo
	v_sub_f32_e32 v20, 0x3fc90fdb, v24
	v_cmp_eq_f32_e32 vcc_lo, 0, v3
	v_sub_f32_e32 v8, v8, v25
	s_delay_alu instid0(VALU_DEP_3) | instskip(SKIP_1) | instid1(VALU_DEP_3)
	v_cndmask_b32_e64 v20, v24, v20, s2
	v_cmp_gt_i32_e64 s2, 0, v2
	v_add_f32_e32 v25, 1.0, v8
	s_delay_alu instid0(VALU_DEP_3) | instskip(NEXT) | instid1(VALU_DEP_3)
	v_sub_f32_e32 v24, 0x40490fdb, v20
	v_cndmask_b32_e64 v22, 0, 0x40490fdb, s2
	v_cmp_gt_f32_e64 s2, 0, v2
	s_delay_alu instid0(VALU_DEP_1) | instskip(SKIP_1) | instid1(VALU_DEP_2)
	v_cndmask_b32_e64 v15, v20, v24, s2
	v_cndmask_b32_e64 v20, 0x3f490fdb, v32, s2
	v_cndmask_b32_e32 v15, v15, v22, vcc_lo
	s_and_b32 vcc_lo, s3, s5
	s_delay_alu instid0(VALU_DEP_1)
	v_cndmask_b32_e32 v8, v15, v20, vcc_lo
.LBB192_100:                            ;   in Loop: Header=BB192_5 Depth=1
	s_or_b32 exec_lo, exec_lo, s4
.LBB192_101:                            ;   in Loop: Header=BB192_5 Depth=1
	s_and_not1_saveexec_b32 s2, s23
	s_cbranch_execz .LBB192_107
; %bb.102:                              ;   in Loop: Header=BB192_5 Depth=1
	v_cmp_ngt_f32_e64 s3, 0x20000000, |v2|
	v_cmp_ngt_f32_e64 s4, 0x20000000, |v3|
                                        ; implicit-def: $vgpr8
	s_or_b32 s3, s3, s4
	s_delay_alu instid0(SALU_CYCLE_1) | instskip(NEXT) | instid1(SALU_CYCLE_1)
	s_and_saveexec_b32 s4, s3
	s_xor_b32 s3, exec_lo, s4
; %bb.103:                              ;   in Loop: Header=BB192_5 Depth=1
	v_pk_mul_f32 v[24:25], v[2:3], v[2:3]
	s_delay_alu instid0(VALU_DEP_1)
	v_add_f32_e32 v8, v24, v25
; %bb.104:                              ;   in Loop: Header=BB192_5 Depth=1
	s_and_not1_saveexec_b32 s3, s3
; %bb.105:                              ;   in Loop: Header=BB192_5 Depth=1
	v_pk_mul_f32 v[24:25], v[2:3], 4.0 op_sel_hi:[1,0]
	s_delay_alu instid0(VALU_DEP_1) | instskip(NEXT) | instid1(VALU_DEP_1)
	v_pk_mul_f32 v[24:25], v[24:25], v[24:25]
	v_add_f32_e32 v2, v24, v25
	s_delay_alu instid0(VALU_DEP_1)
	v_mul_f32_e32 v8, 0x3d800000, v2
; %bb.106:                              ;   in Loop: Header=BB192_5 Depth=1
	s_or_b32 exec_lo, exec_lo, s3
	s_delay_alu instid0(VALU_DEP_1) | instskip(SKIP_2) | instid1(VALU_DEP_2)
	v_cmp_gt_f32_e32 vcc_lo, 0x800000, v8
	v_cndmask_b32_e64 v2, 0, 32, vcc_lo
	v_cndmask_b32_e64 v15, 0, 0x41b17218, vcc_lo
	v_ldexp_f32 v2, v8, v2
	s_delay_alu instid0(VALU_DEP_1) | instskip(SKIP_1) | instid1(TRANS32_DEP_1)
	v_log_f32_e32 v2, v2
	v_nop
	v_mul_f32_e32 v8, 0x3f317217, v2
	v_cmp_gt_f32_e64 vcc_lo, 0x7f800000, |v2|
	s_delay_alu instid0(VALU_DEP_2) | instskip(NEXT) | instid1(VALU_DEP_1)
	v_fma_f32 v8, 0x3f317217, v2, -v8
	v_fmac_f32_e32 v8, 0x3377d1cf, v2
	s_delay_alu instid0(VALU_DEP_1) | instskip(NEXT) | instid1(VALU_DEP_1)
	v_fmac_f32_e32 v8, 0x3f317217, v2
	v_cndmask_b32_e32 v2, v2, v8, vcc_lo
	s_delay_alu instid0(VALU_DEP_1)
	v_dual_mov_b32 v8, 0x7fc00000 :: v_dual_sub_f32 v25, v2, v15
.LBB192_107:                            ;   in Loop: Header=BB192_5 Depth=1
	s_or_b32 exec_lo, exec_lo, s2
                                        ; implicit-def: $vgpr27
                                        ; implicit-def: $vgpr2
	s_delay_alu instid0(SALU_CYCLE_1)
	s_mov_b32 s2, exec_lo
	v_cmpx_o_f32_e32 v5, v4
	s_xor_b32 s23, exec_lo, s2
	s_cbranch_execz .LBB192_135
; %bb.108:                              ;   in Loop: Header=BB192_5 Depth=1
	v_cmp_lt_f32_e64 s2, |v4|, |v5|
                                        ; implicit-def: $vgpr27
                                        ; implicit-def: $vgpr2
	s_mov_b32 s4, exec_lo
	v_cndmask_b32_e64 v15, v5, v4, s2
	s_delay_alu instid0(VALU_DEP_1)
	v_cmpx_nlt_f32_e64 0x77f684df, |v15|
	s_xor_b32 s24, exec_lo, s4
	s_cbranch_execz .LBB192_132
; %bb.109:                              ;   in Loop: Header=BB192_5 Depth=1
	v_cndmask_b32_e64 v2, v4, v5, s2
	v_and_b32_e32 v28, 0x7fffffff, v15
                                        ; implicit-def: $vgpr27
	s_mov_b32 s3, exec_lo
	s_delay_alu instid0(VALU_DEP_2) | instskip(NEXT) | instid1(VALU_DEP_1)
	v_and_b32_e32 v29, 0x7fffffff, v2
                                        ; implicit-def: $vgpr2
	v_cmpx_neq_f32_e32 1.0, v29
	s_xor_b32 s25, exec_lo, s3
	s_cbranch_execz .LBB192_125
; %bb.110:                              ;   in Loop: Header=BB192_5 Depth=1
	v_dual_max_num_f32 v2, v28, v28 :: v_dual_max_num_f32 v15, v29, v29
                                        ; implicit-def: $vgpr27
	s_delay_alu instid0(VALU_DEP_1) | instskip(NEXT) | instid1(VALU_DEP_1)
	v_dual_min_num_f32 v20, v15, v2 :: v_dual_max_num_f32 v2, v15, v2
	v_cmp_ngt_f32_e32 vcc_lo, 0x358637bd, v20
	s_delay_alu instid0(VALU_DEP_2) | instskip(SKIP_1) | instid1(SALU_CYCLE_1)
	v_cmp_nlt_f32_e64 s3, 0x49742400, v2
                                        ; implicit-def: $vgpr2
	s_and_b32 s3, s3, vcc_lo
	s_and_saveexec_b32 s4, s3
	s_delay_alu instid0(SALU_CYCLE_1)
	s_xor_b32 s26, exec_lo, s4
	s_cbranch_execz .LBB192_122
; %bb.111:                              ;   in Loop: Header=BB192_5 Depth=1
                                        ; implicit-def: $vgpr27
                                        ; implicit-def: $vgpr2
	s_mov_b32 s3, exec_lo
	v_cmpx_le_f32_e32 1.0, v29
	s_xor_b32 s4, exec_lo, s3
	s_cbranch_execz .LBB192_113
; %bb.112:                              ;   in Loop: Header=BB192_5 Depth=1
	v_pk_add_f32 v[26:27], v[28:29], v[12:13] op_sel:[1,0]
	v_mov_b32_e32 v30, v28
	v_cmp_class_f32_e64 s5, v4, 0x204
	s_delay_alu instid0(VALU_DEP_3) | instskip(SKIP_1) | instid1(VALU_DEP_1)
	v_dual_mov_b32 v29, v26 :: v_dual_mov_b32 v31, v27
	v_mul_f32_e32 v2, v26, v27
	v_pk_fma_f32 v[26:27], v[28:29], v[30:31], v[2:3] op_sel_hi:[1,1,0]
	s_delay_alu instid0(VALU_DEP_1) | instskip(SKIP_1) | instid1(VALU_DEP_2)
	v_add_f32_e32 v29, 1.0, v26
	v_cmp_neq_f32_e64 s3, -1.0, v26
	v_add_f32_e32 v27, -1.0, v29
	s_delay_alu instid0(VALU_DEP_1) | instskip(SKIP_2) | instid1(VALU_DEP_1)
	v_mov_b32_e32 v28, v27
	v_cvt_f64_f32_e32 v[30:31], v29
	v_frexp_mant_f32_e32 v15, v29
	v_cmp_gt_f32_e32 vcc_lo, 0x3f2aaaab, v15
	s_delay_alu instid0(VALU_DEP_3) | instskip(NEXT) | instid1(VALU_DEP_1)
	v_frexp_exp_i32_f64_e32 v2, v[30:31]
	v_subrev_co_ci_u32_e64 v2, null, 0, v2, vcc_lo
	v_cmp_neq_f32_e32 vcc_lo, 0x7f800000, v26
	s_delay_alu instid0(VALU_DEP_2) | instskip(SKIP_1) | instid1(VALU_DEP_2)
	v_sub_nc_u32_e32 v15, 0, v2
	v_pk_add_f32 v[30:31], v[26:27], v[28:29] neg_lo:[0,1] neg_hi:[0,1]
	v_ldexp_f32 v20, v29, v15
	s_delay_alu instid0(VALU_DEP_1) | instskip(NEXT) | instid1(VALU_DEP_1)
	v_dual_add_f32 v22, 1.0, v31 :: v_dual_add_f32 v24, 1.0, v20
	v_dual_add_f32 v22, v30, v22 :: v_dual_add_f32 v27, -1.0, v24
	v_add_f32_e32 v33, -1.0, v20
	s_delay_alu instid0(VALU_DEP_2) | instskip(NEXT) | instid1(VALU_DEP_2)
	v_ldexp_f32 v15, v22, v15
	v_dual_sub_f32 v22, v20, v27 :: v_dual_add_f32 v27, 1.0, v33
	s_delay_alu instid0(VALU_DEP_1) | instskip(NEXT) | instid1(VALU_DEP_1)
	v_dual_add_f32 v22, v15, v22 :: v_dual_sub_f32 v20, v20, v27
	v_add_f32_e32 v27, v24, v22
	s_delay_alu instid0(VALU_DEP_1) | instskip(NEXT) | instid1(VALU_DEP_3)
	v_sub_f32_e32 v24, v27, v24
	v_add_f32_e32 v15, v15, v20
	v_rcp_f32_e32 v20, v27
	s_delay_alu instid0(VALU_DEP_1)
	v_add_f32_e32 v29, v33, v15
	s_delay_alu instid0(TRANS32_DEP_1) | instid1(VALU_DEP_1)
	v_mul_f32_e32 v36, v29, v20
	s_delay_alu instid0(VALU_DEP_1) | instskip(NEXT) | instid1(VALU_DEP_1)
	v_mul_f32_e32 v30, v27, v36
	v_dual_sub_f32 v22, v22, v24 :: v_dual_fma_f32 v34, v36, v27, -v30
	s_delay_alu instid0(VALU_DEP_1) | instskip(NEXT) | instid1(VALU_DEP_1)
	v_fmac_f32_e32 v34, v36, v22
	v_dual_add_f32 v28, v30, v34 :: v_dual_sub_f32 v24, v29, v33
	s_delay_alu instid0(VALU_DEP_1) | instskip(NEXT) | instid1(VALU_DEP_2)
	v_dual_mov_b32 v35, v28 :: v_dual_sub_f32 v31, v29, v28
	v_sub_f32_e32 v15, v15, v24
	s_delay_alu instid0(VALU_DEP_2) | instskip(NEXT) | instid1(VALU_DEP_1)
	v_pk_add_f32 v[28:29], v[28:29], v[30:31] neg_lo:[0,1] neg_hi:[0,1]
	v_pk_add_f32 v[28:29], v[28:29], v[34:35] neg_lo:[0,1] neg_hi:[0,1]
	s_delay_alu instid0(VALU_DEP_1) | instskip(NEXT) | instid1(VALU_DEP_1)
	v_add_f32_e32 v15, v15, v29
	v_add_f32_e32 v15, v28, v15
	s_delay_alu instid0(VALU_DEP_1) | instskip(NEXT) | instid1(VALU_DEP_1)
	v_add_f32_e32 v29, v31, v15
	v_mul_f32_e32 v24, v20, v29
	s_delay_alu instid0(VALU_DEP_1) | instskip(NEXT) | instid1(VALU_DEP_1)
	v_mul_f32_e32 v34, v27, v24
	v_fma_f32 v30, v24, v27, -v34
	s_delay_alu instid0(VALU_DEP_1) | instskip(NEXT) | instid1(VALU_DEP_1)
	v_dual_fmac_f32 v30, v24, v22 :: v_dual_sub_f32 v22, v31, v29
	v_add_f32_e32 v28, v34, v30
	s_delay_alu instid0(VALU_DEP_2) | instskip(NEXT) | instid1(VALU_DEP_2)
	v_dual_add_f32 v15, v15, v22 :: v_dual_add_f32 v22, v36, v24
	v_dual_sub_f32 v35, v29, v28 :: v_dual_mov_b32 v31, v28
	s_delay_alu instid0(VALU_DEP_2) | instskip(NEXT) | instid1(VALU_DEP_2)
	v_sub_f32_e32 v27, v22, v36
	v_pk_add_f32 v[28:29], v[28:29], v[34:35] neg_lo:[0,1] neg_hi:[0,1]
	s_delay_alu instid0(VALU_DEP_2) | instskip(NEXT) | instid1(VALU_DEP_2)
	v_sub_f32_e32 v24, v24, v27
	v_pk_add_f32 v[28:29], v[28:29], v[30:31] neg_lo:[0,1] neg_hi:[0,1]
	s_delay_alu instid0(VALU_DEP_1) | instskip(NEXT) | instid1(VALU_DEP_1)
	v_add_f32_e32 v15, v15, v29
	v_add_f32_e32 v15, v28, v15
	v_cvt_f32_i32_e32 v28, v2
	s_delay_alu instid0(VALU_DEP_2) | instskip(NEXT) | instid1(VALU_DEP_1)
	v_add_f32_e32 v15, v35, v15
	v_mul_f32_e32 v15, v20, v15
	s_delay_alu instid0(VALU_DEP_1) | instskip(NEXT) | instid1(VALU_DEP_1)
	v_add_f32_e32 v20, v24, v15
	v_add_f32_e32 v24, v22, v20
	s_delay_alu instid0(VALU_DEP_1) | instskip(SKIP_1) | instid1(VALU_DEP_2)
	v_dual_mul_f32 v15, v24, v24 :: v_dual_sub_f32 v2, v24, v22
	v_ldexp_f32 v35, v24, 1
	v_fmaak_f32 v27, s20, v15, 0x3ecc95a3
	v_mul_f32_e32 v29, v24, v15
	s_delay_alu instid0(VALU_DEP_2) | instskip(NEXT) | instid1(VALU_DEP_1)
	v_dual_sub_f32 v2, v20, v2 :: v_dual_fmaak_f32 v15, v15, v27, 0x3f2aaada
	v_ldexp_f32 v2, v2, 1
	s_delay_alu instid0(VALU_DEP_2) | instskip(NEXT) | instid1(VALU_DEP_1)
	v_pk_mul_f32 v[30:31], v[28:29], v[14:15]
	v_fma_f32 v34, 0x3f317218, v28, -v30
	v_mov_b32_e32 v36, v30
	s_delay_alu instid0(VALU_DEP_2) | instskip(NEXT) | instid1(VALU_DEP_1)
	v_fmac_f32_e32 v34, 0xb102e308, v28
	v_pk_add_f32 v[28:29], v[30:31], v[34:35]
	s_delay_alu instid0(VALU_DEP_1) | instskip(NEXT) | instid1(VALU_DEP_1)
	v_dual_sub_f32 v15, v29, v35 :: v_dual_mov_b32 v35, v28
	v_dual_mov_b32 v44, v29 :: v_dual_sub_f32 v15, v31, v15
	v_pk_add_f32 v[30:31], v[28:29], v[30:31] neg_lo:[0,1] neg_hi:[0,1]
	s_delay_alu instid0(VALU_DEP_2) | instskip(SKIP_2) | instid1(VALU_DEP_3)
	v_add_f32_e32 v37, v2, v15
	v_max_num_f32_e64 v2, |v5|, |v5|
	v_max_num_f32_e64 v15, |v4|, |v4|
	v_pk_add_f32 v[38:39], v[28:29], v[36:37]
	s_delay_alu instid0(VALU_DEP_2) | instskip(NEXT) | instid1(VALU_DEP_2)
	v_dual_max_num_f32 v20, v15, v2 :: v_dual_min_num_f32 v15, v15, v2
	v_mov_b32_e32 v31, v39
	s_delay_alu instid0(VALU_DEP_2) | instskip(SKIP_1) | instid1(VALU_DEP_4)
	v_frexp_exp_i32_f32_e32 v22, v20
	v_frexp_mant_f32_e32 v20, v20
	v_frexp_exp_i32_f32_e32 v24, v15
	s_delay_alu instid0(VALU_DEP_4) | instskip(SKIP_1) | instid1(VALU_DEP_4)
	v_pk_add_f32 v[40:41], v[34:35], v[30:31]
	v_frexp_mant_f32_e32 v27, v15
	v_rcp_f32_e32 v20, v20
	s_delay_alu instid0(VALU_DEP_2) | instskip(SKIP_2) | instid1(VALU_DEP_3)
	v_dual_sub_nc_u32 v22, v24, v22 :: v_dual_mov_b32 v2, v41
	v_pk_add_f32 v[30:31], v[34:35], v[30:31] neg_lo:[0,1] neg_hi:[0,1]
	v_mov_b32_e32 v31, v41
	v_pk_add_f32 v[42:43], v[2:3], v[28:29] neg_lo:[0,1] neg_hi:[0,1]
	v_dual_mov_b32 v40, v39 :: v_dual_mov_b32 v29, v28
	s_delay_alu instid0(TRANS32_DEP_1) | instskip(NEXT) | instid1(VALU_DEP_3)
	v_dual_mov_b32 v28, v37 :: v_dual_mul_f32 v20, v27, v20
	v_dual_mov_b32 v15, v42 :: v_dual_mov_b32 v45, v42
	s_delay_alu instid0(VALU_DEP_1) | instskip(NEXT) | instid1(VALU_DEP_2)
	v_pk_add_f32 v[36:37], v[38:39], v[14:15] neg_lo:[0,1] neg_hi:[0,1]
	v_pk_add_f32 v[34:35], v[40:41], v[44:45] neg_lo:[0,1] neg_hi:[0,1]
	s_delay_alu instid0(VALU_DEP_4) | instskip(SKIP_1) | instid1(VALU_DEP_3)
	v_ldexp_f32 v15, v20, v22
	v_mov_b32_e32 v36, v30
	v_pk_add_f32 v[28:29], v[28:29], v[34:35] neg_lo:[0,1] neg_hi:[0,1]
	s_delay_alu instid0(VALU_DEP_3) | instskip(NEXT) | instid1(VALU_DEP_2)
	v_mul_f32_e32 v22, v15, v15
	v_pk_add_f32 v[34:35], v[36:37], v[28:29]
	s_delay_alu instid0(VALU_DEP_1) | instskip(NEXT) | instid1(VALU_DEP_1)
	v_mov_b32_e32 v20, v35
	v_pk_add_f32 v[36:37], v[34:35], v[20:21]
	s_delay_alu instid0(VALU_DEP_1) | instskip(SKIP_1) | instid1(VALU_DEP_2)
	v_pk_add_f32 v[38:39], v[2:3], v[36:37]
	v_dual_fmaak_f32 v24, s21, v22, 0xbc7a590c :: v_dual_mov_b32 v29, v36
	v_mov_b32_e32 v35, v38
	s_delay_alu instid0(VALU_DEP_2) | instskip(NEXT) | instid1(VALU_DEP_2)
	v_fmaak_f32 v20, v22, v24, 0x3d29fb3f
	v_pk_add_f32 v[40:41], v[34:35], v[30:31] neg_lo:[0,1] neg_hi:[0,1]
	s_delay_alu instid0(VALU_DEP_2) | instskip(NEXT) | instid1(VALU_DEP_2)
	v_fmaak_f32 v2, v22, v20, 0xbd97d4d7
	v_pk_add_f32 v[28:29], v[28:29], v[40:41] neg_lo:[0,1] neg_hi:[0,1]
	s_delay_alu instid0(VALU_DEP_2) | instskip(NEXT) | instid1(VALU_DEP_1)
	v_fmaak_f32 v2, v22, v2, 0x3dd931b2
	v_fmaak_f32 v2, v22, v2, 0xbe1160e6
	s_delay_alu instid0(VALU_DEP_1) | instskip(NEXT) | instid1(VALU_DEP_1)
	v_fmaak_f32 v2, v22, v2, 0x3e4cb8bf
	v_fmaak_f32 v2, v22, v2, 0xbeaaaa62
	s_delay_alu instid0(VALU_DEP_1) | instskip(NEXT) | instid1(VALU_DEP_1)
	v_mul_f32_e32 v2, v22, v2
	v_dual_sub_f32 v20, v34, v40 :: v_dual_fmac_f32 v15, v15, v2
	s_delay_alu instid0(VALU_DEP_1) | instskip(NEXT) | instid1(VALU_DEP_1)
	v_sub_f32_e32 v20, v30, v20
	v_add_f32_e32 v20, v28, v20
	s_delay_alu instid0(VALU_DEP_1) | instskip(NEXT) | instid1(VALU_DEP_1)
	v_add_f32_e32 v20, v20, v29
                                        ; implicit-def: $vgpr28_vgpr29
	v_add_f32_e32 v2, v38, v20
	v_sub_f32_e32 v20, 0x3fc90fdb, v15
	s_delay_alu instid0(VALU_DEP_1) | instskip(NEXT) | instid1(VALU_DEP_3)
	v_cndmask_b32_e64 v15, v15, v20, s2
	v_cndmask_b32_e32 v2, 0x7f800000, v2, vcc_lo
	v_cmp_gt_i32_e32 vcc_lo, 0, v4
	s_delay_alu instid0(VALU_DEP_3) | instskip(SKIP_4) | instid1(VALU_DEP_2)
	v_sub_f32_e32 v22, 0x40490fdb, v15
	v_cndmask_b32_e64 v20, 0, 0x40490fdb, vcc_lo
	v_cmp_ngt_f32_e32 vcc_lo, -1.0, v26
	v_cndmask_b32_e32 v2, 0x7fc00000, v2, vcc_lo
	v_cmp_gt_f32_e32 vcc_lo, 0, v4
	v_cndmask_b32_e64 v2, 0xff800000, v2, s3
	v_cndmask_b32_e32 v15, v15, v22, vcc_lo
	v_cndmask_b32_e32 v22, 0x3f490fdb, v32, vcc_lo
	v_cmp_gt_f32_e64 vcc_lo, 0x33800000, |v26|
	v_cmp_class_f32_e64 s3, v5, 0x204
	v_cndmask_b32_e32 v2, v2, v26, vcc_lo
	v_cmp_eq_f32_e32 vcc_lo, 0, v5
	s_delay_alu instid0(VALU_DEP_2) | instskip(SKIP_1) | instid1(VALU_DEP_1)
	v_dual_mul_f32 v27, 0.5, v2 :: v_dual_cndmask_b32 v15, v15, v20, vcc_lo
	s_and_b32 vcc_lo, s5, s3
	v_cndmask_b32_e32 v2, v15, v22, vcc_lo
.LBB192_113:                            ;   in Loop: Header=BB192_5 Depth=1
	s_and_not1_saveexec_b32 s27, s4
	s_cbranch_execz .LBB192_121
; %bb.114:                              ;   in Loop: Header=BB192_5 Depth=1
	v_pk_mul_f32 v[26:27], v[28:29], v[28:29]
                                        ; implicit-def: $vgpr2
	s_mov_b32 s3, exec_lo
	s_delay_alu instid0(VALU_DEP_1) | instskip(NEXT) | instid1(VALU_DEP_1)
	v_add_f32_e32 v15, v27, v26
                                        ; implicit-def: $vgpr27
	v_cmpx_ge_f32_e32 0x3f333333, v15
	s_xor_b32 s4, exec_lo, s3
	s_cbranch_execz .LBB192_116
; %bb.115:                              ;   in Loop: Header=BB192_5 Depth=1
	v_max_num_f32_e64 v2, |v5|, |v5|
	v_max_num_f32_e64 v20, |v4|, |v4|
	v_cmp_gt_f32_e32 vcc_lo, 0x800000, v15
	v_cmp_gt_i32_e64 s3, 0, v4
	v_cmp_class_f32_e64 s5, v4, 0x204
	v_cmp_class_f32_e64 s6, v5, 0x204
	v_dual_max_num_f32 v22, v20, v2 :: v_dual_min_num_f32 v2, v20, v2
	v_cndmask_b32_e64 v26, 0, 0x41b17218, vcc_lo
                                        ; implicit-def: $vgpr28
	s_delay_alu instid0(VALU_DEP_2) | instskip(SKIP_1) | instid1(VALU_DEP_2)
	v_frexp_mant_f32_e32 v24, v22
	v_frexp_exp_i32_f32_e32 v20, v22
	v_rcp_f32_e32 v22, v24
	v_nop
	v_frexp_exp_i32_f32_e32 v24, v2
	v_frexp_mant_f32_e32 v2, v2
	s_delay_alu instid0(TRANS32_DEP_1) | instid1(VALU_DEP_1)
	v_dual_sub_nc_u32 v20, v24, v20 :: v_dual_mul_f32 v2, v2, v22
	v_cndmask_b32_e64 v24, 0, 32, vcc_lo
	s_delay_alu instid0(VALU_DEP_2) | instskip(NEXT) | instid1(VALU_DEP_2)
	v_ldexp_f32 v2, v2, v20
	v_ldexp_f32 v15, v15, v24
	s_delay_alu instid0(VALU_DEP_2) | instskip(NEXT) | instid1(VALU_DEP_2)
	v_mul_f32_e32 v20, v2, v2
	v_log_f32_e32 v15, v15
	s_delay_alu instid0(VALU_DEP_1) | instskip(NEXT) | instid1(TRANS32_DEP_1)
	v_fmaak_f32 v22, s21, v20, 0xbc7a590c
	v_cmp_gt_f32_e64 vcc_lo, 0x7f800000, |v15|
	s_delay_alu instid0(VALU_DEP_2) | instskip(NEXT) | instid1(VALU_DEP_1)
	v_fmaak_f32 v22, v20, v22, 0x3d29fb3f
	v_fmaak_f32 v22, v20, v22, 0xbd97d4d7
	s_delay_alu instid0(VALU_DEP_1) | instskip(NEXT) | instid1(VALU_DEP_1)
	v_fmaak_f32 v22, v20, v22, 0x3dd931b2
	v_fmaak_f32 v22, v20, v22, 0xbe1160e6
	s_delay_alu instid0(VALU_DEP_1) | instskip(NEXT) | instid1(VALU_DEP_1)
	v_fmaak_f32 v22, v20, v22, 0x3e4cb8bf
	v_fmaak_f32 v22, v20, v22, 0xbeaaaa62
	s_delay_alu instid0(VALU_DEP_1) | instskip(SKIP_1) | instid1(VALU_DEP_2)
	v_mul_f32_e32 v20, v20, v22
	v_mul_f32_e32 v22, 0x3f317217, v15
	v_fmac_f32_e32 v2, v2, v20
	s_delay_alu instid0(VALU_DEP_2) | instskip(NEXT) | instid1(VALU_DEP_2)
	v_fma_f32 v20, 0x3f317217, v15, -v22
	v_sub_f32_e32 v22, 0x3fc90fdb, v2
	s_delay_alu instid0(VALU_DEP_2) | instskip(NEXT) | instid1(VALU_DEP_2)
	v_fmac_f32_e32 v20, 0x3377d1cf, v15
	v_cndmask_b32_e64 v2, v2, v22, s2
	s_delay_alu instid0(VALU_DEP_2) | instskip(SKIP_2) | instid1(VALU_DEP_3)
	v_fmac_f32_e32 v20, 0x3f317217, v15
	v_cndmask_b32_e64 v22, 0, 0x40490fdb, s3
	v_cmp_eq_f32_e64 s3, 0, v5
	v_dual_sub_f32 v24, 0x40490fdb, v2 :: v_dual_cndmask_b32 v15, v15, v20
	v_cmp_gt_f32_e32 vcc_lo, 0, v4
	s_delay_alu instid0(VALU_DEP_2) | instskip(SKIP_2) | instid1(VALU_DEP_2)
	v_dual_sub_f32 v15, v15, v26 :: v_dual_cndmask_b32 v2, v2, v24
	v_cndmask_b32_e32 v20, 0x3f490fdb, v32, vcc_lo
	s_and_b32 vcc_lo, s5, s6
	v_dual_mul_f32 v27, 0.5, v15 :: v_dual_cndmask_b32 v2, v2, v22, s3
	s_delay_alu instid0(VALU_DEP_1)
	v_cndmask_b32_e32 v2, v2, v20, vcc_lo
.LBB192_116:                            ;   in Loop: Header=BB192_5 Depth=1
	s_and_not1_saveexec_b32 s28, s4
	s_cbranch_execz .LBB192_120
; %bb.117:                              ;   in Loop: Header=BB192_5 Depth=1
	v_and_b32_e32 v27, 0x7fff0000, v28
	v_and_b32_e32 v26, 0x7fff0000, v29
	s_mov_b32 s29, 0
	s_delay_alu instid0(VALU_DEP_1) | instskip(SKIP_2) | instid1(VALU_DEP_2)
	v_dual_add_f32 v24, v27, v27 :: v_dual_add_f32 v15, v26, v26
	v_pk_add_f32 v[28:29], v[28:29], v[26:27] op_sel:[1,0] op_sel_hi:[0,1] neg_lo:[0,1] neg_hi:[0,1]
	v_pk_mul_f32 v[26:27], v[26:27], v[26:27]
	v_and_b32_e32 v31, 0xffff0000, v29
	s_delay_alu instid0(VALU_DEP_3) | instskip(NEXT) | instid1(VALU_DEP_1)
	v_and_b32_e32 v30, 0xffff0000, v28
	v_dual_add_f32 v35, v31, v31 :: v_dual_add_f32 v34, v30, v30
	v_pk_add_f32 v[28:29], v[28:29], v[30:31] neg_lo:[0,1] neg_hi:[0,1]
	v_dual_mul_f32 v2, v15, v30 :: v_dual_mul_f32 v22, v24, v31
	v_pk_mul_f32 v[30:31], v[30:31], v[30:31]
	s_delay_alu instid0(VALU_DEP_3)
	v_dual_mul_f32 v20, v15, v28 :: v_dual_mul_f32 v33, v24, v29
	v_dual_mul_f32 v15, v34, v28 :: v_dual_mul_f32 v24, v35, v29
	v_pk_mul_f32 v[28:29], v[28:29], v[28:29]
.LBB192_118:                            ;   Parent Loop BB192_5 Depth=1
                                        ; =>  This Inner Loop Header: Depth=2
	v_cmp_nlt_f32_e32 vcc_lo, v26, v27
	v_dual_cndmask_b32 v34, v26, v27, vcc_lo :: v_dual_cndmask_b32 v26, v27, v26, vcc_lo
	s_delay_alu instid0(VALU_DEP_1) | instskip(NEXT) | instid1(VALU_DEP_1)
	v_cmp_nlt_f32_e64 s3, v34, v2
	v_cndmask_b32_e64 v35, v34, v2, s3
	v_cndmask_b32_e64 v27, v2, v34, s3
	s_and_b32 s3, vcc_lo, s3
	s_delay_alu instid0(VALU_DEP_2) | instskip(NEXT) | instid1(VALU_DEP_1)
	v_cmp_nlt_f32_e64 s4, v35, v22
	v_dual_cndmask_b32 v36, v35, v22, s4 :: v_dual_cndmask_b32 v2, v22, v35, s4
	s_delay_alu instid0(VALU_DEP_1) | instskip(NEXT) | instid1(VALU_DEP_1)
	v_cmp_nlt_f32_e64 s5, v36, v30
	v_dual_cndmask_b32 v34, v36, v30, s5 :: v_dual_cndmask_b32 v22, v30, v36, s5
	s_and_b32 s30, s4, s5
	s_delay_alu instid0(VALU_DEP_1) | instskip(NEXT) | instid1(VALU_DEP_1)
	v_cmp_nlt_f32_e64 s6, v34, v31
	v_dual_cndmask_b32 v35, v34, v31, s6 :: v_dual_cndmask_b32 v30, v31, v34, s6
	s_delay_alu instid0(VALU_DEP_1) | instskip(NEXT) | instid1(VALU_DEP_1)
	v_cmp_nlt_f32_e64 s7, v35, v20
	v_dual_cndmask_b32 v37, v35, v20, s7 :: v_dual_cndmask_b32 v31, v20, v35, s7
	s_and_b32 s6, s6, s7
	s_delay_alu instid0(VALU_DEP_1) | instskip(NEXT) | instid1(VALU_DEP_1)
	v_cmp_nlt_f32_e64 s8, v37, v33
	v_cndmask_b32_e64 v38, v37, v33, s8
	s_and_b32 s6, s6, s8
	v_cndmask_b32_e64 v20, v33, v37, s8
	s_delay_alu instid0(VALU_DEP_2) | instskip(NEXT) | instid1(VALU_DEP_1)
	v_cmp_nlt_f32_e64 s9, v38, v15
	v_cndmask_b32_e64 v36, v38, v15, s9
	s_and_b32 s7, s6, s9
	v_cndmask_b32_e64 v33, v15, v38, s9
	s_delay_alu instid0(VALU_DEP_2) | instskip(NEXT) | instid1(VALU_DEP_1)
	v_cmp_nlt_f32_e64 s4, v36, v24
	v_cndmask_b32_e64 v34, v36, v24, s4
	s_delay_alu instid0(VALU_DEP_1) | instskip(NEXT) | instid1(VALU_DEP_1)
	v_cmp_nlt_f32_e64 s5, v34, v28
	v_cndmask_b32_e64 v35, v34, v28, s5
	s_delay_alu instid0(VALU_DEP_1)
	v_cmp_nlt_f32_e64 s6, v35, v29
	v_cndmask_b32_e64 v15, v24, v36, s4
	s_and_b32 s4, s7, s4
	v_cndmask_b32_e64 v24, v28, v34, s5
	s_and_b32 s4, s4, s5
	v_cndmask_b32_e64 v28, v29, v35, s6
	s_and_b32 s4, s4, s6
	v_cndmask_b32_e64 v29, v35, v29, s6
	s_and_b32 s4, s4, s30
	s_delay_alu instid0(SALU_CYCLE_1) | instskip(NEXT) | instid1(SALU_CYCLE_1)
	s_and_b32 s3, s4, s3
	s_and_b32 s3, exec_lo, s3
	s_delay_alu instid0(SALU_CYCLE_1) | instskip(NEXT) | instid1(SALU_CYCLE_1)
	s_or_b32 s29, s3, s29
	s_and_not1_b32 exec_lo, exec_lo, s29
	s_cbranch_execnz .LBB192_118
; %bb.119:                              ;   in Loop: Header=BB192_5 Depth=1
	s_or_b32 exec_lo, exec_lo, s29
	v_add_f32_e32 v26, -1.0, v26
	v_cmp_class_f32_e64 s4, v4, 0x204
	s_delay_alu instid0(VALU_DEP_2) | instskip(NEXT) | instid1(VALU_DEP_1)
	v_add_f32_e32 v26, v26, v27
	v_add_f32_e32 v2, v26, v2
	s_delay_alu instid0(VALU_DEP_1) | instskip(NEXT) | instid1(VALU_DEP_1)
	v_add_f32_e32 v2, v2, v22
	v_add_f32_e32 v2, v2, v30
	s_delay_alu instid0(VALU_DEP_1) | instskip(NEXT) | instid1(VALU_DEP_1)
	;; [unrolled: 3-line block ×5, first 2 shown]
	v_add_f32_e32 v26, v29, v2
	v_add_f32_e32 v29, 1.0, v26
	s_delay_alu instid0(VALU_DEP_1) | instskip(SKIP_2) | instid1(VALU_DEP_2)
	v_cvt_f64_f32_e32 v[30:31], v29
	v_frexp_mant_f32_e32 v15, v29
	v_add_f32_e32 v27, -1.0, v29
	v_cmp_gt_f32_e32 vcc_lo, 0x3f2aaaab, v15
	s_delay_alu instid0(VALU_DEP_2) | instskip(SKIP_1) | instid1(VALU_DEP_1)
	v_mov_b32_e32 v28, v27
	v_frexp_exp_i32_f64_e32 v2, v[30:31]
	v_subrev_co_ci_u32_e64 v2, null, 0, v2, vcc_lo
	s_delay_alu instid0(VALU_DEP_1) | instskip(NEXT) | instid1(VALU_DEP_4)
	v_sub_nc_u32_e32 v15, 0, v2
	v_pk_add_f32 v[30:31], v[26:27], v[28:29] neg_lo:[0,1] neg_hi:[0,1]
	v_cmp_neq_f32_e32 vcc_lo, 0x7f800000, v26
	v_cmp_neq_f32_e64 s3, -1.0, v26
	s_delay_alu instid0(VALU_DEP_4) | instskip(NEXT) | instid1(VALU_DEP_1)
	v_ldexp_f32 v20, v29, v15
	v_dual_add_f32 v22, 1.0, v31 :: v_dual_add_f32 v24, 1.0, v20
	s_delay_alu instid0(VALU_DEP_1) | instskip(NEXT) | instid1(VALU_DEP_2)
	v_dual_add_f32 v22, v30, v22 :: v_dual_add_f32 v33, -1.0, v20
	v_add_f32_e32 v27, -1.0, v24
	s_delay_alu instid0(VALU_DEP_2) | instskip(NEXT) | instid1(VALU_DEP_2)
	v_ldexp_f32 v15, v22, v15
	v_dual_sub_f32 v22, v20, v27 :: v_dual_add_f32 v27, 1.0, v33
	s_delay_alu instid0(VALU_DEP_1) | instskip(NEXT) | instid1(VALU_DEP_1)
	v_dual_sub_f32 v20, v20, v27 :: v_dual_add_f32 v22, v15, v22
	v_dual_add_f32 v15, v15, v20 :: v_dual_add_f32 v27, v24, v22
	s_delay_alu instid0(VALU_DEP_1) | instskip(NEXT) | instid1(VALU_DEP_2)
	v_add_f32_e32 v29, v33, v15
	v_rcp_f32_e32 v20, v27
	v_nop
	s_delay_alu instid0(TRANS32_DEP_1) | instskip(NEXT) | instid1(VALU_DEP_1)
	v_mul_f32_e32 v36, v29, v20
	v_mul_f32_e32 v30, v27, v36
	s_delay_alu instid0(VALU_DEP_1) | instskip(NEXT) | instid1(VALU_DEP_1)
	v_dual_sub_f32 v24, v27, v24 :: v_dual_fma_f32 v34, v36, v27, -v30
	v_dual_sub_f32 v22, v22, v24 :: v_dual_sub_f32 v24, v29, v33
	s_delay_alu instid0(VALU_DEP_1) | instskip(NEXT) | instid1(VALU_DEP_1)
	v_dual_fmac_f32 v34, v36, v22 :: v_dual_sub_f32 v15, v15, v24
	v_add_f32_e32 v28, v30, v34
	s_delay_alu instid0(VALU_DEP_1) | instskip(NEXT) | instid1(VALU_DEP_1)
	v_dual_sub_f32 v31, v29, v28 :: v_dual_mov_b32 v35, v28
	v_pk_add_f32 v[28:29], v[28:29], v[30:31] neg_lo:[0,1] neg_hi:[0,1]
	s_delay_alu instid0(VALU_DEP_1) | instskip(NEXT) | instid1(VALU_DEP_1)
	v_pk_add_f32 v[28:29], v[28:29], v[34:35] neg_lo:[0,1] neg_hi:[0,1]
	v_add_f32_e32 v15, v15, v29
	s_delay_alu instid0(VALU_DEP_1) | instskip(NEXT) | instid1(VALU_DEP_1)
	v_add_f32_e32 v15, v28, v15
	v_add_f32_e32 v29, v31, v15
	s_delay_alu instid0(VALU_DEP_1) | instskip(NEXT) | instid1(VALU_DEP_1)
	v_mul_f32_e32 v24, v20, v29
	v_mul_f32_e32 v34, v27, v24
	s_delay_alu instid0(VALU_DEP_1) | instskip(NEXT) | instid1(VALU_DEP_1)
	v_fma_f32 v30, v24, v27, -v34
	v_dual_fmac_f32 v30, v24, v22 :: v_dual_sub_f32 v22, v31, v29
	s_delay_alu instid0(VALU_DEP_1) | instskip(NEXT) | instid1(VALU_DEP_2)
	v_add_f32_e32 v28, v34, v30
	v_dual_add_f32 v15, v15, v22 :: v_dual_add_f32 v22, v36, v24
	s_delay_alu instid0(VALU_DEP_2) | instskip(NEXT) | instid1(VALU_DEP_2)
	v_dual_sub_f32 v35, v29, v28 :: v_dual_mov_b32 v31, v28
	v_sub_f32_e32 v27, v22, v36
	s_delay_alu instid0(VALU_DEP_2) | instskip(NEXT) | instid1(VALU_DEP_2)
	v_pk_add_f32 v[28:29], v[28:29], v[34:35] neg_lo:[0,1] neg_hi:[0,1]
	v_sub_f32_e32 v24, v24, v27
	s_delay_alu instid0(VALU_DEP_2) | instskip(NEXT) | instid1(VALU_DEP_1)
	v_pk_add_f32 v[28:29], v[28:29], v[30:31] neg_lo:[0,1] neg_hi:[0,1]
	v_add_f32_e32 v15, v15, v29
	s_delay_alu instid0(VALU_DEP_1) | instskip(SKIP_1) | instid1(VALU_DEP_2)
	v_add_f32_e32 v15, v28, v15
	v_cvt_f32_i32_e32 v28, v2
	v_add_f32_e32 v15, v35, v15
	s_delay_alu instid0(VALU_DEP_1) | instskip(NEXT) | instid1(VALU_DEP_1)
	v_mul_f32_e32 v15, v20, v15
	v_add_f32_e32 v20, v24, v15
	s_delay_alu instid0(VALU_DEP_1) | instskip(NEXT) | instid1(VALU_DEP_1)
	v_add_f32_e32 v24, v22, v20
	v_mul_f32_e32 v15, v24, v24
	v_ldexp_f32 v35, v24, 1
	s_delay_alu instid0(VALU_DEP_2) | instskip(SKIP_1) | instid1(VALU_DEP_2)
	v_dual_sub_f32 v2, v24, v22 :: v_dual_fmaak_f32 v27, s20, v15, 0x3ecc95a3
	v_mul_f32_e32 v29, v24, v15
	v_dual_sub_f32 v2, v20, v2 :: v_dual_fmaak_f32 v15, v15, v27, 0x3f2aaada
	s_delay_alu instid0(VALU_DEP_1) | instskip(NEXT) | instid1(VALU_DEP_2)
	v_ldexp_f32 v2, v2, 1
	v_pk_mul_f32 v[30:31], v[28:29], v[14:15]
	s_delay_alu instid0(VALU_DEP_1) | instskip(SKIP_1) | instid1(VALU_DEP_2)
	v_fma_f32 v34, 0x3f317218, v28, -v30
	v_mov_b32_e32 v36, v30
	v_fmac_f32_e32 v34, 0xb102e308, v28
	s_delay_alu instid0(VALU_DEP_1) | instskip(NEXT) | instid1(VALU_DEP_1)
	v_pk_add_f32 v[28:29], v[30:31], v[34:35]
	v_dual_sub_f32 v15, v29, v35 :: v_dual_mov_b32 v35, v28
	s_delay_alu instid0(VALU_DEP_1) | instskip(SKIP_1) | instid1(VALU_DEP_2)
	v_dual_mov_b32 v44, v29 :: v_dual_sub_f32 v15, v31, v15
	v_pk_add_f32 v[30:31], v[28:29], v[30:31] neg_lo:[0,1] neg_hi:[0,1]
	v_add_f32_e32 v37, v2, v15
	v_max_num_f32_e64 v2, |v5|, |v5|
	v_max_num_f32_e64 v15, |v4|, |v4|
	s_delay_alu instid0(VALU_DEP_3) | instskip(NEXT) | instid1(VALU_DEP_2)
	v_pk_add_f32 v[38:39], v[28:29], v[36:37]
	v_dual_max_num_f32 v20, v15, v2 :: v_dual_min_num_f32 v15, v15, v2
	s_delay_alu instid0(VALU_DEP_2) | instskip(NEXT) | instid1(VALU_DEP_2)
	v_mov_b32_e32 v31, v39
	v_frexp_exp_i32_f32_e32 v22, v20
	v_frexp_mant_f32_e32 v20, v20
	s_delay_alu instid0(VALU_DEP_4) | instskip(NEXT) | instid1(VALU_DEP_4)
	v_frexp_exp_i32_f32_e32 v24, v15
	v_pk_add_f32 v[40:41], v[34:35], v[30:31]
	v_frexp_mant_f32_e32 v27, v15
	s_delay_alu instid0(VALU_DEP_4) | instskip(NEXT) | instid1(VALU_DEP_2)
	v_rcp_f32_e32 v20, v20
	v_dual_sub_nc_u32 v22, v24, v22 :: v_dual_mov_b32 v2, v41
	v_pk_add_f32 v[30:31], v[34:35], v[30:31] neg_lo:[0,1] neg_hi:[0,1]
	v_mov_b32_e32 v31, v41
	s_delay_alu instid0(VALU_DEP_3) | instskip(SKIP_1) | instid1(TRANS32_DEP_1)
	v_pk_add_f32 v[42:43], v[2:3], v[28:29] neg_lo:[0,1] neg_hi:[0,1]
	v_dual_mov_b32 v40, v39 :: v_dual_mov_b32 v29, v28
	v_dual_mov_b32 v28, v37 :: v_dual_mul_f32 v20, v27, v20
	s_delay_alu instid0(VALU_DEP_3) | instskip(NEXT) | instid1(VALU_DEP_1)
	v_dual_mov_b32 v15, v42 :: v_dual_mov_b32 v45, v42
	v_pk_add_f32 v[36:37], v[38:39], v[14:15] neg_lo:[0,1] neg_hi:[0,1]
	s_delay_alu instid0(VALU_DEP_2) | instskip(NEXT) | instid1(VALU_DEP_4)
	v_pk_add_f32 v[34:35], v[40:41], v[44:45] neg_lo:[0,1] neg_hi:[0,1]
	v_ldexp_f32 v15, v20, v22
	v_mov_b32_e32 v36, v30
	s_delay_alu instid0(VALU_DEP_3) | instskip(NEXT) | instid1(VALU_DEP_3)
	v_pk_add_f32 v[28:29], v[28:29], v[34:35] neg_lo:[0,1] neg_hi:[0,1]
	v_mul_f32_e32 v22, v15, v15
	s_delay_alu instid0(VALU_DEP_2) | instskip(NEXT) | instid1(VALU_DEP_1)
	v_pk_add_f32 v[34:35], v[36:37], v[28:29]
	v_mov_b32_e32 v20, v35
	s_delay_alu instid0(VALU_DEP_1) | instskip(NEXT) | instid1(VALU_DEP_1)
	v_pk_add_f32 v[36:37], v[34:35], v[20:21]
	v_pk_add_f32 v[38:39], v[2:3], v[36:37]
	v_dual_fmaak_f32 v24, s21, v22, 0xbc7a590c :: v_dual_mov_b32 v29, v36
	s_delay_alu instid0(VALU_DEP_2) | instskip(NEXT) | instid1(VALU_DEP_2)
	v_mov_b32_e32 v35, v38
	v_fmaak_f32 v20, v22, v24, 0x3d29fb3f
	s_delay_alu instid0(VALU_DEP_2) | instskip(NEXT) | instid1(VALU_DEP_2)
	v_pk_add_f32 v[40:41], v[34:35], v[30:31] neg_lo:[0,1] neg_hi:[0,1]
	v_fmaak_f32 v2, v22, v20, 0xbd97d4d7
	s_delay_alu instid0(VALU_DEP_2) | instskip(NEXT) | instid1(VALU_DEP_2)
	v_pk_add_f32 v[28:29], v[28:29], v[40:41] neg_lo:[0,1] neg_hi:[0,1]
	v_fmaak_f32 v2, v22, v2, 0x3dd931b2
	s_delay_alu instid0(VALU_DEP_1) | instskip(NEXT) | instid1(VALU_DEP_1)
	v_fmaak_f32 v2, v22, v2, 0xbe1160e6
	v_fmaak_f32 v2, v22, v2, 0x3e4cb8bf
	s_delay_alu instid0(VALU_DEP_1) | instskip(NEXT) | instid1(VALU_DEP_1)
	v_fmaak_f32 v2, v22, v2, 0xbeaaaa62
	v_mul_f32_e32 v2, v22, v2
	s_delay_alu instid0(VALU_DEP_1) | instskip(NEXT) | instid1(VALU_DEP_1)
	v_dual_sub_f32 v20, v34, v40 :: v_dual_fmac_f32 v15, v15, v2
	v_sub_f32_e32 v20, v30, v20
	s_delay_alu instid0(VALU_DEP_1) | instskip(NEXT) | instid1(VALU_DEP_1)
	v_add_f32_e32 v20, v28, v20
	v_add_f32_e32 v20, v20, v29
	s_delay_alu instid0(VALU_DEP_1) | instskip(SKIP_1) | instid1(VALU_DEP_1)
	v_add_f32_e32 v2, v38, v20
	v_sub_f32_e32 v20, 0x3fc90fdb, v15
	v_cndmask_b32_e64 v15, v15, v20, s2
	s_delay_alu instid0(VALU_DEP_3) | instskip(SKIP_1) | instid1(VALU_DEP_3)
	v_cndmask_b32_e32 v2, 0x7f800000, v2, vcc_lo
	v_cmp_gt_i32_e32 vcc_lo, 0, v4
	v_sub_f32_e32 v22, 0x40490fdb, v15
	v_cndmask_b32_e64 v20, 0, 0x40490fdb, vcc_lo
	v_cmp_ngt_f32_e32 vcc_lo, -1.0, v26
	v_cndmask_b32_e32 v2, 0x7fc00000, v2, vcc_lo
	v_cmp_gt_f32_e32 vcc_lo, 0, v4
	s_delay_alu instid0(VALU_DEP_2)
	v_cndmask_b32_e64 v2, 0xff800000, v2, s3
	v_cndmask_b32_e32 v15, v15, v22, vcc_lo
	v_cndmask_b32_e32 v22, 0x3f490fdb, v32, vcc_lo
	v_cmp_gt_f32_e64 vcc_lo, 0x33800000, |v26|
	v_cmp_class_f32_e64 s3, v5, 0x204
	v_cndmask_b32_e32 v2, v2, v26, vcc_lo
	v_cmp_eq_f32_e32 vcc_lo, 0, v5
	s_delay_alu instid0(VALU_DEP_2) | instskip(SKIP_1) | instid1(VALU_DEP_1)
	v_dual_mul_f32 v27, 0.5, v2 :: v_dual_cndmask_b32 v15, v15, v20, vcc_lo
	s_and_b32 vcc_lo, s4, s3
	v_cndmask_b32_e32 v2, v15, v22, vcc_lo
.LBB192_120:                            ;   in Loop: Header=BB192_5 Depth=1
	s_or_b32 exec_lo, exec_lo, s28
.LBB192_121:                            ;   in Loop: Header=BB192_5 Depth=1
	s_delay_alu instid0(SALU_CYCLE_1)
	s_or_b32 exec_lo, exec_lo, s27
.LBB192_122:                            ;   in Loop: Header=BB192_5 Depth=1
	s_and_not1_saveexec_b32 s4, s26
	s_cbranch_execz .LBB192_124
; %bb.123:                              ;   in Loop: Header=BB192_5 Depth=1
	v_max_num_f32_e64 v2, |v5|, |v5|
	v_max_num_f32_e64 v15, |v4|, |v4|
	v_cmp_gt_i32_e64 s3, 0, v4
	v_cmp_class_f32_e64 s5, v4, 0x204
	v_cmp_class_f32_e64 s6, v5, 0x204
	s_delay_alu instid0(VALU_DEP_4) | instskip(NEXT) | instid1(VALU_DEP_1)
	v_dual_max_num_f32 v20, v15, v2 :: v_dual_min_num_f32 v2, v15, v2
	v_cvt_f64_f32_e32 v[26:27], v20
	v_frexp_mant_f32_e32 v24, v20
	v_frexp_exp_i32_f32_e32 v15, v20
	v_cmp_neq_f32_e32 vcc_lo, 0x7f800000, v20
	s_delay_alu instid0(VALU_DEP_3) | instskip(NEXT) | instid1(VALU_DEP_4)
	v_rcp_f32_e32 v24, v24
	v_frexp_exp_i32_f64_e32 v22, v[26:27]
	v_frexp_exp_i32_f32_e32 v26, v2
	v_frexp_mant_f32_e32 v2, v2
	s_delay_alu instid0(VALU_DEP_2)
	v_sub_nc_u32_e32 v15, v26, v15
	s_delay_alu instid0(TRANS32_DEP_1) | instid1(VALU_DEP_2)
	v_mul_f32_e32 v2, v2, v24
	s_delay_alu instid0(VALU_DEP_1) | instskip(SKIP_1) | instid1(VALU_DEP_1)
	v_ldexp_f32 v2, v2, v15
	v_sub_nc_u32_e32 v15, 0, v22
	v_ldexp_f32 v26, |v5|, v15
	v_ldexp_f32 v15, |v4|, v15
	s_delay_alu instid0(VALU_DEP_2) | instskip(NEXT) | instid1(VALU_DEP_1)
	v_mul_f32_e32 v26, v26, v26
	v_dual_mul_f32 v24, v2, v2 :: v_dual_fmac_f32 v26, v15, v15
	s_delay_alu instid0(VALU_DEP_1) | instskip(NEXT) | instid1(VALU_DEP_2)
	v_fmaak_f32 v27, s21, v24, 0xbc7a590c
	v_sqrt_f32_e32 v26, v26
	s_delay_alu instid0(VALU_DEP_1) | instskip(NEXT) | instid1(VALU_DEP_1)
	v_fmaak_f32 v27, v24, v27, 0x3d29fb3f
	v_fmaak_f32 v15, v24, v27, 0xbd97d4d7
	s_delay_alu instid0(TRANS32_DEP_1) | instskip(NEXT) | instid1(VALU_DEP_2)
	v_ldexp_f32 v22, v26, v22
	v_fmaak_f32 v15, v24, v15, 0x3dd931b2
	s_delay_alu instid0(VALU_DEP_1) | instskip(NEXT) | instid1(VALU_DEP_1)
	v_fmaak_f32 v15, v24, v15, 0xbe1160e6
	v_fmaak_f32 v15, v24, v15, 0x3e4cb8bf
	s_delay_alu instid0(VALU_DEP_1) | instskip(NEXT) | instid1(VALU_DEP_1)
	v_fmaak_f32 v15, v24, v15, 0xbeaaaa62
	v_dual_cndmask_b32 v20, 0x7f800000, v22 :: v_dual_mul_f32 v15, v24, v15
	s_delay_alu instid0(VALU_DEP_1) | instskip(NEXT) | instid1(VALU_DEP_2)
	v_cmp_gt_f32_e32 vcc_lo, 0x800000, v20
	v_fmac_f32_e32 v2, v2, v15
	v_cndmask_b32_e64 v22, 0, 32, vcc_lo
	v_cndmask_b32_e64 v26, 0, 0x41b17218, vcc_lo
	s_delay_alu instid0(VALU_DEP_2) | instskip(NEXT) | instid1(VALU_DEP_1)
	v_ldexp_f32 v20, v20, v22
	v_log_f32_e32 v20, v20
	v_nop
	s_delay_alu instid0(TRANS32_DEP_1) | instskip(SKIP_1) | instid1(VALU_DEP_2)
	v_mul_f32_e32 v15, 0x3f317217, v20
	v_cmp_gt_f32_e64 vcc_lo, 0x7f800000, |v20|
	v_fma_f32 v15, 0x3f317217, v20, -v15
	s_delay_alu instid0(VALU_DEP_1) | instskip(NEXT) | instid1(VALU_DEP_1)
	v_fmac_f32_e32 v15, 0x3377d1cf, v20
	v_fmac_f32_e32 v15, 0x3f317217, v20
	s_delay_alu instid0(VALU_DEP_1) | instskip(NEXT) | instid1(VALU_DEP_1)
	v_dual_sub_f32 v22, 0x3fc90fdb, v2 :: v_dual_cndmask_b32 v15, v20, v15
	v_cndmask_b32_e64 v2, v2, v22, s2
	v_cndmask_b32_e64 v22, 0, 0x40490fdb, s3
	v_cmp_gt_f32_e64 s3, 0, v4
	v_cmp_eq_f32_e32 vcc_lo, 0, v5
	v_sub_f32_e32 v27, v15, v26
	v_sub_f32_e32 v24, 0x40490fdb, v2
	s_delay_alu instid0(VALU_DEP_1) | instskip(SKIP_1) | instid1(VALU_DEP_2)
	v_cndmask_b32_e64 v2, v2, v24, s3
	v_cndmask_b32_e64 v24, 0x3f490fdb, v32, s3
	v_cndmask_b32_e32 v2, v2, v22, vcc_lo
	s_and_b32 vcc_lo, s5, s6
	s_delay_alu instid0(VALU_DEP_1)
	v_cndmask_b32_e32 v2, v2, v24, vcc_lo
.LBB192_124:                            ;   in Loop: Header=BB192_5 Depth=1
	s_or_b32 exec_lo, exec_lo, s4
                                        ; implicit-def: $vgpr28
.LBB192_125:                            ;   in Loop: Header=BB192_5 Depth=1
	s_and_not1_saveexec_b32 s4, s25
	s_cbranch_execz .LBB192_131
; %bb.126:                              ;   in Loop: Header=BB192_5 Depth=1
                                        ; implicit-def: $vgpr27
                                        ; implicit-def: $vgpr2
	s_mov_b32 s3, exec_lo
	v_cmpx_ngt_f32_e32 0x1fec1e4a, v28
	s_xor_b32 s5, exec_lo, s3
	s_cbranch_execz .LBB192_128
; %bb.127:                              ;   in Loop: Header=BB192_5 Depth=1
	v_pk_mul_f32 v[26:27], v[28:29], v[28:29]
	v_cmp_class_f32_e64 s6, v4, 0x204
	s_delay_alu instid0(VALU_DEP_2) | instskip(SKIP_1) | instid1(VALU_DEP_2)
	v_add_f32_e32 v29, 1.0, v26
	v_cmp_neq_f32_e64 s3, 0x7f800000, v26
	v_add_f32_e32 v27, -1.0, v29
	s_delay_alu instid0(VALU_DEP_1) | instskip(SKIP_2) | instid1(VALU_DEP_1)
	v_mov_b32_e32 v28, v27
	v_cvt_f64_f32_e32 v[30:31], v29
	v_frexp_mant_f32_e32 v15, v29
	v_cmp_gt_f32_e32 vcc_lo, 0x3f2aaaab, v15
	s_delay_alu instid0(VALU_DEP_3) | instskip(NEXT) | instid1(VALU_DEP_1)
	v_frexp_exp_i32_f64_e32 v2, v[30:31]
	v_subrev_co_ci_u32_e64 v2, null, 0, v2, vcc_lo
	v_cmp_gt_i32_e32 vcc_lo, 0, v4
	s_delay_alu instid0(VALU_DEP_2) | instskip(SKIP_1) | instid1(VALU_DEP_2)
	v_sub_nc_u32_e32 v15, 0, v2
	v_pk_add_f32 v[30:31], v[26:27], v[28:29] neg_lo:[0,1] neg_hi:[0,1]
	v_ldexp_f32 v20, v29, v15
	s_delay_alu instid0(VALU_DEP_1) | instskip(NEXT) | instid1(VALU_DEP_1)
	v_dual_add_f32 v22, 1.0, v31 :: v_dual_add_f32 v24, 1.0, v20
	v_dual_add_f32 v22, v30, v22 :: v_dual_add_f32 v27, -1.0, v24
	v_add_f32_e32 v33, -1.0, v20
	s_delay_alu instid0(VALU_DEP_2) | instskip(NEXT) | instid1(VALU_DEP_2)
	v_ldexp_f32 v15, v22, v15
	v_dual_sub_f32 v22, v20, v27 :: v_dual_add_f32 v27, 1.0, v33
	s_delay_alu instid0(VALU_DEP_1) | instskip(NEXT) | instid1(VALU_DEP_1)
	v_dual_add_f32 v22, v15, v22 :: v_dual_sub_f32 v20, v20, v27
	v_dual_add_f32 v27, v24, v22 :: v_dual_add_f32 v15, v15, v20
	s_delay_alu instid0(VALU_DEP_1) | instskip(SKIP_1) | instid1(VALU_DEP_1)
	v_rcp_f32_e32 v20, v27
	v_sub_f32_e32 v24, v24, v27
	v_dual_add_f32 v29, v33, v15 :: v_dual_add_f32 v22, v22, v24
	s_delay_alu instid0(TRANS32_DEP_1) | instid1(VALU_DEP_1)
	v_mul_f32_e32 v36, v29, v20
	s_delay_alu instid0(VALU_DEP_1) | instskip(NEXT) | instid1(VALU_DEP_1)
	v_dual_sub_f32 v24, v33, v29 :: v_dual_mul_f32 v30, v27, v36
	v_dual_add_f32 v15, v15, v24 :: v_dual_fma_f32 v34, v36, v27, -v30
	s_delay_alu instid0(VALU_DEP_1) | instskip(NEXT) | instid1(VALU_DEP_1)
	v_fmac_f32_e32 v34, v36, v22
	v_add_f32_e32 v28, v30, v34
	s_delay_alu instid0(VALU_DEP_1) | instskip(NEXT) | instid1(VALU_DEP_1)
	v_dual_sub_f32 v31, v29, v28 :: v_dual_mov_b32 v35, v28
	v_pk_add_f32 v[28:29], v[28:29], v[30:31] neg_lo:[0,1] neg_hi:[0,1]
	s_delay_alu instid0(VALU_DEP_1) | instskip(NEXT) | instid1(VALU_DEP_1)
	v_pk_add_f32 v[28:29], v[28:29], v[34:35] neg_lo:[0,1] neg_hi:[0,1]
	v_add_f32_e32 v15, v15, v29
	s_delay_alu instid0(VALU_DEP_1) | instskip(NEXT) | instid1(VALU_DEP_1)
	v_add_f32_e32 v15, v28, v15
	v_add_f32_e32 v29, v31, v15
	s_delay_alu instid0(VALU_DEP_1) | instskip(NEXT) | instid1(VALU_DEP_1)
	v_mul_f32_e32 v24, v20, v29
	v_mul_f32_e32 v34, v27, v24
	s_delay_alu instid0(VALU_DEP_1) | instskip(NEXT) | instid1(VALU_DEP_1)
	v_fma_f32 v30, v24, v27, -v34
	v_fmac_f32_e32 v30, v24, v22
	s_delay_alu instid0(VALU_DEP_1) | instskip(NEXT) | instid1(VALU_DEP_1)
	v_dual_add_f32 v28, v34, v30 :: v_dual_sub_f32 v22, v31, v29
	v_dual_mov_b32 v31, v28 :: v_dual_sub_f32 v35, v29, v28
	s_delay_alu instid0(VALU_DEP_2) | instskip(NEXT) | instid1(VALU_DEP_2)
	v_dual_add_f32 v15, v15, v22 :: v_dual_add_f32 v22, v36, v24
	v_pk_add_f32 v[28:29], v[28:29], v[34:35] neg_lo:[0,1] neg_hi:[0,1]
	s_delay_alu instid0(VALU_DEP_2) | instskip(NEXT) | instid1(VALU_DEP_2)
	v_sub_f32_e32 v27, v22, v36
	v_pk_add_f32 v[28:29], v[28:29], v[30:31] neg_lo:[0,1] neg_hi:[0,1]
	s_delay_alu instid0(VALU_DEP_1) | instskip(NEXT) | instid1(VALU_DEP_1)
	v_dual_sub_f32 v24, v24, v27 :: v_dual_add_f32 v15, v15, v29
	v_add_f32_e32 v15, v28, v15
	v_cvt_f32_i32_e32 v28, v2
	s_delay_alu instid0(VALU_DEP_2) | instskip(NEXT) | instid1(VALU_DEP_1)
	v_add_f32_e32 v15, v35, v15
	v_mul_f32_e32 v15, v20, v15
	s_delay_alu instid0(VALU_DEP_1) | instskip(NEXT) | instid1(VALU_DEP_1)
	v_add_f32_e32 v20, v24, v15
	v_add_f32_e32 v24, v22, v20
	s_delay_alu instid0(VALU_DEP_1) | instskip(SKIP_3) | instid1(VALU_DEP_4)
	v_mul_f32_e32 v15, v24, v24
	v_ldexp_f32 v35, v24, 1
	v_sub_f32_e32 v2, v24, v22
	v_max_num_f32_e64 v22, |v4|, |v4|
	v_fmaak_f32 v27, s20, v15, 0x3ecc95a3
	v_mul_f32_e32 v29, v24, v15
	s_delay_alu instid0(VALU_DEP_4) | instskip(SKIP_1) | instid1(VALU_DEP_4)
	v_sub_f32_e32 v2, v20, v2
	v_max_num_f32_e64 v20, |v5|, |v5|
	v_fmaak_f32 v15, v15, v27, 0x3f2aaada
	s_delay_alu instid0(VALU_DEP_3) | instskip(NEXT) | instid1(VALU_DEP_2)
	v_ldexp_f32 v2, v2, 1
	v_pk_mul_f32 v[30:31], v[28:29], v[14:15]
	s_delay_alu instid0(VALU_DEP_1) | instskip(SKIP_1) | instid1(VALU_DEP_2)
	v_fma_f32 v34, 0x3f317218, v28, -v30
	v_mov_b32_e32 v36, v30
	v_fmac_f32_e32 v34, 0xb102e308, v28
	s_delay_alu instid0(VALU_DEP_1) | instskip(NEXT) | instid1(VALU_DEP_1)
	v_pk_add_f32 v[28:29], v[30:31], v[34:35]
	v_dual_sub_f32 v15, v29, v35 :: v_dual_mov_b32 v35, v28
	s_delay_alu instid0(VALU_DEP_1) | instskip(SKIP_1) | instid1(VALU_DEP_2)
	v_dual_mov_b32 v44, v29 :: v_dual_sub_f32 v15, v31, v15
	v_pk_add_f32 v[30:31], v[28:29], v[30:31] neg_lo:[0,1] neg_hi:[0,1]
	v_add_f32_e32 v37, v2, v15
	s_delay_alu instid0(VALU_DEP_1) | instskip(NEXT) | instid1(VALU_DEP_1)
	v_pk_add_f32 v[38:39], v[28:29], v[36:37]
	v_dual_max_num_f32 v2, v22, v20 :: v_dual_mov_b32 v31, v39
	s_delay_alu instid0(VALU_DEP_1) | instskip(NEXT) | instid1(VALU_DEP_2)
	v_frexp_mant_f32_e32 v15, v2
	v_pk_add_f32 v[40:41], v[34:35], v[30:31]
	v_min_num_f32_e32 v20, v22, v20
	v_frexp_exp_i32_f32_e32 v22, v2
	s_delay_alu instid0(VALU_DEP_4) | instskip(NEXT) | instid1(VALU_DEP_3)
	v_rcp_f32_e32 v15, v15
	v_dual_mov_b32 v40, v39 :: v_dual_mov_b32 v2, v41
	s_delay_alu instid0(VALU_DEP_3) | instskip(SKIP_2) | instid1(VALU_DEP_4)
	v_frexp_exp_i32_f32_e32 v24, v20
	v_frexp_mant_f32_e32 v20, v20
	v_pk_add_f32 v[30:31], v[34:35], v[30:31] neg_lo:[0,1] neg_hi:[0,1]
	v_pk_add_f32 v[42:43], v[2:3], v[28:29] neg_lo:[0,1] neg_hi:[0,1]
	s_delay_alu instid0(VALU_DEP_4) | instskip(NEXT) | instid1(VALU_DEP_4)
	v_sub_nc_u32_e32 v22, v24, v22
	v_mul_f32_e32 v15, v20, v15
	v_dual_mov_b32 v29, v28 :: v_dual_mov_b32 v28, v37
	s_delay_alu instid0(VALU_DEP_4) | instskip(NEXT) | instid1(VALU_DEP_3)
	v_mov_b32_e32 v45, v42
	v_ldexp_f32 v22, v15, v22
	v_mov_b32_e32 v15, v42
	s_delay_alu instid0(VALU_DEP_3) | instskip(NEXT) | instid1(VALU_DEP_2)
	v_pk_add_f32 v[34:35], v[40:41], v[44:45] neg_lo:[0,1] neg_hi:[0,1]
	v_pk_add_f32 v[36:37], v[38:39], v[14:15] neg_lo:[0,1] neg_hi:[0,1]
	v_mov_b32_e32 v36, v30
	s_delay_alu instid0(VALU_DEP_3) | instskip(NEXT) | instid1(VALU_DEP_1)
	v_pk_add_f32 v[28:29], v[28:29], v[34:35] neg_lo:[0,1] neg_hi:[0,1]
	v_pk_add_f32 v[34:35], v[36:37], v[28:29]
	s_delay_alu instid0(VALU_DEP_1) | instskip(NEXT) | instid1(VALU_DEP_1)
	v_dual_mul_f32 v24, v22, v22 :: v_dual_mov_b32 v20, v35
	v_fmaak_f32 v15, s21, v24, 0xbc7a590c
	s_delay_alu instid0(VALU_DEP_2) | instskip(NEXT) | instid1(VALU_DEP_2)
	v_pk_add_f32 v[36:37], v[34:35], v[20:21]
	v_fmaak_f32 v15, v24, v15, 0x3d29fb3f
	v_cndmask_b32_e64 v20, 0, 0x40490fdb, vcc_lo
	v_cmp_gt_f32_e32 vcc_lo, 0, v4
	s_delay_alu instid0(VALU_DEP_4) | instskip(SKIP_2) | instid1(VALU_DEP_3)
	v_pk_add_f32 v[38:39], v[2:3], v[36:37]
	v_mov_b32_e32 v31, v41
	v_fmaak_f32 v15, v24, v15, 0xbd97d4d7
	v_dual_mov_b32 v29, v36 :: v_dual_mov_b32 v35, v38
	s_delay_alu instid0(VALU_DEP_1) | instskip(NEXT) | instid1(VALU_DEP_1)
	v_pk_add_f32 v[40:41], v[34:35], v[30:31] neg_lo:[0,1] neg_hi:[0,1]
	v_pk_add_f32 v[28:29], v[28:29], v[40:41] neg_lo:[0,1] neg_hi:[0,1]
	s_delay_alu instid0(VALU_DEP_4) | instskip(NEXT) | instid1(VALU_DEP_1)
	v_fmaak_f32 v15, v24, v15, 0x3dd931b2
	v_dual_fmaak_f32 v2, v24, v15, 0xbe1160e6 :: v_dual_sub_f32 v15, v34, v40
	s_delay_alu instid0(VALU_DEP_1) | instskip(NEXT) | instid1(VALU_DEP_1)
	v_dual_fmaak_f32 v2, v24, v2, 0x3e4cb8bf :: v_dual_sub_f32 v15, v30, v15
	v_fmaak_f32 v2, v24, v2, 0xbeaaaa62
	s_delay_alu instid0(VALU_DEP_1) | instskip(NEXT) | instid1(VALU_DEP_1)
	v_mul_f32_e32 v2, v24, v2
	v_dual_fmac_f32 v22, v22, v2 :: v_dual_add_f32 v2, v28, v15
                                        ; implicit-def: $vgpr28
	s_delay_alu instid0(VALU_DEP_1) | instskip(NEXT) | instid1(VALU_DEP_1)
	v_dual_sub_f32 v15, 0x3fc90fdb, v22 :: v_dual_add_f32 v2, v2, v29
	v_cndmask_b32_e64 v15, v22, v15, s2
	s_delay_alu instid0(VALU_DEP_2) | instskip(NEXT) | instid1(VALU_DEP_2)
	v_add_f32_e32 v2, v38, v2
	v_sub_f32_e32 v22, 0x40490fdb, v15
	s_delay_alu instid0(VALU_DEP_2) | instskip(SKIP_1) | instid1(VALU_DEP_3)
	v_cndmask_b32_e64 v2, 0x7f800000, v2, s3
	v_cmp_class_f32_e64 s3, v5, 0x204
	v_cndmask_b32_e32 v15, v15, v22, vcc_lo
	v_cndmask_b32_e32 v22, 0x3f490fdb, v32, vcc_lo
	v_cmp_gt_f32_e64 vcc_lo, 0x33800000, |v26|
	v_cndmask_b32_e32 v2, v2, v26, vcc_lo
	v_cmp_eq_f32_e32 vcc_lo, 0, v5
	s_delay_alu instid0(VALU_DEP_2) | instskip(SKIP_1) | instid1(VALU_DEP_1)
	v_dual_mul_f32 v27, 0.5, v2 :: v_dual_cndmask_b32 v15, v15, v20, vcc_lo
	s_and_b32 vcc_lo, s6, s3
	v_cndmask_b32_e32 v2, v15, v22, vcc_lo
.LBB192_128:                            ;   in Loop: Header=BB192_5 Depth=1
	s_and_not1_saveexec_b32 s5, s5
	s_cbranch_execz .LBB192_130
; %bb.129:                              ;   in Loop: Header=BB192_5 Depth=1
	v_max_num_f32_e64 v2, |v5|, |v5|
	v_max_num_f32_e64 v15, |v4|, |v4|
	v_cmp_eq_f32_e64 s3, 0, v5
	v_cmp_gt_i32_e32 vcc_lo, 0, v4
	v_cmp_class_f32_e64 s6, v4, 0x204
	v_cmp_class_f32_e64 s7, v5, 0x204
	v_dual_max_num_f32 v20, v15, v2 :: v_dual_min_num_f32 v2, v15, v2
	s_delay_alu instid0(VALU_DEP_1) | instskip(SKIP_1) | instid1(VALU_DEP_2)
	v_frexp_mant_f32_e32 v22, v20
	v_frexp_exp_i32_f32_e32 v15, v20
	v_rcp_f32_e32 v20, v22
	v_nop
	v_frexp_exp_i32_f32_e32 v22, v2
	v_frexp_mant_f32_e32 v2, v2
	s_delay_alu instid0(VALU_DEP_2)
	v_sub_nc_u32_e32 v15, v22, v15
	s_delay_alu instid0(TRANS32_DEP_1) | instid1(VALU_DEP_2)
	v_mul_f32_e32 v2, v2, v20
	s_delay_alu instid0(VALU_DEP_1) | instskip(NEXT) | instid1(VALU_DEP_1)
	v_ldexp_f32 v2, v2, v15
	v_mul_f32_e32 v15, v2, v2
	s_delay_alu instid0(VALU_DEP_1) | instskip(NEXT) | instid1(VALU_DEP_1)
	v_fmaak_f32 v20, s21, v15, 0xbc7a590c
	v_fmaak_f32 v20, v15, v20, 0x3d29fb3f
	s_delay_alu instid0(VALU_DEP_1) | instskip(NEXT) | instid1(VALU_DEP_1)
	v_fmaak_f32 v20, v15, v20, 0xbd97d4d7
	v_fmaak_f32 v20, v15, v20, 0x3dd931b2
	;; [unrolled: 3-line block ×3, first 2 shown]
	s_delay_alu instid0(VALU_DEP_1) | instskip(NEXT) | instid1(VALU_DEP_1)
	v_fmaak_f32 v20, v15, v20, 0xbeaaaa62
	v_mul_f32_e32 v15, v15, v20
	v_cndmask_b32_e64 v20, 0, 0x40490fdb, vcc_lo
	v_cmp_gt_f32_e32 vcc_lo, 0, v4
	s_delay_alu instid0(VALU_DEP_3) | instskip(NEXT) | instid1(VALU_DEP_1)
	v_fmac_f32_e32 v2, v2, v15
	v_sub_f32_e32 v15, 0x3fc90fdb, v2
	s_delay_alu instid0(VALU_DEP_1) | instskip(NEXT) | instid1(VALU_DEP_1)
	v_cndmask_b32_e64 v2, v2, v15, s2
	v_sub_f32_e32 v15, 0x40490fdb, v2
	s_delay_alu instid0(VALU_DEP_1) | instskip(NEXT) | instid1(VALU_DEP_1)
	v_dual_cndmask_b32 v2, v2, v15 :: v_dual_mul_f32 v15, 0.5, v28
	v_cndmask_b32_e64 v2, v2, v20, s3
	v_cndmask_b32_e32 v20, 0x3f490fdb, v32, vcc_lo
	s_and_b32 vcc_lo, s6, s7
	s_delay_alu instid0(VALU_DEP_1)
	v_dual_mul_f32 v27, v28, v15 :: v_dual_cndmask_b32 v2, v2, v20
.LBB192_130:                            ;   in Loop: Header=BB192_5 Depth=1
	s_or_b32 exec_lo, exec_lo, s5
.LBB192_131:                            ;   in Loop: Header=BB192_5 Depth=1
	s_delay_alu instid0(SALU_CYCLE_1)
	s_or_b32 exec_lo, exec_lo, s4
.LBB192_132:                            ;   in Loop: Header=BB192_5 Depth=1
	s_and_not1_saveexec_b32 s4, s24
	s_cbranch_execz .LBB192_134
; %bb.133:                              ;   in Loop: Header=BB192_5 Depth=1
	v_div_scale_f32 v2, null, 0x402df854, 0x402df854, v4
	v_div_scale_f32 v15, null, 0x402df854, 0x402df854, v5
	v_div_scale_f32 v27, vcc_lo, v4, 0x402df854, v4
	s_delay_alu instid0(VALU_DEP_3) | instskip(NEXT) | instid1(VALU_DEP_2)
	v_rcp_f32_e32 v20, v2
	v_rcp_f32_e32 v22, v15
	v_cmp_class_f32_e64 s5, v5, 0x204
	s_delay_alu instid0(TRANS32_DEP_2) | instskip(NEXT) | instid1(TRANS32_DEP_1)
	v_fma_f32 v24, -v2, v20, 1.0
	v_fma_f32 v26, -v15, v22, 1.0
	s_delay_alu instid0(VALU_DEP_1) | instskip(SKIP_1) | instid1(VALU_DEP_1)
	v_dual_fmac_f32 v20, v24, v20 :: v_dual_fmac_f32 v22, v26, v22
	v_div_scale_f32 v24, s3, v5, 0x402df854, v5
	v_dual_mul_f32 v26, v27, v20 :: v_dual_mul_f32 v28, v24, v22
	s_delay_alu instid0(VALU_DEP_1) | instskip(NEXT) | instid1(VALU_DEP_1)
	v_dual_fma_f32 v29, -v2, v26, v27 :: v_dual_fma_f32 v30, -v15, v28, v24
	v_dual_fmac_f32 v26, v29, v20 :: v_dual_fmac_f32 v28, v30, v22
	s_delay_alu instid0(VALU_DEP_1) | instskip(SKIP_1) | instid1(VALU_DEP_2)
	v_dual_fma_f32 v2, -v2, v26, v27 :: v_dual_fma_f32 v15, -v15, v28, v24
	v_max_num_f32_e64 v24, |v5|, |v5|
	v_div_fmas_f32 v2, v2, v20, v26
	s_mov_b32 vcc_lo, s3
	v_cmp_class_f32_e64 s3, v4, 0x204
	v_div_fmas_f32 v15, v15, v22, v28
	s_delay_alu instid0(VALU_DEP_3) | instskip(NEXT) | instid1(VALU_DEP_2)
	v_div_fixup_f32 v2, v2, 0x402df854, v4
	v_div_fixup_f32 v15, v15, 0x402df854, v5
	s_delay_alu instid0(VALU_DEP_1) | instskip(NEXT) | instid1(VALU_DEP_1)
	v_max_num_f32_e64 v20, |v2|, |v15|
	v_cvt_f64_f32_e32 v[26:27], v20
	v_cmp_neq_f32_e32 vcc_lo, 0x7f800000, v20
	s_delay_alu instid0(VALU_DEP_2) | instskip(SKIP_1) | instid1(VALU_DEP_1)
	v_frexp_exp_i32_f64_e32 v22, v[26:27]
	v_max_num_f32_e64 v26, |v4|, |v4|
	v_dual_max_num_f32 v27, v26, v24 :: v_dual_min_num_f32 v24, v26, v24
	s_delay_alu instid0(VALU_DEP_1) | instskip(SKIP_1) | instid1(VALU_DEP_2)
	v_frexp_mant_f32_e32 v28, v27
	v_frexp_exp_i32_f32_e32 v26, v27
	v_rcp_f32_e32 v27, v28
	v_nop
	v_frexp_exp_i32_f32_e32 v28, v24
	v_frexp_mant_f32_e32 v24, v24
	s_delay_alu instid0(TRANS32_DEP_1) | instid1(VALU_DEP_1)
	v_dual_mul_f32 v24, v24, v27 :: v_dual_sub_nc_u32 v27, 0, v22
	s_delay_alu instid0(VALU_DEP_1) | instskip(NEXT) | instid1(VALU_DEP_4)
	v_ldexp_f32 v15, |v15|, v27
	v_sub_nc_u32_e32 v26, v28, v26
	v_ldexp_f32 v2, |v2|, v27
	s_delay_alu instid0(VALU_DEP_3) | instskip(NEXT) | instid1(VALU_DEP_3)
	v_mul_f32_e32 v15, v15, v15
	v_ldexp_f32 v24, v24, v26
	s_delay_alu instid0(VALU_DEP_1) | instskip(NEXT) | instid1(VALU_DEP_1)
	v_dual_fmac_f32 v15, v2, v2 :: v_dual_mul_f32 v26, v24, v24
	v_sqrt_f32_e32 v15, v15
	s_delay_alu instid0(VALU_DEP_1) | instskip(NEXT) | instid1(VALU_DEP_1)
	v_fmaak_f32 v27, s21, v26, 0xbc7a590c
	v_fmaak_f32 v2, v26, v27, 0x3d29fb3f
	s_delay_alu instid0(TRANS32_DEP_1) | instskip(NEXT) | instid1(VALU_DEP_2)
	v_ldexp_f32 v15, v15, v22
	v_fmaak_f32 v2, v26, v2, 0xbd97d4d7
	s_delay_alu instid0(VALU_DEP_1) | instskip(NEXT) | instid1(VALU_DEP_1)
	v_fmaak_f32 v2, v26, v2, 0x3dd931b2
	v_fmaak_f32 v2, v26, v2, 0xbe1160e6
	s_delay_alu instid0(VALU_DEP_1) | instskip(NEXT) | instid1(VALU_DEP_1)
	v_fmaak_f32 v2, v26, v2, 0x3e4cb8bf
	v_fmaak_f32 v2, v26, v2, 0xbeaaaa62
	s_delay_alu instid0(VALU_DEP_1) | instskip(NEXT) | instid1(VALU_DEP_1)
	v_dual_cndmask_b32 v15, 0x7f800000, v15 :: v_dual_mul_f32 v2, v26, v2
	v_cmp_gt_f32_e32 vcc_lo, 0x800000, v15
	v_cndmask_b32_e64 v20, 0, 32, vcc_lo
	v_cndmask_b32_e64 v26, 0, 0x41b17218, vcc_lo
	s_delay_alu instid0(VALU_DEP_2) | instskip(NEXT) | instid1(VALU_DEP_1)
	v_ldexp_f32 v15, v15, v20
	v_log_f32_e32 v15, v15
	v_nop
	s_delay_alu instid0(TRANS32_DEP_1) | instskip(SKIP_2) | instid1(VALU_DEP_3)
	v_mul_f32_e32 v20, 0x3f317217, v15
	v_cmp_gt_f32_e64 vcc_lo, 0x7f800000, |v15|
	v_fmac_f32_e32 v24, v24, v2
	v_fma_f32 v2, 0x3f317217, v15, -v20
	s_delay_alu instid0(VALU_DEP_1) | instskip(NEXT) | instid1(VALU_DEP_1)
	v_fmac_f32_e32 v2, 0x3377d1cf, v15
	v_fmac_f32_e32 v2, 0x3f317217, v15
	s_delay_alu instid0(VALU_DEP_1) | instskip(SKIP_2) | instid1(VALU_DEP_2)
	v_cndmask_b32_e32 v2, v15, v2, vcc_lo
	v_sub_f32_e32 v20, 0x3fc90fdb, v24
	v_cmp_eq_f32_e32 vcc_lo, 0, v5
	v_dual_sub_f32 v2, v2, v26 :: v_dual_cndmask_b32 v20, v24, v20, s2
	v_cmp_gt_i32_e64 s2, 0, v4
	s_delay_alu instid0(VALU_DEP_2) | instskip(NEXT) | instid1(VALU_DEP_2)
	v_dual_add_f32 v27, 1.0, v2 :: v_dual_sub_f32 v24, 0x40490fdb, v20
	v_cndmask_b32_e64 v22, 0, 0x40490fdb, s2
	v_cmp_gt_f32_e64 s2, 0, v4
	s_delay_alu instid0(VALU_DEP_1) | instskip(SKIP_1) | instid1(VALU_DEP_2)
	v_cndmask_b32_e64 v15, v20, v24, s2
	v_cndmask_b32_e64 v20, 0x3f490fdb, v32, s2
	v_cndmask_b32_e32 v15, v15, v22, vcc_lo
	s_and_b32 vcc_lo, s3, s5
	s_delay_alu instid0(VALU_DEP_1)
	v_cndmask_b32_e32 v2, v15, v20, vcc_lo
.LBB192_134:                            ;   in Loop: Header=BB192_5 Depth=1
	s_or_b32 exec_lo, exec_lo, s4
.LBB192_135:                            ;   in Loop: Header=BB192_5 Depth=1
	s_and_not1_saveexec_b32 s2, s23
	s_cbranch_execz .LBB192_4
; %bb.136:                              ;   in Loop: Header=BB192_5 Depth=1
	v_cmp_ngt_f32_e64 s3, 0x20000000, |v4|
	v_cmp_ngt_f32_e64 s4, 0x20000000, |v5|
                                        ; implicit-def: $vgpr2
	s_or_b32 s3, s3, s4
	s_delay_alu instid0(SALU_CYCLE_1) | instskip(NEXT) | instid1(SALU_CYCLE_1)
	s_and_saveexec_b32 s4, s3
	s_xor_b32 s3, exec_lo, s4
; %bb.137:                              ;   in Loop: Header=BB192_5 Depth=1
	v_pk_mul_f32 v[26:27], v[4:5], v[4:5]
	s_delay_alu instid0(VALU_DEP_1)
	v_add_f32_e32 v2, v26, v27
; %bb.138:                              ;   in Loop: Header=BB192_5 Depth=1
	s_and_not1_saveexec_b32 s3, s3
	s_cbranch_execz .LBB192_3
; %bb.139:                              ;   in Loop: Header=BB192_5 Depth=1
	v_pk_mul_f32 v[26:27], v[4:5], 4.0 op_sel_hi:[1,0]
	s_delay_alu instid0(VALU_DEP_1) | instskip(NEXT) | instid1(VALU_DEP_1)
	v_pk_mul_f32 v[26:27], v[26:27], v[26:27]
	v_add_f32_e32 v2, v26, v27
	s_delay_alu instid0(VALU_DEP_1)
	v_mul_f32_e32 v2, 0x3d800000, v2
	s_branch .LBB192_3
.LBB192_140:
	s_or_b32 exec_lo, exec_lo, s19
	s_mov_b32 s2, 0
.LBB192_141:
	s_delay_alu instid0(SALU_CYCLE_1)
	s_and_not1_b32 vcc_lo, exec_lo, s2
	s_cbranch_vccnz .LBB192_297
; %bb.142:
	v_cmp_lt_i64_e64 s2, s[10:11], 1
	s_and_b32 vcc_lo, exec_lo, s2
	s_cbranch_vccnz .LBB192_297
; %bb.143:
	v_min_i64 v[2:3], 0x10000, s[10:11]
	v_min_u64 v[4:5], 0x10000, s[10:11]
	s_load_b32 s0, s[0:1], 0xc5c
	v_mov_b64_e32 v[6:7], 0x3f800000bf800000
	v_dual_mov_b32 v1, 0 :: v_dual_mov_b32 v8, 0x3f317218
	v_mov_b32_e32 v38, 0x4016cbe4
	s_mov_b32 s17, 0
	s_mov_b64 s[24:25], 0
	s_mov_b32 s19, s17
	s_mov_b32 s21, s17
	;; [unrolled: 1-line block ×6, first 2 shown]
	s_wait_kmcnt 0x0
	s_and_b32 s16, s0, 0xffff
	s_delay_alu instid0(SALU_CYCLE_1)
	s_lshl_b32 s18, s16, 1
	s_mul_i32 s20, s16, 3
	s_lshl_b32 s22, s16, 2
	s_branch .LBB192_145
.LBB192_144:                            ;   in Loop: Header=BB192_145 Depth=1
	s_wait_xcnt 0x0
	s_or_b32 exec_lo, exec_lo, s1
	s_add_nc_u64 s[24:25], s[24:25], s[22:23]
	s_delay_alu instid0(SALU_CYCLE_1)
	v_cmp_ge_i64_e32 vcc_lo, s[24:25], v[2:3]
	s_cbranch_vccnz .LBB192_297
.LBB192_145:                            ; =>This Loop Header: Depth=1
                                        ;     Child Loop BB192_164 Depth 2
                                        ;     Child Loop BB192_198 Depth 2
	;; [unrolled: 1-line block ×4, first 2 shown]
	v_add_nc_u64_e32 v[18:19], s[24:25], v[0:1]
	v_dual_mov_b32 v24, 0 :: v_dual_mov_b32 v25, 0
	s_delay_alu instid0(VALU_DEP_2)
	v_cmp_lt_u64_e64 s3, v[18:19], v[4:5]
	s_and_saveexec_b32 s0, s3
	s_cbranch_execz .LBB192_147
; %bb.146:                              ;   in Loop: Header=BB192_145 Depth=1
	v_lshl_add_u64 v[10:11], v[18:19], 3, s[12:13]
	global_load_b64 v[24:25], v[10:11], off
.LBB192_147:                            ;   in Loop: Header=BB192_145 Depth=1
	s_wait_xcnt 0x0
	s_or_b32 exec_lo, exec_lo, s0
	v_add_nc_u64_e32 v[16:17], s[16:17], v[18:19]
	v_dual_mov_b32 v10, 0 :: v_dual_mov_b32 v22, 0
	v_mov_b32_e32 v23, 0
	s_delay_alu instid0(VALU_DEP_3)
	v_cmp_lt_u64_e64 s2, v[16:17], v[4:5]
	s_and_saveexec_b32 s0, s2
	s_cbranch_execz .LBB192_149
; %bb.148:                              ;   in Loop: Header=BB192_145 Depth=1
	v_lshl_add_u64 v[12:13], v[16:17], 3, s[12:13]
	global_load_b64 v[22:23], v[12:13], off
.LBB192_149:                            ;   in Loop: Header=BB192_145 Depth=1
	s_wait_xcnt 0x0
	s_or_b32 exec_lo, exec_lo, s0
	v_add_nc_u64_e32 v[14:15], s[18:19], v[18:19]
	v_mov_b32_e32 v11, 0
	s_delay_alu instid0(VALU_DEP_2)
	v_cmp_lt_u64_e64 s1, v[14:15], v[4:5]
	s_and_saveexec_b32 s0, s1
	s_cbranch_execz .LBB192_151
; %bb.150:                              ;   in Loop: Header=BB192_145 Depth=1
	v_lshl_add_u64 v[10:11], v[14:15], 3, s[12:13]
	global_load_b64 v[10:11], v[10:11], off
.LBB192_151:                            ;   in Loop: Header=BB192_145 Depth=1
	s_wait_xcnt 0x0
	s_or_b32 exec_lo, exec_lo, s0
	v_add_nc_u64_e32 v[12:13], s[20:21], v[18:19]
	v_mov_b32_e32 v20, 0
	s_delay_alu instid0(VALU_DEP_1) | instskip(NEXT) | instid1(VALU_DEP_3)
	v_mov_b32_e32 v21, v20
	v_cmp_lt_u64_e64 s0, v[12:13], v[4:5]
	s_and_saveexec_b32 s4, s0
	s_cbranch_execz .LBB192_153
; %bb.152:                              ;   in Loop: Header=BB192_145 Depth=1
	v_lshl_add_u64 v[20:21], v[12:13], 3, s[12:13]
	global_load_b64 v[20:21], v[20:21], off
.LBB192_153:                            ;   in Loop: Header=BB192_145 Depth=1
	s_wait_xcnt 0x0
	s_or_b32 exec_lo, exec_lo, s4
                                        ; implicit-def: $vgpr27
                                        ; implicit-def: $vgpr26
	s_delay_alu instid0(SALU_CYCLE_1)
	s_mov_b32 s4, exec_lo
	s_wait_loadcnt 0x0
	v_cmpx_o_f32_e32 v25, v24
	s_xor_b32 s29, exec_lo, s4
	s_cbranch_execz .LBB192_181
; %bb.154:                              ;   in Loop: Header=BB192_145 Depth=1
	v_cmp_lt_f32_e64 s4, |v24|, |v25|
                                        ; implicit-def: $vgpr27
                                        ; implicit-def: $vgpr26
	s_mov_b32 s6, exec_lo
	v_cndmask_b32_e64 v9, v25, v24, s4
	s_delay_alu instid0(VALU_DEP_1)
	v_cmpx_nlt_f32_e64 0x77f684df, |v9|
	s_xor_b32 s30, exec_lo, s6
	s_cbranch_execz .LBB192_178
; %bb.155:                              ;   in Loop: Header=BB192_145 Depth=1
	v_cndmask_b32_e64 v26, v24, v25, s4
	v_and_b32_e32 v28, 0x7fffffff, v9
                                        ; implicit-def: $vgpr27
	s_mov_b32 s5, exec_lo
	s_delay_alu instid0(VALU_DEP_2) | instskip(NEXT) | instid1(VALU_DEP_1)
	v_and_b32_e32 v29, 0x7fffffff, v26
                                        ; implicit-def: $vgpr26
	v_cmpx_neq_f32_e32 1.0, v29
	s_xor_b32 s31, exec_lo, s5
	s_cbranch_execz .LBB192_171
; %bb.156:                              ;   in Loop: Header=BB192_145 Depth=1
	v_dual_max_num_f32 v9, v28, v28 :: v_dual_max_num_f32 v26, v29, v29
	s_delay_alu instid0(VALU_DEP_1) | instskip(NEXT) | instid1(VALU_DEP_1)
	v_dual_min_num_f32 v27, v26, v9 :: v_dual_max_num_f32 v9, v26, v9
                                        ; implicit-def: $vgpr26
	v_cmp_ngt_f32_e32 vcc_lo, 0x358637bd, v27
	s_delay_alu instid0(VALU_DEP_2) | instskip(SKIP_1) | instid1(SALU_CYCLE_1)
	v_cmp_nlt_f32_e64 s5, 0x49742400, v9
                                        ; implicit-def: $vgpr27
	s_and_b32 s5, s5, vcc_lo
	s_and_saveexec_b32 s6, s5
	s_delay_alu instid0(SALU_CYCLE_1)
	s_xor_b32 s33, exec_lo, s6
	s_cbranch_execz .LBB192_168
; %bb.157:                              ;   in Loop: Header=BB192_145 Depth=1
                                        ; implicit-def: $vgpr27
                                        ; implicit-def: $vgpr26
	s_mov_b32 s5, exec_lo
	v_cmpx_le_f32_e32 1.0, v29
	s_xor_b32 s6, exec_lo, s5
	s_cbranch_execz .LBB192_159
; %bb.158:                              ;   in Loop: Header=BB192_145 Depth=1
	v_pk_add_f32 v[26:27], v[28:29], v[6:7] op_sel:[1,0]
	v_mov_b32_e32 v30, v28
	v_cmp_class_f32_e64 s7, v24, 0x204
	s_delay_alu instid0(VALU_DEP_3) | instskip(SKIP_1) | instid1(VALU_DEP_1)
	v_dual_mov_b32 v29, v26 :: v_dual_mov_b32 v31, v27
	v_mul_f32_e32 v26, v26, v27
	v_pk_fma_f32 v[26:27], v[28:29], v[30:31], v[26:27] op_sel_hi:[1,1,0]
	s_delay_alu instid0(VALU_DEP_1) | instskip(SKIP_1) | instid1(VALU_DEP_2)
	v_add_f32_e32 v29, 1.0, v26
	v_cmp_neq_f32_e64 s5, -1.0, v26
	v_frexp_mant_f32_e32 v28, v29
	v_add_f32_e32 v27, -1.0, v29
	s_delay_alu instid0(VALU_DEP_2) | instskip(NEXT) | instid1(VALU_DEP_2)
	v_cmp_gt_f32_e32 vcc_lo, 0x3f2aaaab, v28
	v_mov_b32_e32 v28, v27
	v_cvt_f64_f32_e32 v[30:31], v29
	s_delay_alu instid0(VALU_DEP_1) | instskip(NEXT) | instid1(VALU_DEP_3)
	v_frexp_exp_i32_f64_e32 v9, v[30:31]
	v_pk_add_f32 v[30:31], v[26:27], v[28:29] neg_lo:[0,1] neg_hi:[0,1]
	s_delay_alu instid0(VALU_DEP_1) | instskip(NEXT) | instid1(VALU_DEP_3)
	v_add_f32_e32 v28, 1.0, v31
	v_subrev_co_ci_u32_e64 v9, null, 0, v9, vcc_lo
	v_cmp_neq_f32_e32 vcc_lo, 0x7f800000, v26
	s_delay_alu instid0(VALU_DEP_2) | instskip(NEXT) | instid1(VALU_DEP_1)
	v_sub_nc_u32_e32 v32, 0, v9
	v_ldexp_f32 v27, v29, v32
	s_delay_alu instid0(VALU_DEP_1) | instskip(NEXT) | instid1(VALU_DEP_1)
	v_dual_add_f32 v31, 1.0, v27 :: v_dual_add_f32 v28, v30, v28
	v_add_f32_e32 v29, -1.0, v31
	v_add_f32_e32 v33, -1.0, v27
	s_delay_alu instid0(VALU_DEP_3) | instskip(NEXT) | instid1(VALU_DEP_3)
	v_ldexp_f32 v28, v28, v32
	v_sub_f32_e32 v29, v27, v29
	s_delay_alu instid0(VALU_DEP_1) | instskip(NEXT) | instid1(VALU_DEP_1)
	v_add_f32_e32 v32, v28, v29
	v_dual_add_f32 v30, 1.0, v33 :: v_dual_add_f32 v34, v31, v32
	s_delay_alu instid0(VALU_DEP_1) | instskip(NEXT) | instid1(VALU_DEP_2)
	v_sub_f32_e32 v27, v27, v30
	v_rcp_f32_e32 v35, v34
	s_delay_alu instid0(VALU_DEP_1) | instskip(SKIP_1) | instid1(VALU_DEP_1)
	v_add_f32_e32 v27, v28, v27
	v_sub_f32_e32 v28, v34, v31
	v_dual_add_f32 v29, v33, v27 :: v_dual_sub_f32 v37, v32, v28
	s_delay_alu instid0(TRANS32_DEP_1) | instid1(VALU_DEP_1)
	v_mul_f32_e32 v36, v29, v35
	s_delay_alu instid0(VALU_DEP_1) | instskip(NEXT) | instid1(VALU_DEP_1)
	v_mul_f32_e32 v30, v34, v36
	v_fma_f32 v32, v36, v34, -v30
	s_delay_alu instid0(VALU_DEP_1) | instskip(NEXT) | instid1(VALU_DEP_1)
	v_fmac_f32_e32 v32, v36, v37
	v_dual_add_f32 v28, v30, v32 :: v_dual_sub_f32 v39, v29, v33
	s_delay_alu instid0(VALU_DEP_1) | instskip(NEXT) | instid1(VALU_DEP_2)
	v_dual_mov_b32 v33, v28 :: v_dual_sub_f32 v31, v29, v28
	v_sub_f32_e32 v27, v27, v39
	s_delay_alu instid0(VALU_DEP_2) | instskip(NEXT) | instid1(VALU_DEP_1)
	v_pk_add_f32 v[28:29], v[28:29], v[30:31] neg_lo:[0,1] neg_hi:[0,1]
	v_pk_add_f32 v[28:29], v[28:29], v[32:33] neg_lo:[0,1] neg_hi:[0,1]
	s_delay_alu instid0(VALU_DEP_1) | instskip(NEXT) | instid1(VALU_DEP_1)
	v_add_f32_e32 v27, v27, v29
	v_add_f32_e32 v27, v28, v27
	s_delay_alu instid0(VALU_DEP_1) | instskip(NEXT) | instid1(VALU_DEP_1)
	v_add_f32_e32 v29, v31, v27
	v_mul_f32_e32 v39, v35, v29
	s_delay_alu instid0(VALU_DEP_1) | instskip(NEXT) | instid1(VALU_DEP_1)
	v_mul_f32_e32 v32, v34, v39
	v_fma_f32 v30, v39, v34, -v32
	v_sub_f32_e32 v34, v31, v29
	s_delay_alu instid0(VALU_DEP_2) | instskip(NEXT) | instid1(VALU_DEP_2)
	v_fmac_f32_e32 v30, v39, v37
	v_dual_add_f32 v27, v27, v34 :: v_dual_add_f32 v34, v36, v39
	s_delay_alu instid0(VALU_DEP_2) | instskip(NEXT) | instid1(VALU_DEP_1)
	v_add_f32_e32 v28, v32, v30
	v_dual_mov_b32 v31, v28 :: v_dual_sub_f32 v33, v29, v28
	s_delay_alu instid0(VALU_DEP_1) | instskip(NEXT) | instid1(VALU_DEP_1)
	v_pk_add_f32 v[28:29], v[28:29], v[32:33] neg_lo:[0,1] neg_hi:[0,1]
	v_pk_add_f32 v[28:29], v[28:29], v[30:31] neg_lo:[0,1] neg_hi:[0,1]
	s_delay_alu instid0(VALU_DEP_1) | instskip(NEXT) | instid1(VALU_DEP_1)
	v_add_f32_e32 v27, v27, v29
	v_dual_add_f32 v27, v28, v27 :: v_dual_sub_f32 v28, v34, v36
	s_delay_alu instid0(VALU_DEP_1) | instskip(NEXT) | instid1(VALU_DEP_1)
	v_dual_add_f32 v27, v33, v27 :: v_dual_sub_f32 v28, v39, v28
	v_mul_f32_e32 v27, v35, v27
	s_delay_alu instid0(VALU_DEP_1) | instskip(SKIP_1) | instid1(VALU_DEP_2)
	v_add_f32_e32 v27, v28, v27
	v_cvt_f32_i32_e32 v28, v9
	v_add_f32_e32 v35, v34, v27
	s_delay_alu instid0(VALU_DEP_1) | instskip(NEXT) | instid1(VALU_DEP_1)
	v_mul_f32_e32 v30, v35, v35
	v_fmaak_f32 v31, s27, v30, 0x3ecc95a3
	v_mul_f32_e32 v29, v35, v30
	s_delay_alu instid0(VALU_DEP_2) | instskip(NEXT) | instid1(VALU_DEP_1)
	v_fmaak_f32 v9, v30, v31, 0x3f2aaada
	v_pk_mul_f32 v[30:31], v[28:29], v[8:9]
	v_sub_f32_e32 v9, v35, v34
	s_delay_alu instid0(VALU_DEP_2) | instskip(NEXT) | instid1(VALU_DEP_2)
	v_fma_f32 v32, 0x3f317218, v28, -v30
	v_sub_f32_e32 v9, v27, v9
	v_ldexp_f32 v33, v35, 1
	v_mov_b32_e32 v34, v30
	s_delay_alu instid0(VALU_DEP_4) | instskip(NEXT) | instid1(VALU_DEP_4)
	v_fmac_f32_e32 v32, 0xb102e308, v28
	v_ldexp_f32 v9, v9, 1
	s_delay_alu instid0(VALU_DEP_2) | instskip(NEXT) | instid1(VALU_DEP_1)
	v_pk_add_f32 v[28:29], v[30:31], v[32:33]
	v_dual_sub_f32 v27, v29, v33 :: v_dual_mov_b32 v33, v28
	s_delay_alu instid0(VALU_DEP_1) | instskip(SKIP_1) | instid1(VALU_DEP_2)
	v_dual_mov_b32 v44, v29 :: v_dual_sub_f32 v27, v31, v27
	v_pk_add_f32 v[30:31], v[28:29], v[30:31] neg_lo:[0,1] neg_hi:[0,1]
	v_add_f32_e32 v35, v9, v27
	v_max_num_f32_e64 v9, |v25|, |v25|
	v_max_num_f32_e64 v27, |v24|, |v24|
	s_delay_alu instid0(VALU_DEP_1) | instskip(NEXT) | instid1(VALU_DEP_4)
	v_max_num_f32_e32 v39, v27, v9
	v_pk_add_f32 v[36:37], v[28:29], v[34:35]
	v_min_num_f32_e32 v9, v27, v9
	s_delay_alu instid0(VALU_DEP_3) | instskip(NEXT) | instid1(VALU_DEP_3)
	v_frexp_exp_i32_f32_e32 v27, v39
	v_mov_b32_e32 v31, v37
	v_frexp_mant_f32_e32 v39, v39
	s_delay_alu instid0(VALU_DEP_4) | instskip(NEXT) | instid1(VALU_DEP_3)
	v_frexp_mant_f32_e32 v46, v9
	v_pk_add_f32 v[40:41], v[32:33], v[30:31]
	v_frexp_exp_i32_f32_e32 v40, v9
	s_delay_alu instid0(VALU_DEP_4) | instskip(SKIP_1) | instid1(VALU_DEP_2)
	v_rcp_f32_e32 v39, v39
	v_pk_add_f32 v[30:31], v[32:33], v[30:31] neg_lo:[0,1] neg_hi:[0,1]
	v_dual_mov_b32 v34, v41 :: v_dual_sub_nc_u32 v27, v40, v27
	s_delay_alu instid0(TRANS32_DEP_1) | instskip(NEXT) | instid1(VALU_DEP_2)
	v_mul_f32_e32 v31, v46, v39
	v_pk_add_f32 v[42:43], v[34:35], v[28:29] neg_lo:[0,1] neg_hi:[0,1]
	v_dual_mov_b32 v40, v37 :: v_dual_mov_b32 v29, v28
	s_delay_alu instid0(VALU_DEP_2) | instskip(SKIP_1) | instid1(VALU_DEP_2)
	v_dual_mov_b32 v28, v35 :: v_dual_mov_b32 v45, v42
	v_mov_b32_e32 v9, v42
	v_pk_add_f32 v[32:33], v[40:41], v[44:45] neg_lo:[0,1] neg_hi:[0,1]
	s_delay_alu instid0(VALU_DEP_2) | instskip(SKIP_2) | instid1(VALU_DEP_4)
	v_pk_add_f32 v[36:37], v[36:37], v[8:9] neg_lo:[0,1] neg_hi:[0,1]
	v_mov_b32_e32 v36, v30
	v_ldexp_f32 v9, v31, v27
	v_pk_add_f32 v[28:29], v[28:29], v[32:33] neg_lo:[0,1] neg_hi:[0,1]
	s_delay_alu instid0(VALU_DEP_2) | instskip(NEXT) | instid1(VALU_DEP_2)
	v_mul_f32_e32 v27, v9, v9
	v_pk_add_f32 v[32:33], v[36:37], v[28:29]
	s_delay_alu instid0(VALU_DEP_1) | instskip(NEXT) | instid1(VALU_DEP_1)
	v_dual_fmaak_f32 v29, s28, v27, 0xbc7a590c :: v_dual_mov_b32 v36, v33
	v_pk_add_f32 v[36:37], v[32:33], v[36:37]
	s_delay_alu instid0(VALU_DEP_1) | instskip(NEXT) | instid1(VALU_DEP_1)
	v_pk_add_f32 v[34:35], v[34:35], v[36:37]
	v_dual_mov_b32 v31, v41 :: v_dual_mov_b32 v33, v34
	s_delay_alu instid0(VALU_DEP_1) | instskip(NEXT) | instid1(VALU_DEP_1)
	v_pk_add_f32 v[40:41], v[32:33], v[30:31] neg_lo:[0,1] neg_hi:[0,1]
	v_dual_fmaak_f32 v29, v27, v29, 0x3d29fb3f :: v_dual_sub_f32 v32, v32, v40
	s_delay_alu instid0(VALU_DEP_1) | instskip(NEXT) | instid1(VALU_DEP_1)
	v_dual_fmaak_f32 v29, v27, v29, 0xbd97d4d7 :: v_dual_sub_f32 v30, v30, v32
	v_fmaak_f32 v29, v27, v29, 0x3dd931b2
	s_delay_alu instid0(VALU_DEP_1) | instskip(SKIP_1) | instid1(VALU_DEP_1)
	v_fmaak_f32 v31, v27, v29, 0xbe1160e6
	v_mov_b32_e32 v29, v36
	v_pk_add_f32 v[28:29], v[28:29], v[40:41] neg_lo:[0,1] neg_hi:[0,1]
	s_delay_alu instid0(VALU_DEP_1) | instskip(NEXT) | instid1(VALU_DEP_1)
	v_add_f32_e32 v28, v28, v30
	v_dual_add_f32 v28, v28, v29 :: v_dual_fmaak_f32 v31, v27, v31, 0x3e4cb8bf
	s_delay_alu instid0(VALU_DEP_1) | instskip(NEXT) | instid1(VALU_DEP_1)
	v_fmaak_f32 v31, v27, v31, 0xbeaaaa62
	v_mul_f32_e32 v27, v27, v31
	s_delay_alu instid0(VALU_DEP_1) | instskip(NEXT) | instid1(VALU_DEP_1)
	v_dual_fmac_f32 v9, v9, v27 :: v_dual_add_f32 v27, v34, v28
	v_sub_f32_e32 v28, 0x3fc90fdb, v9
	s_delay_alu instid0(VALU_DEP_2) | instskip(SKIP_1) | instid1(VALU_DEP_3)
	v_cndmask_b32_e32 v27, 0x7f800000, v27, vcc_lo
	v_cmp_gt_i32_e32 vcc_lo, 0, v24
	v_cndmask_b32_e64 v9, v9, v28, s4
	v_cndmask_b32_e64 v28, 0, 0x40490fdb, vcc_lo
	v_cmp_ngt_f32_e32 vcc_lo, -1.0, v26
	s_delay_alu instid0(VALU_DEP_3) | instskip(SKIP_2) | instid1(VALU_DEP_2)
	v_sub_f32_e32 v29, 0x40490fdb, v9
	v_cndmask_b32_e32 v27, 0x7fc00000, v27, vcc_lo
	v_cmp_gt_f32_e32 vcc_lo, 0, v24
	v_cndmask_b32_e64 v24, 0xff800000, v27, s5
	s_delay_alu instid0(VALU_DEP_4)
	v_cndmask_b32_e32 v9, v9, v29, vcc_lo
	v_cndmask_b32_e32 v29, 0x3f490fdb, v38, vcc_lo
	v_cmp_gt_f32_e64 vcc_lo, 0x33800000, |v26|
	v_cmp_class_f32_e64 s5, v25, 0x204
	v_cndmask_b32_e32 v24, v24, v26, vcc_lo
	v_cmp_eq_f32_e32 vcc_lo, 0, v25
	s_delay_alu instid0(VALU_DEP_2) | instskip(SKIP_2) | instid1(VALU_DEP_1)
	v_mul_f32_e32 v27, 0.5, v24
	v_cndmask_b32_e32 v9, v9, v28, vcc_lo
	s_and_b32 vcc_lo, s5, s7
	v_cndmask_b32_e32 v26, v9, v29, vcc_lo
                                        ; implicit-def: $vgpr28_vgpr29
.LBB192_159:                            ;   in Loop: Header=BB192_145 Depth=1
	s_and_not1_saveexec_b32 s34, s6
	s_cbranch_execz .LBB192_167
; %bb.160:                              ;   in Loop: Header=BB192_145 Depth=1
	v_pk_mul_f32 v[26:27], v[28:29], v[28:29]
	s_mov_b32 s5, exec_lo
	s_delay_alu instid0(VALU_DEP_1) | instskip(NEXT) | instid1(VALU_DEP_1)
	v_add_f32_e32 v9, v27, v26
                                        ; implicit-def: $vgpr27
                                        ; implicit-def: $vgpr26
	v_cmpx_ge_f32_e32 0x3f333333, v9
	s_xor_b32 s6, exec_lo, s5
	s_cbranch_execz .LBB192_162
; %bb.161:                              ;   in Loop: Header=BB192_145 Depth=1
	v_max_num_f32_e64 v26, |v25|, |v25|
	v_max_num_f32_e64 v27, |v24|, |v24|
	v_cmp_gt_f32_e32 vcc_lo, 0x800000, v9
	v_cmp_gt_i32_e64 s5, 0, v24
	v_cmp_class_f32_e64 s7, v24, 0x204
	v_cmp_class_f32_e64 s8, v25, 0x204
	v_dual_max_num_f32 v28, v27, v26 :: v_dual_min_num_f32 v26, v27, v26
	v_cndmask_b32_e64 v30, 0, 0x41b17218, vcc_lo
	s_delay_alu instid0(VALU_DEP_2) | instskip(SKIP_1) | instid1(VALU_DEP_2)
	v_frexp_mant_f32_e32 v29, v28
	v_frexp_exp_i32_f32_e32 v27, v28
	v_rcp_f32_e32 v28, v29
	v_nop
	v_frexp_exp_i32_f32_e32 v29, v26
	v_frexp_mant_f32_e32 v26, v26
	s_delay_alu instid0(TRANS32_DEP_1) | instid1(VALU_DEP_1)
	v_dual_mul_f32 v26, v26, v28 :: v_dual_sub_nc_u32 v27, v29, v27
	v_cndmask_b32_e64 v29, 0, 32, vcc_lo
	s_delay_alu instid0(VALU_DEP_2) | instskip(NEXT) | instid1(VALU_DEP_2)
	v_ldexp_f32 v26, v26, v27
	v_ldexp_f32 v9, v9, v29
	s_delay_alu instid0(VALU_DEP_1) | instskip(NEXT) | instid1(VALU_DEP_2)
	v_log_f32_e32 v9, v9
	v_mul_f32_e32 v27, v26, v26
	s_delay_alu instid0(VALU_DEP_1) | instskip(NEXT) | instid1(TRANS32_DEP_1)
	v_fmaak_f32 v28, s28, v27, 0xbc7a590c
	v_cmp_gt_f32_e64 vcc_lo, 0x7f800000, |v9|
	s_delay_alu instid0(VALU_DEP_2) | instskip(NEXT) | instid1(VALU_DEP_1)
	v_fmaak_f32 v28, v27, v28, 0x3d29fb3f
	v_fmaak_f32 v28, v27, v28, 0xbd97d4d7
	s_delay_alu instid0(VALU_DEP_1) | instskip(NEXT) | instid1(VALU_DEP_1)
	v_fmaak_f32 v28, v27, v28, 0x3dd931b2
	v_fmaak_f32 v28, v27, v28, 0xbe1160e6
	s_delay_alu instid0(VALU_DEP_1) | instskip(NEXT) | instid1(VALU_DEP_1)
	;; [unrolled: 3-line block ×3, first 2 shown]
	v_dual_mul_f32 v27, v27, v28 :: v_dual_mul_f32 v28, 0x3f317217, v9
	v_fmac_f32_e32 v26, v26, v27
	s_delay_alu instid0(VALU_DEP_2) | instskip(NEXT) | instid1(VALU_DEP_1)
	v_fma_f32 v27, 0x3f317217, v9, -v28
	v_fmac_f32_e32 v27, 0x3377d1cf, v9
	s_delay_alu instid0(VALU_DEP_3) | instskip(NEXT) | instid1(VALU_DEP_2)
	v_sub_f32_e32 v28, 0x3fc90fdb, v26
	v_fmac_f32_e32 v27, 0x3f317217, v9
	s_delay_alu instid0(VALU_DEP_2) | instskip(SKIP_2) | instid1(VALU_DEP_4)
	v_cndmask_b32_e64 v26, v26, v28, s4
	v_cndmask_b32_e64 v28, 0, 0x40490fdb, s5
	v_cmp_eq_f32_e64 s5, 0, v25
	v_cndmask_b32_e32 v9, v9, v27, vcc_lo
	s_delay_alu instid0(VALU_DEP_4) | instskip(SKIP_1) | instid1(VALU_DEP_2)
	v_sub_f32_e32 v29, 0x40490fdb, v26
	v_cmp_gt_f32_e32 vcc_lo, 0, v24
	v_dual_sub_f32 v9, v9, v30 :: v_dual_cndmask_b32 v26, v26, v29
	s_delay_alu instid0(VALU_DEP_1) | instskip(SKIP_2) | instid1(VALU_DEP_1)
	v_dual_mul_f32 v27, 0.5, v9 :: v_dual_cndmask_b32 v24, v26, v28, s5
	v_cndmask_b32_e32 v26, 0x3f490fdb, v38, vcc_lo
	s_and_b32 vcc_lo, s8, s7
                                        ; implicit-def: $vgpr28
	v_cndmask_b32_e32 v26, v24, v26, vcc_lo
.LBB192_162:                            ;   in Loop: Header=BB192_145 Depth=1
	s_and_not1_saveexec_b32 s35, s6
	s_cbranch_execz .LBB192_166
; %bb.163:                              ;   in Loop: Header=BB192_145 Depth=1
	v_and_b32_e32 v27, 0x7fff0000, v28
	v_and_b32_e32 v26, 0x7fff0000, v29
	s_mov_b32 s36, 0
	s_delay_alu instid0(VALU_DEP_1) | instskip(SKIP_2) | instid1(VALU_DEP_2)
	v_dual_add_f32 v35, v27, v27 :: v_dual_add_f32 v32, v26, v26
	v_pk_add_f32 v[28:29], v[28:29], v[26:27] op_sel:[1,0] op_sel_hi:[0,1] neg_lo:[0,1] neg_hi:[0,1]
	v_pk_mul_f32 v[26:27], v[26:27], v[26:27]
	v_and_b32_e32 v31, 0xffff0000, v29
	s_delay_alu instid0(VALU_DEP_3) | instskip(NEXT) | instid1(VALU_DEP_1)
	v_and_b32_e32 v30, 0xffff0000, v28
	v_dual_add_f32 v39, v31, v31 :: v_dual_add_f32 v37, v30, v30
	v_pk_add_f32 v[28:29], v[28:29], v[30:31] neg_lo:[0,1] neg_hi:[0,1]
	v_dual_mul_f32 v9, v32, v30 :: v_dual_mul_f32 v34, v35, v31
	v_pk_mul_f32 v[30:31], v[30:31], v[30:31]
	s_delay_alu instid0(VALU_DEP_3)
	v_dual_mul_f32 v33, v32, v28 :: v_dual_mul_f32 v36, v35, v29
	v_dual_mul_f32 v32, v37, v28 :: v_dual_mul_f32 v35, v39, v29
	v_pk_mul_f32 v[28:29], v[28:29], v[28:29]
.LBB192_164:                            ;   Parent Loop BB192_145 Depth=1
                                        ; =>  This Inner Loop Header: Depth=2
	v_cmp_nlt_f32_e32 vcc_lo, v26, v27
	v_dual_cndmask_b32 v37, v26, v27 :: v_dual_cndmask_b32 v26, v27, v26
	s_delay_alu instid0(VALU_DEP_1) | instskip(NEXT) | instid1(VALU_DEP_1)
	v_cmp_nlt_f32_e64 s5, v37, v9
	v_cndmask_b32_e64 v39, v37, v9, s5
	v_cndmask_b32_e64 v27, v9, v37, s5
	s_and_b32 s5, vcc_lo, s5
	s_delay_alu instid0(VALU_DEP_2) | instskip(NEXT) | instid1(VALU_DEP_1)
	v_cmp_nlt_f32_e64 s6, v39, v34
	v_cndmask_b32_e64 v40, v39, v34, s6
	s_delay_alu instid0(VALU_DEP_1) | instskip(NEXT) | instid1(VALU_DEP_1)
	v_cmp_nlt_f32_e64 s7, v40, v30
	v_dual_cndmask_b32 v37, v40, v30, s7 :: v_dual_cndmask_b32 v9, v34, v39, s6
	s_and_b32 s37, s6, s7
	v_cndmask_b32_e64 v34, v30, v40, s7
	s_delay_alu instid0(VALU_DEP_2) | instskip(NEXT) | instid1(VALU_DEP_1)
	v_cmp_nlt_f32_e64 s8, v37, v31
	v_dual_cndmask_b32 v39, v37, v31, s8 :: v_dual_cndmask_b32 v30, v31, v37, s8
	s_delay_alu instid0(VALU_DEP_1) | instskip(NEXT) | instid1(VALU_DEP_1)
	v_cmp_nlt_f32_e64 s9, v39, v33
	v_cndmask_b32_e64 v41, v39, v33, s9
	s_and_b32 s8, s8, s9
	v_cndmask_b32_e64 v31, v33, v39, s9
	s_delay_alu instid0(VALU_DEP_2) | instskip(NEXT) | instid1(VALU_DEP_1)
	v_cmp_nlt_f32_e64 s10, v41, v36
	v_cndmask_b32_e64 v42, v41, v36, s10
	s_and_b32 s8, s8, s10
	s_delay_alu instid0(VALU_DEP_1) | instskip(NEXT) | instid1(VALU_DEP_1)
	v_cmp_nlt_f32_e64 s11, v42, v32
	v_cndmask_b32_e64 v40, v42, v32, s11
	s_and_b32 s9, s8, s11
	s_delay_alu instid0(VALU_DEP_1) | instskip(NEXT) | instid1(VALU_DEP_1)
	v_cmp_nlt_f32_e64 s6, v40, v35
	v_cndmask_b32_e64 v37, v40, v35, s6
	v_cndmask_b32_e64 v33, v36, v41, s10
	v_dual_cndmask_b32 v36, v32, v42, s11 :: v_dual_cndmask_b32 v32, v35, v40, s6
	s_and_b32 s6, s9, s6
	s_delay_alu instid0(VALU_DEP_3) | instskip(NEXT) | instid1(VALU_DEP_1)
	v_cmp_nlt_f32_e64 s7, v37, v28
	v_cndmask_b32_e64 v39, v37, v28, s7
	s_and_b32 s6, s6, s7
	v_cndmask_b32_e64 v35, v28, v37, s7
	s_delay_alu instid0(VALU_DEP_2)
	v_cmp_nlt_f32_e64 s8, v39, v29
	s_and_b32 s6, s6, s8
	v_cndmask_b32_e64 v28, v29, v39, s8
	s_and_b32 s6, s6, s37
	v_cndmask_b32_e64 v29, v39, v29, s8
	s_and_b32 s5, s6, s5
	s_delay_alu instid0(SALU_CYCLE_1) | instskip(NEXT) | instid1(SALU_CYCLE_1)
	s_and_b32 s5, exec_lo, s5
	s_or_b32 s36, s5, s36
	s_delay_alu instid0(SALU_CYCLE_1)
	s_and_not1_b32 exec_lo, exec_lo, s36
	s_cbranch_execnz .LBB192_164
; %bb.165:                              ;   in Loop: Header=BB192_145 Depth=1
	s_or_b32 exec_lo, exec_lo, s36
	v_add_f32_e32 v26, -1.0, v26
	v_cmp_class_f32_e64 s6, v24, 0x204
	s_delay_alu instid0(VALU_DEP_2) | instskip(NEXT) | instid1(VALU_DEP_1)
	v_add_f32_e32 v26, v26, v27
	v_add_f32_e32 v9, v26, v9
	s_delay_alu instid0(VALU_DEP_1) | instskip(NEXT) | instid1(VALU_DEP_1)
	v_add_f32_e32 v9, v9, v34
	v_add_f32_e32 v9, v9, v30
	s_delay_alu instid0(VALU_DEP_1) | instskip(NEXT) | instid1(VALU_DEP_1)
	;; [unrolled: 3-line block ×5, first 2 shown]
	v_add_f32_e32 v26, v29, v9
	v_add_f32_e32 v29, 1.0, v26
	s_delay_alu instid0(VALU_DEP_1) | instskip(SKIP_2) | instid1(VALU_DEP_2)
	v_cvt_f64_f32_e32 v[30:31], v29
	v_frexp_mant_f32_e32 v28, v29
	v_add_f32_e32 v27, -1.0, v29
	v_cmp_gt_f32_e32 vcc_lo, 0x3f2aaaab, v28
	s_delay_alu instid0(VALU_DEP_2) | instskip(SKIP_1) | instid1(VALU_DEP_1)
	v_mov_b32_e32 v28, v27
	v_frexp_exp_i32_f64_e32 v9, v[30:31]
	v_subrev_co_ci_u32_e64 v9, null, 0, v9, vcc_lo
	s_delay_alu instid0(VALU_DEP_1) | instskip(NEXT) | instid1(VALU_DEP_4)
	v_sub_nc_u32_e32 v32, 0, v9
	v_pk_add_f32 v[30:31], v[26:27], v[28:29] neg_lo:[0,1] neg_hi:[0,1]
	v_cmp_neq_f32_e32 vcc_lo, 0x7f800000, v26
	v_cmp_neq_f32_e64 s5, -1.0, v26
	s_delay_alu instid0(VALU_DEP_4) | instskip(NEXT) | instid1(VALU_DEP_4)
	v_ldexp_f32 v27, v29, v32
	v_add_f32_e32 v28, 1.0, v31
	s_delay_alu instid0(VALU_DEP_1) | instskip(NEXT) | instid1(VALU_DEP_1)
	v_dual_add_f32 v31, 1.0, v27 :: v_dual_add_f32 v28, v30, v28
	v_add_f32_e32 v29, -1.0, v31
	v_add_f32_e32 v33, -1.0, v27
	s_delay_alu instid0(VALU_DEP_3) | instskip(NEXT) | instid1(VALU_DEP_3)
	v_ldexp_f32 v28, v28, v32
	v_sub_f32_e32 v29, v27, v29
	s_delay_alu instid0(VALU_DEP_1) | instskip(NEXT) | instid1(VALU_DEP_1)
	v_add_f32_e32 v32, v28, v29
	v_dual_add_f32 v30, 1.0, v33 :: v_dual_add_f32 v34, v31, v32
	s_delay_alu instid0(VALU_DEP_1) | instskip(NEXT) | instid1(VALU_DEP_2)
	v_sub_f32_e32 v27, v27, v30
	v_rcp_f32_e32 v35, v34
	s_delay_alu instid0(VALU_DEP_1) | instskip(SKIP_1) | instid1(VALU_DEP_1)
	v_add_f32_e32 v27, v28, v27
	v_sub_f32_e32 v28, v34, v31
	v_dual_add_f32 v29, v33, v27 :: v_dual_sub_f32 v37, v32, v28
	s_delay_alu instid0(TRANS32_DEP_1) | instid1(VALU_DEP_1)
	v_mul_f32_e32 v36, v29, v35
	s_delay_alu instid0(VALU_DEP_1) | instskip(NEXT) | instid1(VALU_DEP_1)
	v_mul_f32_e32 v30, v34, v36
	v_fma_f32 v32, v36, v34, -v30
	s_delay_alu instid0(VALU_DEP_1) | instskip(NEXT) | instid1(VALU_DEP_1)
	v_fmac_f32_e32 v32, v36, v37
	v_dual_add_f32 v28, v30, v32 :: v_dual_sub_f32 v39, v29, v33
	s_delay_alu instid0(VALU_DEP_1) | instskip(NEXT) | instid1(VALU_DEP_2)
	v_dual_mov_b32 v33, v28 :: v_dual_sub_f32 v31, v29, v28
	v_sub_f32_e32 v27, v27, v39
	s_delay_alu instid0(VALU_DEP_2) | instskip(NEXT) | instid1(VALU_DEP_1)
	v_pk_add_f32 v[28:29], v[28:29], v[30:31] neg_lo:[0,1] neg_hi:[0,1]
	v_pk_add_f32 v[28:29], v[28:29], v[32:33] neg_lo:[0,1] neg_hi:[0,1]
	s_delay_alu instid0(VALU_DEP_1) | instskip(NEXT) | instid1(VALU_DEP_1)
	v_add_f32_e32 v27, v27, v29
	v_add_f32_e32 v27, v28, v27
	s_delay_alu instid0(VALU_DEP_1) | instskip(NEXT) | instid1(VALU_DEP_1)
	v_add_f32_e32 v29, v31, v27
	v_mul_f32_e32 v39, v35, v29
	s_delay_alu instid0(VALU_DEP_1) | instskip(NEXT) | instid1(VALU_DEP_1)
	v_mul_f32_e32 v32, v34, v39
	v_fma_f32 v30, v39, v34, -v32
	v_sub_f32_e32 v34, v31, v29
	s_delay_alu instid0(VALU_DEP_2) | instskip(NEXT) | instid1(VALU_DEP_2)
	v_fmac_f32_e32 v30, v39, v37
	v_dual_add_f32 v27, v27, v34 :: v_dual_add_f32 v34, v36, v39
	s_delay_alu instid0(VALU_DEP_2) | instskip(NEXT) | instid1(VALU_DEP_1)
	v_add_f32_e32 v28, v32, v30
	v_dual_mov_b32 v31, v28 :: v_dual_sub_f32 v33, v29, v28
	s_delay_alu instid0(VALU_DEP_1) | instskip(NEXT) | instid1(VALU_DEP_1)
	v_pk_add_f32 v[28:29], v[28:29], v[32:33] neg_lo:[0,1] neg_hi:[0,1]
	v_pk_add_f32 v[28:29], v[28:29], v[30:31] neg_lo:[0,1] neg_hi:[0,1]
	s_delay_alu instid0(VALU_DEP_1) | instskip(NEXT) | instid1(VALU_DEP_1)
	v_add_f32_e32 v27, v27, v29
	v_dual_add_f32 v27, v28, v27 :: v_dual_sub_f32 v28, v34, v36
	s_delay_alu instid0(VALU_DEP_1) | instskip(NEXT) | instid1(VALU_DEP_1)
	v_dual_add_f32 v27, v33, v27 :: v_dual_sub_f32 v28, v39, v28
	v_mul_f32_e32 v27, v35, v27
	s_delay_alu instid0(VALU_DEP_1) | instskip(SKIP_1) | instid1(VALU_DEP_2)
	v_add_f32_e32 v27, v28, v27
	v_cvt_f32_i32_e32 v28, v9
	v_add_f32_e32 v35, v34, v27
	s_delay_alu instid0(VALU_DEP_1) | instskip(NEXT) | instid1(VALU_DEP_1)
	v_mul_f32_e32 v30, v35, v35
	v_fmaak_f32 v31, s27, v30, 0x3ecc95a3
	v_mul_f32_e32 v29, v35, v30
	s_delay_alu instid0(VALU_DEP_2) | instskip(NEXT) | instid1(VALU_DEP_1)
	v_fmaak_f32 v9, v30, v31, 0x3f2aaada
	v_pk_mul_f32 v[30:31], v[28:29], v[8:9]
	v_sub_f32_e32 v9, v35, v34
	s_delay_alu instid0(VALU_DEP_2) | instskip(NEXT) | instid1(VALU_DEP_2)
	v_fma_f32 v32, 0x3f317218, v28, -v30
	v_sub_f32_e32 v9, v27, v9
	v_ldexp_f32 v33, v35, 1
	v_mov_b32_e32 v34, v30
	s_delay_alu instid0(VALU_DEP_4) | instskip(NEXT) | instid1(VALU_DEP_4)
	v_fmac_f32_e32 v32, 0xb102e308, v28
	v_ldexp_f32 v9, v9, 1
	s_delay_alu instid0(VALU_DEP_2) | instskip(NEXT) | instid1(VALU_DEP_1)
	v_pk_add_f32 v[28:29], v[30:31], v[32:33]
	v_dual_sub_f32 v27, v29, v33 :: v_dual_mov_b32 v33, v28
	s_delay_alu instid0(VALU_DEP_1) | instskip(SKIP_1) | instid1(VALU_DEP_2)
	v_dual_mov_b32 v44, v29 :: v_dual_sub_f32 v27, v31, v27
	v_pk_add_f32 v[30:31], v[28:29], v[30:31] neg_lo:[0,1] neg_hi:[0,1]
	v_add_f32_e32 v35, v9, v27
	v_max_num_f32_e64 v9, |v25|, |v25|
	v_max_num_f32_e64 v27, |v24|, |v24|
	s_delay_alu instid0(VALU_DEP_1) | instskip(NEXT) | instid1(VALU_DEP_4)
	v_max_num_f32_e32 v39, v27, v9
	v_pk_add_f32 v[36:37], v[28:29], v[34:35]
	v_min_num_f32_e32 v9, v27, v9
	s_delay_alu instid0(VALU_DEP_3) | instskip(NEXT) | instid1(VALU_DEP_3)
	v_frexp_exp_i32_f32_e32 v27, v39
	v_mov_b32_e32 v31, v37
	v_frexp_mant_f32_e32 v39, v39
	s_delay_alu instid0(VALU_DEP_4) | instskip(NEXT) | instid1(VALU_DEP_3)
	v_frexp_mant_f32_e32 v46, v9
	v_pk_add_f32 v[40:41], v[32:33], v[30:31]
	v_frexp_exp_i32_f32_e32 v40, v9
	s_delay_alu instid0(VALU_DEP_4) | instskip(SKIP_1) | instid1(VALU_DEP_2)
	v_rcp_f32_e32 v39, v39
	v_pk_add_f32 v[30:31], v[32:33], v[30:31] neg_lo:[0,1] neg_hi:[0,1]
	v_dual_mov_b32 v34, v41 :: v_dual_sub_nc_u32 v27, v40, v27
	s_delay_alu instid0(TRANS32_DEP_1) | instskip(NEXT) | instid1(VALU_DEP_2)
	v_mul_f32_e32 v31, v46, v39
	v_pk_add_f32 v[42:43], v[34:35], v[28:29] neg_lo:[0,1] neg_hi:[0,1]
	v_dual_mov_b32 v40, v37 :: v_dual_mov_b32 v29, v28
	s_delay_alu instid0(VALU_DEP_2) | instskip(SKIP_1) | instid1(VALU_DEP_2)
	v_dual_mov_b32 v28, v35 :: v_dual_mov_b32 v45, v42
	v_mov_b32_e32 v9, v42
	v_pk_add_f32 v[32:33], v[40:41], v[44:45] neg_lo:[0,1] neg_hi:[0,1]
	s_delay_alu instid0(VALU_DEP_2) | instskip(SKIP_2) | instid1(VALU_DEP_4)
	v_pk_add_f32 v[36:37], v[36:37], v[8:9] neg_lo:[0,1] neg_hi:[0,1]
	v_mov_b32_e32 v36, v30
	v_ldexp_f32 v9, v31, v27
	v_pk_add_f32 v[28:29], v[28:29], v[32:33] neg_lo:[0,1] neg_hi:[0,1]
	s_delay_alu instid0(VALU_DEP_2) | instskip(NEXT) | instid1(VALU_DEP_2)
	v_mul_f32_e32 v27, v9, v9
	v_pk_add_f32 v[32:33], v[36:37], v[28:29]
	s_delay_alu instid0(VALU_DEP_1) | instskip(NEXT) | instid1(VALU_DEP_1)
	v_dual_fmaak_f32 v29, s28, v27, 0xbc7a590c :: v_dual_mov_b32 v36, v33
	v_pk_add_f32 v[36:37], v[32:33], v[36:37]
	s_delay_alu instid0(VALU_DEP_1) | instskip(NEXT) | instid1(VALU_DEP_1)
	v_pk_add_f32 v[34:35], v[34:35], v[36:37]
	v_dual_mov_b32 v31, v41 :: v_dual_mov_b32 v33, v34
	s_delay_alu instid0(VALU_DEP_1) | instskip(NEXT) | instid1(VALU_DEP_1)
	v_pk_add_f32 v[40:41], v[32:33], v[30:31] neg_lo:[0,1] neg_hi:[0,1]
	v_dual_fmaak_f32 v29, v27, v29, 0x3d29fb3f :: v_dual_sub_f32 v32, v32, v40
	s_delay_alu instid0(VALU_DEP_1) | instskip(NEXT) | instid1(VALU_DEP_1)
	v_dual_fmaak_f32 v29, v27, v29, 0xbd97d4d7 :: v_dual_sub_f32 v30, v30, v32
	v_fmaak_f32 v29, v27, v29, 0x3dd931b2
	s_delay_alu instid0(VALU_DEP_1) | instskip(SKIP_1) | instid1(VALU_DEP_1)
	v_fmaak_f32 v31, v27, v29, 0xbe1160e6
	v_mov_b32_e32 v29, v36
	v_pk_add_f32 v[28:29], v[28:29], v[40:41] neg_lo:[0,1] neg_hi:[0,1]
	s_delay_alu instid0(VALU_DEP_1) | instskip(NEXT) | instid1(VALU_DEP_1)
	v_add_f32_e32 v28, v28, v30
	v_dual_add_f32 v28, v28, v29 :: v_dual_fmaak_f32 v31, v27, v31, 0x3e4cb8bf
	s_delay_alu instid0(VALU_DEP_1) | instskip(NEXT) | instid1(VALU_DEP_1)
	v_fmaak_f32 v31, v27, v31, 0xbeaaaa62
	v_mul_f32_e32 v27, v27, v31
	s_delay_alu instid0(VALU_DEP_1) | instskip(NEXT) | instid1(VALU_DEP_1)
	v_dual_fmac_f32 v9, v9, v27 :: v_dual_add_f32 v27, v34, v28
	v_sub_f32_e32 v28, 0x3fc90fdb, v9
	s_delay_alu instid0(VALU_DEP_2) | instskip(SKIP_1) | instid1(VALU_DEP_3)
	v_cndmask_b32_e32 v27, 0x7f800000, v27, vcc_lo
	v_cmp_gt_i32_e32 vcc_lo, 0, v24
	v_cndmask_b32_e64 v9, v9, v28, s4
	v_cndmask_b32_e64 v28, 0, 0x40490fdb, vcc_lo
	v_cmp_ngt_f32_e32 vcc_lo, -1.0, v26
	s_delay_alu instid0(VALU_DEP_3) | instskip(SKIP_2) | instid1(VALU_DEP_2)
	v_sub_f32_e32 v29, 0x40490fdb, v9
	v_cndmask_b32_e32 v27, 0x7fc00000, v27, vcc_lo
	v_cmp_gt_f32_e32 vcc_lo, 0, v24
	v_cndmask_b32_e64 v24, 0xff800000, v27, s5
	s_delay_alu instid0(VALU_DEP_4)
	v_cndmask_b32_e32 v9, v9, v29, vcc_lo
	v_cndmask_b32_e32 v29, 0x3f490fdb, v38, vcc_lo
	v_cmp_gt_f32_e64 vcc_lo, 0x33800000, |v26|
	v_cmp_class_f32_e64 s5, v25, 0x204
	v_cndmask_b32_e32 v24, v24, v26, vcc_lo
	v_cmp_eq_f32_e32 vcc_lo, 0, v25
	s_delay_alu instid0(VALU_DEP_2) | instskip(SKIP_2) | instid1(VALU_DEP_1)
	v_mul_f32_e32 v27, 0.5, v24
	v_cndmask_b32_e32 v9, v9, v28, vcc_lo
	s_and_b32 vcc_lo, s5, s6
	v_cndmask_b32_e32 v26, v9, v29, vcc_lo
.LBB192_166:                            ;   in Loop: Header=BB192_145 Depth=1
	s_or_b32 exec_lo, exec_lo, s35
.LBB192_167:                            ;   in Loop: Header=BB192_145 Depth=1
	s_delay_alu instid0(SALU_CYCLE_1)
	s_or_b32 exec_lo, exec_lo, s34
.LBB192_168:                            ;   in Loop: Header=BB192_145 Depth=1
	s_and_not1_saveexec_b32 s6, s33
	s_cbranch_execz .LBB192_170
; %bb.169:                              ;   in Loop: Header=BB192_145 Depth=1
	v_max_num_f32_e64 v9, |v25|, |v25|
	v_max_num_f32_e64 v28, |v24|, |v24|
	v_cmp_gt_i32_e64 s5, 0, v24
	v_cmp_class_f32_e64 s7, v24, 0x204
	v_cmp_class_f32_e64 s8, v25, 0x204
	s_delay_alu instid0(VALU_DEP_4) | instskip(NEXT) | instid1(VALU_DEP_1)
	v_dual_max_num_f32 v29, v28, v9 :: v_dual_min_num_f32 v9, v28, v9
	v_cvt_f64_f32_e32 v[26:27], v29
	v_frexp_exp_i32_f32_e32 v28, v29
	s_delay_alu instid0(VALU_DEP_3) | instskip(SKIP_4) | instid1(VALU_DEP_1)
	v_frexp_exp_i32_f32_e32 v30, v9
	v_frexp_mant_f32_e32 v9, v9
	v_cmp_neq_f32_e32 vcc_lo, 0x7f800000, v29
	v_frexp_exp_i32_f64_e32 v26, v[26:27]
	v_frexp_mant_f32_e32 v27, v29
	v_rcp_f32_e32 v27, v27
	v_nop
	s_delay_alu instid0(TRANS32_DEP_1) | instskip(NEXT) | instid1(VALU_DEP_1)
	v_dual_mul_f32 v9, v9, v27 :: v_dual_sub_nc_u32 v28, v30, v28
	v_ldexp_f32 v9, v9, v28
	s_delay_alu instid0(VALU_DEP_1) | instskip(NEXT) | instid1(VALU_DEP_1)
	v_dual_mul_f32 v28, v9, v9 :: v_dual_sub_nc_u32 v27, 0, v26
	v_ldexp_f32 v30, |v25|, v27
	s_delay_alu instid0(VALU_DEP_2) | instskip(SKIP_1) | instid1(VALU_DEP_2)
	v_fmaak_f32 v31, s28, v28, 0xbc7a590c
	v_ldexp_f32 v27, |v24|, v27
	v_dual_mul_f32 v30, v30, v30 :: v_dual_fmaak_f32 v31, v28, v31, 0x3d29fb3f
	s_delay_alu instid0(VALU_DEP_1) | instskip(NEXT) | instid1(VALU_DEP_2)
	v_fmac_f32_e32 v30, v27, v27
	v_fmaak_f32 v27, v28, v31, 0xbd97d4d7
	s_delay_alu instid0(VALU_DEP_1) | instskip(NEXT) | instid1(VALU_DEP_3)
	v_fmaak_f32 v27, v28, v27, 0x3dd931b2
	v_sqrt_f32_e32 v30, v30
	s_delay_alu instid0(VALU_DEP_1) | instskip(NEXT) | instid1(TRANS32_DEP_1)
	v_fmaak_f32 v27, v28, v27, 0xbe1160e6
	v_ldexp_f32 v26, v30, v26
	s_delay_alu instid0(VALU_DEP_2) | instskip(NEXT) | instid1(VALU_DEP_1)
	v_fmaak_f32 v27, v28, v27, 0x3e4cb8bf
	v_fmaak_f32 v27, v28, v27, 0xbeaaaa62
	s_delay_alu instid0(VALU_DEP_1) | instskip(NEXT) | instid1(VALU_DEP_1)
	v_dual_cndmask_b32 v26, 0x7f800000, v26 :: v_dual_mul_f32 v27, v28, v27
	v_cmp_gt_f32_e32 vcc_lo, 0x800000, v26
	v_cndmask_b32_e64 v29, 0, 32, vcc_lo
	s_delay_alu instid0(VALU_DEP_1) | instskip(NEXT) | instid1(VALU_DEP_1)
	v_ldexp_f32 v26, v26, v29
	v_log_f32_e32 v26, v26
	v_fmac_f32_e32 v9, v9, v27
	s_delay_alu instid0(VALU_DEP_1) | instskip(NEXT) | instid1(TRANS32_DEP_1)
	v_sub_f32_e32 v28, 0x3fc90fdb, v9
	v_mul_f32_e32 v27, 0x3f317217, v26
	s_delay_alu instid0(VALU_DEP_2) | instskip(NEXT) | instid1(VALU_DEP_2)
	v_cndmask_b32_e64 v9, v9, v28, s4
	v_fma_f32 v27, 0x3f317217, v26, -v27
	v_cndmask_b32_e64 v28, 0, 0x40490fdb, s5
	v_cmp_gt_f32_e64 s5, 0, v24
	s_delay_alu instid0(VALU_DEP_4) | instskip(NEXT) | instid1(VALU_DEP_4)
	v_sub_f32_e32 v29, 0x40490fdb, v9
	v_fmac_f32_e32 v27, 0x3377d1cf, v26
	s_delay_alu instid0(VALU_DEP_3) | instskip(NEXT) | instid1(VALU_DEP_3)
	v_cndmask_b32_e64 v24, 0x3f490fdb, v38, s5
	v_cndmask_b32_e64 v9, v9, v29, s5
	s_delay_alu instid0(VALU_DEP_3) | instskip(SKIP_2) | instid1(VALU_DEP_3)
	v_fmac_f32_e32 v27, 0x3f317217, v26
	v_cndmask_b32_e64 v29, 0, 0x41b17218, vcc_lo
	v_cmp_gt_f32_e64 vcc_lo, 0x7f800000, |v26|
	v_cndmask_b32_e32 v26, v26, v27, vcc_lo
	v_cmp_eq_f32_e32 vcc_lo, 0, v25
	s_delay_alu instid0(VALU_DEP_2) | instskip(SKIP_1) | instid1(VALU_DEP_1)
	v_dual_sub_f32 v27, v26, v29 :: v_dual_cndmask_b32 v9, v9, v28, vcc_lo
	s_and_b32 vcc_lo, s8, s7
	v_cndmask_b32_e32 v26, v9, v24, vcc_lo
.LBB192_170:                            ;   in Loop: Header=BB192_145 Depth=1
	s_or_b32 exec_lo, exec_lo, s6
                                        ; implicit-def: $vgpr28
.LBB192_171:                            ;   in Loop: Header=BB192_145 Depth=1
	s_and_not1_saveexec_b32 s6, s31
	s_cbranch_execz .LBB192_177
; %bb.172:                              ;   in Loop: Header=BB192_145 Depth=1
                                        ; implicit-def: $vgpr27
                                        ; implicit-def: $vgpr26
	s_mov_b32 s5, exec_lo
	v_cmpx_ngt_f32_e32 0x1fec1e4a, v28
	s_xor_b32 s7, exec_lo, s5
	s_cbranch_execz .LBB192_174
; %bb.173:                              ;   in Loop: Header=BB192_145 Depth=1
	v_pk_mul_f32 v[26:27], v[28:29], v[28:29]
	v_max_num_f32_e64 v40, |v24|, |v24|
	v_cmp_class_f32_e64 s8, v24, 0x204
	s_delay_alu instid0(VALU_DEP_3) | instskip(SKIP_1) | instid1(VALU_DEP_2)
	v_add_f32_e32 v29, 1.0, v26
	v_cmp_neq_f32_e64 s5, 0x7f800000, v26
	v_frexp_mant_f32_e32 v28, v29
	v_add_f32_e32 v27, -1.0, v29
	s_delay_alu instid0(VALU_DEP_2) | instskip(NEXT) | instid1(VALU_DEP_2)
	v_cmp_gt_f32_e32 vcc_lo, 0x3f2aaaab, v28
	v_mov_b32_e32 v28, v27
	v_cvt_f64_f32_e32 v[30:31], v29
	s_delay_alu instid0(VALU_DEP_1) | instskip(NEXT) | instid1(VALU_DEP_3)
	v_frexp_exp_i32_f64_e32 v9, v[30:31]
	v_pk_add_f32 v[30:31], v[26:27], v[28:29] neg_lo:[0,1] neg_hi:[0,1]
	s_delay_alu instid0(VALU_DEP_1) | instskip(NEXT) | instid1(VALU_DEP_3)
	v_add_f32_e32 v28, 1.0, v31
	v_subrev_co_ci_u32_e64 v9, null, 0, v9, vcc_lo
	v_cmp_gt_i32_e32 vcc_lo, 0, v24
	s_delay_alu instid0(VALU_DEP_2) | instskip(NEXT) | instid1(VALU_DEP_1)
	v_sub_nc_u32_e32 v32, 0, v9
	v_ldexp_f32 v27, v29, v32
	s_delay_alu instid0(VALU_DEP_1) | instskip(NEXT) | instid1(VALU_DEP_1)
	v_dual_add_f32 v31, 1.0, v27 :: v_dual_add_f32 v28, v30, v28
	v_add_f32_e32 v29, -1.0, v31
	v_add_f32_e32 v33, -1.0, v27
	s_delay_alu instid0(VALU_DEP_3) | instskip(NEXT) | instid1(VALU_DEP_3)
	v_ldexp_f32 v28, v28, v32
	v_sub_f32_e32 v29, v27, v29
	s_delay_alu instid0(VALU_DEP_1) | instskip(NEXT) | instid1(VALU_DEP_1)
	v_add_f32_e32 v32, v28, v29
	v_dual_add_f32 v30, 1.0, v33 :: v_dual_add_f32 v34, v31, v32
	s_delay_alu instid0(VALU_DEP_1) | instskip(NEXT) | instid1(VALU_DEP_2)
	v_sub_f32_e32 v27, v27, v30
	v_rcp_f32_e32 v35, v34
	s_delay_alu instid0(VALU_DEP_1) | instskip(NEXT) | instid1(VALU_DEP_1)
	v_dual_add_f32 v27, v28, v27 :: v_dual_sub_f32 v28, v31, v34
	v_dual_add_f32 v29, v33, v27 :: v_dual_add_f32 v37, v32, v28
	s_delay_alu instid0(TRANS32_DEP_1) | instid1(VALU_DEP_1)
	v_mul_f32_e32 v36, v29, v35
	s_delay_alu instid0(VALU_DEP_1) | instskip(NEXT) | instid1(VALU_DEP_1)
	v_dual_mul_f32 v30, v34, v36 :: v_dual_sub_f32 v39, v33, v29
	v_dual_fma_f32 v32, v36, v34, -v30 :: v_dual_add_f32 v27, v27, v39
	s_delay_alu instid0(VALU_DEP_1) | instskip(NEXT) | instid1(VALU_DEP_1)
	v_fmac_f32_e32 v32, v36, v37
	v_add_f32_e32 v28, v30, v32
	s_delay_alu instid0(VALU_DEP_1) | instskip(NEXT) | instid1(VALU_DEP_1)
	v_dual_sub_f32 v31, v29, v28 :: v_dual_mov_b32 v33, v28
	v_pk_add_f32 v[28:29], v[28:29], v[30:31] neg_lo:[0,1] neg_hi:[0,1]
	s_delay_alu instid0(VALU_DEP_1) | instskip(NEXT) | instid1(VALU_DEP_1)
	v_pk_add_f32 v[28:29], v[28:29], v[32:33] neg_lo:[0,1] neg_hi:[0,1]
	v_add_f32_e32 v27, v27, v29
	s_delay_alu instid0(VALU_DEP_1) | instskip(NEXT) | instid1(VALU_DEP_1)
	v_add_f32_e32 v27, v28, v27
	v_add_f32_e32 v29, v31, v27
	s_delay_alu instid0(VALU_DEP_1) | instskip(NEXT) | instid1(VALU_DEP_1)
	v_mul_f32_e32 v39, v35, v29
	v_mul_f32_e32 v32, v34, v39
	s_delay_alu instid0(VALU_DEP_1) | instskip(NEXT) | instid1(VALU_DEP_1)
	v_fma_f32 v30, v39, v34, -v32
	v_fmac_f32_e32 v30, v39, v37
	s_delay_alu instid0(VALU_DEP_1) | instskip(NEXT) | instid1(VALU_DEP_1)
	v_dual_add_f32 v28, v32, v30 :: v_dual_sub_f32 v34, v31, v29
	v_dual_mov_b32 v31, v28 :: v_dual_sub_f32 v33, v29, v28
	s_delay_alu instid0(VALU_DEP_2) | instskip(NEXT) | instid1(VALU_DEP_2)
	v_dual_add_f32 v27, v27, v34 :: v_dual_add_f32 v34, v36, v39
	v_pk_add_f32 v[28:29], v[28:29], v[32:33] neg_lo:[0,1] neg_hi:[0,1]
	s_delay_alu instid0(VALU_DEP_1) | instskip(NEXT) | instid1(VALU_DEP_1)
	v_pk_add_f32 v[28:29], v[28:29], v[30:31] neg_lo:[0,1] neg_hi:[0,1]
	v_add_f32_e32 v27, v27, v29
	s_delay_alu instid0(VALU_DEP_1) | instskip(NEXT) | instid1(VALU_DEP_1)
	v_dual_add_f32 v27, v28, v27 :: v_dual_sub_f32 v28, v34, v36
	v_dual_sub_f32 v28, v39, v28 :: v_dual_add_f32 v27, v33, v27
	v_max_num_f32_e64 v39, |v25|, |v25|
	s_delay_alu instid0(VALU_DEP_2) | instskip(NEXT) | instid1(VALU_DEP_1)
	v_mul_f32_e32 v27, v35, v27
	v_add_f32_e32 v27, v28, v27
	v_cvt_f32_i32_e32 v28, v9
	s_delay_alu instid0(VALU_DEP_2) | instskip(NEXT) | instid1(VALU_DEP_1)
	v_add_f32_e32 v35, v34, v27
	v_mul_f32_e32 v30, v35, v35
	s_delay_alu instid0(VALU_DEP_1) | instskip(SKIP_1) | instid1(VALU_DEP_2)
	v_fmaak_f32 v31, s27, v30, 0x3ecc95a3
	v_mul_f32_e32 v29, v35, v30
	v_fmaak_f32 v9, v30, v31, 0x3f2aaada
	s_delay_alu instid0(VALU_DEP_1) | instskip(SKIP_1) | instid1(VALU_DEP_2)
	v_pk_mul_f32 v[30:31], v[28:29], v[8:9]
	v_sub_f32_e32 v9, v35, v34
	v_fma_f32 v32, 0x3f317218, v28, -v30
	s_delay_alu instid0(VALU_DEP_2) | instskip(SKIP_2) | instid1(VALU_DEP_4)
	v_sub_f32_e32 v9, v27, v9
	v_ldexp_f32 v33, v35, 1
	v_mov_b32_e32 v34, v30
	v_fmac_f32_e32 v32, 0xb102e308, v28
	s_delay_alu instid0(VALU_DEP_4) | instskip(NEXT) | instid1(VALU_DEP_2)
	v_ldexp_f32 v9, v9, 1
	v_pk_add_f32 v[28:29], v[30:31], v[32:33]
	s_delay_alu instid0(VALU_DEP_1) | instskip(NEXT) | instid1(VALU_DEP_1)
	v_dual_sub_f32 v27, v29, v33 :: v_dual_mov_b32 v33, v28
	v_dual_mov_b32 v44, v29 :: v_dual_sub_f32 v27, v31, v27
	v_pk_add_f32 v[30:31], v[28:29], v[30:31] neg_lo:[0,1] neg_hi:[0,1]
	s_delay_alu instid0(VALU_DEP_2) | instskip(NEXT) | instid1(VALU_DEP_1)
	v_add_f32_e32 v35, v9, v27
	v_pk_add_f32 v[36:37], v[28:29], v[34:35]
	v_dual_max_num_f32 v9, v40, v39 :: v_dual_min_num_f32 v34, v40, v39
	s_delay_alu instid0(VALU_DEP_2) | instskip(NEXT) | instid1(VALU_DEP_2)
	v_mov_b32_e32 v31, v37
	v_frexp_mant_f32_e32 v27, v9
	v_frexp_exp_i32_f32_e32 v9, v9
	s_delay_alu instid0(VALU_DEP_4) | instskip(NEXT) | instid1(VALU_DEP_4)
	v_frexp_exp_i32_f32_e32 v39, v34
	v_pk_add_f32 v[40:41], v[32:33], v[30:31]
	v_frexp_mant_f32_e32 v40, v34
	v_rcp_f32_e32 v27, v27
	s_delay_alu instid0(VALU_DEP_3) | instskip(SKIP_1) | instid1(TRANS32_DEP_1)
	v_sub_nc_u32_e32 v9, v39, v9
	v_pk_add_f32 v[30:31], v[32:33], v[30:31] neg_lo:[0,1] neg_hi:[0,1]
	v_dual_mov_b32 v34, v41 :: v_dual_mul_f32 v27, v40, v27
	v_mov_b32_e32 v40, v37
	s_delay_alu instid0(VALU_DEP_2) | instskip(SKIP_1) | instid1(VALU_DEP_4)
	v_pk_add_f32 v[42:43], v[34:35], v[28:29] neg_lo:[0,1] neg_hi:[0,1]
	v_dual_mov_b32 v29, v28 :: v_dual_mov_b32 v28, v35
	v_ldexp_f32 v27, v27, v9
	s_delay_alu instid0(VALU_DEP_3) | instskip(NEXT) | instid1(VALU_DEP_2)
	v_dual_mov_b32 v45, v42 :: v_dual_mov_b32 v9, v42
	v_mul_f32_e32 v39, v27, v27
	s_delay_alu instid0(VALU_DEP_2) | instskip(NEXT) | instid1(VALU_DEP_3)
	v_pk_add_f32 v[32:33], v[40:41], v[44:45] neg_lo:[0,1] neg_hi:[0,1]
	v_pk_add_f32 v[36:37], v[36:37], v[8:9] neg_lo:[0,1] neg_hi:[0,1]
	v_mov_b32_e32 v36, v30
	s_delay_alu instid0(VALU_DEP_3) | instskip(NEXT) | instid1(VALU_DEP_1)
	v_pk_add_f32 v[28:29], v[28:29], v[32:33] neg_lo:[0,1] neg_hi:[0,1]
	v_pk_add_f32 v[32:33], v[36:37], v[28:29]
	s_delay_alu instid0(VALU_DEP_1) | instskip(NEXT) | instid1(VALU_DEP_1)
	v_dual_fmaak_f32 v9, s28, v39, 0xbc7a590c :: v_dual_mov_b32 v36, v33
	v_pk_add_f32 v[36:37], v[32:33], v[36:37]
	s_delay_alu instid0(VALU_DEP_1) | instskip(NEXT) | instid1(VALU_DEP_1)
	v_pk_add_f32 v[34:35], v[34:35], v[36:37]
	v_dual_mov_b32 v31, v41 :: v_dual_mov_b32 v33, v34
	s_delay_alu instid0(VALU_DEP_1) | instskip(NEXT) | instid1(VALU_DEP_1)
	v_pk_add_f32 v[40:41], v[32:33], v[30:31] neg_lo:[0,1] neg_hi:[0,1]
	v_sub_f32_e32 v31, v32, v40
	s_delay_alu instid0(VALU_DEP_1) | instskip(NEXT) | instid1(VALU_DEP_1)
	v_dual_fmaak_f32 v9, v39, v9, 0x3d29fb3f :: v_dual_sub_f32 v30, v30, v31
	v_fmaak_f32 v9, v39, v9, 0xbd97d4d7
	s_delay_alu instid0(VALU_DEP_1) | instskip(NEXT) | instid1(VALU_DEP_1)
	v_fmaak_f32 v9, v39, v9, 0x3dd931b2
	v_fmaak_f32 v9, v39, v9, 0xbe1160e6
	s_delay_alu instid0(VALU_DEP_1) | instskip(NEXT) | instid1(VALU_DEP_1)
	v_fmaak_f32 v9, v39, v9, 0x3e4cb8bf
	v_fmaak_f32 v9, v39, v9, 0xbeaaaa62
	s_delay_alu instid0(VALU_DEP_1) | instskip(NEXT) | instid1(VALU_DEP_1)
	v_dual_mov_b32 v29, v36 :: v_dual_mul_f32 v9, v39, v9
	v_pk_add_f32 v[28:29], v[28:29], v[40:41] neg_lo:[0,1] neg_hi:[0,1]
	s_delay_alu instid0(VALU_DEP_1) | instskip(NEXT) | instid1(VALU_DEP_1)
	v_dual_fmac_f32 v27, v27, v9 :: v_dual_add_f32 v9, v28, v30
	v_dual_sub_f32 v28, 0x3fc90fdb, v27 :: v_dual_add_f32 v9, v9, v29
	s_delay_alu instid0(VALU_DEP_1) | instskip(SKIP_1) | instid1(VALU_DEP_3)
	v_cndmask_b32_e64 v27, v27, v28, s4
	v_cndmask_b32_e64 v28, 0, 0x40490fdb, vcc_lo
	v_add_f32_e32 v9, v34, v9
	v_cmp_gt_f32_e32 vcc_lo, 0, v24
	s_delay_alu instid0(VALU_DEP_4) | instskip(NEXT) | instid1(VALU_DEP_3)
	v_sub_f32_e32 v29, 0x40490fdb, v27
	v_cndmask_b32_e64 v9, 0x7f800000, v9, s5
	v_cmp_class_f32_e64 s5, v25, 0x204
	s_delay_alu instid0(VALU_DEP_3) | instskip(SKIP_4) | instid1(VALU_DEP_2)
	v_cndmask_b32_e32 v24, v27, v29, vcc_lo
	v_cndmask_b32_e32 v29, 0x3f490fdb, v38, vcc_lo
	v_cmp_gt_f32_e64 vcc_lo, 0x33800000, |v26|
	v_cndmask_b32_e32 v9, v9, v26, vcc_lo
	v_cmp_eq_f32_e32 vcc_lo, 0, v25
	v_dual_mul_f32 v27, 0.5, v9 :: v_dual_cndmask_b32 v24, v24, v28
	s_and_b32 vcc_lo, s5, s8
                                        ; implicit-def: $vgpr28
	s_delay_alu instid0(VALU_DEP_1)
	v_cndmask_b32_e32 v26, v24, v29, vcc_lo
.LBB192_174:                            ;   in Loop: Header=BB192_145 Depth=1
	s_and_not1_saveexec_b32 s7, s7
	s_cbranch_execz .LBB192_176
; %bb.175:                              ;   in Loop: Header=BB192_145 Depth=1
	v_max_num_f32_e64 v9, |v25|, |v25|
	v_max_num_f32_e64 v26, |v24|, |v24|
	v_cmp_eq_f32_e64 s5, 0, v25
	v_cmp_gt_i32_e32 vcc_lo, 0, v24
	v_cmp_class_f32_e64 s8, v24, 0x204
	v_cmp_class_f32_e64 s9, v25, 0x204
	v_dual_max_num_f32 v27, v26, v9 :: v_dual_min_num_f32 v9, v26, v9
	s_delay_alu instid0(VALU_DEP_1) | instskip(SKIP_1) | instid1(VALU_DEP_2)
	v_frexp_mant_f32_e32 v29, v27
	v_frexp_exp_i32_f32_e32 v26, v27
	v_rcp_f32_e32 v27, v29
	v_nop
	v_frexp_exp_i32_f32_e32 v29, v9
	v_frexp_mant_f32_e32 v9, v9
	s_delay_alu instid0(VALU_DEP_2)
	v_sub_nc_u32_e32 v26, v29, v26
	s_delay_alu instid0(TRANS32_DEP_1) | instid1(VALU_DEP_2)
	v_mul_f32_e32 v9, v9, v27
	s_delay_alu instid0(VALU_DEP_1) | instskip(NEXT) | instid1(VALU_DEP_1)
	v_ldexp_f32 v9, v9, v26
	v_mul_f32_e32 v26, v9, v9
	s_delay_alu instid0(VALU_DEP_1) | instskip(NEXT) | instid1(VALU_DEP_1)
	v_fmaak_f32 v27, s28, v26, 0xbc7a590c
	v_fmaak_f32 v27, v26, v27, 0x3d29fb3f
	s_delay_alu instid0(VALU_DEP_1) | instskip(NEXT) | instid1(VALU_DEP_1)
	v_fmaak_f32 v27, v26, v27, 0xbd97d4d7
	v_fmaak_f32 v27, v26, v27, 0x3dd931b2
	;; [unrolled: 3-line block ×3, first 2 shown]
	s_delay_alu instid0(VALU_DEP_1) | instskip(NEXT) | instid1(VALU_DEP_1)
	v_fmaak_f32 v27, v26, v27, 0xbeaaaa62
	v_mul_f32_e32 v26, v26, v27
	v_cndmask_b32_e64 v27, 0, 0x40490fdb, vcc_lo
	v_cmp_gt_f32_e32 vcc_lo, 0, v24
	s_delay_alu instid0(VALU_DEP_3) | instskip(SKIP_1) | instid1(VALU_DEP_2)
	v_fmac_f32_e32 v9, v9, v26
	v_cndmask_b32_e32 v24, 0x3f490fdb, v38, vcc_lo
	v_sub_f32_e32 v26, 0x3fc90fdb, v9
	s_delay_alu instid0(VALU_DEP_1) | instskip(NEXT) | instid1(VALU_DEP_1)
	v_cndmask_b32_e64 v9, v9, v26, s4
	v_sub_f32_e32 v26, 0x40490fdb, v9
	s_delay_alu instid0(VALU_DEP_1) | instskip(SKIP_1) | instid1(VALU_DEP_1)
	v_dual_cndmask_b32 v9, v9, v26 :: v_dual_mul_f32 v26, 0.5, v28
	s_and_b32 vcc_lo, s9, s8
	v_dual_cndmask_b32 v9, v9, v27, s5 :: v_dual_mul_f32 v27, v28, v26
	s_delay_alu instid0(VALU_DEP_1)
	v_cndmask_b32_e32 v26, v9, v24, vcc_lo
.LBB192_176:                            ;   in Loop: Header=BB192_145 Depth=1
	s_or_b32 exec_lo, exec_lo, s7
.LBB192_177:                            ;   in Loop: Header=BB192_145 Depth=1
	s_delay_alu instid0(SALU_CYCLE_1)
	s_or_b32 exec_lo, exec_lo, s6
.LBB192_178:                            ;   in Loop: Header=BB192_145 Depth=1
	s_and_not1_saveexec_b32 s6, s30
	s_cbranch_execz .LBB192_180
; %bb.179:                              ;   in Loop: Header=BB192_145 Depth=1
	v_div_scale_f32 v9, null, 0x402df854, 0x402df854, v24
	v_div_scale_f32 v26, null, 0x402df854, 0x402df854, v25
	v_div_scale_f32 v31, vcc_lo, v24, 0x402df854, v24
	s_delay_alu instid0(VALU_DEP_3) | instskip(NEXT) | instid1(VALU_DEP_2)
	v_rcp_f32_e32 v27, v9
	v_rcp_f32_e32 v28, v26
	v_cmp_class_f32_e64 s7, v25, 0x204
	s_delay_alu instid0(TRANS32_DEP_2) | instskip(NEXT) | instid1(TRANS32_DEP_1)
	v_fma_f32 v29, -v9, v27, 1.0
	v_fma_f32 v30, -v26, v28, 1.0
	s_delay_alu instid0(VALU_DEP_1) | instskip(SKIP_1) | instid1(VALU_DEP_1)
	v_dual_fmac_f32 v27, v29, v27 :: v_dual_fmac_f32 v28, v30, v28
	v_div_scale_f32 v29, s5, v25, 0x402df854, v25
	v_dual_mul_f32 v30, v31, v27 :: v_dual_mul_f32 v32, v29, v28
	s_delay_alu instid0(VALU_DEP_1) | instskip(NEXT) | instid1(VALU_DEP_1)
	v_dual_fma_f32 v33, -v9, v30, v31 :: v_dual_fma_f32 v34, -v26, v32, v29
	v_dual_fmac_f32 v30, v33, v27 :: v_dual_fmac_f32 v32, v34, v28
	s_delay_alu instid0(VALU_DEP_1) | instskip(NEXT) | instid1(VALU_DEP_1)
	v_dual_fma_f32 v9, -v9, v30, v31 :: v_dual_fma_f32 v26, -v26, v32, v29
	v_div_fmas_f32 v9, v9, v27, v30
	s_mov_b32 vcc_lo, s5
	v_max_num_f32_e64 v30, |v24|, |v24|
	s_delay_alu instid0(VALU_DEP_3) | instskip(SKIP_2) | instid1(VALU_DEP_3)
	v_div_fmas_f32 v26, v26, v28, v32
	v_cmp_class_f32_e64 s5, v24, 0x204
	v_div_fixup_f32 v9, v9, 0x402df854, v24
	v_div_fixup_f32 v28, v26, 0x402df854, v25
	s_delay_alu instid0(VALU_DEP_1) | instskip(NEXT) | instid1(VALU_DEP_1)
	v_max_num_f32_e64 v29, |v9|, |v28|
	v_cvt_f64_f32_e32 v[26:27], v29
	v_cmp_neq_f32_e32 vcc_lo, 0x7f800000, v29
	s_delay_alu instid0(VALU_DEP_2) | instskip(SKIP_1) | instid1(VALU_DEP_1)
	v_frexp_exp_i32_f64_e32 v26, v[26:27]
	v_max_num_f32_e64 v27, |v25|, |v25|
	v_dual_max_num_f32 v31, v30, v27 :: v_dual_min_num_f32 v27, v30, v27
	s_delay_alu instid0(VALU_DEP_1) | instskip(SKIP_1) | instid1(VALU_DEP_2)
	v_frexp_mant_f32_e32 v32, v31
	v_frexp_exp_i32_f32_e32 v30, v31
	v_rcp_f32_e32 v31, v32
	v_nop
	v_frexp_exp_i32_f32_e32 v32, v27
	v_frexp_mant_f32_e32 v27, v27
	s_delay_alu instid0(TRANS32_DEP_1) | instid1(VALU_DEP_1)
	v_dual_mul_f32 v27, v27, v31 :: v_dual_sub_nc_u32 v30, v32, v30
	s_delay_alu instid0(VALU_DEP_1) | instskip(NEXT) | instid1(VALU_DEP_1)
	v_ldexp_f32 v27, v27, v30
	v_dual_mul_f32 v30, v27, v27 :: v_dual_sub_nc_u32 v31, 0, v26
	s_delay_alu instid0(VALU_DEP_1) | instskip(SKIP_1) | instid1(VALU_DEP_2)
	v_ldexp_f32 v28, |v28|, v31
	v_ldexp_f32 v9, |v9|, v31
	v_dual_fmaak_f32 v31, s28, v30, 0xbc7a590c :: v_dual_mul_f32 v28, v28, v28
	s_delay_alu instid0(VALU_DEP_1) | instskip(NEXT) | instid1(VALU_DEP_1)
	v_dual_fmac_f32 v28, v9, v9 :: v_dual_fmaak_f32 v9, v30, v31, 0x3d29fb3f
	v_sqrt_f32_e32 v28, v28
	s_delay_alu instid0(VALU_DEP_1) | instskip(NEXT) | instid1(VALU_DEP_1)
	v_fmaak_f32 v9, v30, v9, 0xbd97d4d7
	v_fmaak_f32 v9, v30, v9, 0x3dd931b2
	s_delay_alu instid0(TRANS32_DEP_1) | instskip(NEXT) | instid1(VALU_DEP_2)
	v_ldexp_f32 v26, v28, v26
	v_fmaak_f32 v9, v30, v9, 0xbe1160e6
	s_delay_alu instid0(VALU_DEP_1) | instskip(NEXT) | instid1(VALU_DEP_1)
	v_fmaak_f32 v9, v30, v9, 0x3e4cb8bf
	v_fmaak_f32 v9, v30, v9, 0xbeaaaa62
	s_delay_alu instid0(VALU_DEP_1) | instskip(NEXT) | instid1(VALU_DEP_1)
	v_dual_cndmask_b32 v26, 0x7f800000, v26 :: v_dual_mul_f32 v9, v30, v9
	v_cmp_gt_f32_e32 vcc_lo, 0x800000, v26
	s_delay_alu instid0(VALU_DEP_2) | instskip(SKIP_2) | instid1(VALU_DEP_2)
	v_fmac_f32_e32 v27, v27, v9
	v_cndmask_b32_e64 v28, 0, 32, vcc_lo
	v_cndmask_b32_e64 v30, 0, 0x41b17218, vcc_lo
	v_ldexp_f32 v26, v26, v28
	s_delay_alu instid0(VALU_DEP_1) | instskip(SKIP_1) | instid1(TRANS32_DEP_1)
	v_log_f32_e32 v26, v26
	v_nop
	v_mul_f32_e32 v28, 0x3f317217, v26
	v_cmp_gt_f32_e64 vcc_lo, 0x7f800000, |v26|
	s_delay_alu instid0(VALU_DEP_2) | instskip(NEXT) | instid1(VALU_DEP_1)
	v_fma_f32 v9, 0x3f317217, v26, -v28
	v_fmac_f32_e32 v9, 0x3377d1cf, v26
	s_delay_alu instid0(VALU_DEP_1) | instskip(NEXT) | instid1(VALU_DEP_1)
	v_fmac_f32_e32 v9, 0x3f317217, v26
	v_dual_sub_f32 v28, 0x3fc90fdb, v27 :: v_dual_cndmask_b32 v9, v26, v9
	s_delay_alu instid0(VALU_DEP_1) | instskip(SKIP_2) | instid1(VALU_DEP_4)
	v_cndmask_b32_e64 v27, v27, v28, s4
	v_cmp_gt_i32_e64 s4, 0, v24
	v_cmp_eq_f32_e32 vcc_lo, 0, v25
	v_sub_f32_e32 v9, v9, v30
	s_delay_alu instid0(VALU_DEP_4) | instskip(NEXT) | instid1(VALU_DEP_4)
	v_sub_f32_e32 v29, 0x40490fdb, v27
	v_cndmask_b32_e64 v28, 0, 0x40490fdb, s4
	v_cmp_gt_f32_e64 s4, 0, v24
	s_delay_alu instid0(VALU_DEP_1) | instskip(SKIP_1) | instid1(VALU_DEP_2)
	v_cndmask_b32_e64 v24, v27, v29, s4
	v_cndmask_b32_e64 v26, 0x3f490fdb, v38, s4
	v_dual_add_f32 v27, 1.0, v9 :: v_dual_cndmask_b32 v24, v24, v28
	s_and_b32 vcc_lo, s7, s5
	s_delay_alu instid0(VALU_DEP_1)
	v_cndmask_b32_e32 v26, v24, v26, vcc_lo
.LBB192_180:                            ;   in Loop: Header=BB192_145 Depth=1
	s_or_b32 exec_lo, exec_lo, s6
.LBB192_181:                            ;   in Loop: Header=BB192_145 Depth=1
	s_and_not1_saveexec_b32 s4, s29
	s_cbranch_execz .LBB192_187
; %bb.182:                              ;   in Loop: Header=BB192_145 Depth=1
	v_cmp_ngt_f32_e64 s5, 0x20000000, |v24|
	v_cmp_ngt_f32_e64 s6, 0x20000000, |v25|
                                        ; implicit-def: $vgpr9
	s_or_b32 s5, s6, s5
	s_delay_alu instid0(SALU_CYCLE_1) | instskip(NEXT) | instid1(SALU_CYCLE_1)
	s_and_saveexec_b32 s6, s5
	s_xor_b32 s5, exec_lo, s6
; %bb.183:                              ;   in Loop: Header=BB192_145 Depth=1
	v_pk_mul_f32 v[26:27], v[24:25], v[24:25]
	s_delay_alu instid0(VALU_DEP_1)
	v_add_f32_e32 v9, v27, v26
; %bb.184:                              ;   in Loop: Header=BB192_145 Depth=1
	s_and_not1_saveexec_b32 s5, s5
; %bb.185:                              ;   in Loop: Header=BB192_145 Depth=1
	v_pk_mul_f32 v[26:27], v[24:25], 4.0 op_sel_hi:[1,0]
	s_delay_alu instid0(VALU_DEP_1) | instskip(NEXT) | instid1(VALU_DEP_1)
	v_pk_mul_f32 v[26:27], v[26:27], v[26:27]
	v_add_f32_e32 v9, v27, v26
	s_delay_alu instid0(VALU_DEP_1)
	v_mul_f32_e32 v9, 0x3d800000, v9
; %bb.186:                              ;   in Loop: Header=BB192_145 Depth=1
	s_or_b32 exec_lo, exec_lo, s5
	s_delay_alu instid0(VALU_DEP_1) | instskip(SKIP_2) | instid1(VALU_DEP_2)
	v_cmp_gt_f32_e32 vcc_lo, 0x800000, v9
	v_cndmask_b32_e64 v24, 0, 32, vcc_lo
	v_cndmask_b32_e64 v26, 0, 0x41b17218, vcc_lo
	v_ldexp_f32 v9, v9, v24
	s_delay_alu instid0(VALU_DEP_1) | instskip(SKIP_1) | instid1(TRANS32_DEP_1)
	v_log_f32_e32 v9, v9
	v_nop
	v_mul_f32_e32 v24, 0x3f317217, v9
	v_cmp_gt_f32_e64 vcc_lo, 0x7f800000, |v9|
	s_delay_alu instid0(VALU_DEP_2) | instskip(NEXT) | instid1(VALU_DEP_1)
	v_fma_f32 v24, 0x3f317217, v9, -v24
	v_fmac_f32_e32 v24, 0x3377d1cf, v9
	s_delay_alu instid0(VALU_DEP_1) | instskip(NEXT) | instid1(VALU_DEP_1)
	v_fmac_f32_e32 v24, 0x3f317217, v9
	v_cndmask_b32_e32 v9, v9, v24, vcc_lo
	s_delay_alu instid0(VALU_DEP_1)
	v_dual_sub_f32 v27, v9, v26 :: v_dual_mov_b32 v26, 0x7fc00000
.LBB192_187:                            ;   in Loop: Header=BB192_145 Depth=1
	s_or_b32 exec_lo, exec_lo, s4
                                        ; implicit-def: $vgpr29
                                        ; implicit-def: $vgpr24
	s_delay_alu instid0(SALU_CYCLE_1)
	s_mov_b32 s4, exec_lo
	v_cmpx_o_f32_e32 v23, v22
	s_xor_b32 s29, exec_lo, s4
	s_cbranch_execz .LBB192_215
; %bb.188:                              ;   in Loop: Header=BB192_145 Depth=1
	v_cmp_lt_f32_e64 s4, |v22|, |v23|
                                        ; implicit-def: $vgpr29
                                        ; implicit-def: $vgpr24
	s_mov_b32 s6, exec_lo
	v_cndmask_b32_e64 v9, v23, v22, s4
	s_delay_alu instid0(VALU_DEP_1)
	v_cmpx_nlt_f32_e64 0x77f684df, |v9|
	s_xor_b32 s30, exec_lo, s6
	s_cbranch_execz .LBB192_212
; %bb.189:                              ;   in Loop: Header=BB192_145 Depth=1
	v_cndmask_b32_e64 v24, v22, v23, s4
	v_and_b32_e32 v30, 0x7fffffff, v9
                                        ; implicit-def: $vgpr29
	s_mov_b32 s5, exec_lo
	s_delay_alu instid0(VALU_DEP_2) | instskip(NEXT) | instid1(VALU_DEP_1)
	v_and_b32_e32 v31, 0x7fffffff, v24
                                        ; implicit-def: $vgpr24
	v_cmpx_neq_f32_e32 1.0, v31
	s_xor_b32 s31, exec_lo, s5
	s_cbranch_execz .LBB192_205
; %bb.190:                              ;   in Loop: Header=BB192_145 Depth=1
	v_dual_max_num_f32 v9, v30, v30 :: v_dual_max_num_f32 v24, v31, v31
                                        ; implicit-def: $vgpr29
	s_delay_alu instid0(VALU_DEP_1) | instskip(NEXT) | instid1(VALU_DEP_1)
	v_dual_min_num_f32 v28, v24, v9 :: v_dual_max_num_f32 v9, v24, v9
                                        ; implicit-def: $vgpr24
	v_cmp_ngt_f32_e32 vcc_lo, 0x358637bd, v28
	s_delay_alu instid0(VALU_DEP_2) | instskip(SKIP_1) | instid1(SALU_CYCLE_1)
	v_cmp_nlt_f32_e64 s5, 0x49742400, v9
	s_and_b32 s5, s5, vcc_lo
	s_and_saveexec_b32 s6, s5
	s_delay_alu instid0(SALU_CYCLE_1)
	s_xor_b32 s33, exec_lo, s6
	s_cbranch_execz .LBB192_202
; %bb.191:                              ;   in Loop: Header=BB192_145 Depth=1
                                        ; implicit-def: $vgpr29
                                        ; implicit-def: $vgpr24
	s_mov_b32 s5, exec_lo
	v_cmpx_le_f32_e32 1.0, v31
	s_xor_b32 s6, exec_lo, s5
	s_cbranch_execz .LBB192_193
; %bb.192:                              ;   in Loop: Header=BB192_145 Depth=1
	v_pk_add_f32 v[28:29], v[30:31], v[6:7] op_sel:[1,0]
	v_mov_b32_e32 v32, v30
	v_cmp_class_f32_e64 s7, v22, 0x204
	s_delay_alu instid0(VALU_DEP_3) | instskip(SKIP_1) | instid1(VALU_DEP_1)
	v_dual_mov_b32 v31, v28 :: v_dual_mov_b32 v33, v29
	v_mul_f32_e32 v24, v28, v29
	v_pk_fma_f32 v[28:29], v[30:31], v[32:33], v[24:25] op_sel_hi:[1,1,0]
	s_delay_alu instid0(VALU_DEP_1) | instskip(SKIP_1) | instid1(VALU_DEP_2)
	v_add_f32_e32 v31, 1.0, v28
	v_cmp_neq_f32_e64 s5, -1.0, v28
	v_add_f32_e32 v29, -1.0, v31
	s_delay_alu instid0(VALU_DEP_1) | instskip(SKIP_2) | instid1(VALU_DEP_1)
	v_mov_b32_e32 v30, v29
	v_cvt_f64_f32_e32 v[32:33], v31
	v_frexp_mant_f32_e32 v24, v31
	v_cmp_gt_f32_e32 vcc_lo, 0x3f2aaaab, v24
	s_delay_alu instid0(VALU_DEP_3) | instskip(NEXT) | instid1(VALU_DEP_1)
	v_frexp_exp_i32_f64_e32 v9, v[32:33]
	v_subrev_co_ci_u32_e64 v9, null, 0, v9, vcc_lo
	v_cmp_neq_f32_e32 vcc_lo, 0x7f800000, v28
	s_delay_alu instid0(VALU_DEP_2) | instskip(SKIP_1) | instid1(VALU_DEP_2)
	v_sub_nc_u32_e32 v24, 0, v9
	v_pk_add_f32 v[32:33], v[28:29], v[30:31] neg_lo:[0,1] neg_hi:[0,1]
	v_ldexp_f32 v29, v31, v24
	s_delay_alu instid0(VALU_DEP_2) | instskip(NEXT) | instid1(VALU_DEP_2)
	v_add_f32_e32 v30, 1.0, v33
	v_add_f32_e32 v33, 1.0, v29
	s_delay_alu instid0(VALU_DEP_1) | instskip(SKIP_1) | instid1(VALU_DEP_2)
	v_dual_add_f32 v31, -1.0, v33 :: v_dual_add_f32 v30, v32, v30
	v_add_f32_e32 v35, -1.0, v29
	v_ldexp_f32 v24, v30, v24
	s_delay_alu instid0(VALU_DEP_3) | instskip(NEXT) | instid1(VALU_DEP_1)
	v_sub_f32_e32 v30, v29, v31
	v_dual_add_f32 v31, 1.0, v35 :: v_dual_add_f32 v30, v24, v30
	s_delay_alu instid0(VALU_DEP_1) | instskip(NEXT) | instid1(VALU_DEP_1)
	v_sub_f32_e32 v29, v29, v31
	v_dual_add_f32 v36, v33, v30 :: v_dual_add_f32 v24, v24, v29
	s_delay_alu instid0(VALU_DEP_1) | instskip(NEXT) | instid1(VALU_DEP_1)
	v_rcp_f32_e32 v29, v36
	v_add_f32_e32 v31, v35, v24
	s_delay_alu instid0(TRANS32_DEP_1) | instid1(VALU_DEP_1)
	v_mul_f32_e32 v37, v31, v29
	s_delay_alu instid0(VALU_DEP_1) | instskip(NEXT) | instid1(VALU_DEP_1)
	v_mul_f32_e32 v32, v36, v37
	v_dual_sub_f32 v33, v36, v33 :: v_dual_fma_f32 v34, v37, v36, -v32
	s_delay_alu instid0(VALU_DEP_1) | instskip(NEXT) | instid1(VALU_DEP_1)
	v_sub_f32_e32 v39, v30, v33
	v_fmac_f32_e32 v34, v37, v39
	s_delay_alu instid0(VALU_DEP_1) | instskip(NEXT) | instid1(VALU_DEP_1)
	v_dual_add_f32 v30, v32, v34 :: v_dual_sub_f32 v40, v31, v35
	v_dual_mov_b32 v35, v30 :: v_dual_sub_f32 v33, v31, v30
	s_delay_alu instid0(VALU_DEP_2) | instskip(NEXT) | instid1(VALU_DEP_2)
	v_sub_f32_e32 v24, v24, v40
	v_pk_add_f32 v[30:31], v[30:31], v[32:33] neg_lo:[0,1] neg_hi:[0,1]
	s_delay_alu instid0(VALU_DEP_1) | instskip(NEXT) | instid1(VALU_DEP_1)
	v_pk_add_f32 v[30:31], v[30:31], v[34:35] neg_lo:[0,1] neg_hi:[0,1]
	v_add_f32_e32 v24, v24, v31
	s_delay_alu instid0(VALU_DEP_1) | instskip(NEXT) | instid1(VALU_DEP_1)
	v_add_f32_e32 v24, v30, v24
	v_add_f32_e32 v31, v33, v24
	s_delay_alu instid0(VALU_DEP_1) | instskip(NEXT) | instid1(VALU_DEP_1)
	v_mul_f32_e32 v40, v29, v31
	v_mul_f32_e32 v34, v36, v40
	s_delay_alu instid0(VALU_DEP_1) | instskip(NEXT) | instid1(VALU_DEP_1)
	v_dual_fma_f32 v32, v40, v36, -v34 :: v_dual_sub_f32 v36, v33, v31
	v_fmac_f32_e32 v32, v40, v39
	s_delay_alu instid0(VALU_DEP_2) | instskip(SKIP_1) | instid1(VALU_DEP_3)
	v_add_f32_e32 v24, v24, v36
	v_add_f32_e32 v36, v37, v40
	;; [unrolled: 1-line block ×3, first 2 shown]
	s_delay_alu instid0(VALU_DEP_1) | instskip(NEXT) | instid1(VALU_DEP_1)
	v_dual_mov_b32 v33, v30 :: v_dual_sub_f32 v35, v31, v30
	v_pk_add_f32 v[30:31], v[30:31], v[34:35] neg_lo:[0,1] neg_hi:[0,1]
	s_delay_alu instid0(VALU_DEP_1) | instskip(NEXT) | instid1(VALU_DEP_1)
	v_pk_add_f32 v[30:31], v[30:31], v[32:33] neg_lo:[0,1] neg_hi:[0,1]
	v_add_f32_e32 v24, v24, v31
	s_delay_alu instid0(VALU_DEP_1) | instskip(NEXT) | instid1(VALU_DEP_1)
	v_dual_add_f32 v24, v30, v24 :: v_dual_sub_f32 v30, v36, v37
	v_dual_add_f32 v24, v35, v24 :: v_dual_sub_f32 v30, v40, v30
	s_delay_alu instid0(VALU_DEP_1) | instskip(NEXT) | instid1(VALU_DEP_1)
	v_mul_f32_e32 v24, v29, v24
	v_add_f32_e32 v24, v30, v24
	v_cvt_f32_i32_e32 v30, v9
	s_delay_alu instid0(VALU_DEP_2) | instskip(NEXT) | instid1(VALU_DEP_1)
	v_add_f32_e32 v29, v36, v24
	v_mul_f32_e32 v32, v29, v29
	s_delay_alu instid0(VALU_DEP_1) | instskip(SKIP_1) | instid1(VALU_DEP_2)
	v_fmaak_f32 v33, s27, v32, 0x3ecc95a3
	v_mul_f32_e32 v31, v29, v32
	v_fmaak_f32 v9, v32, v33, 0x3f2aaada
	s_delay_alu instid0(VALU_DEP_1) | instskip(NEXT) | instid1(VALU_DEP_1)
	v_pk_mul_f32 v[32:33], v[30:31], v[8:9]
	v_fma_f32 v34, 0x3f317218, v30, -v32
	s_delay_alu instid0(VALU_DEP_1) | instskip(SKIP_1) | instid1(VALU_DEP_1)
	v_fmac_f32_e32 v34, 0xb102e308, v30
	v_ldexp_f32 v35, v29, 1
	v_pk_add_f32 v[30:31], v[32:33], v[34:35]
	v_dual_sub_f32 v9, v29, v36 :: v_dual_mov_b32 v36, v32
	s_delay_alu instid0(VALU_DEP_1) | instskip(NEXT) | instid1(VALU_DEP_3)
	v_dual_mov_b32 v46, v31 :: v_dual_sub_f32 v9, v24, v9
	v_dual_sub_f32 v24, v31, v35 :: v_dual_mov_b32 v35, v30
	s_delay_alu instid0(VALU_DEP_2) | instskip(NEXT) | instid1(VALU_DEP_2)
	v_ldexp_f32 v9, v9, 1
	v_sub_f32_e32 v24, v33, v24
	v_pk_add_f32 v[32:33], v[30:31], v[32:33] neg_lo:[0,1] neg_hi:[0,1]
	s_delay_alu instid0(VALU_DEP_2) | instskip(SKIP_2) | instid1(VALU_DEP_1)
	v_add_f32_e32 v37, v9, v24
	v_max_num_f32_e64 v9, |v23|, |v23|
	v_max_num_f32_e64 v24, |v22|, |v22|
	v_max_num_f32_e32 v29, v24, v9
	s_delay_alu instid0(VALU_DEP_4) | instskip(SKIP_1) | instid1(VALU_DEP_3)
	v_pk_add_f32 v[40:41], v[30:31], v[36:37]
	v_min_num_f32_e32 v9, v24, v9
	v_frexp_exp_i32_f32_e32 v36, v29
	s_delay_alu instid0(VALU_DEP_3) | instskip(NEXT) | instid1(VALU_DEP_3)
	v_mov_b32_e32 v33, v41
	v_frexp_exp_i32_f32_e32 v39, v9
	v_frexp_mant_f32_e32 v48, v9
	v_frexp_mant_f32_e32 v29, v29
	s_delay_alu instid0(VALU_DEP_4) | instskip(SKIP_2) | instid1(VALU_DEP_4)
	v_pk_add_f32 v[42:43], v[34:35], v[32:33]
	v_mov_b32_e32 v42, v41
	v_pk_add_f32 v[32:33], v[34:35], v[32:33] neg_lo:[0,1] neg_hi:[0,1]
	v_rcp_f32_e32 v29, v29
	s_delay_alu instid0(VALU_DEP_3) | instskip(NEXT) | instid1(VALU_DEP_1)
	v_dual_mov_b32 v24, v43 :: v_dual_mov_b32 v33, v43
	v_pk_add_f32 v[44:45], v[24:25], v[30:31] neg_lo:[0,1] neg_hi:[0,1]
	v_dual_sub_nc_u32 v39, v39, v36 :: v_dual_mov_b32 v31, v30
	s_delay_alu instid0(VALU_DEP_2) | instskip(SKIP_1) | instid1(VALU_DEP_2)
	v_dual_mov_b32 v30, v37 :: v_dual_mov_b32 v47, v44
	v_mov_b32_e32 v9, v44
	v_pk_add_f32 v[34:35], v[42:43], v[46:47] neg_lo:[0,1] neg_hi:[0,1]
	s_delay_alu instid0(VALU_DEP_2) | instskip(SKIP_1) | instid1(VALU_DEP_3)
	v_pk_add_f32 v[36:37], v[40:41], v[8:9] neg_lo:[0,1] neg_hi:[0,1]
	v_mov_b32_e32 v36, v32
	v_pk_add_f32 v[30:31], v[30:31], v[34:35] neg_lo:[0,1] neg_hi:[0,1]
	s_delay_alu instid0(VALU_DEP_1) | instskip(NEXT) | instid1(VALU_DEP_1)
	v_pk_add_f32 v[34:35], v[36:37], v[30:31]
	v_dual_mul_f32 v29, v48, v29 :: v_dual_mov_b32 v36, v35
	s_delay_alu instid0(VALU_DEP_1) | instskip(NEXT) | instid1(VALU_DEP_2)
	v_ldexp_f32 v9, v29, v39
	v_pk_add_f32 v[36:37], v[34:35], v[36:37]
	s_delay_alu instid0(VALU_DEP_2) | instskip(NEXT) | instid1(VALU_DEP_2)
	v_mul_f32_e32 v29, v9, v9
	v_pk_add_f32 v[40:41], v[24:25], v[36:37]
	s_delay_alu instid0(VALU_DEP_1) | instskip(NEXT) | instid1(VALU_DEP_1)
	v_mov_b32_e32 v35, v40
	v_pk_add_f32 v[42:43], v[34:35], v[32:33] neg_lo:[0,1] neg_hi:[0,1]
	s_delay_alu instid0(VALU_DEP_1) | instskip(NEXT) | instid1(VALU_DEP_1)
	v_sub_f32_e32 v33, v34, v42
	v_sub_f32_e32 v32, v32, v33
	v_fmaak_f32 v31, s28, v29, 0xbc7a590c
	s_delay_alu instid0(VALU_DEP_1) | instskip(NEXT) | instid1(VALU_DEP_1)
	v_fmaak_f32 v31, v29, v31, 0x3d29fb3f
	v_dual_fmaak_f32 v24, v29, v31, 0xbd97d4d7 :: v_dual_mov_b32 v31, v36
	s_delay_alu instid0(VALU_DEP_1) | instskip(NEXT) | instid1(VALU_DEP_2)
	v_fmaak_f32 v24, v29, v24, 0x3dd931b2
	v_pk_add_f32 v[30:31], v[30:31], v[42:43] neg_lo:[0,1] neg_hi:[0,1]
	s_delay_alu instid0(VALU_DEP_1) | instskip(NEXT) | instid1(VALU_DEP_3)
	v_add_f32_e32 v30, v30, v32
	v_fmaak_f32 v24, v29, v24, 0xbe1160e6
	s_delay_alu instid0(VALU_DEP_1) | instskip(NEXT) | instid1(VALU_DEP_1)
	v_fmaak_f32 v24, v29, v24, 0x3e4cb8bf
	v_fmaak_f32 v24, v29, v24, 0xbeaaaa62
	s_delay_alu instid0(VALU_DEP_1) | instskip(NEXT) | instid1(VALU_DEP_1)
	v_dual_mul_f32 v24, v29, v24 :: v_dual_add_f32 v29, v30, v31
	v_dual_fmac_f32 v9, v9, v24 :: v_dual_add_f32 v24, v40, v29
	s_delay_alu instid0(VALU_DEP_1) | instskip(NEXT) | instid1(VALU_DEP_1)
	v_sub_f32_e32 v29, 0x3fc90fdb, v9
	v_cndmask_b32_e64 v9, v9, v29, s4
	s_delay_alu instid0(VALU_DEP_3) | instskip(SKIP_1) | instid1(VALU_DEP_3)
	v_cndmask_b32_e32 v24, 0x7f800000, v24, vcc_lo
	v_cmp_gt_i32_e32 vcc_lo, 0, v22
	v_sub_f32_e32 v30, 0x40490fdb, v9
	v_cndmask_b32_e64 v29, 0, 0x40490fdb, vcc_lo
	v_cmp_ngt_f32_e32 vcc_lo, -1.0, v28
	v_cndmask_b32_e32 v24, 0x7fc00000, v24, vcc_lo
	v_cmp_gt_f32_e32 vcc_lo, 0, v22
	s_delay_alu instid0(VALU_DEP_2)
	v_cndmask_b32_e64 v22, 0xff800000, v24, s5
	v_cndmask_b32_e32 v9, v9, v30, vcc_lo
	v_cndmask_b32_e32 v24, 0x3f490fdb, v38, vcc_lo
	v_cmp_gt_f32_e64 vcc_lo, 0x33800000, |v28|
	v_cmp_class_f32_e64 s5, v23, 0x204
                                        ; implicit-def: $vgpr30_vgpr31
	v_cndmask_b32_e32 v22, v22, v28, vcc_lo
	v_cmp_eq_f32_e32 vcc_lo, 0, v23
	v_cndmask_b32_e32 v9, v9, v29, vcc_lo
	s_and_b32 vcc_lo, s5, s7
	s_delay_alu instid0(VALU_DEP_1)
	v_dual_mul_f32 v29, 0.5, v22 :: v_dual_cndmask_b32 v24, v9, v24
.LBB192_193:                            ;   in Loop: Header=BB192_145 Depth=1
	s_and_not1_saveexec_b32 s34, s6
	s_cbranch_execz .LBB192_201
; %bb.194:                              ;   in Loop: Header=BB192_145 Depth=1
	v_pk_mul_f32 v[28:29], v[30:31], v[30:31]
                                        ; implicit-def: $vgpr24
	s_mov_b32 s5, exec_lo
	s_delay_alu instid0(VALU_DEP_1) | instskip(NEXT) | instid1(VALU_DEP_1)
	v_add_f32_e32 v9, v29, v28
                                        ; implicit-def: $vgpr29
	v_cmpx_ge_f32_e32 0x3f333333, v9
	s_xor_b32 s6, exec_lo, s5
	s_cbranch_execz .LBB192_196
; %bb.195:                              ;   in Loop: Header=BB192_145 Depth=1
	v_max_num_f32_e64 v24, |v23|, |v23|
	v_max_num_f32_e64 v28, |v22|, |v22|
	v_cmp_gt_f32_e32 vcc_lo, 0x800000, v9
	v_cmp_gt_i32_e64 s5, 0, v22
	v_cmp_class_f32_e64 s7, v22, 0x204
	v_cmp_class_f32_e64 s8, v23, 0x204
	v_dual_max_num_f32 v29, v28, v24 :: v_dual_min_num_f32 v24, v28, v24
	v_cndmask_b32_e64 v31, 0, 0x41b17218, vcc_lo
	s_delay_alu instid0(VALU_DEP_2) | instskip(SKIP_1) | instid1(VALU_DEP_2)
	v_frexp_mant_f32_e32 v30, v29
	v_frexp_exp_i32_f32_e32 v28, v29
	v_rcp_f32_e32 v29, v30
	v_nop
	v_frexp_exp_i32_f32_e32 v30, v24
	v_frexp_mant_f32_e32 v24, v24
	s_delay_alu instid0(TRANS32_DEP_1) | instid1(VALU_DEP_1)
	v_dual_sub_nc_u32 v28, v30, v28 :: v_dual_mul_f32 v24, v24, v29
	v_cndmask_b32_e64 v30, 0, 32, vcc_lo
	s_delay_alu instid0(VALU_DEP_2) | instskip(NEXT) | instid1(VALU_DEP_2)
	v_ldexp_f32 v24, v24, v28
	v_ldexp_f32 v9, v9, v30
	s_delay_alu instid0(VALU_DEP_1) | instskip(NEXT) | instid1(VALU_DEP_2)
	v_log_f32_e32 v9, v9
	v_mul_f32_e32 v28, v24, v24
	s_delay_alu instid0(VALU_DEP_1) | instskip(NEXT) | instid1(TRANS32_DEP_1)
	v_fmaak_f32 v29, s28, v28, 0xbc7a590c
	v_cmp_gt_f32_e64 vcc_lo, 0x7f800000, |v9|
	s_delay_alu instid0(VALU_DEP_2) | instskip(NEXT) | instid1(VALU_DEP_1)
	v_fmaak_f32 v29, v28, v29, 0x3d29fb3f
	v_fmaak_f32 v29, v28, v29, 0xbd97d4d7
	s_delay_alu instid0(VALU_DEP_1) | instskip(NEXT) | instid1(VALU_DEP_1)
	v_fmaak_f32 v29, v28, v29, 0x3dd931b2
	v_fmaak_f32 v29, v28, v29, 0xbe1160e6
	s_delay_alu instid0(VALU_DEP_1) | instskip(NEXT) | instid1(VALU_DEP_1)
	v_fmaak_f32 v29, v28, v29, 0x3e4cb8bf
	v_fmaak_f32 v29, v28, v29, 0xbeaaaa62
	s_delay_alu instid0(VALU_DEP_1) | instskip(NEXT) | instid1(VALU_DEP_1)
	v_mul_f32_e32 v28, v28, v29
	v_dual_mul_f32 v29, 0x3f317217, v9 :: v_dual_fmac_f32 v24, v24, v28
	s_delay_alu instid0(VALU_DEP_1) | instskip(NEXT) | instid1(VALU_DEP_2)
	v_fma_f32 v28, 0x3f317217, v9, -v29
	v_sub_f32_e32 v29, 0x3fc90fdb, v24
	s_delay_alu instid0(VALU_DEP_2) | instskip(NEXT) | instid1(VALU_DEP_1)
	v_fmac_f32_e32 v28, 0x3377d1cf, v9
	v_fmac_f32_e32 v28, 0x3f317217, v9
	s_delay_alu instid0(VALU_DEP_3) | instskip(SKIP_2) | instid1(VALU_DEP_4)
	v_cndmask_b32_e64 v24, v24, v29, s4
	v_cndmask_b32_e64 v29, 0, 0x40490fdb, s5
	v_cmp_eq_f32_e64 s5, 0, v23
	v_cndmask_b32_e32 v9, v9, v28, vcc_lo
	s_delay_alu instid0(VALU_DEP_4) | instskip(SKIP_1) | instid1(VALU_DEP_2)
	v_sub_f32_e32 v30, 0x40490fdb, v24
	v_cmp_gt_f32_e32 vcc_lo, 0, v22
	v_dual_sub_f32 v9, v9, v31 :: v_dual_cndmask_b32 v24, v24, v30
                                        ; implicit-def: $vgpr30
	s_delay_alu instid0(VALU_DEP_1) | instskip(SKIP_2) | instid1(VALU_DEP_1)
	v_cndmask_b32_e64 v22, v24, v29, s5
	v_cndmask_b32_e32 v24, 0x3f490fdb, v38, vcc_lo
	s_and_b32 vcc_lo, s8, s7
	v_dual_mul_f32 v29, 0.5, v9 :: v_dual_cndmask_b32 v24, v22, v24
.LBB192_196:                            ;   in Loop: Header=BB192_145 Depth=1
	s_and_not1_saveexec_b32 s35, s6
	s_cbranch_execz .LBB192_200
; %bb.197:                              ;   in Loop: Header=BB192_145 Depth=1
	v_and_b32_e32 v29, 0x7fff0000, v30
	v_and_b32_e32 v28, 0x7fff0000, v31
	s_mov_b32 s36, 0
	s_delay_alu instid0(VALU_DEP_1) | instskip(SKIP_2) | instid1(VALU_DEP_2)
	v_dual_add_f32 v36, v29, v29 :: v_dual_add_f32 v24, v28, v28
	v_pk_add_f32 v[30:31], v[30:31], v[28:29] op_sel:[1,0] op_sel_hi:[0,1] neg_lo:[0,1] neg_hi:[0,1]
	v_pk_mul_f32 v[28:29], v[28:29], v[28:29]
	v_and_b32_e32 v33, 0xffff0000, v31
	s_delay_alu instid0(VALU_DEP_3) | instskip(NEXT) | instid1(VALU_DEP_1)
	v_and_b32_e32 v32, 0xffff0000, v30
	v_dual_add_f32 v40, v33, v33 :: v_dual_mul_f32 v9, v24, v32
	v_pk_add_f32 v[30:31], v[30:31], v[32:33] neg_lo:[0,1] neg_hi:[0,1]
	v_add_f32_e32 v39, v32, v32
	v_mul_f32_e32 v35, v36, v33
	v_pk_mul_f32 v[32:33], v[32:33], v[32:33]
	s_delay_alu instid0(VALU_DEP_3)
	v_dual_mul_f32 v34, v24, v30 :: v_dual_mul_f32 v24, v39, v30
	v_mul_f32_e32 v37, v36, v31
	v_mul_f32_e32 v36, v40, v31
	v_pk_mul_f32 v[30:31], v[30:31], v[30:31]
.LBB192_198:                            ;   Parent Loop BB192_145 Depth=1
                                        ; =>  This Inner Loop Header: Depth=2
	v_cmp_nlt_f32_e32 vcc_lo, v28, v29
	v_dual_cndmask_b32 v39, v28, v29 :: v_dual_cndmask_b32 v28, v29, v28
	s_delay_alu instid0(VALU_DEP_1) | instskip(NEXT) | instid1(VALU_DEP_1)
	v_cmp_nlt_f32_e64 s5, v39, v9
	v_dual_cndmask_b32 v40, v39, v9, s5 :: v_dual_cndmask_b32 v29, v9, v39, s5
	s_and_b32 s5, vcc_lo, s5
	s_delay_alu instid0(VALU_DEP_1) | instskip(NEXT) | instid1(VALU_DEP_1)
	v_cmp_nlt_f32_e64 s6, v40, v35
	v_dual_cndmask_b32 v41, v40, v35, s6 :: v_dual_cndmask_b32 v9, v35, v40, s6
	s_delay_alu instid0(VALU_DEP_1) | instskip(NEXT) | instid1(VALU_DEP_1)
	v_cmp_nlt_f32_e64 s7, v41, v32
	v_cndmask_b32_e64 v39, v41, v32, s7
	s_and_b32 s37, s6, s7
	s_delay_alu instid0(VALU_DEP_1) | instskip(NEXT) | instid1(VALU_DEP_1)
	v_cmp_nlt_f32_e64 s8, v39, v33
	v_cndmask_b32_e64 v40, v39, v33, s8
	s_delay_alu instid0(VALU_DEP_1) | instskip(NEXT) | instid1(VALU_DEP_1)
	v_cmp_nlt_f32_e64 s9, v40, v34
	v_cndmask_b32_e64 v42, v40, v34, s9
	;; [unrolled: 3-line block ×3, first 2 shown]
	s_delay_alu instid0(VALU_DEP_1) | instskip(SKIP_2) | instid1(VALU_DEP_3)
	v_cmp_nlt_f32_e64 s11, v43, v24
	v_dual_cndmask_b32 v35, v32, v41, s7 :: v_dual_cndmask_b32 v32, v33, v39, s8
	v_dual_cndmask_b32 v33, v34, v40, s9 :: v_dual_cndmask_b32 v34, v37, v42, s10
	v_cndmask_b32_e64 v41, v43, v24, s11
	s_and_b32 s8, s8, s9
	s_delay_alu instid0(SALU_CYCLE_1) | instskip(NEXT) | instid1(SALU_CYCLE_1)
	s_and_b32 s8, s8, s10
	s_and_b32 s9, s8, s11
	s_delay_alu instid0(VALU_DEP_1) | instskip(NEXT) | instid1(VALU_DEP_1)
	v_cmp_nlt_f32_e64 s6, v41, v36
	v_dual_cndmask_b32 v39, v41, v36, s6 :: v_dual_cndmask_b32 v37, v24, v43, s11
	s_delay_alu instid0(VALU_DEP_1)
	v_cmp_nlt_f32_e64 s7, v39, v30
	v_cndmask_b32_e64 v24, v36, v41, s6
	s_and_b32 s6, s9, s6
	v_cndmask_b32_e64 v40, v39, v30, s7
	s_and_b32 s6, s6, s7
	v_cndmask_b32_e64 v36, v30, v39, s7
	s_delay_alu instid0(VALU_DEP_2) | instskip(SKIP_3) | instid1(SALU_CYCLE_1)
	v_cmp_nlt_f32_e64 s8, v40, v31
	s_and_b32 s6, s6, s8
	v_dual_cndmask_b32 v30, v31, v40, s8 :: v_dual_cndmask_b32 v31, v40, v31, s8
	s_and_b32 s6, s6, s37
	s_and_b32 s5, s6, s5
	s_delay_alu instid0(SALU_CYCLE_1) | instskip(NEXT) | instid1(SALU_CYCLE_1)
	s_and_b32 s5, exec_lo, s5
	s_or_b32 s36, s5, s36
	s_delay_alu instid0(SALU_CYCLE_1)
	s_and_not1_b32 exec_lo, exec_lo, s36
	s_cbranch_execnz .LBB192_198
; %bb.199:                              ;   in Loop: Header=BB192_145 Depth=1
	s_or_b32 exec_lo, exec_lo, s36
	v_add_f32_e32 v28, -1.0, v28
	v_cmp_class_f32_e64 s6, v22, 0x204
	s_delay_alu instid0(VALU_DEP_2) | instskip(NEXT) | instid1(VALU_DEP_1)
	v_add_f32_e32 v28, v28, v29
	v_add_f32_e32 v9, v28, v9
	s_delay_alu instid0(VALU_DEP_1) | instskip(NEXT) | instid1(VALU_DEP_1)
	v_add_f32_e32 v9, v9, v35
	v_add_f32_e32 v9, v9, v32
	s_delay_alu instid0(VALU_DEP_1) | instskip(NEXT) | instid1(VALU_DEP_1)
	;; [unrolled: 3-line block ×5, first 2 shown]
	v_add_f32_e32 v28, v31, v9
	v_add_f32_e32 v31, 1.0, v28
	s_delay_alu instid0(VALU_DEP_1) | instskip(SKIP_2) | instid1(VALU_DEP_2)
	v_cvt_f64_f32_e32 v[32:33], v31
	v_frexp_mant_f32_e32 v24, v31
	v_add_f32_e32 v29, -1.0, v31
	v_cmp_gt_f32_e32 vcc_lo, 0x3f2aaaab, v24
	s_delay_alu instid0(VALU_DEP_2) | instskip(SKIP_2) | instid1(VALU_DEP_3)
	v_mov_b32_e32 v30, v29
	v_cmp_neq_f32_e64 s5, -1.0, v28
	v_frexp_exp_i32_f64_e32 v9, v[32:33]
	v_pk_add_f32 v[32:33], v[28:29], v[30:31] neg_lo:[0,1] neg_hi:[0,1]
	s_delay_alu instid0(VALU_DEP_1) | instskip(NEXT) | instid1(VALU_DEP_1)
	v_add_f32_e32 v30, 1.0, v33
	v_add_f32_e32 v30, v32, v30
	s_delay_alu instid0(VALU_DEP_4) | instskip(SKIP_1) | instid1(VALU_DEP_2)
	v_subrev_co_ci_u32_e64 v9, null, 0, v9, vcc_lo
	v_cmp_neq_f32_e32 vcc_lo, 0x7f800000, v28
	v_sub_nc_u32_e32 v24, 0, v9
	s_delay_alu instid0(VALU_DEP_1) | instskip(SKIP_1) | instid1(VALU_DEP_2)
	v_ldexp_f32 v29, v31, v24
	v_ldexp_f32 v24, v30, v24
	v_dual_add_f32 v33, 1.0, v29 :: v_dual_add_f32 v35, -1.0, v29
	s_delay_alu instid0(VALU_DEP_1) | instskip(NEXT) | instid1(VALU_DEP_1)
	v_add_f32_e32 v31, -1.0, v33
	v_sub_f32_e32 v30, v29, v31
	s_delay_alu instid0(VALU_DEP_1) | instskip(NEXT) | instid1(VALU_DEP_1)
	v_dual_add_f32 v31, 1.0, v35 :: v_dual_add_f32 v30, v24, v30
	v_sub_f32_e32 v29, v29, v31
	s_delay_alu instid0(VALU_DEP_1) | instskip(NEXT) | instid1(VALU_DEP_1)
	v_dual_add_f32 v36, v33, v30 :: v_dual_add_f32 v24, v24, v29
	v_rcp_f32_e32 v29, v36
	s_delay_alu instid0(VALU_DEP_1)
	v_add_f32_e32 v31, v35, v24
	s_delay_alu instid0(TRANS32_DEP_1) | instid1(VALU_DEP_1)
	v_mul_f32_e32 v37, v31, v29
	s_delay_alu instid0(VALU_DEP_1) | instskip(NEXT) | instid1(VALU_DEP_1)
	v_mul_f32_e32 v32, v36, v37
	v_dual_sub_f32 v33, v36, v33 :: v_dual_fma_f32 v34, v37, v36, -v32
	s_delay_alu instid0(VALU_DEP_1) | instskip(NEXT) | instid1(VALU_DEP_1)
	v_sub_f32_e32 v39, v30, v33
	v_fmac_f32_e32 v34, v37, v39
	s_delay_alu instid0(VALU_DEP_1) | instskip(NEXT) | instid1(VALU_DEP_1)
	v_dual_add_f32 v30, v32, v34 :: v_dual_sub_f32 v40, v31, v35
	v_dual_mov_b32 v35, v30 :: v_dual_sub_f32 v33, v31, v30
	s_delay_alu instid0(VALU_DEP_2) | instskip(NEXT) | instid1(VALU_DEP_2)
	v_sub_f32_e32 v24, v24, v40
	v_pk_add_f32 v[30:31], v[30:31], v[32:33] neg_lo:[0,1] neg_hi:[0,1]
	s_delay_alu instid0(VALU_DEP_1) | instskip(NEXT) | instid1(VALU_DEP_1)
	v_pk_add_f32 v[30:31], v[30:31], v[34:35] neg_lo:[0,1] neg_hi:[0,1]
	v_add_f32_e32 v24, v24, v31
	s_delay_alu instid0(VALU_DEP_1) | instskip(NEXT) | instid1(VALU_DEP_1)
	v_add_f32_e32 v24, v30, v24
	v_add_f32_e32 v31, v33, v24
	s_delay_alu instid0(VALU_DEP_1) | instskip(NEXT) | instid1(VALU_DEP_1)
	v_mul_f32_e32 v40, v29, v31
	v_mul_f32_e32 v34, v36, v40
	s_delay_alu instid0(VALU_DEP_1) | instskip(NEXT) | instid1(VALU_DEP_1)
	v_dual_fma_f32 v32, v40, v36, -v34 :: v_dual_sub_f32 v36, v33, v31
	v_fmac_f32_e32 v32, v40, v39
	s_delay_alu instid0(VALU_DEP_2) | instskip(SKIP_1) | instid1(VALU_DEP_3)
	v_add_f32_e32 v24, v24, v36
	v_add_f32_e32 v36, v37, v40
	;; [unrolled: 1-line block ×3, first 2 shown]
	s_delay_alu instid0(VALU_DEP_1) | instskip(NEXT) | instid1(VALU_DEP_1)
	v_dual_mov_b32 v33, v30 :: v_dual_sub_f32 v35, v31, v30
	v_pk_add_f32 v[30:31], v[30:31], v[34:35] neg_lo:[0,1] neg_hi:[0,1]
	s_delay_alu instid0(VALU_DEP_1) | instskip(NEXT) | instid1(VALU_DEP_1)
	v_pk_add_f32 v[30:31], v[30:31], v[32:33] neg_lo:[0,1] neg_hi:[0,1]
	v_add_f32_e32 v24, v24, v31
	s_delay_alu instid0(VALU_DEP_1) | instskip(NEXT) | instid1(VALU_DEP_1)
	v_dual_add_f32 v24, v30, v24 :: v_dual_sub_f32 v30, v36, v37
	v_dual_add_f32 v24, v35, v24 :: v_dual_sub_f32 v30, v40, v30
	s_delay_alu instid0(VALU_DEP_1) | instskip(NEXT) | instid1(VALU_DEP_1)
	v_mul_f32_e32 v24, v29, v24
	v_add_f32_e32 v24, v30, v24
	v_cvt_f32_i32_e32 v30, v9
	s_delay_alu instid0(VALU_DEP_2) | instskip(NEXT) | instid1(VALU_DEP_1)
	v_add_f32_e32 v29, v36, v24
	v_mul_f32_e32 v32, v29, v29
	s_delay_alu instid0(VALU_DEP_1) | instskip(SKIP_1) | instid1(VALU_DEP_2)
	v_fmaak_f32 v33, s27, v32, 0x3ecc95a3
	v_mul_f32_e32 v31, v29, v32
	v_fmaak_f32 v9, v32, v33, 0x3f2aaada
	s_delay_alu instid0(VALU_DEP_1) | instskip(NEXT) | instid1(VALU_DEP_1)
	v_pk_mul_f32 v[32:33], v[30:31], v[8:9]
	v_fma_f32 v34, 0x3f317218, v30, -v32
	s_delay_alu instid0(VALU_DEP_1) | instskip(SKIP_1) | instid1(VALU_DEP_1)
	v_fmac_f32_e32 v34, 0xb102e308, v30
	v_ldexp_f32 v35, v29, 1
	v_pk_add_f32 v[30:31], v[32:33], v[34:35]
	v_dual_sub_f32 v9, v29, v36 :: v_dual_mov_b32 v36, v32
	s_delay_alu instid0(VALU_DEP_1) | instskip(NEXT) | instid1(VALU_DEP_3)
	v_dual_mov_b32 v46, v31 :: v_dual_sub_f32 v9, v24, v9
	v_dual_sub_f32 v24, v31, v35 :: v_dual_mov_b32 v35, v30
	s_delay_alu instid0(VALU_DEP_2) | instskip(NEXT) | instid1(VALU_DEP_2)
	v_ldexp_f32 v9, v9, 1
	v_sub_f32_e32 v24, v33, v24
	v_pk_add_f32 v[32:33], v[30:31], v[32:33] neg_lo:[0,1] neg_hi:[0,1]
	s_delay_alu instid0(VALU_DEP_2) | instskip(SKIP_2) | instid1(VALU_DEP_1)
	v_add_f32_e32 v37, v9, v24
	v_max_num_f32_e64 v9, |v23|, |v23|
	v_max_num_f32_e64 v24, |v22|, |v22|
	v_max_num_f32_e32 v29, v24, v9
	s_delay_alu instid0(VALU_DEP_4) | instskip(SKIP_1) | instid1(VALU_DEP_3)
	v_pk_add_f32 v[40:41], v[30:31], v[36:37]
	v_min_num_f32_e32 v9, v24, v9
	v_frexp_exp_i32_f32_e32 v36, v29
	s_delay_alu instid0(VALU_DEP_3) | instskip(NEXT) | instid1(VALU_DEP_3)
	v_mov_b32_e32 v33, v41
	v_frexp_exp_i32_f32_e32 v39, v9
	v_frexp_mant_f32_e32 v48, v9
	v_frexp_mant_f32_e32 v29, v29
	s_delay_alu instid0(VALU_DEP_4) | instskip(SKIP_2) | instid1(VALU_DEP_4)
	v_pk_add_f32 v[42:43], v[34:35], v[32:33]
	v_mov_b32_e32 v42, v41
	v_pk_add_f32 v[32:33], v[34:35], v[32:33] neg_lo:[0,1] neg_hi:[0,1]
	v_rcp_f32_e32 v29, v29
	s_delay_alu instid0(VALU_DEP_3) | instskip(NEXT) | instid1(VALU_DEP_1)
	v_dual_mov_b32 v24, v43 :: v_dual_mov_b32 v33, v43
	v_pk_add_f32 v[44:45], v[24:25], v[30:31] neg_lo:[0,1] neg_hi:[0,1]
	v_dual_sub_nc_u32 v39, v39, v36 :: v_dual_mov_b32 v31, v30
	s_delay_alu instid0(VALU_DEP_2) | instskip(SKIP_1) | instid1(VALU_DEP_2)
	v_dual_mov_b32 v30, v37 :: v_dual_mov_b32 v47, v44
	v_mov_b32_e32 v9, v44
	v_pk_add_f32 v[34:35], v[42:43], v[46:47] neg_lo:[0,1] neg_hi:[0,1]
	s_delay_alu instid0(VALU_DEP_2) | instskip(SKIP_1) | instid1(VALU_DEP_3)
	v_pk_add_f32 v[36:37], v[40:41], v[8:9] neg_lo:[0,1] neg_hi:[0,1]
	v_mov_b32_e32 v36, v32
	v_pk_add_f32 v[30:31], v[30:31], v[34:35] neg_lo:[0,1] neg_hi:[0,1]
	s_delay_alu instid0(VALU_DEP_1) | instskip(NEXT) | instid1(VALU_DEP_1)
	v_pk_add_f32 v[34:35], v[36:37], v[30:31]
	v_dual_mul_f32 v29, v48, v29 :: v_dual_mov_b32 v36, v35
	s_delay_alu instid0(VALU_DEP_1) | instskip(NEXT) | instid1(VALU_DEP_2)
	v_ldexp_f32 v9, v29, v39
	v_pk_add_f32 v[36:37], v[34:35], v[36:37]
	s_delay_alu instid0(VALU_DEP_2) | instskip(NEXT) | instid1(VALU_DEP_2)
	v_mul_f32_e32 v29, v9, v9
	v_pk_add_f32 v[40:41], v[24:25], v[36:37]
	s_delay_alu instid0(VALU_DEP_1) | instskip(NEXT) | instid1(VALU_DEP_1)
	v_mov_b32_e32 v35, v40
	v_pk_add_f32 v[42:43], v[34:35], v[32:33] neg_lo:[0,1] neg_hi:[0,1]
	s_delay_alu instid0(VALU_DEP_1) | instskip(NEXT) | instid1(VALU_DEP_1)
	v_sub_f32_e32 v33, v34, v42
	v_sub_f32_e32 v32, v32, v33
	v_fmaak_f32 v31, s28, v29, 0xbc7a590c
	s_delay_alu instid0(VALU_DEP_1) | instskip(NEXT) | instid1(VALU_DEP_1)
	v_fmaak_f32 v31, v29, v31, 0x3d29fb3f
	v_dual_fmaak_f32 v24, v29, v31, 0xbd97d4d7 :: v_dual_mov_b32 v31, v36
	s_delay_alu instid0(VALU_DEP_1) | instskip(NEXT) | instid1(VALU_DEP_2)
	v_fmaak_f32 v24, v29, v24, 0x3dd931b2
	v_pk_add_f32 v[30:31], v[30:31], v[42:43] neg_lo:[0,1] neg_hi:[0,1]
	s_delay_alu instid0(VALU_DEP_1) | instskip(NEXT) | instid1(VALU_DEP_3)
	v_add_f32_e32 v30, v30, v32
	v_fmaak_f32 v24, v29, v24, 0xbe1160e6
	s_delay_alu instid0(VALU_DEP_1) | instskip(NEXT) | instid1(VALU_DEP_1)
	v_fmaak_f32 v24, v29, v24, 0x3e4cb8bf
	v_fmaak_f32 v24, v29, v24, 0xbeaaaa62
	s_delay_alu instid0(VALU_DEP_1) | instskip(NEXT) | instid1(VALU_DEP_1)
	v_dual_mul_f32 v24, v29, v24 :: v_dual_add_f32 v29, v30, v31
	v_dual_fmac_f32 v9, v9, v24 :: v_dual_add_f32 v24, v40, v29
	s_delay_alu instid0(VALU_DEP_1) | instskip(NEXT) | instid1(VALU_DEP_1)
	v_sub_f32_e32 v29, 0x3fc90fdb, v9
	v_cndmask_b32_e64 v9, v9, v29, s4
	s_delay_alu instid0(VALU_DEP_3) | instskip(SKIP_1) | instid1(VALU_DEP_3)
	v_cndmask_b32_e32 v24, 0x7f800000, v24, vcc_lo
	v_cmp_gt_i32_e32 vcc_lo, 0, v22
	v_sub_f32_e32 v30, 0x40490fdb, v9
	v_cndmask_b32_e64 v29, 0, 0x40490fdb, vcc_lo
	v_cmp_ngt_f32_e32 vcc_lo, -1.0, v28
	v_cndmask_b32_e32 v24, 0x7fc00000, v24, vcc_lo
	v_cmp_gt_f32_e32 vcc_lo, 0, v22
	s_delay_alu instid0(VALU_DEP_2)
	v_cndmask_b32_e64 v22, 0xff800000, v24, s5
	v_cndmask_b32_e32 v9, v9, v30, vcc_lo
	v_cndmask_b32_e32 v24, 0x3f490fdb, v38, vcc_lo
	v_cmp_gt_f32_e64 vcc_lo, 0x33800000, |v28|
	v_cmp_class_f32_e64 s5, v23, 0x204
	v_cndmask_b32_e32 v22, v22, v28, vcc_lo
	v_cmp_eq_f32_e32 vcc_lo, 0, v23
	v_cndmask_b32_e32 v9, v9, v29, vcc_lo
	s_and_b32 vcc_lo, s5, s6
	s_delay_alu instid0(VALU_DEP_1)
	v_dual_mul_f32 v29, 0.5, v22 :: v_dual_cndmask_b32 v24, v9, v24
.LBB192_200:                            ;   in Loop: Header=BB192_145 Depth=1
	s_or_b32 exec_lo, exec_lo, s35
.LBB192_201:                            ;   in Loop: Header=BB192_145 Depth=1
	s_delay_alu instid0(SALU_CYCLE_1)
	s_or_b32 exec_lo, exec_lo, s34
.LBB192_202:                            ;   in Loop: Header=BB192_145 Depth=1
	s_and_not1_saveexec_b32 s6, s33
	s_cbranch_execz .LBB192_204
; %bb.203:                              ;   in Loop: Header=BB192_145 Depth=1
	v_max_num_f32_e64 v9, |v23|, |v23|
	v_max_num_f32_e64 v24, |v22|, |v22|
	v_cmp_gt_i32_e64 s5, 0, v22
	v_cmp_class_f32_e64 s7, v22, 0x204
	v_cmp_class_f32_e64 s8, v23, 0x204
	s_delay_alu instid0(VALU_DEP_4) | instskip(NEXT) | instid1(VALU_DEP_1)
	v_dual_max_num_f32 v30, v24, v9 :: v_dual_min_num_f32 v9, v24, v9
	v_cvt_f64_f32_e32 v[28:29], v30
	v_frexp_exp_i32_f32_e32 v24, v30
	s_delay_alu instid0(VALU_DEP_3) | instskip(SKIP_4) | instid1(VALU_DEP_1)
	v_frexp_exp_i32_f32_e32 v31, v9
	v_frexp_mant_f32_e32 v9, v9
	v_cmp_neq_f32_e32 vcc_lo, 0x7f800000, v30
	v_frexp_exp_i32_f64_e32 v28, v[28:29]
	v_frexp_mant_f32_e32 v29, v30
	v_rcp_f32_e32 v29, v29
	v_nop
	s_delay_alu instid0(TRANS32_DEP_1) | instskip(NEXT) | instid1(VALU_DEP_1)
	v_dual_mul_f32 v9, v9, v29 :: v_dual_sub_nc_u32 v24, v31, v24
	v_ldexp_f32 v9, v9, v24
	s_delay_alu instid0(VALU_DEP_1) | instskip(NEXT) | instid1(VALU_DEP_1)
	v_dual_mul_f32 v29, v9, v9 :: v_dual_sub_nc_u32 v24, 0, v28
	v_ldexp_f32 v31, |v23|, v24
	s_delay_alu instid0(VALU_DEP_2) | instskip(SKIP_1) | instid1(VALU_DEP_2)
	v_fmaak_f32 v32, s28, v29, 0xbc7a590c
	v_ldexp_f32 v24, |v22|, v24
	v_dual_mul_f32 v31, v31, v31 :: v_dual_fmaak_f32 v32, v29, v32, 0x3d29fb3f
	s_delay_alu instid0(VALU_DEP_1) | instskip(NEXT) | instid1(VALU_DEP_2)
	v_fmac_f32_e32 v31, v24, v24
	v_fmaak_f32 v24, v29, v32, 0xbd97d4d7
	s_delay_alu instid0(VALU_DEP_1) | instskip(NEXT) | instid1(VALU_DEP_3)
	v_fmaak_f32 v24, v29, v24, 0x3dd931b2
	v_sqrt_f32_e32 v31, v31
	s_delay_alu instid0(VALU_DEP_1) | instskip(NEXT) | instid1(TRANS32_DEP_1)
	v_fmaak_f32 v24, v29, v24, 0xbe1160e6
	v_ldexp_f32 v28, v31, v28
	s_delay_alu instid0(VALU_DEP_2) | instskip(NEXT) | instid1(VALU_DEP_2)
	v_fmaak_f32 v24, v29, v24, 0x3e4cb8bf
	v_cndmask_b32_e32 v28, 0x7f800000, v28, vcc_lo
	s_delay_alu instid0(VALU_DEP_2) | instskip(NEXT) | instid1(VALU_DEP_2)
	v_fmaak_f32 v24, v29, v24, 0xbeaaaa62
	v_cmp_gt_f32_e32 vcc_lo, 0x800000, v28
	s_delay_alu instid0(VALU_DEP_2) | instskip(SKIP_1) | instid1(VALU_DEP_1)
	v_mul_f32_e32 v24, v29, v24
	v_cndmask_b32_e64 v30, 0, 32, vcc_lo
	v_ldexp_f32 v28, v28, v30
	s_delay_alu instid0(VALU_DEP_1) | instskip(NEXT) | instid1(VALU_DEP_3)
	v_log_f32_e32 v28, v28
	v_fmac_f32_e32 v9, v9, v24
	s_delay_alu instid0(VALU_DEP_1) | instskip(NEXT) | instid1(VALU_DEP_1)
	v_sub_f32_e32 v29, 0x3fc90fdb, v9
	v_cndmask_b32_e64 v9, v9, v29, s4
	v_cndmask_b32_e64 v29, 0, 0x40490fdb, s5
	v_cmp_gt_f32_e64 s5, 0, v22
	s_delay_alu instid0(VALU_DEP_3) | instskip(NEXT) | instid1(VALU_DEP_2)
	v_sub_f32_e32 v30, 0x40490fdb, v9
	v_cndmask_b32_e64 v22, 0x3f490fdb, v38, s5
	s_delay_alu instid0(VALU_DEP_2) | instskip(SKIP_3) | instid1(VALU_DEP_3)
	v_cndmask_b32_e64 v9, v9, v30, s5
	v_mul_f32_e32 v24, 0x3f317217, v28
	v_cndmask_b32_e64 v30, 0, 0x41b17218, vcc_lo
	v_cmp_gt_f32_e64 vcc_lo, 0x7f800000, |v28|
	v_fma_f32 v24, 0x3f317217, v28, -v24
	s_delay_alu instid0(VALU_DEP_1) | instskip(NEXT) | instid1(VALU_DEP_1)
	v_fmac_f32_e32 v24, 0x3377d1cf, v28
	v_fmac_f32_e32 v24, 0x3f317217, v28
	s_delay_alu instid0(VALU_DEP_1) | instskip(SKIP_3) | instid1(VALU_DEP_3)
	v_cndmask_b32_e32 v24, v28, v24, vcc_lo
	v_cmp_eq_f32_e32 vcc_lo, 0, v23
	v_cndmask_b32_e32 v9, v9, v29, vcc_lo
	s_and_b32 vcc_lo, s8, s7
	v_sub_f32_e32 v29, v24, v30
	s_delay_alu instid0(VALU_DEP_2)
	v_cndmask_b32_e32 v24, v9, v22, vcc_lo
.LBB192_204:                            ;   in Loop: Header=BB192_145 Depth=1
	s_or_b32 exec_lo, exec_lo, s6
                                        ; implicit-def: $vgpr30
.LBB192_205:                            ;   in Loop: Header=BB192_145 Depth=1
	s_and_not1_saveexec_b32 s6, s31
	s_cbranch_execz .LBB192_211
; %bb.206:                              ;   in Loop: Header=BB192_145 Depth=1
                                        ; implicit-def: $vgpr29
                                        ; implicit-def: $vgpr24
	s_mov_b32 s5, exec_lo
	v_cmpx_ngt_f32_e32 0x1fec1e4a, v30
	s_xor_b32 s7, exec_lo, s5
	s_cbranch_execz .LBB192_208
; %bb.207:                              ;   in Loop: Header=BB192_145 Depth=1
	v_pk_mul_f32 v[28:29], v[30:31], v[30:31]
	v_cmp_class_f32_e64 s8, v22, 0x204
	s_delay_alu instid0(VALU_DEP_2) | instskip(SKIP_1) | instid1(VALU_DEP_2)
	v_add_f32_e32 v31, 1.0, v28
	v_cmp_neq_f32_e64 s5, 0x7f800000, v28
	v_add_f32_e32 v29, -1.0, v31
	s_delay_alu instid0(VALU_DEP_1) | instskip(SKIP_2) | instid1(VALU_DEP_1)
	v_mov_b32_e32 v30, v29
	v_cvt_f64_f32_e32 v[32:33], v31
	v_frexp_mant_f32_e32 v24, v31
	v_cmp_gt_f32_e32 vcc_lo, 0x3f2aaaab, v24
	s_delay_alu instid0(VALU_DEP_3) | instskip(NEXT) | instid1(VALU_DEP_1)
	v_frexp_exp_i32_f64_e32 v9, v[32:33]
	v_subrev_co_ci_u32_e64 v9, null, 0, v9, vcc_lo
	v_cmp_gt_i32_e32 vcc_lo, 0, v22
	s_delay_alu instid0(VALU_DEP_2) | instskip(SKIP_1) | instid1(VALU_DEP_2)
	v_sub_nc_u32_e32 v24, 0, v9
	v_pk_add_f32 v[32:33], v[28:29], v[30:31] neg_lo:[0,1] neg_hi:[0,1]
	v_ldexp_f32 v29, v31, v24
	s_delay_alu instid0(VALU_DEP_2) | instskip(NEXT) | instid1(VALU_DEP_2)
	v_add_f32_e32 v30, 1.0, v33
	v_add_f32_e32 v33, 1.0, v29
	s_delay_alu instid0(VALU_DEP_1) | instskip(SKIP_1) | instid1(VALU_DEP_2)
	v_dual_add_f32 v31, -1.0, v33 :: v_dual_add_f32 v30, v32, v30
	v_add_f32_e32 v35, -1.0, v29
	v_ldexp_f32 v24, v30, v24
	s_delay_alu instid0(VALU_DEP_3) | instskip(NEXT) | instid1(VALU_DEP_1)
	v_sub_f32_e32 v30, v29, v31
	v_dual_add_f32 v31, 1.0, v35 :: v_dual_add_f32 v30, v24, v30
	s_delay_alu instid0(VALU_DEP_1) | instskip(NEXT) | instid1(VALU_DEP_1)
	v_sub_f32_e32 v29, v29, v31
	v_dual_add_f32 v36, v33, v30 :: v_dual_add_f32 v24, v24, v29
	s_delay_alu instid0(VALU_DEP_1) | instskip(NEXT) | instid1(VALU_DEP_1)
	v_rcp_f32_e32 v29, v36
	v_add_f32_e32 v31, v35, v24
	s_delay_alu instid0(VALU_DEP_1) | instskip(NEXT) | instid1(TRANS32_DEP_1)
	v_dual_sub_f32 v33, v33, v36 :: v_dual_sub_f32 v40, v35, v31
	v_mul_f32_e32 v37, v31, v29
	s_delay_alu instid0(VALU_DEP_2) | instskip(NEXT) | instid1(VALU_DEP_2)
	v_dual_add_f32 v39, v30, v33 :: v_dual_add_f32 v24, v24, v40
	v_mul_f32_e32 v32, v36, v37
	s_delay_alu instid0(VALU_DEP_1) | instskip(NEXT) | instid1(VALU_DEP_1)
	v_fma_f32 v34, v37, v36, -v32
	v_fmac_f32_e32 v34, v37, v39
	s_delay_alu instid0(VALU_DEP_1) | instskip(NEXT) | instid1(VALU_DEP_1)
	v_add_f32_e32 v30, v32, v34
	v_dual_sub_f32 v33, v31, v30 :: v_dual_mov_b32 v35, v30
	s_delay_alu instid0(VALU_DEP_1) | instskip(NEXT) | instid1(VALU_DEP_1)
	v_pk_add_f32 v[30:31], v[30:31], v[32:33] neg_lo:[0,1] neg_hi:[0,1]
	v_pk_add_f32 v[30:31], v[30:31], v[34:35] neg_lo:[0,1] neg_hi:[0,1]
	s_delay_alu instid0(VALU_DEP_1) | instskip(NEXT) | instid1(VALU_DEP_1)
	v_add_f32_e32 v24, v24, v31
	v_add_f32_e32 v24, v30, v24
	s_delay_alu instid0(VALU_DEP_1) | instskip(NEXT) | instid1(VALU_DEP_1)
	v_add_f32_e32 v31, v33, v24
	v_mul_f32_e32 v40, v29, v31
	s_delay_alu instid0(VALU_DEP_1) | instskip(NEXT) | instid1(VALU_DEP_1)
	v_mul_f32_e32 v34, v36, v40
	v_dual_fma_f32 v32, v40, v36, -v34 :: v_dual_sub_f32 v36, v33, v31
	s_delay_alu instid0(VALU_DEP_1) | instskip(NEXT) | instid1(VALU_DEP_2)
	v_fmac_f32_e32 v32, v40, v39
	v_add_f32_e32 v24, v24, v36
	v_max_num_f32_e64 v39, |v22|, |v22|
	v_add_f32_e32 v36, v37, v40
	s_delay_alu instid0(VALU_DEP_4) | instskip(NEXT) | instid1(VALU_DEP_1)
	v_add_f32_e32 v30, v34, v32
	v_dual_mov_b32 v33, v30 :: v_dual_sub_f32 v35, v31, v30
	s_delay_alu instid0(VALU_DEP_1) | instskip(NEXT) | instid1(VALU_DEP_1)
	v_pk_add_f32 v[30:31], v[30:31], v[34:35] neg_lo:[0,1] neg_hi:[0,1]
	v_pk_add_f32 v[30:31], v[30:31], v[32:33] neg_lo:[0,1] neg_hi:[0,1]
	s_delay_alu instid0(VALU_DEP_1) | instskip(NEXT) | instid1(VALU_DEP_1)
	v_add_f32_e32 v24, v24, v31
	v_dual_add_f32 v24, v30, v24 :: v_dual_sub_f32 v30, v36, v37
	s_delay_alu instid0(VALU_DEP_1) | instskip(NEXT) | instid1(VALU_DEP_1)
	v_dual_add_f32 v24, v35, v24 :: v_dual_sub_f32 v30, v40, v30
	v_mul_f32_e32 v24, v29, v24
	s_delay_alu instid0(VALU_DEP_1) | instskip(SKIP_1) | instid1(VALU_DEP_2)
	v_add_f32_e32 v24, v30, v24
	v_cvt_f32_i32_e32 v30, v9
	v_add_f32_e32 v29, v36, v24
	s_delay_alu instid0(VALU_DEP_1) | instskip(NEXT) | instid1(VALU_DEP_1)
	v_mul_f32_e32 v32, v29, v29
	v_fmaak_f32 v33, s27, v32, 0x3ecc95a3
	v_mul_f32_e32 v31, v29, v32
	s_delay_alu instid0(VALU_DEP_2) | instskip(NEXT) | instid1(VALU_DEP_1)
	v_fmaak_f32 v9, v32, v33, 0x3f2aaada
	v_pk_mul_f32 v[32:33], v[30:31], v[8:9]
	s_delay_alu instid0(VALU_DEP_1) | instskip(NEXT) | instid1(VALU_DEP_1)
	v_fma_f32 v34, 0x3f317218, v30, -v32
	v_fmac_f32_e32 v34, 0xb102e308, v30
	v_ldexp_f32 v35, v29, 1
	s_delay_alu instid0(VALU_DEP_1) | instskip(SKIP_2) | instid1(VALU_DEP_2)
	v_pk_add_f32 v[30:31], v[32:33], v[34:35]
	v_dual_sub_f32 v9, v29, v36 :: v_dual_mov_b32 v36, v32
	v_max_num_f32_e64 v29, |v23|, |v23|
	v_dual_sub_f32 v9, v24, v9 :: v_dual_sub_f32 v24, v31, v35
	s_delay_alu instid0(VALU_DEP_4) | instskip(NEXT) | instid1(VALU_DEP_2)
	v_mov_b32_e32 v35, v30
	v_ldexp_f32 v9, v9, 1
	s_delay_alu instid0(VALU_DEP_3) | instskip(SKIP_1) | instid1(VALU_DEP_2)
	v_sub_f32_e32 v24, v33, v24
	v_pk_add_f32 v[32:33], v[30:31], v[32:33] neg_lo:[0,1] neg_hi:[0,1]
	v_dual_add_f32 v37, v9, v24 :: v_dual_max_num_f32 v9, v39, v29
	v_min_num_f32_e32 v29, v39, v29
	s_delay_alu instid0(VALU_DEP_2) | instskip(NEXT) | instid1(VALU_DEP_3)
	v_pk_add_f32 v[40:41], v[30:31], v[36:37]
	v_frexp_mant_f32_e32 v24, v9
	v_frexp_exp_i32_f32_e32 v9, v9
	s_delay_alu instid0(VALU_DEP_4)
	v_frexp_exp_i32_f32_e32 v39, v29
	v_frexp_mant_f32_e32 v29, v29
	v_mov_b32_e32 v33, v41
	v_rcp_f32_e32 v36, v24
	v_mov_b32_e32 v46, v31
	v_sub_nc_u32_e32 v9, v39, v9
	s_delay_alu instid0(VALU_DEP_3)
	v_pk_add_f32 v[42:43], v[34:35], v[32:33]
	v_mov_b32_e32 v42, v41
	s_delay_alu instid0(TRANS32_DEP_1) | instid1(VALU_DEP_2)
	v_dual_mul_f32 v29, v29, v36 :: v_dual_mov_b32 v24, v43
	v_pk_add_f32 v[32:33], v[34:35], v[32:33] neg_lo:[0,1] neg_hi:[0,1]
	s_delay_alu instid0(VALU_DEP_2) | instskip(NEXT) | instid1(VALU_DEP_3)
	v_ldexp_f32 v29, v29, v9
	v_pk_add_f32 v[44:45], v[24:25], v[30:31] neg_lo:[0,1] neg_hi:[0,1]
	v_dual_mov_b32 v31, v30 :: v_dual_mov_b32 v30, v37
	s_delay_alu instid0(VALU_DEP_2) | instskip(SKIP_1) | instid1(VALU_DEP_2)
	v_dual_mul_f32 v39, v29, v29 :: v_dual_mov_b32 v47, v44
	v_mov_b32_e32 v9, v44
	v_pk_add_f32 v[34:35], v[42:43], v[46:47] neg_lo:[0,1] neg_hi:[0,1]
	s_delay_alu instid0(VALU_DEP_2) | instskip(SKIP_1) | instid1(VALU_DEP_3)
	v_pk_add_f32 v[36:37], v[40:41], v[8:9] neg_lo:[0,1] neg_hi:[0,1]
	v_mov_b32_e32 v36, v32
	v_pk_add_f32 v[30:31], v[30:31], v[34:35] neg_lo:[0,1] neg_hi:[0,1]
	s_delay_alu instid0(VALU_DEP_1) | instskip(NEXT) | instid1(VALU_DEP_1)
	v_pk_add_f32 v[34:35], v[36:37], v[30:31]
	v_dual_fmaak_f32 v9, s28, v39, 0xbc7a590c :: v_dual_mov_b32 v36, v35
	s_delay_alu instid0(VALU_DEP_1) | instskip(NEXT) | instid1(VALU_DEP_1)
	v_pk_add_f32 v[36:37], v[34:35], v[36:37]
	v_pk_add_f32 v[40:41], v[24:25], v[36:37]
	s_delay_alu instid0(VALU_DEP_1) | instskip(NEXT) | instid1(VALU_DEP_1)
	v_dual_mov_b32 v33, v43 :: v_dual_mov_b32 v35, v40
	v_pk_add_f32 v[42:43], v[34:35], v[32:33] neg_lo:[0,1] neg_hi:[0,1]
	s_delay_alu instid0(VALU_DEP_1) | instskip(NEXT) | instid1(VALU_DEP_1)
	v_dual_fmaak_f32 v9, v39, v9, 0x3d29fb3f :: v_dual_sub_f32 v24, v34, v42
	v_dual_fmaak_f32 v9, v39, v9, 0xbd97d4d7 :: v_dual_sub_f32 v24, v32, v24
	s_delay_alu instid0(VALU_DEP_1) | instskip(NEXT) | instid1(VALU_DEP_1)
	v_fmaak_f32 v9, v39, v9, 0x3dd931b2
	v_fmaak_f32 v9, v39, v9, 0xbe1160e6
	s_delay_alu instid0(VALU_DEP_1) | instskip(NEXT) | instid1(VALU_DEP_1)
	v_fmaak_f32 v9, v39, v9, 0x3e4cb8bf
	v_fmaak_f32 v9, v39, v9, 0xbeaaaa62
	s_delay_alu instid0(VALU_DEP_1) | instskip(NEXT) | instid1(VALU_DEP_1)
	v_dual_mov_b32 v31, v36 :: v_dual_mul_f32 v9, v39, v9
	v_pk_add_f32 v[30:31], v[30:31], v[42:43] neg_lo:[0,1] neg_hi:[0,1]
	s_delay_alu instid0(VALU_DEP_1) | instskip(NEXT) | instid1(VALU_DEP_1)
	v_dual_fmac_f32 v29, v29, v9 :: v_dual_add_f32 v9, v30, v24
	v_dual_sub_f32 v24, 0x3fc90fdb, v29 :: v_dual_add_f32 v9, v9, v31
	s_delay_alu instid0(VALU_DEP_1) | instskip(SKIP_2) | instid1(VALU_DEP_3)
	v_dual_cndmask_b32 v24, v29, v24, s4 :: v_dual_add_f32 v9, v40, v9
	v_cndmask_b32_e64 v29, 0, 0x40490fdb, vcc_lo
	v_cmp_gt_f32_e32 vcc_lo, 0, v22
	v_sub_f32_e32 v30, 0x40490fdb, v24
	s_delay_alu instid0(VALU_DEP_4) | instskip(SKIP_1) | instid1(VALU_DEP_3)
	v_cndmask_b32_e64 v9, 0x7f800000, v9, s5
	v_cmp_class_f32_e64 s5, v23, 0x204
	v_cndmask_b32_e32 v22, v24, v30, vcc_lo
	v_cndmask_b32_e32 v24, 0x3f490fdb, v38, vcc_lo
	v_cmp_gt_f32_e64 vcc_lo, 0x33800000, |v28|
                                        ; implicit-def: $vgpr30
	v_cndmask_b32_e32 v9, v9, v28, vcc_lo
	v_cmp_eq_f32_e32 vcc_lo, 0, v23
	v_cndmask_b32_e32 v22, v22, v29, vcc_lo
	s_and_b32 vcc_lo, s5, s8
	s_delay_alu instid0(VALU_DEP_1)
	v_dual_mul_f32 v29, 0.5, v9 :: v_dual_cndmask_b32 v24, v22, v24
.LBB192_208:                            ;   in Loop: Header=BB192_145 Depth=1
	s_and_not1_saveexec_b32 s7, s7
	s_cbranch_execz .LBB192_210
; %bb.209:                              ;   in Loop: Header=BB192_145 Depth=1
	v_max_num_f32_e64 v9, |v23|, |v23|
	v_max_num_f32_e64 v24, |v22|, |v22|
	v_cmp_eq_f32_e64 s5, 0, v23
	v_cmp_gt_i32_e32 vcc_lo, 0, v22
	v_cmp_class_f32_e64 s8, v22, 0x204
	v_cmp_class_f32_e64 s9, v23, 0x204
	v_dual_max_num_f32 v28, v24, v9 :: v_dual_min_num_f32 v9, v24, v9
	s_delay_alu instid0(VALU_DEP_1) | instskip(SKIP_1) | instid1(VALU_DEP_2)
	v_frexp_mant_f32_e32 v29, v28
	v_frexp_exp_i32_f32_e32 v24, v28
	v_rcp_f32_e32 v28, v29
	v_nop
	v_frexp_exp_i32_f32_e32 v29, v9
	v_frexp_mant_f32_e32 v9, v9
	s_delay_alu instid0(VALU_DEP_2)
	v_sub_nc_u32_e32 v24, v29, v24
	s_delay_alu instid0(TRANS32_DEP_1) | instid1(VALU_DEP_2)
	v_mul_f32_e32 v9, v9, v28
	s_delay_alu instid0(VALU_DEP_1) | instskip(NEXT) | instid1(VALU_DEP_1)
	v_ldexp_f32 v9, v9, v24
	v_mul_f32_e32 v24, v9, v9
	s_delay_alu instid0(VALU_DEP_1) | instskip(NEXT) | instid1(VALU_DEP_1)
	v_fmaak_f32 v28, s28, v24, 0xbc7a590c
	v_fmaak_f32 v28, v24, v28, 0x3d29fb3f
	s_delay_alu instid0(VALU_DEP_1) | instskip(NEXT) | instid1(VALU_DEP_1)
	v_fmaak_f32 v28, v24, v28, 0xbd97d4d7
	v_fmaak_f32 v28, v24, v28, 0x3dd931b2
	;; [unrolled: 3-line block ×3, first 2 shown]
	s_delay_alu instid0(VALU_DEP_1) | instskip(NEXT) | instid1(VALU_DEP_1)
	v_fmaak_f32 v28, v24, v28, 0xbeaaaa62
	v_mul_f32_e32 v24, v24, v28
	v_cndmask_b32_e64 v28, 0, 0x40490fdb, vcc_lo
	v_cmp_gt_f32_e32 vcc_lo, 0, v22
	s_delay_alu instid0(VALU_DEP_3) | instskip(NEXT) | instid1(VALU_DEP_1)
	v_dual_fmac_f32 v9, v9, v24 :: v_dual_cndmask_b32 v22, 0x3f490fdb, v38
	v_sub_f32_e32 v24, 0x3fc90fdb, v9
	s_delay_alu instid0(VALU_DEP_1) | instskip(NEXT) | instid1(VALU_DEP_1)
	v_cndmask_b32_e64 v9, v9, v24, s4
	v_sub_f32_e32 v24, 0x40490fdb, v9
	s_delay_alu instid0(VALU_DEP_1) | instskip(SKIP_1) | instid1(VALU_DEP_1)
	v_dual_cndmask_b32 v9, v9, v24 :: v_dual_mul_f32 v24, 0.5, v30
	s_and_b32 vcc_lo, s9, s8
	v_mul_f32_e32 v29, v30, v24
	s_delay_alu instid0(VALU_DEP_2) | instskip(NEXT) | instid1(VALU_DEP_1)
	v_cndmask_b32_e64 v9, v9, v28, s5
	v_cndmask_b32_e32 v24, v9, v22, vcc_lo
.LBB192_210:                            ;   in Loop: Header=BB192_145 Depth=1
	s_or_b32 exec_lo, exec_lo, s7
.LBB192_211:                            ;   in Loop: Header=BB192_145 Depth=1
	s_delay_alu instid0(SALU_CYCLE_1)
	s_or_b32 exec_lo, exec_lo, s6
.LBB192_212:                            ;   in Loop: Header=BB192_145 Depth=1
	s_and_not1_saveexec_b32 s6, s30
	s_cbranch_execz .LBB192_214
; %bb.213:                              ;   in Loop: Header=BB192_145 Depth=1
	v_div_scale_f32 v9, null, 0x402df854, 0x402df854, v22
	v_div_scale_f32 v24, null, 0x402df854, 0x402df854, v23
	v_div_scale_f32 v32, vcc_lo, v22, 0x402df854, v22
	s_delay_alu instid0(VALU_DEP_3) | instskip(NEXT) | instid1(VALU_DEP_2)
	v_rcp_f32_e32 v28, v9
	v_rcp_f32_e32 v29, v24
	v_cmp_class_f32_e64 s7, v23, 0x204
	s_delay_alu instid0(TRANS32_DEP_2) | instskip(NEXT) | instid1(TRANS32_DEP_1)
	v_fma_f32 v30, -v9, v28, 1.0
	v_fma_f32 v31, -v24, v29, 1.0
	s_delay_alu instid0(VALU_DEP_1) | instskip(SKIP_1) | instid1(VALU_DEP_1)
	v_dual_fmac_f32 v28, v30, v28 :: v_dual_fmac_f32 v29, v31, v29
	v_div_scale_f32 v30, s5, v23, 0x402df854, v23
	v_dual_mul_f32 v31, v32, v28 :: v_dual_mul_f32 v33, v30, v29
	s_delay_alu instid0(VALU_DEP_1) | instskip(NEXT) | instid1(VALU_DEP_1)
	v_dual_fma_f32 v34, -v9, v31, v32 :: v_dual_fma_f32 v35, -v24, v33, v30
	v_dual_fmac_f32 v31, v34, v28 :: v_dual_fmac_f32 v33, v35, v29
	s_delay_alu instid0(VALU_DEP_1) | instskip(NEXT) | instid1(VALU_DEP_1)
	v_dual_fma_f32 v9, -v9, v31, v32 :: v_dual_fma_f32 v24, -v24, v33, v30
	v_div_fmas_f32 v9, v9, v28, v31
	s_mov_b32 vcc_lo, s5
	v_max_num_f32_e64 v31, |v22|, |v22|
	s_delay_alu instid0(VALU_DEP_3) | instskip(SKIP_2) | instid1(VALU_DEP_3)
	v_div_fmas_f32 v24, v24, v29, v33
	v_cmp_class_f32_e64 s5, v22, 0x204
	v_div_fixup_f32 v9, v9, 0x402df854, v22
	v_div_fixup_f32 v24, v24, 0x402df854, v23
	s_delay_alu instid0(VALU_DEP_1) | instskip(NEXT) | instid1(VALU_DEP_1)
	v_max_num_f32_e64 v30, |v9|, |v24|
	v_cvt_f64_f32_e32 v[28:29], v30
	v_cmp_neq_f32_e32 vcc_lo, 0x7f800000, v30
	s_delay_alu instid0(VALU_DEP_2) | instskip(SKIP_1) | instid1(VALU_DEP_1)
	v_frexp_exp_i32_f64_e32 v28, v[28:29]
	v_max_num_f32_e64 v29, |v23|, |v23|
	v_dual_max_num_f32 v32, v31, v29 :: v_dual_min_num_f32 v29, v31, v29
	s_delay_alu instid0(VALU_DEP_1) | instskip(SKIP_1) | instid1(VALU_DEP_2)
	v_frexp_mant_f32_e32 v33, v32
	v_frexp_exp_i32_f32_e32 v31, v32
	v_rcp_f32_e32 v32, v33
	v_nop
	v_frexp_exp_i32_f32_e32 v33, v29
	v_frexp_mant_f32_e32 v29, v29
	s_delay_alu instid0(VALU_DEP_2)
	v_sub_nc_u32_e32 v31, v33, v31
	s_delay_alu instid0(TRANS32_DEP_1) | instid1(VALU_DEP_2)
	v_mul_f32_e32 v29, v29, v32
	v_sub_nc_u32_e32 v32, 0, v28
	s_delay_alu instid0(VALU_DEP_2) | instskip(NEXT) | instid1(VALU_DEP_2)
	v_ldexp_f32 v29, v29, v31
	v_ldexp_f32 v24, |v24|, v32
	s_delay_alu instid0(VALU_DEP_2) | instskip(SKIP_1) | instid1(VALU_DEP_3)
	v_mul_f32_e32 v31, v29, v29
	v_ldexp_f32 v9, |v9|, v32
	v_mul_f32_e32 v24, v24, v24
	s_delay_alu instid0(VALU_DEP_3) | instskip(NEXT) | instid1(VALU_DEP_1)
	v_fmaak_f32 v32, s28, v31, 0xbc7a590c
	v_dual_fmac_f32 v24, v9, v9 :: v_dual_fmaak_f32 v9, v31, v32, 0x3d29fb3f
	s_delay_alu instid0(VALU_DEP_1) | instskip(NEXT) | instid1(VALU_DEP_1)
	v_sqrt_f32_e32 v24, v24
	v_fmaak_f32 v9, v31, v9, 0xbd97d4d7
	s_delay_alu instid0(VALU_DEP_1) | instskip(NEXT) | instid1(TRANS32_DEP_1)
	v_fmaak_f32 v9, v31, v9, 0x3dd931b2
	v_ldexp_f32 v24, v24, v28
	s_delay_alu instid0(VALU_DEP_2) | instskip(NEXT) | instid1(VALU_DEP_1)
	v_fmaak_f32 v9, v31, v9, 0xbe1160e6
	v_fmaak_f32 v9, v31, v9, 0x3e4cb8bf
	s_delay_alu instid0(VALU_DEP_1) | instskip(NEXT) | instid1(VALU_DEP_1)
	v_fmaak_f32 v9, v31, v9, 0xbeaaaa62
	v_dual_cndmask_b32 v24, 0x7f800000, v24 :: v_dual_mul_f32 v9, v31, v9
	s_delay_alu instid0(VALU_DEP_1) | instskip(NEXT) | instid1(VALU_DEP_2)
	v_cmp_gt_f32_e32 vcc_lo, 0x800000, v24
	v_fmac_f32_e32 v29, v29, v9
	v_cndmask_b32_e64 v28, 0, 32, vcc_lo
	v_cndmask_b32_e64 v31, 0, 0x41b17218, vcc_lo
	s_delay_alu instid0(VALU_DEP_2) | instskip(NEXT) | instid1(VALU_DEP_1)
	v_ldexp_f32 v24, v24, v28
	v_log_f32_e32 v24, v24
	v_nop
	s_delay_alu instid0(TRANS32_DEP_1) | instskip(SKIP_1) | instid1(VALU_DEP_2)
	v_mul_f32_e32 v28, 0x3f317217, v24
	v_cmp_gt_f32_e64 vcc_lo, 0x7f800000, |v24|
	v_fma_f32 v9, 0x3f317217, v24, -v28
	s_delay_alu instid0(VALU_DEP_1) | instskip(NEXT) | instid1(VALU_DEP_1)
	v_fmac_f32_e32 v9, 0x3377d1cf, v24
	v_fmac_f32_e32 v9, 0x3f317217, v24
	s_delay_alu instid0(VALU_DEP_1) | instskip(SKIP_2) | instid1(VALU_DEP_3)
	v_cndmask_b32_e32 v9, v24, v9, vcc_lo
	v_sub_f32_e32 v28, 0x3fc90fdb, v29
	v_cmp_eq_f32_e32 vcc_lo, 0, v23
	v_sub_f32_e32 v9, v9, v31
	s_delay_alu instid0(VALU_DEP_3) | instskip(SKIP_1) | instid1(VALU_DEP_2)
	v_cndmask_b32_e64 v28, v29, v28, s4
	v_cmp_gt_i32_e64 s4, 0, v22
	v_sub_f32_e32 v30, 0x40490fdb, v28
	s_delay_alu instid0(VALU_DEP_2) | instskip(SKIP_1) | instid1(VALU_DEP_1)
	v_cndmask_b32_e64 v29, 0, 0x40490fdb, s4
	v_cmp_gt_f32_e64 s4, 0, v22
	v_cndmask_b32_e64 v22, v28, v30, s4
	v_cndmask_b32_e64 v24, 0x3f490fdb, v38, s4
	s_delay_alu instid0(VALU_DEP_2) | instskip(SKIP_1) | instid1(VALU_DEP_1)
	v_cndmask_b32_e32 v22, v22, v29, vcc_lo
	s_and_b32 vcc_lo, s7, s5
	v_dual_add_f32 v29, 1.0, v9 :: v_dual_cndmask_b32 v24, v22, v24
.LBB192_214:                            ;   in Loop: Header=BB192_145 Depth=1
	s_or_b32 exec_lo, exec_lo, s6
.LBB192_215:                            ;   in Loop: Header=BB192_145 Depth=1
	s_and_not1_saveexec_b32 s4, s29
	s_cbranch_execz .LBB192_221
; %bb.216:                              ;   in Loop: Header=BB192_145 Depth=1
	v_cmp_ngt_f32_e64 s5, 0x20000000, |v22|
	v_cmp_ngt_f32_e64 s6, 0x20000000, |v23|
                                        ; implicit-def: $vgpr9
	s_or_b32 s5, s6, s5
	s_delay_alu instid0(SALU_CYCLE_1) | instskip(NEXT) | instid1(SALU_CYCLE_1)
	s_and_saveexec_b32 s6, s5
	s_xor_b32 s5, exec_lo, s6
; %bb.217:                              ;   in Loop: Header=BB192_145 Depth=1
	v_pk_mul_f32 v[28:29], v[22:23], v[22:23]
	s_delay_alu instid0(VALU_DEP_1)
	v_add_f32_e32 v9, v29, v28
; %bb.218:                              ;   in Loop: Header=BB192_145 Depth=1
	s_and_not1_saveexec_b32 s5, s5
; %bb.219:                              ;   in Loop: Header=BB192_145 Depth=1
	v_pk_mul_f32 v[28:29], v[22:23], 4.0 op_sel_hi:[1,0]
	s_delay_alu instid0(VALU_DEP_1) | instskip(NEXT) | instid1(VALU_DEP_1)
	v_pk_mul_f32 v[28:29], v[28:29], v[28:29]
	v_add_f32_e32 v9, v29, v28
	s_delay_alu instid0(VALU_DEP_1)
	v_mul_f32_e32 v9, 0x3d800000, v9
; %bb.220:                              ;   in Loop: Header=BB192_145 Depth=1
	s_or_b32 exec_lo, exec_lo, s5
	s_delay_alu instid0(VALU_DEP_1) | instskip(SKIP_2) | instid1(VALU_DEP_2)
	v_cmp_gt_f32_e32 vcc_lo, 0x800000, v9
	v_cndmask_b32_e64 v22, 0, 32, vcc_lo
	v_cndmask_b32_e64 v24, 0, 0x41b17218, vcc_lo
	v_ldexp_f32 v9, v9, v22
	s_delay_alu instid0(VALU_DEP_1) | instskip(SKIP_1) | instid1(TRANS32_DEP_1)
	v_log_f32_e32 v9, v9
	v_nop
	v_mul_f32_e32 v22, 0x3f317217, v9
	v_cmp_gt_f32_e64 vcc_lo, 0x7f800000, |v9|
	s_delay_alu instid0(VALU_DEP_2) | instskip(NEXT) | instid1(VALU_DEP_1)
	v_fma_f32 v22, 0x3f317217, v9, -v22
	v_fmac_f32_e32 v22, 0x3377d1cf, v9
	s_delay_alu instid0(VALU_DEP_1) | instskip(NEXT) | instid1(VALU_DEP_1)
	v_fmac_f32_e32 v22, 0x3f317217, v9
	v_cndmask_b32_e32 v9, v9, v22, vcc_lo
	s_delay_alu instid0(VALU_DEP_1)
	v_dual_sub_f32 v29, v9, v24 :: v_dual_mov_b32 v24, 0x7fc00000
.LBB192_221:                            ;   in Loop: Header=BB192_145 Depth=1
	s_or_b32 exec_lo, exec_lo, s4
                                        ; implicit-def: $vgpr31
                                        ; implicit-def: $vgpr22
	s_delay_alu instid0(SALU_CYCLE_1)
	s_mov_b32 s4, exec_lo
	v_cmpx_o_f32_e32 v11, v10
	s_xor_b32 s29, exec_lo, s4
	s_cbranch_execz .LBB192_249
; %bb.222:                              ;   in Loop: Header=BB192_145 Depth=1
	v_cmp_lt_f32_e64 s4, |v10|, |v11|
                                        ; implicit-def: $vgpr31
                                        ; implicit-def: $vgpr22
	s_mov_b32 s6, exec_lo
	v_cndmask_b32_e64 v9, v11, v10, s4
	s_delay_alu instid0(VALU_DEP_1)
	v_cmpx_nlt_f32_e64 0x77f684df, |v9|
	s_xor_b32 s30, exec_lo, s6
	s_cbranch_execz .LBB192_246
; %bb.223:                              ;   in Loop: Header=BB192_145 Depth=1
	v_cndmask_b32_e64 v22, v10, v11, s4
	v_and_b32_e32 v32, 0x7fffffff, v9
                                        ; implicit-def: $vgpr31
	s_mov_b32 s5, exec_lo
	s_delay_alu instid0(VALU_DEP_2) | instskip(NEXT) | instid1(VALU_DEP_1)
	v_and_b32_e32 v33, 0x7fffffff, v22
                                        ; implicit-def: $vgpr22
	v_cmpx_neq_f32_e32 1.0, v33
	s_xor_b32 s31, exec_lo, s5
	s_cbranch_execz .LBB192_239
; %bb.224:                              ;   in Loop: Header=BB192_145 Depth=1
	v_dual_max_num_f32 v9, v32, v32 :: v_dual_max_num_f32 v22, v33, v33
                                        ; implicit-def: $vgpr31
	s_delay_alu instid0(VALU_DEP_1) | instskip(NEXT) | instid1(VALU_DEP_1)
	v_dual_min_num_f32 v28, v22, v9 :: v_dual_max_num_f32 v9, v22, v9
                                        ; implicit-def: $vgpr22
	v_cmp_ngt_f32_e32 vcc_lo, 0x358637bd, v28
	s_delay_alu instid0(VALU_DEP_2) | instskip(SKIP_1) | instid1(SALU_CYCLE_1)
	v_cmp_nlt_f32_e64 s5, 0x49742400, v9
	s_and_b32 s5, s5, vcc_lo
	s_and_saveexec_b32 s6, s5
	s_delay_alu instid0(SALU_CYCLE_1)
	s_xor_b32 s33, exec_lo, s6
	s_cbranch_execz .LBB192_236
; %bb.225:                              ;   in Loop: Header=BB192_145 Depth=1
                                        ; implicit-def: $vgpr31
                                        ; implicit-def: $vgpr22
	s_mov_b32 s5, exec_lo
	v_cmpx_le_f32_e32 1.0, v33
	s_xor_b32 s6, exec_lo, s5
	s_cbranch_execz .LBB192_227
; %bb.226:                              ;   in Loop: Header=BB192_145 Depth=1
	v_pk_add_f32 v[30:31], v[32:33], v[6:7] op_sel:[1,0]
	v_mov_b32_e32 v34, v32
	v_cmp_class_f32_e64 s7, v10, 0x204
	s_delay_alu instid0(VALU_DEP_3) | instskip(SKIP_1) | instid1(VALU_DEP_1)
	v_dual_mov_b32 v33, v30 :: v_dual_mov_b32 v35, v31
	v_mul_f32_e32 v22, v30, v31
	v_pk_fma_f32 v[30:31], v[32:33], v[34:35], v[22:23] op_sel_hi:[1,1,0]
	s_delay_alu instid0(VALU_DEP_1) | instskip(SKIP_1) | instid1(VALU_DEP_2)
	v_add_f32_e32 v33, 1.0, v30
	v_cmp_neq_f32_e64 s5, -1.0, v30
	v_add_f32_e32 v31, -1.0, v33
	s_delay_alu instid0(VALU_DEP_1) | instskip(SKIP_2) | instid1(VALU_DEP_1)
	v_mov_b32_e32 v32, v31
	v_cvt_f64_f32_e32 v[34:35], v33
	v_frexp_mant_f32_e32 v22, v33
	v_cmp_gt_f32_e32 vcc_lo, 0x3f2aaaab, v22
	s_delay_alu instid0(VALU_DEP_3) | instskip(SKIP_1) | instid1(VALU_DEP_1)
	v_frexp_exp_i32_f64_e32 v9, v[34:35]
	v_pk_add_f32 v[34:35], v[30:31], v[32:33] neg_lo:[0,1] neg_hi:[0,1]
	v_add_f32_e32 v31, 1.0, v35
	s_delay_alu instid0(VALU_DEP_3) | instskip(SKIP_1) | instid1(VALU_DEP_2)
	v_subrev_co_ci_u32_e64 v9, null, 0, v9, vcc_lo
	v_cmp_neq_f32_e32 vcc_lo, 0x7f800000, v30
	v_sub_nc_u32_e32 v22, 0, v9
	s_delay_alu instid0(VALU_DEP_1) | instskip(NEXT) | instid1(VALU_DEP_1)
	v_ldexp_f32 v28, v33, v22
	v_dual_add_f32 v32, 1.0, v28 :: v_dual_add_f32 v31, v34, v31
	s_delay_alu instid0(VALU_DEP_1) | instskip(SKIP_1) | instid1(VALU_DEP_3)
	v_add_f32_e32 v33, -1.0, v32
	v_add_f32_e32 v37, -1.0, v28
	v_ldexp_f32 v22, v31, v22
	s_delay_alu instid0(VALU_DEP_3) | instskip(NEXT) | instid1(VALU_DEP_1)
	v_sub_f32_e32 v31, v28, v33
	v_dual_add_f32 v33, 1.0, v37 :: v_dual_add_f32 v31, v22, v31
	s_delay_alu instid0(VALU_DEP_1) | instskip(NEXT) | instid1(VALU_DEP_1)
	v_sub_f32_e32 v28, v28, v33
	v_dual_add_f32 v39, v32, v31 :: v_dual_add_f32 v22, v22, v28
	s_delay_alu instid0(VALU_DEP_1) | instskip(NEXT) | instid1(VALU_DEP_1)
	v_rcp_f32_e32 v28, v39
	v_add_f32_e32 v33, v37, v22
	s_delay_alu instid0(TRANS32_DEP_1) | instid1(VALU_DEP_1)
	v_dual_sub_f32 v41, v33, v37 :: v_dual_mul_f32 v40, v33, v28
	s_delay_alu instid0(VALU_DEP_1) | instskip(NEXT) | instid1(VALU_DEP_1)
	v_dual_sub_f32 v22, v22, v41 :: v_dual_mul_f32 v34, v39, v40
	v_dual_sub_f32 v32, v39, v32 :: v_dual_fma_f32 v36, v40, v39, -v34
	s_delay_alu instid0(VALU_DEP_1) | instskip(NEXT) | instid1(VALU_DEP_1)
	v_sub_f32_e32 v31, v31, v32
	v_fmac_f32_e32 v36, v40, v31
	s_delay_alu instid0(VALU_DEP_1) | instskip(NEXT) | instid1(VALU_DEP_1)
	v_add_f32_e32 v32, v34, v36
	v_dual_sub_f32 v35, v33, v32 :: v_dual_mov_b32 v37, v32
	s_delay_alu instid0(VALU_DEP_1) | instskip(NEXT) | instid1(VALU_DEP_1)
	v_pk_add_f32 v[32:33], v[32:33], v[34:35] neg_lo:[0,1] neg_hi:[0,1]
	v_pk_add_f32 v[32:33], v[32:33], v[36:37] neg_lo:[0,1] neg_hi:[0,1]
	s_delay_alu instid0(VALU_DEP_1) | instskip(NEXT) | instid1(VALU_DEP_1)
	v_add_f32_e32 v22, v22, v33
	v_add_f32_e32 v22, v32, v22
	s_delay_alu instid0(VALU_DEP_1) | instskip(NEXT) | instid1(VALU_DEP_1)
	v_add_f32_e32 v33, v35, v22
	v_mul_f32_e32 v41, v28, v33
	s_delay_alu instid0(VALU_DEP_1) | instskip(NEXT) | instid1(VALU_DEP_1)
	v_mul_f32_e32 v36, v39, v41
	v_fma_f32 v34, v41, v39, -v36
	s_delay_alu instid0(VALU_DEP_1) | instskip(NEXT) | instid1(VALU_DEP_1)
	v_dual_fmac_f32 v34, v41, v31 :: v_dual_sub_f32 v31, v35, v33
	v_dual_add_f32 v32, v36, v34 :: v_dual_add_f32 v22, v22, v31
	s_delay_alu instid0(VALU_DEP_1) | instskip(NEXT) | instid1(VALU_DEP_1)
	v_dual_sub_f32 v37, v33, v32 :: v_dual_mov_b32 v35, v32
	v_pk_add_f32 v[32:33], v[32:33], v[36:37] neg_lo:[0,1] neg_hi:[0,1]
	s_delay_alu instid0(VALU_DEP_1) | instskip(NEXT) | instid1(VALU_DEP_1)
	v_pk_add_f32 v[32:33], v[32:33], v[34:35] neg_lo:[0,1] neg_hi:[0,1]
	v_add_f32_e32 v22, v22, v33
	s_delay_alu instid0(VALU_DEP_1) | instskip(NEXT) | instid1(VALU_DEP_1)
	v_add_f32_e32 v22, v32, v22
	v_dual_add_f32 v31, v40, v41 :: v_dual_add_f32 v22, v37, v22
	s_delay_alu instid0(VALU_DEP_1) | instskip(NEXT) | instid1(VALU_DEP_1)
	v_dual_sub_f32 v32, v31, v40 :: v_dual_mul_f32 v22, v28, v22
	v_sub_f32_e32 v32, v41, v32
	s_delay_alu instid0(VALU_DEP_1) | instskip(SKIP_1) | instid1(VALU_DEP_2)
	v_add_f32_e32 v22, v32, v22
	v_cvt_f32_i32_e32 v32, v9
	v_add_f32_e32 v28, v31, v22
	s_delay_alu instid0(VALU_DEP_1) | instskip(NEXT) | instid1(VALU_DEP_1)
	v_mul_f32_e32 v34, v28, v28
	v_fmaak_f32 v35, s27, v34, 0x3ecc95a3
	v_mul_f32_e32 v33, v28, v34
	s_delay_alu instid0(VALU_DEP_2) | instskip(NEXT) | instid1(VALU_DEP_1)
	v_fmaak_f32 v9, v34, v35, 0x3f2aaada
	v_pk_mul_f32 v[34:35], v[32:33], v[8:9]
	v_sub_f32_e32 v9, v28, v31
	s_delay_alu instid0(VALU_DEP_2) | instskip(NEXT) | instid1(VALU_DEP_2)
	v_fma_f32 v36, 0x3f317218, v32, -v34
	v_sub_f32_e32 v9, v22, v9
	v_ldexp_f32 v37, v28, 1
	v_mov_b32_e32 v40, v34
	s_delay_alu instid0(VALU_DEP_4) | instskip(NEXT) | instid1(VALU_DEP_4)
	v_fmac_f32_e32 v36, 0xb102e308, v32
	v_ldexp_f32 v9, v9, 1
	s_delay_alu instid0(VALU_DEP_2) | instskip(NEXT) | instid1(VALU_DEP_1)
	v_pk_add_f32 v[32:33], v[34:35], v[36:37]
	v_dual_sub_f32 v22, v33, v37 :: v_dual_mov_b32 v37, v32
	s_delay_alu instid0(VALU_DEP_1) | instskip(SKIP_1) | instid1(VALU_DEP_2)
	v_dual_mov_b32 v48, v33 :: v_dual_sub_f32 v22, v35, v22
	v_pk_add_f32 v[34:35], v[32:33], v[34:35] neg_lo:[0,1] neg_hi:[0,1]
	v_add_f32_e32 v41, v9, v22
	v_max_num_f32_e64 v9, |v11|, |v11|
	v_max_num_f32_e64 v22, |v10|, |v10|
	s_delay_alu instid0(VALU_DEP_3) | instskip(NEXT) | instid1(VALU_DEP_1)
	v_pk_add_f32 v[42:43], v[32:33], v[40:41]
	v_dual_max_num_f32 v28, v22, v9 :: v_dual_mov_b32 v35, v43
	s_delay_alu instid0(VALU_DEP_1) | instskip(SKIP_1) | instid1(VALU_DEP_3)
	v_frexp_exp_i32_f32_e32 v31, v28
	v_frexp_mant_f32_e32 v28, v28
	v_pk_add_f32 v[44:45], v[36:37], v[34:35]
	v_min_num_f32_e32 v9, v22, v9
	v_pk_add_f32 v[34:35], v[36:37], v[34:35] neg_lo:[0,1] neg_hi:[0,1]
	s_delay_alu instid0(VALU_DEP_4) | instskip(NEXT) | instid1(VALU_DEP_3)
	v_rcp_f32_e32 v28, v28
	v_mov_b32_e32 v22, v45
	s_delay_alu instid0(VALU_DEP_3) | instskip(SKIP_2) | instid1(VALU_DEP_4)
	v_frexp_exp_i32_f32_e32 v39, v9
	v_frexp_mant_f32_e32 v40, v9
	v_mov_b32_e32 v35, v45
	v_pk_add_f32 v[46:47], v[22:23], v[32:33] neg_lo:[0,1] neg_hi:[0,1]
	s_delay_alu instid0(VALU_DEP_4) | instskip(SKIP_1) | instid1(VALU_DEP_3)
	v_sub_nc_u32_e32 v31, v39, v31
	v_dual_mov_b32 v44, v43 :: v_dual_mov_b32 v33, v32
	v_dual_mov_b32 v32, v41 :: v_dual_mov_b32 v49, v46
	v_dual_mov_b32 v9, v46 :: v_dual_mul_f32 v28, v40, v28
	s_delay_alu instid0(VALU_DEP_2) | instskip(NEXT) | instid1(VALU_DEP_2)
	v_pk_add_f32 v[36:37], v[44:45], v[48:49] neg_lo:[0,1] neg_hi:[0,1]
	v_pk_add_f32 v[40:41], v[42:43], v[8:9] neg_lo:[0,1] neg_hi:[0,1]
	s_delay_alu instid0(VALU_DEP_3) | instskip(SKIP_1) | instid1(VALU_DEP_4)
	v_ldexp_f32 v9, v28, v31
	v_mov_b32_e32 v40, v34
	v_pk_add_f32 v[32:33], v[32:33], v[36:37] neg_lo:[0,1] neg_hi:[0,1]
	s_delay_alu instid0(VALU_DEP_3) | instskip(NEXT) | instid1(VALU_DEP_2)
	v_mul_f32_e32 v31, v9, v9
	v_pk_add_f32 v[36:37], v[40:41], v[32:33]
	s_delay_alu instid0(VALU_DEP_1) | instskip(NEXT) | instid1(VALU_DEP_1)
	v_dual_fmaak_f32 v33, s28, v31, 0xbc7a590c :: v_dual_mov_b32 v28, v37
	v_pk_add_f32 v[40:41], v[36:37], v[28:29]
	s_delay_alu instid0(VALU_DEP_2) | instskip(NEXT) | instid1(VALU_DEP_2)
	v_fmaak_f32 v28, v31, v33, 0x3d29fb3f
	v_pk_add_f32 v[42:43], v[22:23], v[40:41]
	s_delay_alu instid0(VALU_DEP_2) | instskip(NEXT) | instid1(VALU_DEP_1)
	v_dual_fmaak_f32 v22, v31, v28, 0xbd97d4d7 :: v_dual_mov_b32 v33, v40
	v_dual_mov_b32 v37, v42 :: v_dual_fmaak_f32 v22, v31, v22, 0x3dd931b2
	s_delay_alu instid0(VALU_DEP_1) | instskip(NEXT) | instid1(VALU_DEP_2)
	v_pk_add_f32 v[44:45], v[36:37], v[34:35] neg_lo:[0,1] neg_hi:[0,1]
	v_fmaak_f32 v22, v31, v22, 0xbe1160e6
	s_delay_alu instid0(VALU_DEP_2) | instskip(NEXT) | instid1(VALU_DEP_2)
	v_pk_add_f32 v[32:33], v[32:33], v[44:45] neg_lo:[0,1] neg_hi:[0,1]
	v_fmaak_f32 v22, v31, v22, 0x3e4cb8bf
	s_delay_alu instid0(VALU_DEP_1) | instskip(NEXT) | instid1(VALU_DEP_1)
	v_fmaak_f32 v22, v31, v22, 0xbeaaaa62
	v_dual_sub_f32 v28, v36, v44 :: v_dual_mul_f32 v22, v31, v22
	s_delay_alu instid0(VALU_DEP_1) | instskip(NEXT) | instid1(VALU_DEP_1)
	v_dual_sub_f32 v28, v34, v28 :: v_dual_fmac_f32 v9, v9, v22
	v_add_f32_e32 v28, v32, v28
	s_delay_alu instid0(VALU_DEP_1) | instskip(NEXT) | instid1(VALU_DEP_1)
	v_add_f32_e32 v28, v28, v33
                                        ; implicit-def: $vgpr32_vgpr33
	v_add_f32_e32 v22, v42, v28
	s_delay_alu instid0(VALU_DEP_4) | instskip(NEXT) | instid1(VALU_DEP_1)
	v_sub_f32_e32 v28, 0x3fc90fdb, v9
	v_cndmask_b32_e64 v9, v9, v28, s4
	s_delay_alu instid0(VALU_DEP_3) | instskip(SKIP_1) | instid1(VALU_DEP_3)
	v_cndmask_b32_e32 v22, 0x7f800000, v22, vcc_lo
	v_cmp_gt_i32_e32 vcc_lo, 0, v10
	v_sub_f32_e32 v31, 0x40490fdb, v9
	v_cndmask_b32_e64 v28, 0, 0x40490fdb, vcc_lo
	v_cmp_ngt_f32_e32 vcc_lo, -1.0, v30
	v_cndmask_b32_e32 v22, 0x7fc00000, v22, vcc_lo
	v_cmp_gt_f32_e32 vcc_lo, 0, v10
	s_delay_alu instid0(VALU_DEP_2)
	v_cndmask_b32_e64 v10, 0xff800000, v22, s5
	v_cndmask_b32_e32 v9, v9, v31, vcc_lo
	v_cndmask_b32_e32 v22, 0x3f490fdb, v38, vcc_lo
	v_cmp_gt_f32_e64 vcc_lo, 0x33800000, |v30|
	v_cmp_class_f32_e64 s5, v11, 0x204
	v_cndmask_b32_e32 v10, v10, v30, vcc_lo
	v_cmp_eq_f32_e32 vcc_lo, 0, v11
	s_delay_alu instid0(VALU_DEP_2) | instskip(SKIP_1) | instid1(VALU_DEP_1)
	v_dual_mul_f32 v31, 0.5, v10 :: v_dual_cndmask_b32 v9, v9, v28, vcc_lo
	s_and_b32 vcc_lo, s5, s7
	v_cndmask_b32_e32 v22, v9, v22, vcc_lo
.LBB192_227:                            ;   in Loop: Header=BB192_145 Depth=1
	s_and_not1_saveexec_b32 s34, s6
	s_cbranch_execz .LBB192_235
; %bb.228:                              ;   in Loop: Header=BB192_145 Depth=1
	v_pk_mul_f32 v[30:31], v[32:33], v[32:33]
                                        ; implicit-def: $vgpr22
	s_mov_b32 s5, exec_lo
	s_delay_alu instid0(VALU_DEP_1) | instskip(NEXT) | instid1(VALU_DEP_1)
	v_add_f32_e32 v9, v31, v30
                                        ; implicit-def: $vgpr31
	v_cmpx_ge_f32_e32 0x3f333333, v9
	s_xor_b32 s6, exec_lo, s5
	s_cbranch_execz .LBB192_230
; %bb.229:                              ;   in Loop: Header=BB192_145 Depth=1
	v_max_num_f32_e64 v22, |v11|, |v11|
	v_max_num_f32_e64 v28, |v10|, |v10|
	v_cmp_gt_f32_e32 vcc_lo, 0x800000, v9
	v_cmp_gt_i32_e64 s5, 0, v10
	v_cmp_class_f32_e64 s7, v10, 0x204
	v_cmp_class_f32_e64 s8, v11, 0x204
	v_dual_max_num_f32 v30, v28, v22 :: v_dual_min_num_f32 v22, v28, v22
	v_cndmask_b32_e64 v32, 0, 0x41b17218, vcc_lo
	s_delay_alu instid0(VALU_DEP_2) | instskip(SKIP_1) | instid1(VALU_DEP_2)
	v_frexp_mant_f32_e32 v31, v30
	v_frexp_exp_i32_f32_e32 v28, v30
	v_rcp_f32_e32 v30, v31
	v_nop
	v_frexp_exp_i32_f32_e32 v31, v22
	v_frexp_mant_f32_e32 v22, v22
	s_delay_alu instid0(TRANS32_DEP_1) | instid1(VALU_DEP_1)
	v_dual_sub_nc_u32 v28, v31, v28 :: v_dual_mul_f32 v22, v22, v30
	v_cndmask_b32_e64 v31, 0, 32, vcc_lo
	s_delay_alu instid0(VALU_DEP_2) | instskip(NEXT) | instid1(VALU_DEP_2)
	v_ldexp_f32 v22, v22, v28
	v_ldexp_f32 v9, v9, v31
	s_delay_alu instid0(VALU_DEP_2) | instskip(NEXT) | instid1(VALU_DEP_2)
	v_mul_f32_e32 v28, v22, v22
	v_log_f32_e32 v9, v9
	s_delay_alu instid0(VALU_DEP_1) | instskip(NEXT) | instid1(TRANS32_DEP_1)
	v_fmaak_f32 v30, s28, v28, 0xbc7a590c
	v_cmp_gt_f32_e64 vcc_lo, 0x7f800000, |v9|
	s_delay_alu instid0(VALU_DEP_2) | instskip(NEXT) | instid1(VALU_DEP_1)
	v_fmaak_f32 v30, v28, v30, 0x3d29fb3f
	v_fmaak_f32 v30, v28, v30, 0xbd97d4d7
	s_delay_alu instid0(VALU_DEP_1) | instskip(NEXT) | instid1(VALU_DEP_1)
	v_fmaak_f32 v30, v28, v30, 0x3dd931b2
	v_fmaak_f32 v30, v28, v30, 0xbe1160e6
	s_delay_alu instid0(VALU_DEP_1) | instskip(NEXT) | instid1(VALU_DEP_1)
	v_fmaak_f32 v30, v28, v30, 0x3e4cb8bf
	v_fmaak_f32 v30, v28, v30, 0xbeaaaa62
	s_delay_alu instid0(VALU_DEP_1) | instskip(SKIP_1) | instid1(VALU_DEP_2)
	v_mul_f32_e32 v28, v28, v30
	v_mul_f32_e32 v30, 0x3f317217, v9
	v_fmac_f32_e32 v22, v22, v28
	s_delay_alu instid0(VALU_DEP_2) | instskip(NEXT) | instid1(VALU_DEP_2)
	v_fma_f32 v28, 0x3f317217, v9, -v30
	v_sub_f32_e32 v30, 0x3fc90fdb, v22
	s_delay_alu instid0(VALU_DEP_2) | instskip(NEXT) | instid1(VALU_DEP_2)
	v_fmac_f32_e32 v28, 0x3377d1cf, v9
	v_cndmask_b32_e64 v22, v22, v30, s4
	s_delay_alu instid0(VALU_DEP_2) | instskip(SKIP_2) | instid1(VALU_DEP_4)
	v_fmac_f32_e32 v28, 0x3f317217, v9
	v_cndmask_b32_e64 v30, 0, 0x40490fdb, s5
	v_cmp_eq_f32_e64 s5, 0, v11
	v_sub_f32_e32 v31, 0x40490fdb, v22
	s_delay_alu instid0(VALU_DEP_4) | instskip(SKIP_1) | instid1(VALU_DEP_2)
	v_cndmask_b32_e32 v9, v9, v28, vcc_lo
	v_cmp_gt_f32_e32 vcc_lo, 0, v10
	v_dual_sub_f32 v9, v9, v32 :: v_dual_cndmask_b32 v22, v22, v31
                                        ; implicit-def: $vgpr32
	s_delay_alu instid0(VALU_DEP_1) | instskip(SKIP_2) | instid1(VALU_DEP_1)
	v_dual_mul_f32 v31, 0.5, v9 :: v_dual_cndmask_b32 v10, v22, v30, s5
	v_cndmask_b32_e32 v22, 0x3f490fdb, v38, vcc_lo
	s_and_b32 vcc_lo, s8, s7
	v_cndmask_b32_e32 v22, v10, v22, vcc_lo
.LBB192_230:                            ;   in Loop: Header=BB192_145 Depth=1
	s_and_not1_saveexec_b32 s35, s6
	s_cbranch_execz .LBB192_234
; %bb.231:                              ;   in Loop: Header=BB192_145 Depth=1
	v_and_b32_e32 v31, 0x7fff0000, v32
	v_and_b32_e32 v30, 0x7fff0000, v33
	s_mov_b32 s36, 0
	s_delay_alu instid0(VALU_DEP_1) | instskip(SKIP_2) | instid1(VALU_DEP_2)
	v_dual_add_f32 v37, v31, v31 :: v_dual_add_f32 v22, v30, v30
	v_pk_add_f32 v[32:33], v[32:33], v[30:31] op_sel:[1,0] op_sel_hi:[0,1] neg_lo:[0,1] neg_hi:[0,1]
	v_pk_mul_f32 v[30:31], v[30:31], v[30:31]
	v_and_b32_e32 v35, 0xffff0000, v33
	s_delay_alu instid0(VALU_DEP_3) | instskip(NEXT) | instid1(VALU_DEP_1)
	v_and_b32_e32 v34, 0xffff0000, v32
	v_dual_add_f32 v41, v35, v35 :: v_dual_add_f32 v40, v34, v34
	v_pk_add_f32 v[32:33], v[32:33], v[34:35] neg_lo:[0,1] neg_hi:[0,1]
	v_dual_mul_f32 v9, v22, v34 :: v_dual_mul_f32 v36, v37, v35
	v_pk_mul_f32 v[34:35], v[34:35], v[34:35]
	s_delay_alu instid0(VALU_DEP_3)
	v_dual_mul_f32 v28, v22, v32 :: v_dual_mul_f32 v39, v37, v33
	v_dual_mul_f32 v22, v40, v32 :: v_dual_mul_f32 v37, v41, v33
	v_pk_mul_f32 v[32:33], v[32:33], v[32:33]
.LBB192_232:                            ;   Parent Loop BB192_145 Depth=1
                                        ; =>  This Inner Loop Header: Depth=2
	v_cmp_nlt_f32_e32 vcc_lo, v30, v31
	v_dual_cndmask_b32 v40, v30, v31, vcc_lo :: v_dual_cndmask_b32 v30, v31, v30, vcc_lo
	s_delay_alu instid0(VALU_DEP_1) | instskip(NEXT) | instid1(VALU_DEP_1)
	v_cmp_nlt_f32_e64 s5, v40, v9
	v_dual_cndmask_b32 v41, v40, v9, s5 :: v_dual_cndmask_b32 v31, v9, v40, s5
	s_and_b32 s5, vcc_lo, s5
	s_delay_alu instid0(VALU_DEP_1) | instskip(NEXT) | instid1(VALU_DEP_1)
	v_cmp_nlt_f32_e64 s6, v41, v36
	v_dual_cndmask_b32 v42, v41, v36, s6 :: v_dual_cndmask_b32 v9, v36, v41, s6
	s_delay_alu instid0(VALU_DEP_1) | instskip(NEXT) | instid1(VALU_DEP_1)
	v_cmp_nlt_f32_e64 s7, v42, v34
	v_cndmask_b32_e64 v40, v42, v34, s7
	s_and_b32 s37, s6, s7
	v_cndmask_b32_e64 v36, v34, v42, s7
	s_delay_alu instid0(VALU_DEP_2) | instskip(NEXT) | instid1(VALU_DEP_1)
	v_cmp_nlt_f32_e64 s8, v40, v35
	v_cndmask_b32_e64 v41, v40, v35, s8
	s_delay_alu instid0(VALU_DEP_1) | instskip(NEXT) | instid1(VALU_DEP_1)
	v_cmp_nlt_f32_e64 s9, v41, v28
	v_cndmask_b32_e64 v43, v41, v28, s9
	v_cndmask_b32_e64 v34, v35, v40, s8
	s_and_b32 s8, s8, s9
	s_delay_alu instid0(VALU_DEP_2) | instskip(NEXT) | instid1(VALU_DEP_1)
	v_cmp_nlt_f32_e64 s10, v43, v39
	v_dual_cndmask_b32 v35, v28, v41, s9 :: v_dual_cndmask_b32 v28, v39, v43, s10
	v_cndmask_b32_e64 v44, v43, v39, s10
	s_and_b32 s8, s8, s10
	s_delay_alu instid0(VALU_DEP_1) | instskip(NEXT) | instid1(VALU_DEP_1)
	v_cmp_nlt_f32_e64 s11, v44, v22
	v_cndmask_b32_e64 v42, v44, v22, s11
	s_and_b32 s9, s8, s11
	s_delay_alu instid0(VALU_DEP_1) | instskip(NEXT) | instid1(VALU_DEP_1)
	v_cmp_nlt_f32_e64 s6, v42, v37
	v_cndmask_b32_e64 v40, v42, v37, s6
	s_delay_alu instid0(VALU_DEP_1) | instskip(NEXT) | instid1(VALU_DEP_1)
	v_cmp_nlt_f32_e64 s7, v40, v32
	v_cndmask_b32_e64 v41, v40, v32, s7
	v_dual_cndmask_b32 v39, v22, v44, s11 :: v_dual_cndmask_b32 v22, v37, v42, s6
	s_and_b32 s6, s9, s6
	s_delay_alu instid0(VALU_DEP_2)
	v_cmp_nlt_f32_e64 s8, v41, v33
	s_and_b32 s6, s6, s7
	v_cndmask_b32_e64 v37, v32, v40, s7
	s_and_b32 s6, s6, s8
	v_cndmask_b32_e64 v32, v33, v41, s8
	;; [unrolled: 2-line block ×3, first 2 shown]
	s_and_b32 s5, s6, s5
	s_delay_alu instid0(SALU_CYCLE_1) | instskip(NEXT) | instid1(SALU_CYCLE_1)
	s_and_b32 s5, exec_lo, s5
	s_or_b32 s36, s5, s36
	s_delay_alu instid0(SALU_CYCLE_1)
	s_and_not1_b32 exec_lo, exec_lo, s36
	s_cbranch_execnz .LBB192_232
; %bb.233:                              ;   in Loop: Header=BB192_145 Depth=1
	s_or_b32 exec_lo, exec_lo, s36
	v_add_f32_e32 v30, -1.0, v30
	v_cmp_class_f32_e64 s6, v10, 0x204
	s_delay_alu instid0(VALU_DEP_2) | instskip(NEXT) | instid1(VALU_DEP_1)
	v_add_f32_e32 v30, v30, v31
	v_add_f32_e32 v9, v30, v9
	s_delay_alu instid0(VALU_DEP_1) | instskip(NEXT) | instid1(VALU_DEP_1)
	v_add_f32_e32 v9, v9, v36
	v_add_f32_e32 v9, v9, v34
	s_delay_alu instid0(VALU_DEP_1) | instskip(NEXT) | instid1(VALU_DEP_1)
	;; [unrolled: 3-line block ×5, first 2 shown]
	v_add_f32_e32 v30, v33, v9
	v_add_f32_e32 v33, 1.0, v30
	s_delay_alu instid0(VALU_DEP_1) | instskip(SKIP_2) | instid1(VALU_DEP_2)
	v_cvt_f64_f32_e32 v[34:35], v33
	v_frexp_mant_f32_e32 v22, v33
	v_add_f32_e32 v31, -1.0, v33
	v_cmp_gt_f32_e32 vcc_lo, 0x3f2aaaab, v22
	s_delay_alu instid0(VALU_DEP_2) | instskip(SKIP_1) | instid1(VALU_DEP_1)
	v_mov_b32_e32 v32, v31
	v_frexp_exp_i32_f64_e32 v9, v[34:35]
	v_subrev_co_ci_u32_e64 v9, null, 0, v9, vcc_lo
	s_delay_alu instid0(VALU_DEP_1) | instskip(NEXT) | instid1(VALU_DEP_4)
	v_sub_nc_u32_e32 v22, 0, v9
	v_pk_add_f32 v[34:35], v[30:31], v[32:33] neg_lo:[0,1] neg_hi:[0,1]
	v_cmp_neq_f32_e32 vcc_lo, 0x7f800000, v30
	v_cmp_neq_f32_e64 s5, -1.0, v30
	s_delay_alu instid0(VALU_DEP_4) | instskip(NEXT) | instid1(VALU_DEP_1)
	v_ldexp_f32 v28, v33, v22
	v_dual_add_f32 v31, 1.0, v35 :: v_dual_add_f32 v32, 1.0, v28
	s_delay_alu instid0(VALU_DEP_1) | instskip(SKIP_1) | instid1(VALU_DEP_2)
	v_dual_add_f32 v31, v34, v31 :: v_dual_add_f32 v33, -1.0, v32
	v_add_f32_e32 v37, -1.0, v28
	v_ldexp_f32 v22, v31, v22
	s_delay_alu instid0(VALU_DEP_3) | instskip(NEXT) | instid1(VALU_DEP_1)
	v_sub_f32_e32 v31, v28, v33
	v_dual_add_f32 v33, 1.0, v37 :: v_dual_add_f32 v31, v22, v31
	s_delay_alu instid0(VALU_DEP_1) | instskip(NEXT) | instid1(VALU_DEP_1)
	v_sub_f32_e32 v28, v28, v33
	v_dual_add_f32 v39, v32, v31 :: v_dual_add_f32 v22, v22, v28
	s_delay_alu instid0(VALU_DEP_1) | instskip(NEXT) | instid1(VALU_DEP_1)
	v_rcp_f32_e32 v28, v39
	v_add_f32_e32 v33, v37, v22
	s_delay_alu instid0(TRANS32_DEP_1) | instid1(VALU_DEP_1)
	v_dual_sub_f32 v41, v33, v37 :: v_dual_mul_f32 v40, v33, v28
	s_delay_alu instid0(VALU_DEP_1) | instskip(NEXT) | instid1(VALU_DEP_1)
	v_dual_sub_f32 v22, v22, v41 :: v_dual_mul_f32 v34, v39, v40
	v_dual_sub_f32 v32, v39, v32 :: v_dual_fma_f32 v36, v40, v39, -v34
	s_delay_alu instid0(VALU_DEP_1) | instskip(NEXT) | instid1(VALU_DEP_1)
	v_sub_f32_e32 v31, v31, v32
	v_fmac_f32_e32 v36, v40, v31
	s_delay_alu instid0(VALU_DEP_1) | instskip(NEXT) | instid1(VALU_DEP_1)
	v_add_f32_e32 v32, v34, v36
	v_dual_sub_f32 v35, v33, v32 :: v_dual_mov_b32 v37, v32
	s_delay_alu instid0(VALU_DEP_1) | instskip(NEXT) | instid1(VALU_DEP_1)
	v_pk_add_f32 v[32:33], v[32:33], v[34:35] neg_lo:[0,1] neg_hi:[0,1]
	v_pk_add_f32 v[32:33], v[32:33], v[36:37] neg_lo:[0,1] neg_hi:[0,1]
	s_delay_alu instid0(VALU_DEP_1) | instskip(NEXT) | instid1(VALU_DEP_1)
	v_add_f32_e32 v22, v22, v33
	v_add_f32_e32 v22, v32, v22
	s_delay_alu instid0(VALU_DEP_1) | instskip(NEXT) | instid1(VALU_DEP_1)
	v_add_f32_e32 v33, v35, v22
	v_mul_f32_e32 v41, v28, v33
	s_delay_alu instid0(VALU_DEP_1) | instskip(NEXT) | instid1(VALU_DEP_1)
	v_mul_f32_e32 v36, v39, v41
	v_fma_f32 v34, v41, v39, -v36
	s_delay_alu instid0(VALU_DEP_1) | instskip(NEXT) | instid1(VALU_DEP_1)
	v_dual_fmac_f32 v34, v41, v31 :: v_dual_sub_f32 v31, v35, v33
	v_dual_add_f32 v32, v36, v34 :: v_dual_add_f32 v22, v22, v31
	s_delay_alu instid0(VALU_DEP_1) | instskip(NEXT) | instid1(VALU_DEP_1)
	v_dual_sub_f32 v37, v33, v32 :: v_dual_mov_b32 v35, v32
	v_pk_add_f32 v[32:33], v[32:33], v[36:37] neg_lo:[0,1] neg_hi:[0,1]
	s_delay_alu instid0(VALU_DEP_1) | instskip(NEXT) | instid1(VALU_DEP_1)
	v_pk_add_f32 v[32:33], v[32:33], v[34:35] neg_lo:[0,1] neg_hi:[0,1]
	v_add_f32_e32 v22, v22, v33
	s_delay_alu instid0(VALU_DEP_1) | instskip(NEXT) | instid1(VALU_DEP_1)
	v_add_f32_e32 v22, v32, v22
	v_dual_add_f32 v31, v40, v41 :: v_dual_add_f32 v22, v37, v22
	s_delay_alu instid0(VALU_DEP_1) | instskip(NEXT) | instid1(VALU_DEP_1)
	v_dual_sub_f32 v32, v31, v40 :: v_dual_mul_f32 v22, v28, v22
	v_sub_f32_e32 v32, v41, v32
	s_delay_alu instid0(VALU_DEP_1) | instskip(SKIP_1) | instid1(VALU_DEP_2)
	v_add_f32_e32 v22, v32, v22
	v_cvt_f32_i32_e32 v32, v9
	v_add_f32_e32 v28, v31, v22
	s_delay_alu instid0(VALU_DEP_1) | instskip(NEXT) | instid1(VALU_DEP_1)
	v_mul_f32_e32 v34, v28, v28
	v_fmaak_f32 v35, s27, v34, 0x3ecc95a3
	v_mul_f32_e32 v33, v28, v34
	s_delay_alu instid0(VALU_DEP_2) | instskip(NEXT) | instid1(VALU_DEP_1)
	v_fmaak_f32 v9, v34, v35, 0x3f2aaada
	v_pk_mul_f32 v[34:35], v[32:33], v[8:9]
	v_sub_f32_e32 v9, v28, v31
	s_delay_alu instid0(VALU_DEP_2) | instskip(NEXT) | instid1(VALU_DEP_2)
	v_fma_f32 v36, 0x3f317218, v32, -v34
	v_sub_f32_e32 v9, v22, v9
	v_ldexp_f32 v37, v28, 1
	v_mov_b32_e32 v40, v34
	s_delay_alu instid0(VALU_DEP_4) | instskip(NEXT) | instid1(VALU_DEP_4)
	v_fmac_f32_e32 v36, 0xb102e308, v32
	v_ldexp_f32 v9, v9, 1
	s_delay_alu instid0(VALU_DEP_2) | instskip(NEXT) | instid1(VALU_DEP_1)
	v_pk_add_f32 v[32:33], v[34:35], v[36:37]
	v_dual_sub_f32 v22, v33, v37 :: v_dual_mov_b32 v37, v32
	s_delay_alu instid0(VALU_DEP_1) | instskip(SKIP_1) | instid1(VALU_DEP_2)
	v_dual_mov_b32 v48, v33 :: v_dual_sub_f32 v22, v35, v22
	v_pk_add_f32 v[34:35], v[32:33], v[34:35] neg_lo:[0,1] neg_hi:[0,1]
	v_add_f32_e32 v41, v9, v22
	v_max_num_f32_e64 v9, |v11|, |v11|
	v_max_num_f32_e64 v22, |v10|, |v10|
	s_delay_alu instid0(VALU_DEP_3) | instskip(NEXT) | instid1(VALU_DEP_1)
	v_pk_add_f32 v[42:43], v[32:33], v[40:41]
	v_dual_max_num_f32 v28, v22, v9 :: v_dual_mov_b32 v35, v43
	s_delay_alu instid0(VALU_DEP_1) | instskip(SKIP_1) | instid1(VALU_DEP_3)
	v_frexp_exp_i32_f32_e32 v31, v28
	v_frexp_mant_f32_e32 v28, v28
	v_pk_add_f32 v[44:45], v[36:37], v[34:35]
	v_min_num_f32_e32 v9, v22, v9
	v_pk_add_f32 v[34:35], v[36:37], v[34:35] neg_lo:[0,1] neg_hi:[0,1]
	s_delay_alu instid0(VALU_DEP_4) | instskip(NEXT) | instid1(VALU_DEP_3)
	v_rcp_f32_e32 v28, v28
	v_mov_b32_e32 v22, v45
	s_delay_alu instid0(VALU_DEP_3) | instskip(SKIP_2) | instid1(VALU_DEP_4)
	v_frexp_exp_i32_f32_e32 v39, v9
	v_frexp_mant_f32_e32 v40, v9
	v_mov_b32_e32 v35, v45
	v_pk_add_f32 v[46:47], v[22:23], v[32:33] neg_lo:[0,1] neg_hi:[0,1]
	s_delay_alu instid0(VALU_DEP_4) | instskip(SKIP_1) | instid1(VALU_DEP_3)
	v_sub_nc_u32_e32 v31, v39, v31
	v_dual_mov_b32 v44, v43 :: v_dual_mov_b32 v33, v32
	v_dual_mov_b32 v32, v41 :: v_dual_mov_b32 v49, v46
	v_dual_mov_b32 v9, v46 :: v_dual_mul_f32 v28, v40, v28
	s_delay_alu instid0(VALU_DEP_2) | instskip(NEXT) | instid1(VALU_DEP_2)
	v_pk_add_f32 v[36:37], v[44:45], v[48:49] neg_lo:[0,1] neg_hi:[0,1]
	v_pk_add_f32 v[40:41], v[42:43], v[8:9] neg_lo:[0,1] neg_hi:[0,1]
	s_delay_alu instid0(VALU_DEP_3) | instskip(SKIP_1) | instid1(VALU_DEP_4)
	v_ldexp_f32 v9, v28, v31
	v_mov_b32_e32 v40, v34
	v_pk_add_f32 v[32:33], v[32:33], v[36:37] neg_lo:[0,1] neg_hi:[0,1]
	s_delay_alu instid0(VALU_DEP_3) | instskip(NEXT) | instid1(VALU_DEP_2)
	v_mul_f32_e32 v31, v9, v9
	v_pk_add_f32 v[36:37], v[40:41], v[32:33]
	s_delay_alu instid0(VALU_DEP_1) | instskip(NEXT) | instid1(VALU_DEP_1)
	v_dual_fmaak_f32 v33, s28, v31, 0xbc7a590c :: v_dual_mov_b32 v28, v37
	v_pk_add_f32 v[40:41], v[36:37], v[28:29]
	s_delay_alu instid0(VALU_DEP_2) | instskip(NEXT) | instid1(VALU_DEP_2)
	v_fmaak_f32 v28, v31, v33, 0x3d29fb3f
	v_pk_add_f32 v[42:43], v[22:23], v[40:41]
	s_delay_alu instid0(VALU_DEP_2) | instskip(NEXT) | instid1(VALU_DEP_1)
	v_dual_fmaak_f32 v22, v31, v28, 0xbd97d4d7 :: v_dual_mov_b32 v33, v40
	v_dual_mov_b32 v37, v42 :: v_dual_fmaak_f32 v22, v31, v22, 0x3dd931b2
	s_delay_alu instid0(VALU_DEP_1) | instskip(NEXT) | instid1(VALU_DEP_2)
	v_pk_add_f32 v[44:45], v[36:37], v[34:35] neg_lo:[0,1] neg_hi:[0,1]
	v_fmaak_f32 v22, v31, v22, 0xbe1160e6
	s_delay_alu instid0(VALU_DEP_2) | instskip(NEXT) | instid1(VALU_DEP_2)
	v_pk_add_f32 v[32:33], v[32:33], v[44:45] neg_lo:[0,1] neg_hi:[0,1]
	v_fmaak_f32 v22, v31, v22, 0x3e4cb8bf
	s_delay_alu instid0(VALU_DEP_1) | instskip(NEXT) | instid1(VALU_DEP_1)
	v_fmaak_f32 v22, v31, v22, 0xbeaaaa62
	v_dual_sub_f32 v28, v36, v44 :: v_dual_mul_f32 v22, v31, v22
	s_delay_alu instid0(VALU_DEP_1) | instskip(NEXT) | instid1(VALU_DEP_1)
	v_dual_sub_f32 v28, v34, v28 :: v_dual_fmac_f32 v9, v9, v22
	v_add_f32_e32 v28, v32, v28
	s_delay_alu instid0(VALU_DEP_1) | instskip(NEXT) | instid1(VALU_DEP_1)
	v_add_f32_e32 v28, v28, v33
	v_add_f32_e32 v22, v42, v28
	s_delay_alu instid0(VALU_DEP_4) | instskip(NEXT) | instid1(VALU_DEP_1)
	v_sub_f32_e32 v28, 0x3fc90fdb, v9
	v_cndmask_b32_e64 v9, v9, v28, s4
	s_delay_alu instid0(VALU_DEP_3) | instskip(SKIP_1) | instid1(VALU_DEP_3)
	v_cndmask_b32_e32 v22, 0x7f800000, v22, vcc_lo
	v_cmp_gt_i32_e32 vcc_lo, 0, v10
	v_sub_f32_e32 v31, 0x40490fdb, v9
	v_cndmask_b32_e64 v28, 0, 0x40490fdb, vcc_lo
	v_cmp_ngt_f32_e32 vcc_lo, -1.0, v30
	v_cndmask_b32_e32 v22, 0x7fc00000, v22, vcc_lo
	v_cmp_gt_f32_e32 vcc_lo, 0, v10
	s_delay_alu instid0(VALU_DEP_2)
	v_cndmask_b32_e64 v10, 0xff800000, v22, s5
	v_cndmask_b32_e32 v9, v9, v31, vcc_lo
	v_cndmask_b32_e32 v22, 0x3f490fdb, v38, vcc_lo
	v_cmp_gt_f32_e64 vcc_lo, 0x33800000, |v30|
	v_cmp_class_f32_e64 s5, v11, 0x204
	v_cndmask_b32_e32 v10, v10, v30, vcc_lo
	v_cmp_eq_f32_e32 vcc_lo, 0, v11
	s_delay_alu instid0(VALU_DEP_2) | instskip(SKIP_1) | instid1(VALU_DEP_1)
	v_dual_mul_f32 v31, 0.5, v10 :: v_dual_cndmask_b32 v9, v9, v28, vcc_lo
	s_and_b32 vcc_lo, s5, s6
	v_cndmask_b32_e32 v22, v9, v22, vcc_lo
.LBB192_234:                            ;   in Loop: Header=BB192_145 Depth=1
	s_or_b32 exec_lo, exec_lo, s35
.LBB192_235:                            ;   in Loop: Header=BB192_145 Depth=1
	s_delay_alu instid0(SALU_CYCLE_1)
	s_or_b32 exec_lo, exec_lo, s34
.LBB192_236:                            ;   in Loop: Header=BB192_145 Depth=1
	s_and_not1_saveexec_b32 s6, s33
	s_cbranch_execz .LBB192_238
; %bb.237:                              ;   in Loop: Header=BB192_145 Depth=1
	v_max_num_f32_e64 v9, |v11|, |v11|
	v_max_num_f32_e64 v22, |v10|, |v10|
	v_cmp_gt_i32_e64 s5, 0, v10
	v_cmp_class_f32_e64 s7, v10, 0x204
	v_cmp_class_f32_e64 s8, v11, 0x204
	s_delay_alu instid0(VALU_DEP_4) | instskip(NEXT) | instid1(VALU_DEP_1)
	v_dual_max_num_f32 v28, v22, v9 :: v_dual_min_num_f32 v9, v22, v9
	v_cvt_f64_f32_e32 v[30:31], v28
	v_frexp_exp_i32_f32_e32 v22, v28
	s_delay_alu instid0(VALU_DEP_3) | instskip(SKIP_4) | instid1(VALU_DEP_1)
	v_frexp_exp_i32_f32_e32 v32, v9
	v_frexp_mant_f32_e32 v9, v9
	v_cmp_neq_f32_e32 vcc_lo, 0x7f800000, v28
	v_frexp_exp_i32_f64_e32 v30, v[30:31]
	v_frexp_mant_f32_e32 v31, v28
	v_rcp_f32_e32 v31, v31
	v_nop
	s_delay_alu instid0(TRANS32_DEP_1) | instskip(NEXT) | instid1(VALU_DEP_1)
	v_dual_mul_f32 v9, v9, v31 :: v_dual_sub_nc_u32 v22, v32, v22
	v_ldexp_f32 v9, v9, v22
	s_delay_alu instid0(VALU_DEP_1) | instskip(NEXT) | instid1(VALU_DEP_1)
	v_dual_mul_f32 v31, v9, v9 :: v_dual_sub_nc_u32 v22, 0, v30
	v_ldexp_f32 v32, |v11|, v22
	s_delay_alu instid0(VALU_DEP_2) | instskip(SKIP_1) | instid1(VALU_DEP_2)
	v_fmaak_f32 v33, s28, v31, 0xbc7a590c
	v_ldexp_f32 v22, |v10|, v22
	v_dual_mul_f32 v32, v32, v32 :: v_dual_fmaak_f32 v33, v31, v33, 0x3d29fb3f
	s_delay_alu instid0(VALU_DEP_1) | instskip(NEXT) | instid1(VALU_DEP_2)
	v_fmac_f32_e32 v32, v22, v22
	v_fmaak_f32 v22, v31, v33, 0xbd97d4d7
	s_delay_alu instid0(VALU_DEP_2) | instskip(NEXT) | instid1(VALU_DEP_1)
	v_sqrt_f32_e32 v32, v32
	v_fmaak_f32 v22, v31, v22, 0x3dd931b2
	s_delay_alu instid0(VALU_DEP_1) | instskip(NEXT) | instid1(TRANS32_DEP_1)
	v_fmaak_f32 v22, v31, v22, 0xbe1160e6
	v_ldexp_f32 v30, v32, v30
	s_delay_alu instid0(VALU_DEP_2) | instskip(NEXT) | instid1(VALU_DEP_2)
	v_fmaak_f32 v22, v31, v22, 0x3e4cb8bf
	v_cndmask_b32_e32 v28, 0x7f800000, v30, vcc_lo
	s_delay_alu instid0(VALU_DEP_2) | instskip(NEXT) | instid1(VALU_DEP_2)
	v_fmaak_f32 v22, v31, v22, 0xbeaaaa62
	v_cmp_gt_f32_e32 vcc_lo, 0x800000, v28
	s_delay_alu instid0(VALU_DEP_2) | instskip(SKIP_1) | instid1(VALU_DEP_1)
	v_mul_f32_e32 v22, v31, v22
	v_cndmask_b32_e64 v30, 0, 32, vcc_lo
	v_ldexp_f32 v28, v28, v30
	s_delay_alu instid0(VALU_DEP_1) | instskip(SKIP_1) | instid1(TRANS32_DEP_1)
	v_log_f32_e32 v28, v28
	v_nop
	v_dual_fmac_f32 v9, v9, v22 :: v_dual_mul_f32 v22, 0x3f317217, v28
	s_delay_alu instid0(VALU_DEP_1) | instskip(NEXT) | instid1(VALU_DEP_2)
	v_sub_f32_e32 v30, 0x3fc90fdb, v9
	v_fma_f32 v22, 0x3f317217, v28, -v22
	s_delay_alu instid0(VALU_DEP_2) | instskip(SKIP_2) | instid1(VALU_DEP_4)
	v_cndmask_b32_e64 v9, v9, v30, s4
	v_cndmask_b32_e64 v30, 0, 0x40490fdb, s5
	v_cmp_gt_f32_e64 s5, 0, v10
	v_fmac_f32_e32 v22, 0x3377d1cf, v28
	s_delay_alu instid0(VALU_DEP_4) | instskip(NEXT) | instid1(VALU_DEP_3)
	v_sub_f32_e32 v31, 0x40490fdb, v9
	v_cndmask_b32_e64 v10, 0x3f490fdb, v38, s5
	s_delay_alu instid0(VALU_DEP_3) | instskip(NEXT) | instid1(VALU_DEP_3)
	v_fmac_f32_e32 v22, 0x3f317217, v28
	v_cndmask_b32_e64 v9, v9, v31, s5
	v_cndmask_b32_e64 v31, 0, 0x41b17218, vcc_lo
	v_cmp_gt_f32_e64 vcc_lo, 0x7f800000, |v28|
	s_delay_alu instid0(VALU_DEP_4) | instskip(SKIP_1) | instid1(VALU_DEP_2)
	v_cndmask_b32_e32 v22, v28, v22, vcc_lo
	v_cmp_eq_f32_e32 vcc_lo, 0, v11
	v_dual_sub_f32 v31, v22, v31 :: v_dual_cndmask_b32 v9, v9, v30, vcc_lo
	s_and_b32 vcc_lo, s8, s7
	s_delay_alu instid0(VALU_DEP_1)
	v_cndmask_b32_e32 v22, v9, v10, vcc_lo
.LBB192_238:                            ;   in Loop: Header=BB192_145 Depth=1
	s_or_b32 exec_lo, exec_lo, s6
                                        ; implicit-def: $vgpr32
.LBB192_239:                            ;   in Loop: Header=BB192_145 Depth=1
	s_and_not1_saveexec_b32 s6, s31
	s_cbranch_execz .LBB192_245
; %bb.240:                              ;   in Loop: Header=BB192_145 Depth=1
                                        ; implicit-def: $vgpr31
                                        ; implicit-def: $vgpr22
	s_mov_b32 s5, exec_lo
	v_cmpx_ngt_f32_e32 0x1fec1e4a, v32
	s_xor_b32 s7, exec_lo, s5
	s_cbranch_execz .LBB192_242
; %bb.241:                              ;   in Loop: Header=BB192_145 Depth=1
	v_pk_mul_f32 v[30:31], v[32:33], v[32:33]
	v_cmp_class_f32_e64 s8, v10, 0x204
	s_delay_alu instid0(VALU_DEP_2) | instskip(SKIP_1) | instid1(VALU_DEP_2)
	v_add_f32_e32 v33, 1.0, v30
	v_cmp_neq_f32_e64 s5, 0x7f800000, v30
	v_add_f32_e32 v31, -1.0, v33
	s_delay_alu instid0(VALU_DEP_1) | instskip(SKIP_2) | instid1(VALU_DEP_1)
	v_mov_b32_e32 v32, v31
	v_cvt_f64_f32_e32 v[34:35], v33
	v_frexp_mant_f32_e32 v22, v33
	v_cmp_gt_f32_e32 vcc_lo, 0x3f2aaaab, v22
	s_delay_alu instid0(VALU_DEP_3) | instskip(SKIP_1) | instid1(VALU_DEP_1)
	v_frexp_exp_i32_f64_e32 v9, v[34:35]
	v_pk_add_f32 v[34:35], v[30:31], v[32:33] neg_lo:[0,1] neg_hi:[0,1]
	v_add_f32_e32 v31, 1.0, v35
	s_delay_alu instid0(VALU_DEP_3) | instskip(SKIP_1) | instid1(VALU_DEP_2)
	v_subrev_co_ci_u32_e64 v9, null, 0, v9, vcc_lo
	v_cmp_gt_i32_e32 vcc_lo, 0, v10
	v_sub_nc_u32_e32 v22, 0, v9
	s_delay_alu instid0(VALU_DEP_1) | instskip(NEXT) | instid1(VALU_DEP_1)
	v_ldexp_f32 v28, v33, v22
	v_dual_add_f32 v32, 1.0, v28 :: v_dual_add_f32 v31, v34, v31
	s_delay_alu instid0(VALU_DEP_1) | instskip(SKIP_1) | instid1(VALU_DEP_3)
	v_add_f32_e32 v33, -1.0, v32
	v_add_f32_e32 v37, -1.0, v28
	v_ldexp_f32 v22, v31, v22
	s_delay_alu instid0(VALU_DEP_3) | instskip(NEXT) | instid1(VALU_DEP_1)
	v_sub_f32_e32 v31, v28, v33
	v_dual_add_f32 v33, 1.0, v37 :: v_dual_add_f32 v31, v22, v31
	s_delay_alu instid0(VALU_DEP_1) | instskip(NEXT) | instid1(VALU_DEP_1)
	v_sub_f32_e32 v28, v28, v33
	v_dual_add_f32 v39, v32, v31 :: v_dual_add_f32 v22, v22, v28
	s_delay_alu instid0(VALU_DEP_1) | instskip(NEXT) | instid1(VALU_DEP_1)
	v_rcp_f32_e32 v28, v39
	v_dual_add_f32 v33, v37, v22 :: v_dual_sub_f32 v32, v32, v39
	s_delay_alu instid0(VALU_DEP_1) | instskip(NEXT) | instid1(TRANS32_DEP_1)
	v_sub_f32_e32 v41, v37, v33
	v_mul_f32_e32 v40, v33, v28
	s_delay_alu instid0(VALU_DEP_2) | instskip(NEXT) | instid1(VALU_DEP_2)
	v_dual_add_f32 v31, v31, v32 :: v_dual_add_f32 v22, v22, v41
	v_mul_f32_e32 v34, v39, v40
	s_delay_alu instid0(VALU_DEP_1) | instskip(NEXT) | instid1(VALU_DEP_1)
	v_fma_f32 v36, v40, v39, -v34
	v_fmac_f32_e32 v36, v40, v31
	s_delay_alu instid0(VALU_DEP_1) | instskip(NEXT) | instid1(VALU_DEP_1)
	v_add_f32_e32 v32, v34, v36
	v_dual_sub_f32 v35, v33, v32 :: v_dual_mov_b32 v37, v32
	s_delay_alu instid0(VALU_DEP_1) | instskip(NEXT) | instid1(VALU_DEP_1)
	v_pk_add_f32 v[32:33], v[32:33], v[34:35] neg_lo:[0,1] neg_hi:[0,1]
	v_pk_add_f32 v[32:33], v[32:33], v[36:37] neg_lo:[0,1] neg_hi:[0,1]
	s_delay_alu instid0(VALU_DEP_1) | instskip(NEXT) | instid1(VALU_DEP_1)
	v_add_f32_e32 v22, v22, v33
	v_add_f32_e32 v22, v32, v22
	s_delay_alu instid0(VALU_DEP_1) | instskip(NEXT) | instid1(VALU_DEP_1)
	v_add_f32_e32 v33, v35, v22
	v_mul_f32_e32 v41, v28, v33
	s_delay_alu instid0(VALU_DEP_1) | instskip(NEXT) | instid1(VALU_DEP_1)
	v_mul_f32_e32 v36, v39, v41
	v_fma_f32 v34, v41, v39, -v36
	s_delay_alu instid0(VALU_DEP_1) | instskip(NEXT) | instid1(VALU_DEP_1)
	v_dual_fmac_f32 v34, v41, v31 :: v_dual_sub_f32 v31, v35, v33
	v_dual_add_f32 v32, v36, v34 :: v_dual_add_f32 v22, v22, v31
	s_delay_alu instid0(VALU_DEP_1) | instskip(SKIP_1) | instid1(VALU_DEP_2)
	v_dual_add_f32 v31, v40, v41 :: v_dual_sub_f32 v37, v33, v32
	v_mov_b32_e32 v35, v32
	v_pk_add_f32 v[32:33], v[32:33], v[36:37] neg_lo:[0,1] neg_hi:[0,1]
	s_delay_alu instid0(VALU_DEP_1) | instskip(NEXT) | instid1(VALU_DEP_1)
	v_pk_add_f32 v[32:33], v[32:33], v[34:35] neg_lo:[0,1] neg_hi:[0,1]
	v_add_f32_e32 v22, v22, v33
	s_delay_alu instid0(VALU_DEP_1) | instskip(NEXT) | instid1(VALU_DEP_1)
	v_dual_add_f32 v22, v32, v22 :: v_dual_sub_f32 v32, v31, v40
	v_sub_f32_e32 v32, v41, v32
	s_delay_alu instid0(VALU_DEP_2) | instskip(NEXT) | instid1(VALU_DEP_1)
	v_add_f32_e32 v22, v37, v22
	v_mul_f32_e32 v22, v28, v22
	s_delay_alu instid0(VALU_DEP_1) | instskip(SKIP_1) | instid1(VALU_DEP_2)
	v_add_f32_e32 v22, v32, v22
	v_cvt_f32_i32_e32 v32, v9
	v_add_f32_e32 v28, v31, v22
	s_delay_alu instid0(VALU_DEP_1) | instskip(NEXT) | instid1(VALU_DEP_1)
	v_mul_f32_e32 v34, v28, v28
	v_fmaak_f32 v35, s27, v34, 0x3ecc95a3
	v_mul_f32_e32 v33, v28, v34
	s_delay_alu instid0(VALU_DEP_2) | instskip(NEXT) | instid1(VALU_DEP_1)
	v_fmaak_f32 v9, v34, v35, 0x3f2aaada
	v_pk_mul_f32 v[34:35], v[32:33], v[8:9]
	v_sub_f32_e32 v9, v28, v31
	v_max_num_f32_e64 v31, |v10|, |v10|
	s_delay_alu instid0(VALU_DEP_3) | instskip(SKIP_1) | instid1(VALU_DEP_4)
	v_fma_f32 v36, 0x3f317218, v32, -v34
	v_mov_b32_e32 v40, v34
	v_sub_f32_e32 v9, v22, v9
	v_ldexp_f32 v37, v28, 1
	v_max_num_f32_e64 v28, |v11|, |v11|
	v_fmac_f32_e32 v36, 0xb102e308, v32
	s_delay_alu instid0(VALU_DEP_4) | instskip(NEXT) | instid1(VALU_DEP_2)
	v_ldexp_f32 v9, v9, 1
	v_pk_add_f32 v[32:33], v[34:35], v[36:37]
	s_delay_alu instid0(VALU_DEP_1) | instskip(NEXT) | instid1(VALU_DEP_1)
	v_sub_f32_e32 v22, v33, v37
	v_sub_f32_e32 v22, v35, v22
	s_delay_alu instid0(VALU_DEP_3) | instskip(NEXT) | instid1(VALU_DEP_2)
	v_pk_add_f32 v[34:35], v[32:33], v[34:35] neg_lo:[0,1] neg_hi:[0,1]
	v_dual_add_f32 v41, v9, v22 :: v_dual_max_num_f32 v9, v31, v28
	s_delay_alu instid0(VALU_DEP_1) | instskip(SKIP_1) | instid1(VALU_DEP_3)
	v_pk_add_f32 v[42:43], v[32:33], v[40:41]
	v_mov_b32_e32 v37, v32
	v_frexp_mant_f32_e32 v22, v9
	v_frexp_exp_i32_f32_e32 v9, v9
	s_delay_alu instid0(VALU_DEP_4) | instskip(NEXT) | instid1(VALU_DEP_1)
	v_dual_mov_b32 v48, v33 :: v_dual_mov_b32 v35, v43
	v_pk_add_f32 v[44:45], v[36:37], v[34:35]
	v_min_num_f32_e32 v28, v31, v28
	v_rcp_f32_e32 v31, v22
	v_mov_b32_e32 v44, v43
	v_pk_add_f32 v[34:35], v[36:37], v[34:35] neg_lo:[0,1] neg_hi:[0,1]
	v_mov_b32_e32 v22, v45
	v_frexp_exp_i32_f32_e32 v39, v28
	v_frexp_mant_f32_e32 v28, v28
	s_delay_alu instid0(VALU_DEP_3) | instskip(NEXT) | instid1(VALU_DEP_2)
	v_pk_add_f32 v[46:47], v[22:23], v[32:33] neg_lo:[0,1] neg_hi:[0,1]
	v_dual_mul_f32 v28, v28, v31 :: v_dual_sub_nc_u32 v9, v39, v9
	v_dual_mov_b32 v33, v32 :: v_dual_mov_b32 v32, v41
	s_delay_alu instid0(VALU_DEP_3) | instskip(NEXT) | instid1(VALU_DEP_3)
	v_mov_b32_e32 v49, v46
	v_ldexp_f32 v31, v28, v9
	v_mov_b32_e32 v9, v46
	s_delay_alu instid0(VALU_DEP_3) | instskip(NEXT) | instid1(VALU_DEP_3)
	v_pk_add_f32 v[36:37], v[44:45], v[48:49] neg_lo:[0,1] neg_hi:[0,1]
	v_mul_f32_e32 v39, v31, v31
	s_delay_alu instid0(VALU_DEP_3) | instskip(SKIP_1) | instid1(VALU_DEP_4)
	v_pk_add_f32 v[40:41], v[42:43], v[8:9] neg_lo:[0,1] neg_hi:[0,1]
	v_mov_b32_e32 v40, v34
	v_pk_add_f32 v[32:33], v[32:33], v[36:37] neg_lo:[0,1] neg_hi:[0,1]
	s_delay_alu instid0(VALU_DEP_1) | instskip(NEXT) | instid1(VALU_DEP_1)
	v_pk_add_f32 v[36:37], v[40:41], v[32:33]
	v_dual_fmaak_f32 v9, s28, v39, 0xbc7a590c :: v_dual_mov_b32 v28, v37
	s_delay_alu instid0(VALU_DEP_1) | instskip(SKIP_2) | instid1(VALU_DEP_3)
	v_pk_add_f32 v[40:41], v[36:37], v[28:29]
	v_cndmask_b32_e64 v28, 0, 0x40490fdb, vcc_lo
	v_cmp_gt_f32_e32 vcc_lo, 0, v10
	v_pk_add_f32 v[42:43], v[22:23], v[40:41]
	s_delay_alu instid0(VALU_DEP_1) | instskip(NEXT) | instid1(VALU_DEP_1)
	v_dual_mov_b32 v35, v45 :: v_dual_mov_b32 v37, v42
	v_pk_add_f32 v[44:45], v[36:37], v[34:35] neg_lo:[0,1] neg_hi:[0,1]
	s_delay_alu instid0(VALU_DEP_1) | instskip(NEXT) | instid1(VALU_DEP_1)
	v_dual_fmaak_f32 v9, v39, v9, 0x3d29fb3f :: v_dual_sub_f32 v22, v36, v44
	v_dual_fmaak_f32 v9, v39, v9, 0xbd97d4d7 :: v_dual_sub_f32 v22, v34, v22
	s_delay_alu instid0(VALU_DEP_1) | instskip(NEXT) | instid1(VALU_DEP_1)
	v_fmaak_f32 v9, v39, v9, 0x3dd931b2
	v_fmaak_f32 v9, v39, v9, 0xbe1160e6
	s_delay_alu instid0(VALU_DEP_1) | instskip(NEXT) | instid1(VALU_DEP_1)
	v_fmaak_f32 v9, v39, v9, 0x3e4cb8bf
	v_fmaak_f32 v9, v39, v9, 0xbeaaaa62
	s_delay_alu instid0(VALU_DEP_1) | instskip(NEXT) | instid1(VALU_DEP_1)
	v_dual_mov_b32 v33, v40 :: v_dual_mul_f32 v9, v39, v9
	v_pk_add_f32 v[32:33], v[32:33], v[44:45] neg_lo:[0,1] neg_hi:[0,1]
	s_delay_alu instid0(VALU_DEP_1) | instskip(NEXT) | instid1(VALU_DEP_1)
	v_dual_fmac_f32 v31, v31, v9 :: v_dual_add_f32 v9, v32, v22
                                        ; implicit-def: $vgpr32
	v_dual_sub_f32 v22, 0x3fc90fdb, v31 :: v_dual_add_f32 v9, v9, v33
	s_delay_alu instid0(VALU_DEP_1) | instskip(NEXT) | instid1(VALU_DEP_1)
	v_dual_cndmask_b32 v22, v31, v22, s4 :: v_dual_add_f32 v9, v42, v9
	v_sub_f32_e32 v31, 0x40490fdb, v22
	s_delay_alu instid0(VALU_DEP_2) | instskip(SKIP_1) | instid1(VALU_DEP_3)
	v_cndmask_b32_e64 v9, 0x7f800000, v9, s5
	v_cmp_class_f32_e64 s5, v11, 0x204
	v_cndmask_b32_e32 v10, v22, v31, vcc_lo
	v_cndmask_b32_e32 v22, 0x3f490fdb, v38, vcc_lo
	v_cmp_gt_f32_e64 vcc_lo, 0x33800000, |v30|
	v_cndmask_b32_e32 v9, v9, v30, vcc_lo
	v_cmp_eq_f32_e32 vcc_lo, 0, v11
	s_delay_alu instid0(VALU_DEP_2) | instskip(SKIP_1) | instid1(VALU_DEP_1)
	v_dual_mul_f32 v31, 0.5, v9 :: v_dual_cndmask_b32 v10, v10, v28
	s_and_b32 vcc_lo, s5, s8
	v_cndmask_b32_e32 v22, v10, v22, vcc_lo
.LBB192_242:                            ;   in Loop: Header=BB192_145 Depth=1
	s_and_not1_saveexec_b32 s7, s7
	s_cbranch_execz .LBB192_244
; %bb.243:                              ;   in Loop: Header=BB192_145 Depth=1
	v_max_num_f32_e64 v9, |v11|, |v11|
	v_max_num_f32_e64 v22, |v10|, |v10|
	v_cmp_eq_f32_e64 s5, 0, v11
	v_cmp_gt_i32_e32 vcc_lo, 0, v10
	v_cmp_class_f32_e64 s8, v10, 0x204
	v_cmp_class_f32_e64 s9, v11, 0x204
	v_dual_max_num_f32 v28, v22, v9 :: v_dual_min_num_f32 v9, v22, v9
	s_delay_alu instid0(VALU_DEP_1) | instskip(SKIP_1) | instid1(VALU_DEP_2)
	v_frexp_mant_f32_e32 v30, v28
	v_frexp_exp_i32_f32_e32 v22, v28
	v_rcp_f32_e32 v28, v30
	v_nop
	v_frexp_exp_i32_f32_e32 v30, v9
	v_frexp_mant_f32_e32 v9, v9
	s_delay_alu instid0(TRANS32_DEP_1) | instid1(VALU_DEP_1)
	v_dual_mul_f32 v9, v9, v28 :: v_dual_sub_nc_u32 v22, v30, v22
	s_delay_alu instid0(VALU_DEP_1) | instskip(NEXT) | instid1(VALU_DEP_1)
	v_ldexp_f32 v9, v9, v22
	v_mul_f32_e32 v22, v9, v9
	s_delay_alu instid0(VALU_DEP_1) | instskip(NEXT) | instid1(VALU_DEP_1)
	v_fmaak_f32 v28, s28, v22, 0xbc7a590c
	v_fmaak_f32 v28, v22, v28, 0x3d29fb3f
	s_delay_alu instid0(VALU_DEP_1) | instskip(NEXT) | instid1(VALU_DEP_1)
	v_fmaak_f32 v28, v22, v28, 0xbd97d4d7
	v_fmaak_f32 v28, v22, v28, 0x3dd931b2
	;; [unrolled: 3-line block ×3, first 2 shown]
	s_delay_alu instid0(VALU_DEP_1) | instskip(NEXT) | instid1(VALU_DEP_1)
	v_fmaak_f32 v28, v22, v28, 0xbeaaaa62
	v_mul_f32_e32 v22, v22, v28
	v_cndmask_b32_e64 v28, 0, 0x40490fdb, vcc_lo
	v_cmp_gt_f32_e32 vcc_lo, 0, v10
	s_delay_alu instid0(VALU_DEP_3) | instskip(SKIP_1) | instid1(VALU_DEP_2)
	v_fmac_f32_e32 v9, v9, v22
	v_cndmask_b32_e32 v10, 0x3f490fdb, v38, vcc_lo
	v_sub_f32_e32 v22, 0x3fc90fdb, v9
	s_delay_alu instid0(VALU_DEP_1) | instskip(NEXT) | instid1(VALU_DEP_1)
	v_cndmask_b32_e64 v9, v9, v22, s4
	v_sub_f32_e32 v22, 0x40490fdb, v9
	s_delay_alu instid0(VALU_DEP_1) | instskip(SKIP_1) | instid1(VALU_DEP_1)
	v_dual_cndmask_b32 v9, v9, v22 :: v_dual_mul_f32 v22, 0.5, v32
	s_and_b32 vcc_lo, s9, s8
	v_dual_cndmask_b32 v9, v9, v28, s5 :: v_dual_mul_f32 v31, v32, v22
	s_delay_alu instid0(VALU_DEP_1)
	v_cndmask_b32_e32 v22, v9, v10, vcc_lo
.LBB192_244:                            ;   in Loop: Header=BB192_145 Depth=1
	s_or_b32 exec_lo, exec_lo, s7
.LBB192_245:                            ;   in Loop: Header=BB192_145 Depth=1
	s_delay_alu instid0(SALU_CYCLE_1)
	s_or_b32 exec_lo, exec_lo, s6
.LBB192_246:                            ;   in Loop: Header=BB192_145 Depth=1
	s_and_not1_saveexec_b32 s6, s30
	s_cbranch_execz .LBB192_248
; %bb.247:                              ;   in Loop: Header=BB192_145 Depth=1
	v_div_scale_f32 v9, null, 0x402df854, 0x402df854, v10
	v_div_scale_f32 v22, null, 0x402df854, 0x402df854, v11
	v_div_scale_f32 v33, vcc_lo, v10, 0x402df854, v10
	s_delay_alu instid0(VALU_DEP_3) | instskip(NEXT) | instid1(VALU_DEP_2)
	v_rcp_f32_e32 v28, v9
	v_rcp_f32_e32 v30, v22
	v_cmp_class_f32_e64 s7, v11, 0x204
	s_delay_alu instid0(TRANS32_DEP_2) | instskip(NEXT) | instid1(TRANS32_DEP_1)
	v_fma_f32 v31, -v9, v28, 1.0
	v_fma_f32 v32, -v22, v30, 1.0
	s_delay_alu instid0(VALU_DEP_1) | instskip(SKIP_1) | instid1(VALU_DEP_1)
	v_dual_fmac_f32 v28, v31, v28 :: v_dual_fmac_f32 v30, v32, v30
	v_div_scale_f32 v31, s5, v11, 0x402df854, v11
	v_dual_mul_f32 v32, v33, v28 :: v_dual_mul_f32 v34, v31, v30
	s_delay_alu instid0(VALU_DEP_1) | instskip(NEXT) | instid1(VALU_DEP_1)
	v_dual_fma_f32 v35, -v9, v32, v33 :: v_dual_fma_f32 v36, -v22, v34, v31
	v_dual_fmac_f32 v32, v35, v28 :: v_dual_fmac_f32 v34, v36, v30
	s_delay_alu instid0(VALU_DEP_1) | instskip(NEXT) | instid1(VALU_DEP_1)
	v_dual_fma_f32 v9, -v9, v32, v33 :: v_dual_fma_f32 v22, -v22, v34, v31
	v_div_fmas_f32 v9, v9, v28, v32
	s_mov_b32 vcc_lo, s5
	v_max_num_f32_e64 v32, |v10|, |v10|
	s_delay_alu instid0(VALU_DEP_3) | instskip(SKIP_2) | instid1(VALU_DEP_3)
	v_div_fmas_f32 v22, v22, v30, v34
	v_cmp_class_f32_e64 s5, v10, 0x204
	v_div_fixup_f32 v9, v9, 0x402df854, v10
	v_div_fixup_f32 v22, v22, 0x402df854, v11
	s_delay_alu instid0(VALU_DEP_1) | instskip(NEXT) | instid1(VALU_DEP_1)
	v_max_num_f32_e64 v28, |v9|, |v22|
	v_cvt_f64_f32_e32 v[30:31], v28
	v_cmp_neq_f32_e32 vcc_lo, 0x7f800000, v28
	s_delay_alu instid0(VALU_DEP_2) | instskip(SKIP_1) | instid1(VALU_DEP_1)
	v_frexp_exp_i32_f64_e32 v30, v[30:31]
	v_max_num_f32_e64 v31, |v11|, |v11|
	v_dual_max_num_f32 v33, v32, v31 :: v_dual_min_num_f32 v31, v32, v31
	s_delay_alu instid0(VALU_DEP_1) | instskip(SKIP_1) | instid1(VALU_DEP_2)
	v_frexp_mant_f32_e32 v34, v33
	v_frexp_exp_i32_f32_e32 v32, v33
	v_rcp_f32_e32 v33, v34
	v_nop
	v_frexp_exp_i32_f32_e32 v34, v31
	v_frexp_mant_f32_e32 v31, v31
	s_delay_alu instid0(TRANS32_DEP_1) | instid1(VALU_DEP_1)
	v_dual_mul_f32 v31, v31, v33 :: v_dual_sub_nc_u32 v32, v34, v32
	s_delay_alu instid0(VALU_DEP_1) | instskip(NEXT) | instid1(VALU_DEP_1)
	v_ldexp_f32 v31, v31, v32
	v_dual_mul_f32 v32, v31, v31 :: v_dual_sub_nc_u32 v33, 0, v30
	s_delay_alu instid0(VALU_DEP_1) | instskip(SKIP_1) | instid1(VALU_DEP_2)
	v_ldexp_f32 v22, |v22|, v33
	v_ldexp_f32 v9, |v9|, v33
	v_dual_fmaak_f32 v33, s28, v32, 0xbc7a590c :: v_dual_mul_f32 v22, v22, v22
	s_delay_alu instid0(VALU_DEP_1) | instskip(NEXT) | instid1(VALU_DEP_2)
	v_fmac_f32_e32 v22, v9, v9
	v_fmaak_f32 v9, v32, v33, 0x3d29fb3f
	s_delay_alu instid0(VALU_DEP_1) | instskip(NEXT) | instid1(VALU_DEP_3)
	v_fmaak_f32 v9, v32, v9, 0xbd97d4d7
	v_sqrt_f32_e32 v22, v22
	s_delay_alu instid0(VALU_DEP_1) | instskip(NEXT) | instid1(TRANS32_DEP_1)
	v_fmaak_f32 v9, v32, v9, 0x3dd931b2
	v_ldexp_f32 v22, v22, v30
	s_delay_alu instid0(VALU_DEP_2) | instskip(NEXT) | instid1(VALU_DEP_1)
	v_fmaak_f32 v9, v32, v9, 0xbe1160e6
	v_fmaak_f32 v9, v32, v9, 0x3e4cb8bf
	s_delay_alu instid0(VALU_DEP_1) | instskip(NEXT) | instid1(VALU_DEP_1)
	v_fmaak_f32 v9, v32, v9, 0xbeaaaa62
	v_dual_cndmask_b32 v22, 0x7f800000, v22 :: v_dual_mul_f32 v9, v32, v9
	s_delay_alu instid0(VALU_DEP_1) | instskip(NEXT) | instid1(VALU_DEP_2)
	v_cmp_gt_f32_e32 vcc_lo, 0x800000, v22
	v_fmac_f32_e32 v31, v31, v9
	v_cndmask_b32_e64 v28, 0, 32, vcc_lo
	v_cndmask_b32_e64 v32, 0, 0x41b17218, vcc_lo
	s_delay_alu instid0(VALU_DEP_2) | instskip(NEXT) | instid1(VALU_DEP_1)
	v_ldexp_f32 v22, v22, v28
	v_log_f32_e32 v22, v22
	v_nop
	s_delay_alu instid0(TRANS32_DEP_1) | instskip(SKIP_1) | instid1(VALU_DEP_2)
	v_mul_f32_e32 v28, 0x3f317217, v22
	v_cmp_gt_f32_e64 vcc_lo, 0x7f800000, |v22|
	v_fma_f32 v9, 0x3f317217, v22, -v28
	s_delay_alu instid0(VALU_DEP_1) | instskip(NEXT) | instid1(VALU_DEP_1)
	v_fmac_f32_e32 v9, 0x3377d1cf, v22
	v_fmac_f32_e32 v9, 0x3f317217, v22
	s_delay_alu instid0(VALU_DEP_1) | instskip(SKIP_1) | instid1(VALU_DEP_2)
	v_dual_sub_f32 v28, 0x3fc90fdb, v31 :: v_dual_cndmask_b32 v9, v22, v9
	v_cmp_eq_f32_e32 vcc_lo, 0, v11
	v_sub_f32_e32 v9, v9, v32
	s_delay_alu instid0(VALU_DEP_3) | instskip(SKIP_1) | instid1(VALU_DEP_2)
	v_cndmask_b32_e64 v28, v31, v28, s4
	v_cmp_gt_i32_e64 s4, 0, v10
	v_sub_f32_e32 v31, 0x40490fdb, v28
	s_delay_alu instid0(VALU_DEP_2) | instskip(SKIP_1) | instid1(VALU_DEP_1)
	v_cndmask_b32_e64 v30, 0, 0x40490fdb, s4
	v_cmp_gt_f32_e64 s4, 0, v10
	v_cndmask_b32_e64 v10, v28, v31, s4
	v_cndmask_b32_e64 v22, 0x3f490fdb, v38, s4
	s_delay_alu instid0(VALU_DEP_2) | instskip(SKIP_1) | instid1(VALU_DEP_1)
	v_dual_add_f32 v31, 1.0, v9 :: v_dual_cndmask_b32 v10, v10, v30
	s_and_b32 vcc_lo, s7, s5
	v_cndmask_b32_e32 v22, v10, v22, vcc_lo
.LBB192_248:                            ;   in Loop: Header=BB192_145 Depth=1
	s_or_b32 exec_lo, exec_lo, s6
.LBB192_249:                            ;   in Loop: Header=BB192_145 Depth=1
	s_and_not1_saveexec_b32 s4, s29
	s_cbranch_execz .LBB192_255
; %bb.250:                              ;   in Loop: Header=BB192_145 Depth=1
	v_cmp_ngt_f32_e64 s5, 0x20000000, |v10|
	v_cmp_ngt_f32_e64 s6, 0x20000000, |v11|
                                        ; implicit-def: $vgpr9
	s_or_b32 s5, s6, s5
	s_delay_alu instid0(SALU_CYCLE_1) | instskip(NEXT) | instid1(SALU_CYCLE_1)
	s_and_saveexec_b32 s6, s5
	s_xor_b32 s5, exec_lo, s6
; %bb.251:                              ;   in Loop: Header=BB192_145 Depth=1
	v_pk_mul_f32 v[30:31], v[10:11], v[10:11]
	s_delay_alu instid0(VALU_DEP_1)
	v_add_f32_e32 v9, v31, v30
; %bb.252:                              ;   in Loop: Header=BB192_145 Depth=1
	s_and_not1_saveexec_b32 s5, s5
; %bb.253:                              ;   in Loop: Header=BB192_145 Depth=1
	v_pk_mul_f32 v[30:31], v[10:11], 4.0 op_sel_hi:[1,0]
	s_delay_alu instid0(VALU_DEP_1) | instskip(NEXT) | instid1(VALU_DEP_1)
	v_pk_mul_f32 v[30:31], v[30:31], v[30:31]
	v_add_f32_e32 v9, v31, v30
	s_delay_alu instid0(VALU_DEP_1)
	v_mul_f32_e32 v9, 0x3d800000, v9
; %bb.254:                              ;   in Loop: Header=BB192_145 Depth=1
	s_or_b32 exec_lo, exec_lo, s5
	s_delay_alu instid0(VALU_DEP_1) | instskip(SKIP_2) | instid1(VALU_DEP_2)
	v_cmp_gt_f32_e32 vcc_lo, 0x800000, v9
	v_cndmask_b32_e64 v10, 0, 32, vcc_lo
	v_cndmask_b32_e64 v22, 0, 0x41b17218, vcc_lo
	v_ldexp_f32 v9, v9, v10
	s_delay_alu instid0(VALU_DEP_1) | instskip(SKIP_1) | instid1(TRANS32_DEP_1)
	v_log_f32_e32 v9, v9
	v_nop
	v_mul_f32_e32 v10, 0x3f317217, v9
	v_cmp_gt_f32_e64 vcc_lo, 0x7f800000, |v9|
	s_delay_alu instid0(VALU_DEP_2) | instskip(NEXT) | instid1(VALU_DEP_1)
	v_fma_f32 v10, 0x3f317217, v9, -v10
	v_fmac_f32_e32 v10, 0x3377d1cf, v9
	s_delay_alu instid0(VALU_DEP_1) | instskip(NEXT) | instid1(VALU_DEP_1)
	v_fmac_f32_e32 v10, 0x3f317217, v9
	v_cndmask_b32_e32 v9, v9, v10, vcc_lo
	s_delay_alu instid0(VALU_DEP_1)
	v_dual_sub_f32 v31, v9, v22 :: v_dual_mov_b32 v22, 0x7fc00000
.LBB192_255:                            ;   in Loop: Header=BB192_145 Depth=1
	s_or_b32 exec_lo, exec_lo, s4
                                        ; implicit-def: $vgpr33
                                        ; implicit-def: $vgpr9
	s_delay_alu instid0(SALU_CYCLE_1)
	s_mov_b32 s4, exec_lo
	v_cmpx_o_f32_e32 v21, v20
	s_xor_b32 s29, exec_lo, s4
	s_cbranch_execnz .LBB192_261
; %bb.256:                              ;   in Loop: Header=BB192_145 Depth=1
	s_and_not1_saveexec_b32 s4, s29
	s_cbranch_execnz .LBB192_288
.LBB192_257:                            ;   in Loop: Header=BB192_145 Depth=1
	s_or_b32 exec_lo, exec_lo, s4
	s_and_saveexec_b32 s4, s3
	s_delay_alu instid0(SALU_CYCLE_1)
	s_xor_b32 s3, exec_lo, s4
	s_cbranch_execnz .LBB192_293
.LBB192_258:                            ;   in Loop: Header=BB192_145 Depth=1
	s_or_b32 exec_lo, exec_lo, s3
	s_and_saveexec_b32 s3, s2
	s_cbranch_execnz .LBB192_294
.LBB192_259:                            ;   in Loop: Header=BB192_145 Depth=1
	s_or_b32 exec_lo, exec_lo, s3
	s_and_saveexec_b32 s2, s1
	s_cbranch_execnz .LBB192_295
.LBB192_260:                            ;   in Loop: Header=BB192_145 Depth=1
	s_or_b32 exec_lo, exec_lo, s2
	s_and_saveexec_b32 s1, s0
	s_cbranch_execz .LBB192_144
	s_branch .LBB192_296
.LBB192_261:                            ;   in Loop: Header=BB192_145 Depth=1
	v_cmp_lt_f32_e64 s4, |v20|, |v21|
                                        ; implicit-def: $vgpr33
                                        ; implicit-def: $vgpr9
	s_mov_b32 s6, exec_lo
	v_cndmask_b32_e64 v10, v21, v20, s4
	s_delay_alu instid0(VALU_DEP_1)
	v_cmpx_nlt_f32_e64 0x77f684df, |v10|
	s_xor_b32 s30, exec_lo, s6
	s_cbranch_execz .LBB192_285
; %bb.262:                              ;   in Loop: Header=BB192_145 Depth=1
	v_cndmask_b32_e64 v9, v20, v21, s4
	v_and_b32_e32 v34, 0x7fffffff, v10
                                        ; implicit-def: $vgpr33
	s_mov_b32 s5, exec_lo
	s_delay_alu instid0(VALU_DEP_2) | instskip(NEXT) | instid1(VALU_DEP_1)
	v_and_b32_e32 v35, 0x7fffffff, v9
                                        ; implicit-def: $vgpr9
	v_cmpx_neq_f32_e32 1.0, v35
	s_xor_b32 s31, exec_lo, s5
	s_cbranch_execz .LBB192_278
; %bb.263:                              ;   in Loop: Header=BB192_145 Depth=1
	v_dual_max_num_f32 v9, v34, v34 :: v_dual_max_num_f32 v10, v35, v35
                                        ; implicit-def: $vgpr33
	s_delay_alu instid0(VALU_DEP_1) | instskip(NEXT) | instid1(VALU_DEP_1)
	v_dual_min_num_f32 v28, v10, v9 :: v_dual_max_num_f32 v9, v10, v9
	v_cmp_ngt_f32_e32 vcc_lo, 0x358637bd, v28
	s_delay_alu instid0(VALU_DEP_2) | instskip(SKIP_1) | instid1(SALU_CYCLE_1)
	v_cmp_nlt_f32_e64 s5, 0x49742400, v9
                                        ; implicit-def: $vgpr9
	s_and_b32 s5, s5, vcc_lo
	s_and_saveexec_b32 s6, s5
	s_delay_alu instid0(SALU_CYCLE_1)
	s_xor_b32 s33, exec_lo, s6
	s_cbranch_execz .LBB192_275
; %bb.264:                              ;   in Loop: Header=BB192_145 Depth=1
                                        ; implicit-def: $vgpr33
                                        ; implicit-def: $vgpr9
	s_mov_b32 s5, exec_lo
	v_cmpx_le_f32_e32 1.0, v35
	s_xor_b32 s6, exec_lo, s5
	s_cbranch_execz .LBB192_266
; %bb.265:                              ;   in Loop: Header=BB192_145 Depth=1
	v_pk_add_f32 v[32:33], v[34:35], v[6:7] op_sel:[1,0]
	v_mov_b32_e32 v36, v34
	v_cmp_class_f32_e64 s7, v20, 0x204
	s_delay_alu instid0(VALU_DEP_3) | instskip(SKIP_1) | instid1(VALU_DEP_1)
	v_dual_mov_b32 v35, v32 :: v_dual_mov_b32 v37, v33
	v_mul_f32_e32 v10, v32, v33
	v_pk_fma_f32 v[32:33], v[34:35], v[36:37], v[10:11] op_sel_hi:[1,1,0]
	s_delay_alu instid0(VALU_DEP_1) | instskip(SKIP_1) | instid1(VALU_DEP_2)
	v_add_f32_e32 v35, 1.0, v32
	v_cmp_neq_f32_e64 s5, -1.0, v32
	v_add_f32_e32 v33, -1.0, v35
	s_delay_alu instid0(VALU_DEP_1) | instskip(SKIP_2) | instid1(VALU_DEP_1)
	v_mov_b32_e32 v34, v33
	v_cvt_f64_f32_e32 v[36:37], v35
	v_frexp_mant_f32_e32 v10, v35
	v_cmp_gt_f32_e32 vcc_lo, 0x3f2aaaab, v10
	s_delay_alu instid0(VALU_DEP_3) | instskip(NEXT) | instid1(VALU_DEP_1)
	v_frexp_exp_i32_f64_e32 v9, v[36:37]
	v_subrev_co_ci_u32_e64 v9, null, 0, v9, vcc_lo
	v_cmp_neq_f32_e32 vcc_lo, 0x7f800000, v32
	s_delay_alu instid0(VALU_DEP_2) | instskip(SKIP_1) | instid1(VALU_DEP_2)
	v_sub_nc_u32_e32 v10, 0, v9
	v_pk_add_f32 v[36:37], v[32:33], v[34:35] neg_lo:[0,1] neg_hi:[0,1]
	v_ldexp_f32 v28, v35, v10
	s_delay_alu instid0(VALU_DEP_1) | instskip(NEXT) | instid1(VALU_DEP_1)
	v_dual_add_f32 v30, 1.0, v37 :: v_dual_add_f32 v33, 1.0, v28
	v_dual_add_f32 v30, v36, v30 :: v_dual_add_f32 v34, -1.0, v33
	v_add_f32_e32 v39, -1.0, v28
	s_delay_alu instid0(VALU_DEP_2) | instskip(NEXT) | instid1(VALU_DEP_2)
	v_ldexp_f32 v10, v30, v10
	v_dual_sub_f32 v30, v28, v34 :: v_dual_add_f32 v34, 1.0, v39
	s_delay_alu instid0(VALU_DEP_1) | instskip(NEXT) | instid1(VALU_DEP_1)
	v_add_f32_e32 v30, v10, v30
	v_add_f32_e32 v42, v33, v30
	s_delay_alu instid0(VALU_DEP_1) | instskip(NEXT) | instid1(VALU_DEP_1)
	v_dual_sub_f32 v28, v28, v34 :: v_dual_sub_f32 v33, v42, v33
	v_add_f32_e32 v10, v10, v28
	v_rcp_f32_e32 v28, v42
	s_delay_alu instid0(VALU_DEP_1)
	v_dual_sub_f32 v30, v30, v33 :: v_dual_add_f32 v35, v39, v10
	s_delay_alu instid0(TRANS32_DEP_1) | instid1(VALU_DEP_1)
	v_mul_f32_e32 v43, v35, v28
	s_delay_alu instid0(VALU_DEP_1) | instskip(SKIP_1) | instid1(VALU_DEP_1)
	v_mul_f32_e32 v36, v42, v43
	v_sub_f32_e32 v33, v35, v39
	v_dual_fma_f32 v40, v43, v42, -v36 :: v_dual_sub_f32 v10, v10, v33
	s_delay_alu instid0(VALU_DEP_1) | instskip(NEXT) | instid1(VALU_DEP_1)
	v_fmac_f32_e32 v40, v43, v30
	v_add_f32_e32 v34, v36, v40
	s_delay_alu instid0(VALU_DEP_1) | instskip(NEXT) | instid1(VALU_DEP_1)
	v_dual_sub_f32 v37, v35, v34 :: v_dual_mov_b32 v41, v34
	v_pk_add_f32 v[34:35], v[34:35], v[36:37] neg_lo:[0,1] neg_hi:[0,1]
	s_delay_alu instid0(VALU_DEP_1) | instskip(NEXT) | instid1(VALU_DEP_1)
	v_pk_add_f32 v[34:35], v[34:35], v[40:41] neg_lo:[0,1] neg_hi:[0,1]
	v_add_f32_e32 v10, v10, v35
	s_delay_alu instid0(VALU_DEP_1) | instskip(NEXT) | instid1(VALU_DEP_1)
	v_add_f32_e32 v10, v34, v10
	v_add_f32_e32 v35, v37, v10
	s_delay_alu instid0(VALU_DEP_1) | instskip(NEXT) | instid1(VALU_DEP_1)
	v_mul_f32_e32 v33, v28, v35
	v_mul_f32_e32 v40, v42, v33
	s_delay_alu instid0(VALU_DEP_1) | instskip(NEXT) | instid1(VALU_DEP_1)
	v_fma_f32 v36, v33, v42, -v40
	v_fmac_f32_e32 v36, v33, v30
	v_sub_f32_e32 v30, v37, v35
	s_delay_alu instid0(VALU_DEP_1) | instskip(SKIP_1) | instid1(VALU_DEP_2)
	v_dual_add_f32 v10, v10, v30 :: v_dual_add_f32 v34, v40, v36
	v_add_f32_e32 v30, v43, v33
	v_dual_sub_f32 v41, v35, v34 :: v_dual_mov_b32 v37, v34
	s_delay_alu instid0(VALU_DEP_1) | instskip(NEXT) | instid1(VALU_DEP_1)
	v_pk_add_f32 v[34:35], v[34:35], v[40:41] neg_lo:[0,1] neg_hi:[0,1]
	v_pk_add_f32 v[34:35], v[34:35], v[36:37] neg_lo:[0,1] neg_hi:[0,1]
	s_delay_alu instid0(VALU_DEP_1) | instskip(NEXT) | instid1(VALU_DEP_1)
	v_add_f32_e32 v10, v10, v35
	v_add_f32_e32 v10, v34, v10
	s_delay_alu instid0(VALU_DEP_1) | instskip(NEXT) | instid1(VALU_DEP_1)
	v_dual_sub_f32 v34, v30, v43 :: v_dual_add_f32 v10, v41, v10
	v_sub_f32_e32 v33, v33, v34
	v_cvt_f32_i32_e32 v34, v9
	s_delay_alu instid0(VALU_DEP_3) | instskip(NEXT) | instid1(VALU_DEP_1)
	v_mul_f32_e32 v10, v28, v10
	v_add_f32_e32 v10, v33, v10
	s_delay_alu instid0(VALU_DEP_1) | instskip(NEXT) | instid1(VALU_DEP_1)
	v_add_f32_e32 v28, v30, v10
	v_mul_f32_e32 v33, v28, v28
	s_delay_alu instid0(VALU_DEP_1) | instskip(NEXT) | instid1(VALU_DEP_1)
	v_fmaak_f32 v36, s27, v33, 0x3ecc95a3
	v_fmaak_f32 v9, v33, v36, 0x3f2aaada
	v_mul_f32_e32 v35, v28, v33
	v_ldexp_f32 v41, v28, 1
	s_delay_alu instid0(VALU_DEP_2) | instskip(SKIP_1) | instid1(VALU_DEP_2)
	v_pk_mul_f32 v[36:37], v[34:35], v[8:9]
	v_sub_f32_e32 v9, v28, v30
	v_fma_f32 v40, 0x3f317218, v34, -v36
	s_delay_alu instid0(VALU_DEP_2) | instskip(NEXT) | instid1(VALU_DEP_2)
	v_dual_sub_f32 v9, v10, v9 :: v_dual_mov_b32 v42, v36
	v_fmac_f32_e32 v40, 0xb102e308, v34
	s_delay_alu instid0(VALU_DEP_1) | instskip(NEXT) | instid1(VALU_DEP_1)
	v_pk_add_f32 v[34:35], v[36:37], v[40:41]
	v_dual_sub_f32 v10, v35, v41 :: v_dual_mov_b32 v41, v34
	s_delay_alu instid0(VALU_DEP_1) | instskip(SKIP_2) | instid1(VALU_DEP_2)
	v_dual_mov_b32 v50, v35 :: v_dual_sub_f32 v10, v37, v10
	v_ldexp_f32 v9, v9, 1
	v_pk_add_f32 v[36:37], v[34:35], v[36:37] neg_lo:[0,1] neg_hi:[0,1]
	v_add_f32_e32 v43, v9, v10
	v_max_num_f32_e64 v9, |v21|, |v21|
	v_max_num_f32_e64 v10, |v20|, |v20|
	s_delay_alu instid0(VALU_DEP_3) | instskip(NEXT) | instid1(VALU_DEP_1)
	v_pk_add_f32 v[44:45], v[34:35], v[42:43]
	v_dual_max_num_f32 v28, v10, v9 :: v_dual_mov_b32 v37, v45
	s_delay_alu instid0(VALU_DEP_1) | instskip(SKIP_1) | instid1(VALU_DEP_3)
	v_frexp_exp_i32_f32_e32 v30, v28
	v_frexp_mant_f32_e32 v28, v28
	v_pk_add_f32 v[46:47], v[40:41], v[36:37]
	v_min_num_f32_e32 v9, v10, v9
	v_pk_add_f32 v[36:37], v[40:41], v[36:37] neg_lo:[0,1] neg_hi:[0,1]
	s_delay_alu instid0(VALU_DEP_4) | instskip(NEXT) | instid1(VALU_DEP_3)
	v_rcp_f32_e32 v28, v28
	v_mov_b32_e32 v10, v47
	s_delay_alu instid0(VALU_DEP_3) | instskip(SKIP_2) | instid1(VALU_DEP_4)
	v_frexp_exp_i32_f32_e32 v33, v9
	v_frexp_mant_f32_e32 v39, v9
	v_mov_b32_e32 v37, v47
	v_pk_add_f32 v[48:49], v[10:11], v[34:35] neg_lo:[0,1] neg_hi:[0,1]
	s_delay_alu instid0(VALU_DEP_4) | instskip(SKIP_1) | instid1(VALU_DEP_3)
	v_sub_nc_u32_e32 v30, v33, v30
	v_dual_mov_b32 v46, v45 :: v_dual_mov_b32 v35, v34
	v_dual_mov_b32 v34, v43 :: v_dual_mov_b32 v51, v48
	v_dual_mov_b32 v9, v48 :: v_dual_mul_f32 v28, v39, v28
	s_delay_alu instid0(VALU_DEP_2) | instskip(NEXT) | instid1(VALU_DEP_2)
	v_pk_add_f32 v[40:41], v[46:47], v[50:51] neg_lo:[0,1] neg_hi:[0,1]
	v_pk_add_f32 v[42:43], v[44:45], v[8:9] neg_lo:[0,1] neg_hi:[0,1]
	s_delay_alu instid0(VALU_DEP_3) | instskip(SKIP_1) | instid1(VALU_DEP_4)
	v_ldexp_f32 v9, v28, v30
	v_mov_b32_e32 v42, v36
	v_pk_add_f32 v[34:35], v[34:35], v[40:41] neg_lo:[0,1] neg_hi:[0,1]
	s_delay_alu instid0(VALU_DEP_3) | instskip(NEXT) | instid1(VALU_DEP_2)
	v_mul_f32_e32 v30, v9, v9
	v_pk_add_f32 v[40:41], v[42:43], v[34:35]
	s_delay_alu instid0(VALU_DEP_1) | instskip(NEXT) | instid1(VALU_DEP_1)
	v_dual_fmaak_f32 v33, s28, v30, 0xbc7a590c :: v_dual_mov_b32 v28, v41
	v_pk_add_f32 v[42:43], v[40:41], v[28:29]
	s_delay_alu instid0(VALU_DEP_2) | instskip(NEXT) | instid1(VALU_DEP_2)
	v_fmaak_f32 v28, v30, v33, 0x3d29fb3f
	v_pk_add_f32 v[44:45], v[10:11], v[42:43]
	s_delay_alu instid0(VALU_DEP_1) | instskip(NEXT) | instid1(VALU_DEP_1)
	v_dual_fmaak_f32 v10, v30, v28, 0xbd97d4d7 :: v_dual_mov_b32 v41, v44
	v_fmaak_f32 v10, v30, v10, 0x3dd931b2
	s_delay_alu instid0(VALU_DEP_2) | instskip(NEXT) | instid1(VALU_DEP_2)
	v_pk_add_f32 v[46:47], v[40:41], v[36:37] neg_lo:[0,1] neg_hi:[0,1]
	v_fmaak_f32 v10, v30, v10, 0xbe1160e6
	s_delay_alu instid0(VALU_DEP_2) | instskip(NEXT) | instid1(VALU_DEP_2)
	v_dual_mov_b32 v35, v42 :: v_dual_sub_f32 v28, v40, v46
	v_fmaak_f32 v10, v30, v10, 0x3e4cb8bf
	s_delay_alu instid0(VALU_DEP_2) | instskip(NEXT) | instid1(VALU_DEP_2)
	v_pk_add_f32 v[34:35], v[34:35], v[46:47] neg_lo:[0,1] neg_hi:[0,1]
	v_fmaak_f32 v10, v30, v10, 0xbeaaaa62
	s_delay_alu instid0(VALU_DEP_1) | instskip(NEXT) | instid1(VALU_DEP_1)
	v_dual_sub_f32 v28, v36, v28 :: v_dual_mul_f32 v10, v30, v10
	v_dual_add_f32 v28, v34, v28 :: v_dual_fmac_f32 v9, v9, v10
	s_delay_alu instid0(VALU_DEP_1) | instskip(NEXT) | instid1(VALU_DEP_1)
	v_add_f32_e32 v28, v28, v35
                                        ; implicit-def: $vgpr34_vgpr35
	v_add_f32_e32 v10, v44, v28
	s_delay_alu instid0(VALU_DEP_3) | instskip(NEXT) | instid1(VALU_DEP_1)
	v_sub_f32_e32 v28, 0x3fc90fdb, v9
	v_cndmask_b32_e64 v9, v9, v28, s4
	s_delay_alu instid0(VALU_DEP_3) | instskip(SKIP_1) | instid1(VALU_DEP_3)
	v_cndmask_b32_e32 v10, 0x7f800000, v10, vcc_lo
	v_cmp_gt_i32_e32 vcc_lo, 0, v20
	v_sub_f32_e32 v30, 0x40490fdb, v9
	v_cndmask_b32_e64 v28, 0, 0x40490fdb, vcc_lo
	v_cmp_ngt_f32_e32 vcc_lo, -1.0, v32
	v_cndmask_b32_e32 v10, 0x7fc00000, v10, vcc_lo
	v_cmp_gt_f32_e32 vcc_lo, 0, v20
	s_delay_alu instid0(VALU_DEP_2)
	v_cndmask_b32_e64 v10, 0xff800000, v10, s5
	v_cndmask_b32_e32 v9, v9, v30, vcc_lo
	v_cndmask_b32_e32 v20, 0x3f490fdb, v38, vcc_lo
	v_cmp_gt_f32_e64 vcc_lo, 0x33800000, |v32|
	v_cmp_class_f32_e64 s5, v21, 0x204
	v_cndmask_b32_e32 v10, v10, v32, vcc_lo
	v_cmp_eq_f32_e32 vcc_lo, 0, v21
	s_delay_alu instid0(VALU_DEP_2) | instskip(SKIP_1) | instid1(VALU_DEP_1)
	v_dual_mul_f32 v33, 0.5, v10 :: v_dual_cndmask_b32 v9, v9, v28, vcc_lo
	s_and_b32 vcc_lo, s5, s7
	v_cndmask_b32_e32 v9, v9, v20, vcc_lo
.LBB192_266:                            ;   in Loop: Header=BB192_145 Depth=1
	s_and_not1_saveexec_b32 s34, s6
	s_cbranch_execz .LBB192_274
; %bb.267:                              ;   in Loop: Header=BB192_145 Depth=1
	v_pk_mul_f32 v[32:33], v[34:35], v[34:35]
                                        ; implicit-def: $vgpr9
	s_mov_b32 s5, exec_lo
	s_delay_alu instid0(VALU_DEP_1) | instskip(NEXT) | instid1(VALU_DEP_1)
	v_add_f32_e32 v10, v33, v32
                                        ; implicit-def: $vgpr33
	v_cmpx_ge_f32_e32 0x3f333333, v10
	s_xor_b32 s6, exec_lo, s5
	s_cbranch_execz .LBB192_269
; %bb.268:                              ;   in Loop: Header=BB192_145 Depth=1
	v_max_num_f32_e64 v9, |v21|, |v21|
	v_max_num_f32_e64 v28, |v20|, |v20|
	v_cmp_gt_f32_e32 vcc_lo, 0x800000, v10
	v_cmp_gt_i32_e64 s5, 0, v20
	v_cmp_class_f32_e64 s7, v20, 0x204
	v_cmp_class_f32_e64 s8, v21, 0x204
	v_dual_max_num_f32 v30, v28, v9 :: v_dual_min_num_f32 v9, v28, v9
	v_cndmask_b32_e64 v33, 0, 0x41b17218, vcc_lo
                                        ; implicit-def: $vgpr34
	s_delay_alu instid0(VALU_DEP_2) | instskip(SKIP_1) | instid1(VALU_DEP_2)
	v_frexp_mant_f32_e32 v32, v30
	v_frexp_exp_i32_f32_e32 v28, v30
	v_rcp_f32_e32 v30, v32
	v_nop
	v_frexp_exp_i32_f32_e32 v32, v9
	v_frexp_mant_f32_e32 v9, v9
	s_delay_alu instid0(TRANS32_DEP_1) | instid1(VALU_DEP_1)
	v_dual_mul_f32 v9, v9, v30 :: v_dual_sub_nc_u32 v28, v32, v28
	v_cndmask_b32_e64 v32, 0, 32, vcc_lo
	s_delay_alu instid0(VALU_DEP_2) | instskip(NEXT) | instid1(VALU_DEP_2)
	v_ldexp_f32 v9, v9, v28
	v_ldexp_f32 v10, v10, v32
	s_delay_alu instid0(VALU_DEP_2) | instskip(NEXT) | instid1(VALU_DEP_2)
	v_mul_f32_e32 v28, v9, v9
	v_log_f32_e32 v10, v10
	s_delay_alu instid0(VALU_DEP_1) | instskip(NEXT) | instid1(TRANS32_DEP_1)
	v_fmaak_f32 v30, s28, v28, 0xbc7a590c
	v_cmp_gt_f32_e64 vcc_lo, 0x7f800000, |v10|
	s_delay_alu instid0(VALU_DEP_2) | instskip(NEXT) | instid1(VALU_DEP_1)
	v_fmaak_f32 v30, v28, v30, 0x3d29fb3f
	v_fmaak_f32 v30, v28, v30, 0xbd97d4d7
	s_delay_alu instid0(VALU_DEP_1) | instskip(NEXT) | instid1(VALU_DEP_1)
	v_fmaak_f32 v30, v28, v30, 0x3dd931b2
	v_fmaak_f32 v30, v28, v30, 0xbe1160e6
	s_delay_alu instid0(VALU_DEP_1) | instskip(NEXT) | instid1(VALU_DEP_1)
	;; [unrolled: 3-line block ×3, first 2 shown]
	v_mul_f32_e32 v28, v28, v30
	v_dual_mul_f32 v30, 0x3f317217, v10 :: v_dual_fmac_f32 v9, v9, v28
	s_delay_alu instid0(VALU_DEP_1) | instskip(NEXT) | instid1(VALU_DEP_2)
	v_fma_f32 v28, 0x3f317217, v10, -v30
	v_sub_f32_e32 v30, 0x3fc90fdb, v9
	s_delay_alu instid0(VALU_DEP_2) | instskip(NEXT) | instid1(VALU_DEP_2)
	v_fmac_f32_e32 v28, 0x3377d1cf, v10
	v_cndmask_b32_e64 v9, v9, v30, s4
	s_delay_alu instid0(VALU_DEP_2) | instskip(SKIP_2) | instid1(VALU_DEP_4)
	v_fmac_f32_e32 v28, 0x3f317217, v10
	v_cndmask_b32_e64 v30, 0, 0x40490fdb, s5
	v_cmp_eq_f32_e64 s5, 0, v21
	v_sub_f32_e32 v32, 0x40490fdb, v9
	s_delay_alu instid0(VALU_DEP_4) | instskip(SKIP_1) | instid1(VALU_DEP_3)
	v_cndmask_b32_e32 v10, v10, v28, vcc_lo
	v_cmp_gt_f32_e32 vcc_lo, 0, v20
	v_cndmask_b32_e32 v9, v9, v32, vcc_lo
	v_cndmask_b32_e32 v20, 0x3f490fdb, v38, vcc_lo
	s_and_b32 vcc_lo, s8, s7
	s_delay_alu instid0(VALU_DEP_2) | instskip(NEXT) | instid1(VALU_DEP_1)
	v_dual_cndmask_b32 v9, v9, v30, s5 :: v_dual_sub_f32 v10, v10, v33
	v_dual_cndmask_b32 v9, v9, v20, vcc_lo :: v_dual_mul_f32 v33, 0.5, v10
.LBB192_269:                            ;   in Loop: Header=BB192_145 Depth=1
	s_and_not1_saveexec_b32 s35, s6
	s_cbranch_execz .LBB192_273
; %bb.270:                              ;   in Loop: Header=BB192_145 Depth=1
	v_and_b32_e32 v33, 0x7fff0000, v34
	v_and_b32_e32 v32, 0x7fff0000, v35
	s_mov_b32 s36, 0
	s_delay_alu instid0(VALU_DEP_1) | instskip(SKIP_2) | instid1(VALU_DEP_2)
	v_dual_add_f32 v39, v33, v33 :: v_dual_add_f32 v10, v32, v32
	v_pk_add_f32 v[34:35], v[34:35], v[32:33] op_sel:[1,0] op_sel_hi:[0,1] neg_lo:[0,1] neg_hi:[0,1]
	v_pk_mul_f32 v[32:33], v[32:33], v[32:33]
	v_and_b32_e32 v37, 0xffff0000, v35
	s_delay_alu instid0(VALU_DEP_3) | instskip(NEXT) | instid1(VALU_DEP_1)
	v_and_b32_e32 v36, 0xffff0000, v34
	v_dual_add_f32 v42, v37, v37 :: v_dual_add_f32 v41, v36, v36
	v_pk_add_f32 v[34:35], v[34:35], v[36:37] neg_lo:[0,1] neg_hi:[0,1]
	v_dual_mul_f32 v9, v10, v36 :: v_dual_mul_f32 v30, v39, v37
	v_pk_mul_f32 v[36:37], v[36:37], v[36:37]
	s_delay_alu instid0(VALU_DEP_3)
	v_dual_mul_f32 v28, v10, v34 :: v_dual_mul_f32 v40, v39, v35
	v_dual_mul_f32 v10, v41, v34 :: v_dual_mul_f32 v39, v42, v35
	v_pk_mul_f32 v[34:35], v[34:35], v[34:35]
.LBB192_271:                            ;   Parent Loop BB192_145 Depth=1
                                        ; =>  This Inner Loop Header: Depth=2
	v_cmp_nlt_f32_e32 vcc_lo, v32, v33
	v_dual_cndmask_b32 v41, v32, v33 :: v_dual_cndmask_b32 v32, v33, v32
	s_delay_alu instid0(VALU_DEP_1) | instskip(NEXT) | instid1(VALU_DEP_1)
	v_cmp_nlt_f32_e64 s5, v41, v9
	v_cndmask_b32_e64 v42, v41, v9, s5
	v_cndmask_b32_e64 v33, v9, v41, s5
	s_and_b32 s5, vcc_lo, s5
	s_delay_alu instid0(VALU_DEP_2) | instskip(NEXT) | instid1(VALU_DEP_1)
	v_cmp_nlt_f32_e64 s6, v42, v30
	v_cndmask_b32_e64 v43, v42, v30, s6
	s_delay_alu instid0(VALU_DEP_1) | instskip(NEXT) | instid1(VALU_DEP_1)
	v_cmp_nlt_f32_e64 s7, v43, v36
	v_cndmask_b32_e64 v41, v43, v36, s7
	s_and_b32 s37, s6, s7
	s_delay_alu instid0(VALU_DEP_1) | instskip(SKIP_1) | instid1(VALU_DEP_2)
	v_cmp_nlt_f32_e64 s8, v41, v37
	v_dual_cndmask_b32 v9, v30, v42, s6 :: v_dual_cndmask_b32 v30, v36, v43, s7
	v_cndmask_b32_e64 v42, v41, v37, s8
	v_cndmask_b32_e64 v36, v37, v41, s8
	s_delay_alu instid0(VALU_DEP_2) | instskip(NEXT) | instid1(VALU_DEP_1)
	v_cmp_nlt_f32_e64 s9, v42, v28
	v_cndmask_b32_e64 v44, v42, v28, s9
	s_and_b32 s8, s8, s9
	s_delay_alu instid0(VALU_DEP_1) | instskip(NEXT) | instid1(VALU_DEP_1)
	v_cmp_nlt_f32_e64 s10, v44, v40
	v_cndmask_b32_e64 v45, v44, v40, s10
	s_and_b32 s8, s8, s10
	s_delay_alu instid0(VALU_DEP_1) | instskip(NEXT) | instid1(VALU_DEP_1)
	v_cmp_nlt_f32_e64 s11, v45, v10
	v_cndmask_b32_e64 v43, v45, v10, s11
	v_cndmask_b32_e64 v37, v28, v42, s9
	;; [unrolled: 1-line block ×3, first 2 shown]
	s_and_b32 s9, s8, s11
	v_cndmask_b32_e64 v40, v10, v45, s11
	v_cmp_nlt_f32_e64 s6, v43, v39
	s_delay_alu instid0(VALU_DEP_1) | instskip(SKIP_2) | instid1(VALU_DEP_2)
	v_cndmask_b32_e64 v41, v43, v39, s6
	v_cndmask_b32_e64 v10, v39, v43, s6
	s_and_b32 s6, s9, s6
	v_cmp_nlt_f32_e64 s7, v41, v34
	s_delay_alu instid0(VALU_DEP_1) | instskip(SKIP_1) | instid1(VALU_DEP_1)
	v_dual_cndmask_b32 v42, v41, v34, s7 :: v_dual_cndmask_b32 v39, v34, v41, s7
	s_and_b32 s6, s6, s7
	v_cmp_nlt_f32_e64 s8, v42, v35
	s_and_b32 s6, s6, s8
	v_dual_cndmask_b32 v34, v35, v42, s8 :: v_dual_cndmask_b32 v35, v42, v35, s8
	s_and_b32 s6, s6, s37
	s_delay_alu instid0(SALU_CYCLE_1) | instskip(NEXT) | instid1(SALU_CYCLE_1)
	s_and_b32 s5, s6, s5
	s_and_b32 s5, exec_lo, s5
	s_delay_alu instid0(SALU_CYCLE_1) | instskip(NEXT) | instid1(SALU_CYCLE_1)
	s_or_b32 s36, s5, s36
	s_and_not1_b32 exec_lo, exec_lo, s36
	s_cbranch_execnz .LBB192_271
; %bb.272:                              ;   in Loop: Header=BB192_145 Depth=1
	s_or_b32 exec_lo, exec_lo, s36
	v_add_f32_e32 v32, -1.0, v32
	v_cmp_class_f32_e64 s6, v20, 0x204
	s_delay_alu instid0(VALU_DEP_2) | instskip(NEXT) | instid1(VALU_DEP_1)
	v_add_f32_e32 v32, v32, v33
	v_add_f32_e32 v9, v32, v9
	s_delay_alu instid0(VALU_DEP_1) | instskip(NEXT) | instid1(VALU_DEP_1)
	v_add_f32_e32 v9, v9, v30
	v_add_f32_e32 v9, v9, v36
	s_delay_alu instid0(VALU_DEP_1) | instskip(NEXT) | instid1(VALU_DEP_1)
	;; [unrolled: 3-line block ×5, first 2 shown]
	v_add_f32_e32 v32, v35, v9
	v_add_f32_e32 v35, 1.0, v32
	s_delay_alu instid0(VALU_DEP_1) | instskip(SKIP_2) | instid1(VALU_DEP_2)
	v_cvt_f64_f32_e32 v[36:37], v35
	v_frexp_mant_f32_e32 v10, v35
	v_add_f32_e32 v33, -1.0, v35
	v_cmp_gt_f32_e32 vcc_lo, 0x3f2aaaab, v10
	s_delay_alu instid0(VALU_DEP_2) | instskip(SKIP_2) | instid1(VALU_DEP_3)
	v_mov_b32_e32 v34, v33
	v_cmp_neq_f32_e64 s5, -1.0, v32
	v_frexp_exp_i32_f64_e32 v9, v[36:37]
	v_pk_add_f32 v[36:37], v[32:33], v[34:35] neg_lo:[0,1] neg_hi:[0,1]
	s_delay_alu instid0(VALU_DEP_1) | instskip(NEXT) | instid1(VALU_DEP_1)
	v_add_f32_e32 v30, 1.0, v37
	v_add_f32_e32 v30, v36, v30
	s_delay_alu instid0(VALU_DEP_4) | instskip(SKIP_1) | instid1(VALU_DEP_2)
	v_subrev_co_ci_u32_e64 v9, null, 0, v9, vcc_lo
	v_cmp_neq_f32_e32 vcc_lo, 0x7f800000, v32
	v_sub_nc_u32_e32 v10, 0, v9
	s_delay_alu instid0(VALU_DEP_1) | instskip(SKIP_1) | instid1(VALU_DEP_2)
	v_ldexp_f32 v28, v35, v10
	v_ldexp_f32 v10, v30, v10
	v_dual_add_f32 v33, 1.0, v28 :: v_dual_add_f32 v39, -1.0, v28
	s_delay_alu instid0(VALU_DEP_1) | instskip(NEXT) | instid1(VALU_DEP_1)
	v_add_f32_e32 v34, -1.0, v33
	v_dual_sub_f32 v30, v28, v34 :: v_dual_add_f32 v34, 1.0, v39
	s_delay_alu instid0(VALU_DEP_1) | instskip(NEXT) | instid1(VALU_DEP_1)
	v_add_f32_e32 v30, v10, v30
	v_add_f32_e32 v42, v33, v30
	s_delay_alu instid0(VALU_DEP_1) | instskip(NEXT) | instid1(VALU_DEP_1)
	v_dual_sub_f32 v28, v28, v34 :: v_dual_sub_f32 v33, v42, v33
	v_add_f32_e32 v10, v10, v28
	v_rcp_f32_e32 v28, v42
	s_delay_alu instid0(VALU_DEP_1)
	v_dual_sub_f32 v30, v30, v33 :: v_dual_add_f32 v35, v39, v10
	s_delay_alu instid0(TRANS32_DEP_1) | instid1(VALU_DEP_1)
	v_mul_f32_e32 v43, v35, v28
	s_delay_alu instid0(VALU_DEP_1) | instskip(SKIP_1) | instid1(VALU_DEP_1)
	v_mul_f32_e32 v36, v42, v43
	v_sub_f32_e32 v33, v35, v39
	v_dual_fma_f32 v40, v43, v42, -v36 :: v_dual_sub_f32 v10, v10, v33
	s_delay_alu instid0(VALU_DEP_1) | instskip(NEXT) | instid1(VALU_DEP_1)
	v_fmac_f32_e32 v40, v43, v30
	v_add_f32_e32 v34, v36, v40
	s_delay_alu instid0(VALU_DEP_1) | instskip(NEXT) | instid1(VALU_DEP_1)
	v_dual_sub_f32 v37, v35, v34 :: v_dual_mov_b32 v41, v34
	v_pk_add_f32 v[34:35], v[34:35], v[36:37] neg_lo:[0,1] neg_hi:[0,1]
	s_delay_alu instid0(VALU_DEP_1) | instskip(NEXT) | instid1(VALU_DEP_1)
	v_pk_add_f32 v[34:35], v[34:35], v[40:41] neg_lo:[0,1] neg_hi:[0,1]
	v_add_f32_e32 v10, v10, v35
	s_delay_alu instid0(VALU_DEP_1) | instskip(NEXT) | instid1(VALU_DEP_1)
	v_add_f32_e32 v10, v34, v10
	v_add_f32_e32 v35, v37, v10
	s_delay_alu instid0(VALU_DEP_1) | instskip(NEXT) | instid1(VALU_DEP_1)
	v_mul_f32_e32 v33, v28, v35
	v_mul_f32_e32 v40, v42, v33
	s_delay_alu instid0(VALU_DEP_1) | instskip(NEXT) | instid1(VALU_DEP_1)
	v_fma_f32 v36, v33, v42, -v40
	v_fmac_f32_e32 v36, v33, v30
	v_sub_f32_e32 v30, v37, v35
	s_delay_alu instid0(VALU_DEP_1) | instskip(SKIP_1) | instid1(VALU_DEP_2)
	v_dual_add_f32 v10, v10, v30 :: v_dual_add_f32 v34, v40, v36
	v_add_f32_e32 v30, v43, v33
	v_dual_sub_f32 v41, v35, v34 :: v_dual_mov_b32 v37, v34
	s_delay_alu instid0(VALU_DEP_1) | instskip(NEXT) | instid1(VALU_DEP_1)
	v_pk_add_f32 v[34:35], v[34:35], v[40:41] neg_lo:[0,1] neg_hi:[0,1]
	v_pk_add_f32 v[34:35], v[34:35], v[36:37] neg_lo:[0,1] neg_hi:[0,1]
	s_delay_alu instid0(VALU_DEP_1) | instskip(NEXT) | instid1(VALU_DEP_1)
	v_add_f32_e32 v10, v10, v35
	v_add_f32_e32 v10, v34, v10
	s_delay_alu instid0(VALU_DEP_1) | instskip(NEXT) | instid1(VALU_DEP_1)
	v_dual_sub_f32 v34, v30, v43 :: v_dual_add_f32 v10, v41, v10
	v_sub_f32_e32 v33, v33, v34
	v_cvt_f32_i32_e32 v34, v9
	s_delay_alu instid0(VALU_DEP_3) | instskip(NEXT) | instid1(VALU_DEP_1)
	v_mul_f32_e32 v10, v28, v10
	v_add_f32_e32 v10, v33, v10
	s_delay_alu instid0(VALU_DEP_1) | instskip(NEXT) | instid1(VALU_DEP_1)
	v_add_f32_e32 v28, v30, v10
	v_mul_f32_e32 v33, v28, v28
	s_delay_alu instid0(VALU_DEP_1) | instskip(NEXT) | instid1(VALU_DEP_1)
	v_fmaak_f32 v36, s27, v33, 0x3ecc95a3
	v_fmaak_f32 v9, v33, v36, 0x3f2aaada
	v_mul_f32_e32 v35, v28, v33
	v_ldexp_f32 v41, v28, 1
	s_delay_alu instid0(VALU_DEP_2) | instskip(SKIP_1) | instid1(VALU_DEP_2)
	v_pk_mul_f32 v[36:37], v[34:35], v[8:9]
	v_sub_f32_e32 v9, v28, v30
	v_fma_f32 v40, 0x3f317218, v34, -v36
	s_delay_alu instid0(VALU_DEP_2) | instskip(NEXT) | instid1(VALU_DEP_2)
	v_dual_sub_f32 v9, v10, v9 :: v_dual_mov_b32 v42, v36
	v_fmac_f32_e32 v40, 0xb102e308, v34
	s_delay_alu instid0(VALU_DEP_1) | instskip(NEXT) | instid1(VALU_DEP_1)
	v_pk_add_f32 v[34:35], v[36:37], v[40:41]
	v_dual_sub_f32 v10, v35, v41 :: v_dual_mov_b32 v41, v34
	s_delay_alu instid0(VALU_DEP_1) | instskip(SKIP_2) | instid1(VALU_DEP_2)
	v_dual_mov_b32 v50, v35 :: v_dual_sub_f32 v10, v37, v10
	v_ldexp_f32 v9, v9, 1
	v_pk_add_f32 v[36:37], v[34:35], v[36:37] neg_lo:[0,1] neg_hi:[0,1]
	v_add_f32_e32 v43, v9, v10
	v_max_num_f32_e64 v9, |v21|, |v21|
	v_max_num_f32_e64 v10, |v20|, |v20|
	s_delay_alu instid0(VALU_DEP_3) | instskip(NEXT) | instid1(VALU_DEP_1)
	v_pk_add_f32 v[44:45], v[34:35], v[42:43]
	v_dual_max_num_f32 v28, v10, v9 :: v_dual_mov_b32 v37, v45
	s_delay_alu instid0(VALU_DEP_1) | instskip(SKIP_1) | instid1(VALU_DEP_3)
	v_frexp_exp_i32_f32_e32 v30, v28
	v_frexp_mant_f32_e32 v28, v28
	v_pk_add_f32 v[46:47], v[40:41], v[36:37]
	v_min_num_f32_e32 v9, v10, v9
	v_pk_add_f32 v[36:37], v[40:41], v[36:37] neg_lo:[0,1] neg_hi:[0,1]
	s_delay_alu instid0(VALU_DEP_4) | instskip(NEXT) | instid1(VALU_DEP_3)
	v_rcp_f32_e32 v28, v28
	v_mov_b32_e32 v10, v47
	s_delay_alu instid0(VALU_DEP_3) | instskip(SKIP_2) | instid1(VALU_DEP_4)
	v_frexp_exp_i32_f32_e32 v33, v9
	v_frexp_mant_f32_e32 v39, v9
	v_mov_b32_e32 v37, v47
	v_pk_add_f32 v[48:49], v[10:11], v[34:35] neg_lo:[0,1] neg_hi:[0,1]
	s_delay_alu instid0(VALU_DEP_4) | instskip(SKIP_1) | instid1(VALU_DEP_3)
	v_sub_nc_u32_e32 v30, v33, v30
	v_dual_mov_b32 v46, v45 :: v_dual_mov_b32 v35, v34
	v_dual_mov_b32 v34, v43 :: v_dual_mov_b32 v51, v48
	v_dual_mov_b32 v9, v48 :: v_dual_mul_f32 v28, v39, v28
	s_delay_alu instid0(VALU_DEP_2) | instskip(NEXT) | instid1(VALU_DEP_2)
	v_pk_add_f32 v[40:41], v[46:47], v[50:51] neg_lo:[0,1] neg_hi:[0,1]
	v_pk_add_f32 v[42:43], v[44:45], v[8:9] neg_lo:[0,1] neg_hi:[0,1]
	s_delay_alu instid0(VALU_DEP_3) | instskip(SKIP_1) | instid1(VALU_DEP_4)
	v_ldexp_f32 v9, v28, v30
	v_mov_b32_e32 v42, v36
	v_pk_add_f32 v[34:35], v[34:35], v[40:41] neg_lo:[0,1] neg_hi:[0,1]
	s_delay_alu instid0(VALU_DEP_3) | instskip(NEXT) | instid1(VALU_DEP_2)
	v_mul_f32_e32 v30, v9, v9
	v_pk_add_f32 v[40:41], v[42:43], v[34:35]
	s_delay_alu instid0(VALU_DEP_1) | instskip(NEXT) | instid1(VALU_DEP_1)
	v_dual_fmaak_f32 v33, s28, v30, 0xbc7a590c :: v_dual_mov_b32 v28, v41
	v_pk_add_f32 v[42:43], v[40:41], v[28:29]
	s_delay_alu instid0(VALU_DEP_2) | instskip(NEXT) | instid1(VALU_DEP_2)
	v_fmaak_f32 v28, v30, v33, 0x3d29fb3f
	v_pk_add_f32 v[44:45], v[10:11], v[42:43]
	s_delay_alu instid0(VALU_DEP_1) | instskip(NEXT) | instid1(VALU_DEP_1)
	v_dual_fmaak_f32 v10, v30, v28, 0xbd97d4d7 :: v_dual_mov_b32 v41, v44
	v_fmaak_f32 v10, v30, v10, 0x3dd931b2
	s_delay_alu instid0(VALU_DEP_2) | instskip(NEXT) | instid1(VALU_DEP_2)
	v_pk_add_f32 v[46:47], v[40:41], v[36:37] neg_lo:[0,1] neg_hi:[0,1]
	v_fmaak_f32 v10, v30, v10, 0xbe1160e6
	s_delay_alu instid0(VALU_DEP_2) | instskip(NEXT) | instid1(VALU_DEP_2)
	v_dual_mov_b32 v35, v42 :: v_dual_sub_f32 v28, v40, v46
	v_fmaak_f32 v10, v30, v10, 0x3e4cb8bf
	s_delay_alu instid0(VALU_DEP_2) | instskip(NEXT) | instid1(VALU_DEP_2)
	v_pk_add_f32 v[34:35], v[34:35], v[46:47] neg_lo:[0,1] neg_hi:[0,1]
	v_fmaak_f32 v10, v30, v10, 0xbeaaaa62
	s_delay_alu instid0(VALU_DEP_1) | instskip(NEXT) | instid1(VALU_DEP_1)
	v_dual_sub_f32 v28, v36, v28 :: v_dual_mul_f32 v10, v30, v10
	v_dual_add_f32 v28, v34, v28 :: v_dual_fmac_f32 v9, v9, v10
	s_delay_alu instid0(VALU_DEP_1) | instskip(NEXT) | instid1(VALU_DEP_1)
	v_add_f32_e32 v28, v28, v35
	v_add_f32_e32 v10, v44, v28
	s_delay_alu instid0(VALU_DEP_3) | instskip(NEXT) | instid1(VALU_DEP_1)
	v_sub_f32_e32 v28, 0x3fc90fdb, v9
	v_cndmask_b32_e64 v9, v9, v28, s4
	s_delay_alu instid0(VALU_DEP_3) | instskip(SKIP_1) | instid1(VALU_DEP_3)
	v_cndmask_b32_e32 v10, 0x7f800000, v10, vcc_lo
	v_cmp_gt_i32_e32 vcc_lo, 0, v20
	v_sub_f32_e32 v30, 0x40490fdb, v9
	v_cndmask_b32_e64 v28, 0, 0x40490fdb, vcc_lo
	v_cmp_ngt_f32_e32 vcc_lo, -1.0, v32
	v_cndmask_b32_e32 v10, 0x7fc00000, v10, vcc_lo
	v_cmp_gt_f32_e32 vcc_lo, 0, v20
	s_delay_alu instid0(VALU_DEP_2)
	v_cndmask_b32_e64 v10, 0xff800000, v10, s5
	v_cndmask_b32_e32 v9, v9, v30, vcc_lo
	v_cndmask_b32_e32 v20, 0x3f490fdb, v38, vcc_lo
	v_cmp_gt_f32_e64 vcc_lo, 0x33800000, |v32|
	v_cmp_class_f32_e64 s5, v21, 0x204
	v_cndmask_b32_e32 v10, v10, v32, vcc_lo
	v_cmp_eq_f32_e32 vcc_lo, 0, v21
	s_delay_alu instid0(VALU_DEP_2) | instskip(SKIP_1) | instid1(VALU_DEP_1)
	v_dual_mul_f32 v33, 0.5, v10 :: v_dual_cndmask_b32 v9, v9, v28, vcc_lo
	s_and_b32 vcc_lo, s5, s6
	v_cndmask_b32_e32 v9, v9, v20, vcc_lo
.LBB192_273:                            ;   in Loop: Header=BB192_145 Depth=1
	s_or_b32 exec_lo, exec_lo, s35
.LBB192_274:                            ;   in Loop: Header=BB192_145 Depth=1
	s_delay_alu instid0(SALU_CYCLE_1)
	s_or_b32 exec_lo, exec_lo, s34
.LBB192_275:                            ;   in Loop: Header=BB192_145 Depth=1
	s_and_not1_saveexec_b32 s6, s33
	s_cbranch_execz .LBB192_277
; %bb.276:                              ;   in Loop: Header=BB192_145 Depth=1
	v_max_num_f32_e64 v9, |v21|, |v21|
	v_max_num_f32_e64 v10, |v20|, |v20|
	v_cmp_gt_i32_e64 s5, 0, v20
	v_cmp_class_f32_e64 s7, v20, 0x204
	v_cmp_class_f32_e64 s8, v21, 0x204
	s_delay_alu instid0(VALU_DEP_4) | instskip(NEXT) | instid1(VALU_DEP_1)
	v_dual_max_num_f32 v28, v10, v9 :: v_dual_min_num_f32 v9, v10, v9
	v_cvt_f64_f32_e32 v[32:33], v28
	v_frexp_exp_i32_f32_e32 v10, v28
	v_cmp_neq_f32_e32 vcc_lo, 0x7f800000, v28
	s_delay_alu instid0(VALU_DEP_3) | instskip(SKIP_3) | instid1(VALU_DEP_3)
	v_frexp_exp_i32_f64_e32 v30, v[32:33]
	v_frexp_mant_f32_e32 v32, v28
	v_frexp_exp_i32_f32_e32 v33, v9
	v_frexp_mant_f32_e32 v9, v9
	v_rcp_f32_e32 v32, v32
	s_delay_alu instid0(VALU_DEP_2) | instskip(NEXT) | instid1(TRANS32_DEP_1)
	v_sub_nc_u32_e32 v10, v33, v10
	v_mul_f32_e32 v9, v9, v32
	s_delay_alu instid0(VALU_DEP_1) | instskip(SKIP_1) | instid1(VALU_DEP_1)
	v_ldexp_f32 v9, v9, v10
	v_sub_nc_u32_e32 v10, 0, v30
	v_ldexp_f32 v33, |v21|, v10
	v_ldexp_f32 v10, |v20|, v10
	s_delay_alu instid0(VALU_DEP_2) | instskip(NEXT) | instid1(VALU_DEP_1)
	v_mul_f32_e32 v33, v33, v33
	v_dual_mul_f32 v32, v9, v9 :: v_dual_fmac_f32 v33, v10, v10
	s_delay_alu instid0(VALU_DEP_1) | instskip(NEXT) | instid1(VALU_DEP_2)
	v_fmaak_f32 v34, s28, v32, 0xbc7a590c
	v_sqrt_f32_e32 v33, v33
	s_delay_alu instid0(VALU_DEP_1) | instskip(NEXT) | instid1(VALU_DEP_1)
	v_fmaak_f32 v34, v32, v34, 0x3d29fb3f
	v_fmaak_f32 v10, v32, v34, 0xbd97d4d7
	s_delay_alu instid0(TRANS32_DEP_1) | instskip(NEXT) | instid1(VALU_DEP_2)
	v_ldexp_f32 v30, v33, v30
	v_fmaak_f32 v10, v32, v10, 0x3dd931b2
	s_delay_alu instid0(VALU_DEP_2) | instskip(NEXT) | instid1(VALU_DEP_2)
	v_cndmask_b32_e32 v28, 0x7f800000, v30, vcc_lo
	v_fmaak_f32 v10, v32, v10, 0xbe1160e6
	s_delay_alu instid0(VALU_DEP_2) | instskip(NEXT) | instid1(VALU_DEP_2)
	v_cmp_gt_f32_e32 vcc_lo, 0x800000, v28
	v_fmaak_f32 v10, v32, v10, 0x3e4cb8bf
	v_cndmask_b32_e64 v30, 0, 32, vcc_lo
	s_delay_alu instid0(VALU_DEP_2) | instskip(NEXT) | instid1(VALU_DEP_2)
	v_fmaak_f32 v10, v32, v10, 0xbeaaaa62
	v_ldexp_f32 v28, v28, v30
	s_delay_alu instid0(VALU_DEP_2) | instskip(NEXT) | instid1(VALU_DEP_2)
	v_mul_f32_e32 v10, v32, v10
	v_log_f32_e32 v28, v28
	s_delay_alu instid0(VALU_DEP_1) | instskip(NEXT) | instid1(VALU_DEP_1)
	v_fmac_f32_e32 v9, v9, v10
	v_sub_f32_e32 v30, 0x3fc90fdb, v9
	s_delay_alu instid0(VALU_DEP_1) | instskip(SKIP_2) | instid1(VALU_DEP_3)
	v_cndmask_b32_e64 v9, v9, v30, s4
	v_cndmask_b32_e64 v30, 0, 0x40490fdb, s5
	v_cmp_gt_f32_e64 s5, 0, v20
	v_sub_f32_e32 v32, 0x40490fdb, v9
	s_delay_alu instid0(VALU_DEP_2) | instskip(NEXT) | instid1(VALU_DEP_2)
	v_cndmask_b32_e64 v20, 0x3f490fdb, v38, s5
	v_cndmask_b32_e64 v9, v9, v32, s5
	v_mul_f32_e32 v10, 0x3f317217, v28
	v_cndmask_b32_e64 v32, 0, 0x41b17218, vcc_lo
	v_cmp_gt_f32_e64 vcc_lo, 0x7f800000, |v28|
	s_delay_alu instid0(VALU_DEP_3) | instskip(NEXT) | instid1(VALU_DEP_1)
	v_fma_f32 v10, 0x3f317217, v28, -v10
	v_fmac_f32_e32 v10, 0x3377d1cf, v28
	s_delay_alu instid0(VALU_DEP_1) | instskip(NEXT) | instid1(VALU_DEP_1)
	v_fmac_f32_e32 v10, 0x3f317217, v28
	v_cndmask_b32_e32 v10, v28, v10, vcc_lo
	v_cmp_eq_f32_e32 vcc_lo, 0, v21
	s_delay_alu instid0(VALU_DEP_2) | instskip(SKIP_1) | instid1(VALU_DEP_1)
	v_dual_sub_f32 v33, v10, v32 :: v_dual_cndmask_b32 v9, v9, v30, vcc_lo
	s_and_b32 vcc_lo, s8, s7
	v_cndmask_b32_e32 v9, v9, v20, vcc_lo
.LBB192_277:                            ;   in Loop: Header=BB192_145 Depth=1
	s_or_b32 exec_lo, exec_lo, s6
                                        ; implicit-def: $vgpr34
.LBB192_278:                            ;   in Loop: Header=BB192_145 Depth=1
	s_and_not1_saveexec_b32 s6, s31
	s_cbranch_execz .LBB192_284
; %bb.279:                              ;   in Loop: Header=BB192_145 Depth=1
                                        ; implicit-def: $vgpr33
                                        ; implicit-def: $vgpr9
	s_mov_b32 s5, exec_lo
	v_cmpx_ngt_f32_e32 0x1fec1e4a, v34
	s_xor_b32 s7, exec_lo, s5
	s_cbranch_execz .LBB192_281
; %bb.280:                              ;   in Loop: Header=BB192_145 Depth=1
	v_pk_mul_f32 v[32:33], v[34:35], v[34:35]
	v_cmp_class_f32_e64 s8, v20, 0x204
	s_delay_alu instid0(VALU_DEP_2) | instskip(SKIP_1) | instid1(VALU_DEP_2)
	v_add_f32_e32 v35, 1.0, v32
	v_cmp_neq_f32_e64 s5, 0x7f800000, v32
	v_add_f32_e32 v33, -1.0, v35
	s_delay_alu instid0(VALU_DEP_1) | instskip(SKIP_2) | instid1(VALU_DEP_1)
	v_mov_b32_e32 v34, v33
	v_cvt_f64_f32_e32 v[36:37], v35
	v_frexp_mant_f32_e32 v10, v35
	v_cmp_gt_f32_e32 vcc_lo, 0x3f2aaaab, v10
	s_delay_alu instid0(VALU_DEP_3) | instskip(NEXT) | instid1(VALU_DEP_1)
	v_frexp_exp_i32_f64_e32 v9, v[36:37]
	v_subrev_co_ci_u32_e64 v9, null, 0, v9, vcc_lo
	v_cmp_gt_i32_e32 vcc_lo, 0, v20
	s_delay_alu instid0(VALU_DEP_2) | instskip(SKIP_1) | instid1(VALU_DEP_2)
	v_sub_nc_u32_e32 v10, 0, v9
	v_pk_add_f32 v[36:37], v[32:33], v[34:35] neg_lo:[0,1] neg_hi:[0,1]
	v_ldexp_f32 v28, v35, v10
	s_delay_alu instid0(VALU_DEP_1) | instskip(NEXT) | instid1(VALU_DEP_1)
	v_dual_add_f32 v30, 1.0, v37 :: v_dual_add_f32 v33, 1.0, v28
	v_dual_add_f32 v30, v36, v30 :: v_dual_add_f32 v34, -1.0, v33
	v_add_f32_e32 v39, -1.0, v28
	s_delay_alu instid0(VALU_DEP_2) | instskip(NEXT) | instid1(VALU_DEP_2)
	v_ldexp_f32 v10, v30, v10
	v_dual_sub_f32 v30, v28, v34 :: v_dual_add_f32 v34, 1.0, v39
	s_delay_alu instid0(VALU_DEP_1) | instskip(NEXT) | instid1(VALU_DEP_1)
	v_add_f32_e32 v30, v10, v30
	v_add_f32_e32 v42, v33, v30
	s_delay_alu instid0(VALU_DEP_3) | instskip(NEXT) | instid1(VALU_DEP_1)
	v_sub_f32_e32 v28, v28, v34
	v_add_f32_e32 v10, v10, v28
	s_delay_alu instid0(VALU_DEP_3) | instskip(SKIP_1) | instid1(VALU_DEP_1)
	v_rcp_f32_e32 v28, v42
	v_sub_f32_e32 v33, v33, v42
	v_dual_add_f32 v35, v39, v10 :: v_dual_add_f32 v30, v30, v33
	s_delay_alu instid0(TRANS32_DEP_1) | instid1(VALU_DEP_1)
	v_mul_f32_e32 v43, v35, v28
	v_sub_f32_e32 v33, v39, v35
	s_delay_alu instid0(VALU_DEP_2) | instskip(NEXT) | instid1(VALU_DEP_1)
	v_mul_f32_e32 v36, v42, v43
	v_dual_add_f32 v10, v10, v33 :: v_dual_fma_f32 v40, v43, v42, -v36
	s_delay_alu instid0(VALU_DEP_1) | instskip(NEXT) | instid1(VALU_DEP_1)
	v_fmac_f32_e32 v40, v43, v30
	v_add_f32_e32 v34, v36, v40
	s_delay_alu instid0(VALU_DEP_1) | instskip(NEXT) | instid1(VALU_DEP_1)
	v_dual_sub_f32 v37, v35, v34 :: v_dual_mov_b32 v41, v34
	v_pk_add_f32 v[34:35], v[34:35], v[36:37] neg_lo:[0,1] neg_hi:[0,1]
	s_delay_alu instid0(VALU_DEP_1) | instskip(NEXT) | instid1(VALU_DEP_1)
	v_pk_add_f32 v[34:35], v[34:35], v[40:41] neg_lo:[0,1] neg_hi:[0,1]
	v_add_f32_e32 v10, v10, v35
	s_delay_alu instid0(VALU_DEP_1) | instskip(NEXT) | instid1(VALU_DEP_1)
	v_add_f32_e32 v10, v34, v10
	v_add_f32_e32 v35, v37, v10
	s_delay_alu instid0(VALU_DEP_1) | instskip(NEXT) | instid1(VALU_DEP_1)
	v_mul_f32_e32 v33, v28, v35
	v_mul_f32_e32 v40, v42, v33
	s_delay_alu instid0(VALU_DEP_1) | instskip(NEXT) | instid1(VALU_DEP_1)
	v_fma_f32 v36, v33, v42, -v40
	v_fmac_f32_e32 v36, v33, v30
	s_delay_alu instid0(VALU_DEP_1) | instskip(NEXT) | instid1(VALU_DEP_1)
	v_dual_sub_f32 v30, v37, v35 :: v_dual_add_f32 v34, v40, v36
	v_dual_add_f32 v10, v10, v30 :: v_dual_add_f32 v30, v43, v33
	s_delay_alu instid0(VALU_DEP_2) | instskip(NEXT) | instid1(VALU_DEP_1)
	v_dual_sub_f32 v41, v35, v34 :: v_dual_mov_b32 v37, v34
	v_pk_add_f32 v[34:35], v[34:35], v[40:41] neg_lo:[0,1] neg_hi:[0,1]
	s_delay_alu instid0(VALU_DEP_1) | instskip(NEXT) | instid1(VALU_DEP_1)
	v_pk_add_f32 v[34:35], v[34:35], v[36:37] neg_lo:[0,1] neg_hi:[0,1]
	v_add_f32_e32 v10, v10, v35
	s_delay_alu instid0(VALU_DEP_1) | instskip(NEXT) | instid1(VALU_DEP_1)
	v_add_f32_e32 v10, v34, v10
	v_dual_sub_f32 v34, v30, v43 :: v_dual_add_f32 v10, v41, v10
	s_delay_alu instid0(VALU_DEP_1) | instskip(SKIP_1) | instid1(VALU_DEP_3)
	v_sub_f32_e32 v33, v33, v34
	v_cvt_f32_i32_e32 v34, v9
	v_mul_f32_e32 v10, v28, v10
	s_delay_alu instid0(VALU_DEP_1) | instskip(NEXT) | instid1(VALU_DEP_1)
	v_add_f32_e32 v10, v33, v10
	v_add_f32_e32 v28, v30, v10
	s_delay_alu instid0(VALU_DEP_1) | instskip(SKIP_1) | instid1(VALU_DEP_2)
	v_mul_f32_e32 v33, v28, v28
	v_ldexp_f32 v41, v28, 1
	v_dual_fmaak_f32 v36, s27, v33, 0x3ecc95a3 :: v_dual_mul_f32 v35, v28, v33
	s_delay_alu instid0(VALU_DEP_1) | instskip(NEXT) | instid1(VALU_DEP_1)
	v_fmaak_f32 v9, v33, v36, 0x3f2aaada
	v_pk_mul_f32 v[36:37], v[34:35], v[8:9]
	v_sub_f32_e32 v9, v28, v30
	v_max_num_f32_e64 v28, |v21|, |v21|
	v_max_num_f32_e64 v30, |v20|, |v20|
	s_delay_alu instid0(VALU_DEP_4) | instskip(NEXT) | instid1(VALU_DEP_4)
	v_fma_f32 v40, 0x3f317218, v34, -v36
	v_dual_sub_f32 v9, v10, v9 :: v_dual_mov_b32 v42, v36
	s_delay_alu instid0(VALU_DEP_2) | instskip(NEXT) | instid1(VALU_DEP_2)
	v_fmac_f32_e32 v40, 0xb102e308, v34
	v_ldexp_f32 v9, v9, 1
	s_delay_alu instid0(VALU_DEP_2) | instskip(NEXT) | instid1(VALU_DEP_1)
	v_pk_add_f32 v[34:35], v[36:37], v[40:41]
	v_sub_f32_e32 v10, v35, v41
	s_delay_alu instid0(VALU_DEP_1) | instskip(NEXT) | instid1(VALU_DEP_3)
	v_sub_f32_e32 v10, v37, v10
	v_pk_add_f32 v[36:37], v[34:35], v[36:37] neg_lo:[0,1] neg_hi:[0,1]
	s_delay_alu instid0(VALU_DEP_2) | instskip(NEXT) | instid1(VALU_DEP_1)
	v_dual_add_f32 v43, v9, v10 :: v_dual_max_num_f32 v9, v30, v28
	v_pk_add_f32 v[44:45], v[34:35], v[42:43]
	v_mov_b32_e32 v41, v34
	s_delay_alu instid0(VALU_DEP_3) | instskip(SKIP_1) | instid1(VALU_DEP_4)
	v_frexp_mant_f32_e32 v10, v9
	v_frexp_exp_i32_f32_e32 v9, v9
	v_dual_mov_b32 v50, v35 :: v_dual_mov_b32 v37, v45
	s_delay_alu instid0(VALU_DEP_1)
	v_pk_add_f32 v[46:47], v[40:41], v[36:37]
	v_min_num_f32_e32 v28, v30, v28
	v_rcp_f32_e32 v30, v10
	v_mov_b32_e32 v46, v45
	v_pk_add_f32 v[36:37], v[40:41], v[36:37] neg_lo:[0,1] neg_hi:[0,1]
	v_mov_b32_e32 v10, v47
	v_frexp_exp_i32_f32_e32 v33, v28
	v_frexp_mant_f32_e32 v28, v28
	s_delay_alu instid0(VALU_DEP_3) | instskip(NEXT) | instid1(VALU_DEP_2)
	v_pk_add_f32 v[48:49], v[10:11], v[34:35] neg_lo:[0,1] neg_hi:[0,1]
	v_dual_mul_f32 v28, v28, v30 :: v_dual_sub_nc_u32 v9, v33, v9
	v_dual_mov_b32 v35, v34 :: v_dual_mov_b32 v34, v43
	s_delay_alu instid0(VALU_DEP_3) | instskip(NEXT) | instid1(VALU_DEP_3)
	v_mov_b32_e32 v51, v48
	v_ldexp_f32 v30, v28, v9
	v_mov_b32_e32 v9, v48
	s_delay_alu instid0(VALU_DEP_3) | instskip(NEXT) | instid1(VALU_DEP_3)
	v_pk_add_f32 v[40:41], v[46:47], v[50:51] neg_lo:[0,1] neg_hi:[0,1]
	v_mul_f32_e32 v33, v30, v30
	s_delay_alu instid0(VALU_DEP_3) | instskip(SKIP_1) | instid1(VALU_DEP_4)
	v_pk_add_f32 v[42:43], v[44:45], v[8:9] neg_lo:[0,1] neg_hi:[0,1]
	v_mov_b32_e32 v42, v36
	v_pk_add_f32 v[34:35], v[34:35], v[40:41] neg_lo:[0,1] neg_hi:[0,1]
	s_delay_alu instid0(VALU_DEP_1) | instskip(NEXT) | instid1(VALU_DEP_1)
	v_pk_add_f32 v[40:41], v[42:43], v[34:35]
	v_dual_fmaak_f32 v9, s28, v33, 0xbc7a590c :: v_dual_mov_b32 v28, v41
	s_delay_alu instid0(VALU_DEP_1) | instskip(SKIP_2) | instid1(VALU_DEP_3)
	v_pk_add_f32 v[42:43], v[40:41], v[28:29]
	v_cndmask_b32_e64 v28, 0, 0x40490fdb, vcc_lo
	v_cmp_gt_f32_e32 vcc_lo, 0, v20
	v_pk_add_f32 v[44:45], v[10:11], v[42:43]
	v_dual_mov_b32 v37, v47 :: v_dual_cndmask_b32 v20, 0x3f490fdb, v38
	s_delay_alu instid0(VALU_DEP_2) | instskip(NEXT) | instid1(VALU_DEP_1)
	v_mov_b32_e32 v41, v44
	v_pk_add_f32 v[46:47], v[40:41], v[36:37] neg_lo:[0,1] neg_hi:[0,1]
	s_delay_alu instid0(VALU_DEP_1) | instskip(NEXT) | instid1(VALU_DEP_1)
	v_dual_fmaak_f32 v9, v33, v9, 0x3d29fb3f :: v_dual_sub_f32 v10, v40, v46
	v_dual_fmaak_f32 v9, v33, v9, 0xbd97d4d7 :: v_dual_sub_f32 v10, v36, v10
	s_delay_alu instid0(VALU_DEP_1) | instskip(NEXT) | instid1(VALU_DEP_1)
	v_fmaak_f32 v9, v33, v9, 0x3dd931b2
	v_fmaak_f32 v9, v33, v9, 0xbe1160e6
	s_delay_alu instid0(VALU_DEP_1) | instskip(NEXT) | instid1(VALU_DEP_1)
	v_fmaak_f32 v9, v33, v9, 0x3e4cb8bf
	v_fmaak_f32 v9, v33, v9, 0xbeaaaa62
	s_delay_alu instid0(VALU_DEP_1) | instskip(NEXT) | instid1(VALU_DEP_1)
	v_dual_mov_b32 v35, v42 :: v_dual_mul_f32 v9, v33, v9
	v_pk_add_f32 v[34:35], v[34:35], v[46:47] neg_lo:[0,1] neg_hi:[0,1]
	s_delay_alu instid0(VALU_DEP_2) | instskip(NEXT) | instid1(VALU_DEP_2)
	v_fmac_f32_e32 v30, v30, v9
	v_add_f32_e32 v9, v34, v10
                                        ; implicit-def: $vgpr34
	s_delay_alu instid0(VALU_DEP_1) | instskip(NEXT) | instid1(VALU_DEP_1)
	v_dual_add_f32 v9, v9, v35 :: v_dual_sub_f32 v10, 0x3fc90fdb, v30
	v_add_f32_e32 v9, v44, v9
	s_delay_alu instid0(VALU_DEP_1) | instskip(NEXT) | instid1(VALU_DEP_3)
	v_cndmask_b32_e64 v9, 0x7f800000, v9, s5
	v_cndmask_b32_e64 v10, v30, v10, s4
	v_cmp_class_f32_e64 s5, v21, 0x204
	s_delay_alu instid0(VALU_DEP_2) | instskip(NEXT) | instid1(VALU_DEP_1)
	v_sub_f32_e32 v30, 0x40490fdb, v10
	v_cndmask_b32_e32 v10, v10, v30, vcc_lo
	v_cmp_gt_f32_e64 vcc_lo, 0x33800000, |v32|
	v_cndmask_b32_e32 v9, v9, v32, vcc_lo
	v_cmp_eq_f32_e32 vcc_lo, 0, v21
	s_delay_alu instid0(VALU_DEP_2) | instskip(SKIP_1) | instid1(VALU_DEP_1)
	v_dual_mul_f32 v33, 0.5, v9 :: v_dual_cndmask_b32 v10, v10, v28
	s_and_b32 vcc_lo, s5, s8
	v_cndmask_b32_e32 v9, v10, v20, vcc_lo
.LBB192_281:                            ;   in Loop: Header=BB192_145 Depth=1
	s_and_not1_saveexec_b32 s7, s7
	s_cbranch_execz .LBB192_283
; %bb.282:                              ;   in Loop: Header=BB192_145 Depth=1
	v_max_num_f32_e64 v9, |v21|, |v21|
	v_max_num_f32_e64 v10, |v20|, |v20|
	v_cmp_eq_f32_e64 s5, 0, v21
	v_cmp_gt_i32_e32 vcc_lo, 0, v20
	v_cmp_class_f32_e64 s8, v20, 0x204
	v_cmp_class_f32_e64 s9, v21, 0x204
	v_dual_max_num_f32 v28, v10, v9 :: v_dual_min_num_f32 v9, v10, v9
	s_delay_alu instid0(VALU_DEP_1) | instskip(SKIP_1) | instid1(VALU_DEP_2)
	v_frexp_mant_f32_e32 v30, v28
	v_frexp_exp_i32_f32_e32 v10, v28
	v_rcp_f32_e32 v28, v30
	v_nop
	v_frexp_exp_i32_f32_e32 v30, v9
	v_frexp_mant_f32_e32 v9, v9
	s_delay_alu instid0(TRANS32_DEP_1) | instid1(VALU_DEP_1)
	v_dual_mul_f32 v9, v9, v28 :: v_dual_sub_nc_u32 v10, v30, v10
	s_delay_alu instid0(VALU_DEP_1) | instskip(NEXT) | instid1(VALU_DEP_1)
	v_ldexp_f32 v9, v9, v10
	v_mul_f32_e32 v10, v9, v9
	s_delay_alu instid0(VALU_DEP_1) | instskip(NEXT) | instid1(VALU_DEP_1)
	v_fmaak_f32 v28, s28, v10, 0xbc7a590c
	v_fmaak_f32 v28, v10, v28, 0x3d29fb3f
	s_delay_alu instid0(VALU_DEP_1) | instskip(NEXT) | instid1(VALU_DEP_1)
	v_fmaak_f32 v28, v10, v28, 0xbd97d4d7
	v_fmaak_f32 v28, v10, v28, 0x3dd931b2
	;; [unrolled: 3-line block ×3, first 2 shown]
	s_delay_alu instid0(VALU_DEP_1) | instskip(NEXT) | instid1(VALU_DEP_1)
	v_fmaak_f32 v28, v10, v28, 0xbeaaaa62
	v_mul_f32_e32 v10, v10, v28
	v_cndmask_b32_e64 v28, 0, 0x40490fdb, vcc_lo
	v_cmp_gt_f32_e32 vcc_lo, 0, v20
	s_delay_alu instid0(VALU_DEP_3) | instskip(SKIP_1) | instid1(VALU_DEP_2)
	v_fmac_f32_e32 v9, v9, v10
	v_cndmask_b32_e32 v20, 0x3f490fdb, v38, vcc_lo
	v_sub_f32_e32 v10, 0x3fc90fdb, v9
	s_delay_alu instid0(VALU_DEP_1) | instskip(NEXT) | instid1(VALU_DEP_1)
	v_cndmask_b32_e64 v9, v9, v10, s4
	v_sub_f32_e32 v10, 0x40490fdb, v9
	s_delay_alu instid0(VALU_DEP_1) | instskip(SKIP_2) | instid1(VALU_DEP_1)
	v_cndmask_b32_e32 v9, v9, v10, vcc_lo
	v_mul_f32_e32 v10, 0.5, v34
	s_and_b32 vcc_lo, s9, s8
	v_dual_cndmask_b32 v9, v9, v28, s5 :: v_dual_mul_f32 v33, v34, v10
	s_delay_alu instid0(VALU_DEP_1)
	v_cndmask_b32_e32 v9, v9, v20, vcc_lo
.LBB192_283:                            ;   in Loop: Header=BB192_145 Depth=1
	s_or_b32 exec_lo, exec_lo, s7
.LBB192_284:                            ;   in Loop: Header=BB192_145 Depth=1
	s_delay_alu instid0(SALU_CYCLE_1)
	s_or_b32 exec_lo, exec_lo, s6
.LBB192_285:                            ;   in Loop: Header=BB192_145 Depth=1
	s_and_not1_saveexec_b32 s6, s30
	s_cbranch_execz .LBB192_287
; %bb.286:                              ;   in Loop: Header=BB192_145 Depth=1
	v_div_scale_f32 v9, null, 0x402df854, 0x402df854, v20
	v_div_scale_f32 v10, null, 0x402df854, 0x402df854, v21
	v_div_scale_f32 v34, vcc_lo, v20, 0x402df854, v20
	s_delay_alu instid0(VALU_DEP_3) | instskip(NEXT) | instid1(VALU_DEP_2)
	v_rcp_f32_e32 v28, v9
	v_rcp_f32_e32 v30, v10
	v_cmp_class_f32_e64 s7, v21, 0x204
	s_delay_alu instid0(TRANS32_DEP_2) | instskip(NEXT) | instid1(TRANS32_DEP_1)
	v_fma_f32 v32, -v9, v28, 1.0
	v_fma_f32 v33, -v10, v30, 1.0
	s_delay_alu instid0(VALU_DEP_1) | instskip(SKIP_1) | instid1(VALU_DEP_1)
	v_dual_fmac_f32 v28, v32, v28 :: v_dual_fmac_f32 v30, v33, v30
	v_div_scale_f32 v32, s5, v21, 0x402df854, v21
	v_dual_mul_f32 v33, v34, v28 :: v_dual_mul_f32 v35, v32, v30
	s_delay_alu instid0(VALU_DEP_1) | instskip(NEXT) | instid1(VALU_DEP_1)
	v_dual_fma_f32 v36, -v9, v33, v34 :: v_dual_fma_f32 v37, -v10, v35, v32
	v_dual_fmac_f32 v33, v36, v28 :: v_dual_fmac_f32 v35, v37, v30
	s_delay_alu instid0(VALU_DEP_1) | instskip(NEXT) | instid1(VALU_DEP_1)
	v_dual_fma_f32 v9, -v9, v33, v34 :: v_dual_fma_f32 v10, -v10, v35, v32
	v_div_fmas_f32 v9, v9, v28, v33
	s_mov_b32 vcc_lo, s5
	v_cmp_class_f32_e64 s5, v20, 0x204
	s_delay_alu instid0(VALU_DEP_3) | instskip(NEXT) | instid1(VALU_DEP_3)
	v_div_fmas_f32 v10, v10, v30, v35
	v_div_fixup_f32 v9, v9, 0x402df854, v20
	s_delay_alu instid0(VALU_DEP_2) | instskip(NEXT) | instid1(VALU_DEP_1)
	v_div_fixup_f32 v10, v10, 0x402df854, v21
	v_max_num_f32_e64 v28, |v9|, |v10|
	s_delay_alu instid0(VALU_DEP_1) | instskip(SKIP_1) | instid1(VALU_DEP_2)
	v_cvt_f64_f32_e32 v[32:33], v28
	v_cmp_neq_f32_e32 vcc_lo, 0x7f800000, v28
	v_frexp_exp_i32_f64_e32 v30, v[32:33]
	v_max_num_f32_e64 v32, |v21|, |v21|
	v_max_num_f32_e64 v33, |v20|, |v20|
	s_delay_alu instid0(VALU_DEP_1) | instskip(NEXT) | instid1(VALU_DEP_1)
	v_dual_max_num_f32 v34, v33, v32 :: v_dual_min_num_f32 v32, v33, v32
	v_frexp_mant_f32_e32 v35, v34
	v_frexp_exp_i32_f32_e32 v33, v34
	s_delay_alu instid0(VALU_DEP_2)
	v_rcp_f32_e32 v34, v35
	v_nop
	v_frexp_exp_i32_f32_e32 v35, v32
	v_frexp_mant_f32_e32 v32, v32
	s_delay_alu instid0(TRANS32_DEP_1) | instid1(VALU_DEP_1)
	v_dual_mul_f32 v32, v32, v34 :: v_dual_sub_nc_u32 v33, v35, v33
	s_delay_alu instid0(VALU_DEP_1) | instskip(NEXT) | instid1(VALU_DEP_1)
	v_ldexp_f32 v32, v32, v33
	v_dual_mul_f32 v33, v32, v32 :: v_dual_sub_nc_u32 v34, 0, v30
	s_delay_alu instid0(VALU_DEP_1) | instskip(SKIP_1) | instid1(VALU_DEP_3)
	v_ldexp_f32 v10, |v10|, v34
	v_ldexp_f32 v9, |v9|, v34
	v_fmaak_f32 v34, s28, v33, 0xbc7a590c
	s_delay_alu instid0(VALU_DEP_3) | instskip(NEXT) | instid1(VALU_DEP_1)
	v_mul_f32_e32 v10, v10, v10
	v_fmac_f32_e32 v10, v9, v9
	s_delay_alu instid0(VALU_DEP_3) | instskip(NEXT) | instid1(VALU_DEP_1)
	v_fmaak_f32 v9, v33, v34, 0x3d29fb3f
	v_fmaak_f32 v9, v33, v9, 0xbd97d4d7
	s_delay_alu instid0(VALU_DEP_1) | instskip(NEXT) | instid1(VALU_DEP_1)
	v_fmaak_f32 v9, v33, v9, 0x3dd931b2
	v_fmaak_f32 v9, v33, v9, 0xbe1160e6
	s_delay_alu instid0(VALU_DEP_1) | instskip(NEXT) | instid1(VALU_DEP_1)
	v_fmaak_f32 v9, v33, v9, 0x3e4cb8bf
	v_fmaak_f32 v9, v33, v9, 0xbeaaaa62
	s_delay_alu instid0(VALU_DEP_1) | instskip(NEXT) | instid1(VALU_DEP_1)
	v_mul_f32_e32 v9, v33, v9
	v_fmac_f32_e32 v32, v32, v9
	v_sqrt_f32_e32 v10, v10
	v_nop
	s_delay_alu instid0(TRANS32_DEP_1) | instskip(NEXT) | instid1(VALU_DEP_1)
	v_ldexp_f32 v10, v10, v30
	v_cndmask_b32_e32 v10, 0x7f800000, v10, vcc_lo
	s_delay_alu instid0(VALU_DEP_1) | instskip(SKIP_2) | instid1(VALU_DEP_2)
	v_cmp_gt_f32_e32 vcc_lo, 0x800000, v10
	v_cndmask_b32_e64 v28, 0, 32, vcc_lo
	v_cndmask_b32_e64 v33, 0, 0x41b17218, vcc_lo
	v_ldexp_f32 v10, v10, v28
	s_delay_alu instid0(VALU_DEP_1) | instskip(SKIP_1) | instid1(TRANS32_DEP_1)
	v_log_f32_e32 v10, v10
	v_nop
	v_mul_f32_e32 v28, 0x3f317217, v10
	v_cmp_gt_f32_e64 vcc_lo, 0x7f800000, |v10|
	s_delay_alu instid0(VALU_DEP_2) | instskip(NEXT) | instid1(VALU_DEP_1)
	v_fma_f32 v9, 0x3f317217, v10, -v28
	v_fmac_f32_e32 v9, 0x3377d1cf, v10
	s_delay_alu instid0(VALU_DEP_1) | instskip(NEXT) | instid1(VALU_DEP_1)
	v_fmac_f32_e32 v9, 0x3f317217, v10
	v_dual_sub_f32 v28, 0x3fc90fdb, v32 :: v_dual_cndmask_b32 v9, v10, v9
	s_delay_alu instid0(VALU_DEP_1) | instskip(SKIP_2) | instid1(VALU_DEP_3)
	v_cndmask_b32_e64 v28, v32, v28, s4
	v_cmp_gt_i32_e64 s4, 0, v20
	v_cmp_eq_f32_e32 vcc_lo, 0, v21
	v_dual_sub_f32 v9, v9, v33 :: v_dual_sub_f32 v32, 0x40490fdb, v28
	s_delay_alu instid0(VALU_DEP_3) | instskip(SKIP_1) | instid1(VALU_DEP_1)
	v_cndmask_b32_e64 v30, 0, 0x40490fdb, s4
	v_cmp_gt_f32_e64 s4, 0, v20
	v_dual_add_f32 v33, 1.0, v9 :: v_dual_cndmask_b32 v10, v28, v32, s4
	v_cndmask_b32_e64 v20, 0x3f490fdb, v38, s4
	s_delay_alu instid0(VALU_DEP_2) | instskip(SKIP_1) | instid1(VALU_DEP_1)
	v_cndmask_b32_e32 v10, v10, v30, vcc_lo
	s_and_b32 vcc_lo, s7, s5
	v_cndmask_b32_e32 v9, v10, v20, vcc_lo
.LBB192_287:                            ;   in Loop: Header=BB192_145 Depth=1
	s_or_b32 exec_lo, exec_lo, s6
	s_and_not1_saveexec_b32 s4, s29
	s_cbranch_execz .LBB192_257
.LBB192_288:                            ;   in Loop: Header=BB192_145 Depth=1
	v_cmp_ngt_f32_e64 s5, 0x20000000, |v20|
	v_cmp_ngt_f32_e64 s6, 0x20000000, |v21|
                                        ; implicit-def: $vgpr9
	s_or_b32 s5, s6, s5
	s_delay_alu instid0(SALU_CYCLE_1) | instskip(NEXT) | instid1(SALU_CYCLE_1)
	s_and_saveexec_b32 s6, s5
	s_xor_b32 s5, exec_lo, s6
; %bb.289:                              ;   in Loop: Header=BB192_145 Depth=1
	v_pk_mul_f32 v[32:33], v[20:21], v[20:21]
	s_delay_alu instid0(VALU_DEP_1)
	v_add_f32_e32 v9, v33, v32
; %bb.290:                              ;   in Loop: Header=BB192_145 Depth=1
	s_and_not1_saveexec_b32 s5, s5
; %bb.291:                              ;   in Loop: Header=BB192_145 Depth=1
	v_pk_mul_f32 v[32:33], v[20:21], 4.0 op_sel_hi:[1,0]
	s_delay_alu instid0(VALU_DEP_1) | instskip(NEXT) | instid1(VALU_DEP_1)
	v_pk_mul_f32 v[32:33], v[32:33], v[32:33]
	v_add_f32_e32 v9, v33, v32
	s_delay_alu instid0(VALU_DEP_1)
	v_mul_f32_e32 v9, 0x3d800000, v9
; %bb.292:                              ;   in Loop: Header=BB192_145 Depth=1
	s_or_b32 exec_lo, exec_lo, s5
	s_delay_alu instid0(VALU_DEP_1) | instskip(SKIP_2) | instid1(VALU_DEP_2)
	v_cmp_gt_f32_e32 vcc_lo, 0x800000, v9
	v_cndmask_b32_e64 v10, 0, 32, vcc_lo
	v_cndmask_b32_e64 v20, 0, 0x41b17218, vcc_lo
	v_ldexp_f32 v9, v9, v10
	s_delay_alu instid0(VALU_DEP_1) | instskip(SKIP_1) | instid1(TRANS32_DEP_1)
	v_log_f32_e32 v9, v9
	v_nop
	v_mul_f32_e32 v10, 0x3f317217, v9
	v_cmp_gt_f32_e64 vcc_lo, 0x7f800000, |v9|
	s_delay_alu instid0(VALU_DEP_2) | instskip(NEXT) | instid1(VALU_DEP_1)
	v_fma_f32 v10, 0x3f317217, v9, -v10
	v_fmac_f32_e32 v10, 0x3377d1cf, v9
	s_delay_alu instid0(VALU_DEP_1) | instskip(NEXT) | instid1(VALU_DEP_1)
	v_fmac_f32_e32 v10, 0x3f317217, v9
	v_cndmask_b32_e32 v9, v9, v10, vcc_lo
	s_delay_alu instid0(VALU_DEP_1) | instskip(SKIP_3) | instid1(SALU_CYCLE_1)
	v_sub_f32_e32 v33, v9, v20
	v_mov_b32_e32 v9, 0x7fc00000
	s_or_b32 exec_lo, exec_lo, s4
	s_and_saveexec_b32 s4, s3
	s_xor_b32 s3, exec_lo, s4
	s_cbranch_execz .LBB192_258
.LBB192_293:                            ;   in Loop: Header=BB192_145 Depth=1
	v_bfi_b32 v26, 0x7fffffff, v26, v25
	v_mov_b32_e32 v34, v27
	v_lshl_add_u64 v[18:19], v[18:19], 3, s[14:15]
	s_delay_alu instid0(VALU_DEP_3) | instskip(NEXT) | instid1(VALU_DEP_1)
	v_mov_b32_e32 v35, v26
	v_pk_fma_f32 v[36:37], v[26:27], 0, v[34:35] op_sel_hi:[1,0,1] neg_lo:[1,0,0] neg_hi:[1,0,0]
	v_pk_fma_f32 v[26:27], v[26:27], 0, v[34:35] op_sel_hi:[1,0,1]
	s_delay_alu instid0(VALU_DEP_2) | instskip(NEXT) | instid1(VALU_DEP_1)
	v_mov_b32_e32 v27, v37
	v_pk_mul_f32 v[26:27], v[26:27], s[26:27] op_sel_hi:[1,0]
	global_store_b64 v[18:19], v[26:27], off
	s_wait_xcnt 0x0
	s_or_b32 exec_lo, exec_lo, s3
	s_and_saveexec_b32 s3, s2
	s_cbranch_execz .LBB192_259
.LBB192_294:                            ;   in Loop: Header=BB192_145 Depth=1
	v_bfi_b32 v28, 0x7fffffff, v24, v23
	v_mov_b32_e32 v18, v29
	v_lshl_add_u64 v[16:17], v[16:17], 3, s[14:15]
	s_delay_alu instid0(VALU_DEP_3) | instskip(NEXT) | instid1(VALU_DEP_1)
	v_mov_b32_e32 v19, v28
	v_pk_fma_f32 v[24:25], v[28:29], 0, v[18:19] op_sel_hi:[1,0,1] neg_lo:[1,0,0] neg_hi:[1,0,0]
	v_pk_fma_f32 v[18:19], v[28:29], 0, v[18:19] op_sel_hi:[1,0,1]
	s_delay_alu instid0(VALU_DEP_2) | instskip(NEXT) | instid1(VALU_DEP_1)
	v_mov_b32_e32 v19, v25
	v_pk_mul_f32 v[18:19], v[18:19], s[26:27] op_sel_hi:[1,0]
	global_store_b64 v[16:17], v[18:19], off
	s_wait_xcnt 0x0
	s_or_b32 exec_lo, exec_lo, s3
	s_and_saveexec_b32 s2, s1
	s_cbranch_execz .LBB192_260
.LBB192_295:                            ;   in Loop: Header=BB192_145 Depth=1
	v_bfi_b32 v30, 0x7fffffff, v22, v11
	v_mov_b32_e32 v10, v31
	v_lshl_add_u64 v[14:15], v[14:15], 3, s[14:15]
	s_delay_alu instid0(VALU_DEP_3) | instskip(NEXT) | instid1(VALU_DEP_1)
	v_mov_b32_e32 v11, v30
	v_pk_fma_f32 v[16:17], v[30:31], 0, v[10:11] op_sel_hi:[1,0,1] neg_lo:[1,0,0] neg_hi:[1,0,0]
	v_pk_fma_f32 v[10:11], v[30:31], 0, v[10:11] op_sel_hi:[1,0,1]
	s_delay_alu instid0(VALU_DEP_2) | instskip(NEXT) | instid1(VALU_DEP_1)
	v_mov_b32_e32 v11, v17
	v_pk_mul_f32 v[10:11], v[10:11], s[26:27] op_sel_hi:[1,0]
	global_store_b64 v[14:15], v[10:11], off
	s_wait_xcnt 0x0
	s_or_b32 exec_lo, exec_lo, s2
	s_and_saveexec_b32 s1, s0
	s_cbranch_execz .LBB192_144
.LBB192_296:                            ;   in Loop: Header=BB192_145 Depth=1
	v_bfi_b32 v32, 0x7fffffff, v9, v21
	v_mov_b32_e32 v10, v33
	v_lshl_add_u64 v[12:13], v[12:13], 3, s[14:15]
	s_delay_alu instid0(VALU_DEP_3) | instskip(NEXT) | instid1(VALU_DEP_1)
	v_mov_b32_e32 v11, v32
	v_pk_fma_f32 v[14:15], v[32:33], 0, v[10:11] op_sel_hi:[1,0,1] neg_lo:[1,0,0] neg_hi:[1,0,0]
	v_pk_fma_f32 v[10:11], v[32:33], 0, v[10:11] op_sel_hi:[1,0,1]
	s_delay_alu instid0(VALU_DEP_2) | instskip(NEXT) | instid1(VALU_DEP_1)
	v_mov_b32_e32 v11, v15
	v_pk_mul_f32 v[10:11], v[10:11], s[26:27] op_sel_hi:[1,0]
	global_store_b64 v[12:13], v[10:11], off
	s_branch .LBB192_144
.LBB192_297:
	s_endpgm
	.section	.rodata,"a",@progbits
	.p2align	6, 0x0
	.amdhsa_kernel _ZN2at6native12_GLOBAL__N_125multi_tensor_apply_kernelINS1_18TensorListMetadataILi2EEENS1_14UnaryOpFunctorIN3c107complexIfEELi2ELi1ELi1EEEJNS0_4Log2IS8_EEEEEvT_T0_DpT1_
		.amdhsa_group_segment_fixed_size 0
		.amdhsa_private_segment_fixed_size 0
		.amdhsa_kernarg_size 3408
		.amdhsa_user_sgpr_count 2
		.amdhsa_user_sgpr_dispatch_ptr 0
		.amdhsa_user_sgpr_queue_ptr 0
		.amdhsa_user_sgpr_kernarg_segment_ptr 1
		.amdhsa_user_sgpr_dispatch_id 0
		.amdhsa_user_sgpr_kernarg_preload_length 0
		.amdhsa_user_sgpr_kernarg_preload_offset 0
		.amdhsa_user_sgpr_private_segment_size 0
		.amdhsa_wavefront_size32 1
		.amdhsa_uses_dynamic_stack 0
		.amdhsa_enable_private_segment 0
		.amdhsa_system_sgpr_workgroup_id_x 1
		.amdhsa_system_sgpr_workgroup_id_y 0
		.amdhsa_system_sgpr_workgroup_id_z 0
		.amdhsa_system_sgpr_workgroup_info 0
		.amdhsa_system_vgpr_workitem_id 0
		.amdhsa_next_free_vgpr 52
		.amdhsa_next_free_sgpr 38
		.amdhsa_named_barrier_count 0
		.amdhsa_reserve_vcc 1
		.amdhsa_float_round_mode_32 0
		.amdhsa_float_round_mode_16_64 0
		.amdhsa_float_denorm_mode_32 3
		.amdhsa_float_denorm_mode_16_64 3
		.amdhsa_fp16_overflow 0
		.amdhsa_memory_ordered 1
		.amdhsa_forward_progress 1
		.amdhsa_inst_pref_size 255
		.amdhsa_round_robin_scheduling 0
		.amdhsa_exception_fp_ieee_invalid_op 0
		.amdhsa_exception_fp_denorm_src 0
		.amdhsa_exception_fp_ieee_div_zero 0
		.amdhsa_exception_fp_ieee_overflow 0
		.amdhsa_exception_fp_ieee_underflow 0
		.amdhsa_exception_fp_ieee_inexact 0
		.amdhsa_exception_int_div_zero 0
	.end_amdhsa_kernel
	.section	.text._ZN2at6native12_GLOBAL__N_125multi_tensor_apply_kernelINS1_18TensorListMetadataILi2EEENS1_14UnaryOpFunctorIN3c107complexIfEELi2ELi1ELi1EEEJNS0_4Log2IS8_EEEEEvT_T0_DpT1_,"axG",@progbits,_ZN2at6native12_GLOBAL__N_125multi_tensor_apply_kernelINS1_18TensorListMetadataILi2EEENS1_14UnaryOpFunctorIN3c107complexIfEELi2ELi1ELi1EEEJNS0_4Log2IS8_EEEEEvT_T0_DpT1_,comdat
.Lfunc_end192:
	.size	_ZN2at6native12_GLOBAL__N_125multi_tensor_apply_kernelINS1_18TensorListMetadataILi2EEENS1_14UnaryOpFunctorIN3c107complexIfEELi2ELi1ELi1EEEJNS0_4Log2IS8_EEEEEvT_T0_DpT1_, .Lfunc_end192-_ZN2at6native12_GLOBAL__N_125multi_tensor_apply_kernelINS1_18TensorListMetadataILi2EEENS1_14UnaryOpFunctorIN3c107complexIfEELi2ELi1ELi1EEEJNS0_4Log2IS8_EEEEEvT_T0_DpT1_
                                        ; -- End function
	.set _ZN2at6native12_GLOBAL__N_125multi_tensor_apply_kernelINS1_18TensorListMetadataILi2EEENS1_14UnaryOpFunctorIN3c107complexIfEELi2ELi1ELi1EEEJNS0_4Log2IS8_EEEEEvT_T0_DpT1_.num_vgpr, 52
	.set _ZN2at6native12_GLOBAL__N_125multi_tensor_apply_kernelINS1_18TensorListMetadataILi2EEENS1_14UnaryOpFunctorIN3c107complexIfEELi2ELi1ELi1EEEJNS0_4Log2IS8_EEEEEvT_T0_DpT1_.num_agpr, 0
	.set _ZN2at6native12_GLOBAL__N_125multi_tensor_apply_kernelINS1_18TensorListMetadataILi2EEENS1_14UnaryOpFunctorIN3c107complexIfEELi2ELi1ELi1EEEJNS0_4Log2IS8_EEEEEvT_T0_DpT1_.numbered_sgpr, 38
	.set _ZN2at6native12_GLOBAL__N_125multi_tensor_apply_kernelINS1_18TensorListMetadataILi2EEENS1_14UnaryOpFunctorIN3c107complexIfEELi2ELi1ELi1EEEJNS0_4Log2IS8_EEEEEvT_T0_DpT1_.num_named_barrier, 0
	.set _ZN2at6native12_GLOBAL__N_125multi_tensor_apply_kernelINS1_18TensorListMetadataILi2EEENS1_14UnaryOpFunctorIN3c107complexIfEELi2ELi1ELi1EEEJNS0_4Log2IS8_EEEEEvT_T0_DpT1_.private_seg_size, 0
	.set _ZN2at6native12_GLOBAL__N_125multi_tensor_apply_kernelINS1_18TensorListMetadataILi2EEENS1_14UnaryOpFunctorIN3c107complexIfEELi2ELi1ELi1EEEJNS0_4Log2IS8_EEEEEvT_T0_DpT1_.uses_vcc, 1
	.set _ZN2at6native12_GLOBAL__N_125multi_tensor_apply_kernelINS1_18TensorListMetadataILi2EEENS1_14UnaryOpFunctorIN3c107complexIfEELi2ELi1ELi1EEEJNS0_4Log2IS8_EEEEEvT_T0_DpT1_.uses_flat_scratch, 0
	.set _ZN2at6native12_GLOBAL__N_125multi_tensor_apply_kernelINS1_18TensorListMetadataILi2EEENS1_14UnaryOpFunctorIN3c107complexIfEELi2ELi1ELi1EEEJNS0_4Log2IS8_EEEEEvT_T0_DpT1_.has_dyn_sized_stack, 0
	.set _ZN2at6native12_GLOBAL__N_125multi_tensor_apply_kernelINS1_18TensorListMetadataILi2EEENS1_14UnaryOpFunctorIN3c107complexIfEELi2ELi1ELi1EEEJNS0_4Log2IS8_EEEEEvT_T0_DpT1_.has_recursion, 0
	.set _ZN2at6native12_GLOBAL__N_125multi_tensor_apply_kernelINS1_18TensorListMetadataILi2EEENS1_14UnaryOpFunctorIN3c107complexIfEELi2ELi1ELi1EEEJNS0_4Log2IS8_EEEEEvT_T0_DpT1_.has_indirect_call, 0
	.section	.AMDGPU.csdata,"",@progbits
; Kernel info:
; codeLenInByte = 51972
; TotalNumSgprs: 40
; NumVgprs: 52
; ScratchSize: 0
; MemoryBound: 1
; FloatMode: 240
; IeeeMode: 1
; LDSByteSize: 0 bytes/workgroup (compile time only)
; SGPRBlocks: 0
; VGPRBlocks: 3
; NumSGPRsForWavesPerEU: 40
; NumVGPRsForWavesPerEU: 52
; NamedBarCnt: 0
; Occupancy: 16
; WaveLimiterHint : 0
; COMPUTE_PGM_RSRC2:SCRATCH_EN: 0
; COMPUTE_PGM_RSRC2:USER_SGPR: 2
; COMPUTE_PGM_RSRC2:TRAP_HANDLER: 0
; COMPUTE_PGM_RSRC2:TGID_X_EN: 1
; COMPUTE_PGM_RSRC2:TGID_Y_EN: 0
; COMPUTE_PGM_RSRC2:TGID_Z_EN: 0
; COMPUTE_PGM_RSRC2:TIDIG_COMP_CNT: 0
	.section	.text._ZN2at6native12_GLOBAL__N_125multi_tensor_apply_kernelINS1_18TensorListMetadataILi2EEENS1_14UnaryOpFunctorIN3c104HalfELi2ELi1ELi1EEEJNS0_4Log2IfEEEEEvT_T0_DpT1_,"axG",@progbits,_ZN2at6native12_GLOBAL__N_125multi_tensor_apply_kernelINS1_18TensorListMetadataILi2EEENS1_14UnaryOpFunctorIN3c104HalfELi2ELi1ELi1EEEJNS0_4Log2IfEEEEEvT_T0_DpT1_,comdat
	.globl	_ZN2at6native12_GLOBAL__N_125multi_tensor_apply_kernelINS1_18TensorListMetadataILi2EEENS1_14UnaryOpFunctorIN3c104HalfELi2ELi1ELi1EEEJNS0_4Log2IfEEEEEvT_T0_DpT1_ ; -- Begin function _ZN2at6native12_GLOBAL__N_125multi_tensor_apply_kernelINS1_18TensorListMetadataILi2EEENS1_14UnaryOpFunctorIN3c104HalfELi2ELi1ELi1EEEJNS0_4Log2IfEEEEEvT_T0_DpT1_
	.p2align	8
	.type	_ZN2at6native12_GLOBAL__N_125multi_tensor_apply_kernelINS1_18TensorListMetadataILi2EEENS1_14UnaryOpFunctorIN3c104HalfELi2ELi1ELi1EEEJNS0_4Log2IfEEEEEvT_T0_DpT1_,@function
_ZN2at6native12_GLOBAL__N_125multi_tensor_apply_kernelINS1_18TensorListMetadataILi2EEENS1_14UnaryOpFunctorIN3c104HalfELi2ELi1ELi1EEEJNS0_4Log2IfEEEEEvT_T0_DpT1_: ; @_ZN2at6native12_GLOBAL__N_125multi_tensor_apply_kernelINS1_18TensorListMetadataILi2EEENS1_14UnaryOpFunctorIN3c104HalfELi2ELi1ELi1EEEJNS0_4Log2IfEEEEEvT_T0_DpT1_
; %bb.0:
	s_bfe_u32 s2, ttmp6, 0x4000c
	s_and_b32 s3, ttmp6, 15
	s_add_co_i32 s2, s2, 1
	s_getreg_b32 s4, hwreg(HW_REG_IB_STS2, 6, 4)
	s_mul_i32 s2, ttmp9, s2
	s_mov_b32 s7, 0
	s_add_co_i32 s3, s3, s2
	s_cmp_eq_u32 s4, 0
	s_mov_b32 s15, s7
	s_cselect_b32 s6, ttmp9, s3
	s_load_u8 s11, s[0:1], s6 offset:0x600
	s_add_nc_u64 s[2:3], s[0:1], s[6:7]
	s_mul_u64 s[4:5], s[6:7], 3
	s_delay_alu instid0(SALU_CYCLE_1)
	s_add_nc_u64 s[4:5], s[2:3], s[4:5]
	s_load_b32 s10, s[4:5], 0x740
	s_wait_kmcnt 0x0
	s_clause 0x2
	s_load_b64 s[2:3], s[0:1], s11 offset:0x0 scale_offset
	s_load_b64 s[8:9], s[0:1], s11 offset:0x200 scale_offset
	;; [unrolled: 1-line block ×3, first 2 shown]
	s_wait_xcnt 0x0
	s_ashr_i32 s11, s10, 31
	s_delay_alu instid0(SALU_CYCLE_1)
	s_lshl_b64 s[4:5], s[10:11], 17
	s_wait_kmcnt 0x0
	s_and_b64 s[18:19], s[8:9], 7
	s_add_nc_u64 s[16:17], s[2:3], s[4:5]
	s_and_b32 s14, s12, 3
	s_and_b32 s6, s16, 7
	s_or_b64 s[14:15], s[18:19], s[14:15]
	s_lshl_b64 s[10:11], s[10:11], 16
	s_or_b64 s[14:15], s[14:15], s[6:7]
	s_sub_nc_u64 s[6:7], s[12:13], s[10:11]
	s_cmp_eq_u64 s[14:15], 0
	s_mov_b32 s10, -1
	s_cbranch_scc0 .LBB193_5
; %bb.1:
	v_min_i64 v[2:3], 0x10000, s[6:7]
	v_dual_mov_b32 v5, 0 :: v_dual_lshlrev_b32 v4, 2, v0
	s_mov_b32 s14, exec_lo
	s_delay_alu instid0(VALU_DEP_1)
	v_cmpx_lt_i64_e64 v[4:5], v[2:3]
	s_cbranch_execz .LBB193_4
; %bb.2:
	s_load_b32 s10, s[0:1], 0xc5c
	v_dual_mov_b32 v1, v5 :: v_dual_lshlrev_b32 v4, 3, v0
	s_mov_b32 s11, 0
	s_delay_alu instid0(SALU_CYCLE_1) | instskip(NEXT) | instid1(VALU_DEP_1)
	s_mov_b32 s13, s11
	v_add_nc_u64_e32 v[4:5], s[4:5], v[4:5]
	s_delay_alu instid0(VALU_DEP_2) | instskip(SKIP_3) | instid1(SALU_CYCLE_1)
	v_mov_b64_e32 v[6:7], v[0:1]
	s_mov_b32 s15, s11
	s_wait_kmcnt 0x0
	s_and_b32 s10, s10, 0xffff
	s_lshl_b32 s12, s10, 3
.LBB193_3:                              ; =>This Inner Loop Header: Depth=1
	s_delay_alu instid0(VALU_DEP_2) | instskip(NEXT) | instid1(VALU_DEP_2)
	v_add_nc_u64_e32 v[8:9], s[2:3], v[4:5]
	v_add_nc_u64_e32 v[6:7], s[10:11], v[6:7]
	global_load_b64 v[8:9], v[8:9], off
	s_wait_loadcnt 0x0
	v_dual_lshrrev_b32 v1, 16, v9 :: v_dual_lshrrev_b32 v10, 16, v8
	v_cvt_f32_f16_e32 v11, v8
	v_cvt_f32_f16_e32 v12, v9
	s_wait_xcnt 0x0
	v_lshlrev_b64_e32 v[8:9], 2, v[6:7]
	v_cvt_f32_f16_e32 v1, v1
	v_cvt_f32_f16_e32 v10, v10
	v_log_f32_e32 v13, v11
	v_log_f32_e32 v11, v12
	s_delay_alu instid0(VALU_DEP_2) | instskip(NEXT) | instid1(VALU_DEP_1)
	v_log_f32_e32 v1, v1
	v_log_f32_e32 v10, v10
	v_cmp_ge_i64_e32 vcc_lo, v[8:9], v[2:3]
	v_add_nc_u64_e32 v[8:9], s[8:9], v[4:5]
	v_add_nc_u64_e32 v[4:5], s[12:13], v[4:5]
	s_delay_alu instid0(TRANS32_DEP_2) | instskip(NEXT) | instid1(TRANS32_DEP_1)
	v_cvt_pk_f16_f32 v11, v11, v1
	v_cvt_pk_f16_f32 v10, v13, v10
	s_or_b32 s15, vcc_lo, s15
	global_store_b64 v[8:9], v[10:11], off
	s_wait_xcnt 0x0
	s_and_not1_b32 exec_lo, exec_lo, s15
	s_cbranch_execnz .LBB193_3
.LBB193_4:
	s_or_b32 exec_lo, exec_lo, s14
	s_mov_b32 s10, 0
.LBB193_5:
	s_delay_alu instid0(SALU_CYCLE_1)
	s_and_not1_b32 vcc_lo, exec_lo, s10
	s_cbranch_vccnz .LBB193_25
; %bb.6:
	v_cmp_lt_i64_e64 s10, s[6:7], 1
	s_and_b32 vcc_lo, exec_lo, s10
	s_cbranch_vccnz .LBB193_25
; %bb.7:
	s_load_b32 s0, s[0:1], 0xc5c
	v_min_i64 v[2:3], 0x10000, s[6:7]
	v_min_u64 v[4:5], 0x10000, s[6:7]
	v_dual_mov_b32 v1, 0 :: v_dual_lshlrev_b32 v10, 1, v0
	s_wait_xcnt 0x0
	s_mov_b32 s1, 0
	s_delay_alu instid0(SALU_CYCLE_1) | instskip(NEXT) | instid1(VALU_DEP_1)
	s_mov_b32 s7, s1
	v_dual_mov_b32 v11, v1 :: v_dual_mov_b32 v27, v1
	s_mov_b32 s11, s1
	s_mov_b32 s13, s1
	s_delay_alu instid0(VALU_DEP_1) | instskip(SKIP_2) | instid1(SALU_CYCLE_1)
	v_add_nc_u64_e32 v[6:7], s[2:3], v[10:11]
	s_wait_kmcnt 0x0
	s_and_b32 s0, s0, 0xffff
	v_add_nc_u64_e32 v[8:9], s[0:1], v[0:1]
	v_mad_nc_u64_u32 v[22:23], s0, 6, v[10:11]
	s_lshl_b32 s6, s0, 2
	s_mul_i32 s12, s0, 3
	v_add_nc_u64_e32 v[18:19], s[6:7], v[10:11]
	s_lshl_b32 s10, s0, 1
	v_add_nc_u64_e32 v[10:11], s[8:9], v[10:11]
	v_lshlrev_b32_e32 v26, 1, v8
	v_add_nc_u64_e32 v[12:13], s[12:13], v[0:1]
	v_add_nc_u64_e32 v[14:15], s[10:11], v[0:1]
	s_mov_b64 s[10:11], 0
	v_add_nc_u64_e32 v[16:17], s[2:3], v[18:19]
	v_add_nc_u64_e32 v[18:19], s[8:9], v[18:19]
	;; [unrolled: 1-line block ×6, first 2 shown]
	s_lshl_b32 s8, s0, 3
	s_mov_b32 s9, s1
	s_branch .LBB193_9
.LBB193_8:                              ;   in Loop: Header=BB193_9 Depth=1
	s_wait_xcnt 0x0
	s_or_b32 exec_lo, exec_lo, s0
	s_add_nc_u64 s[10:11], s[10:11], s[6:7]
	v_add_nc_u64_e32 v[6:7], s[8:9], v[6:7]
	v_cmp_ge_i64_e32 vcc_lo, s[10:11], v[2:3]
	v_add_nc_u64_e32 v[10:11], s[8:9], v[10:11]
	v_add_nc_u64_e32 v[20:21], s[8:9], v[20:21]
	;; [unrolled: 1-line block ×7, first 2 shown]
	s_cbranch_vccnz .LBB193_25
.LBB193_9:                              ; =>This Inner Loop Header: Depth=1
	v_add_nc_u64_e32 v[28:29], s[10:11], v[0:1]
	v_mov_b32_e32 v30, 0
	s_delay_alu instid0(VALU_DEP_2)
	v_cmp_lt_u64_e64 s2, v[28:29], v[4:5]
	s_and_saveexec_b32 s0, s2
	s_cbranch_execz .LBB193_11
; %bb.10:                               ;   in Loop: Header=BB193_9 Depth=1
	v_add_nc_u64_e32 v[28:29], s[4:5], v[6:7]
	global_load_u16 v28, v[28:29], off
	s_wait_loadcnt 0x0
	v_cvt_f32_f16_e32 v30, v28
.LBB193_11:                             ;   in Loop: Header=BB193_9 Depth=1
	s_wait_xcnt 0x0
	s_or_b32 exec_lo, exec_lo, s0
	v_add_nc_u64_e32 v[28:29], s[10:11], v[8:9]
	v_mov_b32_e32 v31, 0
	s_delay_alu instid0(VALU_DEP_2)
	v_cmp_lt_u64_e64 s1, v[28:29], v[4:5]
	v_mov_b32_e32 v28, 0
	s_and_saveexec_b32 s0, s1
	s_cbranch_execz .LBB193_13
; %bb.12:                               ;   in Loop: Header=BB193_9 Depth=1
	v_add_nc_u64_e32 v[32:33], s[4:5], v[24:25]
	global_load_u16 v29, v[32:33], off
	s_wait_loadcnt 0x0
	v_cvt_f32_f16_e32 v31, v29
.LBB193_13:                             ;   in Loop: Header=BB193_9 Depth=1
	s_wait_xcnt 0x0
	s_or_b32 exec_lo, exec_lo, s0
	v_add_nc_u64_e32 v[32:33], s[10:11], v[14:15]
	s_delay_alu instid0(VALU_DEP_1)
	v_cmp_lt_u64_e64 s0, v[32:33], v[4:5]
	s_and_saveexec_b32 s3, s0
	s_cbranch_execz .LBB193_15
; %bb.14:                               ;   in Loop: Header=BB193_9 Depth=1
	v_add_nc_u64_e32 v[28:29], s[4:5], v[16:17]
	global_load_u16 v28, v[28:29], off
	s_wait_loadcnt 0x0
	v_cvt_f32_f16_e32 v28, v28
.LBB193_15:                             ;   in Loop: Header=BB193_9 Depth=1
	s_or_b32 exec_lo, exec_lo, s3
	v_add_nc_u64_e32 v[32:33], s[10:11], v[12:13]
	v_mov_b32_e32 v29, 0
	s_delay_alu instid0(VALU_DEP_2)
	v_cmp_lt_u64_e32 vcc_lo, v[32:33], v[4:5]
	s_and_saveexec_b32 s3, vcc_lo
	s_cbranch_execnz .LBB193_20
; %bb.16:                               ;   in Loop: Header=BB193_9 Depth=1
	s_or_b32 exec_lo, exec_lo, s3
	s_and_saveexec_b32 s3, s2
	s_cbranch_execnz .LBB193_21
.LBB193_17:                             ;   in Loop: Header=BB193_9 Depth=1
	s_or_b32 exec_lo, exec_lo, s3
	s_and_saveexec_b32 s2, s1
	s_cbranch_execnz .LBB193_22
.LBB193_18:                             ;   in Loop: Header=BB193_9 Depth=1
	s_or_b32 exec_lo, exec_lo, s2
	s_and_saveexec_b32 s1, s0
	s_cbranch_execnz .LBB193_23
.LBB193_19:                             ;   in Loop: Header=BB193_9 Depth=1
	s_or_b32 exec_lo, exec_lo, s1
	s_and_saveexec_b32 s0, vcc_lo
	s_cbranch_execz .LBB193_8
	s_branch .LBB193_24
.LBB193_20:                             ;   in Loop: Header=BB193_9 Depth=1
	v_add_nc_u64_e32 v[32:33], s[4:5], v[20:21]
	global_load_u16 v29, v[32:33], off
	s_wait_loadcnt 0x0
	v_cvt_f32_f16_e32 v29, v29
	s_wait_xcnt 0x0
	s_or_b32 exec_lo, exec_lo, s3
	s_and_saveexec_b32 s3, s2
	s_cbranch_execz .LBB193_17
.LBB193_21:                             ;   in Loop: Header=BB193_9 Depth=1
	v_cmp_gt_f32_e64 s2, 0x800000, v30
	s_delay_alu instid0(VALU_DEP_1) | instskip(SKIP_1) | instid1(VALU_DEP_2)
	v_cndmask_b32_e64 v33, 0, 32, s2
	v_cndmask_b32_e64 v32, 0, 0x42000000, s2
	v_ldexp_f32 v30, v30, v33
	s_delay_alu instid0(VALU_DEP_1) | instskip(SKIP_1) | instid1(TRANS32_DEP_1)
	v_log_f32_e32 v30, v30
	v_nop
	v_sub_f32_e32 v30, v30, v32
	v_add_nc_u64_e32 v[32:33], s[4:5], v[10:11]
	s_delay_alu instid0(VALU_DEP_2)
	v_cvt_f16_f32_e32 v30, v30
	global_store_b16 v[32:33], v30, off
	s_wait_xcnt 0x0
	s_or_b32 exec_lo, exec_lo, s3
	s_and_saveexec_b32 s2, s1
	s_cbranch_execz .LBB193_18
.LBB193_22:                             ;   in Loop: Header=BB193_9 Depth=1
	v_cmp_gt_f32_e64 s1, 0x800000, v31
	s_delay_alu instid0(VALU_DEP_1) | instskip(SKIP_1) | instid1(VALU_DEP_2)
	v_cndmask_b32_e64 v32, 0, 32, s1
	v_cndmask_b32_e64 v30, 0, 0x42000000, s1
	v_ldexp_f32 v31, v31, v32
	s_delay_alu instid0(VALU_DEP_1) | instskip(SKIP_1) | instid1(TRANS32_DEP_1)
	v_log_f32_e32 v31, v31
	v_nop
	v_sub_f32_e32 v32, v31, v30
	v_add_nc_u64_e32 v[30:31], s[4:5], v[26:27]
	s_delay_alu instid0(VALU_DEP_2)
	v_cvt_f16_f32_e32 v32, v32
	global_store_b16 v[30:31], v32, off
	s_wait_xcnt 0x0
	s_or_b32 exec_lo, exec_lo, s2
	s_and_saveexec_b32 s1, s0
	s_cbranch_execz .LBB193_19
.LBB193_23:                             ;   in Loop: Header=BB193_9 Depth=1
	v_cmp_gt_f32_e64 s0, 0x800000, v28
	s_delay_alu instid0(VALU_DEP_1) | instskip(SKIP_1) | instid1(VALU_DEP_2)
	v_cndmask_b32_e64 v31, 0, 32, s0
	v_cndmask_b32_e64 v30, 0, 0x42000000, s0
	v_ldexp_f32 v28, v28, v31
	s_delay_alu instid0(VALU_DEP_1) | instskip(SKIP_1) | instid1(TRANS32_DEP_1)
	v_log_f32_e32 v28, v28
	v_nop
	v_sub_f32_e32 v28, v28, v30
	v_add_nc_u64_e32 v[30:31], s[4:5], v[18:19]
	s_delay_alu instid0(VALU_DEP_2)
	v_cvt_f16_f32_e32 v28, v28
	global_store_b16 v[30:31], v28, off
	s_wait_xcnt 0x0
	s_or_b32 exec_lo, exec_lo, s1
	s_and_saveexec_b32 s0, vcc_lo
	s_cbranch_execz .LBB193_8
.LBB193_24:                             ;   in Loop: Header=BB193_9 Depth=1
	v_cmp_gt_f32_e32 vcc_lo, 0x800000, v29
	v_cndmask_b32_e64 v30, 0, 32, vcc_lo
	v_cndmask_b32_e64 v28, 0, 0x42000000, vcc_lo
	s_delay_alu instid0(VALU_DEP_2) | instskip(NEXT) | instid1(VALU_DEP_1)
	v_ldexp_f32 v29, v29, v30
	v_log_f32_e32 v29, v29
	v_nop
	s_delay_alu instid0(TRANS32_DEP_1) | instskip(SKIP_1) | instid1(VALU_DEP_2)
	v_sub_f32_e32 v30, v29, v28
	v_add_nc_u64_e32 v[28:29], s[4:5], v[22:23]
	v_cvt_f16_f32_e32 v30, v30
	global_store_b16 v[28:29], v30, off
	s_branch .LBB193_8
.LBB193_25:
	s_endpgm
	.section	.rodata,"a",@progbits
	.p2align	6, 0x0
	.amdhsa_kernel _ZN2at6native12_GLOBAL__N_125multi_tensor_apply_kernelINS1_18TensorListMetadataILi2EEENS1_14UnaryOpFunctorIN3c104HalfELi2ELi1ELi1EEEJNS0_4Log2IfEEEEEvT_T0_DpT1_
		.amdhsa_group_segment_fixed_size 0
		.amdhsa_private_segment_fixed_size 0
		.amdhsa_kernarg_size 3408
		.amdhsa_user_sgpr_count 2
		.amdhsa_user_sgpr_dispatch_ptr 0
		.amdhsa_user_sgpr_queue_ptr 0
		.amdhsa_user_sgpr_kernarg_segment_ptr 1
		.amdhsa_user_sgpr_dispatch_id 0
		.amdhsa_user_sgpr_kernarg_preload_length 0
		.amdhsa_user_sgpr_kernarg_preload_offset 0
		.amdhsa_user_sgpr_private_segment_size 0
		.amdhsa_wavefront_size32 1
		.amdhsa_uses_dynamic_stack 0
		.amdhsa_enable_private_segment 0
		.amdhsa_system_sgpr_workgroup_id_x 1
		.amdhsa_system_sgpr_workgroup_id_y 0
		.amdhsa_system_sgpr_workgroup_id_z 0
		.amdhsa_system_sgpr_workgroup_info 0
		.amdhsa_system_vgpr_workitem_id 0
		.amdhsa_next_free_vgpr 34
		.amdhsa_next_free_sgpr 20
		.amdhsa_named_barrier_count 0
		.amdhsa_reserve_vcc 1
		.amdhsa_float_round_mode_32 0
		.amdhsa_float_round_mode_16_64 0
		.amdhsa_float_denorm_mode_32 3
		.amdhsa_float_denorm_mode_16_64 3
		.amdhsa_fp16_overflow 0
		.amdhsa_memory_ordered 1
		.amdhsa_forward_progress 1
		.amdhsa_inst_pref_size 11
		.amdhsa_round_robin_scheduling 0
		.amdhsa_exception_fp_ieee_invalid_op 0
		.amdhsa_exception_fp_denorm_src 0
		.amdhsa_exception_fp_ieee_div_zero 0
		.amdhsa_exception_fp_ieee_overflow 0
		.amdhsa_exception_fp_ieee_underflow 0
		.amdhsa_exception_fp_ieee_inexact 0
		.amdhsa_exception_int_div_zero 0
	.end_amdhsa_kernel
	.section	.text._ZN2at6native12_GLOBAL__N_125multi_tensor_apply_kernelINS1_18TensorListMetadataILi2EEENS1_14UnaryOpFunctorIN3c104HalfELi2ELi1ELi1EEEJNS0_4Log2IfEEEEEvT_T0_DpT1_,"axG",@progbits,_ZN2at6native12_GLOBAL__N_125multi_tensor_apply_kernelINS1_18TensorListMetadataILi2EEENS1_14UnaryOpFunctorIN3c104HalfELi2ELi1ELi1EEEJNS0_4Log2IfEEEEEvT_T0_DpT1_,comdat
.Lfunc_end193:
	.size	_ZN2at6native12_GLOBAL__N_125multi_tensor_apply_kernelINS1_18TensorListMetadataILi2EEENS1_14UnaryOpFunctorIN3c104HalfELi2ELi1ELi1EEEJNS0_4Log2IfEEEEEvT_T0_DpT1_, .Lfunc_end193-_ZN2at6native12_GLOBAL__N_125multi_tensor_apply_kernelINS1_18TensorListMetadataILi2EEENS1_14UnaryOpFunctorIN3c104HalfELi2ELi1ELi1EEEJNS0_4Log2IfEEEEEvT_T0_DpT1_
                                        ; -- End function
	.set _ZN2at6native12_GLOBAL__N_125multi_tensor_apply_kernelINS1_18TensorListMetadataILi2EEENS1_14UnaryOpFunctorIN3c104HalfELi2ELi1ELi1EEEJNS0_4Log2IfEEEEEvT_T0_DpT1_.num_vgpr, 34
	.set _ZN2at6native12_GLOBAL__N_125multi_tensor_apply_kernelINS1_18TensorListMetadataILi2EEENS1_14UnaryOpFunctorIN3c104HalfELi2ELi1ELi1EEEJNS0_4Log2IfEEEEEvT_T0_DpT1_.num_agpr, 0
	.set _ZN2at6native12_GLOBAL__N_125multi_tensor_apply_kernelINS1_18TensorListMetadataILi2EEENS1_14UnaryOpFunctorIN3c104HalfELi2ELi1ELi1EEEJNS0_4Log2IfEEEEEvT_T0_DpT1_.numbered_sgpr, 20
	.set _ZN2at6native12_GLOBAL__N_125multi_tensor_apply_kernelINS1_18TensorListMetadataILi2EEENS1_14UnaryOpFunctorIN3c104HalfELi2ELi1ELi1EEEJNS0_4Log2IfEEEEEvT_T0_DpT1_.num_named_barrier, 0
	.set _ZN2at6native12_GLOBAL__N_125multi_tensor_apply_kernelINS1_18TensorListMetadataILi2EEENS1_14UnaryOpFunctorIN3c104HalfELi2ELi1ELi1EEEJNS0_4Log2IfEEEEEvT_T0_DpT1_.private_seg_size, 0
	.set _ZN2at6native12_GLOBAL__N_125multi_tensor_apply_kernelINS1_18TensorListMetadataILi2EEENS1_14UnaryOpFunctorIN3c104HalfELi2ELi1ELi1EEEJNS0_4Log2IfEEEEEvT_T0_DpT1_.uses_vcc, 1
	.set _ZN2at6native12_GLOBAL__N_125multi_tensor_apply_kernelINS1_18TensorListMetadataILi2EEENS1_14UnaryOpFunctorIN3c104HalfELi2ELi1ELi1EEEJNS0_4Log2IfEEEEEvT_T0_DpT1_.uses_flat_scratch, 0
	.set _ZN2at6native12_GLOBAL__N_125multi_tensor_apply_kernelINS1_18TensorListMetadataILi2EEENS1_14UnaryOpFunctorIN3c104HalfELi2ELi1ELi1EEEJNS0_4Log2IfEEEEEvT_T0_DpT1_.has_dyn_sized_stack, 0
	.set _ZN2at6native12_GLOBAL__N_125multi_tensor_apply_kernelINS1_18TensorListMetadataILi2EEENS1_14UnaryOpFunctorIN3c104HalfELi2ELi1ELi1EEEJNS0_4Log2IfEEEEEvT_T0_DpT1_.has_recursion, 0
	.set _ZN2at6native12_GLOBAL__N_125multi_tensor_apply_kernelINS1_18TensorListMetadataILi2EEENS1_14UnaryOpFunctorIN3c104HalfELi2ELi1ELi1EEEJNS0_4Log2IfEEEEEvT_T0_DpT1_.has_indirect_call, 0
	.section	.AMDGPU.csdata,"",@progbits
; Kernel info:
; codeLenInByte = 1360
; TotalNumSgprs: 22
; NumVgprs: 34
; ScratchSize: 0
; MemoryBound: 0
; FloatMode: 240
; IeeeMode: 1
; LDSByteSize: 0 bytes/workgroup (compile time only)
; SGPRBlocks: 0
; VGPRBlocks: 2
; NumSGPRsForWavesPerEU: 22
; NumVGPRsForWavesPerEU: 34
; NamedBarCnt: 0
; Occupancy: 16
; WaveLimiterHint : 0
; COMPUTE_PGM_RSRC2:SCRATCH_EN: 0
; COMPUTE_PGM_RSRC2:USER_SGPR: 2
; COMPUTE_PGM_RSRC2:TRAP_HANDLER: 0
; COMPUTE_PGM_RSRC2:TGID_X_EN: 1
; COMPUTE_PGM_RSRC2:TGID_Y_EN: 0
; COMPUTE_PGM_RSRC2:TGID_Z_EN: 0
; COMPUTE_PGM_RSRC2:TIDIG_COMP_CNT: 0
	.section	.text._ZN2at6native12_GLOBAL__N_125multi_tensor_apply_kernelINS1_18TensorListMetadataILi2EEENS1_14UnaryOpFunctorIN3c108BFloat16ELi2ELi1ELi1EEEJNS0_4Log2IfEEEEEvT_T0_DpT1_,"axG",@progbits,_ZN2at6native12_GLOBAL__N_125multi_tensor_apply_kernelINS1_18TensorListMetadataILi2EEENS1_14UnaryOpFunctorIN3c108BFloat16ELi2ELi1ELi1EEEJNS0_4Log2IfEEEEEvT_T0_DpT1_,comdat
	.globl	_ZN2at6native12_GLOBAL__N_125multi_tensor_apply_kernelINS1_18TensorListMetadataILi2EEENS1_14UnaryOpFunctorIN3c108BFloat16ELi2ELi1ELi1EEEJNS0_4Log2IfEEEEEvT_T0_DpT1_ ; -- Begin function _ZN2at6native12_GLOBAL__N_125multi_tensor_apply_kernelINS1_18TensorListMetadataILi2EEENS1_14UnaryOpFunctorIN3c108BFloat16ELi2ELi1ELi1EEEJNS0_4Log2IfEEEEEvT_T0_DpT1_
	.p2align	8
	.type	_ZN2at6native12_GLOBAL__N_125multi_tensor_apply_kernelINS1_18TensorListMetadataILi2EEENS1_14UnaryOpFunctorIN3c108BFloat16ELi2ELi1ELi1EEEJNS0_4Log2IfEEEEEvT_T0_DpT1_,@function
_ZN2at6native12_GLOBAL__N_125multi_tensor_apply_kernelINS1_18TensorListMetadataILi2EEENS1_14UnaryOpFunctorIN3c108BFloat16ELi2ELi1ELi1EEEJNS0_4Log2IfEEEEEvT_T0_DpT1_: ; @_ZN2at6native12_GLOBAL__N_125multi_tensor_apply_kernelINS1_18TensorListMetadataILi2EEENS1_14UnaryOpFunctorIN3c108BFloat16ELi2ELi1ELi1EEEJNS0_4Log2IfEEEEEvT_T0_DpT1_
; %bb.0:
	s_bfe_u32 s2, ttmp6, 0x4000c
	s_and_b32 s3, ttmp6, 15
	s_add_co_i32 s2, s2, 1
	s_getreg_b32 s4, hwreg(HW_REG_IB_STS2, 6, 4)
	s_mul_i32 s2, ttmp9, s2
	s_delay_alu instid0(SALU_CYCLE_1)
	s_add_co_i32 s3, s3, s2
	s_cmp_eq_u32 s4, 0
	s_cselect_b32 s2, ttmp9, s3
	s_mov_b32 s3, 0
	s_load_u8 s11, s[0:1], s2 offset:0x600
	s_add_nc_u64 s[4:5], s[0:1], s[2:3]
	s_mul_u64 s[6:7], s[2:3], 3
	s_mov_b32 s15, s3
	s_add_nc_u64 s[4:5], s[4:5], s[6:7]
	s_load_b32 s10, s[4:5], 0x740
	s_wait_kmcnt 0x0
	s_clause 0x2
	s_load_b64 s[6:7], s[0:1], s11 offset:0x0 scale_offset
	s_load_b64 s[8:9], s[0:1], s11 offset:0x200 scale_offset
	;; [unrolled: 1-line block ×3, first 2 shown]
	s_wait_xcnt 0x0
	s_ashr_i32 s11, s10, 31
	s_delay_alu instid0(SALU_CYCLE_1)
	s_lshl_b64 s[4:5], s[10:11], 17
	s_wait_kmcnt 0x0
	s_and_b64 s[18:19], s[8:9], 7
	s_add_nc_u64 s[16:17], s[6:7], s[4:5]
	s_and_b32 s14, s12, 3
	s_and_b32 s2, s16, 7
	s_or_b64 s[14:15], s[18:19], s[14:15]
	s_lshl_b64 s[10:11], s[10:11], 16
	s_or_b64 s[2:3], s[14:15], s[2:3]
	s_sub_nc_u64 s[10:11], s[12:13], s[10:11]
	s_cmp_eq_u64 s[2:3], 0
	s_mov_b32 s2, -1
	s_cbranch_scc0 .LBB194_5
; %bb.1:
	v_min_i64 v[2:3], 0x10000, s[10:11]
	v_dual_mov_b32 v5, 0 :: v_dual_lshlrev_b32 v4, 2, v0
	s_mov_b32 s16, exec_lo
	s_delay_alu instid0(VALU_DEP_1)
	v_cmpx_lt_i64_e64 v[4:5], v[2:3]
	s_cbranch_execz .LBB194_4
; %bb.2:
	s_load_b32 s2, s[0:1], 0xc5c
	v_dual_mov_b32 v1, v5 :: v_dual_lshlrev_b32 v4, 3, v0
	s_mov_b32 s13, 0
	s_delay_alu instid0(SALU_CYCLE_1) | instskip(NEXT) | instid1(VALU_DEP_1)
	s_mov_b32 s15, s13
	v_add_nc_u64_e32 v[4:5], s[4:5], v[4:5]
	s_delay_alu instid0(VALU_DEP_2) | instskip(SKIP_3) | instid1(SALU_CYCLE_1)
	v_mov_b64_e32 v[6:7], v[0:1]
	s_mov_b32 s17, s13
	s_wait_kmcnt 0x0
	s_and_b32 s12, s2, 0xffff
	s_lshl_b32 s14, s12, 3
.LBB194_3:                              ; =>This Inner Loop Header: Depth=1
	s_delay_alu instid0(VALU_DEP_2) | instskip(NEXT) | instid1(VALU_DEP_2)
	v_add_nc_u64_e32 v[8:9], s[6:7], v[4:5]
	v_add_nc_u64_e32 v[6:7], s[12:13], v[6:7]
	global_load_b64 v[8:9], v[8:9], off
	v_lshlrev_b64_e32 v[10:11], 2, v[6:7]
	s_wait_loadcnt 0x0
	v_lshlrev_b32_e32 v1, 16, v8
	v_and_b32_e32 v12, 0xffff0000, v8
	s_wait_xcnt 0x0
	v_alignbit_b32 v8, v9, v8, 16
	v_and_b32_e32 v9, 0xffff0000, v9
	s_delay_alu instid0(VALU_DEP_3) | instskip(NEXT) | instid1(VALU_DEP_3)
	v_cmp_gt_f32_e64 s2, 0x800000, v12
	v_and_b32_e32 v8, 0xffff0000, v8
	s_delay_alu instid0(VALU_DEP_3) | instskip(NEXT) | instid1(VALU_DEP_3)
	v_cmp_gt_f32_e64 s3, 0x800000, v9
	v_cndmask_b32_e64 v14, 0, 32, s2
	v_cndmask_b32_e64 v16, 0, 0x42000000, s2
	s_delay_alu instid0(VALU_DEP_3) | instskip(NEXT) | instid1(VALU_DEP_3)
	v_cndmask_b32_e64 v15, 0, 32, s3
	v_ldexp_f32 v12, v12, v14
	s_delay_alu instid0(VALU_DEP_2) | instskip(SKIP_1) | instid1(VALU_DEP_3)
	v_ldexp_f32 v9, v9, v15
	v_cndmask_b32_e64 v15, 0, 0x42000000, s3
	v_log_f32_e32 v12, v12
	s_delay_alu instid0(VALU_DEP_2) | instskip(SKIP_1) | instid1(TRANS32_DEP_1)
	v_log_f32_e32 v9, v9
	v_nop
	v_dual_sub_f32 v12, v12, v16 :: v_dual_sub_f32 v9, v9, v15
	v_cmp_gt_f32_e32 vcc_lo, 0x800000, v1
	s_delay_alu instid0(VALU_DEP_2) | instskip(SKIP_1) | instid1(VALU_DEP_2)
	v_bfe_u32 v15, v9, 16, 1
	v_cndmask_b32_e64 v13, 0, 32, vcc_lo
	v_add3_u32 v15, v9, v15, 0x7fff
	s_delay_alu instid0(VALU_DEP_2) | instskip(SKIP_2) | instid1(VALU_DEP_4)
	v_ldexp_f32 v1, v1, v13
	v_cndmask_b32_e64 v13, 0, 0x42000000, vcc_lo
	v_cmp_gt_f32_e32 vcc_lo, 0x800000, v8
	v_and_b32_e32 v15, 0xffff0000, v15
	s_delay_alu instid0(VALU_DEP_4) | instskip(SKIP_1) | instid1(VALU_DEP_1)
	v_log_f32_e32 v1, v1
	v_cndmask_b32_e64 v14, 0, 32, vcc_lo
	v_ldexp_f32 v8, v8, v14
	s_delay_alu instid0(TRANS32_DEP_1) | instskip(SKIP_2) | instid1(VALU_DEP_4)
	v_sub_f32_e32 v1, v1, v13
	v_cndmask_b32_e64 v14, 0, 0x42000000, vcc_lo
	v_cmp_o_f32_e32 vcc_lo, v12, v12
	v_log_f32_e32 v8, v8
	s_delay_alu instid0(VALU_DEP_3) | instskip(SKIP_1) | instid1(VALU_DEP_2)
	v_bfe_u32 v13, v1, 16, 1
	v_cmp_o_f32_e64 s2, v1, v1
	v_add3_u32 v13, v1, v13, 0x7fff
	s_delay_alu instid0(TRANS32_DEP_1) | instskip(SKIP_1) | instid1(VALU_DEP_3)
	v_sub_f32_e32 v8, v8, v14
	v_bfe_u32 v14, v12, 16, 1
	v_lshrrev_b32_e32 v13, 16, v13
	s_delay_alu instid0(VALU_DEP_3) | instskip(NEXT) | instid1(VALU_DEP_3)
	v_bfe_u32 v16, v8, 16, 1
	v_add3_u32 v14, v12, v14, 0x7fff
	s_delay_alu instid0(VALU_DEP_3) | instskip(NEXT) | instid1(VALU_DEP_3)
	v_cndmask_b32_e64 v13, 0x7fc0, v13, s2
	v_add3_u32 v16, v8, v16, 0x7fff
	s_delay_alu instid0(VALU_DEP_3) | instskip(NEXT) | instid1(VALU_DEP_1)
	v_and_b32_e32 v14, 0xffff0000, v14
	v_dual_cndmask_b32 v12, 0x7fc00000, v14 :: v_dual_lshrrev_b32 v1, 16, v16
	v_cmp_o_f32_e32 vcc_lo, v9, v9
	s_delay_alu instid0(VALU_DEP_2)
	v_or_b32_e32 v12, v13, v12
	v_cndmask_b32_e32 v14, 0x7fc00000, v15, vcc_lo
	v_cmp_o_f32_e32 vcc_lo, v8, v8
	v_add_nc_u64_e32 v[8:9], s[8:9], v[4:5]
	v_add_nc_u64_e32 v[4:5], s[14:15], v[4:5]
	v_cndmask_b32_e32 v1, 0x7fc0, v1, vcc_lo
	v_cmp_ge_i64_e32 vcc_lo, v[10:11], v[2:3]
	v_or3_b32 v10, v12, 0, 0
	s_delay_alu instid0(VALU_DEP_3)
	v_or3_b32 v11, 0, v1, v14
	s_or_b32 s17, vcc_lo, s17
	global_store_b64 v[8:9], v[10:11], off
	s_wait_xcnt 0x0
	s_and_not1_b32 exec_lo, exec_lo, s17
	s_cbranch_execnz .LBB194_3
.LBB194_4:
	s_or_b32 exec_lo, exec_lo, s16
	s_mov_b32 s2, 0
.LBB194_5:
	s_delay_alu instid0(SALU_CYCLE_1)
	s_and_not1_b32 vcc_lo, exec_lo, s2
	s_cbranch_vccnz .LBB194_25
; %bb.6:
	v_cmp_lt_i64_e64 s2, s[10:11], 1
	s_and_b32 vcc_lo, exec_lo, s2
	s_cbranch_vccnz .LBB194_25
; %bb.7:
	s_load_b32 s0, s[0:1], 0xc5c
	v_min_i64 v[2:3], 0x10000, s[10:11]
	v_min_u64 v[4:5], 0x10000, s[10:11]
	v_dual_mov_b32 v1, 0 :: v_dual_lshlrev_b32 v10, 1, v0
	s_wait_xcnt 0x0
	s_mov_b32 s1, 0
	s_delay_alu instid0(SALU_CYCLE_1) | instskip(NEXT) | instid1(VALU_DEP_1)
	s_mov_b32 s11, s1
	v_dual_mov_b32 v11, v1 :: v_dual_mov_b32 v27, v1
	s_mov_b32 s3, s1
	s_mov_b32 s13, s1
	s_delay_alu instid0(VALU_DEP_1) | instskip(SKIP_2) | instid1(SALU_CYCLE_1)
	v_add_nc_u64_e32 v[6:7], s[6:7], v[10:11]
	s_wait_kmcnt 0x0
	s_and_b32 s0, s0, 0xffff
	v_add_nc_u64_e32 v[8:9], s[0:1], v[0:1]
	v_mad_nc_u64_u32 v[22:23], s0, 6, v[10:11]
	s_lshl_b32 s10, s0, 2
	s_mul_i32 s12, s0, 3
	v_add_nc_u64_e32 v[18:19], s[10:11], v[10:11]
	s_lshl_b32 s2, s0, 1
	v_add_nc_u64_e32 v[10:11], s[8:9], v[10:11]
	v_lshlrev_b32_e32 v26, 1, v8
	v_add_nc_u64_e32 v[12:13], s[12:13], v[0:1]
	v_add_nc_u64_e32 v[14:15], s[2:3], v[0:1]
	;; [unrolled: 1-line block ×8, first 2 shown]
	s_lshl_b32 s6, s0, 3
	s_mov_b32 s7, s1
	s_mov_b64 s[8:9], 0
	s_branch .LBB194_9
.LBB194_8:                              ;   in Loop: Header=BB194_9 Depth=1
	s_wait_xcnt 0x0
	s_or_b32 exec_lo, exec_lo, s0
	s_add_nc_u64 s[8:9], s[8:9], s[10:11]
	v_add_nc_u64_e32 v[6:7], s[6:7], v[6:7]
	v_cmp_ge_i64_e32 vcc_lo, s[8:9], v[2:3]
	v_add_nc_u64_e32 v[10:11], s[6:7], v[10:11]
	v_add_nc_u64_e32 v[20:21], s[6:7], v[20:21]
	;; [unrolled: 1-line block ×7, first 2 shown]
	s_cbranch_vccnz .LBB194_25
.LBB194_9:                              ; =>This Inner Loop Header: Depth=1
	v_add_nc_u64_e32 v[28:29], s[8:9], v[0:1]
	v_mov_b32_e32 v31, 0
	s_delay_alu instid0(VALU_DEP_2)
	v_cmp_lt_u64_e64 s2, v[28:29], v[4:5]
	s_and_saveexec_b32 s0, s2
	s_cbranch_execz .LBB194_11
; %bb.10:                               ;   in Loop: Header=BB194_9 Depth=1
	v_add_nc_u64_e32 v[28:29], s[4:5], v[6:7]
	global_load_u16 v28, v[28:29], off
	s_wait_loadcnt 0x0
	v_lshlrev_b32_e32 v31, 16, v28
.LBB194_11:                             ;   in Loop: Header=BB194_9 Depth=1
	s_wait_xcnt 0x0
	s_or_b32 exec_lo, exec_lo, s0
	v_add_nc_u64_e32 v[28:29], s[8:9], v[8:9]
	v_mov_b32_e32 v30, 0
	s_delay_alu instid0(VALU_DEP_2)
	v_cmp_lt_u64_e64 s1, v[28:29], v[4:5]
	v_mov_b32_e32 v28, 0
	s_and_saveexec_b32 s0, s1
	s_cbranch_execz .LBB194_13
; %bb.12:                               ;   in Loop: Header=BB194_9 Depth=1
	v_add_nc_u64_e32 v[32:33], s[4:5], v[24:25]
	global_load_u16 v29, v[32:33], off
	s_wait_loadcnt 0x0
	v_lshlrev_b32_e32 v30, 16, v29
.LBB194_13:                             ;   in Loop: Header=BB194_9 Depth=1
	s_wait_xcnt 0x0
	s_or_b32 exec_lo, exec_lo, s0
	v_add_nc_u64_e32 v[32:33], s[8:9], v[14:15]
	s_delay_alu instid0(VALU_DEP_1)
	v_cmp_lt_u64_e64 s0, v[32:33], v[4:5]
	s_and_saveexec_b32 s3, s0
	s_cbranch_execz .LBB194_15
; %bb.14:                               ;   in Loop: Header=BB194_9 Depth=1
	v_add_nc_u64_e32 v[28:29], s[4:5], v[16:17]
	global_load_u16 v28, v[28:29], off
	s_wait_loadcnt 0x0
	v_lshlrev_b32_e32 v28, 16, v28
.LBB194_15:                             ;   in Loop: Header=BB194_9 Depth=1
	s_or_b32 exec_lo, exec_lo, s3
	v_add_nc_u64_e32 v[32:33], s[8:9], v[12:13]
	v_mov_b32_e32 v29, 0
	s_delay_alu instid0(VALU_DEP_2)
	v_cmp_lt_u64_e32 vcc_lo, v[32:33], v[4:5]
	s_and_saveexec_b32 s3, vcc_lo
	s_cbranch_execnz .LBB194_20
; %bb.16:                               ;   in Loop: Header=BB194_9 Depth=1
	s_or_b32 exec_lo, exec_lo, s3
	s_and_saveexec_b32 s3, s2
	s_cbranch_execnz .LBB194_21
.LBB194_17:                             ;   in Loop: Header=BB194_9 Depth=1
	s_or_b32 exec_lo, exec_lo, s3
	s_and_saveexec_b32 s2, s1
	s_cbranch_execnz .LBB194_22
.LBB194_18:                             ;   in Loop: Header=BB194_9 Depth=1
	s_or_b32 exec_lo, exec_lo, s2
	s_and_saveexec_b32 s1, s0
	s_cbranch_execnz .LBB194_23
.LBB194_19:                             ;   in Loop: Header=BB194_9 Depth=1
	s_or_b32 exec_lo, exec_lo, s1
	s_and_saveexec_b32 s0, vcc_lo
	s_cbranch_execz .LBB194_8
	s_branch .LBB194_24
.LBB194_20:                             ;   in Loop: Header=BB194_9 Depth=1
	v_add_nc_u64_e32 v[32:33], s[4:5], v[20:21]
	global_load_u16 v29, v[32:33], off
	s_wait_loadcnt 0x0
	v_lshlrev_b32_e32 v29, 16, v29
	s_wait_xcnt 0x0
	s_or_b32 exec_lo, exec_lo, s3
	s_and_saveexec_b32 s3, s2
	s_cbranch_execz .LBB194_17
.LBB194_21:                             ;   in Loop: Header=BB194_9 Depth=1
	v_cmp_gt_f32_e64 s2, 0x800000, v31
	s_delay_alu instid0(VALU_DEP_1) | instskip(SKIP_1) | instid1(VALU_DEP_2)
	v_cndmask_b32_e64 v33, 0, 32, s2
	v_cndmask_b32_e64 v32, 0, 0x42000000, s2
	v_ldexp_f32 v31, v31, v33
	s_delay_alu instid0(VALU_DEP_1) | instskip(SKIP_1) | instid1(TRANS32_DEP_1)
	v_log_f32_e32 v31, v31
	v_nop
	v_sub_f32_e32 v31, v31, v32
	s_delay_alu instid0(VALU_DEP_1) | instskip(NEXT) | instid1(VALU_DEP_1)
	v_bfe_u32 v32, v31, 16, 1
	v_add3_u32 v32, v31, v32, 0x7fff
	s_delay_alu instid0(VALU_DEP_1) | instskip(SKIP_2) | instid1(VALU_DEP_2)
	v_lshrrev_b32_e32 v34, 16, v32
	v_cmp_o_f32_e64 s2, v31, v31
	v_add_nc_u64_e32 v[32:33], s[4:5], v[10:11]
	v_cndmask_b32_e64 v31, 0x7fc0, v34, s2
	global_store_b16 v[32:33], v31, off
	s_wait_xcnt 0x0
	s_or_b32 exec_lo, exec_lo, s3
	s_and_saveexec_b32 s2, s1
	s_cbranch_execz .LBB194_18
.LBB194_22:                             ;   in Loop: Header=BB194_9 Depth=1
	v_cmp_gt_f32_e64 s1, 0x800000, v30
	s_delay_alu instid0(VALU_DEP_1) | instskip(SKIP_1) | instid1(VALU_DEP_2)
	v_cndmask_b32_e64 v32, 0, 32, s1
	v_cndmask_b32_e64 v31, 0, 0x42000000, s1
	v_ldexp_f32 v30, v30, v32
	s_delay_alu instid0(VALU_DEP_1) | instskip(SKIP_1) | instid1(TRANS32_DEP_1)
	v_log_f32_e32 v30, v30
	v_nop
	v_sub_f32_e32 v32, v30, v31
	s_delay_alu instid0(VALU_DEP_1) | instskip(NEXT) | instid1(VALU_DEP_1)
	v_bfe_u32 v30, v32, 16, 1
	v_add3_u32 v30, v32, v30, 0x7fff
	s_delay_alu instid0(VALU_DEP_1) | instskip(SKIP_2) | instid1(VALU_DEP_2)
	v_lshrrev_b32_e32 v33, 16, v30
	v_cmp_o_f32_e64 s1, v32, v32
	v_add_nc_u64_e32 v[30:31], s[4:5], v[26:27]
	v_cndmask_b32_e64 v32, 0x7fc0, v33, s1
	global_store_b16 v[30:31], v32, off
	s_wait_xcnt 0x0
	s_or_b32 exec_lo, exec_lo, s2
	s_and_saveexec_b32 s1, s0
	s_cbranch_execz .LBB194_19
.LBB194_23:                             ;   in Loop: Header=BB194_9 Depth=1
	v_cmp_gt_f32_e64 s0, 0x800000, v28
	s_delay_alu instid0(VALU_DEP_1) | instskip(SKIP_1) | instid1(VALU_DEP_2)
	v_cndmask_b32_e64 v31, 0, 32, s0
	v_cndmask_b32_e64 v30, 0, 0x42000000, s0
	v_ldexp_f32 v28, v28, v31
	s_delay_alu instid0(VALU_DEP_1) | instskip(SKIP_1) | instid1(TRANS32_DEP_1)
	v_log_f32_e32 v28, v28
	v_nop
	v_sub_f32_e32 v28, v28, v30
	s_delay_alu instid0(VALU_DEP_1) | instskip(NEXT) | instid1(VALU_DEP_1)
	v_bfe_u32 v30, v28, 16, 1
	v_add3_u32 v30, v28, v30, 0x7fff
	s_delay_alu instid0(VALU_DEP_1) | instskip(SKIP_2) | instid1(VALU_DEP_2)
	v_lshrrev_b32_e32 v32, 16, v30
	v_cmp_o_f32_e64 s0, v28, v28
	v_add_nc_u64_e32 v[30:31], s[4:5], v[18:19]
	v_cndmask_b32_e64 v28, 0x7fc0, v32, s0
	global_store_b16 v[30:31], v28, off
	s_wait_xcnt 0x0
	s_or_b32 exec_lo, exec_lo, s1
	s_and_saveexec_b32 s0, vcc_lo
	s_cbranch_execz .LBB194_8
.LBB194_24:                             ;   in Loop: Header=BB194_9 Depth=1
	v_cmp_gt_f32_e32 vcc_lo, 0x800000, v29
	v_cndmask_b32_e64 v30, 0, 32, vcc_lo
	v_cndmask_b32_e64 v28, 0, 0x42000000, vcc_lo
	s_delay_alu instid0(VALU_DEP_2) | instskip(NEXT) | instid1(VALU_DEP_1)
	v_ldexp_f32 v29, v29, v30
	v_log_f32_e32 v29, v29
	v_nop
	s_delay_alu instid0(TRANS32_DEP_1) | instskip(NEXT) | instid1(VALU_DEP_1)
	v_sub_f32_e32 v30, v29, v28
	v_bfe_u32 v28, v30, 16, 1
	s_delay_alu instid0(VALU_DEP_1) | instskip(NEXT) | instid1(VALU_DEP_1)
	v_add3_u32 v28, v30, v28, 0x7fff
	v_lshrrev_b32_e32 v31, 16, v28
	v_cmp_o_f32_e32 vcc_lo, v30, v30
	v_add_nc_u64_e32 v[28:29], s[4:5], v[22:23]
	s_delay_alu instid0(VALU_DEP_3)
	v_cndmask_b32_e32 v30, 0x7fc0, v31, vcc_lo
	global_store_b16 v[28:29], v30, off
	s_branch .LBB194_8
.LBB194_25:
	s_endpgm
	.section	.rodata,"a",@progbits
	.p2align	6, 0x0
	.amdhsa_kernel _ZN2at6native12_GLOBAL__N_125multi_tensor_apply_kernelINS1_18TensorListMetadataILi2EEENS1_14UnaryOpFunctorIN3c108BFloat16ELi2ELi1ELi1EEEJNS0_4Log2IfEEEEEvT_T0_DpT1_
		.amdhsa_group_segment_fixed_size 0
		.amdhsa_private_segment_fixed_size 0
		.amdhsa_kernarg_size 3408
		.amdhsa_user_sgpr_count 2
		.amdhsa_user_sgpr_dispatch_ptr 0
		.amdhsa_user_sgpr_queue_ptr 0
		.amdhsa_user_sgpr_kernarg_segment_ptr 1
		.amdhsa_user_sgpr_dispatch_id 0
		.amdhsa_user_sgpr_kernarg_preload_length 0
		.amdhsa_user_sgpr_kernarg_preload_offset 0
		.amdhsa_user_sgpr_private_segment_size 0
		.amdhsa_wavefront_size32 1
		.amdhsa_uses_dynamic_stack 0
		.amdhsa_enable_private_segment 0
		.amdhsa_system_sgpr_workgroup_id_x 1
		.amdhsa_system_sgpr_workgroup_id_y 0
		.amdhsa_system_sgpr_workgroup_id_z 0
		.amdhsa_system_sgpr_workgroup_info 0
		.amdhsa_system_vgpr_workitem_id 0
		.amdhsa_next_free_vgpr 35
		.amdhsa_next_free_sgpr 20
		.amdhsa_named_barrier_count 0
		.amdhsa_reserve_vcc 1
		.amdhsa_float_round_mode_32 0
		.amdhsa_float_round_mode_16_64 0
		.amdhsa_float_denorm_mode_32 3
		.amdhsa_float_denorm_mode_16_64 3
		.amdhsa_fp16_overflow 0
		.amdhsa_memory_ordered 1
		.amdhsa_forward_progress 1
		.amdhsa_inst_pref_size 16
		.amdhsa_round_robin_scheduling 0
		.amdhsa_exception_fp_ieee_invalid_op 0
		.amdhsa_exception_fp_denorm_src 0
		.amdhsa_exception_fp_ieee_div_zero 0
		.amdhsa_exception_fp_ieee_overflow 0
		.amdhsa_exception_fp_ieee_underflow 0
		.amdhsa_exception_fp_ieee_inexact 0
		.amdhsa_exception_int_div_zero 0
	.end_amdhsa_kernel
	.section	.text._ZN2at6native12_GLOBAL__N_125multi_tensor_apply_kernelINS1_18TensorListMetadataILi2EEENS1_14UnaryOpFunctorIN3c108BFloat16ELi2ELi1ELi1EEEJNS0_4Log2IfEEEEEvT_T0_DpT1_,"axG",@progbits,_ZN2at6native12_GLOBAL__N_125multi_tensor_apply_kernelINS1_18TensorListMetadataILi2EEENS1_14UnaryOpFunctorIN3c108BFloat16ELi2ELi1ELi1EEEJNS0_4Log2IfEEEEEvT_T0_DpT1_,comdat
.Lfunc_end194:
	.size	_ZN2at6native12_GLOBAL__N_125multi_tensor_apply_kernelINS1_18TensorListMetadataILi2EEENS1_14UnaryOpFunctorIN3c108BFloat16ELi2ELi1ELi1EEEJNS0_4Log2IfEEEEEvT_T0_DpT1_, .Lfunc_end194-_ZN2at6native12_GLOBAL__N_125multi_tensor_apply_kernelINS1_18TensorListMetadataILi2EEENS1_14UnaryOpFunctorIN3c108BFloat16ELi2ELi1ELi1EEEJNS0_4Log2IfEEEEEvT_T0_DpT1_
                                        ; -- End function
	.set _ZN2at6native12_GLOBAL__N_125multi_tensor_apply_kernelINS1_18TensorListMetadataILi2EEENS1_14UnaryOpFunctorIN3c108BFloat16ELi2ELi1ELi1EEEJNS0_4Log2IfEEEEEvT_T0_DpT1_.num_vgpr, 35
	.set _ZN2at6native12_GLOBAL__N_125multi_tensor_apply_kernelINS1_18TensorListMetadataILi2EEENS1_14UnaryOpFunctorIN3c108BFloat16ELi2ELi1ELi1EEEJNS0_4Log2IfEEEEEvT_T0_DpT1_.num_agpr, 0
	.set _ZN2at6native12_GLOBAL__N_125multi_tensor_apply_kernelINS1_18TensorListMetadataILi2EEENS1_14UnaryOpFunctorIN3c108BFloat16ELi2ELi1ELi1EEEJNS0_4Log2IfEEEEEvT_T0_DpT1_.numbered_sgpr, 20
	.set _ZN2at6native12_GLOBAL__N_125multi_tensor_apply_kernelINS1_18TensorListMetadataILi2EEENS1_14UnaryOpFunctorIN3c108BFloat16ELi2ELi1ELi1EEEJNS0_4Log2IfEEEEEvT_T0_DpT1_.num_named_barrier, 0
	.set _ZN2at6native12_GLOBAL__N_125multi_tensor_apply_kernelINS1_18TensorListMetadataILi2EEENS1_14UnaryOpFunctorIN3c108BFloat16ELi2ELi1ELi1EEEJNS0_4Log2IfEEEEEvT_T0_DpT1_.private_seg_size, 0
	.set _ZN2at6native12_GLOBAL__N_125multi_tensor_apply_kernelINS1_18TensorListMetadataILi2EEENS1_14UnaryOpFunctorIN3c108BFloat16ELi2ELi1ELi1EEEJNS0_4Log2IfEEEEEvT_T0_DpT1_.uses_vcc, 1
	.set _ZN2at6native12_GLOBAL__N_125multi_tensor_apply_kernelINS1_18TensorListMetadataILi2EEENS1_14UnaryOpFunctorIN3c108BFloat16ELi2ELi1ELi1EEEJNS0_4Log2IfEEEEEvT_T0_DpT1_.uses_flat_scratch, 0
	.set _ZN2at6native12_GLOBAL__N_125multi_tensor_apply_kernelINS1_18TensorListMetadataILi2EEENS1_14UnaryOpFunctorIN3c108BFloat16ELi2ELi1ELi1EEEJNS0_4Log2IfEEEEEvT_T0_DpT1_.has_dyn_sized_stack, 0
	.set _ZN2at6native12_GLOBAL__N_125multi_tensor_apply_kernelINS1_18TensorListMetadataILi2EEENS1_14UnaryOpFunctorIN3c108BFloat16ELi2ELi1ELi1EEEJNS0_4Log2IfEEEEEvT_T0_DpT1_.has_recursion, 0
	.set _ZN2at6native12_GLOBAL__N_125multi_tensor_apply_kernelINS1_18TensorListMetadataILi2EEENS1_14UnaryOpFunctorIN3c108BFloat16ELi2ELi1ELi1EEEJNS0_4Log2IfEEEEEvT_T0_DpT1_.has_indirect_call, 0
	.section	.AMDGPU.csdata,"",@progbits
; Kernel info:
; codeLenInByte = 1932
; TotalNumSgprs: 22
; NumVgprs: 35
; ScratchSize: 0
; MemoryBound: 0
; FloatMode: 240
; IeeeMode: 1
; LDSByteSize: 0 bytes/workgroup (compile time only)
; SGPRBlocks: 0
; VGPRBlocks: 2
; NumSGPRsForWavesPerEU: 22
; NumVGPRsForWavesPerEU: 35
; NamedBarCnt: 0
; Occupancy: 16
; WaveLimiterHint : 0
; COMPUTE_PGM_RSRC2:SCRATCH_EN: 0
; COMPUTE_PGM_RSRC2:USER_SGPR: 2
; COMPUTE_PGM_RSRC2:TRAP_HANDLER: 0
; COMPUTE_PGM_RSRC2:TGID_X_EN: 1
; COMPUTE_PGM_RSRC2:TGID_Y_EN: 0
; COMPUTE_PGM_RSRC2:TGID_Z_EN: 0
; COMPUTE_PGM_RSRC2:TIDIG_COMP_CNT: 0
	.section	.text._ZN2at6native12_GLOBAL__N_125multi_tensor_apply_kernelINS1_18TensorListMetadataILi1EEENS1_14UnaryOpFunctorIdLi1ELi1ELi0EEEJNS0_4Log2IdEEEEEvT_T0_DpT1_,"axG",@progbits,_ZN2at6native12_GLOBAL__N_125multi_tensor_apply_kernelINS1_18TensorListMetadataILi1EEENS1_14UnaryOpFunctorIdLi1ELi1ELi0EEEJNS0_4Log2IdEEEEEvT_T0_DpT1_,comdat
	.globl	_ZN2at6native12_GLOBAL__N_125multi_tensor_apply_kernelINS1_18TensorListMetadataILi1EEENS1_14UnaryOpFunctorIdLi1ELi1ELi0EEEJNS0_4Log2IdEEEEEvT_T0_DpT1_ ; -- Begin function _ZN2at6native12_GLOBAL__N_125multi_tensor_apply_kernelINS1_18TensorListMetadataILi1EEENS1_14UnaryOpFunctorIdLi1ELi1ELi0EEEJNS0_4Log2IdEEEEEvT_T0_DpT1_
	.p2align	8
	.type	_ZN2at6native12_GLOBAL__N_125multi_tensor_apply_kernelINS1_18TensorListMetadataILi1EEENS1_14UnaryOpFunctorIdLi1ELi1ELi0EEEJNS0_4Log2IdEEEEEvT_T0_DpT1_,@function
_ZN2at6native12_GLOBAL__N_125multi_tensor_apply_kernelINS1_18TensorListMetadataILi1EEENS1_14UnaryOpFunctorIdLi1ELi1ELi0EEEJNS0_4Log2IdEEEEEvT_T0_DpT1_: ; @_ZN2at6native12_GLOBAL__N_125multi_tensor_apply_kernelINS1_18TensorListMetadataILi1EEENS1_14UnaryOpFunctorIdLi1ELi1ELi0EEEJNS0_4Log2IdEEEEEvT_T0_DpT1_
; %bb.0:
	s_bfe_u32 s2, ttmp6, 0x4000c
	s_and_b32 s3, ttmp6, 15
	s_add_co_i32 s2, s2, 1
	s_getreg_b32 s4, hwreg(HW_REG_IB_STS2, 6, 4)
	s_mul_i32 s2, ttmp9, s2
	s_delay_alu instid0(SALU_CYCLE_1)
	s_add_co_i32 s3, s3, s2
	s_cmp_eq_u32 s4, 0
	s_cselect_b32 s2, ttmp9, s3
	s_mov_b32 s3, 0
	s_load_u8 s8, s[0:1], s2 offset:0x6e0
	s_add_nc_u64 s[4:5], s[0:1], s[2:3]
	s_mul_u64 s[6:7], s[2:3], 3
	s_delay_alu instid0(SALU_CYCLE_1)
	s_add_nc_u64 s[4:5], s[4:5], s[6:7]
	s_load_b32 s10, s[4:5], 0x820
	s_wait_kmcnt 0x0
	s_clause 0x1
	s_load_b64 s[6:7], s[0:1], s8 offset:0x0 scale_offset
	s_load_b64 s[12:13], s[0:1], s8 offset:0x370 scale_offset
	s_ashr_i32 s11, s10, 31
	s_wait_kmcnt 0x0
	s_and_b64 s[4:5], s[6:7], 31
	s_and_b32 s2, s12, 3
	s_lshl_b64 s[8:9], s[10:11], 19
	s_or_b64 s[2:3], s[4:5], s[2:3]
	s_lshl_b64 s[4:5], s[10:11], 16
	s_cmp_eq_u64 s[2:3], 0
	s_sub_nc_u64 s[10:11], s[12:13], s[4:5]
	s_cbranch_scc1 .LBB195_21
; %bb.1:
	v_cmp_lt_i64_e64 s2, s[10:11], 1
	s_and_b32 vcc_lo, exec_lo, s2
	s_cbranch_vccnz .LBB195_20
; %bb.2:
	s_load_b32 s4, s[0:1], 0xd3c
	v_min_i64 v[2:3], 0x10000, s[10:11]
	v_min_u64 v[4:5], 0x10000, s[10:11]
	v_dual_mov_b32 v1, 0 :: v_dual_lshlrev_b32 v10, 3, v0
	s_mov_b32 s23, 0
	s_add_nc_u64 s[2:3], s[6:7], s[8:9]
	s_mov_b32 s5, s23
	s_delay_alu instid0(VALU_DEP_1) | instskip(SKIP_3) | instid1(VALU_DEP_2)
	v_dual_mov_b32 v11, v1 :: v_dual_mov_b32 v17, v1
	s_mov_b32 s19, s23
	v_mov_b64_e32 v[6:7], 0x3fc385386b47b09a
	s_mov_b64 s[12:13], 0x3fe5555555555555
	v_add_nc_u64_e32 v[10:11], s[2:3], v[10:11]
	s_mov_b32 s15, s23
	s_mov_b32 s17, s23
	s_mov_b64 s[24:25], 0
                                        ; implicit-def: $vgpr18_vgpr19
                                        ; implicit-def: $vgpr18_vgpr19
	;; [unrolled: 1-line block ×5, first 2 shown]
	s_wait_kmcnt 0x0
	s_and_b32 s22, s4, 0xffff
	s_delay_alu instid0(SALU_CYCLE_1)
	v_add_nc_u64_e32 v[8:9], s[22:23], v[0:1]
	s_lshl_b32 s4, s22, 1
	s_mul_i32 s18, s22, 3
	v_add_nc_u64_e32 v[14:15], s[4:5], v[0:1]
	v_add_nc_u64_e32 v[12:13], s[18:19], v[0:1]
	s_lshl_b32 s14, s22, 2
	s_lshl_b32 s16, s22, 5
	v_lshlrev_b32_e32 v16, 3, v8
	s_mov_b64 s[18:19], 0x3ff71547652b82fe
	s_mul_u64 s[20:21], s[22:23], 24
	s_lshl_b32 s22, s22, 4
	s_delay_alu instid0(VALU_DEP_1)
	v_add_nc_u64_e32 v[16:17], s[2:3], v[16:17]
	s_branch .LBB195_4
.LBB195_3:                              ;   in Loop: Header=BB195_4 Depth=1
	s_wait_xcnt 0x0
	s_or_b32 exec_lo, exec_lo, s2
	s_add_nc_u64 s[24:25], s[24:25], s[14:15]
	v_add_nc_u64_e32 v[10:11], s[16:17], v[10:11]
	v_cmp_lt_i64_e32 vcc_lo, s[24:25], v[2:3]
	v_add_nc_u64_e32 v[16:17], s[16:17], v[16:17]
	s_cbranch_vccz .LBB195_20
.LBB195_4:                              ; =>This Inner Loop Header: Depth=1
	s_wait_loadcnt 0x0
	v_add_nc_u64_e32 v[18:19], s[24:25], v[0:1]
	v_mov_b64_e32 v[26:27], 0
	v_mov_b64_e32 v[28:29], 0
	s_delay_alu instid0(VALU_DEP_3)
	v_cmp_lt_u64_e64 s4, v[18:19], v[4:5]
	s_and_saveexec_b32 s2, s4
	s_cbranch_execz .LBB195_6
; %bb.5:                                ;   in Loop: Header=BB195_4 Depth=1
	global_load_b64 v[28:29], v[10:11], off
.LBB195_6:                              ;   in Loop: Header=BB195_4 Depth=1
	s_wait_xcnt 0x0
	s_or_b32 exec_lo, exec_lo, s2
	v_add_nc_u64_e32 v[18:19], s[24:25], v[8:9]
	s_delay_alu instid0(VALU_DEP_1)
	v_cmp_lt_u64_e64 s3, v[18:19], v[4:5]
	s_and_saveexec_b32 s2, s3
	s_cbranch_execz .LBB195_8
; %bb.7:                                ;   in Loop: Header=BB195_4 Depth=1
	global_load_b64 v[26:27], v[16:17], off
.LBB195_8:                              ;   in Loop: Header=BB195_4 Depth=1
	s_wait_xcnt 0x0
	s_or_b32 exec_lo, exec_lo, s2
	v_add_nc_u64_e32 v[20:21], s[24:25], v[14:15]
	v_mov_b64_e32 v[18:19], 0
	v_add_nc_u64_e32 v[22:23], s[22:23], v[10:11]
	v_mov_b64_e32 v[24:25], 0
	s_delay_alu instid0(VALU_DEP_4)
	v_cmp_lt_u64_e64 s2, v[20:21], v[4:5]
	s_and_saveexec_b32 s5, s2
	s_cbranch_execz .LBB195_10
; %bb.9:                                ;   in Loop: Header=BB195_4 Depth=1
	global_load_b64 v[24:25], v[22:23], off
.LBB195_10:                             ;   in Loop: Header=BB195_4 Depth=1
	s_wait_xcnt 0x0
	s_or_b32 exec_lo, exec_lo, s5
	v_add_nc_u64_e32 v[20:21], s[24:25], v[12:13]
	s_delay_alu instid0(VALU_DEP_1)
	v_cmp_lt_u64_e32 vcc_lo, v[20:21], v[4:5]
	v_add_nc_u64_e32 v[20:21], s[20:21], v[10:11]
	s_and_saveexec_b32 s5, vcc_lo
	s_cbranch_execnz .LBB195_15
; %bb.11:                               ;   in Loop: Header=BB195_4 Depth=1
	s_or_b32 exec_lo, exec_lo, s5
	s_and_saveexec_b32 s5, s4
	s_cbranch_execnz .LBB195_16
.LBB195_12:                             ;   in Loop: Header=BB195_4 Depth=1
	s_or_b32 exec_lo, exec_lo, s5
	s_and_saveexec_b32 s4, s3
	s_cbranch_execnz .LBB195_17
.LBB195_13:                             ;   in Loop: Header=BB195_4 Depth=1
	s_or_b32 exec_lo, exec_lo, s4
	s_and_saveexec_b32 s3, s2
	s_cbranch_execnz .LBB195_18
.LBB195_14:                             ;   in Loop: Header=BB195_4 Depth=1
	s_or_b32 exec_lo, exec_lo, s3
	s_and_saveexec_b32 s2, vcc_lo
	s_cbranch_execz .LBB195_3
	s_branch .LBB195_19
.LBB195_15:                             ;   in Loop: Header=BB195_4 Depth=1
	global_load_b64 v[18:19], v[20:21], off
	s_wait_xcnt 0x0
	s_or_b32 exec_lo, exec_lo, s5
	s_and_saveexec_b32 s5, s4
	s_cbranch_execz .LBB195_12
.LBB195_16:                             ;   in Loop: Header=BB195_4 Depth=1
	s_wait_loadcnt 0x0
	v_frexp_mant_f64_e32 v[30:31], v[28:29]
	s_delay_alu instid0(VALU_DEP_1) | instskip(NEXT) | instid1(VALU_DEP_1)
	v_cmp_gt_f64_e64 s4, s[12:13], v[30:31]
	v_cndmask_b32_e64 v32, 0, 1, s4
	s_delay_alu instid0(VALU_DEP_1) | instskip(NEXT) | instid1(VALU_DEP_1)
	v_ldexp_f64 v[30:31], v[30:31], v32
	v_add_f64_e32 v[32:33], 1.0, v[30:31]
	v_add_f64_e32 v[38:39], -1.0, v[30:31]
	s_delay_alu instid0(VALU_DEP_2) | instskip(SKIP_1) | instid1(VALU_DEP_1)
	v_rcp_f64_e32 v[34:35], v[32:33]
	v_add_f64_e32 v[40:41], -1.0, v[32:33]
	v_add_f64_e64 v[30:31], v[30:31], -v[40:41]
	s_delay_alu instid0(TRANS32_DEP_1) | instskip(NEXT) | instid1(VALU_DEP_1)
	v_fma_f64 v[36:37], -v[32:33], v[34:35], 1.0
	v_fmac_f64_e32 v[34:35], v[36:37], v[34:35]
	s_delay_alu instid0(VALU_DEP_1) | instskip(NEXT) | instid1(VALU_DEP_1)
	v_fma_f64 v[36:37], -v[32:33], v[34:35], 1.0
	v_fmac_f64_e32 v[34:35], v[36:37], v[34:35]
	s_delay_alu instid0(VALU_DEP_1) | instskip(NEXT) | instid1(VALU_DEP_1)
	v_mul_f64_e32 v[36:37], v[38:39], v[34:35]
	v_mul_f64_e32 v[42:43], v[32:33], v[36:37]
	s_delay_alu instid0(VALU_DEP_1) | instskip(NEXT) | instid1(VALU_DEP_1)
	v_fma_f64 v[32:33], v[36:37], v[32:33], -v[42:43]
	v_fmac_f64_e32 v[32:33], v[36:37], v[30:31]
	s_delay_alu instid0(VALU_DEP_1) | instskip(NEXT) | instid1(VALU_DEP_1)
	v_add_f64_e32 v[30:31], v[42:43], v[32:33]
	v_add_f64_e64 v[40:41], v[38:39], -v[30:31]
	v_add_f64_e64 v[42:43], v[30:31], -v[42:43]
	s_delay_alu instid0(VALU_DEP_2) | instskip(NEXT) | instid1(VALU_DEP_2)
	v_add_f64_e64 v[38:39], v[38:39], -v[40:41]
	v_add_f64_e64 v[32:33], v[42:43], -v[32:33]
	s_delay_alu instid0(VALU_DEP_2) | instskip(NEXT) | instid1(VALU_DEP_1)
	v_add_f64_e64 v[30:31], v[38:39], -v[30:31]
	v_add_f64_e32 v[30:31], v[32:33], v[30:31]
	s_delay_alu instid0(VALU_DEP_1) | instskip(NEXT) | instid1(VALU_DEP_1)
	v_add_f64_e32 v[30:31], v[40:41], v[30:31]
	v_mul_f64_e32 v[30:31], v[34:35], v[30:31]
	s_delay_alu instid0(VALU_DEP_1) | instskip(NEXT) | instid1(VALU_DEP_1)
	v_add_f64_e32 v[32:33], v[36:37], v[30:31]
	v_mul_f64_e32 v[34:35], v[32:33], v[32:33]
	s_delay_alu instid0(VALU_DEP_1) | instskip(SKIP_1) | instid1(VALU_DEP_2)
	v_fmamk_f64 v[38:39], v[34:35], 0x3fc3ab76bf559e2b, v[6:7]
	v_mul_f64_e32 v[40:41], v[32:33], v[34:35]
	v_fmaak_f64 v[38:39], v[34:35], v[38:39], 0x3fc7474dd7f4df2e
	s_delay_alu instid0(VALU_DEP_1) | instskip(NEXT) | instid1(VALU_DEP_1)
	v_fmaak_f64 v[38:39], v[34:35], v[38:39], 0x3fcc71c016291751
	v_fmaak_f64 v[38:39], v[34:35], v[38:39], 0x3fd249249b27acf1
	s_delay_alu instid0(VALU_DEP_1) | instskip(NEXT) | instid1(VALU_DEP_1)
	v_fmaak_f64 v[38:39], v[34:35], v[38:39], 0x3fd99999998ef7b6
	v_fmaak_f64 v[34:35], v[34:35], v[38:39], 0x3fe5555555555780
	v_ldexp_f64 v[38:39], v[32:33], 1
	v_add_f64_e64 v[32:33], v[32:33], -v[36:37]
	s_delay_alu instid0(VALU_DEP_3) | instskip(NEXT) | instid1(VALU_DEP_2)
	v_mul_f64_e32 v[34:35], v[40:41], v[34:35]
	v_add_f64_e64 v[30:31], v[30:31], -v[32:33]
	s_delay_alu instid0(VALU_DEP_2) | instskip(NEXT) | instid1(VALU_DEP_2)
	v_add_f64_e32 v[36:37], v[38:39], v[34:35]
	v_ldexp_f64 v[30:31], v[30:31], 1
	s_delay_alu instid0(VALU_DEP_2) | instskip(NEXT) | instid1(VALU_DEP_1)
	v_add_f64_e64 v[32:33], v[36:37], -v[38:39]
	v_add_f64_e64 v[32:33], v[34:35], -v[32:33]
	s_delay_alu instid0(VALU_DEP_1) | instskip(NEXT) | instid1(VALU_DEP_1)
	v_add_f64_e32 v[30:31], v[30:31], v[32:33]
	v_add_f64_e32 v[32:33], v[36:37], v[30:31]
	s_delay_alu instid0(VALU_DEP_1) | instskip(SKIP_1) | instid1(VALU_DEP_2)
	v_add_f64_e64 v[34:35], v[32:33], -v[36:37]
	v_mul_f64_e32 v[36:37], 0x3ff71547652b82fe, v[32:33]
	v_add_f64_e64 v[30:31], v[30:31], -v[34:35]
	s_delay_alu instid0(VALU_DEP_2) | instskip(NEXT) | instid1(VALU_DEP_1)
	v_fma_f64 v[34:35], v[32:33], s[18:19], -v[36:37]
	v_fmac_f64_e32 v[34:35], 0x3ff71547652b82fe, v[30:31]
	v_frexp_exp_i32_f64_e32 v30, v[28:29]
	s_delay_alu instid0(VALU_DEP_2) | instskip(NEXT) | instid1(VALU_DEP_2)
	v_fmac_f64_e32 v[34:35], 0x3c7777d0ffda0d24, v[32:33]
	v_subrev_co_ci_u32_e64 v30, null, 0, v30, s4
	v_cmp_class_f64_e64 s4, v[28:29], 0x204
	s_delay_alu instid0(VALU_DEP_2) | instskip(NEXT) | instid1(VALU_DEP_4)
	v_cvt_f64_i32_e32 v[30:31], v30
	v_add_f64_e32 v[32:33], v[36:37], v[34:35]
	s_delay_alu instid0(VALU_DEP_1) | instskip(SKIP_1) | instid1(VALU_DEP_2)
	v_add_f64_e32 v[38:39], v[32:33], v[30:31]
	v_add_f64_e64 v[36:37], v[32:33], -v[36:37]
	v_add_f64_e64 v[40:41], v[38:39], -v[30:31]
	s_delay_alu instid0(VALU_DEP_2) | instskip(NEXT) | instid1(VALU_DEP_2)
	v_add_f64_e64 v[34:35], v[34:35], -v[36:37]
	v_add_f64_e64 v[42:43], v[40:41], -v[38:39]
	;; [unrolled: 1-line block ×3, first 2 shown]
	s_delay_alu instid0(VALU_DEP_2) | instskip(NEXT) | instid1(VALU_DEP_1)
	v_add_f64_e32 v[30:31], v[42:43], v[30:31]
	v_add_f64_e32 v[30:31], v[32:33], v[30:31]
	s_delay_alu instid0(VALU_DEP_1) | instskip(NEXT) | instid1(VALU_DEP_1)
	v_add_f64_e32 v[30:31], v[34:35], v[30:31]
	v_add_f64_e32 v[30:31], v[38:39], v[30:31]
	s_delay_alu instid0(VALU_DEP_1) | instskip(SKIP_1) | instid1(VALU_DEP_1)
	v_dual_cndmask_b32 v30, v30, v28, s4 :: v_dual_cndmask_b32 v31, v31, v29, s4
	v_cmp_ngt_f64_e64 s4, 0, v[28:29]
	v_cndmask_b32_e64 v31, 0x7ff80000, v31, s4
	v_cmp_nge_f64_e64 s4, 0, v[28:29]
	s_delay_alu instid0(VALU_DEP_1) | instskip(SKIP_1) | instid1(VALU_DEP_1)
	v_cndmask_b32_e64 v30, 0, v30, s4
	v_cmp_neq_f64_e64 s4, 0, v[28:29]
	v_cndmask_b32_e64 v31, 0xfff00000, v31, s4
	global_store_b64 v[10:11], v[30:31], off
	s_wait_xcnt 0x0
	s_or_b32 exec_lo, exec_lo, s5
	s_and_saveexec_b32 s4, s3
	s_cbranch_execz .LBB195_13
.LBB195_17:                             ;   in Loop: Header=BB195_4 Depth=1
	s_wait_loadcnt 0x0
	v_frexp_mant_f64_e32 v[28:29], v[26:27]
	s_delay_alu instid0(VALU_DEP_1) | instskip(NEXT) | instid1(VALU_DEP_1)
	v_cmp_gt_f64_e64 s3, s[12:13], v[28:29]
	v_cndmask_b32_e64 v30, 0, 1, s3
	s_delay_alu instid0(VALU_DEP_1) | instskip(NEXT) | instid1(VALU_DEP_1)
	v_ldexp_f64 v[28:29], v[28:29], v30
	v_add_f64_e32 v[30:31], 1.0, v[28:29]
	v_add_f64_e32 v[36:37], -1.0, v[28:29]
	s_delay_alu instid0(VALU_DEP_2) | instskip(SKIP_1) | instid1(VALU_DEP_1)
	v_rcp_f64_e32 v[32:33], v[30:31]
	v_add_f64_e32 v[38:39], -1.0, v[30:31]
	v_add_f64_e64 v[28:29], v[28:29], -v[38:39]
	s_delay_alu instid0(TRANS32_DEP_1) | instskip(NEXT) | instid1(VALU_DEP_1)
	v_fma_f64 v[34:35], -v[30:31], v[32:33], 1.0
	v_fmac_f64_e32 v[32:33], v[34:35], v[32:33]
	s_delay_alu instid0(VALU_DEP_1) | instskip(NEXT) | instid1(VALU_DEP_1)
	v_fma_f64 v[34:35], -v[30:31], v[32:33], 1.0
	v_fmac_f64_e32 v[32:33], v[34:35], v[32:33]
	s_delay_alu instid0(VALU_DEP_1) | instskip(NEXT) | instid1(VALU_DEP_1)
	v_mul_f64_e32 v[34:35], v[36:37], v[32:33]
	v_mul_f64_e32 v[40:41], v[30:31], v[34:35]
	s_delay_alu instid0(VALU_DEP_1) | instskip(NEXT) | instid1(VALU_DEP_1)
	v_fma_f64 v[30:31], v[34:35], v[30:31], -v[40:41]
	v_fmac_f64_e32 v[30:31], v[34:35], v[28:29]
	s_delay_alu instid0(VALU_DEP_1) | instskip(NEXT) | instid1(VALU_DEP_1)
	v_add_f64_e32 v[28:29], v[40:41], v[30:31]
	v_add_f64_e64 v[38:39], v[36:37], -v[28:29]
	v_add_f64_e64 v[40:41], v[28:29], -v[40:41]
	s_delay_alu instid0(VALU_DEP_2) | instskip(NEXT) | instid1(VALU_DEP_2)
	v_add_f64_e64 v[36:37], v[36:37], -v[38:39]
	v_add_f64_e64 v[30:31], v[40:41], -v[30:31]
	s_delay_alu instid0(VALU_DEP_2) | instskip(NEXT) | instid1(VALU_DEP_1)
	v_add_f64_e64 v[28:29], v[36:37], -v[28:29]
	v_add_f64_e32 v[28:29], v[30:31], v[28:29]
	s_delay_alu instid0(VALU_DEP_1) | instskip(NEXT) | instid1(VALU_DEP_1)
	v_add_f64_e32 v[28:29], v[38:39], v[28:29]
	v_mul_f64_e32 v[28:29], v[32:33], v[28:29]
	s_delay_alu instid0(VALU_DEP_1) | instskip(NEXT) | instid1(VALU_DEP_1)
	v_add_f64_e32 v[30:31], v[34:35], v[28:29]
	v_mul_f64_e32 v[32:33], v[30:31], v[30:31]
	s_delay_alu instid0(VALU_DEP_1) | instskip(SKIP_1) | instid1(VALU_DEP_2)
	v_fmamk_f64 v[36:37], v[32:33], 0x3fc3ab76bf559e2b, v[6:7]
	v_mul_f64_e32 v[38:39], v[30:31], v[32:33]
	v_fmaak_f64 v[36:37], v[32:33], v[36:37], 0x3fc7474dd7f4df2e
	s_delay_alu instid0(VALU_DEP_1) | instskip(NEXT) | instid1(VALU_DEP_1)
	v_fmaak_f64 v[36:37], v[32:33], v[36:37], 0x3fcc71c016291751
	v_fmaak_f64 v[36:37], v[32:33], v[36:37], 0x3fd249249b27acf1
	s_delay_alu instid0(VALU_DEP_1) | instskip(NEXT) | instid1(VALU_DEP_1)
	v_fmaak_f64 v[36:37], v[32:33], v[36:37], 0x3fd99999998ef7b6
	v_fmaak_f64 v[32:33], v[32:33], v[36:37], 0x3fe5555555555780
	v_ldexp_f64 v[36:37], v[30:31], 1
	v_add_f64_e64 v[30:31], v[30:31], -v[34:35]
	s_delay_alu instid0(VALU_DEP_3) | instskip(NEXT) | instid1(VALU_DEP_2)
	v_mul_f64_e32 v[32:33], v[38:39], v[32:33]
	v_add_f64_e64 v[28:29], v[28:29], -v[30:31]
	s_delay_alu instid0(VALU_DEP_2) | instskip(NEXT) | instid1(VALU_DEP_2)
	v_add_f64_e32 v[34:35], v[36:37], v[32:33]
	v_ldexp_f64 v[28:29], v[28:29], 1
	s_delay_alu instid0(VALU_DEP_2) | instskip(NEXT) | instid1(VALU_DEP_1)
	v_add_f64_e64 v[30:31], v[34:35], -v[36:37]
	v_add_f64_e64 v[30:31], v[32:33], -v[30:31]
	s_delay_alu instid0(VALU_DEP_1) | instskip(NEXT) | instid1(VALU_DEP_1)
	v_add_f64_e32 v[28:29], v[28:29], v[30:31]
	v_add_f64_e32 v[30:31], v[34:35], v[28:29]
	s_delay_alu instid0(VALU_DEP_1) | instskip(SKIP_1) | instid1(VALU_DEP_2)
	v_add_f64_e64 v[32:33], v[30:31], -v[34:35]
	v_mul_f64_e32 v[34:35], 0x3ff71547652b82fe, v[30:31]
	v_add_f64_e64 v[28:29], v[28:29], -v[32:33]
	s_delay_alu instid0(VALU_DEP_2) | instskip(NEXT) | instid1(VALU_DEP_1)
	v_fma_f64 v[32:33], v[30:31], s[18:19], -v[34:35]
	v_fmac_f64_e32 v[32:33], 0x3ff71547652b82fe, v[28:29]
	v_frexp_exp_i32_f64_e32 v28, v[26:27]
	s_delay_alu instid0(VALU_DEP_2) | instskip(NEXT) | instid1(VALU_DEP_2)
	v_fmac_f64_e32 v[32:33], 0x3c7777d0ffda0d24, v[30:31]
	v_subrev_co_ci_u32_e64 v28, null, 0, v28, s3
	v_cmp_class_f64_e64 s3, v[26:27], 0x204
	s_delay_alu instid0(VALU_DEP_2) | instskip(NEXT) | instid1(VALU_DEP_4)
	v_cvt_f64_i32_e32 v[28:29], v28
	v_add_f64_e32 v[30:31], v[34:35], v[32:33]
	s_delay_alu instid0(VALU_DEP_1) | instskip(SKIP_1) | instid1(VALU_DEP_2)
	v_add_f64_e32 v[36:37], v[30:31], v[28:29]
	v_add_f64_e64 v[34:35], v[30:31], -v[34:35]
	v_add_f64_e64 v[38:39], v[36:37], -v[28:29]
	s_delay_alu instid0(VALU_DEP_2) | instskip(NEXT) | instid1(VALU_DEP_2)
	v_add_f64_e64 v[32:33], v[32:33], -v[34:35]
	v_add_f64_e64 v[40:41], v[38:39], -v[36:37]
	;; [unrolled: 1-line block ×3, first 2 shown]
	s_delay_alu instid0(VALU_DEP_2) | instskip(NEXT) | instid1(VALU_DEP_1)
	v_add_f64_e32 v[28:29], v[40:41], v[28:29]
	v_add_f64_e32 v[28:29], v[30:31], v[28:29]
	s_delay_alu instid0(VALU_DEP_1) | instskip(NEXT) | instid1(VALU_DEP_1)
	v_add_f64_e32 v[28:29], v[32:33], v[28:29]
	v_add_f64_e32 v[28:29], v[36:37], v[28:29]
	s_delay_alu instid0(VALU_DEP_1) | instskip(SKIP_1) | instid1(VALU_DEP_1)
	v_dual_cndmask_b32 v28, v28, v26, s3 :: v_dual_cndmask_b32 v29, v29, v27, s3
	v_cmp_ngt_f64_e64 s3, 0, v[26:27]
	v_cndmask_b32_e64 v29, 0x7ff80000, v29, s3
	v_cmp_nge_f64_e64 s3, 0, v[26:27]
	s_delay_alu instid0(VALU_DEP_1) | instskip(SKIP_1) | instid1(VALU_DEP_1)
	v_cndmask_b32_e64 v28, 0, v28, s3
	v_cmp_neq_f64_e64 s3, 0, v[26:27]
	v_cndmask_b32_e64 v29, 0xfff00000, v29, s3
	global_store_b64 v[16:17], v[28:29], off
	s_wait_xcnt 0x0
	s_or_b32 exec_lo, exec_lo, s4
	s_and_saveexec_b32 s3, s2
	s_cbranch_execz .LBB195_14
.LBB195_18:                             ;   in Loop: Header=BB195_4 Depth=1
	s_wait_loadcnt 0x0
	v_frexp_mant_f64_e32 v[26:27], v[24:25]
	s_delay_alu instid0(VALU_DEP_1) | instskip(NEXT) | instid1(VALU_DEP_1)
	v_cmp_gt_f64_e64 s2, s[12:13], v[26:27]
	v_cndmask_b32_e64 v28, 0, 1, s2
	s_delay_alu instid0(VALU_DEP_1) | instskip(NEXT) | instid1(VALU_DEP_1)
	v_ldexp_f64 v[26:27], v[26:27], v28
	v_add_f64_e32 v[28:29], 1.0, v[26:27]
	v_add_f64_e32 v[34:35], -1.0, v[26:27]
	s_delay_alu instid0(VALU_DEP_2) | instskip(SKIP_1) | instid1(VALU_DEP_1)
	v_rcp_f64_e32 v[30:31], v[28:29]
	v_add_f64_e32 v[36:37], -1.0, v[28:29]
	v_add_f64_e64 v[26:27], v[26:27], -v[36:37]
	s_delay_alu instid0(TRANS32_DEP_1) | instskip(NEXT) | instid1(VALU_DEP_1)
	v_fma_f64 v[32:33], -v[28:29], v[30:31], 1.0
	v_fmac_f64_e32 v[30:31], v[32:33], v[30:31]
	s_delay_alu instid0(VALU_DEP_1) | instskip(NEXT) | instid1(VALU_DEP_1)
	v_fma_f64 v[32:33], -v[28:29], v[30:31], 1.0
	v_fmac_f64_e32 v[30:31], v[32:33], v[30:31]
	s_delay_alu instid0(VALU_DEP_1) | instskip(NEXT) | instid1(VALU_DEP_1)
	v_mul_f64_e32 v[32:33], v[34:35], v[30:31]
	v_mul_f64_e32 v[38:39], v[28:29], v[32:33]
	s_delay_alu instid0(VALU_DEP_1) | instskip(NEXT) | instid1(VALU_DEP_1)
	v_fma_f64 v[28:29], v[32:33], v[28:29], -v[38:39]
	v_fmac_f64_e32 v[28:29], v[32:33], v[26:27]
	s_delay_alu instid0(VALU_DEP_1) | instskip(NEXT) | instid1(VALU_DEP_1)
	v_add_f64_e32 v[26:27], v[38:39], v[28:29]
	v_add_f64_e64 v[36:37], v[34:35], -v[26:27]
	v_add_f64_e64 v[38:39], v[26:27], -v[38:39]
	s_delay_alu instid0(VALU_DEP_2) | instskip(NEXT) | instid1(VALU_DEP_2)
	v_add_f64_e64 v[34:35], v[34:35], -v[36:37]
	v_add_f64_e64 v[28:29], v[38:39], -v[28:29]
	s_delay_alu instid0(VALU_DEP_2) | instskip(NEXT) | instid1(VALU_DEP_1)
	v_add_f64_e64 v[26:27], v[34:35], -v[26:27]
	v_add_f64_e32 v[26:27], v[28:29], v[26:27]
	s_delay_alu instid0(VALU_DEP_1) | instskip(NEXT) | instid1(VALU_DEP_1)
	v_add_f64_e32 v[26:27], v[36:37], v[26:27]
	v_mul_f64_e32 v[26:27], v[30:31], v[26:27]
	s_delay_alu instid0(VALU_DEP_1) | instskip(NEXT) | instid1(VALU_DEP_1)
	v_add_f64_e32 v[28:29], v[32:33], v[26:27]
	v_mul_f64_e32 v[30:31], v[28:29], v[28:29]
	s_delay_alu instid0(VALU_DEP_1) | instskip(SKIP_1) | instid1(VALU_DEP_2)
	v_fmamk_f64 v[34:35], v[30:31], 0x3fc3ab76bf559e2b, v[6:7]
	v_mul_f64_e32 v[36:37], v[28:29], v[30:31]
	v_fmaak_f64 v[34:35], v[30:31], v[34:35], 0x3fc7474dd7f4df2e
	s_delay_alu instid0(VALU_DEP_1) | instskip(NEXT) | instid1(VALU_DEP_1)
	v_fmaak_f64 v[34:35], v[30:31], v[34:35], 0x3fcc71c016291751
	v_fmaak_f64 v[34:35], v[30:31], v[34:35], 0x3fd249249b27acf1
	s_delay_alu instid0(VALU_DEP_1) | instskip(NEXT) | instid1(VALU_DEP_1)
	v_fmaak_f64 v[34:35], v[30:31], v[34:35], 0x3fd99999998ef7b6
	v_fmaak_f64 v[30:31], v[30:31], v[34:35], 0x3fe5555555555780
	v_ldexp_f64 v[34:35], v[28:29], 1
	v_add_f64_e64 v[28:29], v[28:29], -v[32:33]
	s_delay_alu instid0(VALU_DEP_3) | instskip(NEXT) | instid1(VALU_DEP_2)
	v_mul_f64_e32 v[30:31], v[36:37], v[30:31]
	v_add_f64_e64 v[26:27], v[26:27], -v[28:29]
	s_delay_alu instid0(VALU_DEP_2) | instskip(NEXT) | instid1(VALU_DEP_2)
	v_add_f64_e32 v[32:33], v[34:35], v[30:31]
	v_ldexp_f64 v[26:27], v[26:27], 1
	s_delay_alu instid0(VALU_DEP_2) | instskip(NEXT) | instid1(VALU_DEP_1)
	v_add_f64_e64 v[28:29], v[32:33], -v[34:35]
	v_add_f64_e64 v[28:29], v[30:31], -v[28:29]
	s_delay_alu instid0(VALU_DEP_1) | instskip(NEXT) | instid1(VALU_DEP_1)
	v_add_f64_e32 v[26:27], v[26:27], v[28:29]
	v_add_f64_e32 v[28:29], v[32:33], v[26:27]
	s_delay_alu instid0(VALU_DEP_1) | instskip(SKIP_1) | instid1(VALU_DEP_2)
	v_add_f64_e64 v[30:31], v[28:29], -v[32:33]
	v_mul_f64_e32 v[32:33], 0x3ff71547652b82fe, v[28:29]
	v_add_f64_e64 v[26:27], v[26:27], -v[30:31]
	s_delay_alu instid0(VALU_DEP_2) | instskip(NEXT) | instid1(VALU_DEP_1)
	v_fma_f64 v[30:31], v[28:29], s[18:19], -v[32:33]
	v_fmac_f64_e32 v[30:31], 0x3ff71547652b82fe, v[26:27]
	v_frexp_exp_i32_f64_e32 v26, v[24:25]
	s_delay_alu instid0(VALU_DEP_2) | instskip(NEXT) | instid1(VALU_DEP_2)
	v_fmac_f64_e32 v[30:31], 0x3c7777d0ffda0d24, v[28:29]
	v_subrev_co_ci_u32_e64 v26, null, 0, v26, s2
	v_cmp_class_f64_e64 s2, v[24:25], 0x204
	s_delay_alu instid0(VALU_DEP_2) | instskip(NEXT) | instid1(VALU_DEP_4)
	v_cvt_f64_i32_e32 v[26:27], v26
	v_add_f64_e32 v[28:29], v[32:33], v[30:31]
	s_delay_alu instid0(VALU_DEP_1) | instskip(SKIP_1) | instid1(VALU_DEP_2)
	v_add_f64_e32 v[34:35], v[28:29], v[26:27]
	v_add_f64_e64 v[32:33], v[28:29], -v[32:33]
	v_add_f64_e64 v[36:37], v[34:35], -v[26:27]
	s_delay_alu instid0(VALU_DEP_2) | instskip(NEXT) | instid1(VALU_DEP_2)
	v_add_f64_e64 v[30:31], v[30:31], -v[32:33]
	v_add_f64_e64 v[38:39], v[36:37], -v[34:35]
	;; [unrolled: 1-line block ×3, first 2 shown]
	s_delay_alu instid0(VALU_DEP_2) | instskip(NEXT) | instid1(VALU_DEP_1)
	v_add_f64_e32 v[26:27], v[38:39], v[26:27]
	v_add_f64_e32 v[26:27], v[28:29], v[26:27]
	s_delay_alu instid0(VALU_DEP_1) | instskip(NEXT) | instid1(VALU_DEP_1)
	v_add_f64_e32 v[26:27], v[30:31], v[26:27]
	v_add_f64_e32 v[26:27], v[34:35], v[26:27]
	s_delay_alu instid0(VALU_DEP_1) | instskip(SKIP_1) | instid1(VALU_DEP_1)
	v_dual_cndmask_b32 v26, v26, v24, s2 :: v_dual_cndmask_b32 v27, v27, v25, s2
	v_cmp_ngt_f64_e64 s2, 0, v[24:25]
	v_cndmask_b32_e64 v27, 0x7ff80000, v27, s2
	v_cmp_nge_f64_e64 s2, 0, v[24:25]
	s_delay_alu instid0(VALU_DEP_1) | instskip(SKIP_1) | instid1(VALU_DEP_1)
	v_cndmask_b32_e64 v26, 0, v26, s2
	v_cmp_neq_f64_e64 s2, 0, v[24:25]
	v_cndmask_b32_e64 v27, 0xfff00000, v27, s2
	global_store_b64 v[22:23], v[26:27], off
	s_wait_xcnt 0x0
	s_or_b32 exec_lo, exec_lo, s3
	s_and_saveexec_b32 s2, vcc_lo
	s_cbranch_execz .LBB195_3
.LBB195_19:                             ;   in Loop: Header=BB195_4 Depth=1
	s_wait_loadcnt 0x0
	v_frexp_mant_f64_e32 v[22:23], v[18:19]
	s_delay_alu instid0(VALU_DEP_1) | instskip(SKIP_1) | instid1(VALU_DEP_1)
	v_cmp_gt_f64_e32 vcc_lo, s[12:13], v[22:23]
	v_cndmask_b32_e64 v24, 0, 1, vcc_lo
	v_ldexp_f64 v[22:23], v[22:23], v24
	s_delay_alu instid0(VALU_DEP_1) | instskip(SKIP_1) | instid1(VALU_DEP_2)
	v_add_f64_e32 v[24:25], 1.0, v[22:23]
	v_add_f64_e32 v[30:31], -1.0, v[22:23]
	v_rcp_f64_e32 v[26:27], v[24:25]
	v_add_f64_e32 v[32:33], -1.0, v[24:25]
	s_delay_alu instid0(VALU_DEP_1) | instskip(NEXT) | instid1(TRANS32_DEP_1)
	v_add_f64_e64 v[22:23], v[22:23], -v[32:33]
	v_fma_f64 v[28:29], -v[24:25], v[26:27], 1.0
	s_delay_alu instid0(VALU_DEP_1) | instskip(NEXT) | instid1(VALU_DEP_1)
	v_fmac_f64_e32 v[26:27], v[28:29], v[26:27]
	v_fma_f64 v[28:29], -v[24:25], v[26:27], 1.0
	s_delay_alu instid0(VALU_DEP_1) | instskip(NEXT) | instid1(VALU_DEP_1)
	v_fmac_f64_e32 v[26:27], v[28:29], v[26:27]
	v_mul_f64_e32 v[28:29], v[30:31], v[26:27]
	s_delay_alu instid0(VALU_DEP_1) | instskip(NEXT) | instid1(VALU_DEP_1)
	v_mul_f64_e32 v[34:35], v[24:25], v[28:29]
	v_fma_f64 v[24:25], v[28:29], v[24:25], -v[34:35]
	s_delay_alu instid0(VALU_DEP_1) | instskip(NEXT) | instid1(VALU_DEP_1)
	v_fmac_f64_e32 v[24:25], v[28:29], v[22:23]
	v_add_f64_e32 v[22:23], v[34:35], v[24:25]
	s_delay_alu instid0(VALU_DEP_1) | instskip(SKIP_1) | instid1(VALU_DEP_2)
	v_add_f64_e64 v[32:33], v[30:31], -v[22:23]
	v_add_f64_e64 v[34:35], v[22:23], -v[34:35]
	;; [unrolled: 1-line block ×3, first 2 shown]
	s_delay_alu instid0(VALU_DEP_2) | instskip(NEXT) | instid1(VALU_DEP_2)
	v_add_f64_e64 v[24:25], v[34:35], -v[24:25]
	v_add_f64_e64 v[22:23], v[30:31], -v[22:23]
	s_delay_alu instid0(VALU_DEP_1) | instskip(NEXT) | instid1(VALU_DEP_1)
	v_add_f64_e32 v[22:23], v[24:25], v[22:23]
	v_add_f64_e32 v[22:23], v[32:33], v[22:23]
	s_delay_alu instid0(VALU_DEP_1) | instskip(NEXT) | instid1(VALU_DEP_1)
	v_mul_f64_e32 v[22:23], v[26:27], v[22:23]
	v_add_f64_e32 v[24:25], v[28:29], v[22:23]
	s_delay_alu instid0(VALU_DEP_1) | instskip(NEXT) | instid1(VALU_DEP_1)
	v_mul_f64_e32 v[26:27], v[24:25], v[24:25]
	v_fmamk_f64 v[30:31], v[26:27], 0x3fc3ab76bf559e2b, v[6:7]
	v_mul_f64_e32 v[32:33], v[24:25], v[26:27]
	s_delay_alu instid0(VALU_DEP_2) | instskip(NEXT) | instid1(VALU_DEP_1)
	v_fmaak_f64 v[30:31], v[26:27], v[30:31], 0x3fc7474dd7f4df2e
	v_fmaak_f64 v[30:31], v[26:27], v[30:31], 0x3fcc71c016291751
	s_delay_alu instid0(VALU_DEP_1) | instskip(NEXT) | instid1(VALU_DEP_1)
	v_fmaak_f64 v[30:31], v[26:27], v[30:31], 0x3fd249249b27acf1
	v_fmaak_f64 v[30:31], v[26:27], v[30:31], 0x3fd99999998ef7b6
	s_delay_alu instid0(VALU_DEP_1) | instskip(SKIP_2) | instid1(VALU_DEP_3)
	v_fmaak_f64 v[26:27], v[26:27], v[30:31], 0x3fe5555555555780
	v_ldexp_f64 v[30:31], v[24:25], 1
	v_add_f64_e64 v[24:25], v[24:25], -v[28:29]
	v_mul_f64_e32 v[26:27], v[32:33], v[26:27]
	s_delay_alu instid0(VALU_DEP_2) | instskip(NEXT) | instid1(VALU_DEP_2)
	v_add_f64_e64 v[22:23], v[22:23], -v[24:25]
	v_add_f64_e32 v[28:29], v[30:31], v[26:27]
	s_delay_alu instid0(VALU_DEP_2) | instskip(NEXT) | instid1(VALU_DEP_2)
	v_ldexp_f64 v[22:23], v[22:23], 1
	v_add_f64_e64 v[24:25], v[28:29], -v[30:31]
	s_delay_alu instid0(VALU_DEP_1) | instskip(NEXT) | instid1(VALU_DEP_1)
	v_add_f64_e64 v[24:25], v[26:27], -v[24:25]
	v_add_f64_e32 v[22:23], v[22:23], v[24:25]
	s_delay_alu instid0(VALU_DEP_1) | instskip(NEXT) | instid1(VALU_DEP_1)
	v_add_f64_e32 v[24:25], v[28:29], v[22:23]
	v_add_f64_e64 v[26:27], v[24:25], -v[28:29]
	v_mul_f64_e32 v[28:29], 0x3ff71547652b82fe, v[24:25]
	s_delay_alu instid0(VALU_DEP_2) | instskip(NEXT) | instid1(VALU_DEP_2)
	v_add_f64_e64 v[22:23], v[22:23], -v[26:27]
	v_fma_f64 v[26:27], v[24:25], s[18:19], -v[28:29]
	s_delay_alu instid0(VALU_DEP_1) | instskip(SKIP_1) | instid1(VALU_DEP_2)
	v_fmac_f64_e32 v[26:27], 0x3ff71547652b82fe, v[22:23]
	v_frexp_exp_i32_f64_e32 v22, v[18:19]
	v_fmac_f64_e32 v[26:27], 0x3c7777d0ffda0d24, v[24:25]
	s_delay_alu instid0(VALU_DEP_2) | instskip(SKIP_1) | instid1(VALU_DEP_2)
	v_subrev_co_ci_u32_e64 v22, null, 0, v22, vcc_lo
	v_cmp_class_f64_e64 vcc_lo, v[18:19], 0x204
	v_cvt_f64_i32_e32 v[22:23], v22
	s_delay_alu instid0(VALU_DEP_4) | instskip(NEXT) | instid1(VALU_DEP_1)
	v_add_f64_e32 v[24:25], v[28:29], v[26:27]
	v_add_f64_e32 v[30:31], v[24:25], v[22:23]
	v_add_f64_e64 v[28:29], v[24:25], -v[28:29]
	s_delay_alu instid0(VALU_DEP_2) | instskip(NEXT) | instid1(VALU_DEP_2)
	v_add_f64_e64 v[32:33], v[30:31], -v[22:23]
	v_add_f64_e64 v[26:27], v[26:27], -v[28:29]
	s_delay_alu instid0(VALU_DEP_2) | instskip(SKIP_1) | instid1(VALU_DEP_2)
	v_add_f64_e64 v[34:35], v[32:33], -v[30:31]
	v_add_f64_e64 v[24:25], v[24:25], -v[32:33]
	v_add_f64_e32 v[22:23], v[34:35], v[22:23]
	s_delay_alu instid0(VALU_DEP_1) | instskip(NEXT) | instid1(VALU_DEP_1)
	v_add_f64_e32 v[22:23], v[24:25], v[22:23]
	v_add_f64_e32 v[22:23], v[26:27], v[22:23]
	s_delay_alu instid0(VALU_DEP_1) | instskip(NEXT) | instid1(VALU_DEP_1)
	v_add_f64_e32 v[22:23], v[30:31], v[22:23]
	v_dual_cndmask_b32 v22, v22, v18 :: v_dual_cndmask_b32 v23, v23, v19
	v_cmp_ngt_f64_e32 vcc_lo, 0, v[18:19]
	s_delay_alu instid0(VALU_DEP_2) | instskip(SKIP_1) | instid1(VALU_DEP_4)
	v_cndmask_b32_e32 v23, 0x7ff80000, v23, vcc_lo
	v_cmp_nge_f64_e32 vcc_lo, 0, v[18:19]
	v_cndmask_b32_e32 v22, 0, v22, vcc_lo
	v_cmp_neq_f64_e32 vcc_lo, 0, v[18:19]
	s_delay_alu instid0(VALU_DEP_4)
	v_cndmask_b32_e32 v23, 0xfff00000, v23, vcc_lo
	global_store_b64 v[20:21], v[22:23], off
	s_branch .LBB195_3
.LBB195_20:
	s_cbranch_execz .LBB195_22
	s_branch .LBB195_25
.LBB195_21:
.LBB195_22:
	v_min_i64 v[10:11], 0x10000, s[10:11]
	v_dual_mov_b32 v3, 0 :: v_dual_lshlrev_b32 v2, 2, v0
	s_mov_b32 s2, exec_lo
	s_delay_alu instid0(VALU_DEP_1)
	v_cmpx_lt_i64_e64 v[2:3], v[10:11]
	s_cbranch_execz .LBB195_25
; %bb.23:
	s_load_b32 s2, s[0:1], 0xd3c
	v_dual_mov_b32 v1, v3 :: v_dual_lshlrev_b32 v2, 5, v0
	s_wait_xcnt 0x0
	s_add_nc_u64 s[0:1], s[6:7], s[8:9]
	v_mov_b64_e32 v[12:13], 0x3fc385386b47b09a
	s_mov_b32 s9, 0
	v_add_nc_u64_e32 v[4:5], s[0:1], v[2:3]
	s_mov_b64 s[4:5], 0x3fe5555555555555
	s_mov_b64 s[6:7], 0x3ff71547652b82fe
	s_mov_b32 s11, s9
	s_mov_b32 s3, s9
                                        ; implicit-def: $vgpr2_vgpr3
                                        ; implicit-def: $vgpr2_vgpr3
	;; [unrolled: 1-line block ×5, first 2 shown]
	s_delay_alu instid0(VALU_DEP_1) | instskip(SKIP_2) | instid1(SALU_CYCLE_1)
	v_add_nc_u64_e32 v[14:15], 16, v[4:5]
	s_wait_kmcnt 0x0
	s_and_b32 s8, s2, 0xffff
	s_lshl_b32 s10, s8, 5
.LBB195_24:                             ; =>This Inner Loop Header: Depth=1
	s_clause 0x1
	global_load_b128 v[6:9], v[14:15], off offset:-16
	global_load_b128 v[2:5], v[14:15], off
	v_add_nc_u64_e32 v[0:1], s[8:9], v[0:1]
	s_wait_loadcnt 0x1
	v_frexp_mant_f64_e32 v[16:17], v[6:7]
	s_wait_loadcnt 0x0
	v_frexp_mant_f64_e32 v[20:21], v[2:3]
	v_frexp_mant_f64_e32 v[18:19], v[8:9]
	s_delay_alu instid0(VALU_DEP_3) | instskip(NEXT) | instid1(VALU_DEP_3)
	v_cmp_gt_f64_e32 vcc_lo, s[4:5], v[16:17]
	v_cmp_gt_f64_e64 s0, s[4:5], v[20:21]
	s_delay_alu instid0(VALU_DEP_3) | instskip(SKIP_1) | instid1(VALU_DEP_3)
	v_cmp_gt_f64_e64 s1, s[4:5], v[18:19]
	v_cndmask_b32_e64 v22, 0, 1, vcc_lo
	v_cndmask_b32_e64 v24, 0, 1, s0
	s_delay_alu instid0(VALU_DEP_2) | instskip(NEXT) | instid1(VALU_DEP_4)
	v_ldexp_f64 v[16:17], v[16:17], v22
	v_cndmask_b32_e64 v22, 0, 1, s1
	s_delay_alu instid0(VALU_DEP_3) | instskip(SKIP_1) | instid1(VALU_DEP_3)
	v_ldexp_f64 v[20:21], v[20:21], v24
	v_frexp_mant_f64_e32 v[24:25], v[4:5]
	v_ldexp_f64 v[18:19], v[18:19], v22
	v_add_f64_e32 v[22:23], 1.0, v[16:17]
	s_delay_alu instid0(VALU_DEP_4) | instskip(NEXT) | instid1(VALU_DEP_4)
	v_add_f64_e32 v[30:31], 1.0, v[20:21]
	v_cmp_gt_f64_e64 s2, s[4:5], v[24:25]
	v_add_f64_e32 v[50:51], -1.0, v[20:21]
	v_add_f64_e32 v[26:27], 1.0, v[18:19]
	v_add_f64_e32 v[48:49], -1.0, v[18:19]
	v_rcp_f64_e32 v[28:29], v[22:23]
	v_add_f64_e32 v[52:53], -1.0, v[22:23]
	v_cndmask_b32_e64 v34, 0, 1, s2
	s_delay_alu instid0(VALU_DEP_4) | instskip(SKIP_1) | instid1(VALU_DEP_2)
	v_rcp_f64_e32 v[32:33], v[26:27]
	v_add_f64_e32 v[54:55], -1.0, v[26:27]
	v_ldexp_f64 v[24:25], v[24:25], v34
	v_rcp_f64_e32 v[34:35], v[30:31]
	s_delay_alu instid0(TRANS32_DEP_3) | instskip(NEXT) | instid1(VALU_DEP_3)
	v_fma_f64 v[36:37], -v[22:23], v[28:29], 1.0
	v_add_f64_e64 v[18:19], v[18:19], -v[54:55]
	s_delay_alu instid0(VALU_DEP_3) | instskip(NEXT) | instid1(TRANS32_DEP_2)
	v_add_f64_e32 v[38:39], 1.0, v[24:25]
	v_fma_f64 v[40:41], -v[26:27], v[32:33], 1.0
	s_delay_alu instid0(VALU_DEP_4) | instskip(NEXT) | instid1(TRANS32_DEP_1)
	v_fmac_f64_e32 v[28:29], v[36:37], v[28:29]
	v_fma_f64 v[36:37], -v[30:31], v[34:35], 1.0
	s_delay_alu instid0(VALU_DEP_4) | instskip(NEXT) | instid1(VALU_DEP_3)
	v_rcp_f64_e32 v[42:43], v[38:39]
	v_fmac_f64_e32 v[32:33], v[40:41], v[32:33]
	s_delay_alu instid0(VALU_DEP_3) | instskip(NEXT) | instid1(VALU_DEP_3)
	v_fma_f64 v[40:41], -v[22:23], v[28:29], 1.0
	v_fmac_f64_e32 v[34:35], v[36:37], v[34:35]
	v_add_f64_e32 v[36:37], -1.0, v[16:17]
	v_add_f64_e64 v[16:17], v[16:17], -v[52:53]
	v_fma_f64 v[44:45], -v[26:27], v[32:33], 1.0
	v_fmac_f64_e32 v[28:29], v[40:41], v[28:29]
	s_delay_alu instid0(TRANS32_DEP_1) | instskip(SKIP_1) | instid1(VALU_DEP_4)
	v_fma_f64 v[40:41], -v[38:39], v[42:43], 1.0
	v_fma_f64 v[46:47], -v[30:31], v[34:35], 1.0
	v_fmac_f64_e32 v[32:33], v[44:45], v[32:33]
	s_delay_alu instid0(VALU_DEP_4) | instskip(NEXT) | instid1(VALU_DEP_4)
	v_mul_f64_e32 v[44:45], v[36:37], v[28:29]
	v_fmac_f64_e32 v[42:43], v[40:41], v[42:43]
	s_delay_alu instid0(VALU_DEP_4)
	v_fmac_f64_e32 v[34:35], v[46:47], v[34:35]
	v_add_f64_e32 v[40:41], -1.0, v[30:31]
	v_add_f64_e32 v[46:47], -1.0, v[38:39]
	v_mul_f64_e32 v[52:53], v[48:49], v[32:33]
	v_mul_f64_e32 v[54:55], v[22:23], v[44:45]
	v_fma_f64 v[56:57], -v[38:39], v[42:43], 1.0
	v_mul_f64_e32 v[58:59], v[50:51], v[34:35]
	v_add_f64_e64 v[20:21], v[20:21], -v[40:41]
	v_add_f64_e32 v[40:41], -1.0, v[24:25]
	v_add_f64_e64 v[24:25], v[24:25], -v[46:47]
	v_mul_f64_e32 v[46:47], v[26:27], v[52:53]
	v_fma_f64 v[22:23], v[44:45], v[22:23], -v[54:55]
	v_fmac_f64_e32 v[42:43], v[56:57], v[42:43]
	v_mul_f64_e32 v[56:57], v[30:31], v[58:59]
	s_delay_alu instid0(VALU_DEP_4) | instskip(NEXT) | instid1(VALU_DEP_4)
	v_fma_f64 v[26:27], v[52:53], v[26:27], -v[46:47]
	v_fmac_f64_e32 v[22:23], v[44:45], v[16:17]
	s_delay_alu instid0(VALU_DEP_4) | instskip(NEXT) | instid1(VALU_DEP_4)
	v_mul_f64_e32 v[16:17], v[40:41], v[42:43]
	v_fma_f64 v[30:31], v[58:59], v[30:31], -v[56:57]
	s_delay_alu instid0(VALU_DEP_4) | instskip(NEXT) | instid1(VALU_DEP_3)
	v_fmac_f64_e32 v[26:27], v[52:53], v[18:19]
	v_mul_f64_e32 v[18:19], v[38:39], v[16:17]
	s_delay_alu instid0(VALU_DEP_3) | instskip(SKIP_1) | instid1(VALU_DEP_3)
	v_fmac_f64_e32 v[30:31], v[58:59], v[20:21]
	v_add_f64_e32 v[20:21], v[54:55], v[22:23]
	v_fma_f64 v[38:39], v[16:17], v[38:39], -v[18:19]
	s_delay_alu instid0(VALU_DEP_2) | instskip(NEXT) | instid1(VALU_DEP_2)
	v_add_f64_e64 v[54:55], v[20:21], -v[54:55]
	v_fmac_f64_e32 v[38:39], v[16:17], v[24:25]
	v_add_f64_e32 v[24:25], v[46:47], v[26:27]
	s_delay_alu instid0(VALU_DEP_3) | instskip(SKIP_1) | instid1(VALU_DEP_3)
	v_add_f64_e64 v[22:23], v[54:55], -v[22:23]
	v_add_f64_e32 v[54:55], v[56:57], v[30:31]
	v_add_f64_e64 v[46:47], v[24:25], -v[46:47]
	s_delay_alu instid0(VALU_DEP_2) | instskip(NEXT) | instid1(VALU_DEP_2)
	v_add_f64_e64 v[56:57], v[54:55], -v[56:57]
	v_add_f64_e64 v[26:27], v[46:47], -v[26:27]
	;; [unrolled: 1-line block ×3, first 2 shown]
	s_delay_alu instid0(VALU_DEP_3) | instskip(SKIP_1) | instid1(VALU_DEP_3)
	v_add_f64_e64 v[30:31], v[56:57], -v[30:31]
	v_add_f64_e64 v[56:57], v[48:49], -v[24:25]
	;; [unrolled: 1-line block ×3, first 2 shown]
	s_delay_alu instid0(VALU_DEP_2) | instskip(NEXT) | instid1(VALU_DEP_2)
	v_add_f64_e64 v[48:49], v[48:49], -v[56:57]
	v_add_f64_e64 v[20:21], v[36:37], -v[20:21]
	;; [unrolled: 1-line block ×3, first 2 shown]
	s_delay_alu instid0(VALU_DEP_3) | instskip(SKIP_1) | instid1(VALU_DEP_4)
	v_add_f64_e64 v[24:25], v[48:49], -v[24:25]
	v_add_f64_e32 v[48:49], v[18:19], v[38:39]
	v_add_f64_e32 v[20:21], v[22:23], v[20:21]
	s_delay_alu instid0(VALU_DEP_4) | instskip(NEXT) | instid1(VALU_DEP_4)
	v_add_f64_e64 v[50:51], v[50:51], -v[36:37]
	v_add_f64_e32 v[24:25], v[26:27], v[24:25]
	s_delay_alu instid0(VALU_DEP_4)
	v_add_f64_e64 v[22:23], v[40:41], -v[48:49]
	v_add_f64_e64 v[18:19], v[48:49], -v[18:19]
	v_add_f64_e32 v[20:21], v[46:47], v[20:21]
	v_add_f64_e64 v[50:51], v[50:51], -v[54:55]
	v_add_f64_e32 v[24:25], v[56:57], v[24:25]
	v_add_f64_e64 v[40:41], v[40:41], -v[22:23]
	v_add_f64_e64 v[18:19], v[18:19], -v[38:39]
	v_mul_f64_e32 v[20:21], v[28:29], v[20:21]
	v_add_f64_e32 v[26:27], v[30:31], v[50:51]
	v_mul_f64_e32 v[24:25], v[32:33], v[24:25]
	v_add_f64_e64 v[30:31], v[40:41], -v[48:49]
	s_delay_alu instid0(VALU_DEP_4) | instskip(NEXT) | instid1(VALU_DEP_4)
	v_add_f64_e32 v[28:29], v[44:45], v[20:21]
	v_add_f64_e32 v[26:27], v[36:37], v[26:27]
	s_delay_alu instid0(VALU_DEP_3) | instskip(NEXT) | instid1(VALU_DEP_3)
	v_add_f64_e32 v[18:19], v[18:19], v[30:31]
	v_mul_f64_e32 v[30:31], v[28:29], v[28:29]
	s_delay_alu instid0(VALU_DEP_3) | instskip(SKIP_1) | instid1(VALU_DEP_4)
	v_mul_f64_e32 v[26:27], v[34:35], v[26:27]
	v_ldexp_f64 v[48:49], v[28:29], 1
	v_add_f64_e32 v[18:19], v[22:23], v[18:19]
	v_add_f64_e32 v[22:23], v[52:53], v[24:25]
	v_fmamk_f64 v[36:37], v[30:31], 0x3fc3ab76bf559e2b, v[12:13]
	v_add_f64_e32 v[32:33], v[58:59], v[26:27]
	v_mul_f64_e32 v[38:39], v[28:29], v[30:31]
	v_mul_f64_e32 v[18:19], v[42:43], v[18:19]
	v_mul_f64_e32 v[34:35], v[22:23], v[22:23]
	v_add_f64_e64 v[28:29], v[28:29], -v[44:45]
	v_ldexp_f64 v[44:45], v[22:23], 1
	v_fmaak_f64 v[36:37], v[30:31], v[36:37], 0x3fc7474dd7f4df2e
	s_delay_alu instid0(VALU_DEP_1) | instskip(NEXT) | instid1(VALU_DEP_1)
	v_fmaak_f64 v[36:37], v[30:31], v[36:37], 0x3fcc71c016291751
	v_fmaak_f64 v[36:37], v[30:31], v[36:37], 0x3fd249249b27acf1
	s_delay_alu instid0(VALU_DEP_1) | instskip(SKIP_1) | instid1(VALU_DEP_2)
	v_fmaak_f64 v[36:37], v[30:31], v[36:37], 0x3fd99999998ef7b6
	v_mul_f64_e32 v[40:41], v[32:33], v[32:33]
	v_fmaak_f64 v[30:31], v[30:31], v[36:37], 0x3fe5555555555780
	v_fmamk_f64 v[46:47], v[34:35], 0x3fc3ab76bf559e2b, v[12:13]
	v_add_f64_e32 v[42:43], v[16:17], v[18:19]
	v_add_f64_e64 v[20:21], v[20:21], -v[28:29]
	s_delay_alu instid0(VALU_DEP_4) | instskip(NEXT) | instid1(VALU_DEP_4)
	v_mul_f64_e32 v[30:31], v[38:39], v[30:31]
	v_fmaak_f64 v[36:37], v[34:35], v[46:47], 0x3fc7474dd7f4df2e
	v_mul_f64_e32 v[46:47], v[22:23], v[34:35]
	v_add_f64_e64 v[22:23], v[22:23], -v[52:53]
	v_ldexp_f64 v[52:53], v[32:33], 1
	s_delay_alu instid0(VALU_DEP_4) | instskip(NEXT) | instid1(VALU_DEP_1)
	v_fmaak_f64 v[36:37], v[34:35], v[36:37], 0x3fcc71c016291751
	v_fmaak_f64 v[36:37], v[34:35], v[36:37], 0x3fd249249b27acf1
	s_delay_alu instid0(VALU_DEP_1) | instskip(SKIP_3) | instid1(VALU_DEP_4)
	v_fmaak_f64 v[36:37], v[34:35], v[36:37], 0x3fd99999998ef7b6
	v_fmamk_f64 v[38:39], v[40:41], 0x3fc3ab76bf559e2b, v[12:13]
	v_mul_f64_e32 v[50:51], v[42:43], v[42:43]
	v_ldexp_f64 v[20:21], v[20:21], 1
	v_fmaak_f64 v[34:35], v[34:35], v[36:37], 0x3fe5555555555780
	s_delay_alu instid0(VALU_DEP_4)
	v_fmaak_f64 v[36:37], v[40:41], v[38:39], 0x3fc7474dd7f4df2e
	v_mul_f64_e32 v[38:39], v[32:33], v[40:41]
	v_add_f64_e64 v[32:33], v[32:33], -v[58:59]
	v_add_f64_e64 v[16:17], v[42:43], -v[16:17]
	;; [unrolled: 1-line block ×3, first 2 shown]
	v_mul_f64_e32 v[34:35], v[46:47], v[34:35]
	v_add_f64_e32 v[46:47], v[48:49], v[30:31]
	v_fmaak_f64 v[36:37], v[40:41], v[36:37], 0x3fcc71c016291751
	s_delay_alu instid0(VALU_DEP_1) | instskip(NEXT) | instid1(VALU_DEP_1)
	v_fmaak_f64 v[36:37], v[40:41], v[36:37], 0x3fd249249b27acf1
	v_fmaak_f64 v[36:37], v[40:41], v[36:37], 0x3fd99999998ef7b6
	v_fmamk_f64 v[54:55], v[50:51], 0x3fc3ab76bf559e2b, v[12:13]
	s_delay_alu instid0(VALU_DEP_2) | instskip(SKIP_2) | instid1(VALU_DEP_4)
	v_fmaak_f64 v[36:37], v[40:41], v[36:37], 0x3fe5555555555780
	v_add_f64_e64 v[26:27], v[26:27], -v[32:33]
	v_add_f64_e64 v[16:17], v[18:19], -v[16:17]
	v_fmaak_f64 v[40:41], v[50:51], v[54:55], 0x3fc7474dd7f4df2e
	s_delay_alu instid0(VALU_DEP_4)
	v_mul_f64_e32 v[36:37], v[38:39], v[36:37]
	v_mul_f64_e32 v[38:39], v[42:43], v[50:51]
	v_add_f64_e64 v[28:29], v[46:47], -v[48:49]
	v_add_f64_e32 v[54:55], v[44:45], v[34:35]
	v_ldexp_f64 v[48:49], v[42:43], 1
	v_ldexp_f64 v[22:23], v[22:23], 1
	v_fmaak_f64 v[40:41], v[50:51], v[40:41], 0x3fcc71c016291751
	s_delay_alu instid0(VALU_DEP_1) | instskip(NEXT) | instid1(VALU_DEP_1)
	v_fmaak_f64 v[40:41], v[50:51], v[40:41], 0x3fd249249b27acf1
	v_fmaak_f64 v[40:41], v[50:51], v[40:41], 0x3fd99999998ef7b6
	s_delay_alu instid0(VALU_DEP_1)
	v_fmaak_f64 v[40:41], v[50:51], v[40:41], 0x3fe5555555555780
	v_ldexp_f64 v[18:19], v[26:27], 1
	v_ldexp_f64 v[16:17], v[16:17], 1
	v_add_f64_e32 v[24:25], v[52:53], v[36:37]
	v_add_f64_e64 v[28:29], v[30:31], -v[28:29]
	v_mul_f64_e32 v[38:39], v[38:39], v[40:41]
	v_add_f64_e64 v[40:41], v[54:55], -v[44:45]
	s_delay_alu instid0(VALU_DEP_4)
	v_add_f64_e64 v[30:31], v[24:25], -v[52:53]
	v_frexp_exp_i32_f64_e32 v52, v[4:5]
	v_add_f64_e32 v[20:21], v[20:21], v[28:29]
	v_add_f64_e32 v[32:33], v[48:49], v[38:39]
	v_add_f64_e64 v[34:35], v[34:35], -v[40:41]
	v_add_f64_e64 v[26:27], v[36:37], -v[30:31]
	s_delay_alu instid0(VALU_DEP_4) | instskip(NEXT) | instid1(VALU_DEP_4)
	v_add_f64_e32 v[30:31], v[46:47], v[20:21]
	v_add_f64_e64 v[28:29], v[32:33], -v[48:49]
	s_delay_alu instid0(VALU_DEP_4) | instskip(NEXT) | instid1(VALU_DEP_4)
	v_add_f64_e32 v[22:23], v[22:23], v[34:35]
	v_add_f64_e32 v[18:19], v[18:19], v[26:27]
	s_delay_alu instid0(VALU_DEP_4)
	v_add_f64_e64 v[34:35], v[30:31], -v[46:47]
	v_mul_f64_e32 v[36:37], 0x3ff71547652b82fe, v[30:31]
	v_add_f64_e64 v[26:27], v[38:39], -v[28:29]
	v_add_f64_e32 v[28:29], v[54:55], v[22:23]
	v_frexp_exp_i32_f64_e32 v46, v[6:7]
	v_add_f64_e32 v[38:39], v[24:25], v[18:19]
	v_add_f64_e64 v[20:21], v[20:21], -v[34:35]
	v_fma_f64 v[34:35], v[30:31], s[6:7], -v[36:37]
	v_add_f64_e32 v[16:17], v[16:17], v[26:27]
	v_add_f64_e64 v[26:27], v[28:29], -v[54:55]
	v_mul_f64_e32 v[40:41], 0x3ff71547652b82fe, v[28:29]
	v_subrev_co_ci_u32_e64 v54, null, 0, v52, s2
	v_cmp_class_f64_e64 s2, v[4:5], 0x204
	s_delay_alu instid0(VALU_DEP_2)
	v_cvt_f64_i32_e32 v[54:55], v54
	v_add_f64_e64 v[24:25], v[38:39], -v[24:25]
	v_mul_f64_e32 v[42:43], 0x3ff71547652b82fe, v[38:39]
	v_fmac_f64_e32 v[34:35], 0x3ff71547652b82fe, v[20:21]
	v_add_f64_e32 v[44:45], v[32:33], v[16:17]
	v_add_f64_e64 v[22:23], v[22:23], -v[26:27]
	v_fma_f64 v[26:27], v[28:29], s[6:7], -v[40:41]
	v_add_f64_e64 v[18:19], v[18:19], -v[24:25]
	v_fma_f64 v[20:21], v[38:39], s[6:7], -v[42:43]
	v_fmac_f64_e32 v[34:35], 0x3c7777d0ffda0d24, v[30:31]
	v_mul_f64_e32 v[24:25], 0x3ff71547652b82fe, v[44:45]
	v_subrev_co_ci_u32_e64 v30, null, 0, v46, vcc_lo
	v_fmac_f64_e32 v[26:27], 0x3ff71547652b82fe, v[22:23]
	v_add_f64_e64 v[22:23], v[44:45], -v[32:33]
	v_frexp_exp_i32_f64_e32 v32, v[8:9]
	s_delay_alu instid0(VALU_DEP_4)
	v_cvt_f64_i32_e32 v[30:31], v30
	v_frexp_exp_i32_f64_e32 v46, v[2:3]
	v_cmp_class_f64_e64 vcc_lo, v[6:7], 0x204
	v_fmac_f64_e32 v[20:21], 0x3ff71547652b82fe, v[18:19]
	v_add_f64_e32 v[18:19], v[36:37], v[34:35]
	v_fmac_f64_e32 v[26:27], 0x3c7777d0ffda0d24, v[28:29]
	v_add_f64_e64 v[16:17], v[16:17], -v[22:23]
	v_fma_f64 v[22:23], v[44:45], s[6:7], -v[24:25]
	v_subrev_co_ci_u32_e64 v28, null, 0, v32, s1
	v_cmp_class_f64_e64 s1, v[2:3], 0x204
	s_delay_alu instid0(VALU_DEP_2)
	v_cvt_f64_i32_e32 v[28:29], v28
	v_fmac_f64_e32 v[20:21], 0x3c7777d0ffda0d24, v[38:39]
	v_add_f64_e32 v[38:39], v[18:19], v[30:31]
	v_add_f64_e64 v[36:37], v[18:19], -v[36:37]
	v_add_f64_e32 v[32:33], v[40:41], v[26:27]
	v_fmac_f64_e32 v[22:23], 0x3ff71547652b82fe, v[16:17]
	v_subrev_co_ci_u32_e64 v16, null, 0, v46, s0
	v_cmp_class_f64_e64 s0, v[8:9], 0x204
	s_delay_alu instid0(VALU_DEP_2)
	v_cvt_f64_i32_e32 v[16:17], v16
	v_add_f64_e32 v[46:47], v[42:43], v[20:21]
	v_add_f64_e64 v[50:51], v[38:39], -v[30:31]
	v_add_f64_e64 v[34:35], v[34:35], -v[36:37]
	v_add_f64_e32 v[48:49], v[32:33], v[28:29]
	v_add_f64_e64 v[40:41], v[32:33], -v[40:41]
	v_fmac_f64_e32 v[22:23], 0x3c7777d0ffda0d24, v[44:45]
	v_add_f64_e32 v[44:45], v[46:47], v[16:17]
	v_add_f64_e64 v[42:43], v[46:47], -v[42:43]
	v_add_f64_e64 v[56:57], v[50:51], -v[38:39]
	;; [unrolled: 1-line block ×5, first 2 shown]
	v_add_f64_e32 v[58:59], v[24:25], v[22:23]
	v_add_f64_e64 v[50:51], v[44:45], -v[16:17]
	v_add_f64_e64 v[20:21], v[20:21], -v[42:43]
	v_add_f64_e32 v[30:31], v[56:57], v[30:31]
	v_add_f64_e64 v[32:33], v[32:33], -v[52:53]
	v_add_f64_e64 v[52:53], v[52:53], -v[48:49]
	;; [unrolled: 3-line block ×3, first 2 shown]
	v_add_f64_e64 v[50:51], v[50:51], -v[44:45]
	v_add_f64_e32 v[18:19], v[18:19], v[30:31]
	v_add_f64_e32 v[28:29], v[52:53], v[28:29]
	v_add_f64_e64 v[52:53], v[56:57], -v[54:55]
	v_add_f64_e64 v[22:23], v[22:23], -v[24:25]
	v_add_f64_e32 v[16:17], v[50:51], v[16:17]
	v_add_f64_e32 v[18:19], v[34:35], v[18:19]
	;; [unrolled: 1-line block ×3, first 2 shown]
	v_add_f64_e64 v[50:51], v[52:53], -v[56:57]
	v_add_f64_e64 v[52:53], v[58:59], -v[52:53]
	v_add_f64_e32 v[16:17], v[46:47], v[16:17]
	v_add_f64_e32 v[18:19], v[38:39], v[18:19]
	;; [unrolled: 1-line block ×4, first 2 shown]
	s_delay_alu instid0(VALU_DEP_3) | instskip(NEXT) | instid1(VALU_DEP_4)
	v_dual_add_f64 v[16:17], v[20:21], v[16:17] :: v_dual_cndmask_b32 v18, v18, v6, vcc_lo
	v_cndmask_b32_e32 v19, v19, v7, vcc_lo
	v_cmp_ngt_f64_e32 vcc_lo, 0, v[6:7]
	s_delay_alu instid0(VALU_DEP_4) | instskip(NEXT) | instid1(VALU_DEP_4)
	v_add_f64_e32 v[24:25], v[52:53], v[50:51]
	v_add_f64_e32 v[16:17], v[44:45], v[16:17]
	s_delay_alu instid0(VALU_DEP_4) | instskip(SKIP_1) | instid1(VALU_DEP_4)
	v_cndmask_b32_e32 v19, 0x7ff80000, v19, vcc_lo
	v_cmp_nge_f64_e32 vcc_lo, 0, v[6:7]
	v_add_f64_e32 v[20:21], v[22:23], v[24:25]
	v_add_f64_e32 v[22:23], v[48:49], v[26:27]
	v_lshlrev_b64_e32 v[24:25], 2, v[0:1]
	v_dual_cndmask_b32 v26, v16, v2, s1 :: v_dual_cndmask_b32 v17, v17, v3, s1
	v_cndmask_b32_e32 v16, 0, v18, vcc_lo
	v_cmp_ngt_f64_e32 vcc_lo, 0, v[8:9]
	v_add_f64_e32 v[20:21], v[56:57], v[20:21]
	v_dual_cndmask_b32 v23, v23, v9, s0 :: v_dual_cndmask_b32 v22, v22, v8, s0
	s_delay_alu instid0(VALU_DEP_1) | instskip(SKIP_1) | instid1(VALU_DEP_4)
	v_cndmask_b32_e32 v23, 0x7ff80000, v23, vcc_lo
	v_cmp_nge_f64_e32 vcc_lo, 0, v[8:9]
	v_dual_cndmask_b32 v27, v20, v4, s2 :: v_dual_cndmask_b32 v21, v21, v5, s2
	s_delay_alu instid0(VALU_DEP_4)
	v_cndmask_b32_e32 v18, 0, v22, vcc_lo
	v_cmp_ngt_f64_e32 vcc_lo, 0, v[2:3]
	v_cndmask_b32_e32 v28, 0x7ff80000, v17, vcc_lo
	v_cmp_nge_f64_e32 vcc_lo, 0, v[2:3]
	v_cndmask_b32_e32 v20, 0, v26, vcc_lo
	v_cmp_ngt_f64_e32 vcc_lo, 0, v[4:5]
	v_cndmask_b32_e32 v26, 0x7ff80000, v21, vcc_lo
	v_cmp_nge_f64_e32 vcc_lo, 0, v[4:5]
	v_cndmask_b32_e32 v22, 0, v27, vcc_lo
	v_cmp_neq_f64_e32 vcc_lo, 0, v[6:7]
	v_cndmask_b32_e32 v17, 0xfff00000, v19, vcc_lo
	v_cmp_neq_f64_e32 vcc_lo, 0, v[8:9]
	;; [unrolled: 2-line block ×4, first 2 shown]
	v_cndmask_b32_e32 v23, 0xfff00000, v26, vcc_lo
	v_cmp_ge_i64_e32 vcc_lo, v[24:25], v[10:11]
	s_clause 0x1
	global_store_b128 v[14:15], v[16:19], off offset:-16
	global_store_b128 v[14:15], v[20:23], off
	s_wait_xcnt 0x0
	v_add_nc_u64_e32 v[14:15], s[10:11], v[14:15]
	s_or_b32 s3, vcc_lo, s3
	s_delay_alu instid0(SALU_CYCLE_1)
	s_and_not1_b32 exec_lo, exec_lo, s3
	s_cbranch_execnz .LBB195_24
.LBB195_25:
	s_endpgm
	.section	.rodata,"a",@progbits
	.p2align	6, 0x0
	.amdhsa_kernel _ZN2at6native12_GLOBAL__N_125multi_tensor_apply_kernelINS1_18TensorListMetadataILi1EEENS1_14UnaryOpFunctorIdLi1ELi1ELi0EEEJNS0_4Log2IdEEEEEvT_T0_DpT1_
		.amdhsa_group_segment_fixed_size 0
		.amdhsa_private_segment_fixed_size 0
		.amdhsa_kernarg_size 3632
		.amdhsa_user_sgpr_count 2
		.amdhsa_user_sgpr_dispatch_ptr 0
		.amdhsa_user_sgpr_queue_ptr 0
		.amdhsa_user_sgpr_kernarg_segment_ptr 1
		.amdhsa_user_sgpr_dispatch_id 0
		.amdhsa_user_sgpr_kernarg_preload_length 0
		.amdhsa_user_sgpr_kernarg_preload_offset 0
		.amdhsa_user_sgpr_private_segment_size 0
		.amdhsa_wavefront_size32 1
		.amdhsa_uses_dynamic_stack 0
		.amdhsa_enable_private_segment 0
		.amdhsa_system_sgpr_workgroup_id_x 1
		.amdhsa_system_sgpr_workgroup_id_y 0
		.amdhsa_system_sgpr_workgroup_id_z 0
		.amdhsa_system_sgpr_workgroup_info 0
		.amdhsa_system_vgpr_workitem_id 0
		.amdhsa_next_free_vgpr 60
		.amdhsa_next_free_sgpr 26
		.amdhsa_named_barrier_count 0
		.amdhsa_reserve_vcc 1
		.amdhsa_float_round_mode_32 0
		.amdhsa_float_round_mode_16_64 0
		.amdhsa_float_denorm_mode_32 3
		.amdhsa_float_denorm_mode_16_64 3
		.amdhsa_fp16_overflow 0
		.amdhsa_memory_ordered 1
		.amdhsa_forward_progress 1
		.amdhsa_inst_pref_size 45
		.amdhsa_round_robin_scheduling 0
		.amdhsa_exception_fp_ieee_invalid_op 0
		.amdhsa_exception_fp_denorm_src 0
		.amdhsa_exception_fp_ieee_div_zero 0
		.amdhsa_exception_fp_ieee_overflow 0
		.amdhsa_exception_fp_ieee_underflow 0
		.amdhsa_exception_fp_ieee_inexact 0
		.amdhsa_exception_int_div_zero 0
	.end_amdhsa_kernel
	.section	.text._ZN2at6native12_GLOBAL__N_125multi_tensor_apply_kernelINS1_18TensorListMetadataILi1EEENS1_14UnaryOpFunctorIdLi1ELi1ELi0EEEJNS0_4Log2IdEEEEEvT_T0_DpT1_,"axG",@progbits,_ZN2at6native12_GLOBAL__N_125multi_tensor_apply_kernelINS1_18TensorListMetadataILi1EEENS1_14UnaryOpFunctorIdLi1ELi1ELi0EEEJNS0_4Log2IdEEEEEvT_T0_DpT1_,comdat
.Lfunc_end195:
	.size	_ZN2at6native12_GLOBAL__N_125multi_tensor_apply_kernelINS1_18TensorListMetadataILi1EEENS1_14UnaryOpFunctorIdLi1ELi1ELi0EEEJNS0_4Log2IdEEEEEvT_T0_DpT1_, .Lfunc_end195-_ZN2at6native12_GLOBAL__N_125multi_tensor_apply_kernelINS1_18TensorListMetadataILi1EEENS1_14UnaryOpFunctorIdLi1ELi1ELi0EEEJNS0_4Log2IdEEEEEvT_T0_DpT1_
                                        ; -- End function
	.set _ZN2at6native12_GLOBAL__N_125multi_tensor_apply_kernelINS1_18TensorListMetadataILi1EEENS1_14UnaryOpFunctorIdLi1ELi1ELi0EEEJNS0_4Log2IdEEEEEvT_T0_DpT1_.num_vgpr, 60
	.set _ZN2at6native12_GLOBAL__N_125multi_tensor_apply_kernelINS1_18TensorListMetadataILi1EEENS1_14UnaryOpFunctorIdLi1ELi1ELi0EEEJNS0_4Log2IdEEEEEvT_T0_DpT1_.num_agpr, 0
	.set _ZN2at6native12_GLOBAL__N_125multi_tensor_apply_kernelINS1_18TensorListMetadataILi1EEENS1_14UnaryOpFunctorIdLi1ELi1ELi0EEEJNS0_4Log2IdEEEEEvT_T0_DpT1_.numbered_sgpr, 26
	.set _ZN2at6native12_GLOBAL__N_125multi_tensor_apply_kernelINS1_18TensorListMetadataILi1EEENS1_14UnaryOpFunctorIdLi1ELi1ELi0EEEJNS0_4Log2IdEEEEEvT_T0_DpT1_.num_named_barrier, 0
	.set _ZN2at6native12_GLOBAL__N_125multi_tensor_apply_kernelINS1_18TensorListMetadataILi1EEENS1_14UnaryOpFunctorIdLi1ELi1ELi0EEEJNS0_4Log2IdEEEEEvT_T0_DpT1_.private_seg_size, 0
	.set _ZN2at6native12_GLOBAL__N_125multi_tensor_apply_kernelINS1_18TensorListMetadataILi1EEENS1_14UnaryOpFunctorIdLi1ELi1ELi0EEEJNS0_4Log2IdEEEEEvT_T0_DpT1_.uses_vcc, 1
	.set _ZN2at6native12_GLOBAL__N_125multi_tensor_apply_kernelINS1_18TensorListMetadataILi1EEENS1_14UnaryOpFunctorIdLi1ELi1ELi0EEEJNS0_4Log2IdEEEEEvT_T0_DpT1_.uses_flat_scratch, 0
	.set _ZN2at6native12_GLOBAL__N_125multi_tensor_apply_kernelINS1_18TensorListMetadataILi1EEENS1_14UnaryOpFunctorIdLi1ELi1ELi0EEEJNS0_4Log2IdEEEEEvT_T0_DpT1_.has_dyn_sized_stack, 0
	.set _ZN2at6native12_GLOBAL__N_125multi_tensor_apply_kernelINS1_18TensorListMetadataILi1EEENS1_14UnaryOpFunctorIdLi1ELi1ELi0EEEJNS0_4Log2IdEEEEEvT_T0_DpT1_.has_recursion, 0
	.set _ZN2at6native12_GLOBAL__N_125multi_tensor_apply_kernelINS1_18TensorListMetadataILi1EEENS1_14UnaryOpFunctorIdLi1ELi1ELi0EEEJNS0_4Log2IdEEEEEvT_T0_DpT1_.has_indirect_call, 0
	.section	.AMDGPU.csdata,"",@progbits
; Kernel info:
; codeLenInByte = 5708
; TotalNumSgprs: 28
; NumVgprs: 60
; ScratchSize: 0
; MemoryBound: 0
; FloatMode: 240
; IeeeMode: 1
; LDSByteSize: 0 bytes/workgroup (compile time only)
; SGPRBlocks: 0
; VGPRBlocks: 3
; NumSGPRsForWavesPerEU: 28
; NumVGPRsForWavesPerEU: 60
; NamedBarCnt: 0
; Occupancy: 16
; WaveLimiterHint : 0
; COMPUTE_PGM_RSRC2:SCRATCH_EN: 0
; COMPUTE_PGM_RSRC2:USER_SGPR: 2
; COMPUTE_PGM_RSRC2:TRAP_HANDLER: 0
; COMPUTE_PGM_RSRC2:TGID_X_EN: 1
; COMPUTE_PGM_RSRC2:TGID_Y_EN: 0
; COMPUTE_PGM_RSRC2:TGID_Z_EN: 0
; COMPUTE_PGM_RSRC2:TIDIG_COMP_CNT: 0
	.section	.text._ZN2at6native12_GLOBAL__N_125multi_tensor_apply_kernelINS1_18TensorListMetadataILi1EEENS1_14UnaryOpFunctorIfLi1ELi1ELi0EEEJNS0_4Log2IfEEEEEvT_T0_DpT1_,"axG",@progbits,_ZN2at6native12_GLOBAL__N_125multi_tensor_apply_kernelINS1_18TensorListMetadataILi1EEENS1_14UnaryOpFunctorIfLi1ELi1ELi0EEEJNS0_4Log2IfEEEEEvT_T0_DpT1_,comdat
	.globl	_ZN2at6native12_GLOBAL__N_125multi_tensor_apply_kernelINS1_18TensorListMetadataILi1EEENS1_14UnaryOpFunctorIfLi1ELi1ELi0EEEJNS0_4Log2IfEEEEEvT_T0_DpT1_ ; -- Begin function _ZN2at6native12_GLOBAL__N_125multi_tensor_apply_kernelINS1_18TensorListMetadataILi1EEENS1_14UnaryOpFunctorIfLi1ELi1ELi0EEEJNS0_4Log2IfEEEEEvT_T0_DpT1_
	.p2align	8
	.type	_ZN2at6native12_GLOBAL__N_125multi_tensor_apply_kernelINS1_18TensorListMetadataILi1EEENS1_14UnaryOpFunctorIfLi1ELi1ELi0EEEJNS0_4Log2IfEEEEEvT_T0_DpT1_,@function
_ZN2at6native12_GLOBAL__N_125multi_tensor_apply_kernelINS1_18TensorListMetadataILi1EEENS1_14UnaryOpFunctorIfLi1ELi1ELi0EEEJNS0_4Log2IfEEEEEvT_T0_DpT1_: ; @_ZN2at6native12_GLOBAL__N_125multi_tensor_apply_kernelINS1_18TensorListMetadataILi1EEENS1_14UnaryOpFunctorIfLi1ELi1ELi0EEEJNS0_4Log2IfEEEEEvT_T0_DpT1_
; %bb.0:
	s_bfe_u32 s2, ttmp6, 0x4000c
	s_and_b32 s3, ttmp6, 15
	s_add_co_i32 s2, s2, 1
	s_getreg_b32 s4, hwreg(HW_REG_IB_STS2, 6, 4)
	s_mul_i32 s2, ttmp9, s2
	s_delay_alu instid0(SALU_CYCLE_1)
	s_add_co_i32 s3, s3, s2
	s_cmp_eq_u32 s4, 0
	s_cselect_b32 s2, ttmp9, s3
	s_mov_b32 s3, 0
	s_load_u8 s10, s[0:1], s2 offset:0x6e0
	s_add_nc_u64 s[4:5], s[0:1], s[2:3]
	s_mul_u64 s[6:7], s[2:3], 3
	s_delay_alu instid0(SALU_CYCLE_1)
	s_add_nc_u64 s[4:5], s[4:5], s[6:7]
	s_load_b32 s6, s[4:5], 0x820
	s_wait_kmcnt 0x0
	s_clause 0x1
	s_load_b64 s[8:9], s[0:1], s10 offset:0x0 scale_offset
	s_load_b64 s[12:13], s[0:1], s10 offset:0x370 scale_offset
	s_ashr_i32 s7, s6, 31
	s_wait_kmcnt 0x0
	s_and_b64 s[4:5], s[8:9], 15
	s_and_b32 s2, s12, 3
	s_lshl_b64 s[10:11], s[6:7], 18
	s_or_b64 s[2:3], s[4:5], s[2:3]
	s_lshl_b64 s[4:5], s[6:7], 16
	s_cmp_eq_u64 s[2:3], 0
	s_sub_nc_u64 s[6:7], s[12:13], s[4:5]
	s_cbranch_scc1 .LBB196_21
; %bb.1:
	v_cmp_lt_i64_e64 s2, s[6:7], 1
	s_and_b32 vcc_lo, exec_lo, s2
	s_cbranch_vccnz .LBB196_20
; %bb.2:
	s_load_b32 s4, s[0:1], 0xd3c
	v_min_i64 v[2:3], 0x10000, s[6:7]
	v_min_u64 v[4:5], 0x10000, s[6:7]
	v_dual_mov_b32 v1, 0 :: v_dual_lshlrev_b32 v8, 2, v0
	s_mov_b32 s19, 0
	s_add_nc_u64 s[2:3], s[8:9], s[10:11]
	s_mov_b32 s5, s19
	s_delay_alu instid0(VALU_DEP_1)
	v_mov_b32_e32 v15, v1
	s_mov_b32 s17, s19
	s_mov_b32 s13, s19
	;; [unrolled: 1-line block ×3, first 2 shown]
	s_mov_b64 s[20:21], 0
	s_wait_kmcnt 0x0
	s_and_b32 s18, s4, 0xffff
	s_delay_alu instid0(SALU_CYCLE_1)
	v_add_nc_u64_e32 v[6:7], s[18:19], v[0:1]
	v_mov_b32_e32 v9, v1
	s_lshl_b32 s4, s18, 1
	s_mul_i32 s16, s18, 3
	v_add_nc_u64_e32 v[12:13], s[4:5], v[0:1]
	v_add_nc_u64_e32 v[10:11], s[16:17], v[0:1]
	s_lshl_b32 s12, s18, 2
	v_lshlrev_b32_e32 v14, 2, v6
	v_add_nc_u64_e32 v[8:9], s[2:3], v[8:9]
	s_lshl_b32 s14, s18, 4
	s_mul_u64 s[16:17], s[18:19], 12
	s_lshl_b32 s18, s18, 3
	v_add_nc_u64_e32 v[14:15], s[2:3], v[14:15]
	s_branch .LBB196_4
.LBB196_3:                              ;   in Loop: Header=BB196_4 Depth=1
	s_wait_xcnt 0x0
	s_or_b32 exec_lo, exec_lo, s2
	s_add_nc_u64 s[20:21], s[20:21], s[12:13]
	v_add_nc_u64_e32 v[8:9], s[14:15], v[8:9]
	v_cmp_lt_i64_e32 vcc_lo, s[20:21], v[2:3]
	v_add_nc_u64_e32 v[14:15], s[14:15], v[14:15]
	s_cbranch_vccz .LBB196_20
.LBB196_4:                              ; =>This Inner Loop Header: Depth=1
	v_add_nc_u64_e32 v[16:17], s[20:21], v[0:1]
	s_wait_loadcnt 0x0
	v_mov_b32_e32 v21, 0
	s_delay_alu instid0(VALU_DEP_2)
	v_cmp_lt_u64_e64 s4, v[16:17], v[4:5]
	s_and_saveexec_b32 s2, s4
	s_cbranch_execz .LBB196_6
; %bb.5:                                ;   in Loop: Header=BB196_4 Depth=1
	global_load_b32 v21, v[8:9], off
.LBB196_6:                              ;   in Loop: Header=BB196_4 Depth=1
	s_wait_xcnt 0x0
	s_or_b32 exec_lo, exec_lo, s2
	v_add_nc_u64_e32 v[16:17], s[20:21], v[6:7]
	v_dual_mov_b32 v20, 0 :: v_dual_mov_b32 v22, 0
	s_delay_alu instid0(VALU_DEP_2)
	v_cmp_lt_u64_e32 vcc_lo, v[16:17], v[4:5]
	s_and_saveexec_b32 s2, vcc_lo
	s_cbranch_execz .LBB196_8
; %bb.7:                                ;   in Loop: Header=BB196_4 Depth=1
	global_load_b32 v22, v[14:15], off
.LBB196_8:                              ;   in Loop: Header=BB196_4 Depth=1
	s_wait_xcnt 0x0
	s_or_b32 exec_lo, exec_lo, s2
	v_add_nc_u64_e32 v[16:17], s[20:21], v[12:13]
	s_delay_alu instid0(VALU_DEP_1)
	v_cmp_lt_u64_e64 s2, v[16:17], v[4:5]
	v_add_nc_u64_e32 v[16:17], s[18:19], v[8:9]
	s_and_saveexec_b32 s3, s2
	s_cbranch_execz .LBB196_10
; %bb.9:                                ;   in Loop: Header=BB196_4 Depth=1
	global_load_b32 v20, v[16:17], off
.LBB196_10:                             ;   in Loop: Header=BB196_4 Depth=1
	s_wait_xcnt 0x0
	s_or_b32 exec_lo, exec_lo, s3
	v_add_nc_u64_e32 v[18:19], s[20:21], v[10:11]
	v_mov_b32_e32 v23, 0
	s_delay_alu instid0(VALU_DEP_2)
	v_cmp_lt_u64_e64 s3, v[18:19], v[4:5]
	v_add_nc_u64_e32 v[18:19], s[16:17], v[8:9]
	s_and_saveexec_b32 s5, s3
	s_cbranch_execnz .LBB196_15
; %bb.11:                               ;   in Loop: Header=BB196_4 Depth=1
	s_or_b32 exec_lo, exec_lo, s5
	s_and_saveexec_b32 s5, s4
	s_cbranch_execnz .LBB196_16
.LBB196_12:                             ;   in Loop: Header=BB196_4 Depth=1
	s_or_b32 exec_lo, exec_lo, s5
	s_and_saveexec_b32 s4, vcc_lo
	s_cbranch_execnz .LBB196_17
.LBB196_13:                             ;   in Loop: Header=BB196_4 Depth=1
	s_or_b32 exec_lo, exec_lo, s4
	s_and_saveexec_b32 s4, s2
	s_cbranch_execnz .LBB196_18
.LBB196_14:                             ;   in Loop: Header=BB196_4 Depth=1
	s_or_b32 exec_lo, exec_lo, s4
	s_and_saveexec_b32 s2, s3
	s_cbranch_execz .LBB196_3
	s_branch .LBB196_19
.LBB196_15:                             ;   in Loop: Header=BB196_4 Depth=1
	global_load_b32 v23, v[18:19], off
	s_wait_xcnt 0x0
	s_or_b32 exec_lo, exec_lo, s5
	s_and_saveexec_b32 s5, s4
	s_cbranch_execz .LBB196_12
.LBB196_16:                             ;   in Loop: Header=BB196_4 Depth=1
	s_wait_loadcnt 0x0
	v_cmp_gt_f32_e64 s4, 0x800000, v21
	s_delay_alu instid0(VALU_DEP_1) | instskip(SKIP_1) | instid1(VALU_DEP_2)
	v_cndmask_b32_e64 v25, 0, 32, s4
	v_cndmask_b32_e64 v24, 0, 0x42000000, s4
	v_ldexp_f32 v21, v21, v25
	s_delay_alu instid0(VALU_DEP_1) | instskip(SKIP_1) | instid1(TRANS32_DEP_1)
	v_log_f32_e32 v21, v21
	v_nop
	v_sub_f32_e32 v21, v21, v24
	global_store_b32 v[8:9], v21, off
	s_wait_xcnt 0x0
	s_or_b32 exec_lo, exec_lo, s5
	s_and_saveexec_b32 s4, vcc_lo
	s_cbranch_execz .LBB196_13
.LBB196_17:                             ;   in Loop: Header=BB196_4 Depth=1
	s_wait_loadcnt 0x0
	v_cmp_gt_f32_e32 vcc_lo, 0x800000, v22
	v_cndmask_b32_e64 v24, 0, 32, vcc_lo
	v_cndmask_b32_e64 v21, 0, 0x42000000, vcc_lo
	s_delay_alu instid0(VALU_DEP_2) | instskip(NEXT) | instid1(VALU_DEP_1)
	v_ldexp_f32 v22, v22, v24
	v_log_f32_e32 v22, v22
	v_nop
	s_delay_alu instid0(TRANS32_DEP_1)
	v_sub_f32_e32 v21, v22, v21
	global_store_b32 v[14:15], v21, off
	s_wait_xcnt 0x0
	s_or_b32 exec_lo, exec_lo, s4
	s_and_saveexec_b32 s4, s2
	s_cbranch_execz .LBB196_14
.LBB196_18:                             ;   in Loop: Header=BB196_4 Depth=1
	s_wait_loadcnt 0x0
	v_cmp_gt_f32_e32 vcc_lo, 0x800000, v20
	v_cndmask_b32_e64 v22, 0, 32, vcc_lo
	v_cndmask_b32_e64 v21, 0, 0x42000000, vcc_lo
	s_delay_alu instid0(VALU_DEP_2) | instskip(NEXT) | instid1(VALU_DEP_1)
	v_ldexp_f32 v20, v20, v22
	v_log_f32_e32 v20, v20
	v_nop
	s_delay_alu instid0(TRANS32_DEP_1)
	v_sub_f32_e32 v20, v20, v21
	global_store_b32 v[16:17], v20, off
	s_wait_xcnt 0x0
	s_or_b32 exec_lo, exec_lo, s4
	s_and_saveexec_b32 s2, s3
	s_cbranch_execz .LBB196_3
.LBB196_19:                             ;   in Loop: Header=BB196_4 Depth=1
	s_wait_loadcnt 0x0
	v_cmp_gt_f32_e32 vcc_lo, 0x800000, v23
	v_cndmask_b32_e64 v17, 0, 32, vcc_lo
	v_cndmask_b32_e64 v16, 0, 0x42000000, vcc_lo
	s_delay_alu instid0(VALU_DEP_2) | instskip(NEXT) | instid1(VALU_DEP_1)
	v_ldexp_f32 v17, v23, v17
	v_log_f32_e32 v17, v17
	v_nop
	s_delay_alu instid0(TRANS32_DEP_1)
	v_sub_f32_e32 v16, v17, v16
	global_store_b32 v[18:19], v16, off
	s_branch .LBB196_3
.LBB196_20:
	s_cbranch_execz .LBB196_22
	s_branch .LBB196_30
.LBB196_21:
.LBB196_22:
	v_min_i64 v[2:3], 0x10000, s[6:7]
	v_dual_mov_b32 v5, 0 :: v_dual_lshlrev_b32 v4, 2, v0
	s_mov_b32 s2, exec_lo
	s_delay_alu instid0(VALU_DEP_1)
	v_cmpx_lt_i64_e64 v[4:5], v[2:3]
	s_cbranch_execz .LBB196_30
; %bb.23:
	v_dual_mov_b32 v7, v5 :: v_dual_add_nc_u32 v6, 4, v4
	s_mov_b32 s7, 0
	s_load_b32 s0, s[0:1], 0xd3c
	v_dual_mov_b32 v1, v5 :: v_dual_mov_b32 v9, s7
	s_delay_alu instid0(VALU_DEP_2) | instskip(SKIP_2) | instid1(SALU_CYCLE_1)
	v_max_i64 v[6:7], v[2:3], v[6:7]
	s_wait_kmcnt 0x0
	s_and_b32 s12, s0, 0xffff
	s_cmp_eq_u32 s12, 1
	s_cselect_b32 s0, -1, 0
	s_delay_alu instid0(VALU_DEP_1) | instskip(NEXT) | instid1(VALU_DEP_1)
	v_add_nc_u64_e32 v[6:7], -4, v[6:7]
	v_cmp_ne_u64_e32 vcc_lo, v[6:7], v[4:5]
	v_cndmask_b32_e64 v8, 0, 1, vcc_lo
	s_delay_alu instid0(VALU_DEP_1) | instskip(NEXT) | instid1(VALU_DEP_1)
	v_or_b32_e32 v4, v4, v8
	v_sub_nc_u64_e32 v[6:7], v[6:7], v[4:5]
	s_delay_alu instid0(VALU_DEP_1) | instskip(NEXT) | instid1(VALU_DEP_1)
	v_lshrrev_b64 v[6:7], 2, v[6:7]
	v_add_nc_u64_e32 v[6:7], v[6:7], v[8:9]
	s_delay_alu instid0(VALU_DEP_1)
	v_cmp_ne_u64_e32 vcc_lo, 0, v[6:7]
	s_and_b32 s1, vcc_lo, s0
	s_mov_b32 s0, -1
	s_and_saveexec_b32 s13, s1
	s_cbranch_execz .LBB196_27
; %bb.24:
	v_dual_mov_b32 v9, 0 :: v_dual_lshlrev_b32 v8, 4, v0
	v_add_nc_u64_e32 v[4:5], 1, v[6:7]
	s_add_nc_u64 s[0:1], s[8:9], s[10:11]
	s_delay_alu instid0(VALU_DEP_2) | instid1(SALU_CYCLE_1)
	v_add_nc_u64_e32 v[8:9], s[0:1], v[8:9]
	s_delay_alu instid0(VALU_DEP_2) | instskip(NEXT) | instid1(VALU_DEP_2)
	v_dual_mov_b32 v7, v5 :: v_dual_bitop2_b32 v6, -2, v4 bitop3:0x40
	v_add_nc_u64_e32 v[8:9], 28, v[8:9]
	s_delay_alu instid0(VALU_DEP_2)
	v_mov_b64_e32 v[10:11], v[6:7]
.LBB196_25:                             ; =>This Inner Loop Header: Depth=1
	s_clause 0x1
	global_load_b128 v[12:15], v[8:9], off offset:-12
	global_load_b128 v[16:19], v[8:9], off offset:-28
	v_add_nc_u64_e32 v[10:11], -2, v[10:11]
	s_wait_loadcnt 0x1
	v_cmp_gt_f32_e64 s3, 0x800000, v14
	s_wait_loadcnt 0x0
	v_cmp_gt_f32_e64 s0, 0x800000, v16
	v_cmp_gt_f32_e64 s2, 0x800000, v17
	;; [unrolled: 1-line block ×4, first 2 shown]
	v_cmp_gt_f32_e32 vcc_lo, 0x800000, v12
	v_cmp_gt_f32_e64 s1, 0x800000, v13
	v_cmp_gt_f32_e64 s5, 0x800000, v15
	v_cndmask_b32_e64 v29, 0, 32, s0
	v_cndmask_b32_e64 v31, 0, 32, s2
	v_cndmask_b32_e64 v32, 0, 32, s3
	v_cndmask_b32_e64 v33, 0, 32, s4
	v_cndmask_b32_e64 v35, 0, 32, s6
	v_cndmask_b32_e64 v28, 0, 32, vcc_lo
	v_cndmask_b32_e64 v30, 0, 32, s1
	v_cndmask_b32_e64 v34, 0, 32, s5
	v_ldexp_f32 v16, v16, v29
	v_ldexp_f32 v17, v17, v31
	;; [unrolled: 1-line block ×8, first 2 shown]
	v_log_f32_e32 v16, v16
	v_log_f32_e32 v17, v17
	;; [unrolled: 1-line block ×8, first 2 shown]
	v_cndmask_b32_e64 v21, 0, 0x42000000, s0
	v_cndmask_b32_e64 v23, 0, 0x42000000, s2
	;; [unrolled: 1-line block ×5, first 2 shown]
	v_cndmask_b32_e64 v20, 0, 0x42000000, vcc_lo
	v_cndmask_b32_e64 v22, 0, 0x42000000, s1
	v_cndmask_b32_e64 v26, 0, 0x42000000, s5
	v_dual_sub_f32 v16, v16, v21 :: v_dual_sub_f32 v17, v17, v23
	v_dual_sub_f32 v14, v14, v24 :: v_dual_sub_f32 v19, v19, v27
	s_delay_alu instid0(VALU_DEP_3)
	v_dual_sub_f32 v18, v18, v25 :: v_dual_sub_f32 v15, v15, v26
	v_dual_sub_f32 v12, v12, v20 :: v_dual_sub_f32 v13, v13, v22
	v_cmp_eq_u64_e32 vcc_lo, 0, v[10:11]
	s_clause 0x1
	global_store_b128 v[8:9], v[16:19], off offset:-28
	global_store_b128 v[8:9], v[12:15], off offset:-12
	s_wait_xcnt 0x0
	v_add_nc_u64_e32 v[8:9], 32, v[8:9]
	s_or_b32 s7, vcc_lo, s7
	s_delay_alu instid0(SALU_CYCLE_1)
	s_and_not1_b32 exec_lo, exec_lo, s7
	s_cbranch_execnz .LBB196_25
; %bb.26:
	s_or_b32 exec_lo, exec_lo, s7
	v_cmp_ne_u64_e32 vcc_lo, v[4:5], v[6:7]
	v_add_nc_u64_e32 v[0:1], v[6:7], v[0:1]
	s_or_not1_b32 s0, vcc_lo, exec_lo
.LBB196_27:
	s_or_b32 exec_lo, exec_lo, s13
	s_delay_alu instid0(SALU_CYCLE_1)
	s_and_b32 exec_lo, exec_lo, s0
	s_cbranch_execz .LBB196_30
; %bb.28:
	s_add_nc_u64 s[0:1], s[8:9], s[10:11]
	s_mov_b32 s13, 0
	v_lshl_add_u64 v[4:5], v[0:1], 4, s[0:1]
	s_lshl_b32 s4, s12, 4
	s_mov_b32 s5, s13
	s_mov_b32 s3, s13
	s_delay_alu instid0(VALU_DEP_1)
	v_add_nc_u64_e32 v[4:5], 8, v[4:5]
.LBB196_29:                             ; =>This Inner Loop Header: Depth=1
	global_load_b128 v[6:9], v[4:5], off offset:-8
	v_add_nc_u64_e32 v[0:1], s[12:13], v[0:1]
	s_wait_loadcnt 0x0
	v_cmp_gt_f32_e32 vcc_lo, 0x800000, v6
	v_cmp_gt_f32_e64 s0, 0x800000, v7
	v_cmp_gt_f32_e64 s1, 0x800000, v8
	;; [unrolled: 1-line block ×3, first 2 shown]
	v_cndmask_b32_e64 v10, 0, 32, vcc_lo
	s_delay_alu instid0(VALU_DEP_4) | instskip(NEXT) | instid1(VALU_DEP_4)
	v_cndmask_b32_e64 v11, 0, 32, s0
	v_cndmask_b32_e64 v16, 0, 32, s1
	s_delay_alu instid0(VALU_DEP_4)
	v_cndmask_b32_e64 v17, 0, 32, s2
	v_cndmask_b32_e64 v12, 0, 0x42000000, vcc_lo
	v_ldexp_f32 v6, v6, v10
	v_ldexp_f32 v7, v7, v11
	;; [unrolled: 1-line block ×4, first 2 shown]
	v_cndmask_b32_e64 v13, 0, 0x42000000, s0
	v_log_f32_e32 v6, v6
	v_log_f32_e32 v7, v7
	;; [unrolled: 1-line block ×4, first 2 shown]
	v_cndmask_b32_e64 v14, 0, 0x42000000, s1
	v_cndmask_b32_e64 v15, 0, 0x42000000, s2
	v_lshlrev_b64_e32 v[10:11], 2, v[0:1]
	s_delay_alu instid0(TRANS32_DEP_3)
	v_dual_sub_f32 v6, v6, v12 :: v_dual_sub_f32 v7, v7, v13
	s_delay_alu instid0(TRANS32_DEP_1) | instid1(VALU_DEP_3)
	v_dual_sub_f32 v8, v8, v14 :: v_dual_sub_f32 v9, v9, v15
	s_delay_alu instid0(VALU_DEP_3) | instskip(SKIP_4) | instid1(SALU_CYCLE_1)
	v_cmp_ge_i64_e32 vcc_lo, v[10:11], v[2:3]
	global_store_b128 v[4:5], v[6:9], off offset:-8
	s_wait_xcnt 0x0
	v_add_nc_u64_e32 v[4:5], s[4:5], v[4:5]
	s_or_b32 s3, vcc_lo, s3
	s_and_not1_b32 exec_lo, exec_lo, s3
	s_cbranch_execnz .LBB196_29
.LBB196_30:
	s_endpgm
	.section	.rodata,"a",@progbits
	.p2align	6, 0x0
	.amdhsa_kernel _ZN2at6native12_GLOBAL__N_125multi_tensor_apply_kernelINS1_18TensorListMetadataILi1EEENS1_14UnaryOpFunctorIfLi1ELi1ELi0EEEJNS0_4Log2IfEEEEEvT_T0_DpT1_
		.amdhsa_group_segment_fixed_size 0
		.amdhsa_private_segment_fixed_size 0
		.amdhsa_kernarg_size 3632
		.amdhsa_user_sgpr_count 2
		.amdhsa_user_sgpr_dispatch_ptr 0
		.amdhsa_user_sgpr_queue_ptr 0
		.amdhsa_user_sgpr_kernarg_segment_ptr 1
		.amdhsa_user_sgpr_dispatch_id 0
		.amdhsa_user_sgpr_kernarg_preload_length 0
		.amdhsa_user_sgpr_kernarg_preload_offset 0
		.amdhsa_user_sgpr_private_segment_size 0
		.amdhsa_wavefront_size32 1
		.amdhsa_uses_dynamic_stack 0
		.amdhsa_enable_private_segment 0
		.amdhsa_system_sgpr_workgroup_id_x 1
		.amdhsa_system_sgpr_workgroup_id_y 0
		.amdhsa_system_sgpr_workgroup_id_z 0
		.amdhsa_system_sgpr_workgroup_info 0
		.amdhsa_system_vgpr_workitem_id 0
		.amdhsa_next_free_vgpr 36
		.amdhsa_next_free_sgpr 22
		.amdhsa_named_barrier_count 0
		.amdhsa_reserve_vcc 1
		.amdhsa_float_round_mode_32 0
		.amdhsa_float_round_mode_16_64 0
		.amdhsa_float_denorm_mode_32 3
		.amdhsa_float_denorm_mode_16_64 3
		.amdhsa_fp16_overflow 0
		.amdhsa_memory_ordered 1
		.amdhsa_forward_progress 1
		.amdhsa_inst_pref_size 16
		.amdhsa_round_robin_scheduling 0
		.amdhsa_exception_fp_ieee_invalid_op 0
		.amdhsa_exception_fp_denorm_src 0
		.amdhsa_exception_fp_ieee_div_zero 0
		.amdhsa_exception_fp_ieee_overflow 0
		.amdhsa_exception_fp_ieee_underflow 0
		.amdhsa_exception_fp_ieee_inexact 0
		.amdhsa_exception_int_div_zero 0
	.end_amdhsa_kernel
	.section	.text._ZN2at6native12_GLOBAL__N_125multi_tensor_apply_kernelINS1_18TensorListMetadataILi1EEENS1_14UnaryOpFunctorIfLi1ELi1ELi0EEEJNS0_4Log2IfEEEEEvT_T0_DpT1_,"axG",@progbits,_ZN2at6native12_GLOBAL__N_125multi_tensor_apply_kernelINS1_18TensorListMetadataILi1EEENS1_14UnaryOpFunctorIfLi1ELi1ELi0EEEJNS0_4Log2IfEEEEEvT_T0_DpT1_,comdat
.Lfunc_end196:
	.size	_ZN2at6native12_GLOBAL__N_125multi_tensor_apply_kernelINS1_18TensorListMetadataILi1EEENS1_14UnaryOpFunctorIfLi1ELi1ELi0EEEJNS0_4Log2IfEEEEEvT_T0_DpT1_, .Lfunc_end196-_ZN2at6native12_GLOBAL__N_125multi_tensor_apply_kernelINS1_18TensorListMetadataILi1EEENS1_14UnaryOpFunctorIfLi1ELi1ELi0EEEJNS0_4Log2IfEEEEEvT_T0_DpT1_
                                        ; -- End function
	.set _ZN2at6native12_GLOBAL__N_125multi_tensor_apply_kernelINS1_18TensorListMetadataILi1EEENS1_14UnaryOpFunctorIfLi1ELi1ELi0EEEJNS0_4Log2IfEEEEEvT_T0_DpT1_.num_vgpr, 36
	.set _ZN2at6native12_GLOBAL__N_125multi_tensor_apply_kernelINS1_18TensorListMetadataILi1EEENS1_14UnaryOpFunctorIfLi1ELi1ELi0EEEJNS0_4Log2IfEEEEEvT_T0_DpT1_.num_agpr, 0
	.set _ZN2at6native12_GLOBAL__N_125multi_tensor_apply_kernelINS1_18TensorListMetadataILi1EEENS1_14UnaryOpFunctorIfLi1ELi1ELi0EEEJNS0_4Log2IfEEEEEvT_T0_DpT1_.numbered_sgpr, 22
	.set _ZN2at6native12_GLOBAL__N_125multi_tensor_apply_kernelINS1_18TensorListMetadataILi1EEENS1_14UnaryOpFunctorIfLi1ELi1ELi0EEEJNS0_4Log2IfEEEEEvT_T0_DpT1_.num_named_barrier, 0
	.set _ZN2at6native12_GLOBAL__N_125multi_tensor_apply_kernelINS1_18TensorListMetadataILi1EEENS1_14UnaryOpFunctorIfLi1ELi1ELi0EEEJNS0_4Log2IfEEEEEvT_T0_DpT1_.private_seg_size, 0
	.set _ZN2at6native12_GLOBAL__N_125multi_tensor_apply_kernelINS1_18TensorListMetadataILi1EEENS1_14UnaryOpFunctorIfLi1ELi1ELi0EEEJNS0_4Log2IfEEEEEvT_T0_DpT1_.uses_vcc, 1
	.set _ZN2at6native12_GLOBAL__N_125multi_tensor_apply_kernelINS1_18TensorListMetadataILi1EEENS1_14UnaryOpFunctorIfLi1ELi1ELi0EEEJNS0_4Log2IfEEEEEvT_T0_DpT1_.uses_flat_scratch, 0
	.set _ZN2at6native12_GLOBAL__N_125multi_tensor_apply_kernelINS1_18TensorListMetadataILi1EEENS1_14UnaryOpFunctorIfLi1ELi1ELi0EEEJNS0_4Log2IfEEEEEvT_T0_DpT1_.has_dyn_sized_stack, 0
	.set _ZN2at6native12_GLOBAL__N_125multi_tensor_apply_kernelINS1_18TensorListMetadataILi1EEENS1_14UnaryOpFunctorIfLi1ELi1ELi0EEEJNS0_4Log2IfEEEEEvT_T0_DpT1_.has_recursion, 0
	.set _ZN2at6native12_GLOBAL__N_125multi_tensor_apply_kernelINS1_18TensorListMetadataILi1EEENS1_14UnaryOpFunctorIfLi1ELi1ELi0EEEJNS0_4Log2IfEEEEEvT_T0_DpT1_.has_indirect_call, 0
	.section	.AMDGPU.csdata,"",@progbits
; Kernel info:
; codeLenInByte = 1996
; TotalNumSgprs: 24
; NumVgprs: 36
; ScratchSize: 0
; MemoryBound: 0
; FloatMode: 240
; IeeeMode: 1
; LDSByteSize: 0 bytes/workgroup (compile time only)
; SGPRBlocks: 0
; VGPRBlocks: 2
; NumSGPRsForWavesPerEU: 24
; NumVGPRsForWavesPerEU: 36
; NamedBarCnt: 0
; Occupancy: 16
; WaveLimiterHint : 0
; COMPUTE_PGM_RSRC2:SCRATCH_EN: 0
; COMPUTE_PGM_RSRC2:USER_SGPR: 2
; COMPUTE_PGM_RSRC2:TRAP_HANDLER: 0
; COMPUTE_PGM_RSRC2:TGID_X_EN: 1
; COMPUTE_PGM_RSRC2:TGID_Y_EN: 0
; COMPUTE_PGM_RSRC2:TGID_Z_EN: 0
; COMPUTE_PGM_RSRC2:TIDIG_COMP_CNT: 0
	.section	.text._ZN2at6native12_GLOBAL__N_125multi_tensor_apply_kernelINS1_18TensorListMetadataILi1EEENS1_14UnaryOpFunctorIN3c107complexIdEELi1ELi1ELi0EEEJNS0_4Log2IS8_EEEEEvT_T0_DpT1_,"axG",@progbits,_ZN2at6native12_GLOBAL__N_125multi_tensor_apply_kernelINS1_18TensorListMetadataILi1EEENS1_14UnaryOpFunctorIN3c107complexIdEELi1ELi1ELi0EEEJNS0_4Log2IS8_EEEEEvT_T0_DpT1_,comdat
	.globl	_ZN2at6native12_GLOBAL__N_125multi_tensor_apply_kernelINS1_18TensorListMetadataILi1EEENS1_14UnaryOpFunctorIN3c107complexIdEELi1ELi1ELi0EEEJNS0_4Log2IS8_EEEEEvT_T0_DpT1_ ; -- Begin function _ZN2at6native12_GLOBAL__N_125multi_tensor_apply_kernelINS1_18TensorListMetadataILi1EEENS1_14UnaryOpFunctorIN3c107complexIdEELi1ELi1ELi0EEEJNS0_4Log2IS8_EEEEEvT_T0_DpT1_
	.p2align	8
	.type	_ZN2at6native12_GLOBAL__N_125multi_tensor_apply_kernelINS1_18TensorListMetadataILi1EEENS1_14UnaryOpFunctorIN3c107complexIdEELi1ELi1ELi0EEEJNS0_4Log2IS8_EEEEEvT_T0_DpT1_,@function
_ZN2at6native12_GLOBAL__N_125multi_tensor_apply_kernelINS1_18TensorListMetadataILi1EEENS1_14UnaryOpFunctorIN3c107complexIdEELi1ELi1ELi0EEEJNS0_4Log2IS8_EEEEEvT_T0_DpT1_: ; @_ZN2at6native12_GLOBAL__N_125multi_tensor_apply_kernelINS1_18TensorListMetadataILi1EEENS1_14UnaryOpFunctorIN3c107complexIdEELi1ELi1ELi0EEEJNS0_4Log2IS8_EEEEEvT_T0_DpT1_
; %bb.0:
	s_bfe_u32 s2, ttmp6, 0x4000c
	s_and_b32 s3, ttmp6, 15
	s_add_co_i32 s2, s2, 1
	s_getreg_b32 s4, hwreg(HW_REG_IB_STS2, 6, 4)
	s_mul_i32 s2, ttmp9, s2
	s_delay_alu instid0(SALU_CYCLE_1)
	s_add_co_i32 s3, s3, s2
	s_cmp_eq_u32 s4, 0
	s_cselect_b32 s2, ttmp9, s3
	s_mov_b32 s3, 0
	s_load_u8 s12, s[0:1], s2 offset:0x6e0
	s_add_nc_u64 s[4:5], s[0:1], s[2:3]
	s_mul_u64 s[6:7], s[2:3], 3
	s_delay_alu instid0(SALU_CYCLE_1)
	s_add_nc_u64 s[4:5], s[4:5], s[6:7]
	s_load_b32 s6, s[4:5], 0x820
	s_wait_kmcnt 0x0
	s_clause 0x1
	s_load_b64 s[8:9], s[0:1], s12 offset:0x0 scale_offset
	s_load_b64 s[10:11], s[0:1], s12 offset:0x370 scale_offset
	s_ashr_i32 s7, s6, 31
	s_delay_alu instid0(SALU_CYCLE_1) | instskip(SKIP_3) | instid1(SALU_CYCLE_1)
	s_lshl_b64 s[4:5], s[6:7], 20
	s_wait_kmcnt 0x0
	s_and_b32 s2, s10, 3
	s_add_nc_u64 s[18:19], s[8:9], s[4:5]
	s_and_b64 s[4:5], s[18:19], 63
	s_delay_alu instid0(SALU_CYCLE_1)
	s_or_b64 s[2:3], s[4:5], s[2:3]
	s_lshl_b64 s[4:5], s[6:7], 16
	s_cmp_eq_u64 s[2:3], 0
	s_sub_nc_u64 s[20:21], s[10:11], s[4:5]
	s_cbranch_scc1 .LBB197_157
; %bb.1:
	v_cmp_lt_i64_e64 s2, s[20:21], 1
	s_and_b32 vcc_lo, exec_lo, s2
	s_cbranch_vccnz .LBB197_156
; %bb.2:
	v_min_i64 v[18:19], 0x10000, s[20:21]
	v_min_u64 v[22:23], 0x10000, s[20:21]
	s_load_b32 s2, s[0:1], 0xd3c
	v_dual_mov_b32 v20, 0 :: v_dual_mov_b32 v69, 0x4002d97c
	v_mov_b64_e32 v[24:25], 0x3fc385386b47b09a
	v_mov_b64_e32 v[26:27], 0xbf23e260bd3237f4
	s_delay_alu instid0(VALU_DEP_3)
	v_dual_mov_b32 v68, 0x7f3321d2 :: v_dual_mov_b32 v1, v20
	s_mov_b32 s23, 0
	s_mov_b64 s[24:25], 0x7fd1ccf385ebc8a0
	s_mov_b64 s[26:27], 0x358dee7a4ad4b81f
	;; [unrolled: 1-line block ×5, first 2 shown]
	s_mov_b32 s37, s23
	s_mov_b32 s39, s23
	s_mov_b64 s[40:41], 0x3ff921fb54442d18
	s_mov_b64 s[42:43], 0x400921fb54442d18
	;; [unrolled: 1-line block ×5, first 2 shown]
	s_wait_kmcnt 0x0
	s_and_b32 s22, s2, 0xffff
	s_mov_b32 s51, s23
	s_lshl_b32 s36, s22, 1
	s_mul_i32 s38, s22, 3
	s_lshl_b32 s50, s22, 2
	s_mov_b64 s[52:53], 0
                                        ; implicit-def: $vgpr2_vgpr3
                                        ; implicit-def: $vgpr2_vgpr3
	;; [unrolled: 1-line block ×23, first 2 shown]
	s_branch .LBB197_4
.LBB197_3:                              ;   in Loop: Header=BB197_4 Depth=1
	s_wait_xcnt 0x0
	s_or_b32 exec_lo, exec_lo, s2
	s_add_nc_u64 s[52:53], s[52:53], s[50:51]
	s_delay_alu instid0(SALU_CYCLE_1)
	v_cmp_ge_i64_e32 vcc_lo, s[52:53], v[18:19]
	s_cbranch_vccnz .LBB197_156
.LBB197_4:                              ; =>This Loop Header: Depth=1
                                        ;     Child Loop BB197_23 Depth 2
                                        ;     Child Loop BB197_57 Depth 2
	;; [unrolled: 1-line block ×4, first 2 shown]
	v_add_nc_u64_e32 v[6:7], s[52:53], v[0:1]
	v_mov_b64_e32 v[4:5], 0
	v_mov_b64_e32 v[12:13], 0
	;; [unrolled: 1-line block ×3, first 2 shown]
	s_delay_alu instid0(VALU_DEP_4)
	v_cmp_lt_u64_e64 s2, v[6:7], v[22:23]
	v_lshl_add_u64 v[28:29], v[6:7], 4, s[18:19]
	s_and_saveexec_b32 s3, s2
	s_cbranch_execz .LBB197_6
; %bb.5:                                ;   in Loop: Header=BB197_4 Depth=1
	global_load_b128 v[10:13], v[28:29], off
.LBB197_6:                              ;   in Loop: Header=BB197_4 Depth=1
	s_wait_xcnt 0x0
	s_or_b32 exec_lo, exec_lo, s3
	v_add_nc_u64_e32 v[8:9], s[22:23], v[6:7]
	v_mov_b64_e32 v[2:3], 0
	s_delay_alu instid0(VALU_DEP_2)
	v_cmp_lt_u64_e64 s3, v[8:9], v[22:23]
	v_lshl_add_u64 v[30:31], v[8:9], 4, s[18:19]
	s_and_saveexec_b32 s4, s3
	s_cbranch_execz .LBB197_8
; %bb.7:                                ;   in Loop: Header=BB197_4 Depth=1
	global_load_b128 v[2:5], v[30:31], off
.LBB197_8:                              ;   in Loop: Header=BB197_4 Depth=1
	s_wait_xcnt 0x0
	s_or_b32 exec_lo, exec_lo, s4
	v_add_nc_u64_e32 v[32:33], s[36:37], v[6:7]
	v_mov_b64_e32 v[8:9], 0
	v_mov_b64_e32 v[16:17], 0
	;; [unrolled: 1-line block ×3, first 2 shown]
	s_delay_alu instid0(VALU_DEP_4)
	v_cmp_lt_u64_e64 s4, v[32:33], v[22:23]
	v_lshl_add_u64 v[32:33], v[32:33], 4, s[18:19]
	s_and_saveexec_b32 s5, s4
	s_cbranch_execz .LBB197_10
; %bb.9:                                ;   in Loop: Header=BB197_4 Depth=1
	global_load_b128 v[14:17], v[32:33], off
.LBB197_10:                             ;   in Loop: Header=BB197_4 Depth=1
	s_wait_xcnt 0x0
	s_or_b32 exec_lo, exec_lo, s5
	v_add_nc_u64_e32 v[34:35], s[38:39], v[6:7]
	v_mov_b64_e32 v[6:7], 0
	s_delay_alu instid0(VALU_DEP_2)
	v_cmp_lt_u64_e64 s5, v[34:35], v[22:23]
	v_lshl_add_u64 v[34:35], v[34:35], 4, s[18:19]
	s_and_saveexec_b32 s6, s5
	s_cbranch_execz .LBB197_12
; %bb.11:                               ;   in Loop: Header=BB197_4 Depth=1
	global_load_b128 v[6:9], v[34:35], off
.LBB197_12:                             ;   in Loop: Header=BB197_4 Depth=1
	s_wait_xcnt 0x0
	s_or_b32 exec_lo, exec_lo, s6
                                        ; implicit-def: $vgpr36_vgpr37
                                        ; implicit-def: $vgpr38_vgpr39
	s_delay_alu instid0(SALU_CYCLE_1)
	s_mov_b32 s6, exec_lo
	s_wait_loadcnt 0x0
	v_cmpx_o_f64_e32 v[10:11], v[12:13]
	s_xor_b32 s17, exec_lo, s6
	s_cbranch_execz .LBB197_40
; %bb.13:                               ;   in Loop: Header=BB197_4 Depth=1
	v_cmp_lt_f64_e64 s6, |v[10:11]|, |v[12:13]|
	v_and_b32_e32 v41, 0x7fffffff, v11
	v_and_b32_e32 v21, 0x7fffffff, v13
	v_mov_b32_e32 v40, v12
                                        ; implicit-def: $vgpr36_vgpr37
                                        ; implicit-def: $vgpr38_vgpr39
	s_mov_b32 s7, exec_lo
	s_delay_alu instid0(VALU_DEP_2) | instskip(NEXT) | instid1(VALU_DEP_1)
	v_dual_cndmask_b32 v43, v21, v41, s6 :: v_dual_cndmask_b32 v42, v12, v10, s6
	v_cmpx_nlt_f64_e32 s[24:25], v[42:43]
	s_xor_b32 s33, exec_lo, s7
	s_cbranch_execz .LBB197_37
; %bb.14:                               ;   in Loop: Header=BB197_4 Depth=1
	v_dual_cndmask_b32 v45, v41, v21, s6 :: v_dual_cndmask_b32 v44, v10, v40, s6
                                        ; implicit-def: $vgpr36_vgpr37
                                        ; implicit-def: $vgpr38_vgpr39
	s_mov_b32 s7, exec_lo
	s_delay_alu instid0(VALU_DEP_1)
	v_cmpx_neq_f64_e32 1.0, v[44:45]
	s_xor_b32 s54, exec_lo, s7
	s_cbranch_execz .LBB197_30
; %bb.15:                               ;   in Loop: Header=BB197_4 Depth=1
	v_max_num_f64_e32 v[36:37], v[42:43], v[42:43]
	v_max_num_f64_e32 v[38:39], v[44:45], v[44:45]
	s_delay_alu instid0(VALU_DEP_1) | instskip(SKIP_1) | instid1(VALU_DEP_2)
	v_min_num_f64_e32 v[40:41], v[38:39], v[36:37]
	v_max_num_f64_e32 v[36:37], v[38:39], v[36:37]
                                        ; implicit-def: $vgpr38_vgpr39
	v_cmp_ngt_f64_e32 vcc_lo, s[26:27], v[40:41]
	s_delay_alu instid0(VALU_DEP_2) | instskip(SKIP_1) | instid1(SALU_CYCLE_1)
	v_cmp_nlt_f64_e64 s7, s[28:29], v[36:37]
                                        ; implicit-def: $vgpr36_vgpr37
	s_and_b32 s7, s7, vcc_lo
	s_and_saveexec_b32 s8, s7
	s_delay_alu instid0(SALU_CYCLE_1)
	s_xor_b32 s55, exec_lo, s8
	s_cbranch_execz .LBB197_27
; %bb.16:                               ;   in Loop: Header=BB197_4 Depth=1
                                        ; implicit-def: $vgpr36_vgpr37
                                        ; implicit-def: $vgpr38_vgpr39
	s_mov_b32 s7, exec_lo
	v_cmpx_le_f64_e32 1.0, v[44:45]
	s_xor_b32 s10, exec_lo, s7
	s_cbranch_execz .LBB197_18
; %bb.17:                               ;   in Loop: Header=BB197_4 Depth=1
	v_add_f64_e32 v[36:37], -1.0, v[44:45]
	v_cmp_eq_f64_e64 s7, 0, v[12:13]
	v_add_f64_e32 v[38:39], 1.0, v[44:45]
	v_cmp_class_f64_e64 s12, v[10:11], 0x204
	v_cmp_class_f64_e64 s11, v[12:13], 0x204
	s_delay_alu instid0(VALU_DEP_3) | instskip(NEXT) | instid1(VALU_DEP_1)
	v_mul_f64_e32 v[40:41], v[36:37], v[38:39]
	v_fmac_f64_e32 v[40:41], v[42:43], v[42:43]
	s_delay_alu instid0(VALU_DEP_1) | instskip(SKIP_2) | instid1(VALU_DEP_3)
	v_add_f64_e32 v[36:37], 1.0, v[40:41]
	v_cmp_nge_f64_e64 s8, -1.0, v[40:41]
	v_cmp_neq_f64_e64 s9, 0x7ff00000, v[40:41]
	v_frexp_mant_f64_e32 v[38:39], v[36:37]
	v_frexp_exp_i32_f64_e32 v21, v[36:37]
	v_add_f64_e32 v[42:43], -1.0, v[36:37]
	s_delay_alu instid0(VALU_DEP_3) | instskip(NEXT) | instid1(VALU_DEP_2)
	v_cmp_gt_f64_e32 vcc_lo, s[30:31], v[38:39]
	v_add_f64_e64 v[38:39], v[42:43], -v[36:37]
	v_add_f64_e64 v[42:43], v[40:41], -v[42:43]
	v_subrev_co_ci_u32_e64 v21, null, 0, v21, vcc_lo
	s_delay_alu instid0(VALU_DEP_1) | instskip(NEXT) | instid1(VALU_DEP_1)
	v_dual_add_f64 v[38:39], 1.0, v[38:39] :: v_dual_sub_nc_u32 v46, 0, v21
	v_ldexp_f64 v[36:37], v[36:37], v46
	s_delay_alu instid0(VALU_DEP_2) | instskip(NEXT) | instid1(VALU_DEP_2)
	v_add_f64_e32 v[38:39], v[42:43], v[38:39]
	v_add_f64_e32 v[44:45], 1.0, v[36:37]
	v_add_f64_e32 v[50:51], -1.0, v[36:37]
	s_delay_alu instid0(VALU_DEP_3) | instskip(NEXT) | instid1(VALU_DEP_3)
	v_ldexp_f64 v[38:39], v[38:39], v46
	v_add_f64_e32 v[42:43], -1.0, v[44:45]
	s_delay_alu instid0(VALU_DEP_3) | instskip(NEXT) | instid1(VALU_DEP_2)
	v_add_f64_e32 v[52:53], 1.0, v[50:51]
	v_add_f64_e64 v[42:43], v[36:37], -v[42:43]
	s_delay_alu instid0(VALU_DEP_2) | instskip(NEXT) | instid1(VALU_DEP_2)
	v_add_f64_e64 v[36:37], v[36:37], -v[52:53]
	v_add_f64_e32 v[42:43], v[38:39], v[42:43]
	s_delay_alu instid0(VALU_DEP_2) | instskip(NEXT) | instid1(VALU_DEP_2)
	v_add_f64_e32 v[36:37], v[38:39], v[36:37]
	v_add_f64_e32 v[46:47], v[44:45], v[42:43]
	s_delay_alu instid0(VALU_DEP_2) | instskip(NEXT) | instid1(VALU_DEP_2)
	v_add_f64_e32 v[52:53], v[50:51], v[36:37]
	v_rcp_f64_e32 v[48:49], v[46:47]
	v_add_f64_e64 v[44:45], v[46:47], -v[44:45]
	s_delay_alu instid0(VALU_DEP_2) | instskip(NEXT) | instid1(VALU_DEP_2)
	v_add_f64_e64 v[50:51], v[52:53], -v[50:51]
	v_add_f64_e64 v[42:43], v[42:43], -v[44:45]
	s_delay_alu instid0(VALU_DEP_2) | instskip(NEXT) | instid1(TRANS32_DEP_1)
	v_add_f64_e64 v[36:37], v[36:37], -v[50:51]
	v_fma_f64 v[54:55], -v[46:47], v[48:49], 1.0
	s_delay_alu instid0(VALU_DEP_1) | instskip(NEXT) | instid1(VALU_DEP_1)
	v_fmac_f64_e32 v[48:49], v[54:55], v[48:49]
	v_fma_f64 v[38:39], -v[46:47], v[48:49], 1.0
	s_delay_alu instid0(VALU_DEP_1) | instskip(NEXT) | instid1(VALU_DEP_1)
	v_fmac_f64_e32 v[48:49], v[38:39], v[48:49]
	v_mul_f64_e32 v[38:39], v[52:53], v[48:49]
	s_delay_alu instid0(VALU_DEP_1) | instskip(NEXT) | instid1(VALU_DEP_1)
	v_mul_f64_e32 v[54:55], v[46:47], v[38:39]
	v_fma_f64 v[44:45], v[38:39], v[46:47], -v[54:55]
	s_delay_alu instid0(VALU_DEP_1) | instskip(NEXT) | instid1(VALU_DEP_1)
	v_fmac_f64_e32 v[44:45], v[38:39], v[42:43]
	v_add_f64_e32 v[56:57], v[54:55], v[44:45]
	s_delay_alu instid0(VALU_DEP_1) | instskip(SKIP_1) | instid1(VALU_DEP_2)
	v_add_f64_e64 v[58:59], v[52:53], -v[56:57]
	v_add_f64_e64 v[50:51], v[56:57], -v[54:55]
	;; [unrolled: 1-line block ×3, first 2 shown]
	s_delay_alu instid0(VALU_DEP_2) | instskip(NEXT) | instid1(VALU_DEP_2)
	v_add_f64_e64 v[44:45], v[50:51], -v[44:45]
	v_add_f64_e64 v[52:53], v[52:53], -v[56:57]
	s_delay_alu instid0(VALU_DEP_1) | instskip(NEXT) | instid1(VALU_DEP_1)
	v_add_f64_e32 v[36:37], v[36:37], v[52:53]
	v_add_f64_e32 v[36:37], v[44:45], v[36:37]
	s_delay_alu instid0(VALU_DEP_1) | instskip(NEXT) | instid1(VALU_DEP_1)
	v_add_f64_e32 v[44:45], v[58:59], v[36:37]
	v_mul_f64_e32 v[50:51], v[48:49], v[44:45]
	v_add_f64_e64 v[56:57], v[58:59], -v[44:45]
	s_delay_alu instid0(VALU_DEP_2) | instskip(NEXT) | instid1(VALU_DEP_2)
	v_mul_f64_e32 v[52:53], v[46:47], v[50:51]
	v_add_f64_e32 v[36:37], v[36:37], v[56:57]
	s_delay_alu instid0(VALU_DEP_2) | instskip(NEXT) | instid1(VALU_DEP_1)
	v_fma_f64 v[46:47], v[50:51], v[46:47], -v[52:53]
	v_fmac_f64_e32 v[46:47], v[50:51], v[42:43]
	s_delay_alu instid0(VALU_DEP_1) | instskip(NEXT) | instid1(VALU_DEP_1)
	v_add_f64_e32 v[42:43], v[52:53], v[46:47]
	v_add_f64_e64 v[54:55], v[44:45], -v[42:43]
	v_add_f64_e64 v[52:53], v[42:43], -v[52:53]
	s_delay_alu instid0(VALU_DEP_2) | instskip(NEXT) | instid1(VALU_DEP_1)
	v_add_f64_e64 v[44:45], v[44:45], -v[54:55]
	v_add_f64_e64 v[42:43], v[44:45], -v[42:43]
	s_delay_alu instid0(VALU_DEP_3) | instskip(SKIP_1) | instid1(VALU_DEP_3)
	v_add_f64_e64 v[44:45], v[52:53], -v[46:47]
	v_max_num_f64_e64 v[46:47], |v[10:11]|, |v[10:11]|
	v_add_f64_e32 v[36:37], v[36:37], v[42:43]
	v_add_f64_e32 v[42:43], v[38:39], v[50:51]
	s_delay_alu instid0(VALU_DEP_2) | instskip(NEXT) | instid1(VALU_DEP_2)
	v_add_f64_e32 v[36:37], v[44:45], v[36:37]
	v_add_f64_e64 v[38:39], v[42:43], -v[38:39]
	v_max_num_f64_e64 v[44:45], |v[12:13]|, |v[12:13]|
	s_delay_alu instid0(VALU_DEP_3) | instskip(NEXT) | instid1(VALU_DEP_3)
	v_add_f64_e32 v[36:37], v[54:55], v[36:37]
	v_add_f64_e64 v[38:39], v[50:51], -v[38:39]
	s_delay_alu instid0(VALU_DEP_2) | instskip(NEXT) | instid1(VALU_DEP_1)
	v_mul_f64_e32 v[36:37], v[48:49], v[36:37]
	v_add_f64_e32 v[36:37], v[38:39], v[36:37]
	v_max_num_f64_e32 v[38:39], v[46:47], v[44:45]
	v_min_num_f64_e32 v[44:45], v[46:47], v[44:45]
	s_delay_alu instid0(VALU_DEP_3) | instskip(NEXT) | instid1(VALU_DEP_2)
	v_add_f64_e32 v[46:47], v[42:43], v[36:37]
	v_div_scale_f64 v[48:49], null, v[38:39], v[38:39], v[44:45]
	s_delay_alu instid0(VALU_DEP_2) | instskip(SKIP_1) | instid1(VALU_DEP_3)
	v_mul_f64_e32 v[50:51], v[46:47], v[46:47]
	v_add_f64_e64 v[42:43], v[46:47], -v[42:43]
	v_rcp_f64_e32 v[52:53], v[48:49]
	s_delay_alu instid0(VALU_DEP_2) | instskip(SKIP_1) | instid1(VALU_DEP_3)
	v_fmamk_f64 v[54:55], v[50:51], 0x3fc3ab76bf559e2b, v[24:25]
	v_mul_f64_e32 v[56:57], v[46:47], v[50:51]
	v_add_f64_e64 v[36:37], v[36:37], -v[42:43]
	s_delay_alu instid0(VALU_DEP_3) | instskip(NEXT) | instid1(TRANS32_DEP_1)
	v_fmaak_f64 v[54:55], v[50:51], v[54:55], 0x3fc7474dd7f4df2e
	v_fma_f64 v[58:59], -v[48:49], v[52:53], 1.0
	s_delay_alu instid0(VALU_DEP_2) | instskip(NEXT) | instid1(VALU_DEP_1)
	v_fmaak_f64 v[54:55], v[50:51], v[54:55], 0x3fcc71c016291751
	v_fmaak_f64 v[54:55], v[50:51], v[54:55], 0x3fd249249b27acf1
	s_delay_alu instid0(VALU_DEP_1) | instskip(SKIP_1) | instid1(VALU_DEP_2)
	v_fmaak_f64 v[54:55], v[50:51], v[54:55], 0x3fd99999998ef7b6
	v_ldexp_f64 v[36:37], v[36:37], 1
	v_fmaak_f64 v[50:51], v[50:51], v[54:55], 0x3fe5555555555780
	v_ldexp_f64 v[54:55], v[46:47], 1
	v_fmac_f64_e32 v[52:53], v[52:53], v[58:59]
	s_delay_alu instid0(VALU_DEP_3) | instskip(SKIP_2) | instid1(VALU_DEP_4)
	v_mul_f64_e32 v[50:51], v[56:57], v[50:51]
	v_cvt_f64_i32_e32 v[56:57], v21
	v_ashrrev_i32_e32 v21, 31, v11
	v_fma_f64 v[58:59], -v[48:49], v[52:53], 1.0
	s_delay_alu instid0(VALU_DEP_4) | instskip(NEXT) | instid1(VALU_DEP_4)
	v_add_f64_e32 v[46:47], v[54:55], v[50:51]
	v_mul_f64_e32 v[60:61], 0x3fe62e42fefa39ef, v[56:57]
	s_delay_alu instid0(VALU_DEP_3) | instskip(NEXT) | instid1(VALU_DEP_3)
	v_fmac_f64_e32 v[52:53], v[52:53], v[58:59]
	v_add_f64_e64 v[42:43], v[46:47], -v[54:55]
	v_div_scale_f64 v[54:55], vcc_lo, v[44:45], v[38:39], v[44:45]
	s_delay_alu instid0(VALU_DEP_4) | instskip(NEXT) | instid1(VALU_DEP_3)
	v_fma_f64 v[58:59], v[56:57], s[34:35], -v[60:61]
	v_add_f64_e64 v[42:43], v[50:51], -v[42:43]
	s_delay_alu instid0(VALU_DEP_3) | instskip(NEXT) | instid1(VALU_DEP_3)
	v_mul_f64_e32 v[50:51], v[54:55], v[52:53]
	v_fmac_f64_e32 v[58:59], 0x3c7abc9e3b39803f, v[56:57]
	s_delay_alu instid0(VALU_DEP_3) | instskip(NEXT) | instid1(VALU_DEP_3)
	v_add_f64_e32 v[36:37], v[36:37], v[42:43]
	v_fma_f64 v[42:43], -v[48:49], v[50:51], v[54:55]
	s_delay_alu instid0(VALU_DEP_3) | instskip(NEXT) | instid1(VALU_DEP_3)
	v_add_f64_e32 v[48:49], v[60:61], v[58:59]
	v_add_f64_e32 v[54:55], v[46:47], v[36:37]
	s_delay_alu instid0(VALU_DEP_3) | instskip(SKIP_1) | instid1(VALU_DEP_4)
	v_div_fmas_f64 v[42:43], v[42:43], v[52:53], v[50:51]
	v_cmp_gt_i32_e32 vcc_lo, 0, v11
	v_add_f64_e64 v[52:53], v[48:49], -v[60:61]
	v_and_b32_e32 v11, 0x400921fb, v21
	v_cndmask_b32_e32 v10, 0x3fe921fb, v69, vcc_lo
	s_delay_alu instid0(VALU_DEP_1) | instskip(SKIP_4) | instid1(VALU_DEP_4)
	v_bfi_b32 v10, 0x7fffffff, v10, v13
	v_add_f64_e32 v[50:51], v[48:49], v[54:55]
	v_div_fixup_f64 v[38:39], v[42:43], v[38:39], v[44:45]
	v_add_f64_e64 v[46:47], v[54:55], -v[46:47]
	v_add_f64_e64 v[52:53], v[58:59], -v[52:53]
	v_add_f64_e64 v[42:43], v[50:51], -v[48:49]
	s_delay_alu instid0(VALU_DEP_4) | instskip(NEXT) | instid1(VALU_DEP_4)
	v_mul_f64_e32 v[44:45], v[38:39], v[38:39]
	v_add_f64_e64 v[36:37], v[36:37], -v[46:47]
	s_delay_alu instid0(VALU_DEP_3) | instskip(NEXT) | instid1(VALU_DEP_3)
	v_add_f64_e64 v[56:57], v[50:51], -v[42:43]
	v_fmamk_f64 v[60:61], v[44:45], 0x3eeba404b5e68a13, v[26:27]
	v_add_f64_e64 v[42:43], v[54:55], -v[42:43]
	s_delay_alu instid0(VALU_DEP_4) | instskip(NEXT) | instid1(VALU_DEP_3)
	v_add_f64_e32 v[54:55], v[52:53], v[36:37]
	v_fmaak_f64 v[60:61], v[44:45], v[60:61], 0x3f4b2bb069efb384
	v_add_f64_e64 v[46:47], v[48:49], -v[56:57]
	s_delay_alu instid0(VALU_DEP_2) | instskip(NEXT) | instid1(VALU_DEP_1)
	v_fmaak_f64 v[48:49], v[44:45], v[60:61], 0xbf67952daf56de9b
	v_fmaak_f64 v[48:49], v[44:45], v[48:49], 0x3f7d6d43a595c56f
	s_delay_alu instid0(VALU_DEP_1) | instskip(NEXT) | instid1(VALU_DEP_1)
	v_fmaak_f64 v[48:49], v[44:45], v[48:49], 0xbf8c6ea4a57d9582
	v_fmaak_f64 v[48:49], v[44:45], v[48:49], 0x3f967e295f08b19f
	s_delay_alu instid0(VALU_DEP_1) | instskip(SKIP_1) | instid1(VALU_DEP_2)
	v_fmaak_f64 v[48:49], v[44:45], v[48:49], 0xbf9e9ae6fc27006a
	v_add_f64_e32 v[42:43], v[42:43], v[46:47]
	v_fmaak_f64 v[46:47], v[44:45], v[48:49], 0x3fa2c15b5711927a
	v_add_f64_e64 v[48:49], v[54:55], -v[52:53]
	s_delay_alu instid0(VALU_DEP_2) | instskip(NEXT) | instid1(VALU_DEP_1)
	v_fmaak_f64 v[46:47], v[44:45], v[46:47], 0xbfa59976e82d3ff0
	v_fmaak_f64 v[46:47], v[44:45], v[46:47], 0x3fa82d5d6ef28734
	s_delay_alu instid0(VALU_DEP_1) | instskip(NEXT) | instid1(VALU_DEP_1)
	v_fmaak_f64 v[46:47], v[44:45], v[46:47], 0xbfaae5ce6a214619
	v_fmaak_f64 v[46:47], v[44:45], v[46:47], 0x3fae1bb48427b883
	v_add_f64_e32 v[42:43], v[54:55], v[42:43]
	v_add_f64_e64 v[54:55], v[54:55], -v[48:49]
	v_add_f64_e64 v[36:37], v[36:37], -v[48:49]
	s_delay_alu instid0(VALU_DEP_4) | instskip(NEXT) | instid1(VALU_DEP_1)
	v_fmaak_f64 v[46:47], v[44:45], v[46:47], 0xbfb110e48b207f05
	v_fmaak_f64 v[46:47], v[44:45], v[46:47], 0x3fb3b13657b87036
	s_delay_alu instid0(VALU_DEP_1) | instskip(NEXT) | instid1(VALU_DEP_1)
	v_fmaak_f64 v[46:47], v[44:45], v[46:47], 0xbfb745d119378e4f
	v_fmaak_f64 v[46:47], v[44:45], v[46:47], 0x3fbc71c717e1913c
	v_add_f64_e32 v[56:57], v[50:51], v[42:43]
	s_delay_alu instid0(VALU_DEP_2) | instskip(NEXT) | instid1(VALU_DEP_1)
	v_fmaak_f64 v[46:47], v[44:45], v[46:47], 0xbfc2492492376b7d
	v_fmaak_f64 v[46:47], v[44:45], v[46:47], 0x3fc99999999952cc
	s_delay_alu instid0(VALU_DEP_1) | instskip(NEXT) | instid1(VALU_DEP_1)
	v_fmaak_f64 v[46:47], v[44:45], v[46:47], 0xbfd5555555555523
	v_mul_f64_e32 v[44:45], v[44:45], v[46:47]
	v_add_f64_e64 v[46:47], v[52:53], -v[54:55]
	v_add_f64_e64 v[48:49], v[56:57], -v[50:51]
	s_delay_alu instid0(VALU_DEP_3) | instskip(NEXT) | instid1(VALU_DEP_3)
	v_fmac_f64_e32 v[38:39], v[38:39], v[44:45]
	v_add_f64_e32 v[36:37], v[36:37], v[46:47]
	s_delay_alu instid0(VALU_DEP_3) | instskip(NEXT) | instid1(VALU_DEP_3)
	v_add_f64_e64 v[42:43], v[42:43], -v[48:49]
	v_add_f64_e64 v[44:45], -v[38:39], s[40:41]
	s_delay_alu instid0(VALU_DEP_1) | instskip(NEXT) | instid1(VALU_DEP_2)
	v_dual_add_f64 v[36:37], v[36:37], v[42:43] :: v_dual_cndmask_b32 v39, v39, v45, s6
	v_cndmask_b32_e64 v38, v38, v44, s6
	v_and_b32_e32 v45, 0x54442d18, v21
	v_cndmask_b32_e32 v44, 0x54442d18, v68, vcc_lo
	s_delay_alu instid0(VALU_DEP_3) | instskip(NEXT) | instid1(VALU_DEP_1)
	v_add_f64_e64 v[42:43], -v[38:39], s[42:43]
	v_dual_add_f64 v[36:37], v[56:57], v[36:37] :: v_dual_cndmask_b32 v38, v38, v42, vcc_lo
	s_delay_alu instid0(VALU_DEP_2) | instskip(SKIP_1) | instid1(VALU_DEP_3)
	v_cndmask_b32_e32 v21, v39, v43, vcc_lo
	v_cmp_ngt_f64_e32 vcc_lo, -1.0, v[40:41]
	v_mul_f64_e32 v[36:37], 0.5, v[36:37]
                                        ; implicit-def: $vgpr42_vgpr43
	s_delay_alu instid0(VALU_DEP_3)
	v_dual_cndmask_b32 v38, v38, v45, s7 :: v_dual_cndmask_b32 v11, v21, v11, s7
	s_and_b32 s7, s8, s9
	s_delay_alu instid0(VALU_DEP_2) | instid1(SALU_CYCLE_1)
	v_cndmask_b32_e64 v36, 0, v36, s7
	v_cmp_neq_f64_e64 s7, -1.0, v[40:41]
	s_delay_alu instid0(VALU_DEP_4) | instskip(NEXT) | instid1(VALU_DEP_1)
	v_cndmask_b32_e64 v37, 0x7ff00000, v37, s9
	v_cndmask_b32_e32 v21, 0x7ff80000, v37, vcc_lo
	s_and_b32 vcc_lo, s11, s12
	v_dual_cndmask_b32 v39, v11, v10 :: v_dual_cndmask_b32 v38, v38, v44
                                        ; implicit-def: $vgpr44_vgpr45
	s_delay_alu instid0(VALU_DEP_2)
	v_cndmask_b32_e64 v37, 0xfff00000, v21, s7
.LBB197_18:                             ;   in Loop: Header=BB197_4 Depth=1
	s_and_not1_saveexec_b32 s56, s10
	s_cbranch_execz .LBB197_26
; %bb.19:                               ;   in Loop: Header=BB197_4 Depth=1
	v_mul_f64_e32 v[40:41], v[42:43], v[42:43]
                                        ; implicit-def: $vgpr36_vgpr37
                                        ; implicit-def: $vgpr38_vgpr39
	s_mov_b32 s7, exec_lo
	s_delay_alu instid0(VALU_DEP_1) | instskip(NEXT) | instid1(VALU_DEP_1)
	v_fmac_f64_e32 v[40:41], v[44:45], v[44:45]
	v_cmpx_ge_f64_e32 s[44:45], v[40:41]
	s_xor_b32 s9, exec_lo, s7
	s_cbranch_execz .LBB197_21
; %bb.20:                               ;   in Loop: Header=BB197_4 Depth=1
	v_frexp_mant_f64_e32 v[36:37], v[40:41]
	v_cmp_eq_f64_e64 s7, 0, v[12:13]
	v_cmp_neq_f64_e64 s8, 0, v[40:41]
	v_cmp_class_f64_e64 s10, v[12:13], 0x204
	v_cmp_class_f64_e64 s11, v[10:11], 0x204
	v_cmp_gt_f64_e32 vcc_lo, s[30:31], v[36:37]
	v_cndmask_b32_e64 v21, 0, 1, vcc_lo
	s_delay_alu instid0(VALU_DEP_1) | instskip(SKIP_1) | instid1(VALU_DEP_2)
	v_ldexp_f64 v[36:37], v[36:37], v21
	v_frexp_exp_i32_f64_e32 v21, v[40:41]
	v_add_f64_e32 v[38:39], 1.0, v[36:37]
	v_add_f64_e32 v[46:47], -1.0, v[36:37]
	s_delay_alu instid0(VALU_DEP_3) | instskip(NEXT) | instid1(VALU_DEP_3)
	v_subrev_co_ci_u32_e64 v21, null, 0, v21, vcc_lo
	v_rcp_f64_e32 v[42:43], v[38:39]
	v_add_f64_e32 v[48:49], -1.0, v[38:39]
	s_delay_alu instid0(VALU_DEP_1) | instskip(NEXT) | instid1(TRANS32_DEP_1)
	v_add_f64_e64 v[36:37], v[36:37], -v[48:49]
	v_fma_f64 v[44:45], -v[38:39], v[42:43], 1.0
	s_delay_alu instid0(VALU_DEP_1) | instskip(NEXT) | instid1(VALU_DEP_1)
	v_fmac_f64_e32 v[42:43], v[44:45], v[42:43]
	v_fma_f64 v[44:45], -v[38:39], v[42:43], 1.0
	s_delay_alu instid0(VALU_DEP_1) | instskip(NEXT) | instid1(VALU_DEP_1)
	v_fmac_f64_e32 v[42:43], v[44:45], v[42:43]
	v_mul_f64_e32 v[44:45], v[46:47], v[42:43]
	s_delay_alu instid0(VALU_DEP_1) | instskip(NEXT) | instid1(VALU_DEP_1)
	v_mul_f64_e32 v[50:51], v[38:39], v[44:45]
	v_fma_f64 v[38:39], v[44:45], v[38:39], -v[50:51]
	s_delay_alu instid0(VALU_DEP_1) | instskip(NEXT) | instid1(VALU_DEP_1)
	v_fmac_f64_e32 v[38:39], v[44:45], v[36:37]
	v_add_f64_e32 v[36:37], v[50:51], v[38:39]
	s_delay_alu instid0(VALU_DEP_1) | instskip(SKIP_1) | instid1(VALU_DEP_2)
	v_add_f64_e64 v[48:49], v[46:47], -v[36:37]
	v_add_f64_e64 v[50:51], v[36:37], -v[50:51]
	;; [unrolled: 1-line block ×3, first 2 shown]
	s_delay_alu instid0(VALU_DEP_2) | instskip(NEXT) | instid1(VALU_DEP_2)
	v_add_f64_e64 v[38:39], v[50:51], -v[38:39]
	v_add_f64_e64 v[36:37], v[46:47], -v[36:37]
	v_max_num_f64_e64 v[46:47], |v[10:11]|, |v[10:11]|
	s_delay_alu instid0(VALU_DEP_2) | instskip(SKIP_1) | instid1(VALU_DEP_2)
	v_add_f64_e32 v[36:37], v[38:39], v[36:37]
	v_max_num_f64_e64 v[38:39], |v[12:13]|, |v[12:13]|
	v_add_f64_e32 v[36:37], v[48:49], v[36:37]
	s_delay_alu instid0(VALU_DEP_1) | instskip(NEXT) | instid1(VALU_DEP_3)
	v_mul_f64_e32 v[36:37], v[42:43], v[36:37]
	v_max_num_f64_e32 v[42:43], v[46:47], v[38:39]
	v_min_num_f64_e32 v[38:39], v[46:47], v[38:39]
	s_delay_alu instid0(VALU_DEP_3) | instskip(NEXT) | instid1(VALU_DEP_2)
	v_add_f64_e32 v[46:47], v[44:45], v[36:37]
	v_div_scale_f64 v[48:49], null, v[42:43], v[42:43], v[38:39]
	s_delay_alu instid0(VALU_DEP_2) | instskip(SKIP_1) | instid1(VALU_DEP_3)
	v_mul_f64_e32 v[50:51], v[46:47], v[46:47]
	v_add_f64_e64 v[44:45], v[46:47], -v[44:45]
	v_rcp_f64_e32 v[52:53], v[48:49]
	s_delay_alu instid0(VALU_DEP_2) | instskip(SKIP_1) | instid1(VALU_DEP_3)
	v_fmamk_f64 v[54:55], v[50:51], 0x3fc3ab76bf559e2b, v[24:25]
	v_mul_f64_e32 v[56:57], v[46:47], v[50:51]
	v_add_f64_e64 v[36:37], v[36:37], -v[44:45]
	s_delay_alu instid0(VALU_DEP_3) | instskip(NEXT) | instid1(TRANS32_DEP_1)
	v_fmaak_f64 v[54:55], v[50:51], v[54:55], 0x3fc7474dd7f4df2e
	v_fma_f64 v[58:59], -v[48:49], v[52:53], 1.0
	s_delay_alu instid0(VALU_DEP_2) | instskip(NEXT) | instid1(VALU_DEP_1)
	v_fmaak_f64 v[54:55], v[50:51], v[54:55], 0x3fcc71c016291751
	v_fmaak_f64 v[54:55], v[50:51], v[54:55], 0x3fd249249b27acf1
	s_delay_alu instid0(VALU_DEP_1) | instskip(SKIP_1) | instid1(VALU_DEP_2)
	v_fmaak_f64 v[54:55], v[50:51], v[54:55], 0x3fd99999998ef7b6
	v_ldexp_f64 v[36:37], v[36:37], 1
	v_fmaak_f64 v[50:51], v[50:51], v[54:55], 0x3fe5555555555780
	v_ldexp_f64 v[54:55], v[46:47], 1
	v_fmac_f64_e32 v[52:53], v[52:53], v[58:59]
	s_delay_alu instid0(VALU_DEP_3) | instskip(SKIP_2) | instid1(VALU_DEP_4)
	v_mul_f64_e32 v[50:51], v[56:57], v[50:51]
	v_cvt_f64_i32_e32 v[56:57], v21
	v_ashrrev_i32_e32 v21, 31, v11
	v_fma_f64 v[58:59], -v[48:49], v[52:53], 1.0
	s_delay_alu instid0(VALU_DEP_4) | instskip(NEXT) | instid1(VALU_DEP_4)
	v_add_f64_e32 v[46:47], v[54:55], v[50:51]
	v_mul_f64_e32 v[60:61], 0x3fe62e42fefa39ef, v[56:57]
	s_delay_alu instid0(VALU_DEP_3) | instskip(NEXT) | instid1(VALU_DEP_3)
	v_fmac_f64_e32 v[52:53], v[52:53], v[58:59]
	v_add_f64_e64 v[44:45], v[46:47], -v[54:55]
	v_div_scale_f64 v[54:55], vcc_lo, v[38:39], v[42:43], v[38:39]
	s_delay_alu instid0(VALU_DEP_4) | instskip(NEXT) | instid1(VALU_DEP_3)
	v_fma_f64 v[58:59], v[56:57], s[34:35], -v[60:61]
	v_add_f64_e64 v[44:45], v[50:51], -v[44:45]
	s_delay_alu instid0(VALU_DEP_3) | instskip(NEXT) | instid1(VALU_DEP_3)
	v_mul_f64_e32 v[50:51], v[54:55], v[52:53]
	v_fmac_f64_e32 v[58:59], 0x3c7abc9e3b39803f, v[56:57]
	s_delay_alu instid0(VALU_DEP_3) | instskip(NEXT) | instid1(VALU_DEP_3)
	v_add_f64_e32 v[36:37], v[36:37], v[44:45]
	v_fma_f64 v[44:45], -v[48:49], v[50:51], v[54:55]
	s_delay_alu instid0(VALU_DEP_3) | instskip(NEXT) | instid1(VALU_DEP_3)
	v_add_f64_e32 v[48:49], v[60:61], v[58:59]
	v_add_f64_e32 v[54:55], v[46:47], v[36:37]
	s_delay_alu instid0(VALU_DEP_3) | instskip(SKIP_1) | instid1(VALU_DEP_4)
	v_div_fmas_f64 v[44:45], v[44:45], v[52:53], v[50:51]
	v_cmp_gt_i32_e32 vcc_lo, 0, v11
	v_add_f64_e64 v[52:53], v[48:49], -v[60:61]
	s_delay_alu instid0(VALU_DEP_4) | instskip(NEXT) | instid1(VALU_DEP_4)
	v_add_f64_e32 v[50:51], v[48:49], v[54:55]
	v_div_fixup_f64 v[38:39], v[44:45], v[42:43], v[38:39]
	v_add_f64_e64 v[46:47], v[54:55], -v[46:47]
	s_delay_alu instid0(VALU_DEP_4) | instskip(NEXT) | instid1(VALU_DEP_4)
	v_add_f64_e64 v[52:53], v[58:59], -v[52:53]
	v_add_f64_e64 v[42:43], v[50:51], -v[48:49]
	s_delay_alu instid0(VALU_DEP_4) | instskip(NEXT) | instid1(VALU_DEP_4)
	v_mul_f64_e32 v[44:45], v[38:39], v[38:39]
	v_add_f64_e64 v[36:37], v[36:37], -v[46:47]
	s_delay_alu instid0(VALU_DEP_3) | instskip(NEXT) | instid1(VALU_DEP_3)
	v_add_f64_e64 v[56:57], v[50:51], -v[42:43]
	v_fmamk_f64 v[60:61], v[44:45], 0x3eeba404b5e68a13, v[26:27]
	v_add_f64_e64 v[42:43], v[54:55], -v[42:43]
	s_delay_alu instid0(VALU_DEP_4) | instskip(NEXT) | instid1(VALU_DEP_3)
	v_add_f64_e32 v[54:55], v[52:53], v[36:37]
	v_fmaak_f64 v[60:61], v[44:45], v[60:61], 0x3f4b2bb069efb384
	s_delay_alu instid0(VALU_DEP_1) | instskip(SKIP_1) | instid1(VALU_DEP_2)
	v_fmaak_f64 v[60:61], v[44:45], v[60:61], 0xbf67952daf56de9b
	v_add_f64_e64 v[46:47], v[48:49], -v[56:57]
	v_fmaak_f64 v[48:49], v[44:45], v[60:61], 0x3f7d6d43a595c56f
	s_delay_alu instid0(VALU_DEP_1) | instskip(NEXT) | instid1(VALU_DEP_1)
	v_fmaak_f64 v[48:49], v[44:45], v[48:49], 0xbf8c6ea4a57d9582
	v_fmaak_f64 v[48:49], v[44:45], v[48:49], 0x3f967e295f08b19f
	s_delay_alu instid0(VALU_DEP_1) | instskip(NEXT) | instid1(VALU_DEP_1)
	v_fmaak_f64 v[48:49], v[44:45], v[48:49], 0xbf9e9ae6fc27006a
	v_fmaak_f64 v[48:49], v[44:45], v[48:49], 0x3fa2c15b5711927a
	v_add_f64_e32 v[42:43], v[42:43], v[46:47]
	s_delay_alu instid0(VALU_DEP_2) | instskip(SKIP_1) | instid1(VALU_DEP_2)
	v_fmaak_f64 v[46:47], v[44:45], v[48:49], 0xbfa59976e82d3ff0
	v_add_f64_e64 v[48:49], v[54:55], -v[52:53]
	v_fmaak_f64 v[46:47], v[44:45], v[46:47], 0x3fa82d5d6ef28734
	s_delay_alu instid0(VALU_DEP_1) | instskip(NEXT) | instid1(VALU_DEP_1)
	v_fmaak_f64 v[46:47], v[44:45], v[46:47], 0xbfaae5ce6a214619
	v_fmaak_f64 v[46:47], v[44:45], v[46:47], 0x3fae1bb48427b883
	s_delay_alu instid0(VALU_DEP_1) | instskip(SKIP_3) | instid1(VALU_DEP_4)
	v_fmaak_f64 v[46:47], v[44:45], v[46:47], 0xbfb110e48b207f05
	v_add_f64_e32 v[42:43], v[54:55], v[42:43]
	v_add_f64_e64 v[54:55], v[54:55], -v[48:49]
	v_add_f64_e64 v[36:37], v[36:37], -v[48:49]
	v_fmaak_f64 v[46:47], v[44:45], v[46:47], 0x3fb3b13657b87036
	s_delay_alu instid0(VALU_DEP_1) | instskip(NEXT) | instid1(VALU_DEP_1)
	v_fmaak_f64 v[46:47], v[44:45], v[46:47], 0xbfb745d119378e4f
	v_fmaak_f64 v[46:47], v[44:45], v[46:47], 0x3fbc71c717e1913c
	s_delay_alu instid0(VALU_DEP_1) | instskip(SKIP_1) | instid1(VALU_DEP_2)
	v_fmaak_f64 v[46:47], v[44:45], v[46:47], 0xbfc2492492376b7d
	v_add_f64_e32 v[56:57], v[50:51], v[42:43]
	v_fmaak_f64 v[46:47], v[44:45], v[46:47], 0x3fc99999999952cc
	s_delay_alu instid0(VALU_DEP_1) | instskip(NEXT) | instid1(VALU_DEP_1)
	v_fmaak_f64 v[46:47], v[44:45], v[46:47], 0xbfd5555555555523
	v_mul_f64_e32 v[44:45], v[44:45], v[46:47]
	v_add_f64_e64 v[46:47], v[52:53], -v[54:55]
	v_add_f64_e64 v[48:49], v[56:57], -v[50:51]
	s_delay_alu instid0(VALU_DEP_3) | instskip(NEXT) | instid1(VALU_DEP_3)
	v_fmac_f64_e32 v[38:39], v[38:39], v[44:45]
	v_add_f64_e32 v[36:37], v[36:37], v[46:47]
	s_delay_alu instid0(VALU_DEP_3) | instskip(NEXT) | instid1(VALU_DEP_3)
	v_add_f64_e64 v[42:43], v[42:43], -v[48:49]
	v_add_f64_e64 v[44:45], -v[38:39], s[40:41]
	s_delay_alu instid0(VALU_DEP_1) | instskip(NEXT) | instid1(VALU_DEP_2)
	v_dual_add_f64 v[36:37], v[36:37], v[42:43] :: v_dual_cndmask_b32 v39, v39, v45, s6
	v_cndmask_b32_e64 v38, v38, v44, s6
	v_and_b32_e32 v45, 0x54442d18, v21
	v_and_b32_e32 v21, 0x400921fb, v21
	v_cndmask_b32_e32 v44, 0x54442d18, v68, vcc_lo
	s_delay_alu instid0(VALU_DEP_4) | instskip(NEXT) | instid1(VALU_DEP_1)
	v_add_f64_e64 v[42:43], -v[38:39], s[42:43]
	v_dual_add_f64 v[36:37], v[56:57], v[36:37] :: v_dual_cndmask_b32 v38, v38, v42, vcc_lo
	s_delay_alu instid0(VALU_DEP_1) | instskip(NEXT) | instid1(VALU_DEP_2)
	v_cndmask_b32_e64 v38, v38, v45, s7
	v_mul_f64_e32 v[10:11], 0.5, v[36:37]
	v_cndmask_b32_e32 v36, 0x3fe921fb, v69, vcc_lo
	v_cndmask_b32_e32 v37, v39, v43, vcc_lo
	s_and_b32 vcc_lo, s10, s11
                                        ; implicit-def: $vgpr42_vgpr43
	v_cndmask_b32_e32 v38, v38, v44, vcc_lo
	s_delay_alu instid0(VALU_DEP_3) | instskip(NEXT) | instid1(VALU_DEP_3)
	v_bfi_b32 v36, 0x7fffffff, v36, v13
	v_cndmask_b32_e64 v21, v37, v21, s7
                                        ; implicit-def: $vgpr44_vgpr45
	s_delay_alu instid0(VALU_DEP_1)
	v_cndmask_b32_e32 v39, v21, v36, vcc_lo
	v_cndmask_b32_e64 v37, 0xfff00000, v11, s8
	v_cndmask_b32_e64 v36, 0, v10, s8
.LBB197_21:                             ;   in Loop: Header=BB197_4 Depth=1
	s_and_not1_saveexec_b32 s57, s9
	s_cbranch_execz .LBB197_25
; %bb.22:                               ;   in Loop: Header=BB197_4 Depth=1
	v_and_b32_e32 v21, 0x7ffffff8, v45
	v_and_b32_e32 v39, 0x7ffffff8, v43
	v_mov_b32_e32 v38, v20
	s_mov_b32 s58, 0
	v_mov_b32_e32 v46, v20
	v_add_f64_e64 v[36:37], v[44:45], -v[20:21]
	s_delay_alu instid0(VALU_DEP_3) | instskip(SKIP_2) | instid1(VALU_DEP_4)
	v_dual_add_f64 v[40:41], v[42:43], -v[38:39] :: v_dual_mov_b32 v44, v20
	v_add_f64_e32 v[48:49], v[20:21], v[20:21]
	v_add_f64_e32 v[56:57], v[38:39], v[38:39]
	v_dual_mul_f64 v[42:43], v[38:39], v[38:39] :: v_dual_bitop2_b32 v45, -8, v37 bitop3:0x40
	s_delay_alu instid0(VALU_DEP_4) | instskip(NEXT) | instid1(VALU_DEP_2)
	v_and_b32_e32 v47, -8, v41
	v_add_f64_e64 v[58:59], v[36:37], -v[44:45]
	v_add_f64_e32 v[62:63], v[44:45], v[44:45]
	s_delay_alu instid0(VALU_DEP_3)
	v_add_f64_e64 v[60:61], v[40:41], -v[46:47]
	v_add_f64_e32 v[64:65], v[46:47], v[46:47]
	v_mul_f64_e32 v[36:37], v[20:21], v[20:21]
	v_mul_f64_e32 v[54:55], v[48:49], v[44:45]
	;; [unrolled: 1-line block ×11, first 2 shown]
.LBB197_23:                             ;   Parent Loop BB197_4 Depth=1
                                        ; =>  This Inner Loop Header: Depth=2
	v_cmp_nlt_f64_e32 vcc_lo, v[36:37], v[42:43]
	v_dual_cndmask_b32 v61, v37, v43 :: v_dual_cndmask_b32 v60, v36, v42
	v_dual_cndmask_b32 v37, v43, v37 :: v_dual_cndmask_b32 v36, v42, v36
	s_delay_alu instid0(VALU_DEP_2) | instskip(NEXT) | instid1(VALU_DEP_1)
	v_cmp_nlt_f64_e64 s7, v[60:61], v[54:55]
	v_dual_cndmask_b32 v63, v61, v55, s7 :: v_dual_cndmask_b32 v62, v60, v54, s7
	v_dual_cndmask_b32 v43, v55, v61, s7 :: v_dual_cndmask_b32 v42, v54, v60, s7
	s_and_b32 s7, vcc_lo, s7
	s_delay_alu instid0(VALU_DEP_2) | instskip(NEXT) | instid1(VALU_DEP_1)
	v_cmp_nlt_f64_e64 s8, v[62:63], v[40:41]
	v_dual_cndmask_b32 v65, v63, v41, s8 :: v_dual_cndmask_b32 v64, v62, v40, s8
	v_dual_cndmask_b32 v55, v41, v63, s8 :: v_dual_cndmask_b32 v54, v40, v62, s8
	s_delay_alu instid0(VALU_DEP_2) | instskip(NEXT) | instid1(VALU_DEP_1)
	v_cmp_nlt_f64_e64 s9, v[64:65], v[52:53]
	v_dual_cndmask_b32 v67, v65, v53, s9 :: v_dual_cndmask_b32 v66, v64, v52, s9
	v_dual_cndmask_b32 v41, v53, v65, s9 :: v_dual_cndmask_b32 v40, v52, v64, s9
	s_and_b32 s8, s8, s9
	s_delay_alu instid0(VALU_DEP_2) | instskip(NEXT) | instid1(VALU_DEP_1)
	v_cmp_nlt_f64_e64 s10, v[66:67], v[38:39]
	v_dual_cndmask_b32 v71, v67, v39, s10 :: v_dual_cndmask_b32 v70, v66, v38, s10
	v_dual_cndmask_b32 v53, v39, v67, s10 :: v_dual_cndmask_b32 v52, v38, v66, s10
	s_delay_alu instid0(VALU_DEP_2) | instskip(NEXT) | instid1(VALU_DEP_1)
	v_cmp_nlt_f64_e64 s11, v[70:71], v[50:51]
	v_dual_cndmask_b32 v73, v71, v51, s11 :: v_dual_cndmask_b32 v72, v70, v50, s11
	s_and_b32 s9, s10, s11
	v_dual_cndmask_b32 v39, v51, v71, s11 :: v_dual_cndmask_b32 v38, v50, v70, s11
	s_delay_alu instid0(VALU_DEP_2) | instskip(NEXT) | instid1(VALU_DEP_1)
	v_cmp_nlt_f64_e64 s12, v[72:73], v[48:49]
	v_dual_cndmask_b32 v75, v73, v49, s12 :: v_dual_cndmask_b32 v74, v72, v48, s12
	s_and_b32 s9, s9, s12
	;; [unrolled: 5-line block ×6, first 2 shown]
	v_dual_cndmask_b32 v57, v59, v81, s16 :: v_dual_cndmask_b32 v56, v58, v80, s16
	s_and_b32 s8, s9, s8
	s_delay_alu instid0(VALU_DEP_2) | instskip(SKIP_1) | instid1(SALU_CYCLE_1)
	v_mov_b64_e32 v[58:59], v[60:61]
	s_and_b32 s7, s8, s7
	s_and_b32 s7, exec_lo, s7
	s_delay_alu instid0(SALU_CYCLE_1) | instskip(NEXT) | instid1(SALU_CYCLE_1)
	s_or_b32 s58, s7, s58
	s_and_not1_b32 exec_lo, exec_lo, s58
	s_cbranch_execnz .LBB197_23
; %bb.24:                               ;   in Loop: Header=BB197_4 Depth=1
	s_or_b32 exec_lo, exec_lo, s58
	v_add_f64_e32 v[36:37], -1.0, v[36:37]
	v_cmp_eq_f64_e64 s7, 0, v[12:13]
	v_cmp_class_f64_e64 s11, v[10:11], 0x204
	v_cmp_class_f64_e64 s10, v[12:13], 0x204
	s_delay_alu instid0(VALU_DEP_4) | instskip(NEXT) | instid1(VALU_DEP_1)
	v_add_f64_e32 v[36:37], v[36:37], v[42:43]
	v_add_f64_e32 v[36:37], v[36:37], v[54:55]
	s_delay_alu instid0(VALU_DEP_1) | instskip(NEXT) | instid1(VALU_DEP_1)
	v_add_f64_e32 v[36:37], v[36:37], v[40:41]
	v_add_f64_e32 v[36:37], v[36:37], v[52:53]
	s_delay_alu instid0(VALU_DEP_1) | instskip(NEXT) | instid1(VALU_DEP_1)
	;; [unrolled: 3-line block ×5, first 2 shown]
	v_add_f64_e32 v[40:41], v[60:61], v[36:37]
	v_add_f64_e32 v[36:37], 1.0, v[40:41]
	v_cmp_nge_f64_e64 s8, -1.0, v[40:41]
	v_cmp_neq_f64_e64 s9, 0x7ff00000, v[40:41]
	s_delay_alu instid0(VALU_DEP_3) | instskip(SKIP_2) | instid1(VALU_DEP_3)
	v_frexp_mant_f64_e32 v[38:39], v[36:37]
	v_frexp_exp_i32_f64_e32 v21, v[36:37]
	v_add_f64_e32 v[42:43], -1.0, v[36:37]
	v_cmp_gt_f64_e32 vcc_lo, s[30:31], v[38:39]
	s_delay_alu instid0(VALU_DEP_2) | instskip(SKIP_2) | instid1(VALU_DEP_1)
	v_add_f64_e64 v[38:39], v[42:43], -v[36:37]
	v_add_f64_e64 v[42:43], v[40:41], -v[42:43]
	v_subrev_co_ci_u32_e64 v21, null, 0, v21, vcc_lo
	v_dual_add_f64 v[38:39], 1.0, v[38:39] :: v_dual_sub_nc_u32 v46, 0, v21
	s_delay_alu instid0(VALU_DEP_1) | instskip(NEXT) | instid1(VALU_DEP_2)
	v_ldexp_f64 v[36:37], v[36:37], v46
	v_add_f64_e32 v[38:39], v[42:43], v[38:39]
	s_delay_alu instid0(VALU_DEP_2) | instskip(SKIP_1) | instid1(VALU_DEP_3)
	v_add_f64_e32 v[44:45], 1.0, v[36:37]
	v_add_f64_e32 v[50:51], -1.0, v[36:37]
	v_ldexp_f64 v[38:39], v[38:39], v46
	s_delay_alu instid0(VALU_DEP_3) | instskip(NEXT) | instid1(VALU_DEP_3)
	v_add_f64_e32 v[42:43], -1.0, v[44:45]
	v_add_f64_e32 v[52:53], 1.0, v[50:51]
	s_delay_alu instid0(VALU_DEP_2) | instskip(NEXT) | instid1(VALU_DEP_2)
	v_add_f64_e64 v[42:43], v[36:37], -v[42:43]
	v_add_f64_e64 v[36:37], v[36:37], -v[52:53]
	s_delay_alu instid0(VALU_DEP_2) | instskip(NEXT) | instid1(VALU_DEP_2)
	v_add_f64_e32 v[42:43], v[38:39], v[42:43]
	v_add_f64_e32 v[36:37], v[38:39], v[36:37]
	s_delay_alu instid0(VALU_DEP_2) | instskip(NEXT) | instid1(VALU_DEP_2)
	v_add_f64_e32 v[46:47], v[44:45], v[42:43]
	v_add_f64_e32 v[52:53], v[50:51], v[36:37]
	s_delay_alu instid0(VALU_DEP_2) | instskip(SKIP_1) | instid1(VALU_DEP_2)
	v_rcp_f64_e32 v[48:49], v[46:47]
	v_add_f64_e64 v[44:45], v[46:47], -v[44:45]
	v_add_f64_e64 v[50:51], v[52:53], -v[50:51]
	s_delay_alu instid0(VALU_DEP_2) | instskip(NEXT) | instid1(VALU_DEP_2)
	v_add_f64_e64 v[42:43], v[42:43], -v[44:45]
	v_add_f64_e64 v[36:37], v[36:37], -v[50:51]
	s_delay_alu instid0(TRANS32_DEP_1) | instskip(NEXT) | instid1(VALU_DEP_1)
	v_fma_f64 v[54:55], -v[46:47], v[48:49], 1.0
	v_fmac_f64_e32 v[48:49], v[54:55], v[48:49]
	s_delay_alu instid0(VALU_DEP_1) | instskip(NEXT) | instid1(VALU_DEP_1)
	v_fma_f64 v[38:39], -v[46:47], v[48:49], 1.0
	v_fmac_f64_e32 v[48:49], v[38:39], v[48:49]
	s_delay_alu instid0(VALU_DEP_1) | instskip(NEXT) | instid1(VALU_DEP_1)
	v_mul_f64_e32 v[38:39], v[52:53], v[48:49]
	v_mul_f64_e32 v[54:55], v[46:47], v[38:39]
	s_delay_alu instid0(VALU_DEP_1) | instskip(NEXT) | instid1(VALU_DEP_1)
	v_fma_f64 v[44:45], v[38:39], v[46:47], -v[54:55]
	v_fmac_f64_e32 v[44:45], v[38:39], v[42:43]
	s_delay_alu instid0(VALU_DEP_1) | instskip(NEXT) | instid1(VALU_DEP_1)
	v_add_f64_e32 v[56:57], v[54:55], v[44:45]
	v_add_f64_e64 v[58:59], v[52:53], -v[56:57]
	v_add_f64_e64 v[50:51], v[56:57], -v[54:55]
	s_delay_alu instid0(VALU_DEP_2) | instskip(NEXT) | instid1(VALU_DEP_2)
	v_add_f64_e64 v[52:53], v[52:53], -v[58:59]
	v_add_f64_e64 v[44:45], v[50:51], -v[44:45]
	s_delay_alu instid0(VALU_DEP_2) | instskip(NEXT) | instid1(VALU_DEP_1)
	v_add_f64_e64 v[52:53], v[52:53], -v[56:57]
	v_add_f64_e32 v[36:37], v[36:37], v[52:53]
	s_delay_alu instid0(VALU_DEP_1) | instskip(NEXT) | instid1(VALU_DEP_1)
	v_add_f64_e32 v[36:37], v[44:45], v[36:37]
	v_add_f64_e32 v[44:45], v[58:59], v[36:37]
	s_delay_alu instid0(VALU_DEP_1) | instskip(SKIP_1) | instid1(VALU_DEP_2)
	v_mul_f64_e32 v[50:51], v[48:49], v[44:45]
	v_add_f64_e64 v[56:57], v[58:59], -v[44:45]
	v_mul_f64_e32 v[52:53], v[46:47], v[50:51]
	s_delay_alu instid0(VALU_DEP_2) | instskip(NEXT) | instid1(VALU_DEP_2)
	v_add_f64_e32 v[36:37], v[36:37], v[56:57]
	v_fma_f64 v[46:47], v[50:51], v[46:47], -v[52:53]
	s_delay_alu instid0(VALU_DEP_1) | instskip(NEXT) | instid1(VALU_DEP_1)
	v_fmac_f64_e32 v[46:47], v[50:51], v[42:43]
	v_add_f64_e32 v[42:43], v[52:53], v[46:47]
	s_delay_alu instid0(VALU_DEP_1) | instskip(SKIP_1) | instid1(VALU_DEP_2)
	v_add_f64_e64 v[54:55], v[44:45], -v[42:43]
	v_add_f64_e64 v[52:53], v[42:43], -v[52:53]
	;; [unrolled: 1-line block ×3, first 2 shown]
	s_delay_alu instid0(VALU_DEP_1) | instskip(NEXT) | instid1(VALU_DEP_3)
	v_add_f64_e64 v[42:43], v[44:45], -v[42:43]
	v_add_f64_e64 v[44:45], v[52:53], -v[46:47]
	v_max_num_f64_e64 v[46:47], |v[10:11]|, |v[10:11]|
	s_delay_alu instid0(VALU_DEP_3) | instskip(SKIP_1) | instid1(VALU_DEP_2)
	v_add_f64_e32 v[36:37], v[36:37], v[42:43]
	v_add_f64_e32 v[42:43], v[38:39], v[50:51]
	;; [unrolled: 1-line block ×3, first 2 shown]
	s_delay_alu instid0(VALU_DEP_2) | instskip(SKIP_1) | instid1(VALU_DEP_3)
	v_add_f64_e64 v[38:39], v[42:43], -v[38:39]
	v_max_num_f64_e64 v[44:45], |v[12:13]|, |v[12:13]|
	v_add_f64_e32 v[36:37], v[54:55], v[36:37]
	s_delay_alu instid0(VALU_DEP_3) | instskip(NEXT) | instid1(VALU_DEP_2)
	v_add_f64_e64 v[38:39], v[50:51], -v[38:39]
	v_mul_f64_e32 v[36:37], v[48:49], v[36:37]
	s_delay_alu instid0(VALU_DEP_1) | instskip(SKIP_2) | instid1(VALU_DEP_3)
	v_add_f64_e32 v[36:37], v[38:39], v[36:37]
	v_max_num_f64_e32 v[38:39], v[46:47], v[44:45]
	v_min_num_f64_e32 v[44:45], v[46:47], v[44:45]
	v_add_f64_e32 v[46:47], v[42:43], v[36:37]
	s_delay_alu instid0(VALU_DEP_2) | instskip(NEXT) | instid1(VALU_DEP_2)
	v_div_scale_f64 v[48:49], null, v[38:39], v[38:39], v[44:45]
	v_mul_f64_e32 v[50:51], v[46:47], v[46:47]
	v_add_f64_e64 v[42:43], v[46:47], -v[42:43]
	s_delay_alu instid0(VALU_DEP_3) | instskip(NEXT) | instid1(VALU_DEP_2)
	v_rcp_f64_e32 v[52:53], v[48:49]
	v_fmamk_f64 v[54:55], v[50:51], 0x3fc3ab76bf559e2b, v[24:25]
	v_mul_f64_e32 v[56:57], v[46:47], v[50:51]
	s_delay_alu instid0(VALU_DEP_3) | instskip(NEXT) | instid1(VALU_DEP_3)
	v_add_f64_e64 v[36:37], v[36:37], -v[42:43]
	v_fmaak_f64 v[54:55], v[50:51], v[54:55], 0x3fc7474dd7f4df2e
	s_delay_alu instid0(TRANS32_DEP_1) | instskip(NEXT) | instid1(VALU_DEP_2)
	v_fma_f64 v[58:59], -v[48:49], v[52:53], 1.0
	v_fmaak_f64 v[54:55], v[50:51], v[54:55], 0x3fcc71c016291751
	s_delay_alu instid0(VALU_DEP_1) | instskip(NEXT) | instid1(VALU_DEP_1)
	v_fmaak_f64 v[54:55], v[50:51], v[54:55], 0x3fd249249b27acf1
	v_fmaak_f64 v[54:55], v[50:51], v[54:55], 0x3fd99999998ef7b6
	v_ldexp_f64 v[36:37], v[36:37], 1
	s_delay_alu instid0(VALU_DEP_2) | instskip(SKIP_2) | instid1(VALU_DEP_3)
	v_fmaak_f64 v[50:51], v[50:51], v[54:55], 0x3fe5555555555780
	v_ldexp_f64 v[54:55], v[46:47], 1
	v_fmac_f64_e32 v[52:53], v[52:53], v[58:59]
	v_mul_f64_e32 v[50:51], v[56:57], v[50:51]
	v_cvt_f64_i32_e32 v[56:57], v21
	v_ashrrev_i32_e32 v21, 31, v11
	s_delay_alu instid0(VALU_DEP_4) | instskip(NEXT) | instid1(VALU_DEP_4)
	v_fma_f64 v[58:59], -v[48:49], v[52:53], 1.0
	v_add_f64_e32 v[46:47], v[54:55], v[50:51]
	s_delay_alu instid0(VALU_DEP_4) | instskip(NEXT) | instid1(VALU_DEP_3)
	v_mul_f64_e32 v[60:61], 0x3fe62e42fefa39ef, v[56:57]
	v_fmac_f64_e32 v[52:53], v[52:53], v[58:59]
	s_delay_alu instid0(VALU_DEP_3) | instskip(SKIP_1) | instid1(VALU_DEP_4)
	v_add_f64_e64 v[42:43], v[46:47], -v[54:55]
	v_div_scale_f64 v[54:55], vcc_lo, v[44:45], v[38:39], v[44:45]
	v_fma_f64 v[58:59], v[56:57], s[34:35], -v[60:61]
	s_delay_alu instid0(VALU_DEP_3) | instskip(NEXT) | instid1(VALU_DEP_3)
	v_add_f64_e64 v[42:43], v[50:51], -v[42:43]
	v_mul_f64_e32 v[50:51], v[54:55], v[52:53]
	s_delay_alu instid0(VALU_DEP_3) | instskip(NEXT) | instid1(VALU_DEP_3)
	v_fmac_f64_e32 v[58:59], 0x3c7abc9e3b39803f, v[56:57]
	v_add_f64_e32 v[36:37], v[36:37], v[42:43]
	s_delay_alu instid0(VALU_DEP_3) | instskip(NEXT) | instid1(VALU_DEP_3)
	v_fma_f64 v[42:43], -v[48:49], v[50:51], v[54:55]
	v_add_f64_e32 v[48:49], v[60:61], v[58:59]
	s_delay_alu instid0(VALU_DEP_3) | instskip(NEXT) | instid1(VALU_DEP_3)
	v_add_f64_e32 v[54:55], v[46:47], v[36:37]
	v_div_fmas_f64 v[42:43], v[42:43], v[52:53], v[50:51]
	v_cmp_gt_i32_e32 vcc_lo, 0, v11
	s_delay_alu instid0(VALU_DEP_4) | instskip(SKIP_2) | instid1(VALU_DEP_1)
	v_add_f64_e64 v[52:53], v[48:49], -v[60:61]
	v_and_b32_e32 v11, 0x400921fb, v21
	v_cndmask_b32_e32 v10, 0x3fe921fb, v69, vcc_lo
	v_bfi_b32 v10, 0x7fffffff, v10, v13
	v_add_f64_e32 v[50:51], v[48:49], v[54:55]
	v_div_fixup_f64 v[38:39], v[42:43], v[38:39], v[44:45]
	v_add_f64_e64 v[46:47], v[54:55], -v[46:47]
	v_add_f64_e64 v[52:53], v[58:59], -v[52:53]
	s_delay_alu instid0(VALU_DEP_4) | instskip(NEXT) | instid1(VALU_DEP_4)
	v_add_f64_e64 v[42:43], v[50:51], -v[48:49]
	v_mul_f64_e32 v[44:45], v[38:39], v[38:39]
	s_delay_alu instid0(VALU_DEP_4) | instskip(NEXT) | instid1(VALU_DEP_3)
	v_add_f64_e64 v[36:37], v[36:37], -v[46:47]
	v_add_f64_e64 v[56:57], v[50:51], -v[42:43]
	s_delay_alu instid0(VALU_DEP_3) | instskip(SKIP_1) | instid1(VALU_DEP_4)
	v_fmamk_f64 v[60:61], v[44:45], 0x3eeba404b5e68a13, v[26:27]
	v_add_f64_e64 v[42:43], v[54:55], -v[42:43]
	v_add_f64_e32 v[54:55], v[52:53], v[36:37]
	s_delay_alu instid0(VALU_DEP_3) | instskip(SKIP_1) | instid1(VALU_DEP_2)
	v_fmaak_f64 v[60:61], v[44:45], v[60:61], 0x3f4b2bb069efb384
	v_add_f64_e64 v[46:47], v[48:49], -v[56:57]
	v_fmaak_f64 v[48:49], v[44:45], v[60:61], 0xbf67952daf56de9b
	s_delay_alu instid0(VALU_DEP_1) | instskip(NEXT) | instid1(VALU_DEP_1)
	v_fmaak_f64 v[48:49], v[44:45], v[48:49], 0x3f7d6d43a595c56f
	v_fmaak_f64 v[48:49], v[44:45], v[48:49], 0xbf8c6ea4a57d9582
	s_delay_alu instid0(VALU_DEP_1) | instskip(NEXT) | instid1(VALU_DEP_1)
	v_fmaak_f64 v[48:49], v[44:45], v[48:49], 0x3f967e295f08b19f
	v_fmaak_f64 v[48:49], v[44:45], v[48:49], 0xbf9e9ae6fc27006a
	v_add_f64_e32 v[42:43], v[42:43], v[46:47]
	s_delay_alu instid0(VALU_DEP_2) | instskip(SKIP_1) | instid1(VALU_DEP_2)
	v_fmaak_f64 v[46:47], v[44:45], v[48:49], 0x3fa2c15b5711927a
	v_add_f64_e64 v[48:49], v[54:55], -v[52:53]
	v_fmaak_f64 v[46:47], v[44:45], v[46:47], 0xbfa59976e82d3ff0
	s_delay_alu instid0(VALU_DEP_1) | instskip(NEXT) | instid1(VALU_DEP_1)
	v_fmaak_f64 v[46:47], v[44:45], v[46:47], 0x3fa82d5d6ef28734
	v_fmaak_f64 v[46:47], v[44:45], v[46:47], 0xbfaae5ce6a214619
	s_delay_alu instid0(VALU_DEP_1) | instskip(SKIP_3) | instid1(VALU_DEP_4)
	v_fmaak_f64 v[46:47], v[44:45], v[46:47], 0x3fae1bb48427b883
	v_add_f64_e32 v[42:43], v[54:55], v[42:43]
	v_add_f64_e64 v[54:55], v[54:55], -v[48:49]
	v_add_f64_e64 v[36:37], v[36:37], -v[48:49]
	v_fmaak_f64 v[46:47], v[44:45], v[46:47], 0xbfb110e48b207f05
	s_delay_alu instid0(VALU_DEP_1) | instskip(NEXT) | instid1(VALU_DEP_1)
	v_fmaak_f64 v[46:47], v[44:45], v[46:47], 0x3fb3b13657b87036
	v_fmaak_f64 v[46:47], v[44:45], v[46:47], 0xbfb745d119378e4f
	s_delay_alu instid0(VALU_DEP_1) | instskip(SKIP_1) | instid1(VALU_DEP_2)
	v_fmaak_f64 v[46:47], v[44:45], v[46:47], 0x3fbc71c717e1913c
	v_add_f64_e32 v[56:57], v[50:51], v[42:43]
	v_fmaak_f64 v[46:47], v[44:45], v[46:47], 0xbfc2492492376b7d
	s_delay_alu instid0(VALU_DEP_1) | instskip(NEXT) | instid1(VALU_DEP_1)
	v_fmaak_f64 v[46:47], v[44:45], v[46:47], 0x3fc99999999952cc
	v_fmaak_f64 v[46:47], v[44:45], v[46:47], 0xbfd5555555555523
	s_delay_alu instid0(VALU_DEP_1) | instskip(SKIP_2) | instid1(VALU_DEP_3)
	v_mul_f64_e32 v[44:45], v[44:45], v[46:47]
	v_add_f64_e64 v[46:47], v[52:53], -v[54:55]
	v_add_f64_e64 v[48:49], v[56:57], -v[50:51]
	v_fmac_f64_e32 v[38:39], v[38:39], v[44:45]
	s_delay_alu instid0(VALU_DEP_3) | instskip(NEXT) | instid1(VALU_DEP_3)
	v_add_f64_e32 v[36:37], v[36:37], v[46:47]
	v_add_f64_e64 v[42:43], v[42:43], -v[48:49]
	s_delay_alu instid0(VALU_DEP_3) | instskip(NEXT) | instid1(VALU_DEP_1)
	v_add_f64_e64 v[44:45], -v[38:39], s[40:41]
	v_dual_add_f64 v[36:37], v[36:37], v[42:43] :: v_dual_cndmask_b32 v39, v39, v45, s6
	s_delay_alu instid0(VALU_DEP_2) | instskip(SKIP_2) | instid1(VALU_DEP_3)
	v_cndmask_b32_e64 v38, v38, v44, s6
	v_and_b32_e32 v45, 0x54442d18, v21
	v_cndmask_b32_e32 v44, 0x54442d18, v68, vcc_lo
	v_add_f64_e64 v[42:43], -v[38:39], s[42:43]
	s_delay_alu instid0(VALU_DEP_1) | instskip(NEXT) | instid1(VALU_DEP_2)
	v_dual_add_f64 v[36:37], v[56:57], v[36:37] :: v_dual_cndmask_b32 v38, v38, v42, vcc_lo
	v_cndmask_b32_e32 v21, v39, v43, vcc_lo
	v_cmp_ngt_f64_e32 vcc_lo, -1.0, v[40:41]
	s_delay_alu instid0(VALU_DEP_3) | instskip(NEXT) | instid1(VALU_DEP_3)
	v_mul_f64_e32 v[36:37], 0.5, v[36:37]
	v_dual_cndmask_b32 v38, v38, v45, s7 :: v_dual_cndmask_b32 v11, v21, v11, s7
	s_and_b32 s7, s8, s9
	s_delay_alu instid0(VALU_DEP_2) | instid1(SALU_CYCLE_1)
	v_cndmask_b32_e64 v36, 0, v36, s7
	v_cmp_neq_f64_e64 s7, -1.0, v[40:41]
	s_delay_alu instid0(VALU_DEP_4) | instskip(NEXT) | instid1(VALU_DEP_1)
	v_cndmask_b32_e64 v37, 0x7ff00000, v37, s9
	v_cndmask_b32_e32 v21, 0x7ff80000, v37, vcc_lo
	s_and_b32 vcc_lo, s10, s11
	v_dual_cndmask_b32 v39, v11, v10 :: v_dual_cndmask_b32 v38, v38, v44
	s_delay_alu instid0(VALU_DEP_2)
	v_cndmask_b32_e64 v37, 0xfff00000, v21, s7
.LBB197_25:                             ;   in Loop: Header=BB197_4 Depth=1
	s_or_b32 exec_lo, exec_lo, s57
.LBB197_26:                             ;   in Loop: Header=BB197_4 Depth=1
	s_delay_alu instid0(SALU_CYCLE_1)
	s_or_b32 exec_lo, exec_lo, s56
.LBB197_27:                             ;   in Loop: Header=BB197_4 Depth=1
	s_and_not1_saveexec_b32 s9, s55
	s_cbranch_execz .LBB197_29
; %bb.28:                               ;   in Loop: Header=BB197_4 Depth=1
	v_max_num_f64_e64 v[36:37], |v[12:13]|, |v[12:13]|
	v_max_num_f64_e64 v[38:39], |v[10:11]|, |v[10:11]|
	v_cmp_class_f64_e64 s10, v[10:11], 0x204
	v_cmp_class_f64_e64 s11, v[12:13], 0x204
	v_cmp_eq_f64_e64 s8, 0, v[12:13]
	s_delay_alu instid0(VALU_DEP_4) | instskip(SKIP_2) | instid1(VALU_DEP_2)
	v_max_num_f64_e32 v[40:41], v[38:39], v[36:37]
	v_min_num_f64_e32 v[36:37], v[38:39], v[36:37]
	s_or_b32 s7, s11, s10
	v_frexp_exp_i32_f64_e32 v21, v[40:41]
	s_delay_alu instid0(VALU_DEP_1) | instskip(NEXT) | instid1(VALU_DEP_1)
	v_sub_nc_u32_e32 v44, 0, v21
	v_ldexp_f64 v[42:43], |v[12:13]|, v44
	s_delay_alu instid0(VALU_DEP_1) | instskip(SKIP_1) | instid1(VALU_DEP_1)
	v_mul_f64_e32 v[42:43], v[42:43], v[42:43]
	v_ldexp_f64 v[44:45], |v[10:11]|, v44
	v_fmac_f64_e32 v[42:43], v[44:45], v[44:45]
	s_delay_alu instid0(VALU_DEP_1) | instskip(SKIP_1) | instid1(TRANS32_DEP_1)
	v_rsq_f64_e32 v[44:45], v[42:43]
	v_cmp_eq_f64_e32 vcc_lo, 0, v[42:43]
	v_mul_f64_e32 v[46:47], v[42:43], v[44:45]
	v_mul_f64_e32 v[44:45], 0.5, v[44:45]
	s_delay_alu instid0(VALU_DEP_1) | instskip(NEXT) | instid1(VALU_DEP_1)
	v_fma_f64 v[48:49], -v[44:45], v[46:47], 0.5
	v_fmac_f64_e32 v[46:47], v[46:47], v[48:49]
	v_fmac_f64_e32 v[44:45], v[44:45], v[48:49]
	s_delay_alu instid0(VALU_DEP_2) | instskip(NEXT) | instid1(VALU_DEP_1)
	v_fma_f64 v[48:49], -v[46:47], v[46:47], v[42:43]
	v_fmac_f64_e32 v[46:47], v[48:49], v[44:45]
	s_delay_alu instid0(VALU_DEP_1) | instskip(NEXT) | instid1(VALU_DEP_1)
	v_dual_cndmask_b32 v43, v47, v43 :: v_dual_cndmask_b32 v42, v46, v42
	v_ldexp_f64 v[42:43], v[42:43], v21
	v_ashrrev_i32_e32 v21, 31, v11
	s_delay_alu instid0(VALU_DEP_2) | instskip(NEXT) | instid1(VALU_DEP_3)
	v_cndmask_b32_e64 v43, v43, 0x7ff00000, s7
	v_cndmask_b32_e64 v42, v42, 0, s7
	s_delay_alu instid0(VALU_DEP_1) | instskip(SKIP_1) | instid1(VALU_DEP_2)
	v_frexp_mant_f64_e32 v[44:45], v[42:43]
	v_cmp_class_f64_e64 s7, v[42:43], 0x204
	v_cmp_gt_f64_e32 vcc_lo, s[30:31], v[44:45]
	v_cndmask_b32_e64 v10, 0, 1, vcc_lo
	s_delay_alu instid0(VALU_DEP_1) | instskip(SKIP_1) | instid1(VALU_DEP_2)
	v_ldexp_f64 v[44:45], v[44:45], v10
	v_frexp_exp_i32_f64_e32 v10, v[42:43]
	v_add_f64_e32 v[46:47], 1.0, v[44:45]
	v_add_f64_e32 v[52:53], -1.0, v[44:45]
	s_delay_alu instid0(VALU_DEP_3) | instskip(SKIP_1) | instid1(VALU_DEP_4)
	v_subrev_co_ci_u32_e64 v10, null, 0, v10, vcc_lo
	v_div_scale_f64 v[60:61], vcc_lo, v[36:37], v[40:41], v[36:37]
	v_rcp_f64_e32 v[48:49], v[46:47]
	v_add_f64_e32 v[54:55], -1.0, v[46:47]
	s_delay_alu instid0(VALU_DEP_1) | instskip(NEXT) | instid1(TRANS32_DEP_1)
	v_add_f64_e64 v[44:45], v[44:45], -v[54:55]
	v_fma_f64 v[50:51], -v[46:47], v[48:49], 1.0
	s_delay_alu instid0(VALU_DEP_1) | instskip(NEXT) | instid1(VALU_DEP_1)
	v_fmac_f64_e32 v[48:49], v[50:51], v[48:49]
	v_fma_f64 v[50:51], -v[46:47], v[48:49], 1.0
	s_delay_alu instid0(VALU_DEP_1) | instskip(NEXT) | instid1(VALU_DEP_1)
	v_fmac_f64_e32 v[48:49], v[50:51], v[48:49]
	v_mul_f64_e32 v[50:51], v[52:53], v[48:49]
	s_delay_alu instid0(VALU_DEP_1) | instskip(NEXT) | instid1(VALU_DEP_1)
	v_mul_f64_e32 v[56:57], v[46:47], v[50:51]
	v_fma_f64 v[46:47], v[50:51], v[46:47], -v[56:57]
	s_delay_alu instid0(VALU_DEP_1) | instskip(NEXT) | instid1(VALU_DEP_1)
	v_fmac_f64_e32 v[46:47], v[50:51], v[44:45]
	v_add_f64_e32 v[44:45], v[56:57], v[46:47]
	s_delay_alu instid0(VALU_DEP_1) | instskip(SKIP_1) | instid1(VALU_DEP_2)
	v_add_f64_e64 v[54:55], v[52:53], -v[44:45]
	v_add_f64_e64 v[56:57], v[44:45], -v[56:57]
	;; [unrolled: 1-line block ×3, first 2 shown]
	s_delay_alu instid0(VALU_DEP_2) | instskip(NEXT) | instid1(VALU_DEP_2)
	v_add_f64_e64 v[46:47], v[56:57], -v[46:47]
	v_add_f64_e64 v[44:45], v[52:53], -v[44:45]
	s_delay_alu instid0(VALU_DEP_1) | instskip(NEXT) | instid1(VALU_DEP_1)
	v_add_f64_e32 v[44:45], v[46:47], v[44:45]
	v_add_f64_e32 v[44:45], v[54:55], v[44:45]
	s_delay_alu instid0(VALU_DEP_1) | instskip(SKIP_1) | instid1(VALU_DEP_2)
	v_mul_f64_e32 v[38:39], v[48:49], v[44:45]
	v_div_scale_f64 v[44:45], null, v[40:41], v[40:41], v[36:37]
	v_add_f64_e32 v[46:47], v[50:51], v[38:39]
	s_delay_alu instid0(VALU_DEP_2) | instskip(NEXT) | instid1(VALU_DEP_1)
	v_rcp_f64_e32 v[48:49], v[44:45]
	v_mul_f64_e32 v[52:53], v[46:47], v[46:47]
	s_delay_alu instid0(TRANS32_DEP_1) | instskip(NEXT) | instid1(VALU_DEP_2)
	v_fma_f64 v[56:57], -v[44:45], v[48:49], 1.0
	v_fmamk_f64 v[54:55], v[52:53], 0x3fc3ab76bf559e2b, v[24:25]
	v_mul_f64_e32 v[58:59], v[46:47], v[52:53]
	s_delay_alu instid0(VALU_DEP_2) | instskip(NEXT) | instid1(VALU_DEP_4)
	v_fmaak_f64 v[54:55], v[52:53], v[54:55], 0x3fc7474dd7f4df2e
	v_fmac_f64_e32 v[48:49], v[48:49], v[56:57]
	s_delay_alu instid0(VALU_DEP_2) | instskip(NEXT) | instid1(VALU_DEP_1)
	v_fmaak_f64 v[54:55], v[52:53], v[54:55], 0x3fcc71c016291751
	v_fmaak_f64 v[54:55], v[52:53], v[54:55], 0x3fd249249b27acf1
	s_delay_alu instid0(VALU_DEP_1) | instskip(NEXT) | instid1(VALU_DEP_1)
	v_fmaak_f64 v[54:55], v[52:53], v[54:55], 0x3fd99999998ef7b6
	v_fmaak_f64 v[52:53], v[52:53], v[54:55], 0x3fe5555555555780
	v_ldexp_f64 v[54:55], v[46:47], 1
	v_add_f64_e64 v[46:47], v[46:47], -v[50:51]
	v_fma_f64 v[56:57], -v[44:45], v[48:49], 1.0
	s_delay_alu instid0(VALU_DEP_4) | instskip(SKIP_1) | instid1(VALU_DEP_4)
	v_mul_f64_e32 v[52:53], v[58:59], v[52:53]
	v_cvt_f64_i32_e32 v[58:59], v10
	v_add_f64_e64 v[38:39], v[38:39], -v[46:47]
	s_delay_alu instid0(VALU_DEP_4) | instskip(NEXT) | instid1(VALU_DEP_4)
	v_fmac_f64_e32 v[48:49], v[48:49], v[56:57]
	v_add_f64_e32 v[50:51], v[54:55], v[52:53]
	s_delay_alu instid0(VALU_DEP_4) | instskip(NEXT) | instid1(VALU_DEP_4)
	v_mul_f64_e32 v[56:57], 0x3fe62e42fefa39ef, v[58:59]
	v_ldexp_f64 v[38:39], v[38:39], 1
	s_delay_alu instid0(VALU_DEP_3) | instskip(SKIP_1) | instid1(VALU_DEP_4)
	v_add_f64_e64 v[46:47], v[50:51], -v[54:55]
	v_mul_f64_e32 v[54:55], v[60:61], v[48:49]
	v_fma_f64 v[62:63], v[58:59], s[34:35], -v[56:57]
	s_delay_alu instid0(VALU_DEP_3) | instskip(NEXT) | instid1(VALU_DEP_3)
	v_add_f64_e64 v[46:47], v[52:53], -v[46:47]
	v_fma_f64 v[44:45], -v[44:45], v[54:55], v[60:61]
	s_delay_alu instid0(VALU_DEP_3) | instskip(NEXT) | instid1(VALU_DEP_3)
	v_fmac_f64_e32 v[62:63], 0x3c7abc9e3b39803f, v[58:59]
	v_add_f64_e32 v[38:39], v[38:39], v[46:47]
	s_delay_alu instid0(VALU_DEP_3) | instskip(NEXT) | instid1(VALU_DEP_3)
	v_div_fmas_f64 v[44:45], v[44:45], v[48:49], v[54:55]
	v_add_f64_e32 v[46:47], v[56:57], v[62:63]
	v_cmp_gt_i32_e32 vcc_lo, 0, v11
	s_delay_alu instid0(VALU_DEP_4) | instskip(NEXT) | instid1(VALU_DEP_4)
	v_add_f64_e32 v[48:49], v[50:51], v[38:39]
	v_div_fixup_f64 v[36:37], v[44:45], v[40:41], v[36:37]
	s_delay_alu instid0(VALU_DEP_4) | instskip(NEXT) | instid1(VALU_DEP_3)
	v_add_f64_e64 v[56:57], v[46:47], -v[56:57]
	v_add_f64_e32 v[40:41], v[46:47], v[48:49]
	s_delay_alu instid0(VALU_DEP_3) | instskip(SKIP_1) | instid1(VALU_DEP_4)
	v_mul_f64_e32 v[44:45], v[36:37], v[36:37]
	v_add_f64_e64 v[50:51], v[48:49], -v[50:51]
	v_add_f64_e64 v[56:57], v[62:63], -v[56:57]
	s_delay_alu instid0(VALU_DEP_4) | instskip(NEXT) | instid1(VALU_DEP_4)
	v_add_f64_e64 v[52:53], v[40:41], -v[46:47]
	v_fmamk_f64 v[54:55], v[44:45], 0x3eeba404b5e68a13, v[26:27]
	s_delay_alu instid0(VALU_DEP_4) | instskip(NEXT) | instid1(VALU_DEP_2)
	v_add_f64_e64 v[38:39], v[38:39], -v[50:51]
	v_fmaak_f64 v[54:55], v[44:45], v[54:55], 0x3f4b2bb069efb384
	s_delay_alu instid0(VALU_DEP_1) | instskip(NEXT) | instid1(VALU_DEP_1)
	v_fmaak_f64 v[54:55], v[44:45], v[54:55], 0xbf67952daf56de9b
	v_fmaak_f64 v[54:55], v[44:45], v[54:55], 0x3f7d6d43a595c56f
	s_delay_alu instid0(VALU_DEP_1) | instskip(SKIP_3) | instid1(VALU_DEP_4)
	v_fmaak_f64 v[54:55], v[44:45], v[54:55], 0xbf8c6ea4a57d9582
	v_add_f64_e64 v[58:59], v[40:41], -v[52:53]
	v_add_f64_e64 v[48:49], v[48:49], -v[52:53]
	v_add_f64_e32 v[52:53], v[56:57], v[38:39]
	v_fmaak_f64 v[54:55], v[44:45], v[54:55], 0x3f967e295f08b19f
	s_delay_alu instid0(VALU_DEP_1) | instskip(NEXT) | instid1(VALU_DEP_1)
	v_fmaak_f64 v[50:51], v[44:45], v[54:55], 0xbf9e9ae6fc27006a
	v_fmaak_f64 v[50:51], v[44:45], v[50:51], 0x3fa2c15b5711927a
	s_delay_alu instid0(VALU_DEP_1) | instskip(NEXT) | instid1(VALU_DEP_1)
	v_fmaak_f64 v[50:51], v[44:45], v[50:51], 0xbfa59976e82d3ff0
	v_fmaak_f64 v[50:51], v[44:45], v[50:51], 0x3fa82d5d6ef28734
	v_add_f64_e64 v[46:47], v[46:47], -v[58:59]
	s_delay_alu instid0(VALU_DEP_2) | instskip(NEXT) | instid1(VALU_DEP_2)
	v_fmaak_f64 v[50:51], v[44:45], v[50:51], 0xbfaae5ce6a214619
	v_add_f64_e32 v[46:47], v[48:49], v[46:47]
	s_delay_alu instid0(VALU_DEP_2) | instskip(SKIP_1) | instid1(VALU_DEP_2)
	v_fmaak_f64 v[48:49], v[44:45], v[50:51], 0x3fae1bb48427b883
	v_add_f64_e64 v[50:51], v[52:53], -v[56:57]
	v_fmaak_f64 v[48:49], v[44:45], v[48:49], 0xbfb110e48b207f05
	s_delay_alu instid0(VALU_DEP_1) | instskip(NEXT) | instid1(VALU_DEP_1)
	v_fmaak_f64 v[48:49], v[44:45], v[48:49], 0x3fb3b13657b87036
	v_fmaak_f64 v[48:49], v[44:45], v[48:49], 0xbfb745d119378e4f
	s_delay_alu instid0(VALU_DEP_1) | instskip(SKIP_2) | instid1(VALU_DEP_3)
	v_fmaak_f64 v[48:49], v[44:45], v[48:49], 0x3fbc71c717e1913c
	v_add_f64_e32 v[46:47], v[52:53], v[46:47]
	v_add_f64_e64 v[38:39], v[38:39], -v[50:51]
	v_fmaak_f64 v[48:49], v[44:45], v[48:49], 0xbfc2492492376b7d
	s_delay_alu instid0(VALU_DEP_1) | instskip(NEXT) | instid1(VALU_DEP_1)
	v_fmaak_f64 v[48:49], v[44:45], v[48:49], 0x3fc99999999952cc
	v_fmaak_f64 v[48:49], v[44:45], v[48:49], 0xbfd5555555555523
	s_delay_alu instid0(VALU_DEP_1) | instskip(SKIP_2) | instid1(VALU_DEP_3)
	v_mul_f64_e32 v[44:45], v[44:45], v[48:49]
	v_add_f64_e64 v[48:49], v[52:53], -v[50:51]
	v_add_f64_e32 v[52:53], v[40:41], v[46:47]
	v_fmac_f64_e32 v[36:37], v[36:37], v[44:45]
	s_delay_alu instid0(VALU_DEP_3) | instskip(NEXT) | instid1(VALU_DEP_3)
	v_add_f64_e64 v[44:45], v[56:57], -v[48:49]
	v_add_f64_e64 v[40:41], v[52:53], -v[40:41]
	s_delay_alu instid0(VALU_DEP_3) | instskip(NEXT) | instid1(VALU_DEP_3)
	v_add_f64_e64 v[48:49], -v[36:37], s[40:41]
	v_add_f64_e32 v[38:39], v[38:39], v[44:45]
	v_cndmask_b32_e32 v44, 0x54442d18, v68, vcc_lo
	v_and_b32_e32 v45, 0x54442d18, v21
	v_and_b32_e32 v21, 0x400921fb, v21
	v_add_f64_e64 v[40:41], v[46:47], -v[40:41]
	v_dual_cndmask_b32 v37, v37, v49, s6 :: v_dual_cndmask_b32 v36, v36, v48, s6
	s_delay_alu instid0(VALU_DEP_2) | instskip(NEXT) | instid1(VALU_DEP_2)
	v_add_f64_e32 v[38:39], v[38:39], v[40:41]
	v_add_f64_e64 v[40:41], -v[36:37], s[42:43]
	s_delay_alu instid0(VALU_DEP_2) | instskip(NEXT) | instid1(VALU_DEP_2)
	v_add_f64_e32 v[10:11], v[52:53], v[38:39]
	v_cndmask_b32_e32 v36, v36, v40, vcc_lo
	v_cndmask_b32_e32 v38, 0x3fe921fb, v69, vcc_lo
	s_delay_alu instid0(VALU_DEP_4) | instskip(SKIP_1) | instid1(VALU_DEP_4)
	v_cndmask_b32_e32 v37, v37, v41, vcc_lo
	v_cmp_ngt_f64_e32 vcc_lo, 0, v[42:43]
	v_cndmask_b32_e64 v40, v36, v45, s8
	s_delay_alu instid0(VALU_DEP_4) | instskip(NEXT) | instid1(VALU_DEP_4)
	v_bfi_b32 v38, 0x7fffffff, v38, v13
	v_dual_cndmask_b32 v21, v37, v21, s8 :: v_dual_cndmask_b32 v10, v10, v42, s7
	v_cndmask_b32_e64 v11, v11, v43, s7
	v_cmp_nge_f64_e64 s7, 0, v[42:43]
	s_delay_alu instid0(VALU_DEP_2) | instskip(SKIP_4) | instid1(VALU_DEP_1)
	v_cndmask_b32_e32 v11, 0x7ff80000, v11, vcc_lo
	s_and_b32 vcc_lo, s11, s10
	v_dual_cndmask_b32 v39, v21, v38 :: v_dual_cndmask_b32 v38, v40, v44
	v_cndmask_b32_e64 v36, 0, v10, s7
	v_cmp_neq_f64_e64 s7, 0, v[42:43]
	v_cndmask_b32_e64 v37, 0xfff00000, v11, s7
.LBB197_29:                             ;   in Loop: Header=BB197_4 Depth=1
	s_or_b32 exec_lo, exec_lo, s9
                                        ; implicit-def: $vgpr42_vgpr43
.LBB197_30:                             ;   in Loop: Header=BB197_4 Depth=1
	s_and_not1_saveexec_b32 s9, s54
	s_cbranch_execz .LBB197_36
; %bb.31:                               ;   in Loop: Header=BB197_4 Depth=1
                                        ; implicit-def: $vgpr36_vgpr37
                                        ; implicit-def: $vgpr38_vgpr39
	s_mov_b32 s7, exec_lo
	v_cmpx_ngt_f64_e32 s[46:47], v[42:43]
	s_xor_b32 s10, exec_lo, s7
	s_cbranch_execz .LBB197_33
; %bb.32:                               ;   in Loop: Header=BB197_4 Depth=1
	v_mul_f64_e32 v[36:37], v[42:43], v[42:43]
	v_cmp_eq_f64_e64 s7, 0, v[12:13]
	v_cmp_class_f64_e64 s11, v[12:13], 0x204
	v_cmp_class_f64_e64 s12, v[10:11], 0x204
	s_delay_alu instid0(VALU_DEP_4) | instskip(NEXT) | instid1(VALU_DEP_1)
	v_add_f64_e32 v[38:39], 1.0, v[36:37]
	v_frexp_mant_f64_e32 v[40:41], v[38:39]
	v_frexp_exp_i32_f64_e32 v21, v[38:39]
	v_add_f64_e32 v[42:43], -1.0, v[38:39]
	s_delay_alu instid0(VALU_DEP_3) | instskip(NEXT) | instid1(VALU_DEP_2)
	v_cmp_gt_f64_e32 vcc_lo, s[30:31], v[40:41]
	v_add_f64_e64 v[40:41], v[42:43], -v[38:39]
	s_delay_alu instid0(VALU_DEP_4) | instskip(NEXT) | instid1(VALU_DEP_1)
	v_subrev_co_ci_u32_e64 v21, null, 0, v21, vcc_lo
	v_dual_add_f64 v[42:43], v[36:37], -v[42:43] :: v_dual_sub_nc_u32 v46, 0, v21
	v_cmp_neq_f64_e64 s8, 0x7ff00000, v[36:37]
	s_delay_alu instid0(VALU_DEP_4) | instskip(NEXT) | instid1(VALU_DEP_3)
	v_add_f64_e32 v[40:41], 1.0, v[40:41]
	v_ldexp_f64 v[38:39], v[38:39], v46
	s_delay_alu instid0(VALU_DEP_2) | instskip(NEXT) | instid1(VALU_DEP_2)
	v_add_f64_e32 v[40:41], v[42:43], v[40:41]
	v_add_f64_e32 v[44:45], 1.0, v[38:39]
	v_add_f64_e32 v[50:51], -1.0, v[38:39]
	s_delay_alu instid0(VALU_DEP_3) | instskip(NEXT) | instid1(VALU_DEP_3)
	v_ldexp_f64 v[40:41], v[40:41], v46
	v_add_f64_e32 v[42:43], -1.0, v[44:45]
	s_delay_alu instid0(VALU_DEP_3) | instskip(NEXT) | instid1(VALU_DEP_2)
	v_add_f64_e32 v[52:53], 1.0, v[50:51]
	v_add_f64_e64 v[42:43], v[38:39], -v[42:43]
	s_delay_alu instid0(VALU_DEP_2) | instskip(NEXT) | instid1(VALU_DEP_2)
	v_add_f64_e64 v[38:39], v[38:39], -v[52:53]
	v_add_f64_e32 v[42:43], v[40:41], v[42:43]
	s_delay_alu instid0(VALU_DEP_2) | instskip(NEXT) | instid1(VALU_DEP_2)
	v_add_f64_e32 v[38:39], v[40:41], v[38:39]
	v_add_f64_e32 v[46:47], v[44:45], v[42:43]
	s_delay_alu instid0(VALU_DEP_2) | instskip(NEXT) | instid1(VALU_DEP_2)
	v_add_f64_e32 v[52:53], v[50:51], v[38:39]
	v_rcp_f64_e32 v[48:49], v[46:47]
	v_add_f64_e64 v[44:45], v[44:45], -v[46:47]
	s_delay_alu instid0(VALU_DEP_2) | instskip(NEXT) | instid1(VALU_DEP_2)
	v_add_f64_e64 v[50:51], v[50:51], -v[52:53]
	v_add_f64_e32 v[42:43], v[42:43], v[44:45]
	s_delay_alu instid0(VALU_DEP_2) | instskip(NEXT) | instid1(TRANS32_DEP_1)
	v_add_f64_e32 v[38:39], v[38:39], v[50:51]
	v_fma_f64 v[54:55], -v[46:47], v[48:49], 1.0
	s_delay_alu instid0(VALU_DEP_1) | instskip(NEXT) | instid1(VALU_DEP_1)
	v_fmac_f64_e32 v[48:49], v[54:55], v[48:49]
	v_fma_f64 v[40:41], -v[46:47], v[48:49], 1.0
	s_delay_alu instid0(VALU_DEP_1) | instskip(NEXT) | instid1(VALU_DEP_1)
	v_fmac_f64_e32 v[48:49], v[40:41], v[48:49]
	v_mul_f64_e32 v[40:41], v[52:53], v[48:49]
	s_delay_alu instid0(VALU_DEP_1) | instskip(NEXT) | instid1(VALU_DEP_1)
	v_mul_f64_e32 v[54:55], v[46:47], v[40:41]
	v_fma_f64 v[44:45], v[40:41], v[46:47], -v[54:55]
	s_delay_alu instid0(VALU_DEP_1) | instskip(NEXT) | instid1(VALU_DEP_1)
	v_fmac_f64_e32 v[44:45], v[40:41], v[42:43]
	v_add_f64_e32 v[56:57], v[54:55], v[44:45]
	s_delay_alu instid0(VALU_DEP_1) | instskip(SKIP_1) | instid1(VALU_DEP_2)
	v_add_f64_e64 v[58:59], v[52:53], -v[56:57]
	v_add_f64_e64 v[50:51], v[56:57], -v[54:55]
	;; [unrolled: 1-line block ×3, first 2 shown]
	s_delay_alu instid0(VALU_DEP_2) | instskip(NEXT) | instid1(VALU_DEP_2)
	v_add_f64_e64 v[44:45], v[50:51], -v[44:45]
	v_add_f64_e64 v[52:53], v[52:53], -v[56:57]
	s_delay_alu instid0(VALU_DEP_1) | instskip(NEXT) | instid1(VALU_DEP_1)
	v_add_f64_e32 v[38:39], v[38:39], v[52:53]
	v_add_f64_e32 v[38:39], v[44:45], v[38:39]
	s_delay_alu instid0(VALU_DEP_1) | instskip(NEXT) | instid1(VALU_DEP_1)
	v_add_f64_e32 v[44:45], v[58:59], v[38:39]
	v_mul_f64_e32 v[50:51], v[48:49], v[44:45]
	v_add_f64_e64 v[56:57], v[58:59], -v[44:45]
	s_delay_alu instid0(VALU_DEP_2) | instskip(NEXT) | instid1(VALU_DEP_2)
	v_mul_f64_e32 v[52:53], v[46:47], v[50:51]
	v_add_f64_e32 v[38:39], v[38:39], v[56:57]
	s_delay_alu instid0(VALU_DEP_2) | instskip(NEXT) | instid1(VALU_DEP_1)
	v_fma_f64 v[46:47], v[50:51], v[46:47], -v[52:53]
	v_fmac_f64_e32 v[46:47], v[50:51], v[42:43]
	s_delay_alu instid0(VALU_DEP_1) | instskip(NEXT) | instid1(VALU_DEP_1)
	v_add_f64_e32 v[42:43], v[52:53], v[46:47]
	v_add_f64_e64 v[54:55], v[44:45], -v[42:43]
	v_add_f64_e64 v[52:53], v[42:43], -v[52:53]
	s_delay_alu instid0(VALU_DEP_2) | instskip(NEXT) | instid1(VALU_DEP_1)
	v_add_f64_e64 v[44:45], v[44:45], -v[54:55]
	v_add_f64_e64 v[42:43], v[44:45], -v[42:43]
	s_delay_alu instid0(VALU_DEP_3) | instskip(SKIP_1) | instid1(VALU_DEP_3)
	v_add_f64_e64 v[44:45], v[52:53], -v[46:47]
	v_max_num_f64_e64 v[46:47], |v[10:11]|, |v[10:11]|
	v_add_f64_e32 v[38:39], v[38:39], v[42:43]
	v_add_f64_e32 v[42:43], v[40:41], v[50:51]
	s_delay_alu instid0(VALU_DEP_2) | instskip(NEXT) | instid1(VALU_DEP_2)
	v_add_f64_e32 v[38:39], v[44:45], v[38:39]
	v_add_f64_e64 v[40:41], v[42:43], -v[40:41]
	v_max_num_f64_e64 v[44:45], |v[12:13]|, |v[12:13]|
	s_delay_alu instid0(VALU_DEP_3) | instskip(NEXT) | instid1(VALU_DEP_3)
	v_add_f64_e32 v[38:39], v[54:55], v[38:39]
	v_add_f64_e64 v[40:41], v[50:51], -v[40:41]
	s_delay_alu instid0(VALU_DEP_2) | instskip(NEXT) | instid1(VALU_DEP_1)
	v_mul_f64_e32 v[38:39], v[48:49], v[38:39]
	v_add_f64_e32 v[38:39], v[40:41], v[38:39]
	v_max_num_f64_e32 v[40:41], v[46:47], v[44:45]
	v_min_num_f64_e32 v[44:45], v[46:47], v[44:45]
	s_delay_alu instid0(VALU_DEP_3) | instskip(NEXT) | instid1(VALU_DEP_2)
	v_add_f64_e32 v[46:47], v[42:43], v[38:39]
	v_div_scale_f64 v[48:49], null, v[40:41], v[40:41], v[44:45]
	s_delay_alu instid0(VALU_DEP_2) | instskip(SKIP_1) | instid1(VALU_DEP_3)
	v_mul_f64_e32 v[50:51], v[46:47], v[46:47]
	v_add_f64_e64 v[42:43], v[46:47], -v[42:43]
	v_rcp_f64_e32 v[52:53], v[48:49]
	s_delay_alu instid0(VALU_DEP_2) | instskip(SKIP_1) | instid1(VALU_DEP_3)
	v_fmamk_f64 v[54:55], v[50:51], 0x3fc3ab76bf559e2b, v[24:25]
	v_mul_f64_e32 v[56:57], v[46:47], v[50:51]
	v_add_f64_e64 v[38:39], v[38:39], -v[42:43]
	s_delay_alu instid0(VALU_DEP_3) | instskip(NEXT) | instid1(TRANS32_DEP_1)
	v_fmaak_f64 v[54:55], v[50:51], v[54:55], 0x3fc7474dd7f4df2e
	v_fma_f64 v[58:59], -v[48:49], v[52:53], 1.0
	s_delay_alu instid0(VALU_DEP_2) | instskip(NEXT) | instid1(VALU_DEP_1)
	v_fmaak_f64 v[54:55], v[50:51], v[54:55], 0x3fcc71c016291751
	v_fmaak_f64 v[54:55], v[50:51], v[54:55], 0x3fd249249b27acf1
	s_delay_alu instid0(VALU_DEP_1) | instskip(SKIP_1) | instid1(VALU_DEP_2)
	v_fmaak_f64 v[54:55], v[50:51], v[54:55], 0x3fd99999998ef7b6
	v_ldexp_f64 v[38:39], v[38:39], 1
	v_fmaak_f64 v[50:51], v[50:51], v[54:55], 0x3fe5555555555780
	v_ldexp_f64 v[54:55], v[46:47], 1
	v_fmac_f64_e32 v[52:53], v[52:53], v[58:59]
	s_delay_alu instid0(VALU_DEP_3) | instskip(SKIP_2) | instid1(VALU_DEP_4)
	v_mul_f64_e32 v[50:51], v[56:57], v[50:51]
	v_cvt_f64_i32_e32 v[56:57], v21
	v_ashrrev_i32_e32 v21, 31, v11
	v_fma_f64 v[58:59], -v[48:49], v[52:53], 1.0
	s_delay_alu instid0(VALU_DEP_4) | instskip(NEXT) | instid1(VALU_DEP_4)
	v_add_f64_e32 v[46:47], v[54:55], v[50:51]
	v_mul_f64_e32 v[60:61], 0x3fe62e42fefa39ef, v[56:57]
	s_delay_alu instid0(VALU_DEP_3) | instskip(NEXT) | instid1(VALU_DEP_3)
	v_fmac_f64_e32 v[52:53], v[52:53], v[58:59]
	v_add_f64_e64 v[42:43], v[46:47], -v[54:55]
	v_div_scale_f64 v[54:55], vcc_lo, v[44:45], v[40:41], v[44:45]
	s_delay_alu instid0(VALU_DEP_4) | instskip(NEXT) | instid1(VALU_DEP_3)
	v_fma_f64 v[58:59], v[56:57], s[34:35], -v[60:61]
	v_add_f64_e64 v[42:43], v[50:51], -v[42:43]
	s_delay_alu instid0(VALU_DEP_3) | instskip(NEXT) | instid1(VALU_DEP_3)
	v_mul_f64_e32 v[50:51], v[54:55], v[52:53]
	v_fmac_f64_e32 v[58:59], 0x3c7abc9e3b39803f, v[56:57]
	s_delay_alu instid0(VALU_DEP_3) | instskip(NEXT) | instid1(VALU_DEP_3)
	v_add_f64_e32 v[38:39], v[38:39], v[42:43]
	v_fma_f64 v[42:43], -v[48:49], v[50:51], v[54:55]
	s_delay_alu instid0(VALU_DEP_3) | instskip(NEXT) | instid1(VALU_DEP_3)
	v_add_f64_e32 v[48:49], v[60:61], v[58:59]
	v_add_f64_e32 v[54:55], v[46:47], v[38:39]
	s_delay_alu instid0(VALU_DEP_3) | instskip(SKIP_1) | instid1(VALU_DEP_4)
	v_div_fmas_f64 v[42:43], v[42:43], v[52:53], v[50:51]
	v_cmp_gt_i32_e32 vcc_lo, 0, v11
	v_add_f64_e64 v[52:53], v[48:49], -v[60:61]
	v_cndmask_b32_e32 v36, 0x3fe921fb, v69, vcc_lo
	s_delay_alu instid0(VALU_DEP_1) | instskip(SKIP_4) | instid1(VALU_DEP_4)
	v_bfi_b32 v36, 0x7fffffff, v36, v13
	v_add_f64_e32 v[50:51], v[48:49], v[54:55]
	v_div_fixup_f64 v[40:41], v[42:43], v[40:41], v[44:45]
	v_add_f64_e64 v[46:47], v[54:55], -v[46:47]
	v_add_f64_e64 v[52:53], v[58:59], -v[52:53]
	v_add_f64_e64 v[42:43], v[50:51], -v[48:49]
	s_delay_alu instid0(VALU_DEP_4) | instskip(NEXT) | instid1(VALU_DEP_4)
	v_mul_f64_e32 v[44:45], v[40:41], v[40:41]
	v_add_f64_e64 v[38:39], v[38:39], -v[46:47]
	s_delay_alu instid0(VALU_DEP_3) | instskip(NEXT) | instid1(VALU_DEP_3)
	v_add_f64_e64 v[56:57], v[50:51], -v[42:43]
	v_fmamk_f64 v[60:61], v[44:45], 0x3eeba404b5e68a13, v[26:27]
	v_add_f64_e64 v[42:43], v[54:55], -v[42:43]
	s_delay_alu instid0(VALU_DEP_4) | instskip(NEXT) | instid1(VALU_DEP_3)
	v_add_f64_e32 v[54:55], v[52:53], v[38:39]
	v_fmaak_f64 v[60:61], v[44:45], v[60:61], 0x3f4b2bb069efb384
	s_delay_alu instid0(VALU_DEP_1) | instskip(SKIP_1) | instid1(VALU_DEP_2)
	v_fmaak_f64 v[60:61], v[44:45], v[60:61], 0xbf67952daf56de9b
	v_add_f64_e64 v[46:47], v[48:49], -v[56:57]
	v_fmaak_f64 v[48:49], v[44:45], v[60:61], 0x3f7d6d43a595c56f
	s_delay_alu instid0(VALU_DEP_1) | instskip(NEXT) | instid1(VALU_DEP_1)
	v_fmaak_f64 v[48:49], v[44:45], v[48:49], 0xbf8c6ea4a57d9582
	v_fmaak_f64 v[48:49], v[44:45], v[48:49], 0x3f967e295f08b19f
	s_delay_alu instid0(VALU_DEP_1) | instskip(NEXT) | instid1(VALU_DEP_1)
	v_fmaak_f64 v[48:49], v[44:45], v[48:49], 0xbf9e9ae6fc27006a
	v_fmaak_f64 v[48:49], v[44:45], v[48:49], 0x3fa2c15b5711927a
	v_add_f64_e32 v[42:43], v[42:43], v[46:47]
	s_delay_alu instid0(VALU_DEP_2) | instskip(SKIP_1) | instid1(VALU_DEP_2)
	v_fmaak_f64 v[46:47], v[44:45], v[48:49], 0xbfa59976e82d3ff0
	v_add_f64_e64 v[48:49], v[54:55], -v[52:53]
	v_fmaak_f64 v[46:47], v[44:45], v[46:47], 0x3fa82d5d6ef28734
	s_delay_alu instid0(VALU_DEP_1) | instskip(NEXT) | instid1(VALU_DEP_1)
	v_fmaak_f64 v[46:47], v[44:45], v[46:47], 0xbfaae5ce6a214619
	v_fmaak_f64 v[46:47], v[44:45], v[46:47], 0x3fae1bb48427b883
	s_delay_alu instid0(VALU_DEP_1) | instskip(SKIP_3) | instid1(VALU_DEP_4)
	v_fmaak_f64 v[46:47], v[44:45], v[46:47], 0xbfb110e48b207f05
	v_add_f64_e32 v[42:43], v[54:55], v[42:43]
	v_add_f64_e64 v[54:55], v[54:55], -v[48:49]
	v_add_f64_e64 v[38:39], v[38:39], -v[48:49]
	v_fmaak_f64 v[46:47], v[44:45], v[46:47], 0x3fb3b13657b87036
	s_delay_alu instid0(VALU_DEP_1) | instskip(NEXT) | instid1(VALU_DEP_1)
	v_fmaak_f64 v[46:47], v[44:45], v[46:47], 0xbfb745d119378e4f
	v_fmaak_f64 v[46:47], v[44:45], v[46:47], 0x3fbc71c717e1913c
	s_delay_alu instid0(VALU_DEP_1) | instskip(SKIP_1) | instid1(VALU_DEP_2)
	v_fmaak_f64 v[46:47], v[44:45], v[46:47], 0xbfc2492492376b7d
	v_add_f64_e32 v[56:57], v[50:51], v[42:43]
	v_fmaak_f64 v[46:47], v[44:45], v[46:47], 0x3fc99999999952cc
	s_delay_alu instid0(VALU_DEP_1) | instskip(NEXT) | instid1(VALU_DEP_1)
	v_fmaak_f64 v[46:47], v[44:45], v[46:47], 0xbfd5555555555523
	v_mul_f64_e32 v[44:45], v[44:45], v[46:47]
	v_add_f64_e64 v[46:47], v[52:53], -v[54:55]
	v_add_f64_e64 v[48:49], v[56:57], -v[50:51]
	s_delay_alu instid0(VALU_DEP_3) | instskip(NEXT) | instid1(VALU_DEP_3)
	v_fmac_f64_e32 v[40:41], v[40:41], v[44:45]
	v_add_f64_e32 v[38:39], v[38:39], v[46:47]
	s_delay_alu instid0(VALU_DEP_3) | instskip(NEXT) | instid1(VALU_DEP_3)
	v_add_f64_e64 v[42:43], v[42:43], -v[48:49]
	v_add_f64_e64 v[44:45], -v[40:41], s[40:41]
	s_delay_alu instid0(VALU_DEP_1) | instskip(NEXT) | instid1(VALU_DEP_2)
	v_dual_add_f64 v[38:39], v[38:39], v[42:43] :: v_dual_cndmask_b32 v41, v41, v45, s6
	v_cndmask_b32_e64 v40, v40, v44, s6
	v_and_b32_e32 v45, 0x54442d18, v21
	v_and_b32_e32 v21, 0x400921fb, v21
	v_cndmask_b32_e32 v44, 0x54442d18, v68, vcc_lo
	s_delay_alu instid0(VALU_DEP_4) | instskip(SKIP_1) | instid1(VALU_DEP_2)
	v_add_f64_e64 v[42:43], -v[40:41], s[42:43]
	v_add_f64_e32 v[38:39], v[56:57], v[38:39]
	v_dual_cndmask_b32 v40, v40, v42 :: v_dual_cndmask_b32 v37, v41, v43
	s_and_b32 vcc_lo, s11, s12
                                        ; implicit-def: $vgpr42_vgpr43
	s_delay_alu instid0(VALU_DEP_1) | instskip(NEXT) | instid1(VALU_DEP_1)
	v_dual_mul_f64 v[10:11], 0.5, v[38:39] :: v_dual_cndmask_b32 v21, v37, v21, s7
	v_dual_cndmask_b32 v38, v40, v45, s7 :: v_dual_cndmask_b32 v39, v21, v36, vcc_lo
	s_delay_alu instid0(VALU_DEP_1) | instskip(NEXT) | instid1(VALU_DEP_3)
	v_cndmask_b32_e32 v38, v38, v44, vcc_lo
	v_cndmask_b32_e64 v37, 0x7ff00000, v11, s8
	s_delay_alu instid0(VALU_DEP_4)
	v_cndmask_b32_e64 v36, 0, v10, s8
.LBB197_33:                             ;   in Loop: Header=BB197_4 Depth=1
	s_and_not1_saveexec_b32 s8, s10
	s_cbranch_execz .LBB197_35
; %bb.34:                               ;   in Loop: Header=BB197_4 Depth=1
	v_max_num_f64_e64 v[36:37], |v[12:13]|, |v[12:13]|
	v_max_num_f64_e64 v[38:39], |v[10:11]|, |v[10:11]|
	v_cmp_eq_f64_e64 s7, 0, v[12:13]
	v_cmp_class_f64_e64 s11, v[10:11], 0x204
	v_cmp_class_f64_e64 s10, v[12:13], 0x204
	s_delay_alu instid0(VALU_DEP_4) | instskip(SKIP_1) | instid1(VALU_DEP_1)
	v_dual_max_num_f64 v[40:41], v[38:39], v[36:37] :: v_dual_ashrrev_i32 v21, 31, v11
	v_min_num_f64_e32 v[36:37], v[38:39], v[36:37]
	v_div_scale_f64 v[38:39], null, v[40:41], v[40:41], v[36:37]
	v_div_scale_f64 v[48:49], vcc_lo, v[36:37], v[40:41], v[36:37]
	s_delay_alu instid0(VALU_DEP_2) | instskip(SKIP_1) | instid1(TRANS32_DEP_1)
	v_rcp_f64_e32 v[44:45], v[38:39]
	v_nop
	v_fma_f64 v[46:47], -v[38:39], v[44:45], 1.0
	s_delay_alu instid0(VALU_DEP_1) | instskip(NEXT) | instid1(VALU_DEP_1)
	v_fmac_f64_e32 v[44:45], v[44:45], v[46:47]
	v_fma_f64 v[46:47], -v[38:39], v[44:45], 1.0
	s_delay_alu instid0(VALU_DEP_1) | instskip(NEXT) | instid1(VALU_DEP_1)
	v_fmac_f64_e32 v[44:45], v[44:45], v[46:47]
	v_mul_f64_e32 v[46:47], v[48:49], v[44:45]
	s_delay_alu instid0(VALU_DEP_1) | instskip(NEXT) | instid1(VALU_DEP_1)
	v_fma_f64 v[38:39], -v[38:39], v[46:47], v[48:49]
	v_div_fmas_f64 v[38:39], v[38:39], v[44:45], v[46:47]
	v_cmp_gt_i32_e32 vcc_lo, 0, v11
	v_and_b32_e32 v11, 0x400921fb, v21
	v_and_b32_e32 v45, 0x54442d18, v21
	v_cndmask_b32_e32 v44, 0x54442d18, v68, vcc_lo
	v_cndmask_b32_e32 v10, 0x3fe921fb, v69, vcc_lo
	s_delay_alu instid0(VALU_DEP_1) | instskip(SKIP_1) | instid1(VALU_DEP_1)
	v_bfi_b32 v10, 0x7fffffff, v10, v13
	v_div_fixup_f64 v[36:37], v[38:39], v[40:41], v[36:37]
	v_mul_f64_e32 v[38:39], v[36:37], v[36:37]
	s_delay_alu instid0(VALU_DEP_1) | instskip(NEXT) | instid1(VALU_DEP_1)
	v_fmamk_f64 v[40:41], v[38:39], 0x3eeba404b5e68a13, v[26:27]
	v_fmaak_f64 v[40:41], v[38:39], v[40:41], 0x3f4b2bb069efb384
	s_delay_alu instid0(VALU_DEP_1) | instskip(NEXT) | instid1(VALU_DEP_1)
	v_fmaak_f64 v[40:41], v[38:39], v[40:41], 0xbf67952daf56de9b
	v_fmaak_f64 v[40:41], v[38:39], v[40:41], 0x3f7d6d43a595c56f
	s_delay_alu instid0(VALU_DEP_1) | instskip(NEXT) | instid1(VALU_DEP_1)
	v_fmaak_f64 v[40:41], v[38:39], v[40:41], 0xbf8c6ea4a57d9582
	;; [unrolled: 3-line block ×9, first 2 shown]
	v_mul_f64_e32 v[38:39], v[38:39], v[40:41]
	s_delay_alu instid0(VALU_DEP_1) | instskip(NEXT) | instid1(VALU_DEP_1)
	v_fmac_f64_e32 v[36:37], v[36:37], v[38:39]
	v_add_f64_e64 v[38:39], -v[36:37], s[40:41]
	s_delay_alu instid0(VALU_DEP_1) | instskip(SKIP_1) | instid1(VALU_DEP_1)
	v_dual_cndmask_b32 v39, v37, v39, s6 :: v_dual_cndmask_b32 v38, v36, v38, s6
	v_mul_f64_e32 v[36:37], 0.5, v[42:43]
	v_mul_f64_e32 v[36:37], v[42:43], v[36:37]
	s_delay_alu instid0(VALU_DEP_3) | instskip(NEXT) | instid1(VALU_DEP_1)
	v_add_f64_e64 v[40:41], -v[38:39], s[42:43]
	v_cndmask_b32_e32 v38, v38, v40, vcc_lo
	s_delay_alu instid0(VALU_DEP_1) | instskip(NEXT) | instid1(VALU_DEP_3)
	v_cndmask_b32_e64 v38, v38, v45, s7
	v_cndmask_b32_e32 v21, v39, v41, vcc_lo
	s_and_b32 vcc_lo, s10, s11
	s_delay_alu instid0(VALU_DEP_1) | instid1(SALU_CYCLE_1)
	v_dual_cndmask_b32 v38, v38, v44, vcc_lo :: v_dual_cndmask_b32 v11, v21, v11, s7
	s_delay_alu instid0(VALU_DEP_1)
	v_cndmask_b32_e32 v39, v11, v10, vcc_lo
.LBB197_35:                             ;   in Loop: Header=BB197_4 Depth=1
	s_or_b32 exec_lo, exec_lo, s8
.LBB197_36:                             ;   in Loop: Header=BB197_4 Depth=1
	s_delay_alu instid0(SALU_CYCLE_1)
	s_or_b32 exec_lo, exec_lo, s9
.LBB197_37:                             ;   in Loop: Header=BB197_4 Depth=1
	s_and_not1_saveexec_b32 s8, s33
	s_cbranch_execz .LBB197_39
; %bb.38:                               ;   in Loop: Header=BB197_4 Depth=1
	v_div_scale_f64 v[36:37], null, s[48:49], s[48:49], v[10:11]
	v_div_scale_f64 v[38:39], null, s[48:49], s[48:49], v[12:13]
	v_div_scale_f64 v[48:49], vcc_lo, v[10:11], s[48:49], v[10:11]
	s_delay_alu instid0(VALU_DEP_3) | instskip(NEXT) | instid1(VALU_DEP_2)
	v_rcp_f64_e32 v[40:41], v[36:37]
	v_rcp_f64_e32 v[42:43], v[38:39]
	s_delay_alu instid0(TRANS32_DEP_2) | instskip(NEXT) | instid1(TRANS32_DEP_1)
	v_fma_f64 v[44:45], -v[36:37], v[40:41], 1.0
	v_fma_f64 v[46:47], -v[38:39], v[42:43], 1.0
	s_delay_alu instid0(VALU_DEP_2) | instskip(NEXT) | instid1(VALU_DEP_2)
	v_fmac_f64_e32 v[40:41], v[40:41], v[44:45]
	v_fmac_f64_e32 v[42:43], v[42:43], v[46:47]
	s_delay_alu instid0(VALU_DEP_2) | instskip(NEXT) | instid1(VALU_DEP_2)
	v_fma_f64 v[44:45], -v[36:37], v[40:41], 1.0
	v_fma_f64 v[46:47], -v[38:39], v[42:43], 1.0
	s_delay_alu instid0(VALU_DEP_2) | instskip(SKIP_1) | instid1(VALU_DEP_3)
	v_fmac_f64_e32 v[40:41], v[40:41], v[44:45]
	v_div_scale_f64 v[44:45], s7, v[12:13], s[48:49], v[12:13]
	v_fmac_f64_e32 v[42:43], v[42:43], v[46:47]
	s_delay_alu instid0(VALU_DEP_3) | instskip(NEXT) | instid1(VALU_DEP_2)
	v_mul_f64_e32 v[46:47], v[48:49], v[40:41]
	v_mul_f64_e32 v[50:51], v[44:45], v[42:43]
	s_delay_alu instid0(VALU_DEP_2) | instskip(NEXT) | instid1(VALU_DEP_2)
	v_fma_f64 v[36:37], -v[36:37], v[46:47], v[48:49]
	v_fma_f64 v[38:39], -v[38:39], v[50:51], v[44:45]
	s_delay_alu instid0(VALU_DEP_2) | instskip(SKIP_1) | instid1(VALU_DEP_2)
	v_div_fmas_f64 v[36:37], v[36:37], v[40:41], v[46:47]
	s_mov_b32 vcc_lo, s7
	v_div_fmas_f64 v[38:39], v[38:39], v[42:43], v[50:51]
	s_delay_alu instid0(VALU_DEP_2) | instskip(NEXT) | instid1(VALU_DEP_2)
	v_div_fixup_f64 v[36:37], v[36:37], s[48:49], v[10:11]
	v_div_fixup_f64 v[38:39], v[38:39], s[48:49], v[12:13]
	s_delay_alu instid0(VALU_DEP_2) | instskip(NEXT) | instid1(VALU_DEP_2)
	v_cmp_class_f64_e64 s7, v[36:37], 0x204
	v_max_num_f64_e64 v[40:41], |v[36:37]|, |v[38:39]|
	v_cmp_class_f64_e64 s9, v[38:39], 0x204
	s_delay_alu instid0(VALU_DEP_2) | instskip(SKIP_2) | instid1(VALU_DEP_2)
	v_frexp_exp_i32_f64_e32 v21, v[40:41]
	s_or_b32 s7, s9, s7
	v_cmp_class_f64_e64 s9, v[10:11], 0x204
	v_sub_nc_u32_e32 v42, 0, v21
	s_delay_alu instid0(VALU_DEP_1) | instskip(SKIP_1) | instid1(VALU_DEP_2)
	v_ldexp_f64 v[40:41], |v[38:39]|, v42
	v_ldexp_f64 v[42:43], |v[36:37]|, v42
	v_mul_f64_e32 v[40:41], v[40:41], v[40:41]
	s_delay_alu instid0(VALU_DEP_1) | instskip(NEXT) | instid1(VALU_DEP_1)
	v_fmac_f64_e32 v[40:41], v[42:43], v[42:43]
	v_rsq_f64_e32 v[42:43], v[40:41]
	v_cmp_eq_f64_e32 vcc_lo, 0, v[40:41]
	s_delay_alu instid0(TRANS32_DEP_1) | instskip(SKIP_1) | instid1(VALU_DEP_1)
	v_mul_f64_e32 v[44:45], v[40:41], v[42:43]
	v_mul_f64_e32 v[42:43], 0.5, v[42:43]
	v_fma_f64 v[46:47], -v[42:43], v[44:45], 0.5
	s_delay_alu instid0(VALU_DEP_1) | instskip(SKIP_1) | instid1(VALU_DEP_2)
	v_fmac_f64_e32 v[44:45], v[44:45], v[46:47]
	v_fmac_f64_e32 v[42:43], v[42:43], v[46:47]
	v_fma_f64 v[46:47], -v[44:45], v[44:45], v[40:41]
	s_delay_alu instid0(VALU_DEP_1) | instskip(NEXT) | instid1(VALU_DEP_1)
	v_fmac_f64_e32 v[44:45], v[46:47], v[42:43]
	v_dual_cndmask_b32 v41, v45, v41 :: v_dual_cndmask_b32 v40, v44, v40
	v_cmp_o_f64_e32 vcc_lo, v[36:37], v[38:39]
	s_delay_alu instid0(VALU_DEP_2) | instskip(NEXT) | instid1(VALU_DEP_1)
	v_ldexp_f64 v[40:41], v[40:41], v21
	v_cndmask_b32_e32 v21, 0, v40, vcc_lo
	s_delay_alu instid0(VALU_DEP_2) | instskip(NEXT) | instid1(VALU_DEP_2)
	v_cndmask_b32_e32 v36, 0x7ff80000, v41, vcc_lo
	v_cndmask_b32_e64 v40, v21, 0, s7
	s_delay_alu instid0(VALU_DEP_2) | instskip(SKIP_1) | instid1(VALU_DEP_2)
	v_cndmask_b32_e64 v41, v36, 0x7ff00000, s7
	v_cmp_class_f64_e64 s7, v[12:13], 0x204
	v_frexp_mant_f64_e32 v[36:37], v[40:41]
	s_delay_alu instid0(VALU_DEP_1) | instskip(SKIP_1) | instid1(VALU_DEP_1)
	v_cmp_gt_f64_e32 vcc_lo, s[30:31], v[36:37]
	v_cndmask_b32_e64 v21, 0, 1, vcc_lo
	v_ldexp_f64 v[36:37], v[36:37], v21
	v_frexp_exp_i32_f64_e32 v21, v[40:41]
	s_delay_alu instid0(VALU_DEP_2) | instskip(SKIP_1) | instid1(VALU_DEP_3)
	v_add_f64_e32 v[38:39], 1.0, v[36:37]
	v_add_f64_e32 v[46:47], -1.0, v[36:37]
	v_subrev_co_ci_u32_e64 v21, null, 0, v21, vcc_lo
	s_delay_alu instid0(VALU_DEP_3) | instskip(SKIP_1) | instid1(VALU_DEP_1)
	v_rcp_f64_e32 v[42:43], v[38:39]
	v_add_f64_e32 v[48:49], -1.0, v[38:39]
	v_add_f64_e64 v[36:37], v[36:37], -v[48:49]
	s_delay_alu instid0(TRANS32_DEP_1) | instskip(NEXT) | instid1(VALU_DEP_1)
	v_fma_f64 v[44:45], -v[38:39], v[42:43], 1.0
	v_fmac_f64_e32 v[42:43], v[44:45], v[42:43]
	s_delay_alu instid0(VALU_DEP_1) | instskip(NEXT) | instid1(VALU_DEP_1)
	v_fma_f64 v[44:45], -v[38:39], v[42:43], 1.0
	v_fmac_f64_e32 v[42:43], v[44:45], v[42:43]
	s_delay_alu instid0(VALU_DEP_1) | instskip(NEXT) | instid1(VALU_DEP_1)
	v_mul_f64_e32 v[44:45], v[46:47], v[42:43]
	v_mul_f64_e32 v[50:51], v[38:39], v[44:45]
	s_delay_alu instid0(VALU_DEP_1) | instskip(NEXT) | instid1(VALU_DEP_1)
	v_fma_f64 v[38:39], v[44:45], v[38:39], -v[50:51]
	v_fmac_f64_e32 v[38:39], v[44:45], v[36:37]
	s_delay_alu instid0(VALU_DEP_1) | instskip(NEXT) | instid1(VALU_DEP_1)
	v_add_f64_e32 v[36:37], v[50:51], v[38:39]
	v_add_f64_e64 v[48:49], v[46:47], -v[36:37]
	v_add_f64_e64 v[50:51], v[36:37], -v[50:51]
	s_delay_alu instid0(VALU_DEP_2) | instskip(NEXT) | instid1(VALU_DEP_2)
	v_add_f64_e64 v[46:47], v[46:47], -v[48:49]
	v_add_f64_e64 v[38:39], v[50:51], -v[38:39]
	s_delay_alu instid0(VALU_DEP_2) | instskip(SKIP_1) | instid1(VALU_DEP_2)
	v_add_f64_e64 v[36:37], v[46:47], -v[36:37]
	v_max_num_f64_e64 v[46:47], |v[10:11]|, |v[10:11]|
	v_add_f64_e32 v[36:37], v[38:39], v[36:37]
	v_max_num_f64_e64 v[38:39], |v[12:13]|, |v[12:13]|
	s_delay_alu instid0(VALU_DEP_2) | instskip(NEXT) | instid1(VALU_DEP_1)
	v_add_f64_e32 v[36:37], v[48:49], v[36:37]
	v_mul_f64_e32 v[36:37], v[42:43], v[36:37]
	s_delay_alu instid0(VALU_DEP_3) | instskip(SKIP_1) | instid1(VALU_DEP_3)
	v_max_num_f64_e32 v[42:43], v[46:47], v[38:39]
	v_min_num_f64_e32 v[38:39], v[46:47], v[38:39]
	v_add_f64_e32 v[46:47], v[44:45], v[36:37]
	s_delay_alu instid0(VALU_DEP_2) | instskip(NEXT) | instid1(VALU_DEP_2)
	v_div_scale_f64 v[48:49], null, v[42:43], v[42:43], v[38:39]
	v_mul_f64_e32 v[50:51], v[46:47], v[46:47]
	v_add_f64_e64 v[44:45], v[46:47], -v[44:45]
	s_delay_alu instid0(VALU_DEP_3) | instskip(NEXT) | instid1(VALU_DEP_2)
	v_rcp_f64_e32 v[52:53], v[48:49]
	v_fmamk_f64 v[54:55], v[50:51], 0x3fc3ab76bf559e2b, v[24:25]
	v_mul_f64_e32 v[56:57], v[46:47], v[50:51]
	s_delay_alu instid0(VALU_DEP_3) | instskip(NEXT) | instid1(VALU_DEP_3)
	v_add_f64_e64 v[36:37], v[36:37], -v[44:45]
	v_fmaak_f64 v[54:55], v[50:51], v[54:55], 0x3fc7474dd7f4df2e
	s_delay_alu instid0(TRANS32_DEP_1) | instskip(NEXT) | instid1(VALU_DEP_2)
	v_fma_f64 v[58:59], -v[48:49], v[52:53], 1.0
	v_fmaak_f64 v[54:55], v[50:51], v[54:55], 0x3fcc71c016291751
	s_delay_alu instid0(VALU_DEP_1) | instskip(NEXT) | instid1(VALU_DEP_1)
	v_fmaak_f64 v[54:55], v[50:51], v[54:55], 0x3fd249249b27acf1
	v_fmaak_f64 v[54:55], v[50:51], v[54:55], 0x3fd99999998ef7b6
	v_ldexp_f64 v[36:37], v[36:37], 1
	s_delay_alu instid0(VALU_DEP_2) | instskip(SKIP_2) | instid1(VALU_DEP_3)
	v_fmaak_f64 v[50:51], v[50:51], v[54:55], 0x3fe5555555555780
	v_ldexp_f64 v[54:55], v[46:47], 1
	v_fmac_f64_e32 v[52:53], v[52:53], v[58:59]
	v_mul_f64_e32 v[50:51], v[56:57], v[50:51]
	v_cvt_f64_i32_e32 v[56:57], v21
	v_ashrrev_i32_e32 v21, 31, v11
	s_delay_alu instid0(VALU_DEP_4) | instskip(NEXT) | instid1(VALU_DEP_4)
	v_fma_f64 v[58:59], -v[48:49], v[52:53], 1.0
	v_add_f64_e32 v[46:47], v[54:55], v[50:51]
	s_delay_alu instid0(VALU_DEP_4) | instskip(NEXT) | instid1(VALU_DEP_3)
	v_mul_f64_e32 v[60:61], 0x3fe62e42fefa39ef, v[56:57]
	v_fmac_f64_e32 v[52:53], v[52:53], v[58:59]
	s_delay_alu instid0(VALU_DEP_3) | instskip(SKIP_1) | instid1(VALU_DEP_4)
	v_add_f64_e64 v[44:45], v[46:47], -v[54:55]
	v_div_scale_f64 v[54:55], vcc_lo, v[38:39], v[42:43], v[38:39]
	v_fma_f64 v[58:59], v[56:57], s[34:35], -v[60:61]
	s_delay_alu instid0(VALU_DEP_3) | instskip(NEXT) | instid1(VALU_DEP_3)
	v_add_f64_e64 v[44:45], v[50:51], -v[44:45]
	v_mul_f64_e32 v[50:51], v[54:55], v[52:53]
	s_delay_alu instid0(VALU_DEP_3) | instskip(NEXT) | instid1(VALU_DEP_3)
	v_fmac_f64_e32 v[58:59], 0x3c7abc9e3b39803f, v[56:57]
	v_add_f64_e32 v[36:37], v[36:37], v[44:45]
	s_delay_alu instid0(VALU_DEP_3) | instskip(NEXT) | instid1(VALU_DEP_3)
	v_fma_f64 v[44:45], -v[48:49], v[50:51], v[54:55]
	v_add_f64_e32 v[48:49], v[60:61], v[58:59]
	s_delay_alu instid0(VALU_DEP_3) | instskip(NEXT) | instid1(VALU_DEP_3)
	v_add_f64_e32 v[54:55], v[46:47], v[36:37]
	v_div_fmas_f64 v[44:45], v[44:45], v[52:53], v[50:51]
	v_cmp_class_f64_e64 vcc_lo, v[40:41], 0x204
	s_delay_alu instid0(VALU_DEP_4) | instskip(NEXT) | instid1(VALU_DEP_4)
	v_add_f64_e64 v[52:53], v[48:49], -v[60:61]
	v_add_f64_e32 v[50:51], v[48:49], v[54:55]
	s_delay_alu instid0(VALU_DEP_4) | instskip(SKIP_1) | instid1(VALU_DEP_4)
	v_div_fixup_f64 v[38:39], v[44:45], v[42:43], v[38:39]
	v_add_f64_e64 v[46:47], v[54:55], -v[46:47]
	v_add_f64_e64 v[52:53], v[58:59], -v[52:53]
	s_delay_alu instid0(VALU_DEP_4) | instskip(NEXT) | instid1(VALU_DEP_4)
	v_add_f64_e64 v[42:43], v[50:51], -v[48:49]
	v_mul_f64_e32 v[44:45], v[38:39], v[38:39]
	s_delay_alu instid0(VALU_DEP_4) | instskip(NEXT) | instid1(VALU_DEP_3)
	v_add_f64_e64 v[36:37], v[36:37], -v[46:47]
	v_add_f64_e64 v[56:57], v[50:51], -v[42:43]
	s_delay_alu instid0(VALU_DEP_3) | instskip(SKIP_1) | instid1(VALU_DEP_4)
	v_fmamk_f64 v[60:61], v[44:45], 0x3eeba404b5e68a13, v[26:27]
	v_add_f64_e64 v[42:43], v[54:55], -v[42:43]
	v_add_f64_e32 v[54:55], v[52:53], v[36:37]
	s_delay_alu instid0(VALU_DEP_3) | instskip(SKIP_1) | instid1(VALU_DEP_2)
	v_fmaak_f64 v[60:61], v[44:45], v[60:61], 0x3f4b2bb069efb384
	v_add_f64_e64 v[46:47], v[48:49], -v[56:57]
	v_fmaak_f64 v[48:49], v[44:45], v[60:61], 0xbf67952daf56de9b
	s_delay_alu instid0(VALU_DEP_1) | instskip(NEXT) | instid1(VALU_DEP_1)
	v_fmaak_f64 v[48:49], v[44:45], v[48:49], 0x3f7d6d43a595c56f
	v_fmaak_f64 v[48:49], v[44:45], v[48:49], 0xbf8c6ea4a57d9582
	s_delay_alu instid0(VALU_DEP_1) | instskip(SKIP_1) | instid1(VALU_DEP_2)
	v_fmaak_f64 v[48:49], v[44:45], v[48:49], 0x3f967e295f08b19f
	v_add_f64_e32 v[42:43], v[42:43], v[46:47]
	v_fmaak_f64 v[46:47], v[44:45], v[48:49], 0xbf9e9ae6fc27006a
	v_add_f64_e64 v[48:49], v[54:55], -v[52:53]
	s_delay_alu instid0(VALU_DEP_2) | instskip(NEXT) | instid1(VALU_DEP_1)
	v_fmaak_f64 v[46:47], v[44:45], v[46:47], 0x3fa2c15b5711927a
	v_fmaak_f64 v[46:47], v[44:45], v[46:47], 0xbfa59976e82d3ff0
	s_delay_alu instid0(VALU_DEP_1) | instskip(NEXT) | instid1(VALU_DEP_1)
	v_fmaak_f64 v[46:47], v[44:45], v[46:47], 0x3fa82d5d6ef28734
	v_fmaak_f64 v[46:47], v[44:45], v[46:47], 0xbfaae5ce6a214619
	v_add_f64_e32 v[42:43], v[54:55], v[42:43]
	v_add_f64_e64 v[54:55], v[54:55], -v[48:49]
	v_add_f64_e64 v[36:37], v[36:37], -v[48:49]
	s_delay_alu instid0(VALU_DEP_4) | instskip(NEXT) | instid1(VALU_DEP_1)
	v_fmaak_f64 v[46:47], v[44:45], v[46:47], 0x3fae1bb48427b883
	v_fmaak_f64 v[46:47], v[44:45], v[46:47], 0xbfb110e48b207f05
	s_delay_alu instid0(VALU_DEP_1) | instskip(NEXT) | instid1(VALU_DEP_1)
	v_fmaak_f64 v[46:47], v[44:45], v[46:47], 0x3fb3b13657b87036
	v_fmaak_f64 v[46:47], v[44:45], v[46:47], 0xbfb745d119378e4f
	s_delay_alu instid0(VALU_DEP_1) | instskip(SKIP_1) | instid1(VALU_DEP_2)
	v_fmaak_f64 v[46:47], v[44:45], v[46:47], 0x3fbc71c717e1913c
	v_add_f64_e32 v[56:57], v[50:51], v[42:43]
	v_fmaak_f64 v[46:47], v[44:45], v[46:47], 0xbfc2492492376b7d
	s_delay_alu instid0(VALU_DEP_1) | instskip(NEXT) | instid1(VALU_DEP_1)
	v_fmaak_f64 v[46:47], v[44:45], v[46:47], 0x3fc99999999952cc
	v_fmaak_f64 v[46:47], v[44:45], v[46:47], 0xbfd5555555555523
	s_delay_alu instid0(VALU_DEP_1) | instskip(SKIP_2) | instid1(VALU_DEP_3)
	v_mul_f64_e32 v[44:45], v[44:45], v[46:47]
	v_add_f64_e64 v[46:47], v[52:53], -v[54:55]
	v_add_f64_e64 v[48:49], v[56:57], -v[50:51]
	v_fmac_f64_e32 v[38:39], v[38:39], v[44:45]
	s_delay_alu instid0(VALU_DEP_3) | instskip(NEXT) | instid1(VALU_DEP_3)
	v_add_f64_e32 v[36:37], v[36:37], v[46:47]
	v_add_f64_e64 v[42:43], v[42:43], -v[48:49]
	s_delay_alu instid0(VALU_DEP_3) | instskip(NEXT) | instid1(VALU_DEP_1)
	v_add_f64_e64 v[44:45], -v[38:39], s[40:41]
	v_dual_add_f64 v[36:37], v[36:37], v[42:43] :: v_dual_cndmask_b32 v39, v39, v45, s6
	s_delay_alu instid0(VALU_DEP_2)
	v_cndmask_b32_e64 v38, v38, v44, s6
	v_cmp_gt_i32_e64 s6, 0, v11
	v_and_b32_e32 v45, 0x54442d18, v21
	v_and_b32_e32 v11, 0x400921fb, v21
	v_add_f64_e32 v[36:37], v[56:57], v[36:37]
	v_add_f64_e64 v[42:43], -v[38:39], s[42:43]
	v_cndmask_b32_e64 v44, 0x54442d18, v68, s6
	v_cndmask_b32_e64 v10, 0x3fe921fb, v69, s6
	s_delay_alu instid0(VALU_DEP_1) | instskip(SKIP_4) | instid1(VALU_DEP_4)
	v_bfi_b32 v10, 0x7fffffff, v10, v13
	v_dual_cndmask_b32 v37, v37, v41 :: v_dual_cndmask_b32 v36, v36, v40
	v_cmp_eq_f64_e32 vcc_lo, 0, v[12:13]
	v_dual_cndmask_b32 v38, v38, v42, s6 :: v_dual_cndmask_b32 v21, v39, v43, s6
	v_cmp_nge_f64_e64 s6, 0, v[40:41]
	v_add_f64_e32 v[36:37], 1.0, v[36:37]
	s_delay_alu instid0(VALU_DEP_3) | instskip(SKIP_1) | instid1(VALU_DEP_3)
	v_dual_cndmask_b32 v38, v38, v45 :: v_dual_cndmask_b32 v11, v21, v11
	v_cmp_ngt_f64_e32 vcc_lo, 0, v[40:41]
	v_cndmask_b32_e64 v36, 0, v36, s6
	v_cmp_neq_f64_e64 s6, 0, v[40:41]
	v_cndmask_b32_e32 v21, 0x7ff80000, v37, vcc_lo
	s_and_b32 vcc_lo, s7, s9
	v_dual_cndmask_b32 v39, v11, v10 :: v_dual_cndmask_b32 v38, v38, v44
	s_delay_alu instid0(VALU_DEP_2)
	v_cndmask_b32_e64 v37, 0xfff00000, v21, s6
.LBB197_39:                             ;   in Loop: Header=BB197_4 Depth=1
	s_or_b32 exec_lo, exec_lo, s8
.LBB197_40:                             ;   in Loop: Header=BB197_4 Depth=1
	s_and_not1_saveexec_b32 s6, s17
	s_cbranch_execz .LBB197_46
; %bb.41:                               ;   in Loop: Header=BB197_4 Depth=1
	v_cmp_ngt_f64_e64 s7, 0x20000000, |v[10:11]|
	v_cmp_ngt_f64_e64 s8, 0x20000000, |v[12:13]|
                                        ; implicit-def: $vgpr40_vgpr41
	s_or_b32 s7, s8, s7
	s_delay_alu instid0(SALU_CYCLE_1) | instskip(NEXT) | instid1(SALU_CYCLE_1)
	s_and_saveexec_b32 s8, s7
	s_xor_b32 s7, exec_lo, s8
	s_cbranch_execz .LBB197_43
; %bb.42:                               ;   in Loop: Header=BB197_4 Depth=1
	v_mul_f64_e32 v[40:41], v[10:11], v[10:11]
	s_delay_alu instid0(VALU_DEP_1)
	v_fmac_f64_e32 v[40:41], v[12:13], v[12:13]
.LBB197_43:                             ;   in Loop: Header=BB197_4 Depth=1
	s_and_not1_saveexec_b32 s7, s7
	s_cbranch_execz .LBB197_45
; %bb.44:                               ;   in Loop: Header=BB197_4 Depth=1
	v_mul_f64_e32 v[10:11], 4.0, v[10:11]
	v_mul_f64_e32 v[36:37], 4.0, v[12:13]
	s_delay_alu instid0(VALU_DEP_2) | instskip(NEXT) | instid1(VALU_DEP_1)
	v_mul_f64_e32 v[10:11], v[10:11], v[10:11]
	v_fmac_f64_e32 v[10:11], v[36:37], v[36:37]
	s_delay_alu instid0(VALU_DEP_1)
	v_ldexp_f64 v[40:41], v[10:11], -4
.LBB197_45:                             ;   in Loop: Header=BB197_4 Depth=1
	s_or_b32 exec_lo, exec_lo, s7
	s_delay_alu instid0(VALU_DEP_1) | instskip(NEXT) | instid1(VALU_DEP_1)
	v_frexp_mant_f64_e32 v[10:11], v[40:41]
	v_cmp_gt_f64_e32 vcc_lo, s[30:31], v[10:11]
	v_cndmask_b32_e64 v12, 0, 1, vcc_lo
	s_delay_alu instid0(VALU_DEP_1) | instskip(SKIP_1) | instid1(VALU_DEP_1)
	v_ldexp_f64 v[10:11], v[10:11], v12
	v_frexp_exp_i32_f64_e32 v12, v[40:41]
	v_subrev_co_ci_u32_e64 v12, null, 0, v12, vcc_lo
	v_cmp_class_f64_e64 vcc_lo, v[40:41], 0x204
	s_delay_alu instid0(VALU_DEP_4) | instskip(SKIP_1) | instid1(VALU_DEP_2)
	v_add_f64_e32 v[36:37], 1.0, v[10:11]
	v_add_f64_e32 v[44:45], -1.0, v[10:11]
	v_rcp_f64_e32 v[38:39], v[36:37]
	v_add_f64_e32 v[46:47], -1.0, v[36:37]
	s_delay_alu instid0(VALU_DEP_1) | instskip(NEXT) | instid1(TRANS32_DEP_1)
	v_add_f64_e64 v[10:11], v[10:11], -v[46:47]
	v_fma_f64 v[42:43], -v[36:37], v[38:39], 1.0
	s_delay_alu instid0(VALU_DEP_1) | instskip(NEXT) | instid1(VALU_DEP_1)
	v_fmac_f64_e32 v[38:39], v[42:43], v[38:39]
	v_fma_f64 v[42:43], -v[36:37], v[38:39], 1.0
	s_delay_alu instid0(VALU_DEP_1) | instskip(NEXT) | instid1(VALU_DEP_1)
	v_fmac_f64_e32 v[38:39], v[42:43], v[38:39]
	v_mul_f64_e32 v[42:43], v[44:45], v[38:39]
	s_delay_alu instid0(VALU_DEP_1) | instskip(NEXT) | instid1(VALU_DEP_1)
	v_mul_f64_e32 v[48:49], v[36:37], v[42:43]
	v_fma_f64 v[36:37], v[42:43], v[36:37], -v[48:49]
	s_delay_alu instid0(VALU_DEP_1) | instskip(NEXT) | instid1(VALU_DEP_1)
	v_fmac_f64_e32 v[36:37], v[42:43], v[10:11]
	v_add_f64_e32 v[10:11], v[48:49], v[36:37]
	s_delay_alu instid0(VALU_DEP_1) | instskip(SKIP_1) | instid1(VALU_DEP_2)
	v_add_f64_e64 v[46:47], v[44:45], -v[10:11]
	v_add_f64_e64 v[48:49], v[10:11], -v[48:49]
	;; [unrolled: 1-line block ×3, first 2 shown]
	s_delay_alu instid0(VALU_DEP_2) | instskip(NEXT) | instid1(VALU_DEP_2)
	v_add_f64_e64 v[36:37], v[48:49], -v[36:37]
	v_add_f64_e64 v[10:11], v[44:45], -v[10:11]
	s_delay_alu instid0(VALU_DEP_1) | instskip(NEXT) | instid1(VALU_DEP_1)
	v_add_f64_e32 v[10:11], v[36:37], v[10:11]
	v_add_f64_e32 v[10:11], v[46:47], v[10:11]
	s_delay_alu instid0(VALU_DEP_1) | instskip(NEXT) | instid1(VALU_DEP_1)
	v_mul_f64_e32 v[10:11], v[38:39], v[10:11]
	v_add_f64_e32 v[36:37], v[42:43], v[10:11]
	s_delay_alu instid0(VALU_DEP_1) | instskip(NEXT) | instid1(VALU_DEP_1)
	v_mul_f64_e32 v[38:39], v[36:37], v[36:37]
	v_fmamk_f64 v[44:45], v[38:39], 0x3fc3ab76bf559e2b, v[24:25]
	v_mul_f64_e32 v[46:47], v[36:37], v[38:39]
	s_delay_alu instid0(VALU_DEP_2) | instskip(NEXT) | instid1(VALU_DEP_1)
	v_fmaak_f64 v[44:45], v[38:39], v[44:45], 0x3fc7474dd7f4df2e
	v_fmaak_f64 v[44:45], v[38:39], v[44:45], 0x3fcc71c016291751
	s_delay_alu instid0(VALU_DEP_1) | instskip(NEXT) | instid1(VALU_DEP_1)
	v_fmaak_f64 v[44:45], v[38:39], v[44:45], 0x3fd249249b27acf1
	v_fmaak_f64 v[44:45], v[38:39], v[44:45], 0x3fd99999998ef7b6
	s_delay_alu instid0(VALU_DEP_1) | instskip(SKIP_2) | instid1(VALU_DEP_3)
	v_fmaak_f64 v[38:39], v[38:39], v[44:45], 0x3fe5555555555780
	v_ldexp_f64 v[44:45], v[36:37], 1
	v_add_f64_e64 v[36:37], v[36:37], -v[42:43]
	v_mul_f64_e32 v[38:39], v[46:47], v[38:39]
	v_cvt_f64_i32_e32 v[46:47], v12
	s_delay_alu instid0(VALU_DEP_3) | instskip(NEXT) | instid1(VALU_DEP_3)
	v_add_f64_e64 v[10:11], v[10:11], -v[36:37]
	v_add_f64_e32 v[42:43], v[44:45], v[38:39]
	s_delay_alu instid0(VALU_DEP_3) | instskip(NEXT) | instid1(VALU_DEP_3)
	v_mul_f64_e32 v[48:49], 0x3fe62e42fefa39ef, v[46:47]
	v_ldexp_f64 v[10:11], v[10:11], 1
	s_delay_alu instid0(VALU_DEP_3) | instskip(NEXT) | instid1(VALU_DEP_3)
	v_add_f64_e64 v[36:37], v[42:43], -v[44:45]
	v_fma_f64 v[44:45], v[46:47], s[34:35], -v[48:49]
	s_delay_alu instid0(VALU_DEP_2) | instskip(NEXT) | instid1(VALU_DEP_2)
	v_add_f64_e64 v[36:37], v[38:39], -v[36:37]
	v_fmac_f64_e32 v[44:45], 0x3c7abc9e3b39803f, v[46:47]
	s_delay_alu instid0(VALU_DEP_2) | instskip(NEXT) | instid1(VALU_DEP_2)
	v_add_f64_e32 v[10:11], v[10:11], v[36:37]
	v_add_f64_e32 v[36:37], v[48:49], v[44:45]
	s_delay_alu instid0(VALU_DEP_2) | instskip(NEXT) | instid1(VALU_DEP_2)
	v_add_f64_e32 v[38:39], v[42:43], v[10:11]
	v_add_f64_e64 v[48:49], v[36:37], -v[48:49]
	s_delay_alu instid0(VALU_DEP_2) | instskip(SKIP_1) | instid1(VALU_DEP_3)
	v_add_f64_e32 v[46:47], v[36:37], v[38:39]
	v_add_f64_e64 v[42:43], v[38:39], -v[42:43]
	v_add_f64_e64 v[44:45], v[44:45], -v[48:49]
	s_delay_alu instid0(VALU_DEP_3) | instskip(NEXT) | instid1(VALU_DEP_3)
	v_add_f64_e64 v[50:51], v[46:47], -v[36:37]
	v_add_f64_e64 v[10:11], v[10:11], -v[42:43]
	s_delay_alu instid0(VALU_DEP_2) | instskip(SKIP_1) | instid1(VALU_DEP_3)
	v_add_f64_e64 v[52:53], v[46:47], -v[50:51]
	v_add_f64_e64 v[38:39], v[38:39], -v[50:51]
	v_add_f64_e32 v[42:43], v[44:45], v[10:11]
	s_delay_alu instid0(VALU_DEP_3) | instskip(NEXT) | instid1(VALU_DEP_1)
	v_add_f64_e64 v[36:37], v[36:37], -v[52:53]
	v_add_f64_e32 v[36:37], v[38:39], v[36:37]
	s_delay_alu instid0(VALU_DEP_3) | instskip(NEXT) | instid1(VALU_DEP_2)
	v_add_f64_e64 v[38:39], v[42:43], -v[44:45]
	v_add_f64_e32 v[36:37], v[42:43], v[36:37]
	s_delay_alu instid0(VALU_DEP_2) | instskip(SKIP_1) | instid1(VALU_DEP_3)
	v_add_f64_e64 v[42:43], v[42:43], -v[38:39]
	v_add_f64_e64 v[10:11], v[10:11], -v[38:39]
	v_add_f64_e32 v[48:49], v[46:47], v[36:37]
	s_delay_alu instid0(VALU_DEP_3) | instskip(NEXT) | instid1(VALU_DEP_2)
	v_add_f64_e64 v[38:39], v[44:45], -v[42:43]
	v_add_f64_e64 v[42:43], v[48:49], -v[46:47]
	s_delay_alu instid0(VALU_DEP_2) | instskip(SKIP_1) | instid1(VALU_DEP_3)
	v_add_f64_e32 v[10:11], v[10:11], v[38:39]
	v_mov_b64_e32 v[38:39], 0x7ff8000000000000
	v_add_f64_e64 v[36:37], v[36:37], -v[42:43]
	s_delay_alu instid0(VALU_DEP_1) | instskip(NEXT) | instid1(VALU_DEP_1)
	v_add_f64_e32 v[10:11], v[10:11], v[36:37]
	v_add_f64_e32 v[10:11], v[48:49], v[10:11]
	s_delay_alu instid0(VALU_DEP_1) | instskip(SKIP_1) | instid1(VALU_DEP_2)
	v_dual_cndmask_b32 v10, v10, v40 :: v_dual_cndmask_b32 v11, v11, v41
	v_cmp_ngt_f64_e32 vcc_lo, 0, v[40:41]
	v_cndmask_b32_e32 v11, 0x7ff80000, v11, vcc_lo
	v_cmp_nge_f64_e32 vcc_lo, 0, v[40:41]
	s_delay_alu instid0(VALU_DEP_4) | instskip(SKIP_1) | instid1(VALU_DEP_4)
	v_cndmask_b32_e32 v36, 0, v10, vcc_lo
	v_cmp_neq_f64_e32 vcc_lo, 0, v[40:41]
	v_cndmask_b32_e32 v37, 0xfff00000, v11, vcc_lo
.LBB197_46:                             ;   in Loop: Header=BB197_4 Depth=1
	s_or_b32 exec_lo, exec_lo, s6
                                        ; implicit-def: $vgpr10_vgpr11
                                        ; implicit-def: $vgpr40_vgpr41
	s_delay_alu instid0(SALU_CYCLE_1)
	s_mov_b32 s6, exec_lo
	v_cmpx_o_f64_e32 v[2:3], v[4:5]
	s_xor_b32 s17, exec_lo, s6
	s_cbranch_execz .LBB197_74
; %bb.47:                               ;   in Loop: Header=BB197_4 Depth=1
	v_cmp_lt_f64_e64 s6, |v[2:3]|, |v[4:5]|
	v_and_b32_e32 v42, 0x7fffffff, v3
	v_and_b32_e32 v21, 0x7fffffff, v5
                                        ; implicit-def: $vgpr10_vgpr11
                                        ; implicit-def: $vgpr40_vgpr41
	s_mov_b32 s7, exec_lo
	s_delay_alu instid0(VALU_DEP_1) | instskip(SKIP_1) | instid1(VALU_DEP_1)
	v_dual_mov_b32 v12, v4 :: v_dual_cndmask_b32 v45, v21, v42, s6
	v_cndmask_b32_e64 v44, v4, v2, s6
	v_cmpx_nlt_f64_e32 s[24:25], v[44:45]
	s_xor_b32 s33, exec_lo, s7
	s_cbranch_execz .LBB197_71
; %bb.48:                               ;   in Loop: Header=BB197_4 Depth=1
	v_cndmask_b32_e64 v47, v42, v21, s6
	v_cndmask_b32_e64 v46, v2, v12, s6
                                        ; implicit-def: $vgpr10_vgpr11
                                        ; implicit-def: $vgpr40_vgpr41
	s_mov_b32 s7, exec_lo
	s_delay_alu instid0(VALU_DEP_1)
	v_cmpx_neq_f64_e32 1.0, v[46:47]
	s_xor_b32 s54, exec_lo, s7
	s_cbranch_execz .LBB197_64
; %bb.49:                               ;   in Loop: Header=BB197_4 Depth=1
	v_max_num_f64_e32 v[10:11], v[44:45], v[44:45]
	v_max_num_f64_e32 v[40:41], v[46:47], v[46:47]
	s_delay_alu instid0(VALU_DEP_1) | instskip(SKIP_1) | instid1(VALU_DEP_2)
	v_min_num_f64_e32 v[42:43], v[40:41], v[10:11]
	v_max_num_f64_e32 v[10:11], v[40:41], v[10:11]
                                        ; implicit-def: $vgpr40_vgpr41
	v_cmp_ngt_f64_e32 vcc_lo, s[26:27], v[42:43]
	s_delay_alu instid0(VALU_DEP_2) | instskip(SKIP_1) | instid1(SALU_CYCLE_1)
	v_cmp_nlt_f64_e64 s7, s[28:29], v[10:11]
                                        ; implicit-def: $vgpr10_vgpr11
	s_and_b32 s7, s7, vcc_lo
	s_and_saveexec_b32 s8, s7
	s_delay_alu instid0(SALU_CYCLE_1)
	s_xor_b32 s55, exec_lo, s8
	s_cbranch_execz .LBB197_61
; %bb.50:                               ;   in Loop: Header=BB197_4 Depth=1
                                        ; implicit-def: $vgpr10_vgpr11
                                        ; implicit-def: $vgpr40_vgpr41
	s_mov_b32 s7, exec_lo
	v_cmpx_le_f64_e32 1.0, v[46:47]
	s_xor_b32 s10, exec_lo, s7
	s_cbranch_execz .LBB197_52
; %bb.51:                               ;   in Loop: Header=BB197_4 Depth=1
	v_add_f64_e32 v[10:11], -1.0, v[46:47]
	v_add_f64_e32 v[40:41], 1.0, v[46:47]
	v_cmp_eq_f64_e64 s7, 0, v[4:5]
	v_cmp_class_f64_e64 s12, v[2:3], 0x204
	v_cmp_class_f64_e64 s11, v[4:5], 0x204
	s_delay_alu instid0(VALU_DEP_4) | instskip(NEXT) | instid1(VALU_DEP_1)
	v_mul_f64_e32 v[42:43], v[10:11], v[40:41]
	v_fmac_f64_e32 v[42:43], v[44:45], v[44:45]
	s_delay_alu instid0(VALU_DEP_1) | instskip(SKIP_2) | instid1(VALU_DEP_3)
	v_add_f64_e32 v[10:11], 1.0, v[42:43]
	v_cmp_nge_f64_e64 s8, -1.0, v[42:43]
	v_cmp_neq_f64_e64 s9, 0x7ff00000, v[42:43]
	v_frexp_mant_f64_e32 v[40:41], v[10:11]
	v_frexp_exp_i32_f64_e32 v12, v[10:11]
	v_add_f64_e32 v[44:45], -1.0, v[10:11]
	s_delay_alu instid0(VALU_DEP_3) | instskip(NEXT) | instid1(VALU_DEP_2)
	v_cmp_gt_f64_e32 vcc_lo, s[30:31], v[40:41]
	v_add_f64_e64 v[40:41], v[44:45], -v[10:11]
	v_add_f64_e64 v[44:45], v[42:43], -v[44:45]
	v_subrev_co_ci_u32_e64 v12, null, 0, v12, vcc_lo
	s_delay_alu instid0(VALU_DEP_3) | instskip(NEXT) | instid1(VALU_DEP_2)
	v_add_f64_e32 v[40:41], 1.0, v[40:41]
	v_sub_nc_u32_e32 v21, 0, v12
	s_delay_alu instid0(VALU_DEP_1) | instskip(NEXT) | instid1(VALU_DEP_3)
	v_ldexp_f64 v[10:11], v[10:11], v21
	v_add_f64_e32 v[40:41], v[44:45], v[40:41]
	s_delay_alu instid0(VALU_DEP_2) | instskip(SKIP_1) | instid1(VALU_DEP_3)
	v_add_f64_e32 v[46:47], 1.0, v[10:11]
	v_add_f64_e32 v[52:53], -1.0, v[10:11]
	v_ldexp_f64 v[40:41], v[40:41], v21
	s_delay_alu instid0(VALU_DEP_3) | instskip(NEXT) | instid1(VALU_DEP_3)
	v_add_f64_e32 v[44:45], -1.0, v[46:47]
	v_add_f64_e32 v[54:55], 1.0, v[52:53]
	s_delay_alu instid0(VALU_DEP_2) | instskip(NEXT) | instid1(VALU_DEP_2)
	v_add_f64_e64 v[44:45], v[10:11], -v[44:45]
	v_add_f64_e64 v[10:11], v[10:11], -v[54:55]
	s_delay_alu instid0(VALU_DEP_2) | instskip(NEXT) | instid1(VALU_DEP_2)
	v_add_f64_e32 v[44:45], v[40:41], v[44:45]
	v_add_f64_e32 v[10:11], v[40:41], v[10:11]
	s_delay_alu instid0(VALU_DEP_2) | instskip(NEXT) | instid1(VALU_DEP_2)
	v_add_f64_e32 v[48:49], v[46:47], v[44:45]
	v_add_f64_e32 v[54:55], v[52:53], v[10:11]
	s_delay_alu instid0(VALU_DEP_2) | instskip(SKIP_1) | instid1(VALU_DEP_2)
	v_rcp_f64_e32 v[50:51], v[48:49]
	v_add_f64_e64 v[46:47], v[48:49], -v[46:47]
	v_add_f64_e64 v[52:53], v[54:55], -v[52:53]
	s_delay_alu instid0(VALU_DEP_2) | instskip(NEXT) | instid1(VALU_DEP_2)
	v_add_f64_e64 v[44:45], v[44:45], -v[46:47]
	v_add_f64_e64 v[10:11], v[10:11], -v[52:53]
	s_delay_alu instid0(TRANS32_DEP_1) | instskip(NEXT) | instid1(VALU_DEP_1)
	v_fma_f64 v[56:57], -v[48:49], v[50:51], 1.0
	v_fmac_f64_e32 v[50:51], v[56:57], v[50:51]
	s_delay_alu instid0(VALU_DEP_1) | instskip(NEXT) | instid1(VALU_DEP_1)
	v_fma_f64 v[40:41], -v[48:49], v[50:51], 1.0
	v_fmac_f64_e32 v[50:51], v[40:41], v[50:51]
	s_delay_alu instid0(VALU_DEP_1) | instskip(NEXT) | instid1(VALU_DEP_1)
	v_mul_f64_e32 v[40:41], v[54:55], v[50:51]
	v_mul_f64_e32 v[56:57], v[48:49], v[40:41]
	s_delay_alu instid0(VALU_DEP_1) | instskip(NEXT) | instid1(VALU_DEP_1)
	v_fma_f64 v[46:47], v[40:41], v[48:49], -v[56:57]
	v_fmac_f64_e32 v[46:47], v[40:41], v[44:45]
	s_delay_alu instid0(VALU_DEP_1) | instskip(NEXT) | instid1(VALU_DEP_1)
	v_add_f64_e32 v[58:59], v[56:57], v[46:47]
	v_add_f64_e64 v[60:61], v[54:55], -v[58:59]
	v_add_f64_e64 v[52:53], v[58:59], -v[56:57]
	s_delay_alu instid0(VALU_DEP_2) | instskip(NEXT) | instid1(VALU_DEP_2)
	v_add_f64_e64 v[54:55], v[54:55], -v[60:61]
	v_add_f64_e64 v[46:47], v[52:53], -v[46:47]
	s_delay_alu instid0(VALU_DEP_2) | instskip(NEXT) | instid1(VALU_DEP_1)
	v_add_f64_e64 v[54:55], v[54:55], -v[58:59]
	v_add_f64_e32 v[10:11], v[10:11], v[54:55]
	s_delay_alu instid0(VALU_DEP_1) | instskip(NEXT) | instid1(VALU_DEP_1)
	v_add_f64_e32 v[10:11], v[46:47], v[10:11]
	v_add_f64_e32 v[46:47], v[60:61], v[10:11]
	s_delay_alu instid0(VALU_DEP_1) | instskip(SKIP_1) | instid1(VALU_DEP_2)
	v_mul_f64_e32 v[52:53], v[50:51], v[46:47]
	v_add_f64_e64 v[58:59], v[60:61], -v[46:47]
	v_mul_f64_e32 v[54:55], v[48:49], v[52:53]
	s_delay_alu instid0(VALU_DEP_2) | instskip(NEXT) | instid1(VALU_DEP_2)
	v_add_f64_e32 v[10:11], v[10:11], v[58:59]
	v_fma_f64 v[48:49], v[52:53], v[48:49], -v[54:55]
	s_delay_alu instid0(VALU_DEP_1) | instskip(NEXT) | instid1(VALU_DEP_1)
	v_fmac_f64_e32 v[48:49], v[52:53], v[44:45]
	v_add_f64_e32 v[44:45], v[54:55], v[48:49]
	s_delay_alu instid0(VALU_DEP_1) | instskip(SKIP_1) | instid1(VALU_DEP_2)
	v_add_f64_e64 v[56:57], v[46:47], -v[44:45]
	v_add_f64_e64 v[54:55], v[44:45], -v[54:55]
	;; [unrolled: 1-line block ×3, first 2 shown]
	s_delay_alu instid0(VALU_DEP_1) | instskip(NEXT) | instid1(VALU_DEP_3)
	v_add_f64_e64 v[44:45], v[46:47], -v[44:45]
	v_add_f64_e64 v[46:47], v[54:55], -v[48:49]
	v_max_num_f64_e64 v[48:49], |v[2:3]|, |v[2:3]|
	s_delay_alu instid0(VALU_DEP_3) | instskip(SKIP_1) | instid1(VALU_DEP_2)
	v_add_f64_e32 v[10:11], v[10:11], v[44:45]
	v_add_f64_e32 v[44:45], v[40:41], v[52:53]
	v_add_f64_e32 v[10:11], v[46:47], v[10:11]
	s_delay_alu instid0(VALU_DEP_2) | instskip(SKIP_1) | instid1(VALU_DEP_3)
	v_add_f64_e64 v[40:41], v[44:45], -v[40:41]
	v_max_num_f64_e64 v[46:47], |v[4:5]|, |v[4:5]|
	v_add_f64_e32 v[10:11], v[56:57], v[10:11]
	s_delay_alu instid0(VALU_DEP_3) | instskip(NEXT) | instid1(VALU_DEP_2)
	v_add_f64_e64 v[40:41], v[52:53], -v[40:41]
	v_mul_f64_e32 v[10:11], v[50:51], v[10:11]
	s_delay_alu instid0(VALU_DEP_1) | instskip(SKIP_2) | instid1(VALU_DEP_3)
	v_add_f64_e32 v[10:11], v[40:41], v[10:11]
	v_max_num_f64_e32 v[40:41], v[48:49], v[46:47]
	v_min_num_f64_e32 v[46:47], v[48:49], v[46:47]
	v_add_f64_e32 v[48:49], v[44:45], v[10:11]
	s_delay_alu instid0(VALU_DEP_2) | instskip(NEXT) | instid1(VALU_DEP_2)
	v_div_scale_f64 v[50:51], null, v[40:41], v[40:41], v[46:47]
	v_mul_f64_e32 v[52:53], v[48:49], v[48:49]
	v_add_f64_e64 v[44:45], v[48:49], -v[44:45]
	s_delay_alu instid0(VALU_DEP_3) | instskip(NEXT) | instid1(VALU_DEP_2)
	v_rcp_f64_e32 v[54:55], v[50:51]
	v_fmamk_f64 v[56:57], v[52:53], 0x3fc3ab76bf559e2b, v[24:25]
	v_mul_f64_e32 v[58:59], v[48:49], v[52:53]
	s_delay_alu instid0(VALU_DEP_3) | instskip(NEXT) | instid1(VALU_DEP_3)
	v_add_f64_e64 v[10:11], v[10:11], -v[44:45]
	v_fmaak_f64 v[56:57], v[52:53], v[56:57], 0x3fc7474dd7f4df2e
	s_delay_alu instid0(TRANS32_DEP_1) | instskip(NEXT) | instid1(VALU_DEP_2)
	v_fma_f64 v[60:61], -v[50:51], v[54:55], 1.0
	v_fmaak_f64 v[56:57], v[52:53], v[56:57], 0x3fcc71c016291751
	s_delay_alu instid0(VALU_DEP_1) | instskip(NEXT) | instid1(VALU_DEP_1)
	v_fmaak_f64 v[56:57], v[52:53], v[56:57], 0x3fd249249b27acf1
	v_fmaak_f64 v[56:57], v[52:53], v[56:57], 0x3fd99999998ef7b6
	v_ldexp_f64 v[10:11], v[10:11], 1
	s_delay_alu instid0(VALU_DEP_2) | instskip(SKIP_2) | instid1(VALU_DEP_3)
	v_fmaak_f64 v[52:53], v[52:53], v[56:57], 0x3fe5555555555780
	v_ldexp_f64 v[56:57], v[48:49], 1
	v_fmac_f64_e32 v[54:55], v[54:55], v[60:61]
	v_mul_f64_e32 v[52:53], v[58:59], v[52:53]
	v_cvt_f64_i32_e32 v[58:59], v12
	v_ashrrev_i32_e32 v12, 31, v3
	s_delay_alu instid0(VALU_DEP_4) | instskip(NEXT) | instid1(VALU_DEP_4)
	v_fma_f64 v[60:61], -v[50:51], v[54:55], 1.0
	v_add_f64_e32 v[48:49], v[56:57], v[52:53]
	s_delay_alu instid0(VALU_DEP_4) | instskip(NEXT) | instid1(VALU_DEP_3)
	v_mul_f64_e32 v[62:63], 0x3fe62e42fefa39ef, v[58:59]
	v_fmac_f64_e32 v[54:55], v[54:55], v[60:61]
	s_delay_alu instid0(VALU_DEP_3) | instskip(SKIP_1) | instid1(VALU_DEP_4)
	v_add_f64_e64 v[44:45], v[48:49], -v[56:57]
	v_div_scale_f64 v[56:57], vcc_lo, v[46:47], v[40:41], v[46:47]
	v_fma_f64 v[60:61], v[58:59], s[34:35], -v[62:63]
	s_delay_alu instid0(VALU_DEP_3) | instskip(NEXT) | instid1(VALU_DEP_3)
	v_add_f64_e64 v[44:45], v[52:53], -v[44:45]
	v_mul_f64_e32 v[52:53], v[56:57], v[54:55]
	s_delay_alu instid0(VALU_DEP_3) | instskip(NEXT) | instid1(VALU_DEP_3)
	v_fmac_f64_e32 v[60:61], 0x3c7abc9e3b39803f, v[58:59]
	v_add_f64_e32 v[10:11], v[10:11], v[44:45]
	s_delay_alu instid0(VALU_DEP_3) | instskip(NEXT) | instid1(VALU_DEP_3)
	v_fma_f64 v[44:45], -v[50:51], v[52:53], v[56:57]
	v_add_f64_e32 v[50:51], v[62:63], v[60:61]
	s_delay_alu instid0(VALU_DEP_3) | instskip(NEXT) | instid1(VALU_DEP_3)
	v_add_f64_e32 v[56:57], v[48:49], v[10:11]
	v_div_fmas_f64 v[44:45], v[44:45], v[54:55], v[52:53]
	v_cmp_gt_i32_e32 vcc_lo, 0, v3
	s_delay_alu instid0(VALU_DEP_4) | instskip(SKIP_3) | instid1(VALU_DEP_1)
	v_add_f64_e64 v[54:55], v[50:51], -v[62:63]
	v_and_b32_e32 v3, 0x400921fb, v12
	v_cndmask_b32_e32 v21, 0x54442d18, v68, vcc_lo
	v_cndmask_b32_e32 v2, 0x3fe921fb, v69, vcc_lo
	v_bfi_b32 v2, 0x7fffffff, v2, v5
	v_add_f64_e32 v[52:53], v[50:51], v[56:57]
	v_div_fixup_f64 v[40:41], v[44:45], v[40:41], v[46:47]
	v_add_f64_e64 v[48:49], v[56:57], -v[48:49]
	v_add_f64_e64 v[54:55], v[60:61], -v[54:55]
	s_delay_alu instid0(VALU_DEP_4) | instskip(NEXT) | instid1(VALU_DEP_4)
	v_add_f64_e64 v[44:45], v[52:53], -v[50:51]
	v_mul_f64_e32 v[46:47], v[40:41], v[40:41]
	s_delay_alu instid0(VALU_DEP_4) | instskip(NEXT) | instid1(VALU_DEP_3)
	v_add_f64_e64 v[10:11], v[10:11], -v[48:49]
	v_add_f64_e64 v[58:59], v[52:53], -v[44:45]
	s_delay_alu instid0(VALU_DEP_3) | instskip(SKIP_1) | instid1(VALU_DEP_4)
	v_fmamk_f64 v[62:63], v[46:47], 0x3eeba404b5e68a13, v[26:27]
	v_add_f64_e64 v[44:45], v[56:57], -v[44:45]
	v_add_f64_e32 v[56:57], v[54:55], v[10:11]
	s_delay_alu instid0(VALU_DEP_3) | instskip(SKIP_1) | instid1(VALU_DEP_2)
	v_fmaak_f64 v[62:63], v[46:47], v[62:63], 0x3f4b2bb069efb384
	v_add_f64_e64 v[48:49], v[50:51], -v[58:59]
	v_fmaak_f64 v[50:51], v[46:47], v[62:63], 0xbf67952daf56de9b
	s_delay_alu instid0(VALU_DEP_1) | instskip(NEXT) | instid1(VALU_DEP_1)
	v_fmaak_f64 v[50:51], v[46:47], v[50:51], 0x3f7d6d43a595c56f
	v_fmaak_f64 v[50:51], v[46:47], v[50:51], 0xbf8c6ea4a57d9582
	s_delay_alu instid0(VALU_DEP_1) | instskip(NEXT) | instid1(VALU_DEP_1)
	v_fmaak_f64 v[50:51], v[46:47], v[50:51], 0x3f967e295f08b19f
	v_fmaak_f64 v[50:51], v[46:47], v[50:51], 0xbf9e9ae6fc27006a
	v_add_f64_e32 v[44:45], v[44:45], v[48:49]
	s_delay_alu instid0(VALU_DEP_2) | instskip(SKIP_1) | instid1(VALU_DEP_2)
	v_fmaak_f64 v[48:49], v[46:47], v[50:51], 0x3fa2c15b5711927a
	v_add_f64_e64 v[50:51], v[56:57], -v[54:55]
	v_fmaak_f64 v[48:49], v[46:47], v[48:49], 0xbfa59976e82d3ff0
	s_delay_alu instid0(VALU_DEP_1) | instskip(NEXT) | instid1(VALU_DEP_1)
	v_fmaak_f64 v[48:49], v[46:47], v[48:49], 0x3fa82d5d6ef28734
	v_fmaak_f64 v[48:49], v[46:47], v[48:49], 0xbfaae5ce6a214619
	s_delay_alu instid0(VALU_DEP_1) | instskip(SKIP_3) | instid1(VALU_DEP_4)
	v_fmaak_f64 v[48:49], v[46:47], v[48:49], 0x3fae1bb48427b883
	v_add_f64_e32 v[44:45], v[56:57], v[44:45]
	v_add_f64_e64 v[56:57], v[56:57], -v[50:51]
	v_add_f64_e64 v[10:11], v[10:11], -v[50:51]
	v_fmaak_f64 v[48:49], v[46:47], v[48:49], 0xbfb110e48b207f05
	s_delay_alu instid0(VALU_DEP_1) | instskip(NEXT) | instid1(VALU_DEP_1)
	v_fmaak_f64 v[48:49], v[46:47], v[48:49], 0x3fb3b13657b87036
	v_fmaak_f64 v[48:49], v[46:47], v[48:49], 0xbfb745d119378e4f
	s_delay_alu instid0(VALU_DEP_1) | instskip(SKIP_1) | instid1(VALU_DEP_2)
	v_fmaak_f64 v[48:49], v[46:47], v[48:49], 0x3fbc71c717e1913c
	v_add_f64_e32 v[58:59], v[52:53], v[44:45]
	v_fmaak_f64 v[48:49], v[46:47], v[48:49], 0xbfc2492492376b7d
	s_delay_alu instid0(VALU_DEP_1) | instskip(NEXT) | instid1(VALU_DEP_1)
	v_fmaak_f64 v[48:49], v[46:47], v[48:49], 0x3fc99999999952cc
	v_fmaak_f64 v[48:49], v[46:47], v[48:49], 0xbfd5555555555523
	s_delay_alu instid0(VALU_DEP_1) | instskip(SKIP_2) | instid1(VALU_DEP_3)
	v_mul_f64_e32 v[46:47], v[46:47], v[48:49]
	v_add_f64_e64 v[48:49], v[54:55], -v[56:57]
	v_add_f64_e64 v[50:51], v[58:59], -v[52:53]
	v_fmac_f64_e32 v[40:41], v[40:41], v[46:47]
	s_delay_alu instid0(VALU_DEP_3) | instskip(NEXT) | instid1(VALU_DEP_3)
	v_add_f64_e32 v[10:11], v[10:11], v[48:49]
	v_add_f64_e64 v[44:45], v[44:45], -v[50:51]
	s_delay_alu instid0(VALU_DEP_3) | instskip(NEXT) | instid1(VALU_DEP_1)
	v_add_f64_e64 v[46:47], -v[40:41], s[40:41]
	v_dual_add_f64 v[10:11], v[10:11], v[44:45] :: v_dual_cndmask_b32 v41, v41, v47, s6
	s_delay_alu instid0(VALU_DEP_2) | instskip(SKIP_1) | instid1(VALU_DEP_2)
	v_cndmask_b32_e64 v40, v40, v46, s6
	v_and_b32_e32 v46, 0x54442d18, v12
	v_add_f64_e64 v[44:45], -v[40:41], s[42:43]
	s_delay_alu instid0(VALU_DEP_1) | instskip(NEXT) | instid1(VALU_DEP_2)
	v_dual_add_f64 v[10:11], v[58:59], v[10:11] :: v_dual_cndmask_b32 v40, v40, v44, vcc_lo
	v_cndmask_b32_e32 v12, v41, v45, vcc_lo
	v_cmp_ngt_f64_e32 vcc_lo, -1.0, v[42:43]
	s_delay_alu instid0(VALU_DEP_3) | instskip(NEXT) | instid1(VALU_DEP_4)
	v_mul_f64_e32 v[10:11], 0.5, v[10:11]
                                        ; implicit-def: $vgpr44_vgpr45
	v_cndmask_b32_e64 v40, v40, v46, s7
	s_delay_alu instid0(VALU_DEP_4)
	v_cndmask_b32_e64 v3, v12, v3, s7
	s_and_b32 s7, s8, s9
                                        ; implicit-def: $vgpr46_vgpr47
	s_delay_alu instid0(VALU_DEP_3) | instid1(SALU_CYCLE_1)
	v_cndmask_b32_e64 v10, 0, v10, s7
	v_cmp_neq_f64_e64 s7, -1.0, v[42:43]
	v_cndmask_b32_e64 v11, 0x7ff00000, v11, s9
	s_delay_alu instid0(VALU_DEP_1) | instskip(SKIP_2) | instid1(VALU_DEP_2)
	v_cndmask_b32_e32 v11, 0x7ff80000, v11, vcc_lo
	s_and_b32 vcc_lo, s11, s12
	v_dual_cndmask_b32 v41, v3, v2 :: v_dual_cndmask_b32 v40, v40, v21
	v_cndmask_b32_e64 v11, 0xfff00000, v11, s7
.LBB197_52:                             ;   in Loop: Header=BB197_4 Depth=1
	s_and_not1_saveexec_b32 s56, s10
	s_cbranch_execz .LBB197_60
; %bb.53:                               ;   in Loop: Header=BB197_4 Depth=1
	v_mul_f64_e32 v[42:43], v[44:45], v[44:45]
                                        ; implicit-def: $vgpr10_vgpr11
                                        ; implicit-def: $vgpr40_vgpr41
	s_mov_b32 s7, exec_lo
	s_delay_alu instid0(VALU_DEP_1) | instskip(NEXT) | instid1(VALU_DEP_1)
	v_fmac_f64_e32 v[42:43], v[46:47], v[46:47]
	v_cmpx_ge_f64_e32 s[44:45], v[42:43]
	s_xor_b32 s9, exec_lo, s7
	s_cbranch_execz .LBB197_55
; %bb.54:                               ;   in Loop: Header=BB197_4 Depth=1
	v_frexp_mant_f64_e32 v[10:11], v[42:43]
	v_cmp_eq_f64_e64 s7, 0, v[4:5]
	v_cmp_neq_f64_e64 s8, 0, v[42:43]
	v_cmp_class_f64_e64 s10, v[4:5], 0x204
	v_cmp_class_f64_e64 s11, v[2:3], 0x204
	v_cmp_gt_f64_e32 vcc_lo, s[30:31], v[10:11]
	v_cndmask_b32_e64 v12, 0, 1, vcc_lo
	s_delay_alu instid0(VALU_DEP_1) | instskip(SKIP_1) | instid1(VALU_DEP_2)
	v_ldexp_f64 v[10:11], v[10:11], v12
	v_frexp_exp_i32_f64_e32 v12, v[42:43]
	v_add_f64_e32 v[40:41], 1.0, v[10:11]
	v_add_f64_e32 v[48:49], -1.0, v[10:11]
	s_delay_alu instid0(VALU_DEP_3) | instskip(NEXT) | instid1(VALU_DEP_3)
	v_subrev_co_ci_u32_e64 v12, null, 0, v12, vcc_lo
	v_rcp_f64_e32 v[44:45], v[40:41]
	v_add_f64_e32 v[50:51], -1.0, v[40:41]
	s_delay_alu instid0(VALU_DEP_1) | instskip(NEXT) | instid1(TRANS32_DEP_1)
	v_add_f64_e64 v[10:11], v[10:11], -v[50:51]
	v_fma_f64 v[46:47], -v[40:41], v[44:45], 1.0
	s_delay_alu instid0(VALU_DEP_1) | instskip(NEXT) | instid1(VALU_DEP_1)
	v_fmac_f64_e32 v[44:45], v[46:47], v[44:45]
	v_fma_f64 v[46:47], -v[40:41], v[44:45], 1.0
	s_delay_alu instid0(VALU_DEP_1) | instskip(NEXT) | instid1(VALU_DEP_1)
	v_fmac_f64_e32 v[44:45], v[46:47], v[44:45]
	v_mul_f64_e32 v[46:47], v[48:49], v[44:45]
	s_delay_alu instid0(VALU_DEP_1) | instskip(NEXT) | instid1(VALU_DEP_1)
	v_mul_f64_e32 v[52:53], v[40:41], v[46:47]
	v_fma_f64 v[40:41], v[46:47], v[40:41], -v[52:53]
	s_delay_alu instid0(VALU_DEP_1) | instskip(NEXT) | instid1(VALU_DEP_1)
	v_fmac_f64_e32 v[40:41], v[46:47], v[10:11]
	v_add_f64_e32 v[10:11], v[52:53], v[40:41]
	s_delay_alu instid0(VALU_DEP_1) | instskip(SKIP_1) | instid1(VALU_DEP_2)
	v_add_f64_e64 v[50:51], v[48:49], -v[10:11]
	v_add_f64_e64 v[52:53], v[10:11], -v[52:53]
	;; [unrolled: 1-line block ×3, first 2 shown]
	s_delay_alu instid0(VALU_DEP_2) | instskip(NEXT) | instid1(VALU_DEP_2)
	v_add_f64_e64 v[40:41], v[52:53], -v[40:41]
	v_add_f64_e64 v[10:11], v[48:49], -v[10:11]
	v_max_num_f64_e64 v[48:49], |v[2:3]|, |v[2:3]|
	s_delay_alu instid0(VALU_DEP_2) | instskip(SKIP_1) | instid1(VALU_DEP_2)
	v_add_f64_e32 v[10:11], v[40:41], v[10:11]
	v_max_num_f64_e64 v[40:41], |v[4:5]|, |v[4:5]|
	v_add_f64_e32 v[10:11], v[50:51], v[10:11]
	s_delay_alu instid0(VALU_DEP_1) | instskip(NEXT) | instid1(VALU_DEP_3)
	v_mul_f64_e32 v[10:11], v[44:45], v[10:11]
	v_max_num_f64_e32 v[44:45], v[48:49], v[40:41]
	v_min_num_f64_e32 v[40:41], v[48:49], v[40:41]
	s_delay_alu instid0(VALU_DEP_3) | instskip(NEXT) | instid1(VALU_DEP_2)
	v_add_f64_e32 v[48:49], v[46:47], v[10:11]
	v_div_scale_f64 v[50:51], null, v[44:45], v[44:45], v[40:41]
	s_delay_alu instid0(VALU_DEP_2) | instskip(NEXT) | instid1(VALU_DEP_2)
	v_mul_f64_e32 v[52:53], v[48:49], v[48:49]
	v_rcp_f64_e32 v[54:55], v[50:51]
	s_delay_alu instid0(VALU_DEP_1) | instskip(SKIP_1) | instid1(VALU_DEP_2)
	v_fmamk_f64 v[56:57], v[52:53], 0x3fc3ab76bf559e2b, v[24:25]
	v_mul_f64_e32 v[58:59], v[48:49], v[52:53]
	v_fmaak_f64 v[56:57], v[52:53], v[56:57], 0x3fc7474dd7f4df2e
	s_delay_alu instid0(TRANS32_DEP_1) | instskip(NEXT) | instid1(VALU_DEP_2)
	v_fma_f64 v[60:61], -v[50:51], v[54:55], 1.0
	v_fmaak_f64 v[56:57], v[52:53], v[56:57], 0x3fcc71c016291751
	s_delay_alu instid0(VALU_DEP_1) | instskip(NEXT) | instid1(VALU_DEP_1)
	v_fmaak_f64 v[56:57], v[52:53], v[56:57], 0x3fd249249b27acf1
	v_fmaak_f64 v[56:57], v[52:53], v[56:57], 0x3fd99999998ef7b6
	s_delay_alu instid0(VALU_DEP_1) | instskip(SKIP_2) | instid1(VALU_DEP_3)
	v_fmaak_f64 v[52:53], v[52:53], v[56:57], 0x3fe5555555555780
	v_ldexp_f64 v[56:57], v[48:49], 1
	v_fmac_f64_e32 v[54:55], v[54:55], v[60:61]
	v_mul_f64_e32 v[52:53], v[58:59], v[52:53]
	v_cvt_f64_i32_e32 v[58:59], v12
	v_ashrrev_i32_e32 v12, 31, v3
	v_add_f64_e64 v[46:47], v[48:49], -v[46:47]
	v_fma_f64 v[60:61], -v[50:51], v[54:55], 1.0
	v_add_f64_e32 v[48:49], v[56:57], v[52:53]
	v_mul_f64_e32 v[62:63], 0x3fe62e42fefa39ef, v[58:59]
	s_delay_alu instid0(VALU_DEP_4) | instskip(NEXT) | instid1(VALU_DEP_4)
	v_add_f64_e64 v[10:11], v[10:11], -v[46:47]
	v_fmac_f64_e32 v[54:55], v[54:55], v[60:61]
	s_delay_alu instid0(VALU_DEP_4) | instskip(SKIP_3) | instid1(VALU_DEP_4)
	v_add_f64_e64 v[46:47], v[48:49], -v[56:57]
	v_div_scale_f64 v[56:57], vcc_lo, v[40:41], v[44:45], v[40:41]
	v_fma_f64 v[60:61], v[58:59], s[34:35], -v[62:63]
	v_ldexp_f64 v[10:11], v[10:11], 1
	v_add_f64_e64 v[46:47], v[52:53], -v[46:47]
	s_delay_alu instid0(VALU_DEP_4) | instskip(NEXT) | instid1(VALU_DEP_4)
	v_mul_f64_e32 v[52:53], v[56:57], v[54:55]
	v_fmac_f64_e32 v[60:61], 0x3c7abc9e3b39803f, v[58:59]
	s_delay_alu instid0(VALU_DEP_3) | instskip(NEXT) | instid1(VALU_DEP_3)
	v_add_f64_e32 v[10:11], v[10:11], v[46:47]
	v_fma_f64 v[46:47], -v[50:51], v[52:53], v[56:57]
	s_delay_alu instid0(VALU_DEP_3) | instskip(NEXT) | instid1(VALU_DEP_3)
	v_add_f64_e32 v[50:51], v[62:63], v[60:61]
	v_add_f64_e32 v[56:57], v[48:49], v[10:11]
	s_delay_alu instid0(VALU_DEP_3) | instskip(SKIP_1) | instid1(VALU_DEP_4)
	v_div_fmas_f64 v[46:47], v[46:47], v[54:55], v[52:53]
	v_cmp_gt_i32_e32 vcc_lo, 0, v3
	v_add_f64_e64 v[54:55], v[50:51], -v[62:63]
	v_cndmask_b32_e32 v21, 0x54442d18, v68, vcc_lo
	v_add_f64_e32 v[52:53], v[50:51], v[56:57]
	v_div_fixup_f64 v[40:41], v[46:47], v[44:45], v[40:41]
	v_add_f64_e64 v[48:49], v[56:57], -v[48:49]
	v_add_f64_e64 v[54:55], v[60:61], -v[54:55]
	s_delay_alu instid0(VALU_DEP_4) | instskip(NEXT) | instid1(VALU_DEP_4)
	v_add_f64_e64 v[44:45], v[52:53], -v[50:51]
	v_mul_f64_e32 v[46:47], v[40:41], v[40:41]
	s_delay_alu instid0(VALU_DEP_4) | instskip(NEXT) | instid1(VALU_DEP_3)
	v_add_f64_e64 v[10:11], v[10:11], -v[48:49]
	v_add_f64_e64 v[58:59], v[52:53], -v[44:45]
	s_delay_alu instid0(VALU_DEP_3) | instskip(SKIP_1) | instid1(VALU_DEP_4)
	v_fmamk_f64 v[62:63], v[46:47], 0x3eeba404b5e68a13, v[26:27]
	v_add_f64_e64 v[44:45], v[56:57], -v[44:45]
	v_add_f64_e32 v[56:57], v[54:55], v[10:11]
	s_delay_alu instid0(VALU_DEP_3) | instskip(NEXT) | instid1(VALU_DEP_1)
	v_fmaak_f64 v[62:63], v[46:47], v[62:63], 0x3f4b2bb069efb384
	v_fmaak_f64 v[62:63], v[46:47], v[62:63], 0xbf67952daf56de9b
	v_add_f64_e64 v[48:49], v[50:51], -v[58:59]
	s_delay_alu instid0(VALU_DEP_2) | instskip(NEXT) | instid1(VALU_DEP_1)
	v_fmaak_f64 v[50:51], v[46:47], v[62:63], 0x3f7d6d43a595c56f
	v_fmaak_f64 v[50:51], v[46:47], v[50:51], 0xbf8c6ea4a57d9582
	s_delay_alu instid0(VALU_DEP_1) | instskip(NEXT) | instid1(VALU_DEP_1)
	v_fmaak_f64 v[50:51], v[46:47], v[50:51], 0x3f967e295f08b19f
	v_fmaak_f64 v[50:51], v[46:47], v[50:51], 0xbf9e9ae6fc27006a
	s_delay_alu instid0(VALU_DEP_1) | instskip(SKIP_1) | instid1(VALU_DEP_2)
	v_fmaak_f64 v[50:51], v[46:47], v[50:51], 0x3fa2c15b5711927a
	v_add_f64_e32 v[44:45], v[44:45], v[48:49]
	v_fmaak_f64 v[48:49], v[46:47], v[50:51], 0xbfa59976e82d3ff0
	v_add_f64_e64 v[50:51], v[56:57], -v[54:55]
	s_delay_alu instid0(VALU_DEP_2) | instskip(NEXT) | instid1(VALU_DEP_1)
	v_fmaak_f64 v[48:49], v[46:47], v[48:49], 0x3fa82d5d6ef28734
	v_fmaak_f64 v[48:49], v[46:47], v[48:49], 0xbfaae5ce6a214619
	s_delay_alu instid0(VALU_DEP_1) | instskip(NEXT) | instid1(VALU_DEP_1)
	v_fmaak_f64 v[48:49], v[46:47], v[48:49], 0x3fae1bb48427b883
	v_fmaak_f64 v[48:49], v[46:47], v[48:49], 0xbfb110e48b207f05
	v_add_f64_e32 v[44:45], v[56:57], v[44:45]
	v_add_f64_e64 v[56:57], v[56:57], -v[50:51]
	v_add_f64_e64 v[10:11], v[10:11], -v[50:51]
	s_delay_alu instid0(VALU_DEP_4) | instskip(NEXT) | instid1(VALU_DEP_1)
	v_fmaak_f64 v[48:49], v[46:47], v[48:49], 0x3fb3b13657b87036
	v_fmaak_f64 v[48:49], v[46:47], v[48:49], 0xbfb745d119378e4f
	s_delay_alu instid0(VALU_DEP_1) | instskip(NEXT) | instid1(VALU_DEP_1)
	v_fmaak_f64 v[48:49], v[46:47], v[48:49], 0x3fbc71c717e1913c
	v_fmaak_f64 v[48:49], v[46:47], v[48:49], 0xbfc2492492376b7d
	v_add_f64_e32 v[58:59], v[52:53], v[44:45]
	s_delay_alu instid0(VALU_DEP_2) | instskip(NEXT) | instid1(VALU_DEP_1)
	v_fmaak_f64 v[48:49], v[46:47], v[48:49], 0x3fc99999999952cc
	v_fmaak_f64 v[48:49], v[46:47], v[48:49], 0xbfd5555555555523
	s_delay_alu instid0(VALU_DEP_1) | instskip(SKIP_2) | instid1(VALU_DEP_3)
	v_mul_f64_e32 v[46:47], v[46:47], v[48:49]
	v_add_f64_e64 v[48:49], v[54:55], -v[56:57]
	v_add_f64_e64 v[50:51], v[58:59], -v[52:53]
	v_fmac_f64_e32 v[40:41], v[40:41], v[46:47]
	s_delay_alu instid0(VALU_DEP_3) | instskip(NEXT) | instid1(VALU_DEP_3)
	v_add_f64_e32 v[10:11], v[10:11], v[48:49]
	v_add_f64_e64 v[44:45], v[44:45], -v[50:51]
	s_delay_alu instid0(VALU_DEP_3) | instskip(NEXT) | instid1(VALU_DEP_1)
	v_add_f64_e64 v[46:47], -v[40:41], s[40:41]
	v_dual_add_f64 v[10:11], v[10:11], v[44:45] :: v_dual_cndmask_b32 v41, v41, v47, s6
	s_delay_alu instid0(VALU_DEP_2) | instskip(SKIP_1) | instid1(VALU_DEP_2)
	v_cndmask_b32_e64 v40, v40, v46, s6
	v_and_b32_e32 v46, 0x54442d18, v12
	v_add_f64_e64 v[44:45], -v[40:41], s[42:43]
	s_delay_alu instid0(VALU_DEP_1) | instskip(NEXT) | instid1(VALU_DEP_1)
	v_dual_add_f64 v[10:11], v[58:59], v[10:11] :: v_dual_cndmask_b32 v40, v40, v44, vcc_lo
	v_cndmask_b32_e64 v40, v40, v46, s7
                                        ; implicit-def: $vgpr46_vgpr47
	s_delay_alu instid0(VALU_DEP_2) | instskip(SKIP_4) | instid1(VALU_DEP_3)
	v_mul_f64_e32 v[2:3], 0.5, v[10:11]
	v_cndmask_b32_e32 v10, 0x3fe921fb, v69, vcc_lo
	v_and_b32_e32 v11, 0x400921fb, v12
	v_cndmask_b32_e32 v12, v41, v45, vcc_lo
	s_and_b32 vcc_lo, s10, s11
                                        ; implicit-def: $vgpr44_vgpr45
	v_bfi_b32 v10, 0x7fffffff, v10, v5
	v_cndmask_b32_e32 v40, v40, v21, vcc_lo
	s_delay_alu instid0(VALU_DEP_3) | instskip(NEXT) | instid1(VALU_DEP_1)
	v_cndmask_b32_e64 v11, v12, v11, s7
	v_cndmask_b32_e32 v41, v11, v10, vcc_lo
	v_cndmask_b32_e64 v11, 0xfff00000, v3, s8
	v_cndmask_b32_e64 v10, 0, v2, s8
.LBB197_55:                             ;   in Loop: Header=BB197_4 Depth=1
	s_and_not1_saveexec_b32 s57, s9
	s_cbranch_execz .LBB197_59
; %bb.56:                               ;   in Loop: Header=BB197_4 Depth=1
	v_and_b32_e32 v21, 0x7ffffff8, v47
	v_and_b32_e32 v41, 0x7ffffff8, v45
	v_mov_b32_e32 v40, v20
	s_mov_b32 s58, 0
	s_delay_alu instid0(VALU_DEP_3) | instskip(SKIP_1) | instid1(VALU_DEP_3)
	v_dual_add_f64 v[10:11], v[46:47], -v[20:21] :: v_dual_mov_b32 v48, v20
	v_mov_b32_e32 v46, v20
	v_add_f64_e64 v[42:43], v[44:45], -v[40:41]
	v_add_f64_e32 v[58:59], v[40:41], v[40:41]
	s_delay_alu instid0(VALU_DEP_4) | instskip(NEXT) | instid1(VALU_DEP_3)
	v_dual_mul_f64 v[44:45], v[40:41], v[40:41] :: v_dual_bitop2_b32 v47, -8, v11 bitop3:0x40
	v_dual_add_f64 v[50:51], v[20:21], v[20:21] :: v_dual_bitop2_b32 v49, -8, v43 bitop3:0x40
	s_delay_alu instid0(VALU_DEP_2) | instskip(SKIP_1) | instid1(VALU_DEP_3)
	v_add_f64_e64 v[60:61], v[10:11], -v[46:47]
	v_add_f64_e32 v[64:65], v[46:47], v[46:47]
	v_add_f64_e64 v[62:63], v[42:43], -v[48:49]
	v_add_f64_e32 v[66:67], v[48:49], v[48:49]
	v_mul_f64_e32 v[10:11], v[20:21], v[20:21]
	v_mul_f64_e32 v[42:43], v[58:59], v[48:49]
	;; [unrolled: 1-line block ×11, first 2 shown]
.LBB197_57:                             ;   Parent Loop BB197_4 Depth=1
                                        ; =>  This Inner Loop Header: Depth=2
	v_cmp_nlt_f64_e32 vcc_lo, v[10:11], v[44:45]
	v_dual_cndmask_b32 v63, v11, v45 :: v_dual_cndmask_b32 v62, v10, v44
	v_dual_cndmask_b32 v11, v45, v11 :: v_dual_cndmask_b32 v10, v44, v10
	s_delay_alu instid0(VALU_DEP_2) | instskip(NEXT) | instid1(VALU_DEP_1)
	v_cmp_nlt_f64_e64 s7, v[62:63], v[56:57]
	v_dual_cndmask_b32 v65, v63, v57, s7 :: v_dual_cndmask_b32 v64, v62, v56, s7
	v_dual_cndmask_b32 v45, v57, v63, s7 :: v_dual_cndmask_b32 v44, v56, v62, s7
	s_and_b32 s7, vcc_lo, s7
	s_delay_alu instid0(VALU_DEP_2) | instskip(NEXT) | instid1(VALU_DEP_1)
	v_cmp_nlt_f64_e64 s8, v[64:65], v[42:43]
	v_dual_cndmask_b32 v67, v65, v43, s8 :: v_dual_cndmask_b32 v66, v64, v42, s8
	v_dual_cndmask_b32 v57, v43, v65, s8 :: v_dual_cndmask_b32 v56, v42, v64, s8
	s_delay_alu instid0(VALU_DEP_2) | instskip(NEXT) | instid1(VALU_DEP_1)
	v_cmp_nlt_f64_e64 s9, v[66:67], v[54:55]
	v_dual_cndmask_b32 v71, v67, v55, s9 :: v_dual_cndmask_b32 v70, v66, v54, s9
	v_dual_cndmask_b32 v43, v55, v67, s9 :: v_dual_cndmask_b32 v42, v54, v66, s9
	s_and_b32 s8, s8, s9
	s_delay_alu instid0(VALU_DEP_2) | instskip(NEXT) | instid1(VALU_DEP_1)
	v_cmp_nlt_f64_e64 s10, v[70:71], v[40:41]
	v_dual_cndmask_b32 v73, v71, v41, s10 :: v_dual_cndmask_b32 v72, v70, v40, s10
	v_dual_cndmask_b32 v55, v41, v71, s10 :: v_dual_cndmask_b32 v54, v40, v70, s10
	s_delay_alu instid0(VALU_DEP_2) | instskip(NEXT) | instid1(VALU_DEP_1)
	v_cmp_nlt_f64_e64 s11, v[72:73], v[52:53]
	v_dual_cndmask_b32 v75, v73, v53, s11 :: v_dual_cndmask_b32 v74, v72, v52, s11
	s_and_b32 s9, s10, s11
	v_dual_cndmask_b32 v41, v53, v73, s11 :: v_dual_cndmask_b32 v40, v52, v72, s11
	s_delay_alu instid0(VALU_DEP_2) | instskip(NEXT) | instid1(VALU_DEP_1)
	v_cmp_nlt_f64_e64 s12, v[74:75], v[50:51]
	v_dual_cndmask_b32 v77, v75, v51, s12 :: v_dual_cndmask_b32 v76, v74, v50, s12
	s_and_b32 s9, s9, s12
	;; [unrolled: 5-line block ×6, first 2 shown]
	v_dual_cndmask_b32 v59, v61, v83, s16 :: v_dual_cndmask_b32 v58, v60, v82, s16
	s_and_b32 s8, s9, s8
	s_delay_alu instid0(VALU_DEP_2) | instskip(SKIP_1) | instid1(SALU_CYCLE_1)
	v_mov_b64_e32 v[60:61], v[62:63]
	s_and_b32 s7, s8, s7
	s_and_b32 s7, exec_lo, s7
	s_delay_alu instid0(SALU_CYCLE_1) | instskip(NEXT) | instid1(SALU_CYCLE_1)
	s_or_b32 s58, s7, s58
	s_and_not1_b32 exec_lo, exec_lo, s58
	s_cbranch_execnz .LBB197_57
; %bb.58:                               ;   in Loop: Header=BB197_4 Depth=1
	s_or_b32 exec_lo, exec_lo, s58
	v_add_f64_e32 v[10:11], -1.0, v[10:11]
	v_cmp_eq_f64_e64 s7, 0, v[4:5]
	v_cmp_class_f64_e64 s11, v[2:3], 0x204
	v_cmp_class_f64_e64 s10, v[4:5], 0x204
	s_delay_alu instid0(VALU_DEP_4) | instskip(NEXT) | instid1(VALU_DEP_1)
	v_add_f64_e32 v[10:11], v[10:11], v[44:45]
	v_add_f64_e32 v[10:11], v[10:11], v[56:57]
	s_delay_alu instid0(VALU_DEP_1) | instskip(NEXT) | instid1(VALU_DEP_1)
	v_add_f64_e32 v[10:11], v[10:11], v[42:43]
	v_add_f64_e32 v[10:11], v[10:11], v[54:55]
	s_delay_alu instid0(VALU_DEP_1) | instskip(NEXT) | instid1(VALU_DEP_1)
	;; [unrolled: 3-line block ×5, first 2 shown]
	v_add_f64_e32 v[42:43], v[62:63], v[10:11]
	v_add_f64_e32 v[10:11], 1.0, v[42:43]
	v_cmp_nge_f64_e64 s8, -1.0, v[42:43]
	v_cmp_neq_f64_e64 s9, 0x7ff00000, v[42:43]
	s_delay_alu instid0(VALU_DEP_3) | instskip(SKIP_2) | instid1(VALU_DEP_3)
	v_frexp_mant_f64_e32 v[40:41], v[10:11]
	v_frexp_exp_i32_f64_e32 v12, v[10:11]
	v_add_f64_e32 v[44:45], -1.0, v[10:11]
	v_cmp_gt_f64_e32 vcc_lo, s[30:31], v[40:41]
	s_delay_alu instid0(VALU_DEP_2) | instskip(SKIP_2) | instid1(VALU_DEP_3)
	v_add_f64_e64 v[40:41], v[44:45], -v[10:11]
	v_add_f64_e64 v[44:45], v[42:43], -v[44:45]
	v_subrev_co_ci_u32_e64 v12, null, 0, v12, vcc_lo
	v_add_f64_e32 v[40:41], 1.0, v[40:41]
	s_delay_alu instid0(VALU_DEP_2) | instskip(NEXT) | instid1(VALU_DEP_1)
	v_sub_nc_u32_e32 v21, 0, v12
	v_ldexp_f64 v[10:11], v[10:11], v21
	s_delay_alu instid0(VALU_DEP_3) | instskip(NEXT) | instid1(VALU_DEP_2)
	v_add_f64_e32 v[40:41], v[44:45], v[40:41]
	v_add_f64_e32 v[46:47], 1.0, v[10:11]
	v_add_f64_e32 v[52:53], -1.0, v[10:11]
	s_delay_alu instid0(VALU_DEP_3) | instskip(NEXT) | instid1(VALU_DEP_3)
	v_ldexp_f64 v[40:41], v[40:41], v21
	v_add_f64_e32 v[44:45], -1.0, v[46:47]
	s_delay_alu instid0(VALU_DEP_3) | instskip(NEXT) | instid1(VALU_DEP_2)
	v_add_f64_e32 v[54:55], 1.0, v[52:53]
	v_add_f64_e64 v[44:45], v[10:11], -v[44:45]
	s_delay_alu instid0(VALU_DEP_2) | instskip(NEXT) | instid1(VALU_DEP_2)
	v_add_f64_e64 v[10:11], v[10:11], -v[54:55]
	v_add_f64_e32 v[44:45], v[40:41], v[44:45]
	s_delay_alu instid0(VALU_DEP_2) | instskip(NEXT) | instid1(VALU_DEP_2)
	v_add_f64_e32 v[10:11], v[40:41], v[10:11]
	v_add_f64_e32 v[48:49], v[46:47], v[44:45]
	s_delay_alu instid0(VALU_DEP_2) | instskip(NEXT) | instid1(VALU_DEP_2)
	v_add_f64_e32 v[54:55], v[52:53], v[10:11]
	v_rcp_f64_e32 v[50:51], v[48:49]
	v_add_f64_e64 v[46:47], v[48:49], -v[46:47]
	s_delay_alu instid0(VALU_DEP_2) | instskip(NEXT) | instid1(VALU_DEP_2)
	v_add_f64_e64 v[52:53], v[54:55], -v[52:53]
	v_add_f64_e64 v[44:45], v[44:45], -v[46:47]
	s_delay_alu instid0(VALU_DEP_2) | instskip(NEXT) | instid1(TRANS32_DEP_1)
	v_add_f64_e64 v[10:11], v[10:11], -v[52:53]
	v_fma_f64 v[56:57], -v[48:49], v[50:51], 1.0
	s_delay_alu instid0(VALU_DEP_1) | instskip(NEXT) | instid1(VALU_DEP_1)
	v_fmac_f64_e32 v[50:51], v[56:57], v[50:51]
	v_fma_f64 v[40:41], -v[48:49], v[50:51], 1.0
	s_delay_alu instid0(VALU_DEP_1) | instskip(NEXT) | instid1(VALU_DEP_1)
	v_fmac_f64_e32 v[50:51], v[40:41], v[50:51]
	v_mul_f64_e32 v[40:41], v[54:55], v[50:51]
	s_delay_alu instid0(VALU_DEP_1) | instskip(NEXT) | instid1(VALU_DEP_1)
	v_mul_f64_e32 v[56:57], v[48:49], v[40:41]
	v_fma_f64 v[46:47], v[40:41], v[48:49], -v[56:57]
	s_delay_alu instid0(VALU_DEP_1) | instskip(NEXT) | instid1(VALU_DEP_1)
	v_fmac_f64_e32 v[46:47], v[40:41], v[44:45]
	v_add_f64_e32 v[58:59], v[56:57], v[46:47]
	s_delay_alu instid0(VALU_DEP_1) | instskip(SKIP_1) | instid1(VALU_DEP_2)
	v_add_f64_e64 v[60:61], v[54:55], -v[58:59]
	v_add_f64_e64 v[52:53], v[58:59], -v[56:57]
	v_add_f64_e64 v[54:55], v[54:55], -v[60:61]
	s_delay_alu instid0(VALU_DEP_2) | instskip(NEXT) | instid1(VALU_DEP_2)
	v_add_f64_e64 v[46:47], v[52:53], -v[46:47]
	v_add_f64_e64 v[54:55], v[54:55], -v[58:59]
	s_delay_alu instid0(VALU_DEP_1) | instskip(NEXT) | instid1(VALU_DEP_1)
	v_add_f64_e32 v[10:11], v[10:11], v[54:55]
	v_add_f64_e32 v[10:11], v[46:47], v[10:11]
	s_delay_alu instid0(VALU_DEP_1) | instskip(NEXT) | instid1(VALU_DEP_1)
	v_add_f64_e32 v[46:47], v[60:61], v[10:11]
	v_mul_f64_e32 v[52:53], v[50:51], v[46:47]
	v_add_f64_e64 v[58:59], v[60:61], -v[46:47]
	s_delay_alu instid0(VALU_DEP_2) | instskip(NEXT) | instid1(VALU_DEP_2)
	v_mul_f64_e32 v[54:55], v[48:49], v[52:53]
	v_add_f64_e32 v[10:11], v[10:11], v[58:59]
	s_delay_alu instid0(VALU_DEP_2) | instskip(NEXT) | instid1(VALU_DEP_1)
	v_fma_f64 v[48:49], v[52:53], v[48:49], -v[54:55]
	v_fmac_f64_e32 v[48:49], v[52:53], v[44:45]
	s_delay_alu instid0(VALU_DEP_1) | instskip(NEXT) | instid1(VALU_DEP_1)
	v_add_f64_e32 v[44:45], v[54:55], v[48:49]
	v_add_f64_e64 v[56:57], v[46:47], -v[44:45]
	v_add_f64_e64 v[54:55], v[44:45], -v[54:55]
	s_delay_alu instid0(VALU_DEP_2) | instskip(NEXT) | instid1(VALU_DEP_1)
	v_add_f64_e64 v[46:47], v[46:47], -v[56:57]
	v_add_f64_e64 v[44:45], v[46:47], -v[44:45]
	s_delay_alu instid0(VALU_DEP_3) | instskip(SKIP_1) | instid1(VALU_DEP_3)
	v_add_f64_e64 v[46:47], v[54:55], -v[48:49]
	v_max_num_f64_e64 v[48:49], |v[2:3]|, |v[2:3]|
	v_add_f64_e32 v[10:11], v[10:11], v[44:45]
	v_add_f64_e32 v[44:45], v[40:41], v[52:53]
	s_delay_alu instid0(VALU_DEP_2) | instskip(NEXT) | instid1(VALU_DEP_2)
	v_add_f64_e32 v[10:11], v[46:47], v[10:11]
	v_add_f64_e64 v[40:41], v[44:45], -v[40:41]
	v_max_num_f64_e64 v[46:47], |v[4:5]|, |v[4:5]|
	s_delay_alu instid0(VALU_DEP_3) | instskip(NEXT) | instid1(VALU_DEP_3)
	v_add_f64_e32 v[10:11], v[56:57], v[10:11]
	v_add_f64_e64 v[40:41], v[52:53], -v[40:41]
	s_delay_alu instid0(VALU_DEP_2) | instskip(NEXT) | instid1(VALU_DEP_1)
	v_mul_f64_e32 v[10:11], v[50:51], v[10:11]
	v_add_f64_e32 v[10:11], v[40:41], v[10:11]
	v_max_num_f64_e32 v[40:41], v[48:49], v[46:47]
	v_min_num_f64_e32 v[46:47], v[48:49], v[46:47]
	s_delay_alu instid0(VALU_DEP_3) | instskip(NEXT) | instid1(VALU_DEP_2)
	v_add_f64_e32 v[48:49], v[44:45], v[10:11]
	v_div_scale_f64 v[50:51], null, v[40:41], v[40:41], v[46:47]
	s_delay_alu instid0(VALU_DEP_2) | instskip(SKIP_1) | instid1(VALU_DEP_3)
	v_mul_f64_e32 v[52:53], v[48:49], v[48:49]
	v_add_f64_e64 v[44:45], v[48:49], -v[44:45]
	v_rcp_f64_e32 v[54:55], v[50:51]
	s_delay_alu instid0(VALU_DEP_2) | instskip(SKIP_1) | instid1(VALU_DEP_3)
	v_fmamk_f64 v[56:57], v[52:53], 0x3fc3ab76bf559e2b, v[24:25]
	v_mul_f64_e32 v[58:59], v[48:49], v[52:53]
	v_add_f64_e64 v[10:11], v[10:11], -v[44:45]
	s_delay_alu instid0(VALU_DEP_3) | instskip(NEXT) | instid1(TRANS32_DEP_1)
	v_fmaak_f64 v[56:57], v[52:53], v[56:57], 0x3fc7474dd7f4df2e
	v_fma_f64 v[60:61], -v[50:51], v[54:55], 1.0
	s_delay_alu instid0(VALU_DEP_2) | instskip(NEXT) | instid1(VALU_DEP_1)
	v_fmaak_f64 v[56:57], v[52:53], v[56:57], 0x3fcc71c016291751
	v_fmaak_f64 v[56:57], v[52:53], v[56:57], 0x3fd249249b27acf1
	s_delay_alu instid0(VALU_DEP_1) | instskip(SKIP_1) | instid1(VALU_DEP_2)
	v_fmaak_f64 v[56:57], v[52:53], v[56:57], 0x3fd99999998ef7b6
	v_ldexp_f64 v[10:11], v[10:11], 1
	v_fmaak_f64 v[52:53], v[52:53], v[56:57], 0x3fe5555555555780
	v_ldexp_f64 v[56:57], v[48:49], 1
	v_fmac_f64_e32 v[54:55], v[54:55], v[60:61]
	s_delay_alu instid0(VALU_DEP_3) | instskip(SKIP_2) | instid1(VALU_DEP_4)
	v_mul_f64_e32 v[52:53], v[58:59], v[52:53]
	v_cvt_f64_i32_e32 v[58:59], v12
	v_ashrrev_i32_e32 v12, 31, v3
	v_fma_f64 v[60:61], -v[50:51], v[54:55], 1.0
	s_delay_alu instid0(VALU_DEP_4) | instskip(NEXT) | instid1(VALU_DEP_4)
	v_add_f64_e32 v[48:49], v[56:57], v[52:53]
	v_mul_f64_e32 v[62:63], 0x3fe62e42fefa39ef, v[58:59]
	s_delay_alu instid0(VALU_DEP_3) | instskip(NEXT) | instid1(VALU_DEP_3)
	v_fmac_f64_e32 v[54:55], v[54:55], v[60:61]
	v_add_f64_e64 v[44:45], v[48:49], -v[56:57]
	v_div_scale_f64 v[56:57], vcc_lo, v[46:47], v[40:41], v[46:47]
	s_delay_alu instid0(VALU_DEP_4) | instskip(NEXT) | instid1(VALU_DEP_3)
	v_fma_f64 v[60:61], v[58:59], s[34:35], -v[62:63]
	v_add_f64_e64 v[44:45], v[52:53], -v[44:45]
	s_delay_alu instid0(VALU_DEP_3) | instskip(NEXT) | instid1(VALU_DEP_3)
	v_mul_f64_e32 v[52:53], v[56:57], v[54:55]
	v_fmac_f64_e32 v[60:61], 0x3c7abc9e3b39803f, v[58:59]
	s_delay_alu instid0(VALU_DEP_3) | instskip(NEXT) | instid1(VALU_DEP_3)
	v_add_f64_e32 v[10:11], v[10:11], v[44:45]
	v_fma_f64 v[44:45], -v[50:51], v[52:53], v[56:57]
	s_delay_alu instid0(VALU_DEP_3) | instskip(NEXT) | instid1(VALU_DEP_3)
	v_add_f64_e32 v[50:51], v[62:63], v[60:61]
	v_add_f64_e32 v[56:57], v[48:49], v[10:11]
	s_delay_alu instid0(VALU_DEP_3) | instskip(SKIP_1) | instid1(VALU_DEP_4)
	v_div_fmas_f64 v[44:45], v[44:45], v[54:55], v[52:53]
	v_cmp_gt_i32_e32 vcc_lo, 0, v3
	v_add_f64_e64 v[54:55], v[50:51], -v[62:63]
	v_and_b32_e32 v3, 0x400921fb, v12
	v_cndmask_b32_e32 v21, 0x54442d18, v68, vcc_lo
	v_cndmask_b32_e32 v2, 0x3fe921fb, v69, vcc_lo
	s_delay_alu instid0(VALU_DEP_1) | instskip(SKIP_4) | instid1(VALU_DEP_4)
	v_bfi_b32 v2, 0x7fffffff, v2, v5
	v_add_f64_e32 v[52:53], v[50:51], v[56:57]
	v_div_fixup_f64 v[40:41], v[44:45], v[40:41], v[46:47]
	v_add_f64_e64 v[48:49], v[56:57], -v[48:49]
	v_add_f64_e64 v[54:55], v[60:61], -v[54:55]
	;; [unrolled: 1-line block ×3, first 2 shown]
	s_delay_alu instid0(VALU_DEP_4) | instskip(NEXT) | instid1(VALU_DEP_4)
	v_mul_f64_e32 v[46:47], v[40:41], v[40:41]
	v_add_f64_e64 v[10:11], v[10:11], -v[48:49]
	s_delay_alu instid0(VALU_DEP_3) | instskip(NEXT) | instid1(VALU_DEP_3)
	v_add_f64_e64 v[58:59], v[52:53], -v[44:45]
	v_fmamk_f64 v[62:63], v[46:47], 0x3eeba404b5e68a13, v[26:27]
	v_add_f64_e64 v[44:45], v[56:57], -v[44:45]
	s_delay_alu instid0(VALU_DEP_4) | instskip(NEXT) | instid1(VALU_DEP_3)
	v_add_f64_e32 v[56:57], v[54:55], v[10:11]
	v_fmaak_f64 v[62:63], v[46:47], v[62:63], 0x3f4b2bb069efb384
	v_add_f64_e64 v[48:49], v[50:51], -v[58:59]
	s_delay_alu instid0(VALU_DEP_2) | instskip(NEXT) | instid1(VALU_DEP_1)
	v_fmaak_f64 v[50:51], v[46:47], v[62:63], 0xbf67952daf56de9b
	v_fmaak_f64 v[50:51], v[46:47], v[50:51], 0x3f7d6d43a595c56f
	s_delay_alu instid0(VALU_DEP_1) | instskip(NEXT) | instid1(VALU_DEP_1)
	v_fmaak_f64 v[50:51], v[46:47], v[50:51], 0xbf8c6ea4a57d9582
	v_fmaak_f64 v[50:51], v[46:47], v[50:51], 0x3f967e295f08b19f
	s_delay_alu instid0(VALU_DEP_1) | instskip(SKIP_1) | instid1(VALU_DEP_2)
	v_fmaak_f64 v[50:51], v[46:47], v[50:51], 0xbf9e9ae6fc27006a
	v_add_f64_e32 v[44:45], v[44:45], v[48:49]
	v_fmaak_f64 v[48:49], v[46:47], v[50:51], 0x3fa2c15b5711927a
	v_add_f64_e64 v[50:51], v[56:57], -v[54:55]
	s_delay_alu instid0(VALU_DEP_2) | instskip(NEXT) | instid1(VALU_DEP_1)
	v_fmaak_f64 v[48:49], v[46:47], v[48:49], 0xbfa59976e82d3ff0
	v_fmaak_f64 v[48:49], v[46:47], v[48:49], 0x3fa82d5d6ef28734
	s_delay_alu instid0(VALU_DEP_1) | instskip(NEXT) | instid1(VALU_DEP_1)
	v_fmaak_f64 v[48:49], v[46:47], v[48:49], 0xbfaae5ce6a214619
	v_fmaak_f64 v[48:49], v[46:47], v[48:49], 0x3fae1bb48427b883
	v_add_f64_e32 v[44:45], v[56:57], v[44:45]
	v_add_f64_e64 v[56:57], v[56:57], -v[50:51]
	v_add_f64_e64 v[10:11], v[10:11], -v[50:51]
	s_delay_alu instid0(VALU_DEP_4) | instskip(NEXT) | instid1(VALU_DEP_1)
	v_fmaak_f64 v[48:49], v[46:47], v[48:49], 0xbfb110e48b207f05
	v_fmaak_f64 v[48:49], v[46:47], v[48:49], 0x3fb3b13657b87036
	s_delay_alu instid0(VALU_DEP_1) | instskip(NEXT) | instid1(VALU_DEP_1)
	v_fmaak_f64 v[48:49], v[46:47], v[48:49], 0xbfb745d119378e4f
	v_fmaak_f64 v[48:49], v[46:47], v[48:49], 0x3fbc71c717e1913c
	v_add_f64_e32 v[58:59], v[52:53], v[44:45]
	s_delay_alu instid0(VALU_DEP_2) | instskip(NEXT) | instid1(VALU_DEP_1)
	v_fmaak_f64 v[48:49], v[46:47], v[48:49], 0xbfc2492492376b7d
	v_fmaak_f64 v[48:49], v[46:47], v[48:49], 0x3fc99999999952cc
	s_delay_alu instid0(VALU_DEP_1) | instskip(NEXT) | instid1(VALU_DEP_1)
	v_fmaak_f64 v[48:49], v[46:47], v[48:49], 0xbfd5555555555523
	v_mul_f64_e32 v[46:47], v[46:47], v[48:49]
	v_add_f64_e64 v[48:49], v[54:55], -v[56:57]
	v_add_f64_e64 v[50:51], v[58:59], -v[52:53]
	s_delay_alu instid0(VALU_DEP_3) | instskip(NEXT) | instid1(VALU_DEP_3)
	v_fmac_f64_e32 v[40:41], v[40:41], v[46:47]
	v_add_f64_e32 v[10:11], v[10:11], v[48:49]
	s_delay_alu instid0(VALU_DEP_3) | instskip(NEXT) | instid1(VALU_DEP_3)
	v_add_f64_e64 v[44:45], v[44:45], -v[50:51]
	v_add_f64_e64 v[46:47], -v[40:41], s[40:41]
	s_delay_alu instid0(VALU_DEP_1) | instskip(NEXT) | instid1(VALU_DEP_2)
	v_dual_add_f64 v[10:11], v[10:11], v[44:45] :: v_dual_cndmask_b32 v41, v41, v47, s6
	v_cndmask_b32_e64 v40, v40, v46, s6
	v_and_b32_e32 v46, 0x54442d18, v12
	s_delay_alu instid0(VALU_DEP_2) | instskip(NEXT) | instid1(VALU_DEP_1)
	v_add_f64_e64 v[44:45], -v[40:41], s[42:43]
	v_dual_add_f64 v[10:11], v[58:59], v[10:11] :: v_dual_cndmask_b32 v40, v40, v44, vcc_lo
	s_delay_alu instid0(VALU_DEP_2) | instskip(SKIP_1) | instid1(VALU_DEP_3)
	v_cndmask_b32_e32 v12, v41, v45, vcc_lo
	v_cmp_ngt_f64_e32 vcc_lo, -1.0, v[42:43]
	v_mul_f64_e32 v[10:11], 0.5, v[10:11]
	s_delay_alu instid0(VALU_DEP_4) | instskip(NEXT) | instid1(VALU_DEP_4)
	v_cndmask_b32_e64 v40, v40, v46, s7
	v_cndmask_b32_e64 v3, v12, v3, s7
	s_and_b32 s7, s8, s9
	s_delay_alu instid0(VALU_DEP_3) | instid1(SALU_CYCLE_1)
	v_cndmask_b32_e64 v10, 0, v10, s7
	v_cmp_neq_f64_e64 s7, -1.0, v[42:43]
	v_cndmask_b32_e64 v11, 0x7ff00000, v11, s9
	s_delay_alu instid0(VALU_DEP_1) | instskip(SKIP_2) | instid1(VALU_DEP_2)
	v_cndmask_b32_e32 v11, 0x7ff80000, v11, vcc_lo
	s_and_b32 vcc_lo, s10, s11
	v_dual_cndmask_b32 v41, v3, v2 :: v_dual_cndmask_b32 v40, v40, v21
	v_cndmask_b32_e64 v11, 0xfff00000, v11, s7
.LBB197_59:                             ;   in Loop: Header=BB197_4 Depth=1
	s_or_b32 exec_lo, exec_lo, s57
.LBB197_60:                             ;   in Loop: Header=BB197_4 Depth=1
	s_delay_alu instid0(SALU_CYCLE_1)
	s_or_b32 exec_lo, exec_lo, s56
.LBB197_61:                             ;   in Loop: Header=BB197_4 Depth=1
	s_and_not1_saveexec_b32 s9, s55
	s_cbranch_execz .LBB197_63
; %bb.62:                               ;   in Loop: Header=BB197_4 Depth=1
	v_max_num_f64_e64 v[10:11], |v[4:5]|, |v[4:5]|
	v_max_num_f64_e64 v[40:41], |v[2:3]|, |v[2:3]|
	v_cmp_class_f64_e64 s10, v[2:3], 0x204
	v_cmp_class_f64_e64 s11, v[4:5], 0x204
	v_cmp_eq_f64_e64 s8, 0, v[4:5]
	s_delay_alu instid0(VALU_DEP_4) | instskip(SKIP_2) | instid1(VALU_DEP_2)
	v_max_num_f64_e32 v[42:43], v[40:41], v[10:11]
	v_min_num_f64_e32 v[10:11], v[40:41], v[10:11]
	s_or_b32 s7, s11, s10
	v_frexp_exp_i32_f64_e32 v12, v[42:43]
	s_delay_alu instid0(VALU_DEP_1) | instskip(NEXT) | instid1(VALU_DEP_1)
	v_sub_nc_u32_e32 v21, 0, v12
	v_ldexp_f64 v[44:45], |v[4:5]|, v21
	v_ldexp_f64 v[46:47], |v[2:3]|, v21
	s_delay_alu instid0(VALU_DEP_2) | instskip(NEXT) | instid1(VALU_DEP_1)
	v_mul_f64_e32 v[44:45], v[44:45], v[44:45]
	v_fmac_f64_e32 v[44:45], v[46:47], v[46:47]
	s_delay_alu instid0(VALU_DEP_1) | instskip(SKIP_1) | instid1(TRANS32_DEP_1)
	v_rsq_f64_e32 v[46:47], v[44:45]
	v_cmp_eq_f64_e32 vcc_lo, 0, v[44:45]
	v_mul_f64_e32 v[48:49], v[44:45], v[46:47]
	v_mul_f64_e32 v[46:47], 0.5, v[46:47]
	s_delay_alu instid0(VALU_DEP_1) | instskip(NEXT) | instid1(VALU_DEP_1)
	v_fma_f64 v[50:51], -v[46:47], v[48:49], 0.5
	v_fmac_f64_e32 v[48:49], v[48:49], v[50:51]
	v_fmac_f64_e32 v[46:47], v[46:47], v[50:51]
	s_delay_alu instid0(VALU_DEP_2) | instskip(NEXT) | instid1(VALU_DEP_1)
	v_fma_f64 v[50:51], -v[48:49], v[48:49], v[44:45]
	v_fmac_f64_e32 v[48:49], v[50:51], v[46:47]
	s_delay_alu instid0(VALU_DEP_1) | instskip(NEXT) | instid1(VALU_DEP_1)
	v_dual_cndmask_b32 v45, v49, v45 :: v_dual_cndmask_b32 v44, v48, v44
	v_ldexp_f64 v[44:45], v[44:45], v12
	v_ashrrev_i32_e32 v12, 31, v3
	s_delay_alu instid0(VALU_DEP_2) | instskip(NEXT) | instid1(VALU_DEP_3)
	v_cndmask_b32_e64 v45, v45, 0x7ff00000, s7
	v_cndmask_b32_e64 v44, v44, 0, s7
	s_delay_alu instid0(VALU_DEP_1) | instskip(SKIP_1) | instid1(VALU_DEP_2)
	v_frexp_mant_f64_e32 v[46:47], v[44:45]
	v_cmp_class_f64_e64 s7, v[44:45], 0x204
	v_cmp_gt_f64_e32 vcc_lo, s[30:31], v[46:47]
	v_cndmask_b32_e64 v2, 0, 1, vcc_lo
	s_delay_alu instid0(VALU_DEP_1) | instskip(SKIP_1) | instid1(VALU_DEP_2)
	v_ldexp_f64 v[46:47], v[46:47], v2
	v_frexp_exp_i32_f64_e32 v2, v[44:45]
	v_add_f64_e32 v[48:49], 1.0, v[46:47]
	v_add_f64_e32 v[54:55], -1.0, v[46:47]
	s_delay_alu instid0(VALU_DEP_3) | instskip(SKIP_1) | instid1(VALU_DEP_4)
	v_subrev_co_ci_u32_e64 v2, null, 0, v2, vcc_lo
	v_div_scale_f64 v[62:63], vcc_lo, v[10:11], v[42:43], v[10:11]
	v_rcp_f64_e32 v[50:51], v[48:49]
	v_add_f64_e32 v[56:57], -1.0, v[48:49]
	s_delay_alu instid0(VALU_DEP_1) | instskip(NEXT) | instid1(TRANS32_DEP_1)
	v_add_f64_e64 v[46:47], v[46:47], -v[56:57]
	v_fma_f64 v[52:53], -v[48:49], v[50:51], 1.0
	s_delay_alu instid0(VALU_DEP_1) | instskip(NEXT) | instid1(VALU_DEP_1)
	v_fmac_f64_e32 v[50:51], v[52:53], v[50:51]
	v_fma_f64 v[52:53], -v[48:49], v[50:51], 1.0
	s_delay_alu instid0(VALU_DEP_1) | instskip(NEXT) | instid1(VALU_DEP_1)
	v_fmac_f64_e32 v[50:51], v[52:53], v[50:51]
	v_mul_f64_e32 v[52:53], v[54:55], v[50:51]
	s_delay_alu instid0(VALU_DEP_1) | instskip(NEXT) | instid1(VALU_DEP_1)
	v_mul_f64_e32 v[58:59], v[48:49], v[52:53]
	v_fma_f64 v[48:49], v[52:53], v[48:49], -v[58:59]
	s_delay_alu instid0(VALU_DEP_1) | instskip(NEXT) | instid1(VALU_DEP_1)
	v_fmac_f64_e32 v[48:49], v[52:53], v[46:47]
	v_add_f64_e32 v[46:47], v[58:59], v[48:49]
	s_delay_alu instid0(VALU_DEP_1) | instskip(SKIP_1) | instid1(VALU_DEP_2)
	v_add_f64_e64 v[56:57], v[54:55], -v[46:47]
	v_add_f64_e64 v[58:59], v[46:47], -v[58:59]
	;; [unrolled: 1-line block ×3, first 2 shown]
	s_delay_alu instid0(VALU_DEP_2) | instskip(NEXT) | instid1(VALU_DEP_2)
	v_add_f64_e64 v[48:49], v[58:59], -v[48:49]
	v_add_f64_e64 v[46:47], v[54:55], -v[46:47]
	s_delay_alu instid0(VALU_DEP_1) | instskip(NEXT) | instid1(VALU_DEP_1)
	v_add_f64_e32 v[46:47], v[48:49], v[46:47]
	v_add_f64_e32 v[46:47], v[56:57], v[46:47]
	s_delay_alu instid0(VALU_DEP_1) | instskip(SKIP_1) | instid1(VALU_DEP_2)
	v_mul_f64_e32 v[40:41], v[50:51], v[46:47]
	v_div_scale_f64 v[46:47], null, v[42:43], v[42:43], v[10:11]
	v_add_f64_e32 v[48:49], v[52:53], v[40:41]
	s_delay_alu instid0(VALU_DEP_2) | instskip(NEXT) | instid1(VALU_DEP_1)
	v_rcp_f64_e32 v[50:51], v[46:47]
	v_mul_f64_e32 v[54:55], v[48:49], v[48:49]
	s_delay_alu instid0(TRANS32_DEP_1) | instskip(NEXT) | instid1(VALU_DEP_2)
	v_fma_f64 v[58:59], -v[46:47], v[50:51], 1.0
	v_fmamk_f64 v[56:57], v[54:55], 0x3fc3ab76bf559e2b, v[24:25]
	v_mul_f64_e32 v[60:61], v[48:49], v[54:55]
	s_delay_alu instid0(VALU_DEP_3) | instskip(NEXT) | instid1(VALU_DEP_3)
	v_fmac_f64_e32 v[50:51], v[50:51], v[58:59]
	v_fmaak_f64 v[56:57], v[54:55], v[56:57], 0x3fc7474dd7f4df2e
	s_delay_alu instid0(VALU_DEP_1) | instskip(NEXT) | instid1(VALU_DEP_1)
	v_fmaak_f64 v[56:57], v[54:55], v[56:57], 0x3fcc71c016291751
	v_fmaak_f64 v[56:57], v[54:55], v[56:57], 0x3fd249249b27acf1
	s_delay_alu instid0(VALU_DEP_1) | instskip(NEXT) | instid1(VALU_DEP_1)
	v_fmaak_f64 v[56:57], v[54:55], v[56:57], 0x3fd99999998ef7b6
	v_fmaak_f64 v[54:55], v[54:55], v[56:57], 0x3fe5555555555780
	v_ldexp_f64 v[56:57], v[48:49], 1
	v_add_f64_e64 v[48:49], v[48:49], -v[52:53]
	v_fma_f64 v[58:59], -v[46:47], v[50:51], 1.0
	s_delay_alu instid0(VALU_DEP_4) | instskip(SKIP_1) | instid1(VALU_DEP_4)
	v_mul_f64_e32 v[54:55], v[60:61], v[54:55]
	v_cvt_f64_i32_e32 v[60:61], v2
	v_add_f64_e64 v[40:41], v[40:41], -v[48:49]
	s_delay_alu instid0(VALU_DEP_4) | instskip(NEXT) | instid1(VALU_DEP_4)
	v_fmac_f64_e32 v[50:51], v[50:51], v[58:59]
	v_add_f64_e32 v[52:53], v[56:57], v[54:55]
	s_delay_alu instid0(VALU_DEP_4) | instskip(NEXT) | instid1(VALU_DEP_4)
	v_mul_f64_e32 v[58:59], 0x3fe62e42fefa39ef, v[60:61]
	v_ldexp_f64 v[40:41], v[40:41], 1
	s_delay_alu instid0(VALU_DEP_3) | instskip(SKIP_1) | instid1(VALU_DEP_4)
	v_add_f64_e64 v[48:49], v[52:53], -v[56:57]
	v_mul_f64_e32 v[56:57], v[62:63], v[50:51]
	v_fma_f64 v[64:65], v[60:61], s[34:35], -v[58:59]
	s_delay_alu instid0(VALU_DEP_3) | instskip(NEXT) | instid1(VALU_DEP_3)
	v_add_f64_e64 v[48:49], v[54:55], -v[48:49]
	v_fma_f64 v[46:47], -v[46:47], v[56:57], v[62:63]
	s_delay_alu instid0(VALU_DEP_3) | instskip(NEXT) | instid1(VALU_DEP_3)
	v_fmac_f64_e32 v[64:65], 0x3c7abc9e3b39803f, v[60:61]
	v_add_f64_e32 v[40:41], v[40:41], v[48:49]
	s_delay_alu instid0(VALU_DEP_3) | instskip(NEXT) | instid1(VALU_DEP_3)
	v_div_fmas_f64 v[46:47], v[46:47], v[50:51], v[56:57]
	v_add_f64_e32 v[48:49], v[58:59], v[64:65]
	v_cmp_gt_i32_e32 vcc_lo, 0, v3
	v_cndmask_b32_e32 v21, 0x54442d18, v68, vcc_lo
	v_add_f64_e32 v[50:51], v[52:53], v[40:41]
	v_div_fixup_f64 v[10:11], v[46:47], v[42:43], v[10:11]
	v_add_f64_e64 v[58:59], v[48:49], -v[58:59]
	s_delay_alu instid0(VALU_DEP_3) | instskip(NEXT) | instid1(VALU_DEP_3)
	v_add_f64_e32 v[42:43], v[48:49], v[50:51]
	v_mul_f64_e32 v[46:47], v[10:11], v[10:11]
	v_add_f64_e64 v[52:53], v[50:51], -v[52:53]
	s_delay_alu instid0(VALU_DEP_4) | instskip(NEXT) | instid1(VALU_DEP_4)
	v_add_f64_e64 v[58:59], v[64:65], -v[58:59]
	v_add_f64_e64 v[54:55], v[42:43], -v[48:49]
	s_delay_alu instid0(VALU_DEP_4) | instskip(NEXT) | instid1(VALU_DEP_4)
	v_fmamk_f64 v[56:57], v[46:47], 0x3eeba404b5e68a13, v[26:27]
	v_add_f64_e64 v[40:41], v[40:41], -v[52:53]
	s_delay_alu instid0(VALU_DEP_2) | instskip(NEXT) | instid1(VALU_DEP_1)
	v_fmaak_f64 v[56:57], v[46:47], v[56:57], 0x3f4b2bb069efb384
	v_fmaak_f64 v[56:57], v[46:47], v[56:57], 0xbf67952daf56de9b
	s_delay_alu instid0(VALU_DEP_1) | instskip(NEXT) | instid1(VALU_DEP_1)
	v_fmaak_f64 v[56:57], v[46:47], v[56:57], 0x3f7d6d43a595c56f
	v_fmaak_f64 v[56:57], v[46:47], v[56:57], 0xbf8c6ea4a57d9582
	v_add_f64_e64 v[60:61], v[42:43], -v[54:55]
	v_add_f64_e64 v[50:51], v[50:51], -v[54:55]
	v_add_f64_e32 v[54:55], v[58:59], v[40:41]
	s_delay_alu instid0(VALU_DEP_4) | instskip(NEXT) | instid1(VALU_DEP_1)
	v_fmaak_f64 v[56:57], v[46:47], v[56:57], 0x3f967e295f08b19f
	v_fmaak_f64 v[52:53], v[46:47], v[56:57], 0xbf9e9ae6fc27006a
	s_delay_alu instid0(VALU_DEP_1) | instskip(NEXT) | instid1(VALU_DEP_1)
	v_fmaak_f64 v[52:53], v[46:47], v[52:53], 0x3fa2c15b5711927a
	v_fmaak_f64 v[52:53], v[46:47], v[52:53], 0xbfa59976e82d3ff0
	s_delay_alu instid0(VALU_DEP_1) | instskip(SKIP_1) | instid1(VALU_DEP_2)
	v_fmaak_f64 v[52:53], v[46:47], v[52:53], 0x3fa82d5d6ef28734
	v_add_f64_e64 v[48:49], v[48:49], -v[60:61]
	v_fmaak_f64 v[52:53], v[46:47], v[52:53], 0xbfaae5ce6a214619
	s_delay_alu instid0(VALU_DEP_2) | instskip(NEXT) | instid1(VALU_DEP_2)
	v_add_f64_e32 v[48:49], v[50:51], v[48:49]
	v_fmaak_f64 v[50:51], v[46:47], v[52:53], 0x3fae1bb48427b883
	v_add_f64_e64 v[52:53], v[54:55], -v[58:59]
	s_delay_alu instid0(VALU_DEP_2) | instskip(NEXT) | instid1(VALU_DEP_1)
	v_fmaak_f64 v[50:51], v[46:47], v[50:51], 0xbfb110e48b207f05
	v_fmaak_f64 v[50:51], v[46:47], v[50:51], 0x3fb3b13657b87036
	s_delay_alu instid0(VALU_DEP_1) | instskip(NEXT) | instid1(VALU_DEP_1)
	v_fmaak_f64 v[50:51], v[46:47], v[50:51], 0xbfb745d119378e4f
	v_fmaak_f64 v[50:51], v[46:47], v[50:51], 0x3fbc71c717e1913c
	v_add_f64_e32 v[48:49], v[54:55], v[48:49]
	v_add_f64_e64 v[40:41], v[40:41], -v[52:53]
	s_delay_alu instid0(VALU_DEP_3) | instskip(NEXT) | instid1(VALU_DEP_1)
	v_fmaak_f64 v[50:51], v[46:47], v[50:51], 0xbfc2492492376b7d
	v_fmaak_f64 v[50:51], v[46:47], v[50:51], 0x3fc99999999952cc
	s_delay_alu instid0(VALU_DEP_1) | instskip(NEXT) | instid1(VALU_DEP_1)
	v_fmaak_f64 v[50:51], v[46:47], v[50:51], 0xbfd5555555555523
	v_mul_f64_e32 v[46:47], v[46:47], v[50:51]
	v_add_f64_e64 v[50:51], v[54:55], -v[52:53]
	v_add_f64_e32 v[54:55], v[42:43], v[48:49]
	s_delay_alu instid0(VALU_DEP_3) | instskip(NEXT) | instid1(VALU_DEP_3)
	v_fmac_f64_e32 v[10:11], v[10:11], v[46:47]
	v_add_f64_e64 v[46:47], v[58:59], -v[50:51]
	s_delay_alu instid0(VALU_DEP_3) | instskip(NEXT) | instid1(VALU_DEP_3)
	v_add_f64_e64 v[42:43], v[54:55], -v[42:43]
	v_add_f64_e64 v[50:51], -v[10:11], s[40:41]
	s_delay_alu instid0(VALU_DEP_3) | instskip(SKIP_4) | instid1(VALU_DEP_2)
	v_add_f64_e32 v[40:41], v[40:41], v[46:47]
	v_and_b32_e32 v46, 0x54442d18, v12
	v_and_b32_e32 v12, 0x400921fb, v12
	v_add_f64_e64 v[42:43], v[48:49], -v[42:43]
	v_dual_cndmask_b32 v11, v11, v51, s6 :: v_dual_cndmask_b32 v10, v10, v50, s6
	v_add_f64_e32 v[40:41], v[40:41], v[42:43]
	s_delay_alu instid0(VALU_DEP_2) | instskip(NEXT) | instid1(VALU_DEP_2)
	v_add_f64_e64 v[42:43], -v[10:11], s[42:43]
	v_add_f64_e32 v[2:3], v[54:55], v[40:41]
	s_delay_alu instid0(VALU_DEP_2) | instskip(SKIP_1) | instid1(VALU_DEP_4)
	v_cndmask_b32_e32 v10, v10, v42, vcc_lo
	v_cndmask_b32_e32 v40, 0x3fe921fb, v69, vcc_lo
	;; [unrolled: 1-line block ×3, first 2 shown]
	v_cmp_ngt_f64_e32 vcc_lo, 0, v[44:45]
	s_delay_alu instid0(VALU_DEP_4) | instskip(NEXT) | instid1(VALU_DEP_4)
	v_cndmask_b32_e64 v42, v10, v46, s8
	v_bfi_b32 v40, 0x7fffffff, v40, v5
	s_delay_alu instid0(VALU_DEP_4) | instskip(SKIP_2) | instid1(VALU_DEP_2)
	v_cndmask_b32_e64 v10, v11, v12, s8
	v_dual_cndmask_b32 v2, v2, v44, s7 :: v_dual_cndmask_b32 v3, v3, v45, s7
	v_cmp_nge_f64_e64 s7, 0, v[44:45]
	v_cndmask_b32_e32 v3, 0x7ff80000, v3, vcc_lo
	s_and_b32 vcc_lo, s11, s10
	v_cndmask_b32_e32 v41, v10, v40, vcc_lo
	v_dual_cndmask_b32 v40, v42, v21, vcc_lo :: v_dual_cndmask_b32 v10, 0, v2, s7
	v_cmp_neq_f64_e64 s7, 0, v[44:45]
	s_delay_alu instid0(VALU_DEP_1)
	v_cndmask_b32_e64 v11, 0xfff00000, v3, s7
.LBB197_63:                             ;   in Loop: Header=BB197_4 Depth=1
	s_or_b32 exec_lo, exec_lo, s9
                                        ; implicit-def: $vgpr44_vgpr45
.LBB197_64:                             ;   in Loop: Header=BB197_4 Depth=1
	s_and_not1_saveexec_b32 s9, s54
	s_cbranch_execz .LBB197_70
; %bb.65:                               ;   in Loop: Header=BB197_4 Depth=1
                                        ; implicit-def: $vgpr10_vgpr11
                                        ; implicit-def: $vgpr40_vgpr41
	s_mov_b32 s7, exec_lo
	v_cmpx_ngt_f64_e32 s[46:47], v[44:45]
	s_xor_b32 s10, exec_lo, s7
	s_cbranch_execz .LBB197_67
; %bb.66:                               ;   in Loop: Header=BB197_4 Depth=1
	v_mul_f64_e32 v[10:11], v[44:45], v[44:45]
	v_cmp_eq_f64_e64 s7, 0, v[4:5]
	v_cmp_class_f64_e64 s11, v[4:5], 0x204
	v_cmp_class_f64_e64 s12, v[2:3], 0x204
	s_delay_alu instid0(VALU_DEP_4) | instskip(NEXT) | instid1(VALU_DEP_1)
	v_add_f64_e32 v[40:41], 1.0, v[10:11]
	v_frexp_mant_f64_e32 v[42:43], v[40:41]
	v_frexp_exp_i32_f64_e32 v12, v[40:41]
	s_delay_alu instid0(VALU_DEP_2) | instskip(NEXT) | instid1(VALU_DEP_2)
	v_cmp_gt_f64_e32 vcc_lo, s[30:31], v[42:43]
	v_subrev_co_ci_u32_e64 v12, null, 0, v12, vcc_lo
	s_delay_alu instid0(VALU_DEP_1) | instskip(SKIP_1) | instid1(VALU_DEP_1)
	v_sub_nc_u32_e32 v21, 0, v12
	v_add_f64_e32 v[44:45], -1.0, v[40:41]
	v_add_f64_e64 v[42:43], v[44:45], -v[40:41]
	s_delay_alu instid0(VALU_DEP_3) | instskip(SKIP_1) | instid1(VALU_DEP_3)
	v_ldexp_f64 v[40:41], v[40:41], v21
	v_add_f64_e64 v[44:45], v[10:11], -v[44:45]
	v_add_f64_e32 v[42:43], 1.0, v[42:43]
	s_delay_alu instid0(VALU_DEP_3) | instskip(SKIP_1) | instid1(VALU_DEP_3)
	v_add_f64_e32 v[46:47], 1.0, v[40:41]
	v_add_f64_e32 v[52:53], -1.0, v[40:41]
	v_add_f64_e32 v[42:43], v[44:45], v[42:43]
	s_delay_alu instid0(VALU_DEP_3) | instskip(NEXT) | instid1(VALU_DEP_3)
	v_add_f64_e32 v[44:45], -1.0, v[46:47]
	v_add_f64_e32 v[54:55], 1.0, v[52:53]
	s_delay_alu instid0(VALU_DEP_3) | instskip(NEXT) | instid1(VALU_DEP_3)
	v_ldexp_f64 v[42:43], v[42:43], v21
	v_add_f64_e64 v[44:45], v[40:41], -v[44:45]
	s_delay_alu instid0(VALU_DEP_3) | instskip(NEXT) | instid1(VALU_DEP_2)
	v_add_f64_e64 v[40:41], v[40:41], -v[54:55]
	v_add_f64_e32 v[44:45], v[42:43], v[44:45]
	s_delay_alu instid0(VALU_DEP_2) | instskip(NEXT) | instid1(VALU_DEP_2)
	v_add_f64_e32 v[40:41], v[42:43], v[40:41]
	v_add_f64_e32 v[48:49], v[46:47], v[44:45]
	s_delay_alu instid0(VALU_DEP_2) | instskip(NEXT) | instid1(VALU_DEP_2)
	v_add_f64_e32 v[54:55], v[52:53], v[40:41]
	v_rcp_f64_e32 v[50:51], v[48:49]
	v_add_f64_e64 v[46:47], v[46:47], -v[48:49]
	s_delay_alu instid0(VALU_DEP_2) | instskip(NEXT) | instid1(VALU_DEP_2)
	v_add_f64_e64 v[52:53], v[52:53], -v[54:55]
	v_add_f64_e32 v[44:45], v[44:45], v[46:47]
	s_delay_alu instid0(VALU_DEP_2) | instskip(NEXT) | instid1(TRANS32_DEP_1)
	v_add_f64_e32 v[40:41], v[40:41], v[52:53]
	v_fma_f64 v[56:57], -v[48:49], v[50:51], 1.0
	s_delay_alu instid0(VALU_DEP_1) | instskip(NEXT) | instid1(VALU_DEP_1)
	v_fmac_f64_e32 v[50:51], v[56:57], v[50:51]
	v_fma_f64 v[42:43], -v[48:49], v[50:51], 1.0
	s_delay_alu instid0(VALU_DEP_1) | instskip(NEXT) | instid1(VALU_DEP_1)
	v_fmac_f64_e32 v[50:51], v[42:43], v[50:51]
	v_mul_f64_e32 v[42:43], v[54:55], v[50:51]
	s_delay_alu instid0(VALU_DEP_1) | instskip(NEXT) | instid1(VALU_DEP_1)
	v_mul_f64_e32 v[56:57], v[48:49], v[42:43]
	v_fma_f64 v[46:47], v[42:43], v[48:49], -v[56:57]
	s_delay_alu instid0(VALU_DEP_1) | instskip(NEXT) | instid1(VALU_DEP_1)
	v_fmac_f64_e32 v[46:47], v[42:43], v[44:45]
	v_add_f64_e32 v[58:59], v[56:57], v[46:47]
	s_delay_alu instid0(VALU_DEP_1) | instskip(SKIP_1) | instid1(VALU_DEP_2)
	v_add_f64_e64 v[60:61], v[54:55], -v[58:59]
	v_add_f64_e64 v[52:53], v[58:59], -v[56:57]
	;; [unrolled: 1-line block ×3, first 2 shown]
	s_delay_alu instid0(VALU_DEP_2) | instskip(NEXT) | instid1(VALU_DEP_2)
	v_add_f64_e64 v[46:47], v[52:53], -v[46:47]
	v_add_f64_e64 v[54:55], v[54:55], -v[58:59]
	s_delay_alu instid0(VALU_DEP_1) | instskip(NEXT) | instid1(VALU_DEP_1)
	v_add_f64_e32 v[40:41], v[40:41], v[54:55]
	v_add_f64_e32 v[40:41], v[46:47], v[40:41]
	s_delay_alu instid0(VALU_DEP_1) | instskip(NEXT) | instid1(VALU_DEP_1)
	v_add_f64_e32 v[46:47], v[60:61], v[40:41]
	v_mul_f64_e32 v[52:53], v[50:51], v[46:47]
	v_add_f64_e64 v[58:59], v[60:61], -v[46:47]
	s_delay_alu instid0(VALU_DEP_2) | instskip(NEXT) | instid1(VALU_DEP_2)
	v_mul_f64_e32 v[54:55], v[48:49], v[52:53]
	v_add_f64_e32 v[40:41], v[40:41], v[58:59]
	s_delay_alu instid0(VALU_DEP_2) | instskip(NEXT) | instid1(VALU_DEP_1)
	v_fma_f64 v[48:49], v[52:53], v[48:49], -v[54:55]
	v_fmac_f64_e32 v[48:49], v[52:53], v[44:45]
	s_delay_alu instid0(VALU_DEP_1) | instskip(NEXT) | instid1(VALU_DEP_1)
	v_add_f64_e32 v[44:45], v[54:55], v[48:49]
	v_add_f64_e64 v[56:57], v[46:47], -v[44:45]
	v_add_f64_e64 v[54:55], v[44:45], -v[54:55]
	s_delay_alu instid0(VALU_DEP_2) | instskip(NEXT) | instid1(VALU_DEP_1)
	v_add_f64_e64 v[46:47], v[46:47], -v[56:57]
	v_add_f64_e64 v[44:45], v[46:47], -v[44:45]
	s_delay_alu instid0(VALU_DEP_3) | instskip(SKIP_1) | instid1(VALU_DEP_3)
	v_add_f64_e64 v[46:47], v[54:55], -v[48:49]
	v_max_num_f64_e64 v[48:49], |v[2:3]|, |v[2:3]|
	v_add_f64_e32 v[40:41], v[40:41], v[44:45]
	v_add_f64_e32 v[44:45], v[42:43], v[52:53]
	s_delay_alu instid0(VALU_DEP_2) | instskip(NEXT) | instid1(VALU_DEP_2)
	v_add_f64_e32 v[40:41], v[46:47], v[40:41]
	v_add_f64_e64 v[42:43], v[44:45], -v[42:43]
	v_max_num_f64_e64 v[46:47], |v[4:5]|, |v[4:5]|
	s_delay_alu instid0(VALU_DEP_3) | instskip(NEXT) | instid1(VALU_DEP_3)
	v_add_f64_e32 v[40:41], v[56:57], v[40:41]
	v_add_f64_e64 v[42:43], v[52:53], -v[42:43]
	s_delay_alu instid0(VALU_DEP_2) | instskip(NEXT) | instid1(VALU_DEP_1)
	v_mul_f64_e32 v[40:41], v[50:51], v[40:41]
	v_add_f64_e32 v[40:41], v[42:43], v[40:41]
	v_max_num_f64_e32 v[42:43], v[48:49], v[46:47]
	v_min_num_f64_e32 v[46:47], v[48:49], v[46:47]
	s_delay_alu instid0(VALU_DEP_3) | instskip(NEXT) | instid1(VALU_DEP_2)
	v_add_f64_e32 v[48:49], v[44:45], v[40:41]
	v_div_scale_f64 v[50:51], null, v[42:43], v[42:43], v[46:47]
	s_delay_alu instid0(VALU_DEP_2) | instskip(SKIP_1) | instid1(VALU_DEP_3)
	v_mul_f64_e32 v[52:53], v[48:49], v[48:49]
	v_add_f64_e64 v[44:45], v[48:49], -v[44:45]
	v_rcp_f64_e32 v[54:55], v[50:51]
	s_delay_alu instid0(VALU_DEP_2) | instskip(SKIP_1) | instid1(VALU_DEP_3)
	v_fmamk_f64 v[56:57], v[52:53], 0x3fc3ab76bf559e2b, v[24:25]
	v_mul_f64_e32 v[58:59], v[48:49], v[52:53]
	v_add_f64_e64 v[40:41], v[40:41], -v[44:45]
	s_delay_alu instid0(VALU_DEP_3) | instskip(NEXT) | instid1(TRANS32_DEP_1)
	v_fmaak_f64 v[56:57], v[52:53], v[56:57], 0x3fc7474dd7f4df2e
	v_fma_f64 v[60:61], -v[50:51], v[54:55], 1.0
	s_delay_alu instid0(VALU_DEP_2) | instskip(NEXT) | instid1(VALU_DEP_1)
	v_fmaak_f64 v[56:57], v[52:53], v[56:57], 0x3fcc71c016291751
	v_fmaak_f64 v[56:57], v[52:53], v[56:57], 0x3fd249249b27acf1
	s_delay_alu instid0(VALU_DEP_1) | instskip(SKIP_1) | instid1(VALU_DEP_2)
	v_fmaak_f64 v[56:57], v[52:53], v[56:57], 0x3fd99999998ef7b6
	v_ldexp_f64 v[40:41], v[40:41], 1
	v_fmaak_f64 v[52:53], v[52:53], v[56:57], 0x3fe5555555555780
	v_ldexp_f64 v[56:57], v[48:49], 1
	v_fmac_f64_e32 v[54:55], v[54:55], v[60:61]
	s_delay_alu instid0(VALU_DEP_3) | instskip(SKIP_2) | instid1(VALU_DEP_4)
	v_mul_f64_e32 v[52:53], v[58:59], v[52:53]
	v_cvt_f64_i32_e32 v[58:59], v12
	v_ashrrev_i32_e32 v12, 31, v3
	v_fma_f64 v[60:61], -v[50:51], v[54:55], 1.0
	s_delay_alu instid0(VALU_DEP_4) | instskip(NEXT) | instid1(VALU_DEP_4)
	v_add_f64_e32 v[48:49], v[56:57], v[52:53]
	v_mul_f64_e32 v[62:63], 0x3fe62e42fefa39ef, v[58:59]
	s_delay_alu instid0(VALU_DEP_3) | instskip(NEXT) | instid1(VALU_DEP_3)
	v_fmac_f64_e32 v[54:55], v[54:55], v[60:61]
	v_add_f64_e64 v[44:45], v[48:49], -v[56:57]
	v_div_scale_f64 v[56:57], vcc_lo, v[46:47], v[42:43], v[46:47]
	s_delay_alu instid0(VALU_DEP_4) | instskip(NEXT) | instid1(VALU_DEP_3)
	v_fma_f64 v[60:61], v[58:59], s[34:35], -v[62:63]
	v_add_f64_e64 v[44:45], v[52:53], -v[44:45]
	s_delay_alu instid0(VALU_DEP_3) | instskip(NEXT) | instid1(VALU_DEP_3)
	v_mul_f64_e32 v[52:53], v[56:57], v[54:55]
	v_fmac_f64_e32 v[60:61], 0x3c7abc9e3b39803f, v[58:59]
	s_delay_alu instid0(VALU_DEP_3) | instskip(NEXT) | instid1(VALU_DEP_3)
	v_add_f64_e32 v[40:41], v[40:41], v[44:45]
	v_fma_f64 v[44:45], -v[50:51], v[52:53], v[56:57]
	s_delay_alu instid0(VALU_DEP_3) | instskip(NEXT) | instid1(VALU_DEP_3)
	v_add_f64_e32 v[50:51], v[62:63], v[60:61]
	v_add_f64_e32 v[56:57], v[48:49], v[40:41]
	s_delay_alu instid0(VALU_DEP_3) | instskip(SKIP_1) | instid1(VALU_DEP_4)
	v_div_fmas_f64 v[44:45], v[44:45], v[54:55], v[52:53]
	v_cmp_gt_i32_e32 vcc_lo, 0, v3
	v_add_f64_e64 v[54:55], v[50:51], -v[62:63]
	v_cndmask_b32_e32 v21, 0x54442d18, v68, vcc_lo
	v_add_f64_e32 v[52:53], v[50:51], v[56:57]
	v_div_fixup_f64 v[42:43], v[44:45], v[42:43], v[46:47]
	v_add_f64_e64 v[48:49], v[56:57], -v[48:49]
	v_add_f64_e64 v[54:55], v[60:61], -v[54:55]
	s_delay_alu instid0(VALU_DEP_4) | instskip(NEXT) | instid1(VALU_DEP_4)
	v_add_f64_e64 v[44:45], v[52:53], -v[50:51]
	v_mul_f64_e32 v[46:47], v[42:43], v[42:43]
	s_delay_alu instid0(VALU_DEP_4) | instskip(NEXT) | instid1(VALU_DEP_3)
	v_add_f64_e64 v[40:41], v[40:41], -v[48:49]
	v_add_f64_e64 v[58:59], v[52:53], -v[44:45]
	s_delay_alu instid0(VALU_DEP_3) | instskip(SKIP_1) | instid1(VALU_DEP_4)
	v_fmamk_f64 v[62:63], v[46:47], 0x3eeba404b5e68a13, v[26:27]
	v_add_f64_e64 v[44:45], v[56:57], -v[44:45]
	v_add_f64_e32 v[56:57], v[54:55], v[40:41]
	s_delay_alu instid0(VALU_DEP_3) | instskip(NEXT) | instid1(VALU_DEP_1)
	v_fmaak_f64 v[62:63], v[46:47], v[62:63], 0x3f4b2bb069efb384
	v_fmaak_f64 v[62:63], v[46:47], v[62:63], 0xbf67952daf56de9b
	v_add_f64_e64 v[48:49], v[50:51], -v[58:59]
	s_delay_alu instid0(VALU_DEP_2) | instskip(NEXT) | instid1(VALU_DEP_1)
	v_fmaak_f64 v[50:51], v[46:47], v[62:63], 0x3f7d6d43a595c56f
	v_fmaak_f64 v[50:51], v[46:47], v[50:51], 0xbf8c6ea4a57d9582
	s_delay_alu instid0(VALU_DEP_1) | instskip(NEXT) | instid1(VALU_DEP_1)
	v_fmaak_f64 v[50:51], v[46:47], v[50:51], 0x3f967e295f08b19f
	v_fmaak_f64 v[50:51], v[46:47], v[50:51], 0xbf9e9ae6fc27006a
	s_delay_alu instid0(VALU_DEP_1) | instskip(SKIP_1) | instid1(VALU_DEP_2)
	v_fmaak_f64 v[50:51], v[46:47], v[50:51], 0x3fa2c15b5711927a
	v_add_f64_e32 v[44:45], v[44:45], v[48:49]
	v_fmaak_f64 v[48:49], v[46:47], v[50:51], 0xbfa59976e82d3ff0
	v_add_f64_e64 v[50:51], v[56:57], -v[54:55]
	s_delay_alu instid0(VALU_DEP_2) | instskip(NEXT) | instid1(VALU_DEP_1)
	v_fmaak_f64 v[48:49], v[46:47], v[48:49], 0x3fa82d5d6ef28734
	v_fmaak_f64 v[48:49], v[46:47], v[48:49], 0xbfaae5ce6a214619
	s_delay_alu instid0(VALU_DEP_1) | instskip(NEXT) | instid1(VALU_DEP_1)
	v_fmaak_f64 v[48:49], v[46:47], v[48:49], 0x3fae1bb48427b883
	v_fmaak_f64 v[48:49], v[46:47], v[48:49], 0xbfb110e48b207f05
	v_add_f64_e32 v[44:45], v[56:57], v[44:45]
	v_add_f64_e64 v[56:57], v[56:57], -v[50:51]
	v_add_f64_e64 v[40:41], v[40:41], -v[50:51]
	s_delay_alu instid0(VALU_DEP_4) | instskip(NEXT) | instid1(VALU_DEP_1)
	v_fmaak_f64 v[48:49], v[46:47], v[48:49], 0x3fb3b13657b87036
	v_fmaak_f64 v[48:49], v[46:47], v[48:49], 0xbfb745d119378e4f
	s_delay_alu instid0(VALU_DEP_1) | instskip(NEXT) | instid1(VALU_DEP_1)
	v_fmaak_f64 v[48:49], v[46:47], v[48:49], 0x3fbc71c717e1913c
	v_fmaak_f64 v[48:49], v[46:47], v[48:49], 0xbfc2492492376b7d
	v_add_f64_e32 v[58:59], v[52:53], v[44:45]
	s_delay_alu instid0(VALU_DEP_2) | instskip(NEXT) | instid1(VALU_DEP_1)
	v_fmaak_f64 v[48:49], v[46:47], v[48:49], 0x3fc99999999952cc
	v_fmaak_f64 v[48:49], v[46:47], v[48:49], 0xbfd5555555555523
	s_delay_alu instid0(VALU_DEP_1) | instskip(SKIP_2) | instid1(VALU_DEP_3)
	v_mul_f64_e32 v[46:47], v[46:47], v[48:49]
	v_add_f64_e64 v[48:49], v[54:55], -v[56:57]
	v_add_f64_e64 v[50:51], v[58:59], -v[52:53]
	v_fmac_f64_e32 v[42:43], v[42:43], v[46:47]
	s_delay_alu instid0(VALU_DEP_3) | instskip(NEXT) | instid1(VALU_DEP_3)
	v_add_f64_e32 v[40:41], v[40:41], v[48:49]
	v_add_f64_e64 v[44:45], v[44:45], -v[50:51]
	s_delay_alu instid0(VALU_DEP_3) | instskip(NEXT) | instid1(VALU_DEP_1)
	v_add_f64_e64 v[46:47], -v[42:43], s[40:41]
	v_dual_add_f64 v[40:41], v[40:41], v[44:45] :: v_dual_cndmask_b32 v43, v43, v47, s6
	s_delay_alu instid0(VALU_DEP_2)
	v_cndmask_b32_e64 v42, v42, v46, s6
	v_cmp_neq_f64_e64 s8, 0x7ff00000, v[10:11]
	v_and_b32_e32 v46, 0x54442d18, v12
	v_cndmask_b32_e32 v10, 0x3fe921fb, v69, vcc_lo
	v_and_b32_e32 v11, 0x400921fb, v12
	v_add_f64_e64 v[44:45], -v[42:43], s[42:43]
	s_delay_alu instid0(VALU_DEP_3) | instskip(SKIP_1) | instid1(VALU_DEP_3)
	v_bfi_b32 v10, 0x7fffffff, v10, v5
	v_add_f64_e32 v[40:41], v[58:59], v[40:41]
	v_dual_cndmask_b32 v42, v42, v44, vcc_lo :: v_dual_cndmask_b32 v12, v43, v45, vcc_lo
	s_and_b32 vcc_lo, s11, s12
                                        ; implicit-def: $vgpr44_vgpr45
	s_delay_alu instid0(VALU_DEP_1) | instskip(NEXT) | instid1(VALU_DEP_2)
	v_dual_mul_f64 v[2:3], 0.5, v[40:41] :: v_dual_cndmask_b32 v11, v12, v11, s7
	v_cndmask_b32_e64 v40, v42, v46, s7
	s_delay_alu instid0(VALU_DEP_1) | instskip(NEXT) | instid1(VALU_DEP_3)
	v_dual_cndmask_b32 v41, v11, v10 :: v_dual_cndmask_b32 v40, v40, v21
	v_cndmask_b32_e64 v11, 0x7ff00000, v3, s8
	s_delay_alu instid0(VALU_DEP_4)
	v_cndmask_b32_e64 v10, 0, v2, s8
.LBB197_67:                             ;   in Loop: Header=BB197_4 Depth=1
	s_and_not1_saveexec_b32 s8, s10
	s_cbranch_execz .LBB197_69
; %bb.68:                               ;   in Loop: Header=BB197_4 Depth=1
	v_max_num_f64_e64 v[10:11], |v[4:5]|, |v[4:5]|
	v_max_num_f64_e64 v[40:41], |v[2:3]|, |v[2:3]|
	v_cmp_eq_f64_e64 s7, 0, v[4:5]
	v_cmp_class_f64_e64 s10, v[4:5], 0x204
	v_cmp_class_f64_e64 s11, v[2:3], 0x204
	v_ashrrev_i32_e32 v12, 31, v3
	v_max_num_f64_e32 v[42:43], v[40:41], v[10:11]
	v_min_num_f64_e32 v[10:11], v[40:41], v[10:11]
	s_delay_alu instid0(VALU_DEP_1) | instskip(SKIP_1) | instid1(VALU_DEP_2)
	v_div_scale_f64 v[40:41], null, v[42:43], v[42:43], v[10:11]
	v_div_scale_f64 v[50:51], vcc_lo, v[10:11], v[42:43], v[10:11]
	v_rcp_f64_e32 v[46:47], v[40:41]
	v_nop
	s_delay_alu instid0(TRANS32_DEP_1) | instskip(NEXT) | instid1(VALU_DEP_1)
	v_fma_f64 v[48:49], -v[40:41], v[46:47], 1.0
	v_fmac_f64_e32 v[46:47], v[46:47], v[48:49]
	s_delay_alu instid0(VALU_DEP_1) | instskip(NEXT) | instid1(VALU_DEP_1)
	v_fma_f64 v[48:49], -v[40:41], v[46:47], 1.0
	v_fmac_f64_e32 v[46:47], v[46:47], v[48:49]
	s_delay_alu instid0(VALU_DEP_1) | instskip(NEXT) | instid1(VALU_DEP_1)
	v_mul_f64_e32 v[48:49], v[50:51], v[46:47]
	v_fma_f64 v[40:41], -v[40:41], v[48:49], v[50:51]
	s_delay_alu instid0(VALU_DEP_1)
	v_div_fmas_f64 v[40:41], v[40:41], v[46:47], v[48:49]
	v_cmp_gt_i32_e32 vcc_lo, 0, v3
	v_and_b32_e32 v46, 0x54442d18, v12
	v_and_b32_e32 v3, 0x400921fb, v12
	v_cndmask_b32_e32 v2, 0x3fe921fb, v69, vcc_lo
	v_cndmask_b32_e32 v21, 0x54442d18, v68, vcc_lo
	s_delay_alu instid0(VALU_DEP_2) | instskip(SKIP_1) | instid1(VALU_DEP_1)
	v_bfi_b32 v2, 0x7fffffff, v2, v5
	v_div_fixup_f64 v[10:11], v[40:41], v[42:43], v[10:11]
	v_mul_f64_e32 v[40:41], v[10:11], v[10:11]
	s_delay_alu instid0(VALU_DEP_1) | instskip(NEXT) | instid1(VALU_DEP_1)
	v_fmamk_f64 v[42:43], v[40:41], 0x3eeba404b5e68a13, v[26:27]
	v_fmaak_f64 v[42:43], v[40:41], v[42:43], 0x3f4b2bb069efb384
	s_delay_alu instid0(VALU_DEP_1) | instskip(NEXT) | instid1(VALU_DEP_1)
	v_fmaak_f64 v[42:43], v[40:41], v[42:43], 0xbf67952daf56de9b
	v_fmaak_f64 v[42:43], v[40:41], v[42:43], 0x3f7d6d43a595c56f
	s_delay_alu instid0(VALU_DEP_1) | instskip(NEXT) | instid1(VALU_DEP_1)
	v_fmaak_f64 v[42:43], v[40:41], v[42:43], 0xbf8c6ea4a57d9582
	;; [unrolled: 3-line block ×9, first 2 shown]
	v_mul_f64_e32 v[40:41], v[40:41], v[42:43]
	s_delay_alu instid0(VALU_DEP_1) | instskip(NEXT) | instid1(VALU_DEP_1)
	v_fmac_f64_e32 v[10:11], v[10:11], v[40:41]
	v_add_f64_e64 v[40:41], -v[10:11], s[40:41]
	s_delay_alu instid0(VALU_DEP_1) | instskip(SKIP_1) | instid1(VALU_DEP_1)
	v_dual_cndmask_b32 v41, v11, v41, s6 :: v_dual_cndmask_b32 v40, v10, v40, s6
	v_mul_f64_e32 v[10:11], 0.5, v[44:45]
	v_mul_f64_e32 v[10:11], v[44:45], v[10:11]
	s_delay_alu instid0(VALU_DEP_3) | instskip(NEXT) | instid1(VALU_DEP_1)
	v_add_f64_e64 v[42:43], -v[40:41], s[42:43]
	v_dual_cndmask_b32 v40, v40, v42, vcc_lo :: v_dual_cndmask_b32 v12, v41, v43, vcc_lo
	s_and_b32 vcc_lo, s10, s11
	s_delay_alu instid0(VALU_DEP_1) | instskip(NEXT) | instid1(VALU_DEP_2)
	v_cndmask_b32_e64 v40, v40, v46, s7
	v_cndmask_b32_e64 v3, v12, v3, s7
	s_delay_alu instid0(VALU_DEP_1)
	v_dual_cndmask_b32 v40, v40, v21 :: v_dual_cndmask_b32 v41, v3, v2
.LBB197_69:                             ;   in Loop: Header=BB197_4 Depth=1
	s_or_b32 exec_lo, exec_lo, s8
.LBB197_70:                             ;   in Loop: Header=BB197_4 Depth=1
	s_delay_alu instid0(SALU_CYCLE_1)
	s_or_b32 exec_lo, exec_lo, s9
.LBB197_71:                             ;   in Loop: Header=BB197_4 Depth=1
	s_and_not1_saveexec_b32 s8, s33
	s_cbranch_execz .LBB197_73
; %bb.72:                               ;   in Loop: Header=BB197_4 Depth=1
	v_div_scale_f64 v[10:11], null, s[48:49], s[48:49], v[2:3]
	v_div_scale_f64 v[40:41], null, s[48:49], s[48:49], v[4:5]
	v_div_scale_f64 v[50:51], vcc_lo, v[2:3], s[48:49], v[2:3]
	s_delay_alu instid0(VALU_DEP_3) | instskip(NEXT) | instid1(VALU_DEP_2)
	v_rcp_f64_e32 v[42:43], v[10:11]
	v_rcp_f64_e32 v[44:45], v[40:41]
	s_delay_alu instid0(TRANS32_DEP_2) | instskip(NEXT) | instid1(TRANS32_DEP_1)
	v_fma_f64 v[46:47], -v[10:11], v[42:43], 1.0
	v_fma_f64 v[48:49], -v[40:41], v[44:45], 1.0
	s_delay_alu instid0(VALU_DEP_2) | instskip(NEXT) | instid1(VALU_DEP_2)
	v_fmac_f64_e32 v[42:43], v[42:43], v[46:47]
	v_fmac_f64_e32 v[44:45], v[44:45], v[48:49]
	s_delay_alu instid0(VALU_DEP_2) | instskip(NEXT) | instid1(VALU_DEP_2)
	v_fma_f64 v[46:47], -v[10:11], v[42:43], 1.0
	v_fma_f64 v[48:49], -v[40:41], v[44:45], 1.0
	s_delay_alu instid0(VALU_DEP_2) | instskip(SKIP_1) | instid1(VALU_DEP_3)
	v_fmac_f64_e32 v[42:43], v[42:43], v[46:47]
	v_div_scale_f64 v[46:47], s7, v[4:5], s[48:49], v[4:5]
	v_fmac_f64_e32 v[44:45], v[44:45], v[48:49]
	s_delay_alu instid0(VALU_DEP_3) | instskip(NEXT) | instid1(VALU_DEP_2)
	v_mul_f64_e32 v[48:49], v[50:51], v[42:43]
	v_mul_f64_e32 v[52:53], v[46:47], v[44:45]
	s_delay_alu instid0(VALU_DEP_2) | instskip(NEXT) | instid1(VALU_DEP_2)
	v_fma_f64 v[10:11], -v[10:11], v[48:49], v[50:51]
	v_fma_f64 v[40:41], -v[40:41], v[52:53], v[46:47]
	s_delay_alu instid0(VALU_DEP_2) | instskip(SKIP_1) | instid1(VALU_DEP_2)
	v_div_fmas_f64 v[10:11], v[10:11], v[42:43], v[48:49]
	s_mov_b32 vcc_lo, s7
	v_div_fmas_f64 v[40:41], v[40:41], v[44:45], v[52:53]
	s_delay_alu instid0(VALU_DEP_2) | instskip(NEXT) | instid1(VALU_DEP_2)
	v_div_fixup_f64 v[10:11], v[10:11], s[48:49], v[2:3]
	v_div_fixup_f64 v[40:41], v[40:41], s[48:49], v[4:5]
	s_delay_alu instid0(VALU_DEP_2) | instskip(NEXT) | instid1(VALU_DEP_2)
	v_cmp_class_f64_e64 s7, v[10:11], 0x204
	v_max_num_f64_e64 v[42:43], |v[10:11]|, |v[40:41]|
	v_cmp_class_f64_e64 s9, v[40:41], 0x204
	s_delay_alu instid0(VALU_DEP_2) | instskip(SKIP_2) | instid1(VALU_DEP_2)
	v_frexp_exp_i32_f64_e32 v12, v[42:43]
	s_or_b32 s7, s9, s7
	v_cmp_class_f64_e64 s9, v[2:3], 0x204
	v_sub_nc_u32_e32 v21, 0, v12
	s_delay_alu instid0(VALU_DEP_1) | instskip(SKIP_1) | instid1(VALU_DEP_2)
	v_ldexp_f64 v[42:43], |v[40:41]|, v21
	v_ldexp_f64 v[44:45], |v[10:11]|, v21
	v_mul_f64_e32 v[42:43], v[42:43], v[42:43]
	s_delay_alu instid0(VALU_DEP_1) | instskip(NEXT) | instid1(VALU_DEP_1)
	v_fmac_f64_e32 v[42:43], v[44:45], v[44:45]
	v_rsq_f64_e32 v[44:45], v[42:43]
	v_cmp_eq_f64_e32 vcc_lo, 0, v[42:43]
	s_delay_alu instid0(TRANS32_DEP_1) | instskip(SKIP_1) | instid1(VALU_DEP_1)
	v_mul_f64_e32 v[46:47], v[42:43], v[44:45]
	v_mul_f64_e32 v[44:45], 0.5, v[44:45]
	v_fma_f64 v[48:49], -v[44:45], v[46:47], 0.5
	s_delay_alu instid0(VALU_DEP_1) | instskip(SKIP_1) | instid1(VALU_DEP_2)
	v_fmac_f64_e32 v[46:47], v[46:47], v[48:49]
	v_fmac_f64_e32 v[44:45], v[44:45], v[48:49]
	v_fma_f64 v[48:49], -v[46:47], v[46:47], v[42:43]
	s_delay_alu instid0(VALU_DEP_1) | instskip(NEXT) | instid1(VALU_DEP_1)
	v_fmac_f64_e32 v[46:47], v[48:49], v[44:45]
	v_dual_cndmask_b32 v43, v47, v43 :: v_dual_cndmask_b32 v42, v46, v42
	v_cmp_o_f64_e32 vcc_lo, v[10:11], v[40:41]
	s_delay_alu instid0(VALU_DEP_2) | instskip(NEXT) | instid1(VALU_DEP_1)
	v_ldexp_f64 v[42:43], v[42:43], v12
	v_cndmask_b32_e32 v10, 0, v42, vcc_lo
	s_delay_alu instid0(VALU_DEP_2) | instskip(NEXT) | instid1(VALU_DEP_2)
	v_cndmask_b32_e32 v11, 0x7ff80000, v43, vcc_lo
	v_cndmask_b32_e64 v42, v10, 0, s7
	s_delay_alu instid0(VALU_DEP_2) | instskip(SKIP_1) | instid1(VALU_DEP_2)
	v_cndmask_b32_e64 v43, v11, 0x7ff00000, s7
	v_cmp_class_f64_e64 s7, v[4:5], 0x204
	v_frexp_mant_f64_e32 v[10:11], v[42:43]
	s_delay_alu instid0(VALU_DEP_1) | instskip(SKIP_1) | instid1(VALU_DEP_1)
	v_cmp_gt_f64_e32 vcc_lo, s[30:31], v[10:11]
	v_cndmask_b32_e64 v12, 0, 1, vcc_lo
	v_ldexp_f64 v[10:11], v[10:11], v12
	v_frexp_exp_i32_f64_e32 v12, v[42:43]
	s_delay_alu instid0(VALU_DEP_2) | instskip(SKIP_1) | instid1(VALU_DEP_3)
	v_add_f64_e32 v[40:41], 1.0, v[10:11]
	v_add_f64_e32 v[48:49], -1.0, v[10:11]
	v_subrev_co_ci_u32_e64 v12, null, 0, v12, vcc_lo
	s_delay_alu instid0(VALU_DEP_3) | instskip(SKIP_1) | instid1(VALU_DEP_1)
	v_rcp_f64_e32 v[44:45], v[40:41]
	v_add_f64_e32 v[50:51], -1.0, v[40:41]
	v_add_f64_e64 v[10:11], v[10:11], -v[50:51]
	s_delay_alu instid0(TRANS32_DEP_1) | instskip(NEXT) | instid1(VALU_DEP_1)
	v_fma_f64 v[46:47], -v[40:41], v[44:45], 1.0
	v_fmac_f64_e32 v[44:45], v[46:47], v[44:45]
	s_delay_alu instid0(VALU_DEP_1) | instskip(NEXT) | instid1(VALU_DEP_1)
	v_fma_f64 v[46:47], -v[40:41], v[44:45], 1.0
	v_fmac_f64_e32 v[44:45], v[46:47], v[44:45]
	s_delay_alu instid0(VALU_DEP_1) | instskip(NEXT) | instid1(VALU_DEP_1)
	v_mul_f64_e32 v[46:47], v[48:49], v[44:45]
	v_mul_f64_e32 v[52:53], v[40:41], v[46:47]
	s_delay_alu instid0(VALU_DEP_1) | instskip(NEXT) | instid1(VALU_DEP_1)
	v_fma_f64 v[40:41], v[46:47], v[40:41], -v[52:53]
	v_fmac_f64_e32 v[40:41], v[46:47], v[10:11]
	s_delay_alu instid0(VALU_DEP_1) | instskip(NEXT) | instid1(VALU_DEP_1)
	v_add_f64_e32 v[10:11], v[52:53], v[40:41]
	v_add_f64_e64 v[50:51], v[48:49], -v[10:11]
	v_add_f64_e64 v[52:53], v[10:11], -v[52:53]
	s_delay_alu instid0(VALU_DEP_2) | instskip(NEXT) | instid1(VALU_DEP_2)
	v_add_f64_e64 v[48:49], v[48:49], -v[50:51]
	v_add_f64_e64 v[40:41], v[52:53], -v[40:41]
	s_delay_alu instid0(VALU_DEP_2) | instskip(SKIP_1) | instid1(VALU_DEP_2)
	v_add_f64_e64 v[10:11], v[48:49], -v[10:11]
	v_max_num_f64_e64 v[48:49], |v[2:3]|, |v[2:3]|
	v_add_f64_e32 v[10:11], v[40:41], v[10:11]
	v_max_num_f64_e64 v[40:41], |v[4:5]|, |v[4:5]|
	s_delay_alu instid0(VALU_DEP_2) | instskip(NEXT) | instid1(VALU_DEP_1)
	v_add_f64_e32 v[10:11], v[50:51], v[10:11]
	v_mul_f64_e32 v[10:11], v[44:45], v[10:11]
	s_delay_alu instid0(VALU_DEP_3) | instskip(SKIP_1) | instid1(VALU_DEP_3)
	v_max_num_f64_e32 v[44:45], v[48:49], v[40:41]
	v_min_num_f64_e32 v[40:41], v[48:49], v[40:41]
	v_add_f64_e32 v[48:49], v[46:47], v[10:11]
	s_delay_alu instid0(VALU_DEP_2) | instskip(NEXT) | instid1(VALU_DEP_2)
	v_div_scale_f64 v[50:51], null, v[44:45], v[44:45], v[40:41]
	v_mul_f64_e32 v[52:53], v[48:49], v[48:49]
	v_add_f64_e64 v[46:47], v[48:49], -v[46:47]
	s_delay_alu instid0(VALU_DEP_3) | instskip(NEXT) | instid1(VALU_DEP_2)
	v_rcp_f64_e32 v[54:55], v[50:51]
	v_fmamk_f64 v[56:57], v[52:53], 0x3fc3ab76bf559e2b, v[24:25]
	v_mul_f64_e32 v[58:59], v[48:49], v[52:53]
	s_delay_alu instid0(VALU_DEP_3) | instskip(NEXT) | instid1(VALU_DEP_3)
	v_add_f64_e64 v[10:11], v[10:11], -v[46:47]
	v_fmaak_f64 v[56:57], v[52:53], v[56:57], 0x3fc7474dd7f4df2e
	s_delay_alu instid0(TRANS32_DEP_1) | instskip(NEXT) | instid1(VALU_DEP_2)
	v_fma_f64 v[60:61], -v[50:51], v[54:55], 1.0
	v_fmaak_f64 v[56:57], v[52:53], v[56:57], 0x3fcc71c016291751
	s_delay_alu instid0(VALU_DEP_1) | instskip(NEXT) | instid1(VALU_DEP_1)
	v_fmaak_f64 v[56:57], v[52:53], v[56:57], 0x3fd249249b27acf1
	v_fmaak_f64 v[56:57], v[52:53], v[56:57], 0x3fd99999998ef7b6
	v_ldexp_f64 v[10:11], v[10:11], 1
	s_delay_alu instid0(VALU_DEP_2) | instskip(SKIP_2) | instid1(VALU_DEP_3)
	v_fmaak_f64 v[52:53], v[52:53], v[56:57], 0x3fe5555555555780
	v_ldexp_f64 v[56:57], v[48:49], 1
	v_fmac_f64_e32 v[54:55], v[54:55], v[60:61]
	v_mul_f64_e32 v[52:53], v[58:59], v[52:53]
	v_cvt_f64_i32_e32 v[58:59], v12
	v_ashrrev_i32_e32 v12, 31, v3
	s_delay_alu instid0(VALU_DEP_4) | instskip(NEXT) | instid1(VALU_DEP_4)
	v_fma_f64 v[60:61], -v[50:51], v[54:55], 1.0
	v_add_f64_e32 v[48:49], v[56:57], v[52:53]
	s_delay_alu instid0(VALU_DEP_4) | instskip(NEXT) | instid1(VALU_DEP_3)
	v_mul_f64_e32 v[62:63], 0x3fe62e42fefa39ef, v[58:59]
	v_fmac_f64_e32 v[54:55], v[54:55], v[60:61]
	s_delay_alu instid0(VALU_DEP_3) | instskip(SKIP_1) | instid1(VALU_DEP_4)
	v_add_f64_e64 v[46:47], v[48:49], -v[56:57]
	v_div_scale_f64 v[56:57], vcc_lo, v[40:41], v[44:45], v[40:41]
	v_fma_f64 v[60:61], v[58:59], s[34:35], -v[62:63]
	s_delay_alu instid0(VALU_DEP_3) | instskip(NEXT) | instid1(VALU_DEP_3)
	v_add_f64_e64 v[46:47], v[52:53], -v[46:47]
	v_mul_f64_e32 v[52:53], v[56:57], v[54:55]
	s_delay_alu instid0(VALU_DEP_3) | instskip(NEXT) | instid1(VALU_DEP_3)
	v_fmac_f64_e32 v[60:61], 0x3c7abc9e3b39803f, v[58:59]
	v_add_f64_e32 v[10:11], v[10:11], v[46:47]
	s_delay_alu instid0(VALU_DEP_3) | instskip(NEXT) | instid1(VALU_DEP_3)
	v_fma_f64 v[46:47], -v[50:51], v[52:53], v[56:57]
	v_add_f64_e32 v[50:51], v[62:63], v[60:61]
	s_delay_alu instid0(VALU_DEP_3) | instskip(NEXT) | instid1(VALU_DEP_3)
	v_add_f64_e32 v[56:57], v[48:49], v[10:11]
	v_div_fmas_f64 v[46:47], v[46:47], v[54:55], v[52:53]
	v_cmp_class_f64_e64 vcc_lo, v[42:43], 0x204
	s_delay_alu instid0(VALU_DEP_4) | instskip(NEXT) | instid1(VALU_DEP_4)
	v_add_f64_e64 v[54:55], v[50:51], -v[62:63]
	v_add_f64_e32 v[52:53], v[50:51], v[56:57]
	s_delay_alu instid0(VALU_DEP_4) | instskip(SKIP_1) | instid1(VALU_DEP_4)
	v_div_fixup_f64 v[40:41], v[46:47], v[44:45], v[40:41]
	v_add_f64_e64 v[48:49], v[56:57], -v[48:49]
	v_add_f64_e64 v[54:55], v[60:61], -v[54:55]
	s_delay_alu instid0(VALU_DEP_4) | instskip(NEXT) | instid1(VALU_DEP_4)
	v_add_f64_e64 v[44:45], v[52:53], -v[50:51]
	v_mul_f64_e32 v[46:47], v[40:41], v[40:41]
	s_delay_alu instid0(VALU_DEP_4) | instskip(NEXT) | instid1(VALU_DEP_3)
	v_add_f64_e64 v[10:11], v[10:11], -v[48:49]
	v_add_f64_e64 v[58:59], v[52:53], -v[44:45]
	s_delay_alu instid0(VALU_DEP_3) | instskip(SKIP_1) | instid1(VALU_DEP_4)
	v_fmamk_f64 v[62:63], v[46:47], 0x3eeba404b5e68a13, v[26:27]
	v_add_f64_e64 v[44:45], v[56:57], -v[44:45]
	v_add_f64_e32 v[56:57], v[54:55], v[10:11]
	s_delay_alu instid0(VALU_DEP_3) | instskip(SKIP_1) | instid1(VALU_DEP_2)
	v_fmaak_f64 v[62:63], v[46:47], v[62:63], 0x3f4b2bb069efb384
	v_add_f64_e64 v[48:49], v[50:51], -v[58:59]
	v_fmaak_f64 v[50:51], v[46:47], v[62:63], 0xbf67952daf56de9b
	s_delay_alu instid0(VALU_DEP_1) | instskip(NEXT) | instid1(VALU_DEP_1)
	v_fmaak_f64 v[50:51], v[46:47], v[50:51], 0x3f7d6d43a595c56f
	v_fmaak_f64 v[50:51], v[46:47], v[50:51], 0xbf8c6ea4a57d9582
	s_delay_alu instid0(VALU_DEP_1) | instskip(SKIP_1) | instid1(VALU_DEP_2)
	v_fmaak_f64 v[50:51], v[46:47], v[50:51], 0x3f967e295f08b19f
	v_add_f64_e32 v[44:45], v[44:45], v[48:49]
	v_fmaak_f64 v[48:49], v[46:47], v[50:51], 0xbf9e9ae6fc27006a
	v_add_f64_e64 v[50:51], v[56:57], -v[54:55]
	s_delay_alu instid0(VALU_DEP_2) | instskip(NEXT) | instid1(VALU_DEP_1)
	v_fmaak_f64 v[48:49], v[46:47], v[48:49], 0x3fa2c15b5711927a
	v_fmaak_f64 v[48:49], v[46:47], v[48:49], 0xbfa59976e82d3ff0
	s_delay_alu instid0(VALU_DEP_1) | instskip(NEXT) | instid1(VALU_DEP_1)
	v_fmaak_f64 v[48:49], v[46:47], v[48:49], 0x3fa82d5d6ef28734
	v_fmaak_f64 v[48:49], v[46:47], v[48:49], 0xbfaae5ce6a214619
	v_add_f64_e32 v[44:45], v[56:57], v[44:45]
	v_add_f64_e64 v[56:57], v[56:57], -v[50:51]
	v_add_f64_e64 v[10:11], v[10:11], -v[50:51]
	s_delay_alu instid0(VALU_DEP_4) | instskip(NEXT) | instid1(VALU_DEP_1)
	v_fmaak_f64 v[48:49], v[46:47], v[48:49], 0x3fae1bb48427b883
	v_fmaak_f64 v[48:49], v[46:47], v[48:49], 0xbfb110e48b207f05
	s_delay_alu instid0(VALU_DEP_1) | instskip(NEXT) | instid1(VALU_DEP_1)
	v_fmaak_f64 v[48:49], v[46:47], v[48:49], 0x3fb3b13657b87036
	v_fmaak_f64 v[48:49], v[46:47], v[48:49], 0xbfb745d119378e4f
	s_delay_alu instid0(VALU_DEP_1) | instskip(SKIP_1) | instid1(VALU_DEP_2)
	v_fmaak_f64 v[48:49], v[46:47], v[48:49], 0x3fbc71c717e1913c
	v_add_f64_e32 v[58:59], v[52:53], v[44:45]
	v_fmaak_f64 v[48:49], v[46:47], v[48:49], 0xbfc2492492376b7d
	s_delay_alu instid0(VALU_DEP_1) | instskip(NEXT) | instid1(VALU_DEP_1)
	v_fmaak_f64 v[48:49], v[46:47], v[48:49], 0x3fc99999999952cc
	v_fmaak_f64 v[48:49], v[46:47], v[48:49], 0xbfd5555555555523
	s_delay_alu instid0(VALU_DEP_1) | instskip(SKIP_2) | instid1(VALU_DEP_3)
	v_mul_f64_e32 v[46:47], v[46:47], v[48:49]
	v_add_f64_e64 v[48:49], v[54:55], -v[56:57]
	v_add_f64_e64 v[50:51], v[58:59], -v[52:53]
	v_fmac_f64_e32 v[40:41], v[40:41], v[46:47]
	s_delay_alu instid0(VALU_DEP_3) | instskip(NEXT) | instid1(VALU_DEP_3)
	v_add_f64_e32 v[10:11], v[10:11], v[48:49]
	v_add_f64_e64 v[44:45], v[44:45], -v[50:51]
	s_delay_alu instid0(VALU_DEP_3) | instskip(NEXT) | instid1(VALU_DEP_1)
	v_add_f64_e64 v[46:47], -v[40:41], s[40:41]
	v_dual_add_f64 v[10:11], v[10:11], v[44:45] :: v_dual_cndmask_b32 v41, v41, v47, s6
	s_delay_alu instid0(VALU_DEP_2)
	v_cndmask_b32_e64 v40, v40, v46, s6
	v_cmp_gt_i32_e64 s6, 0, v3
	v_and_b32_e32 v46, 0x54442d18, v12
	v_and_b32_e32 v3, 0x400921fb, v12
	v_add_f64_e32 v[10:11], v[58:59], v[10:11]
	v_add_f64_e64 v[44:45], -v[40:41], s[42:43]
	v_cndmask_b32_e64 v21, 0x54442d18, v68, s6
	v_cndmask_b32_e64 v2, 0x3fe921fb, v69, s6
	s_delay_alu instid0(VALU_DEP_1) | instskip(SKIP_4) | instid1(VALU_DEP_4)
	v_bfi_b32 v2, 0x7fffffff, v2, v5
	v_dual_cndmask_b32 v11, v11, v43 :: v_dual_cndmask_b32 v10, v10, v42
	v_cmp_eq_f64_e32 vcc_lo, 0, v[4:5]
	v_dual_cndmask_b32 v40, v40, v44, s6 :: v_dual_cndmask_b32 v12, v41, v45, s6
	v_cmp_nge_f64_e64 s6, 0, v[42:43]
	v_add_f64_e32 v[10:11], 1.0, v[10:11]
	s_delay_alu instid0(VALU_DEP_3) | instskip(NEXT) | instid1(VALU_DEP_4)
	v_cndmask_b32_e32 v40, v40, v46, vcc_lo
	v_cndmask_b32_e32 v3, v12, v3, vcc_lo
	v_cmp_ngt_f64_e32 vcc_lo, 0, v[42:43]
	s_delay_alu instid0(VALU_DEP_4) | instskip(SKIP_4) | instid1(VALU_DEP_2)
	v_cndmask_b32_e64 v10, 0, v10, s6
	v_cmp_neq_f64_e64 s6, 0, v[42:43]
	v_cndmask_b32_e32 v11, 0x7ff80000, v11, vcc_lo
	s_and_b32 vcc_lo, s7, s9
	v_dual_cndmask_b32 v41, v3, v2 :: v_dual_cndmask_b32 v40, v40, v21
	v_cndmask_b32_e64 v11, 0xfff00000, v11, s6
.LBB197_73:                             ;   in Loop: Header=BB197_4 Depth=1
	s_or_b32 exec_lo, exec_lo, s8
.LBB197_74:                             ;   in Loop: Header=BB197_4 Depth=1
	s_and_not1_saveexec_b32 s6, s17
	s_cbranch_execz .LBB197_80
; %bb.75:                               ;   in Loop: Header=BB197_4 Depth=1
	v_cmp_ngt_f64_e64 s7, 0x20000000, |v[2:3]|
	v_cmp_ngt_f64_e64 s8, 0x20000000, |v[4:5]|
                                        ; implicit-def: $vgpr42_vgpr43
	s_or_b32 s7, s8, s7
	s_delay_alu instid0(SALU_CYCLE_1) | instskip(NEXT) | instid1(SALU_CYCLE_1)
	s_and_saveexec_b32 s8, s7
	s_xor_b32 s7, exec_lo, s8
	s_cbranch_execz .LBB197_77
; %bb.76:                               ;   in Loop: Header=BB197_4 Depth=1
	v_mul_f64_e32 v[42:43], v[2:3], v[2:3]
	s_delay_alu instid0(VALU_DEP_1)
	v_fmac_f64_e32 v[42:43], v[4:5], v[4:5]
.LBB197_77:                             ;   in Loop: Header=BB197_4 Depth=1
	s_and_not1_saveexec_b32 s7, s7
	s_cbranch_execz .LBB197_79
; %bb.78:                               ;   in Loop: Header=BB197_4 Depth=1
	v_mul_f64_e32 v[2:3], 4.0, v[2:3]
	v_mul_f64_e32 v[10:11], 4.0, v[4:5]
	s_delay_alu instid0(VALU_DEP_2) | instskip(NEXT) | instid1(VALU_DEP_1)
	v_mul_f64_e32 v[2:3], v[2:3], v[2:3]
	v_fmac_f64_e32 v[2:3], v[10:11], v[10:11]
	s_delay_alu instid0(VALU_DEP_1)
	v_ldexp_f64 v[42:43], v[2:3], -4
.LBB197_79:                             ;   in Loop: Header=BB197_4 Depth=1
	s_or_b32 exec_lo, exec_lo, s7
	s_delay_alu instid0(VALU_DEP_1) | instskip(NEXT) | instid1(VALU_DEP_1)
	v_frexp_mant_f64_e32 v[2:3], v[42:43]
	v_cmp_gt_f64_e32 vcc_lo, s[30:31], v[2:3]
	v_cndmask_b32_e64 v4, 0, 1, vcc_lo
	s_delay_alu instid0(VALU_DEP_1) | instskip(SKIP_1) | instid1(VALU_DEP_2)
	v_ldexp_f64 v[2:3], v[2:3], v4
	v_frexp_exp_i32_f64_e32 v4, v[42:43]
	v_add_f64_e32 v[10:11], 1.0, v[2:3]
	v_add_f64_e32 v[46:47], -1.0, v[2:3]
	s_delay_alu instid0(VALU_DEP_3) | instskip(SKIP_1) | instid1(VALU_DEP_4)
	v_subrev_co_ci_u32_e64 v4, null, 0, v4, vcc_lo
	v_cmp_class_f64_e64 vcc_lo, v[42:43], 0x204
	v_rcp_f64_e32 v[40:41], v[10:11]
	v_add_f64_e32 v[48:49], -1.0, v[10:11]
	s_delay_alu instid0(VALU_DEP_1) | instskip(NEXT) | instid1(TRANS32_DEP_1)
	v_add_f64_e64 v[2:3], v[2:3], -v[48:49]
	v_fma_f64 v[44:45], -v[10:11], v[40:41], 1.0
	s_delay_alu instid0(VALU_DEP_1) | instskip(NEXT) | instid1(VALU_DEP_1)
	v_fmac_f64_e32 v[40:41], v[44:45], v[40:41]
	v_fma_f64 v[44:45], -v[10:11], v[40:41], 1.0
	s_delay_alu instid0(VALU_DEP_1) | instskip(NEXT) | instid1(VALU_DEP_1)
	v_fmac_f64_e32 v[40:41], v[44:45], v[40:41]
	v_mul_f64_e32 v[44:45], v[46:47], v[40:41]
	s_delay_alu instid0(VALU_DEP_1) | instskip(NEXT) | instid1(VALU_DEP_1)
	v_mul_f64_e32 v[50:51], v[10:11], v[44:45]
	v_fma_f64 v[10:11], v[44:45], v[10:11], -v[50:51]
	s_delay_alu instid0(VALU_DEP_1) | instskip(NEXT) | instid1(VALU_DEP_1)
	v_fmac_f64_e32 v[10:11], v[44:45], v[2:3]
	v_add_f64_e32 v[2:3], v[50:51], v[10:11]
	s_delay_alu instid0(VALU_DEP_1) | instskip(SKIP_1) | instid1(VALU_DEP_2)
	v_add_f64_e64 v[48:49], v[46:47], -v[2:3]
	v_add_f64_e64 v[50:51], v[2:3], -v[50:51]
	;; [unrolled: 1-line block ×3, first 2 shown]
	s_delay_alu instid0(VALU_DEP_2) | instskip(NEXT) | instid1(VALU_DEP_2)
	v_add_f64_e64 v[10:11], v[50:51], -v[10:11]
	v_add_f64_e64 v[2:3], v[46:47], -v[2:3]
	s_delay_alu instid0(VALU_DEP_1) | instskip(NEXT) | instid1(VALU_DEP_1)
	v_add_f64_e32 v[2:3], v[10:11], v[2:3]
	v_add_f64_e32 v[2:3], v[48:49], v[2:3]
	s_delay_alu instid0(VALU_DEP_1) | instskip(NEXT) | instid1(VALU_DEP_1)
	v_mul_f64_e32 v[2:3], v[40:41], v[2:3]
	v_add_f64_e32 v[10:11], v[44:45], v[2:3]
	s_delay_alu instid0(VALU_DEP_1) | instskip(NEXT) | instid1(VALU_DEP_1)
	v_mul_f64_e32 v[40:41], v[10:11], v[10:11]
	v_fmamk_f64 v[46:47], v[40:41], 0x3fc3ab76bf559e2b, v[24:25]
	v_mul_f64_e32 v[48:49], v[10:11], v[40:41]
	s_delay_alu instid0(VALU_DEP_2) | instskip(NEXT) | instid1(VALU_DEP_1)
	v_fmaak_f64 v[46:47], v[40:41], v[46:47], 0x3fc7474dd7f4df2e
	v_fmaak_f64 v[46:47], v[40:41], v[46:47], 0x3fcc71c016291751
	s_delay_alu instid0(VALU_DEP_1) | instskip(NEXT) | instid1(VALU_DEP_1)
	v_fmaak_f64 v[46:47], v[40:41], v[46:47], 0x3fd249249b27acf1
	v_fmaak_f64 v[46:47], v[40:41], v[46:47], 0x3fd99999998ef7b6
	s_delay_alu instid0(VALU_DEP_1) | instskip(SKIP_2) | instid1(VALU_DEP_3)
	v_fmaak_f64 v[40:41], v[40:41], v[46:47], 0x3fe5555555555780
	v_ldexp_f64 v[46:47], v[10:11], 1
	v_add_f64_e64 v[10:11], v[10:11], -v[44:45]
	v_mul_f64_e32 v[40:41], v[48:49], v[40:41]
	v_cvt_f64_i32_e32 v[48:49], v4
	s_delay_alu instid0(VALU_DEP_3) | instskip(NEXT) | instid1(VALU_DEP_3)
	v_add_f64_e64 v[2:3], v[2:3], -v[10:11]
	v_add_f64_e32 v[44:45], v[46:47], v[40:41]
	s_delay_alu instid0(VALU_DEP_3) | instskip(NEXT) | instid1(VALU_DEP_3)
	v_mul_f64_e32 v[50:51], 0x3fe62e42fefa39ef, v[48:49]
	v_ldexp_f64 v[2:3], v[2:3], 1
	s_delay_alu instid0(VALU_DEP_3) | instskip(NEXT) | instid1(VALU_DEP_3)
	v_add_f64_e64 v[10:11], v[44:45], -v[46:47]
	v_fma_f64 v[46:47], v[48:49], s[34:35], -v[50:51]
	s_delay_alu instid0(VALU_DEP_2) | instskip(NEXT) | instid1(VALU_DEP_2)
	v_add_f64_e64 v[10:11], v[40:41], -v[10:11]
	v_fmac_f64_e32 v[46:47], 0x3c7abc9e3b39803f, v[48:49]
	s_delay_alu instid0(VALU_DEP_2) | instskip(NEXT) | instid1(VALU_DEP_2)
	v_add_f64_e32 v[2:3], v[2:3], v[10:11]
	v_add_f64_e32 v[10:11], v[50:51], v[46:47]
	s_delay_alu instid0(VALU_DEP_2) | instskip(NEXT) | instid1(VALU_DEP_2)
	v_add_f64_e32 v[40:41], v[44:45], v[2:3]
	v_add_f64_e64 v[50:51], v[10:11], -v[50:51]
	s_delay_alu instid0(VALU_DEP_2) | instskip(SKIP_1) | instid1(VALU_DEP_3)
	v_add_f64_e32 v[48:49], v[10:11], v[40:41]
	v_add_f64_e64 v[44:45], v[40:41], -v[44:45]
	v_add_f64_e64 v[46:47], v[46:47], -v[50:51]
	s_delay_alu instid0(VALU_DEP_3) | instskip(NEXT) | instid1(VALU_DEP_3)
	v_add_f64_e64 v[52:53], v[48:49], -v[10:11]
	v_add_f64_e64 v[2:3], v[2:3], -v[44:45]
	s_delay_alu instid0(VALU_DEP_2) | instskip(SKIP_1) | instid1(VALU_DEP_3)
	v_add_f64_e64 v[54:55], v[48:49], -v[52:53]
	v_add_f64_e64 v[40:41], v[40:41], -v[52:53]
	v_add_f64_e32 v[44:45], v[46:47], v[2:3]
	s_delay_alu instid0(VALU_DEP_3) | instskip(NEXT) | instid1(VALU_DEP_1)
	v_add_f64_e64 v[10:11], v[10:11], -v[54:55]
	v_add_f64_e32 v[10:11], v[40:41], v[10:11]
	s_delay_alu instid0(VALU_DEP_3) | instskip(NEXT) | instid1(VALU_DEP_2)
	v_add_f64_e64 v[40:41], v[44:45], -v[46:47]
	v_add_f64_e32 v[10:11], v[44:45], v[10:11]
	s_delay_alu instid0(VALU_DEP_2) | instskip(SKIP_1) | instid1(VALU_DEP_3)
	v_add_f64_e64 v[44:45], v[44:45], -v[40:41]
	v_add_f64_e64 v[2:3], v[2:3], -v[40:41]
	v_add_f64_e32 v[50:51], v[48:49], v[10:11]
	s_delay_alu instid0(VALU_DEP_3) | instskip(NEXT) | instid1(VALU_DEP_2)
	v_add_f64_e64 v[40:41], v[46:47], -v[44:45]
	v_add_f64_e64 v[44:45], v[50:51], -v[48:49]
	s_delay_alu instid0(VALU_DEP_2) | instskip(SKIP_1) | instid1(VALU_DEP_3)
	v_add_f64_e32 v[2:3], v[2:3], v[40:41]
	v_mov_b64_e32 v[40:41], 0x7ff8000000000000
	v_add_f64_e64 v[10:11], v[10:11], -v[44:45]
	s_delay_alu instid0(VALU_DEP_1) | instskip(NEXT) | instid1(VALU_DEP_1)
	v_add_f64_e32 v[2:3], v[2:3], v[10:11]
	v_add_f64_e32 v[2:3], v[50:51], v[2:3]
	s_delay_alu instid0(VALU_DEP_1) | instskip(SKIP_1) | instid1(VALU_DEP_2)
	v_dual_cndmask_b32 v2, v2, v42 :: v_dual_cndmask_b32 v3, v3, v43
	v_cmp_ngt_f64_e32 vcc_lo, 0, v[42:43]
	v_cndmask_b32_e32 v3, 0x7ff80000, v3, vcc_lo
	v_cmp_nge_f64_e32 vcc_lo, 0, v[42:43]
	s_delay_alu instid0(VALU_DEP_4) | instskip(SKIP_1) | instid1(VALU_DEP_4)
	v_cndmask_b32_e32 v10, 0, v2, vcc_lo
	v_cmp_neq_f64_e32 vcc_lo, 0, v[42:43]
	v_cndmask_b32_e32 v11, 0xfff00000, v3, vcc_lo
.LBB197_80:                             ;   in Loop: Header=BB197_4 Depth=1
	s_or_b32 exec_lo, exec_lo, s6
                                        ; implicit-def: $vgpr2_vgpr3
                                        ; implicit-def: $vgpr42_vgpr43
	s_delay_alu instid0(SALU_CYCLE_1)
	s_mov_b32 s6, exec_lo
	v_cmpx_o_f64_e32 v[14:15], v[16:17]
	s_xor_b32 s17, exec_lo, s6
	s_cbranch_execz .LBB197_108
; %bb.81:                               ;   in Loop: Header=BB197_4 Depth=1
	v_cmp_lt_f64_e64 s6, |v[14:15]|, |v[16:17]|
	v_and_b32_e32 v12, 0x7fffffff, v15
	v_and_b32_e32 v21, 0x7fffffff, v17
	v_mov_b32_e32 v4, v16
                                        ; implicit-def: $vgpr2_vgpr3
                                        ; implicit-def: $vgpr42_vgpr43
	s_mov_b32 s7, exec_lo
	s_delay_alu instid0(VALU_DEP_2) | instskip(NEXT) | instid1(VALU_DEP_1)
	v_dual_cndmask_b32 v47, v21, v12, s6 :: v_dual_cndmask_b32 v46, v16, v14, s6
	v_cmpx_nlt_f64_e32 s[24:25], v[46:47]
	s_xor_b32 s33, exec_lo, s7
	s_cbranch_execz .LBB197_105
; %bb.82:                               ;   in Loop: Header=BB197_4 Depth=1
	v_dual_cndmask_b32 v49, v12, v21, s6 :: v_dual_cndmask_b32 v48, v14, v4, s6
                                        ; implicit-def: $vgpr2_vgpr3
                                        ; implicit-def: $vgpr42_vgpr43
	s_mov_b32 s7, exec_lo
	s_delay_alu instid0(VALU_DEP_1)
	v_cmpx_neq_f64_e32 1.0, v[48:49]
	s_xor_b32 s54, exec_lo, s7
	s_cbranch_execz .LBB197_98
; %bb.83:                               ;   in Loop: Header=BB197_4 Depth=1
	v_max_num_f64_e32 v[2:3], v[46:47], v[46:47]
	v_max_num_f64_e32 v[42:43], v[48:49], v[48:49]
	s_delay_alu instid0(VALU_DEP_1) | instskip(SKIP_1) | instid1(VALU_DEP_2)
	v_min_num_f64_e32 v[44:45], v[42:43], v[2:3]
	v_max_num_f64_e32 v[2:3], v[42:43], v[2:3]
                                        ; implicit-def: $vgpr42_vgpr43
	v_cmp_ngt_f64_e32 vcc_lo, s[26:27], v[44:45]
	s_delay_alu instid0(VALU_DEP_2) | instskip(SKIP_1) | instid1(SALU_CYCLE_1)
	v_cmp_nlt_f64_e64 s7, s[28:29], v[2:3]
                                        ; implicit-def: $vgpr2_vgpr3
	s_and_b32 s7, s7, vcc_lo
	s_and_saveexec_b32 s8, s7
	s_delay_alu instid0(SALU_CYCLE_1)
	s_xor_b32 s55, exec_lo, s8
	s_cbranch_execz .LBB197_95
; %bb.84:                               ;   in Loop: Header=BB197_4 Depth=1
                                        ; implicit-def: $vgpr2_vgpr3
                                        ; implicit-def: $vgpr42_vgpr43
	s_mov_b32 s7, exec_lo
	v_cmpx_le_f64_e32 1.0, v[48:49]
	s_xor_b32 s10, exec_lo, s7
	s_cbranch_execz .LBB197_86
; %bb.85:                               ;   in Loop: Header=BB197_4 Depth=1
	v_add_f64_e32 v[2:3], -1.0, v[48:49]
	v_add_f64_e32 v[42:43], 1.0, v[48:49]
	v_cmp_eq_f64_e64 s7, 0, v[16:17]
	v_cmp_class_f64_e64 s12, v[14:15], 0x204
	v_cmp_class_f64_e64 s11, v[16:17], 0x204
	s_delay_alu instid0(VALU_DEP_4) | instskip(NEXT) | instid1(VALU_DEP_1)
	v_mul_f64_e32 v[44:45], v[2:3], v[42:43]
	v_fmac_f64_e32 v[44:45], v[46:47], v[46:47]
	s_delay_alu instid0(VALU_DEP_1) | instskip(SKIP_2) | instid1(VALU_DEP_3)
	v_add_f64_e32 v[2:3], 1.0, v[44:45]
	v_cmp_nge_f64_e64 s8, -1.0, v[44:45]
	v_cmp_neq_f64_e64 s9, 0x7ff00000, v[44:45]
	v_frexp_mant_f64_e32 v[42:43], v[2:3]
	v_frexp_exp_i32_f64_e32 v4, v[2:3]
	v_add_f64_e32 v[46:47], -1.0, v[2:3]
	s_delay_alu instid0(VALU_DEP_3) | instskip(NEXT) | instid1(VALU_DEP_2)
	v_cmp_gt_f64_e32 vcc_lo, s[30:31], v[42:43]
	v_add_f64_e64 v[42:43], v[46:47], -v[2:3]
	v_add_f64_e64 v[46:47], v[44:45], -v[46:47]
	v_subrev_co_ci_u32_e64 v4, null, 0, v4, vcc_lo
	s_delay_alu instid0(VALU_DEP_1) | instskip(NEXT) | instid1(VALU_DEP_1)
	v_dual_add_f64 v[42:43], 1.0, v[42:43] :: v_dual_sub_nc_u32 v12, 0, v4
	v_ldexp_f64 v[2:3], v[2:3], v12
	s_delay_alu instid0(VALU_DEP_2) | instskip(NEXT) | instid1(VALU_DEP_2)
	v_add_f64_e32 v[42:43], v[46:47], v[42:43]
	v_add_f64_e32 v[48:49], 1.0, v[2:3]
	v_add_f64_e32 v[54:55], -1.0, v[2:3]
	s_delay_alu instid0(VALU_DEP_3) | instskip(NEXT) | instid1(VALU_DEP_3)
	v_ldexp_f64 v[42:43], v[42:43], v12
	v_add_f64_e32 v[46:47], -1.0, v[48:49]
	s_delay_alu instid0(VALU_DEP_3) | instskip(NEXT) | instid1(VALU_DEP_2)
	v_add_f64_e32 v[56:57], 1.0, v[54:55]
	v_add_f64_e64 v[46:47], v[2:3], -v[46:47]
	s_delay_alu instid0(VALU_DEP_2) | instskip(NEXT) | instid1(VALU_DEP_2)
	v_add_f64_e64 v[2:3], v[2:3], -v[56:57]
	v_add_f64_e32 v[46:47], v[42:43], v[46:47]
	s_delay_alu instid0(VALU_DEP_2) | instskip(NEXT) | instid1(VALU_DEP_2)
	v_add_f64_e32 v[2:3], v[42:43], v[2:3]
	v_add_f64_e32 v[50:51], v[48:49], v[46:47]
	s_delay_alu instid0(VALU_DEP_2) | instskip(NEXT) | instid1(VALU_DEP_2)
	v_add_f64_e32 v[56:57], v[54:55], v[2:3]
	v_rcp_f64_e32 v[52:53], v[50:51]
	v_add_f64_e64 v[48:49], v[50:51], -v[48:49]
	s_delay_alu instid0(VALU_DEP_2) | instskip(NEXT) | instid1(VALU_DEP_2)
	v_add_f64_e64 v[54:55], v[56:57], -v[54:55]
	v_add_f64_e64 v[46:47], v[46:47], -v[48:49]
	s_delay_alu instid0(VALU_DEP_2) | instskip(NEXT) | instid1(TRANS32_DEP_1)
	v_add_f64_e64 v[2:3], v[2:3], -v[54:55]
	v_fma_f64 v[58:59], -v[50:51], v[52:53], 1.0
	s_delay_alu instid0(VALU_DEP_1) | instskip(NEXT) | instid1(VALU_DEP_1)
	v_fmac_f64_e32 v[52:53], v[58:59], v[52:53]
	v_fma_f64 v[42:43], -v[50:51], v[52:53], 1.0
	s_delay_alu instid0(VALU_DEP_1) | instskip(NEXT) | instid1(VALU_DEP_1)
	v_fmac_f64_e32 v[52:53], v[42:43], v[52:53]
	v_mul_f64_e32 v[42:43], v[56:57], v[52:53]
	s_delay_alu instid0(VALU_DEP_1) | instskip(NEXT) | instid1(VALU_DEP_1)
	v_mul_f64_e32 v[58:59], v[50:51], v[42:43]
	v_fma_f64 v[48:49], v[42:43], v[50:51], -v[58:59]
	s_delay_alu instid0(VALU_DEP_1) | instskip(NEXT) | instid1(VALU_DEP_1)
	v_fmac_f64_e32 v[48:49], v[42:43], v[46:47]
	v_add_f64_e32 v[60:61], v[58:59], v[48:49]
	s_delay_alu instid0(VALU_DEP_1) | instskip(SKIP_1) | instid1(VALU_DEP_2)
	v_add_f64_e64 v[62:63], v[56:57], -v[60:61]
	v_add_f64_e64 v[54:55], v[60:61], -v[58:59]
	;; [unrolled: 1-line block ×3, first 2 shown]
	s_delay_alu instid0(VALU_DEP_2) | instskip(NEXT) | instid1(VALU_DEP_2)
	v_add_f64_e64 v[48:49], v[54:55], -v[48:49]
	v_add_f64_e64 v[56:57], v[56:57], -v[60:61]
	s_delay_alu instid0(VALU_DEP_1) | instskip(NEXT) | instid1(VALU_DEP_1)
	v_add_f64_e32 v[2:3], v[2:3], v[56:57]
	v_add_f64_e32 v[2:3], v[48:49], v[2:3]
	s_delay_alu instid0(VALU_DEP_1) | instskip(NEXT) | instid1(VALU_DEP_1)
	v_add_f64_e32 v[48:49], v[62:63], v[2:3]
	v_mul_f64_e32 v[54:55], v[52:53], v[48:49]
	v_add_f64_e64 v[60:61], v[62:63], -v[48:49]
	s_delay_alu instid0(VALU_DEP_2) | instskip(NEXT) | instid1(VALU_DEP_2)
	v_mul_f64_e32 v[56:57], v[50:51], v[54:55]
	v_add_f64_e32 v[2:3], v[2:3], v[60:61]
	s_delay_alu instid0(VALU_DEP_2) | instskip(NEXT) | instid1(VALU_DEP_1)
	v_fma_f64 v[50:51], v[54:55], v[50:51], -v[56:57]
	v_fmac_f64_e32 v[50:51], v[54:55], v[46:47]
	s_delay_alu instid0(VALU_DEP_1) | instskip(NEXT) | instid1(VALU_DEP_1)
	v_add_f64_e32 v[46:47], v[56:57], v[50:51]
	v_add_f64_e64 v[58:59], v[48:49], -v[46:47]
	v_add_f64_e64 v[56:57], v[46:47], -v[56:57]
	s_delay_alu instid0(VALU_DEP_2) | instskip(NEXT) | instid1(VALU_DEP_1)
	v_add_f64_e64 v[48:49], v[48:49], -v[58:59]
	v_add_f64_e64 v[46:47], v[48:49], -v[46:47]
	s_delay_alu instid0(VALU_DEP_3) | instskip(SKIP_1) | instid1(VALU_DEP_3)
	v_add_f64_e64 v[48:49], v[56:57], -v[50:51]
	v_max_num_f64_e64 v[50:51], |v[14:15]|, |v[14:15]|
	v_add_f64_e32 v[2:3], v[2:3], v[46:47]
	v_add_f64_e32 v[46:47], v[42:43], v[54:55]
	s_delay_alu instid0(VALU_DEP_2) | instskip(NEXT) | instid1(VALU_DEP_2)
	v_add_f64_e32 v[2:3], v[48:49], v[2:3]
	v_add_f64_e64 v[42:43], v[46:47], -v[42:43]
	v_max_num_f64_e64 v[48:49], |v[16:17]|, |v[16:17]|
	s_delay_alu instid0(VALU_DEP_3) | instskip(NEXT) | instid1(VALU_DEP_3)
	v_add_f64_e32 v[2:3], v[58:59], v[2:3]
	v_add_f64_e64 v[42:43], v[54:55], -v[42:43]
	s_delay_alu instid0(VALU_DEP_2) | instskip(NEXT) | instid1(VALU_DEP_1)
	v_mul_f64_e32 v[2:3], v[52:53], v[2:3]
	v_add_f64_e32 v[2:3], v[42:43], v[2:3]
	v_max_num_f64_e32 v[42:43], v[50:51], v[48:49]
	v_min_num_f64_e32 v[48:49], v[50:51], v[48:49]
	s_delay_alu instid0(VALU_DEP_3) | instskip(NEXT) | instid1(VALU_DEP_2)
	v_add_f64_e32 v[50:51], v[46:47], v[2:3]
	v_div_scale_f64 v[52:53], null, v[42:43], v[42:43], v[48:49]
	s_delay_alu instid0(VALU_DEP_2) | instskip(SKIP_1) | instid1(VALU_DEP_3)
	v_mul_f64_e32 v[54:55], v[50:51], v[50:51]
	v_add_f64_e64 v[46:47], v[50:51], -v[46:47]
	v_rcp_f64_e32 v[56:57], v[52:53]
	s_delay_alu instid0(VALU_DEP_2) | instskip(SKIP_1) | instid1(VALU_DEP_3)
	v_fmamk_f64 v[58:59], v[54:55], 0x3fc3ab76bf559e2b, v[24:25]
	v_mul_f64_e32 v[60:61], v[50:51], v[54:55]
	v_add_f64_e64 v[2:3], v[2:3], -v[46:47]
	s_delay_alu instid0(VALU_DEP_3) | instskip(NEXT) | instid1(TRANS32_DEP_1)
	v_fmaak_f64 v[58:59], v[54:55], v[58:59], 0x3fc7474dd7f4df2e
	v_fma_f64 v[62:63], -v[52:53], v[56:57], 1.0
	s_delay_alu instid0(VALU_DEP_2) | instskip(NEXT) | instid1(VALU_DEP_1)
	v_fmaak_f64 v[58:59], v[54:55], v[58:59], 0x3fcc71c016291751
	v_fmaak_f64 v[58:59], v[54:55], v[58:59], 0x3fd249249b27acf1
	s_delay_alu instid0(VALU_DEP_1) | instskip(SKIP_1) | instid1(VALU_DEP_2)
	v_fmaak_f64 v[58:59], v[54:55], v[58:59], 0x3fd99999998ef7b6
	v_ldexp_f64 v[2:3], v[2:3], 1
	v_fmaak_f64 v[54:55], v[54:55], v[58:59], 0x3fe5555555555780
	v_ldexp_f64 v[58:59], v[50:51], 1
	v_fmac_f64_e32 v[56:57], v[56:57], v[62:63]
	s_delay_alu instid0(VALU_DEP_3) | instskip(SKIP_2) | instid1(VALU_DEP_1)
	v_mul_f64_e32 v[54:55], v[60:61], v[54:55]
	v_cvt_f64_i32_e32 v[60:61], v4
	v_ashrrev_i32_e32 v4, 31, v15
	v_and_b32_e32 v21, 0x54442d18, v4
	v_and_b32_e32 v4, 0x400921fb, v4
	v_fma_f64 v[62:63], -v[52:53], v[56:57], 1.0
	v_add_f64_e32 v[50:51], v[58:59], v[54:55]
	v_mul_f64_e32 v[64:65], 0x3fe62e42fefa39ef, v[60:61]
	s_delay_alu instid0(VALU_DEP_3) | instskip(NEXT) | instid1(VALU_DEP_3)
	v_fmac_f64_e32 v[56:57], v[56:57], v[62:63]
	v_add_f64_e64 v[46:47], v[50:51], -v[58:59]
	v_div_scale_f64 v[58:59], vcc_lo, v[48:49], v[42:43], v[48:49]
	s_delay_alu instid0(VALU_DEP_4) | instskip(NEXT) | instid1(VALU_DEP_3)
	v_fma_f64 v[62:63], v[60:61], s[34:35], -v[64:65]
	v_add_f64_e64 v[46:47], v[54:55], -v[46:47]
	s_delay_alu instid0(VALU_DEP_3) | instskip(NEXT) | instid1(VALU_DEP_3)
	v_mul_f64_e32 v[54:55], v[58:59], v[56:57]
	v_fmac_f64_e32 v[62:63], 0x3c7abc9e3b39803f, v[60:61]
	s_delay_alu instid0(VALU_DEP_3) | instskip(NEXT) | instid1(VALU_DEP_3)
	v_add_f64_e32 v[2:3], v[2:3], v[46:47]
	v_fma_f64 v[46:47], -v[52:53], v[54:55], v[58:59]
	s_delay_alu instid0(VALU_DEP_3) | instskip(NEXT) | instid1(VALU_DEP_3)
	v_add_f64_e32 v[52:53], v[64:65], v[62:63]
	v_add_f64_e32 v[58:59], v[50:51], v[2:3]
	s_delay_alu instid0(VALU_DEP_3) | instskip(SKIP_1) | instid1(VALU_DEP_4)
	v_div_fmas_f64 v[46:47], v[46:47], v[56:57], v[54:55]
	v_cmp_gt_i32_e32 vcc_lo, 0, v15
	v_add_f64_e64 v[56:57], v[52:53], -v[64:65]
	v_cndmask_b32_e32 v12, 0x54442d18, v68, vcc_lo
	v_cndmask_b32_e32 v14, 0x3fe921fb, v69, vcc_lo
	s_delay_alu instid0(VALU_DEP_1) | instskip(SKIP_4) | instid1(VALU_DEP_4)
	v_bfi_b32 v14, 0x7fffffff, v14, v17
	v_add_f64_e32 v[54:55], v[52:53], v[58:59]
	v_div_fixup_f64 v[42:43], v[46:47], v[42:43], v[48:49]
	v_add_f64_e64 v[50:51], v[58:59], -v[50:51]
	v_add_f64_e64 v[56:57], v[62:63], -v[56:57]
	;; [unrolled: 1-line block ×3, first 2 shown]
	s_delay_alu instid0(VALU_DEP_4) | instskip(NEXT) | instid1(VALU_DEP_4)
	v_mul_f64_e32 v[48:49], v[42:43], v[42:43]
	v_add_f64_e64 v[2:3], v[2:3], -v[50:51]
	s_delay_alu instid0(VALU_DEP_3) | instskip(NEXT) | instid1(VALU_DEP_3)
	v_add_f64_e64 v[60:61], v[54:55], -v[46:47]
	v_fmamk_f64 v[64:65], v[48:49], 0x3eeba404b5e68a13, v[26:27]
	v_add_f64_e64 v[46:47], v[58:59], -v[46:47]
	s_delay_alu instid0(VALU_DEP_4) | instskip(NEXT) | instid1(VALU_DEP_3)
	v_add_f64_e32 v[58:59], v[56:57], v[2:3]
	v_fmaak_f64 v[64:65], v[48:49], v[64:65], 0x3f4b2bb069efb384
	v_add_f64_e64 v[50:51], v[52:53], -v[60:61]
	s_delay_alu instid0(VALU_DEP_2) | instskip(NEXT) | instid1(VALU_DEP_1)
	v_fmaak_f64 v[52:53], v[48:49], v[64:65], 0xbf67952daf56de9b
	v_fmaak_f64 v[52:53], v[48:49], v[52:53], 0x3f7d6d43a595c56f
	s_delay_alu instid0(VALU_DEP_1) | instskip(NEXT) | instid1(VALU_DEP_1)
	v_fmaak_f64 v[52:53], v[48:49], v[52:53], 0xbf8c6ea4a57d9582
	v_fmaak_f64 v[52:53], v[48:49], v[52:53], 0x3f967e295f08b19f
	s_delay_alu instid0(VALU_DEP_1) | instskip(SKIP_1) | instid1(VALU_DEP_2)
	v_fmaak_f64 v[52:53], v[48:49], v[52:53], 0xbf9e9ae6fc27006a
	v_add_f64_e32 v[46:47], v[46:47], v[50:51]
	v_fmaak_f64 v[50:51], v[48:49], v[52:53], 0x3fa2c15b5711927a
	v_add_f64_e64 v[52:53], v[58:59], -v[56:57]
	s_delay_alu instid0(VALU_DEP_2) | instskip(NEXT) | instid1(VALU_DEP_1)
	v_fmaak_f64 v[50:51], v[48:49], v[50:51], 0xbfa59976e82d3ff0
	v_fmaak_f64 v[50:51], v[48:49], v[50:51], 0x3fa82d5d6ef28734
	s_delay_alu instid0(VALU_DEP_1) | instskip(NEXT) | instid1(VALU_DEP_1)
	v_fmaak_f64 v[50:51], v[48:49], v[50:51], 0xbfaae5ce6a214619
	v_fmaak_f64 v[50:51], v[48:49], v[50:51], 0x3fae1bb48427b883
	v_add_f64_e32 v[46:47], v[58:59], v[46:47]
	v_add_f64_e64 v[58:59], v[58:59], -v[52:53]
	v_add_f64_e64 v[2:3], v[2:3], -v[52:53]
	s_delay_alu instid0(VALU_DEP_4) | instskip(NEXT) | instid1(VALU_DEP_1)
	v_fmaak_f64 v[50:51], v[48:49], v[50:51], 0xbfb110e48b207f05
	v_fmaak_f64 v[50:51], v[48:49], v[50:51], 0x3fb3b13657b87036
	s_delay_alu instid0(VALU_DEP_1) | instskip(NEXT) | instid1(VALU_DEP_1)
	v_fmaak_f64 v[50:51], v[48:49], v[50:51], 0xbfb745d119378e4f
	v_fmaak_f64 v[50:51], v[48:49], v[50:51], 0x3fbc71c717e1913c
	v_add_f64_e32 v[60:61], v[54:55], v[46:47]
	s_delay_alu instid0(VALU_DEP_2) | instskip(NEXT) | instid1(VALU_DEP_1)
	v_fmaak_f64 v[50:51], v[48:49], v[50:51], 0xbfc2492492376b7d
	v_fmaak_f64 v[50:51], v[48:49], v[50:51], 0x3fc99999999952cc
	s_delay_alu instid0(VALU_DEP_1) | instskip(NEXT) | instid1(VALU_DEP_1)
	v_fmaak_f64 v[50:51], v[48:49], v[50:51], 0xbfd5555555555523
	v_mul_f64_e32 v[48:49], v[48:49], v[50:51]
	v_add_f64_e64 v[50:51], v[56:57], -v[58:59]
	v_add_f64_e64 v[52:53], v[60:61], -v[54:55]
	s_delay_alu instid0(VALU_DEP_3) | instskip(NEXT) | instid1(VALU_DEP_3)
	v_fmac_f64_e32 v[42:43], v[42:43], v[48:49]
	v_add_f64_e32 v[2:3], v[2:3], v[50:51]
	s_delay_alu instid0(VALU_DEP_3) | instskip(NEXT) | instid1(VALU_DEP_3)
	v_add_f64_e64 v[46:47], v[46:47], -v[52:53]
	v_add_f64_e64 v[48:49], -v[42:43], s[40:41]
	s_delay_alu instid0(VALU_DEP_2) | instskip(NEXT) | instid1(VALU_DEP_2)
	v_add_f64_e32 v[2:3], v[2:3], v[46:47]
	v_dual_cndmask_b32 v43, v43, v49, s6 :: v_dual_cndmask_b32 v42, v42, v48, s6
                                        ; implicit-def: $vgpr48_vgpr49
	s_delay_alu instid0(VALU_DEP_1) | instskip(NEXT) | instid1(VALU_DEP_3)
	v_add_f64_e64 v[46:47], -v[42:43], s[42:43]
	v_add_f64_e32 v[2:3], v[60:61], v[2:3]
	s_delay_alu instid0(VALU_DEP_2) | instskip(SKIP_1) | instid1(VALU_DEP_3)
	v_dual_cndmask_b32 v42, v42, v46 :: v_dual_cndmask_b32 v15, v43, v47
	v_cmp_ngt_f64_e32 vcc_lo, -1.0, v[44:45]
	v_mul_f64_e32 v[2:3], 0.5, v[2:3]
                                        ; implicit-def: $vgpr46_vgpr47
	s_delay_alu instid0(VALU_DEP_3)
	v_dual_cndmask_b32 v21, v42, v21, s7 :: v_dual_cndmask_b32 v4, v15, v4, s7
	s_and_b32 s7, s8, s9
	s_delay_alu instid0(VALU_DEP_2) | instid1(SALU_CYCLE_1)
	v_cndmask_b32_e64 v2, 0, v2, s7
	v_cmp_neq_f64_e64 s7, -1.0, v[44:45]
	s_delay_alu instid0(VALU_DEP_4) | instskip(NEXT) | instid1(VALU_DEP_1)
	v_cndmask_b32_e64 v3, 0x7ff00000, v3, s9
	v_cndmask_b32_e32 v3, 0x7ff80000, v3, vcc_lo
	s_and_b32 vcc_lo, s11, s12
	v_dual_cndmask_b32 v43, v4, v14 :: v_dual_cndmask_b32 v42, v21, v12
	s_delay_alu instid0(VALU_DEP_2)
	v_cndmask_b32_e64 v3, 0xfff00000, v3, s7
.LBB197_86:                             ;   in Loop: Header=BB197_4 Depth=1
	s_and_not1_saveexec_b32 s56, s10
	s_cbranch_execz .LBB197_94
; %bb.87:                               ;   in Loop: Header=BB197_4 Depth=1
	v_mul_f64_e32 v[44:45], v[46:47], v[46:47]
                                        ; implicit-def: $vgpr2_vgpr3
                                        ; implicit-def: $vgpr42_vgpr43
	s_mov_b32 s7, exec_lo
	s_delay_alu instid0(VALU_DEP_1) | instskip(NEXT) | instid1(VALU_DEP_1)
	v_fmac_f64_e32 v[44:45], v[48:49], v[48:49]
	v_cmpx_ge_f64_e32 s[44:45], v[44:45]
	s_xor_b32 s9, exec_lo, s7
	s_cbranch_execz .LBB197_89
; %bb.88:                               ;   in Loop: Header=BB197_4 Depth=1
	v_frexp_mant_f64_e32 v[2:3], v[44:45]
	v_cmp_eq_f64_e64 s7, 0, v[16:17]
	v_cmp_neq_f64_e64 s8, 0, v[44:45]
	v_cmp_class_f64_e64 s10, v[16:17], 0x204
	v_cmp_class_f64_e64 s11, v[14:15], 0x204
	v_cmp_gt_f64_e32 vcc_lo, s[30:31], v[2:3]
	v_cndmask_b32_e64 v4, 0, 1, vcc_lo
	s_delay_alu instid0(VALU_DEP_1) | instskip(SKIP_1) | instid1(VALU_DEP_2)
	v_ldexp_f64 v[2:3], v[2:3], v4
	v_frexp_exp_i32_f64_e32 v4, v[44:45]
	v_add_f64_e32 v[42:43], 1.0, v[2:3]
	v_add_f64_e32 v[50:51], -1.0, v[2:3]
	s_delay_alu instid0(VALU_DEP_3) | instskip(NEXT) | instid1(VALU_DEP_3)
	v_subrev_co_ci_u32_e64 v4, null, 0, v4, vcc_lo
	v_rcp_f64_e32 v[46:47], v[42:43]
	v_add_f64_e32 v[52:53], -1.0, v[42:43]
	s_delay_alu instid0(VALU_DEP_1) | instskip(NEXT) | instid1(TRANS32_DEP_1)
	v_add_f64_e64 v[2:3], v[2:3], -v[52:53]
	v_fma_f64 v[48:49], -v[42:43], v[46:47], 1.0
	s_delay_alu instid0(VALU_DEP_1) | instskip(NEXT) | instid1(VALU_DEP_1)
	v_fmac_f64_e32 v[46:47], v[48:49], v[46:47]
	v_fma_f64 v[48:49], -v[42:43], v[46:47], 1.0
	s_delay_alu instid0(VALU_DEP_1) | instskip(NEXT) | instid1(VALU_DEP_1)
	v_fmac_f64_e32 v[46:47], v[48:49], v[46:47]
	v_mul_f64_e32 v[48:49], v[50:51], v[46:47]
	s_delay_alu instid0(VALU_DEP_1) | instskip(NEXT) | instid1(VALU_DEP_1)
	v_mul_f64_e32 v[54:55], v[42:43], v[48:49]
	v_fma_f64 v[42:43], v[48:49], v[42:43], -v[54:55]
	s_delay_alu instid0(VALU_DEP_1) | instskip(NEXT) | instid1(VALU_DEP_1)
	v_fmac_f64_e32 v[42:43], v[48:49], v[2:3]
	v_add_f64_e32 v[2:3], v[54:55], v[42:43]
	s_delay_alu instid0(VALU_DEP_1) | instskip(SKIP_1) | instid1(VALU_DEP_2)
	v_add_f64_e64 v[52:53], v[50:51], -v[2:3]
	v_add_f64_e64 v[54:55], v[2:3], -v[54:55]
	;; [unrolled: 1-line block ×3, first 2 shown]
	s_delay_alu instid0(VALU_DEP_2) | instskip(NEXT) | instid1(VALU_DEP_2)
	v_add_f64_e64 v[42:43], v[54:55], -v[42:43]
	v_add_f64_e64 v[2:3], v[50:51], -v[2:3]
	v_max_num_f64_e64 v[50:51], |v[14:15]|, |v[14:15]|
	s_delay_alu instid0(VALU_DEP_2) | instskip(SKIP_1) | instid1(VALU_DEP_2)
	v_add_f64_e32 v[2:3], v[42:43], v[2:3]
	v_max_num_f64_e64 v[42:43], |v[16:17]|, |v[16:17]|
	v_add_f64_e32 v[2:3], v[52:53], v[2:3]
	s_delay_alu instid0(VALU_DEP_1) | instskip(NEXT) | instid1(VALU_DEP_3)
	v_mul_f64_e32 v[2:3], v[46:47], v[2:3]
	v_max_num_f64_e32 v[46:47], v[50:51], v[42:43]
	v_min_num_f64_e32 v[42:43], v[50:51], v[42:43]
	s_delay_alu instid0(VALU_DEP_3) | instskip(NEXT) | instid1(VALU_DEP_2)
	v_add_f64_e32 v[50:51], v[48:49], v[2:3]
	v_div_scale_f64 v[52:53], null, v[46:47], v[46:47], v[42:43]
	s_delay_alu instid0(VALU_DEP_2) | instskip(SKIP_1) | instid1(VALU_DEP_3)
	v_mul_f64_e32 v[54:55], v[50:51], v[50:51]
	v_add_f64_e64 v[48:49], v[50:51], -v[48:49]
	v_rcp_f64_e32 v[56:57], v[52:53]
	s_delay_alu instid0(VALU_DEP_2) | instskip(SKIP_1) | instid1(VALU_DEP_3)
	v_fmamk_f64 v[58:59], v[54:55], 0x3fc3ab76bf559e2b, v[24:25]
	v_mul_f64_e32 v[60:61], v[50:51], v[54:55]
	v_add_f64_e64 v[2:3], v[2:3], -v[48:49]
	s_delay_alu instid0(VALU_DEP_3) | instskip(NEXT) | instid1(TRANS32_DEP_1)
	v_fmaak_f64 v[58:59], v[54:55], v[58:59], 0x3fc7474dd7f4df2e
	v_fma_f64 v[62:63], -v[52:53], v[56:57], 1.0
	s_delay_alu instid0(VALU_DEP_2) | instskip(NEXT) | instid1(VALU_DEP_1)
	v_fmaak_f64 v[58:59], v[54:55], v[58:59], 0x3fcc71c016291751
	v_fmaak_f64 v[58:59], v[54:55], v[58:59], 0x3fd249249b27acf1
	s_delay_alu instid0(VALU_DEP_1) | instskip(SKIP_1) | instid1(VALU_DEP_2)
	v_fmaak_f64 v[58:59], v[54:55], v[58:59], 0x3fd99999998ef7b6
	v_ldexp_f64 v[2:3], v[2:3], 1
	v_fmaak_f64 v[54:55], v[54:55], v[58:59], 0x3fe5555555555780
	v_ldexp_f64 v[58:59], v[50:51], 1
	v_fmac_f64_e32 v[56:57], v[56:57], v[62:63]
	s_delay_alu instid0(VALU_DEP_3) | instskip(SKIP_2) | instid1(VALU_DEP_1)
	v_mul_f64_e32 v[54:55], v[60:61], v[54:55]
	v_cvt_f64_i32_e32 v[60:61], v4
	v_ashrrev_i32_e32 v4, 31, v15
	v_and_b32_e32 v21, 0x54442d18, v4
	v_and_b32_e32 v4, 0x400921fb, v4
	v_fma_f64 v[62:63], -v[52:53], v[56:57], 1.0
	v_add_f64_e32 v[50:51], v[58:59], v[54:55]
	v_mul_f64_e32 v[64:65], 0x3fe62e42fefa39ef, v[60:61]
	s_delay_alu instid0(VALU_DEP_3) | instskip(NEXT) | instid1(VALU_DEP_3)
	v_fmac_f64_e32 v[56:57], v[56:57], v[62:63]
	v_add_f64_e64 v[48:49], v[50:51], -v[58:59]
	v_div_scale_f64 v[58:59], vcc_lo, v[42:43], v[46:47], v[42:43]
	s_delay_alu instid0(VALU_DEP_4) | instskip(NEXT) | instid1(VALU_DEP_3)
	v_fma_f64 v[62:63], v[60:61], s[34:35], -v[64:65]
	v_add_f64_e64 v[48:49], v[54:55], -v[48:49]
	s_delay_alu instid0(VALU_DEP_3) | instskip(NEXT) | instid1(VALU_DEP_3)
	v_mul_f64_e32 v[54:55], v[58:59], v[56:57]
	v_fmac_f64_e32 v[62:63], 0x3c7abc9e3b39803f, v[60:61]
	s_delay_alu instid0(VALU_DEP_3) | instskip(NEXT) | instid1(VALU_DEP_3)
	v_add_f64_e32 v[2:3], v[2:3], v[48:49]
	v_fma_f64 v[48:49], -v[52:53], v[54:55], v[58:59]
	s_delay_alu instid0(VALU_DEP_3) | instskip(NEXT) | instid1(VALU_DEP_3)
	v_add_f64_e32 v[52:53], v[64:65], v[62:63]
	v_add_f64_e32 v[58:59], v[50:51], v[2:3]
	s_delay_alu instid0(VALU_DEP_3) | instskip(SKIP_1) | instid1(VALU_DEP_4)
	v_div_fmas_f64 v[48:49], v[48:49], v[56:57], v[54:55]
	v_cmp_gt_i32_e32 vcc_lo, 0, v15
	v_add_f64_e64 v[56:57], v[52:53], -v[64:65]
	v_cndmask_b32_e32 v14, 0x3fe921fb, v69, vcc_lo
	v_cndmask_b32_e32 v12, 0x54442d18, v68, vcc_lo
	s_delay_alu instid0(VALU_DEP_2) | instskip(SKIP_4) | instid1(VALU_DEP_4)
	v_bfi_b32 v14, 0x7fffffff, v14, v17
	v_add_f64_e32 v[54:55], v[52:53], v[58:59]
	v_div_fixup_f64 v[42:43], v[48:49], v[46:47], v[42:43]
	v_add_f64_e64 v[50:51], v[58:59], -v[50:51]
	v_add_f64_e64 v[56:57], v[62:63], -v[56:57]
	;; [unrolled: 1-line block ×3, first 2 shown]
	s_delay_alu instid0(VALU_DEP_4) | instskip(NEXT) | instid1(VALU_DEP_4)
	v_mul_f64_e32 v[48:49], v[42:43], v[42:43]
	v_add_f64_e64 v[2:3], v[2:3], -v[50:51]
	s_delay_alu instid0(VALU_DEP_3) | instskip(NEXT) | instid1(VALU_DEP_3)
	v_add_f64_e64 v[60:61], v[54:55], -v[46:47]
	v_fmamk_f64 v[64:65], v[48:49], 0x3eeba404b5e68a13, v[26:27]
	v_add_f64_e64 v[46:47], v[58:59], -v[46:47]
	s_delay_alu instid0(VALU_DEP_4) | instskip(NEXT) | instid1(VALU_DEP_3)
	v_add_f64_e32 v[58:59], v[56:57], v[2:3]
	v_fmaak_f64 v[64:65], v[48:49], v[64:65], 0x3f4b2bb069efb384
	s_delay_alu instid0(VALU_DEP_1) | instskip(SKIP_1) | instid1(VALU_DEP_2)
	v_fmaak_f64 v[64:65], v[48:49], v[64:65], 0xbf67952daf56de9b
	v_add_f64_e64 v[50:51], v[52:53], -v[60:61]
	v_fmaak_f64 v[52:53], v[48:49], v[64:65], 0x3f7d6d43a595c56f
	s_delay_alu instid0(VALU_DEP_1) | instskip(NEXT) | instid1(VALU_DEP_1)
	v_fmaak_f64 v[52:53], v[48:49], v[52:53], 0xbf8c6ea4a57d9582
	v_fmaak_f64 v[52:53], v[48:49], v[52:53], 0x3f967e295f08b19f
	s_delay_alu instid0(VALU_DEP_1) | instskip(NEXT) | instid1(VALU_DEP_1)
	v_fmaak_f64 v[52:53], v[48:49], v[52:53], 0xbf9e9ae6fc27006a
	v_fmaak_f64 v[52:53], v[48:49], v[52:53], 0x3fa2c15b5711927a
	v_add_f64_e32 v[46:47], v[46:47], v[50:51]
	s_delay_alu instid0(VALU_DEP_2) | instskip(SKIP_1) | instid1(VALU_DEP_2)
	v_fmaak_f64 v[50:51], v[48:49], v[52:53], 0xbfa59976e82d3ff0
	v_add_f64_e64 v[52:53], v[58:59], -v[56:57]
	v_fmaak_f64 v[50:51], v[48:49], v[50:51], 0x3fa82d5d6ef28734
	s_delay_alu instid0(VALU_DEP_1) | instskip(NEXT) | instid1(VALU_DEP_1)
	v_fmaak_f64 v[50:51], v[48:49], v[50:51], 0xbfaae5ce6a214619
	v_fmaak_f64 v[50:51], v[48:49], v[50:51], 0x3fae1bb48427b883
	s_delay_alu instid0(VALU_DEP_1) | instskip(SKIP_3) | instid1(VALU_DEP_4)
	v_fmaak_f64 v[50:51], v[48:49], v[50:51], 0xbfb110e48b207f05
	v_add_f64_e32 v[46:47], v[58:59], v[46:47]
	v_add_f64_e64 v[58:59], v[58:59], -v[52:53]
	v_add_f64_e64 v[2:3], v[2:3], -v[52:53]
	v_fmaak_f64 v[50:51], v[48:49], v[50:51], 0x3fb3b13657b87036
	s_delay_alu instid0(VALU_DEP_1) | instskip(NEXT) | instid1(VALU_DEP_1)
	v_fmaak_f64 v[50:51], v[48:49], v[50:51], 0xbfb745d119378e4f
	v_fmaak_f64 v[50:51], v[48:49], v[50:51], 0x3fbc71c717e1913c
	s_delay_alu instid0(VALU_DEP_1) | instskip(SKIP_1) | instid1(VALU_DEP_2)
	v_fmaak_f64 v[50:51], v[48:49], v[50:51], 0xbfc2492492376b7d
	v_add_f64_e32 v[60:61], v[54:55], v[46:47]
	v_fmaak_f64 v[50:51], v[48:49], v[50:51], 0x3fc99999999952cc
	s_delay_alu instid0(VALU_DEP_1) | instskip(NEXT) | instid1(VALU_DEP_1)
	v_fmaak_f64 v[50:51], v[48:49], v[50:51], 0xbfd5555555555523
	v_mul_f64_e32 v[48:49], v[48:49], v[50:51]
	v_add_f64_e64 v[50:51], v[56:57], -v[58:59]
	v_add_f64_e64 v[52:53], v[60:61], -v[54:55]
	s_delay_alu instid0(VALU_DEP_3) | instskip(NEXT) | instid1(VALU_DEP_3)
	v_fmac_f64_e32 v[42:43], v[42:43], v[48:49]
	v_add_f64_e32 v[2:3], v[2:3], v[50:51]
	s_delay_alu instid0(VALU_DEP_3) | instskip(NEXT) | instid1(VALU_DEP_3)
	v_add_f64_e64 v[46:47], v[46:47], -v[52:53]
	v_add_f64_e64 v[48:49], -v[42:43], s[40:41]
	s_delay_alu instid0(VALU_DEP_2) | instskip(NEXT) | instid1(VALU_DEP_2)
	v_add_f64_e32 v[2:3], v[2:3], v[46:47]
	v_dual_cndmask_b32 v43, v43, v49, s6 :: v_dual_cndmask_b32 v42, v42, v48, s6
                                        ; implicit-def: $vgpr48_vgpr49
	s_delay_alu instid0(VALU_DEP_1) | instskip(NEXT) | instid1(VALU_DEP_3)
	v_add_f64_e64 v[46:47], -v[42:43], s[42:43]
	v_add_f64_e32 v[2:3], v[60:61], v[2:3]
	s_delay_alu instid0(VALU_DEP_2) | instskip(SKIP_1) | instid1(VALU_DEP_1)
	v_dual_cndmask_b32 v42, v42, v46 :: v_dual_cndmask_b32 v15, v43, v47
	s_and_b32 vcc_lo, s10, s11
                                        ; implicit-def: $vgpr46_vgpr47
	v_dual_cndmask_b32 v21, v42, v21, s7 :: v_dual_cndmask_b32 v4, v15, v4, s7
	s_delay_alu instid0(VALU_DEP_1) | instskip(NEXT) | instid1(VALU_DEP_2)
	v_dual_mul_f64 v[2:3], 0.5, v[2:3] :: v_dual_cndmask_b32 v42, v21, v12, vcc_lo
	v_cndmask_b32_e32 v43, v4, v14, vcc_lo
	s_delay_alu instid0(VALU_DEP_2) | instskip(NEXT) | instid1(VALU_DEP_3)
	v_cndmask_b32_e64 v3, 0xfff00000, v3, s8
	v_cndmask_b32_e64 v2, 0, v2, s8
.LBB197_89:                             ;   in Loop: Header=BB197_4 Depth=1
	s_and_not1_saveexec_b32 s57, s9
	s_cbranch_execz .LBB197_93
; %bb.90:                               ;   in Loop: Header=BB197_4 Depth=1
	v_and_b32_e32 v21, 0x7ffffff8, v49
	v_and_b32_e32 v43, 0x7ffffff8, v47
	v_mov_b32_e32 v42, v20
	s_mov_b32 s58, 0
	v_mov_b32_e32 v50, v20
	v_add_f64_e64 v[2:3], v[48:49], -v[20:21]
	s_delay_alu instid0(VALU_DEP_3)
	v_dual_add_f64 v[44:45], v[46:47], -v[42:43] :: v_dual_mov_b32 v48, v20
	v_add_f64_e32 v[52:53], v[20:21], v[20:21]
	v_mul_f64_e32 v[46:47], v[42:43], v[42:43]
	v_add_f64_e32 v[60:61], v[42:43], v[42:43]
	v_and_b32_e32 v49, -8, v3
	v_and_b32_e32 v51, -8, v45
	s_delay_alu instid0(VALU_DEP_2) | instskip(SKIP_1) | instid1(VALU_DEP_3)
	v_add_f64_e64 v[62:63], v[2:3], -v[48:49]
	v_add_f64_e32 v[66:67], v[48:49], v[48:49]
	v_add_f64_e64 v[64:65], v[44:45], -v[50:51]
	v_add_f64_e32 v[70:71], v[50:51], v[50:51]
	v_mul_f64_e32 v[2:3], v[20:21], v[20:21]
	v_mul_f64_e32 v[58:59], v[52:53], v[48:49]
	;; [unrolled: 1-line block ×11, first 2 shown]
.LBB197_91:                             ;   Parent Loop BB197_4 Depth=1
                                        ; =>  This Inner Loop Header: Depth=2
	v_cmp_nlt_f64_e32 vcc_lo, v[2:3], v[46:47]
	v_dual_cndmask_b32 v65, v3, v47 :: v_dual_cndmask_b32 v64, v2, v46
	v_dual_cndmask_b32 v3, v47, v3 :: v_dual_cndmask_b32 v2, v46, v2
	s_delay_alu instid0(VALU_DEP_2) | instskip(NEXT) | instid1(VALU_DEP_1)
	v_cmp_nlt_f64_e64 s7, v[64:65], v[58:59]
	v_dual_cndmask_b32 v67, v65, v59, s7 :: v_dual_cndmask_b32 v66, v64, v58, s7
	v_dual_cndmask_b32 v47, v59, v65, s7 :: v_dual_cndmask_b32 v46, v58, v64, s7
	s_and_b32 s7, vcc_lo, s7
	s_delay_alu instid0(VALU_DEP_2) | instskip(NEXT) | instid1(VALU_DEP_1)
	v_cmp_nlt_f64_e64 s8, v[66:67], v[44:45]
	v_dual_cndmask_b32 v71, v67, v45, s8 :: v_dual_cndmask_b32 v70, v66, v44, s8
	v_dual_cndmask_b32 v59, v45, v67, s8 :: v_dual_cndmask_b32 v58, v44, v66, s8
	s_delay_alu instid0(VALU_DEP_2) | instskip(NEXT) | instid1(VALU_DEP_1)
	v_cmp_nlt_f64_e64 s9, v[70:71], v[56:57]
	v_dual_cndmask_b32 v73, v71, v57, s9 :: v_dual_cndmask_b32 v72, v70, v56, s9
	v_dual_cndmask_b32 v45, v57, v71, s9 :: v_dual_cndmask_b32 v44, v56, v70, s9
	s_and_b32 s8, s8, s9
	s_delay_alu instid0(VALU_DEP_2) | instskip(NEXT) | instid1(VALU_DEP_1)
	v_cmp_nlt_f64_e64 s10, v[72:73], v[42:43]
	v_dual_cndmask_b32 v75, v73, v43, s10 :: v_dual_cndmask_b32 v74, v72, v42, s10
	v_dual_cndmask_b32 v57, v43, v73, s10 :: v_dual_cndmask_b32 v56, v42, v72, s10
	s_delay_alu instid0(VALU_DEP_2) | instskip(NEXT) | instid1(VALU_DEP_1)
	v_cmp_nlt_f64_e64 s11, v[74:75], v[54:55]
	v_dual_cndmask_b32 v77, v75, v55, s11 :: v_dual_cndmask_b32 v76, v74, v54, s11
	s_and_b32 s9, s10, s11
	v_dual_cndmask_b32 v43, v55, v75, s11 :: v_dual_cndmask_b32 v42, v54, v74, s11
	s_delay_alu instid0(VALU_DEP_2) | instskip(NEXT) | instid1(VALU_DEP_1)
	v_cmp_nlt_f64_e64 s12, v[76:77], v[52:53]
	v_dual_cndmask_b32 v79, v77, v53, s12 :: v_dual_cndmask_b32 v78, v76, v52, s12
	s_and_b32 s9, s9, s12
	;; [unrolled: 5-line block ×6, first 2 shown]
	v_dual_cndmask_b32 v61, v63, v85, s16 :: v_dual_cndmask_b32 v60, v62, v84, s16
	s_and_b32 s8, s9, s8
	s_delay_alu instid0(VALU_DEP_2) | instskip(SKIP_1) | instid1(SALU_CYCLE_1)
	v_mov_b64_e32 v[62:63], v[64:65]
	s_and_b32 s7, s8, s7
	s_and_b32 s7, exec_lo, s7
	s_delay_alu instid0(SALU_CYCLE_1) | instskip(NEXT) | instid1(SALU_CYCLE_1)
	s_or_b32 s58, s7, s58
	s_and_not1_b32 exec_lo, exec_lo, s58
	s_cbranch_execnz .LBB197_91
; %bb.92:                               ;   in Loop: Header=BB197_4 Depth=1
	s_or_b32 exec_lo, exec_lo, s58
	v_add_f64_e32 v[2:3], -1.0, v[2:3]
	v_cmp_eq_f64_e64 s7, 0, v[16:17]
	v_cmp_class_f64_e64 s11, v[14:15], 0x204
	v_cmp_class_f64_e64 s10, v[16:17], 0x204
	s_delay_alu instid0(VALU_DEP_4) | instskip(NEXT) | instid1(VALU_DEP_1)
	v_add_f64_e32 v[2:3], v[2:3], v[46:47]
	v_add_f64_e32 v[2:3], v[2:3], v[58:59]
	s_delay_alu instid0(VALU_DEP_1) | instskip(NEXT) | instid1(VALU_DEP_1)
	v_add_f64_e32 v[2:3], v[2:3], v[44:45]
	v_add_f64_e32 v[2:3], v[2:3], v[56:57]
	s_delay_alu instid0(VALU_DEP_1) | instskip(NEXT) | instid1(VALU_DEP_1)
	;; [unrolled: 3-line block ×5, first 2 shown]
	v_add_f64_e32 v[44:45], v[64:65], v[2:3]
	v_add_f64_e32 v[2:3], 1.0, v[44:45]
	s_delay_alu instid0(VALU_DEP_1) | instskip(SKIP_2) | instid1(VALU_DEP_3)
	v_frexp_mant_f64_e32 v[42:43], v[2:3]
	v_frexp_exp_i32_f64_e32 v4, v[2:3]
	v_add_f64_e32 v[46:47], -1.0, v[2:3]
	v_cmp_gt_f64_e32 vcc_lo, s[30:31], v[42:43]
	s_delay_alu instid0(VALU_DEP_2) | instskip(SKIP_2) | instid1(VALU_DEP_1)
	v_add_f64_e64 v[42:43], v[46:47], -v[2:3]
	v_add_f64_e64 v[46:47], v[44:45], -v[46:47]
	v_subrev_co_ci_u32_e64 v4, null, 0, v4, vcc_lo
	v_dual_add_f64 v[42:43], 1.0, v[42:43] :: v_dual_sub_nc_u32 v12, 0, v4
	s_delay_alu instid0(VALU_DEP_1) | instskip(NEXT) | instid1(VALU_DEP_2)
	v_ldexp_f64 v[2:3], v[2:3], v12
	v_add_f64_e32 v[42:43], v[46:47], v[42:43]
	s_delay_alu instid0(VALU_DEP_2) | instskip(SKIP_1) | instid1(VALU_DEP_3)
	v_add_f64_e32 v[48:49], 1.0, v[2:3]
	v_add_f64_e32 v[54:55], -1.0, v[2:3]
	v_ldexp_f64 v[42:43], v[42:43], v12
	s_delay_alu instid0(VALU_DEP_3) | instskip(NEXT) | instid1(VALU_DEP_3)
	v_add_f64_e32 v[46:47], -1.0, v[48:49]
	v_add_f64_e32 v[56:57], 1.0, v[54:55]
	s_delay_alu instid0(VALU_DEP_2) | instskip(NEXT) | instid1(VALU_DEP_2)
	v_add_f64_e64 v[46:47], v[2:3], -v[46:47]
	v_add_f64_e64 v[2:3], v[2:3], -v[56:57]
	s_delay_alu instid0(VALU_DEP_2) | instskip(NEXT) | instid1(VALU_DEP_2)
	v_add_f64_e32 v[46:47], v[42:43], v[46:47]
	v_add_f64_e32 v[2:3], v[42:43], v[2:3]
	s_delay_alu instid0(VALU_DEP_2) | instskip(NEXT) | instid1(VALU_DEP_2)
	v_add_f64_e32 v[50:51], v[48:49], v[46:47]
	v_add_f64_e32 v[56:57], v[54:55], v[2:3]
	s_delay_alu instid0(VALU_DEP_2) | instskip(SKIP_1) | instid1(VALU_DEP_2)
	v_rcp_f64_e32 v[52:53], v[50:51]
	v_add_f64_e64 v[48:49], v[50:51], -v[48:49]
	v_add_f64_e64 v[54:55], v[56:57], -v[54:55]
	s_delay_alu instid0(VALU_DEP_2) | instskip(NEXT) | instid1(VALU_DEP_2)
	v_add_f64_e64 v[46:47], v[46:47], -v[48:49]
	v_add_f64_e64 v[2:3], v[2:3], -v[54:55]
	s_delay_alu instid0(TRANS32_DEP_1) | instskip(NEXT) | instid1(VALU_DEP_1)
	v_fma_f64 v[58:59], -v[50:51], v[52:53], 1.0
	v_fmac_f64_e32 v[52:53], v[58:59], v[52:53]
	s_delay_alu instid0(VALU_DEP_1) | instskip(NEXT) | instid1(VALU_DEP_1)
	v_fma_f64 v[42:43], -v[50:51], v[52:53], 1.0
	v_fmac_f64_e32 v[52:53], v[42:43], v[52:53]
	s_delay_alu instid0(VALU_DEP_1) | instskip(NEXT) | instid1(VALU_DEP_1)
	v_mul_f64_e32 v[42:43], v[56:57], v[52:53]
	v_mul_f64_e32 v[58:59], v[50:51], v[42:43]
	s_delay_alu instid0(VALU_DEP_1) | instskip(NEXT) | instid1(VALU_DEP_1)
	v_fma_f64 v[48:49], v[42:43], v[50:51], -v[58:59]
	v_fmac_f64_e32 v[48:49], v[42:43], v[46:47]
	s_delay_alu instid0(VALU_DEP_1) | instskip(NEXT) | instid1(VALU_DEP_1)
	v_add_f64_e32 v[60:61], v[58:59], v[48:49]
	v_add_f64_e64 v[62:63], v[56:57], -v[60:61]
	v_add_f64_e64 v[54:55], v[60:61], -v[58:59]
	s_delay_alu instid0(VALU_DEP_2) | instskip(NEXT) | instid1(VALU_DEP_2)
	v_add_f64_e64 v[56:57], v[56:57], -v[62:63]
	v_add_f64_e64 v[48:49], v[54:55], -v[48:49]
	s_delay_alu instid0(VALU_DEP_2) | instskip(NEXT) | instid1(VALU_DEP_1)
	v_add_f64_e64 v[56:57], v[56:57], -v[60:61]
	v_add_f64_e32 v[2:3], v[2:3], v[56:57]
	s_delay_alu instid0(VALU_DEP_1) | instskip(NEXT) | instid1(VALU_DEP_1)
	v_add_f64_e32 v[2:3], v[48:49], v[2:3]
	v_add_f64_e32 v[48:49], v[62:63], v[2:3]
	s_delay_alu instid0(VALU_DEP_1) | instskip(SKIP_1) | instid1(VALU_DEP_2)
	v_mul_f64_e32 v[54:55], v[52:53], v[48:49]
	v_add_f64_e64 v[60:61], v[62:63], -v[48:49]
	v_mul_f64_e32 v[56:57], v[50:51], v[54:55]
	s_delay_alu instid0(VALU_DEP_2) | instskip(NEXT) | instid1(VALU_DEP_2)
	v_add_f64_e32 v[2:3], v[2:3], v[60:61]
	v_fma_f64 v[50:51], v[54:55], v[50:51], -v[56:57]
	s_delay_alu instid0(VALU_DEP_1) | instskip(NEXT) | instid1(VALU_DEP_1)
	v_fmac_f64_e32 v[50:51], v[54:55], v[46:47]
	v_add_f64_e32 v[46:47], v[56:57], v[50:51]
	s_delay_alu instid0(VALU_DEP_1) | instskip(SKIP_1) | instid1(VALU_DEP_2)
	v_add_f64_e64 v[58:59], v[48:49], -v[46:47]
	v_add_f64_e64 v[56:57], v[46:47], -v[56:57]
	v_add_f64_e64 v[48:49], v[48:49], -v[58:59]
	s_delay_alu instid0(VALU_DEP_1) | instskip(NEXT) | instid1(VALU_DEP_3)
	v_add_f64_e64 v[46:47], v[48:49], -v[46:47]
	v_add_f64_e64 v[48:49], v[56:57], -v[50:51]
	v_max_num_f64_e64 v[50:51], |v[14:15]|, |v[14:15]|
	s_delay_alu instid0(VALU_DEP_3) | instskip(SKIP_1) | instid1(VALU_DEP_2)
	v_add_f64_e32 v[2:3], v[2:3], v[46:47]
	v_add_f64_e32 v[46:47], v[42:43], v[54:55]
	;; [unrolled: 1-line block ×3, first 2 shown]
	s_delay_alu instid0(VALU_DEP_2) | instskip(SKIP_1) | instid1(VALU_DEP_3)
	v_add_f64_e64 v[42:43], v[46:47], -v[42:43]
	v_max_num_f64_e64 v[48:49], |v[16:17]|, |v[16:17]|
	v_add_f64_e32 v[2:3], v[58:59], v[2:3]
	s_delay_alu instid0(VALU_DEP_3) | instskip(NEXT) | instid1(VALU_DEP_2)
	v_add_f64_e64 v[42:43], v[54:55], -v[42:43]
	v_mul_f64_e32 v[2:3], v[52:53], v[2:3]
	s_delay_alu instid0(VALU_DEP_1) | instskip(SKIP_2) | instid1(VALU_DEP_3)
	v_add_f64_e32 v[2:3], v[42:43], v[2:3]
	v_max_num_f64_e32 v[42:43], v[50:51], v[48:49]
	v_min_num_f64_e32 v[48:49], v[50:51], v[48:49]
	v_add_f64_e32 v[50:51], v[46:47], v[2:3]
	s_delay_alu instid0(VALU_DEP_2) | instskip(NEXT) | instid1(VALU_DEP_2)
	v_div_scale_f64 v[52:53], null, v[42:43], v[42:43], v[48:49]
	v_mul_f64_e32 v[54:55], v[50:51], v[50:51]
	v_add_f64_e64 v[46:47], v[50:51], -v[46:47]
	s_delay_alu instid0(VALU_DEP_3) | instskip(NEXT) | instid1(VALU_DEP_2)
	v_rcp_f64_e32 v[56:57], v[52:53]
	v_fmamk_f64 v[58:59], v[54:55], 0x3fc3ab76bf559e2b, v[24:25]
	v_mul_f64_e32 v[60:61], v[50:51], v[54:55]
	s_delay_alu instid0(VALU_DEP_3) | instskip(NEXT) | instid1(VALU_DEP_3)
	v_add_f64_e64 v[2:3], v[2:3], -v[46:47]
	v_fmaak_f64 v[58:59], v[54:55], v[58:59], 0x3fc7474dd7f4df2e
	s_delay_alu instid0(TRANS32_DEP_1) | instskip(NEXT) | instid1(VALU_DEP_2)
	v_fma_f64 v[62:63], -v[52:53], v[56:57], 1.0
	v_fmaak_f64 v[58:59], v[54:55], v[58:59], 0x3fcc71c016291751
	s_delay_alu instid0(VALU_DEP_1) | instskip(NEXT) | instid1(VALU_DEP_1)
	v_fmaak_f64 v[58:59], v[54:55], v[58:59], 0x3fd249249b27acf1
	v_fmaak_f64 v[58:59], v[54:55], v[58:59], 0x3fd99999998ef7b6
	v_ldexp_f64 v[2:3], v[2:3], 1
	s_delay_alu instid0(VALU_DEP_2) | instskip(SKIP_2) | instid1(VALU_DEP_3)
	v_fmaak_f64 v[54:55], v[54:55], v[58:59], 0x3fe5555555555780
	v_ldexp_f64 v[58:59], v[50:51], 1
	v_fmac_f64_e32 v[56:57], v[56:57], v[62:63]
	v_mul_f64_e32 v[54:55], v[60:61], v[54:55]
	v_cvt_f64_i32_e32 v[60:61], v4
	v_ashrrev_i32_e32 v4, 31, v15
	s_delay_alu instid0(VALU_DEP_1) | instskip(SKIP_4) | instid1(VALU_DEP_3)
	v_and_b32_e32 v21, 0x54442d18, v4
	v_and_b32_e32 v4, 0x400921fb, v4
	v_fma_f64 v[62:63], -v[52:53], v[56:57], 1.0
	v_add_f64_e32 v[50:51], v[58:59], v[54:55]
	v_mul_f64_e32 v[64:65], 0x3fe62e42fefa39ef, v[60:61]
	v_fmac_f64_e32 v[56:57], v[56:57], v[62:63]
	s_delay_alu instid0(VALU_DEP_3) | instskip(SKIP_1) | instid1(VALU_DEP_4)
	v_add_f64_e64 v[46:47], v[50:51], -v[58:59]
	v_div_scale_f64 v[58:59], vcc_lo, v[48:49], v[42:43], v[48:49]
	v_fma_f64 v[62:63], v[60:61], s[34:35], -v[64:65]
	s_delay_alu instid0(VALU_DEP_3) | instskip(NEXT) | instid1(VALU_DEP_3)
	v_add_f64_e64 v[46:47], v[54:55], -v[46:47]
	v_mul_f64_e32 v[54:55], v[58:59], v[56:57]
	s_delay_alu instid0(VALU_DEP_3) | instskip(NEXT) | instid1(VALU_DEP_3)
	v_fmac_f64_e32 v[62:63], 0x3c7abc9e3b39803f, v[60:61]
	v_add_f64_e32 v[2:3], v[2:3], v[46:47]
	s_delay_alu instid0(VALU_DEP_3) | instskip(NEXT) | instid1(VALU_DEP_3)
	v_fma_f64 v[46:47], -v[52:53], v[54:55], v[58:59]
	v_add_f64_e32 v[52:53], v[64:65], v[62:63]
	s_delay_alu instid0(VALU_DEP_3) | instskip(NEXT) | instid1(VALU_DEP_3)
	v_add_f64_e32 v[58:59], v[50:51], v[2:3]
	v_div_fmas_f64 v[46:47], v[46:47], v[56:57], v[54:55]
	v_cmp_gt_i32_e32 vcc_lo, 0, v15
	s_delay_alu instid0(VALU_DEP_4) | instskip(SKIP_2) | instid1(VALU_DEP_1)
	v_add_f64_e64 v[56:57], v[52:53], -v[64:65]
	v_cndmask_b32_e32 v12, 0x54442d18, v68, vcc_lo
	v_cndmask_b32_e32 v14, 0x3fe921fb, v69, vcc_lo
	v_bfi_b32 v14, 0x7fffffff, v14, v17
	v_add_f64_e32 v[54:55], v[52:53], v[58:59]
	v_div_fixup_f64 v[42:43], v[46:47], v[42:43], v[48:49]
	v_add_f64_e64 v[50:51], v[58:59], -v[50:51]
	v_add_f64_e64 v[56:57], v[62:63], -v[56:57]
	s_delay_alu instid0(VALU_DEP_4) | instskip(NEXT) | instid1(VALU_DEP_4)
	v_add_f64_e64 v[46:47], v[54:55], -v[52:53]
	v_mul_f64_e32 v[48:49], v[42:43], v[42:43]
	s_delay_alu instid0(VALU_DEP_4) | instskip(NEXT) | instid1(VALU_DEP_3)
	v_add_f64_e64 v[2:3], v[2:3], -v[50:51]
	v_add_f64_e64 v[60:61], v[54:55], -v[46:47]
	s_delay_alu instid0(VALU_DEP_3) | instskip(SKIP_1) | instid1(VALU_DEP_4)
	v_fmamk_f64 v[64:65], v[48:49], 0x3eeba404b5e68a13, v[26:27]
	v_add_f64_e64 v[46:47], v[58:59], -v[46:47]
	v_add_f64_e32 v[58:59], v[56:57], v[2:3]
	s_delay_alu instid0(VALU_DEP_3) | instskip(SKIP_1) | instid1(VALU_DEP_2)
	v_fmaak_f64 v[64:65], v[48:49], v[64:65], 0x3f4b2bb069efb384
	v_add_f64_e64 v[50:51], v[52:53], -v[60:61]
	v_fmaak_f64 v[52:53], v[48:49], v[64:65], 0xbf67952daf56de9b
	s_delay_alu instid0(VALU_DEP_1) | instskip(NEXT) | instid1(VALU_DEP_1)
	v_fmaak_f64 v[52:53], v[48:49], v[52:53], 0x3f7d6d43a595c56f
	v_fmaak_f64 v[52:53], v[48:49], v[52:53], 0xbf8c6ea4a57d9582
	s_delay_alu instid0(VALU_DEP_1) | instskip(NEXT) | instid1(VALU_DEP_1)
	v_fmaak_f64 v[52:53], v[48:49], v[52:53], 0x3f967e295f08b19f
	v_fmaak_f64 v[52:53], v[48:49], v[52:53], 0xbf9e9ae6fc27006a
	v_add_f64_e32 v[46:47], v[46:47], v[50:51]
	s_delay_alu instid0(VALU_DEP_2) | instskip(SKIP_1) | instid1(VALU_DEP_2)
	v_fmaak_f64 v[50:51], v[48:49], v[52:53], 0x3fa2c15b5711927a
	v_add_f64_e64 v[52:53], v[58:59], -v[56:57]
	v_fmaak_f64 v[50:51], v[48:49], v[50:51], 0xbfa59976e82d3ff0
	s_delay_alu instid0(VALU_DEP_1) | instskip(NEXT) | instid1(VALU_DEP_1)
	v_fmaak_f64 v[50:51], v[48:49], v[50:51], 0x3fa82d5d6ef28734
	v_fmaak_f64 v[50:51], v[48:49], v[50:51], 0xbfaae5ce6a214619
	s_delay_alu instid0(VALU_DEP_1) | instskip(SKIP_3) | instid1(VALU_DEP_4)
	v_fmaak_f64 v[50:51], v[48:49], v[50:51], 0x3fae1bb48427b883
	v_add_f64_e32 v[46:47], v[58:59], v[46:47]
	v_add_f64_e64 v[58:59], v[58:59], -v[52:53]
	v_add_f64_e64 v[2:3], v[2:3], -v[52:53]
	v_fmaak_f64 v[50:51], v[48:49], v[50:51], 0xbfb110e48b207f05
	s_delay_alu instid0(VALU_DEP_1) | instskip(NEXT) | instid1(VALU_DEP_1)
	v_fmaak_f64 v[50:51], v[48:49], v[50:51], 0x3fb3b13657b87036
	v_fmaak_f64 v[50:51], v[48:49], v[50:51], 0xbfb745d119378e4f
	s_delay_alu instid0(VALU_DEP_1) | instskip(SKIP_1) | instid1(VALU_DEP_2)
	v_fmaak_f64 v[50:51], v[48:49], v[50:51], 0x3fbc71c717e1913c
	v_add_f64_e32 v[60:61], v[54:55], v[46:47]
	v_fmaak_f64 v[50:51], v[48:49], v[50:51], 0xbfc2492492376b7d
	s_delay_alu instid0(VALU_DEP_1) | instskip(NEXT) | instid1(VALU_DEP_1)
	v_fmaak_f64 v[50:51], v[48:49], v[50:51], 0x3fc99999999952cc
	v_fmaak_f64 v[50:51], v[48:49], v[50:51], 0xbfd5555555555523
	s_delay_alu instid0(VALU_DEP_1) | instskip(SKIP_2) | instid1(VALU_DEP_3)
	v_mul_f64_e32 v[48:49], v[48:49], v[50:51]
	v_add_f64_e64 v[50:51], v[56:57], -v[58:59]
	v_add_f64_e64 v[52:53], v[60:61], -v[54:55]
	v_fmac_f64_e32 v[42:43], v[42:43], v[48:49]
	s_delay_alu instid0(VALU_DEP_3) | instskip(NEXT) | instid1(VALU_DEP_3)
	v_add_f64_e32 v[2:3], v[2:3], v[50:51]
	v_add_f64_e64 v[46:47], v[46:47], -v[52:53]
	s_delay_alu instid0(VALU_DEP_3) | instskip(NEXT) | instid1(VALU_DEP_2)
	v_add_f64_e64 v[48:49], -v[42:43], s[40:41]
	v_add_f64_e32 v[2:3], v[2:3], v[46:47]
	s_delay_alu instid0(VALU_DEP_2) | instskip(SKIP_2) | instid1(VALU_DEP_3)
	v_dual_cndmask_b32 v43, v43, v49, s6 :: v_dual_cndmask_b32 v42, v42, v48, s6
	v_cmp_nge_f64_e64 s8, -1.0, v[44:45]
	v_cmp_neq_f64_e64 s9, 0x7ff00000, v[44:45]
	v_add_f64_e64 v[46:47], -v[42:43], s[42:43]
	v_add_f64_e32 v[2:3], v[60:61], v[2:3]
	s_delay_alu instid0(VALU_DEP_2) | instskip(SKIP_1) | instid1(VALU_DEP_2)
	v_dual_cndmask_b32 v42, v42, v46 :: v_dual_cndmask_b32 v15, v43, v47
	v_cmp_ngt_f64_e32 vcc_lo, -1.0, v[44:45]
	v_dual_mul_f64 v[2:3], 0.5, v[2:3] :: v_dual_cndmask_b32 v21, v42, v21, s7
	s_delay_alu instid0(VALU_DEP_3)
	v_cndmask_b32_e64 v4, v15, v4, s7
	s_and_b32 s7, s8, s9
	s_delay_alu instid0(VALU_DEP_2) | instid1(SALU_CYCLE_1)
	v_cndmask_b32_e64 v2, 0, v2, s7
	v_cmp_neq_f64_e64 s7, -1.0, v[44:45]
	s_delay_alu instid0(VALU_DEP_4) | instskip(NEXT) | instid1(VALU_DEP_1)
	v_cndmask_b32_e64 v3, 0x7ff00000, v3, s9
	v_cndmask_b32_e32 v3, 0x7ff80000, v3, vcc_lo
	s_and_b32 vcc_lo, s10, s11
	v_dual_cndmask_b32 v43, v4, v14 :: v_dual_cndmask_b32 v42, v21, v12
	s_delay_alu instid0(VALU_DEP_2)
	v_cndmask_b32_e64 v3, 0xfff00000, v3, s7
.LBB197_93:                             ;   in Loop: Header=BB197_4 Depth=1
	s_or_b32 exec_lo, exec_lo, s57
.LBB197_94:                             ;   in Loop: Header=BB197_4 Depth=1
	s_delay_alu instid0(SALU_CYCLE_1)
	s_or_b32 exec_lo, exec_lo, s56
.LBB197_95:                             ;   in Loop: Header=BB197_4 Depth=1
	s_and_not1_saveexec_b32 s9, s55
	s_cbranch_execz .LBB197_97
; %bb.96:                               ;   in Loop: Header=BB197_4 Depth=1
	v_max_num_f64_e64 v[2:3], |v[16:17]|, |v[16:17]|
	v_max_num_f64_e64 v[42:43], |v[14:15]|, |v[14:15]|
	v_cmp_class_f64_e64 s10, v[14:15], 0x204
	v_cmp_class_f64_e64 s11, v[16:17], 0x204
	v_cmp_eq_f64_e64 s8, 0, v[16:17]
	s_delay_alu instid0(VALU_DEP_4) | instskip(SKIP_2) | instid1(VALU_DEP_2)
	v_max_num_f64_e32 v[44:45], v[42:43], v[2:3]
	v_min_num_f64_e32 v[2:3], v[42:43], v[2:3]
	s_or_b32 s7, s11, s10
	v_frexp_exp_i32_f64_e32 v4, v[44:45]
	s_delay_alu instid0(VALU_DEP_1) | instskip(NEXT) | instid1(VALU_DEP_1)
	v_sub_nc_u32_e32 v12, 0, v4
	v_ldexp_f64 v[46:47], |v[16:17]|, v12
	v_ldexp_f64 v[48:49], |v[14:15]|, v12
	s_delay_alu instid0(VALU_DEP_2) | instskip(NEXT) | instid1(VALU_DEP_1)
	v_mul_f64_e32 v[46:47], v[46:47], v[46:47]
	v_fmac_f64_e32 v[46:47], v[48:49], v[48:49]
	s_delay_alu instid0(VALU_DEP_1) | instskip(SKIP_1) | instid1(TRANS32_DEP_1)
	v_rsq_f64_e32 v[48:49], v[46:47]
	v_cmp_eq_f64_e32 vcc_lo, 0, v[46:47]
	v_mul_f64_e32 v[50:51], v[46:47], v[48:49]
	v_mul_f64_e32 v[48:49], 0.5, v[48:49]
	s_delay_alu instid0(VALU_DEP_1) | instskip(NEXT) | instid1(VALU_DEP_1)
	v_fma_f64 v[52:53], -v[48:49], v[50:51], 0.5
	v_fmac_f64_e32 v[50:51], v[50:51], v[52:53]
	v_fmac_f64_e32 v[48:49], v[48:49], v[52:53]
	s_delay_alu instid0(VALU_DEP_2) | instskip(NEXT) | instid1(VALU_DEP_1)
	v_fma_f64 v[52:53], -v[50:51], v[50:51], v[46:47]
	v_fmac_f64_e32 v[50:51], v[52:53], v[48:49]
	s_delay_alu instid0(VALU_DEP_1) | instskip(NEXT) | instid1(VALU_DEP_1)
	v_dual_cndmask_b32 v47, v51, v47 :: v_dual_cndmask_b32 v46, v50, v46
	v_ldexp_f64 v[46:47], v[46:47], v4
	s_delay_alu instid0(VALU_DEP_1) | instskip(NEXT) | instid1(VALU_DEP_2)
	v_cndmask_b32_e64 v47, v47, 0x7ff00000, s7
	v_cndmask_b32_e64 v46, v46, 0, s7
	s_delay_alu instid0(VALU_DEP_1) | instskip(SKIP_1) | instid1(VALU_DEP_2)
	v_frexp_mant_f64_e32 v[48:49], v[46:47]
	v_cmp_class_f64_e64 s7, v[46:47], 0x204
	v_cmp_gt_f64_e32 vcc_lo, s[30:31], v[48:49]
	v_cndmask_b32_e64 v4, 0, 1, vcc_lo
	s_delay_alu instid0(VALU_DEP_1) | instskip(SKIP_1) | instid1(VALU_DEP_2)
	v_ldexp_f64 v[48:49], v[48:49], v4
	v_frexp_exp_i32_f64_e32 v4, v[46:47]
	v_add_f64_e32 v[50:51], 1.0, v[48:49]
	v_add_f64_e32 v[56:57], -1.0, v[48:49]
	s_delay_alu instid0(VALU_DEP_3) | instskip(SKIP_1) | instid1(VALU_DEP_4)
	v_subrev_co_ci_u32_e64 v4, null, 0, v4, vcc_lo
	v_div_scale_f64 v[64:65], vcc_lo, v[2:3], v[44:45], v[2:3]
	v_rcp_f64_e32 v[52:53], v[50:51]
	v_add_f64_e32 v[58:59], -1.0, v[50:51]
	s_delay_alu instid0(VALU_DEP_1) | instskip(NEXT) | instid1(TRANS32_DEP_1)
	v_add_f64_e64 v[48:49], v[48:49], -v[58:59]
	v_fma_f64 v[54:55], -v[50:51], v[52:53], 1.0
	s_delay_alu instid0(VALU_DEP_1) | instskip(NEXT) | instid1(VALU_DEP_1)
	v_fmac_f64_e32 v[52:53], v[54:55], v[52:53]
	v_fma_f64 v[54:55], -v[50:51], v[52:53], 1.0
	s_delay_alu instid0(VALU_DEP_1) | instskip(NEXT) | instid1(VALU_DEP_1)
	v_fmac_f64_e32 v[52:53], v[54:55], v[52:53]
	v_mul_f64_e32 v[54:55], v[56:57], v[52:53]
	s_delay_alu instid0(VALU_DEP_1) | instskip(NEXT) | instid1(VALU_DEP_1)
	v_mul_f64_e32 v[60:61], v[50:51], v[54:55]
	v_fma_f64 v[50:51], v[54:55], v[50:51], -v[60:61]
	s_delay_alu instid0(VALU_DEP_1) | instskip(NEXT) | instid1(VALU_DEP_1)
	v_fmac_f64_e32 v[50:51], v[54:55], v[48:49]
	v_add_f64_e32 v[48:49], v[60:61], v[50:51]
	s_delay_alu instid0(VALU_DEP_1) | instskip(SKIP_1) | instid1(VALU_DEP_2)
	v_add_f64_e64 v[58:59], v[56:57], -v[48:49]
	v_add_f64_e64 v[60:61], v[48:49], -v[60:61]
	;; [unrolled: 1-line block ×3, first 2 shown]
	s_delay_alu instid0(VALU_DEP_2) | instskip(NEXT) | instid1(VALU_DEP_2)
	v_add_f64_e64 v[50:51], v[60:61], -v[50:51]
	v_add_f64_e64 v[48:49], v[56:57], -v[48:49]
	s_delay_alu instid0(VALU_DEP_1) | instskip(NEXT) | instid1(VALU_DEP_1)
	v_add_f64_e32 v[48:49], v[50:51], v[48:49]
	v_add_f64_e32 v[48:49], v[58:59], v[48:49]
	s_delay_alu instid0(VALU_DEP_1) | instskip(SKIP_1) | instid1(VALU_DEP_2)
	v_mul_f64_e32 v[42:43], v[52:53], v[48:49]
	v_div_scale_f64 v[48:49], null, v[44:45], v[44:45], v[2:3]
	v_add_f64_e32 v[50:51], v[54:55], v[42:43]
	s_delay_alu instid0(VALU_DEP_2) | instskip(NEXT) | instid1(VALU_DEP_1)
	v_rcp_f64_e32 v[52:53], v[48:49]
	v_mul_f64_e32 v[56:57], v[50:51], v[50:51]
	s_delay_alu instid0(TRANS32_DEP_1) | instskip(NEXT) | instid1(VALU_DEP_2)
	v_fma_f64 v[60:61], -v[48:49], v[52:53], 1.0
	v_fmamk_f64 v[58:59], v[56:57], 0x3fc3ab76bf559e2b, v[24:25]
	v_mul_f64_e32 v[62:63], v[50:51], v[56:57]
	s_delay_alu instid0(VALU_DEP_3) | instskip(NEXT) | instid1(VALU_DEP_3)
	v_fmac_f64_e32 v[52:53], v[52:53], v[60:61]
	v_fmaak_f64 v[58:59], v[56:57], v[58:59], 0x3fc7474dd7f4df2e
	s_delay_alu instid0(VALU_DEP_1) | instskip(NEXT) | instid1(VALU_DEP_1)
	v_fmaak_f64 v[58:59], v[56:57], v[58:59], 0x3fcc71c016291751
	v_fmaak_f64 v[58:59], v[56:57], v[58:59], 0x3fd249249b27acf1
	s_delay_alu instid0(VALU_DEP_1) | instskip(NEXT) | instid1(VALU_DEP_1)
	v_fmaak_f64 v[58:59], v[56:57], v[58:59], 0x3fd99999998ef7b6
	v_fmaak_f64 v[56:57], v[56:57], v[58:59], 0x3fe5555555555780
	v_ldexp_f64 v[58:59], v[50:51], 1
	v_add_f64_e64 v[50:51], v[50:51], -v[54:55]
	v_fma_f64 v[60:61], -v[48:49], v[52:53], 1.0
	s_delay_alu instid0(VALU_DEP_4) | instskip(SKIP_2) | instid1(VALU_DEP_1)
	v_mul_f64_e32 v[56:57], v[62:63], v[56:57]
	v_cvt_f64_i32_e32 v[62:63], v4
	v_ashrrev_i32_e32 v4, 31, v15
	v_and_b32_e32 v21, 0x54442d18, v4
	v_and_b32_e32 v4, 0x400921fb, v4
	v_add_f64_e64 v[42:43], v[42:43], -v[50:51]
	v_fmac_f64_e32 v[52:53], v[52:53], v[60:61]
	v_add_f64_e32 v[54:55], v[58:59], v[56:57]
	v_mul_f64_e32 v[60:61], 0x3fe62e42fefa39ef, v[62:63]
	s_delay_alu instid0(VALU_DEP_4) | instskip(NEXT) | instid1(VALU_DEP_3)
	v_ldexp_f64 v[42:43], v[42:43], 1
	v_add_f64_e64 v[50:51], v[54:55], -v[58:59]
	v_mul_f64_e32 v[58:59], v[64:65], v[52:53]
	s_delay_alu instid0(VALU_DEP_4) | instskip(NEXT) | instid1(VALU_DEP_3)
	v_fma_f64 v[66:67], v[62:63], s[34:35], -v[60:61]
	v_add_f64_e64 v[50:51], v[56:57], -v[50:51]
	s_delay_alu instid0(VALU_DEP_3) | instskip(NEXT) | instid1(VALU_DEP_3)
	v_fma_f64 v[48:49], -v[48:49], v[58:59], v[64:65]
	v_fmac_f64_e32 v[66:67], 0x3c7abc9e3b39803f, v[62:63]
	s_delay_alu instid0(VALU_DEP_3) | instskip(NEXT) | instid1(VALU_DEP_3)
	v_add_f64_e32 v[42:43], v[42:43], v[50:51]
	v_div_fmas_f64 v[48:49], v[48:49], v[52:53], v[58:59]
	s_delay_alu instid0(VALU_DEP_3)
	v_add_f64_e32 v[50:51], v[60:61], v[66:67]
	v_cmp_gt_i32_e32 vcc_lo, 0, v15
	v_cndmask_b32_e32 v12, 0x54442d18, v68, vcc_lo
	v_add_f64_e32 v[52:53], v[54:55], v[42:43]
	v_div_fixup_f64 v[2:3], v[48:49], v[44:45], v[2:3]
	v_add_f64_e64 v[60:61], v[50:51], -v[60:61]
	s_delay_alu instid0(VALU_DEP_3) | instskip(NEXT) | instid1(VALU_DEP_3)
	v_add_f64_e32 v[44:45], v[50:51], v[52:53]
	v_mul_f64_e32 v[48:49], v[2:3], v[2:3]
	v_add_f64_e64 v[54:55], v[52:53], -v[54:55]
	s_delay_alu instid0(VALU_DEP_4) | instskip(NEXT) | instid1(VALU_DEP_4)
	v_add_f64_e64 v[60:61], v[66:67], -v[60:61]
	v_add_f64_e64 v[56:57], v[44:45], -v[50:51]
	s_delay_alu instid0(VALU_DEP_4) | instskip(NEXT) | instid1(VALU_DEP_4)
	v_fmamk_f64 v[58:59], v[48:49], 0x3eeba404b5e68a13, v[26:27]
	v_add_f64_e64 v[42:43], v[42:43], -v[54:55]
	s_delay_alu instid0(VALU_DEP_2) | instskip(NEXT) | instid1(VALU_DEP_1)
	v_fmaak_f64 v[58:59], v[48:49], v[58:59], 0x3f4b2bb069efb384
	v_fmaak_f64 v[58:59], v[48:49], v[58:59], 0xbf67952daf56de9b
	s_delay_alu instid0(VALU_DEP_1) | instskip(NEXT) | instid1(VALU_DEP_1)
	v_fmaak_f64 v[58:59], v[48:49], v[58:59], 0x3f7d6d43a595c56f
	v_fmaak_f64 v[58:59], v[48:49], v[58:59], 0xbf8c6ea4a57d9582
	v_add_f64_e64 v[62:63], v[44:45], -v[56:57]
	v_add_f64_e64 v[52:53], v[52:53], -v[56:57]
	v_add_f64_e32 v[56:57], v[60:61], v[42:43]
	s_delay_alu instid0(VALU_DEP_4) | instskip(NEXT) | instid1(VALU_DEP_1)
	v_fmaak_f64 v[58:59], v[48:49], v[58:59], 0x3f967e295f08b19f
	v_fmaak_f64 v[54:55], v[48:49], v[58:59], 0xbf9e9ae6fc27006a
	s_delay_alu instid0(VALU_DEP_1) | instskip(NEXT) | instid1(VALU_DEP_1)
	v_fmaak_f64 v[54:55], v[48:49], v[54:55], 0x3fa2c15b5711927a
	v_fmaak_f64 v[54:55], v[48:49], v[54:55], 0xbfa59976e82d3ff0
	s_delay_alu instid0(VALU_DEP_1) | instskip(SKIP_1) | instid1(VALU_DEP_2)
	v_fmaak_f64 v[54:55], v[48:49], v[54:55], 0x3fa82d5d6ef28734
	v_add_f64_e64 v[50:51], v[50:51], -v[62:63]
	v_fmaak_f64 v[54:55], v[48:49], v[54:55], 0xbfaae5ce6a214619
	s_delay_alu instid0(VALU_DEP_2) | instskip(NEXT) | instid1(VALU_DEP_2)
	v_add_f64_e32 v[50:51], v[52:53], v[50:51]
	v_fmaak_f64 v[52:53], v[48:49], v[54:55], 0x3fae1bb48427b883
	v_add_f64_e64 v[54:55], v[56:57], -v[60:61]
	s_delay_alu instid0(VALU_DEP_2) | instskip(NEXT) | instid1(VALU_DEP_1)
	v_fmaak_f64 v[52:53], v[48:49], v[52:53], 0xbfb110e48b207f05
	v_fmaak_f64 v[52:53], v[48:49], v[52:53], 0x3fb3b13657b87036
	s_delay_alu instid0(VALU_DEP_1) | instskip(NEXT) | instid1(VALU_DEP_1)
	v_fmaak_f64 v[52:53], v[48:49], v[52:53], 0xbfb745d119378e4f
	v_fmaak_f64 v[52:53], v[48:49], v[52:53], 0x3fbc71c717e1913c
	v_add_f64_e32 v[50:51], v[56:57], v[50:51]
	v_add_f64_e64 v[42:43], v[42:43], -v[54:55]
	s_delay_alu instid0(VALU_DEP_3) | instskip(NEXT) | instid1(VALU_DEP_1)
	v_fmaak_f64 v[52:53], v[48:49], v[52:53], 0xbfc2492492376b7d
	v_fmaak_f64 v[52:53], v[48:49], v[52:53], 0x3fc99999999952cc
	s_delay_alu instid0(VALU_DEP_1) | instskip(NEXT) | instid1(VALU_DEP_1)
	v_fmaak_f64 v[52:53], v[48:49], v[52:53], 0xbfd5555555555523
	v_mul_f64_e32 v[48:49], v[48:49], v[52:53]
	v_add_f64_e64 v[52:53], v[56:57], -v[54:55]
	v_add_f64_e32 v[56:57], v[44:45], v[50:51]
	s_delay_alu instid0(VALU_DEP_3) | instskip(NEXT) | instid1(VALU_DEP_3)
	v_fmac_f64_e32 v[2:3], v[2:3], v[48:49]
	v_add_f64_e64 v[48:49], v[60:61], -v[52:53]
	s_delay_alu instid0(VALU_DEP_3) | instskip(NEXT) | instid1(VALU_DEP_3)
	v_add_f64_e64 v[44:45], v[56:57], -v[44:45]
	v_add_f64_e64 v[52:53], -v[2:3], s[40:41]
	s_delay_alu instid0(VALU_DEP_3) | instskip(NEXT) | instid1(VALU_DEP_3)
	v_add_f64_e32 v[42:43], v[42:43], v[48:49]
	v_add_f64_e64 v[44:45], v[50:51], -v[44:45]
	s_delay_alu instid0(VALU_DEP_3) | instskip(NEXT) | instid1(VALU_DEP_2)
	v_dual_cndmask_b32 v3, v3, v53, s6 :: v_dual_cndmask_b32 v2, v2, v52, s6
	v_add_f64_e32 v[42:43], v[42:43], v[44:45]
	s_delay_alu instid0(VALU_DEP_2) | instskip(NEXT) | instid1(VALU_DEP_1)
	v_add_f64_e64 v[44:45], -v[2:3], s[42:43]
	v_dual_add_f64 v[14:15], v[56:57], v[42:43] :: v_dual_cndmask_b32 v2, v2, v44, vcc_lo
	v_cndmask_b32_e32 v42, 0x3fe921fb, v69, vcc_lo
	s_delay_alu instid0(VALU_DEP_3) | instskip(SKIP_1) | instid1(VALU_DEP_4)
	v_cndmask_b32_e32 v3, v3, v45, vcc_lo
	v_cmp_ngt_f64_e32 vcc_lo, 0, v[46:47]
	v_cndmask_b32_e64 v21, v2, v21, s8
	s_delay_alu instid0(VALU_DEP_4) | instskip(NEXT) | instid1(VALU_DEP_4)
	v_bfi_b32 v42, 0x7fffffff, v42, v17
	v_dual_cndmask_b32 v2, v3, v4, s8 :: v_dual_cndmask_b32 v14, v14, v46, s7
	v_cndmask_b32_e64 v15, v15, v47, s7
	v_cmp_nge_f64_e64 s7, 0, v[46:47]
	s_delay_alu instid0(VALU_DEP_2) | instskip(SKIP_4) | instid1(VALU_DEP_1)
	v_cndmask_b32_e32 v3, 0x7ff80000, v15, vcc_lo
	s_and_b32 vcc_lo, s11, s10
	v_dual_cndmask_b32 v43, v2, v42 :: v_dual_cndmask_b32 v42, v21, v12
	v_cndmask_b32_e64 v2, 0, v14, s7
	v_cmp_neq_f64_e64 s7, 0, v[46:47]
	v_cndmask_b32_e64 v3, 0xfff00000, v3, s7
.LBB197_97:                             ;   in Loop: Header=BB197_4 Depth=1
	s_or_b32 exec_lo, exec_lo, s9
                                        ; implicit-def: $vgpr46_vgpr47
.LBB197_98:                             ;   in Loop: Header=BB197_4 Depth=1
	s_and_not1_saveexec_b32 s9, s54
	s_cbranch_execz .LBB197_104
; %bb.99:                               ;   in Loop: Header=BB197_4 Depth=1
                                        ; implicit-def: $vgpr2_vgpr3
                                        ; implicit-def: $vgpr42_vgpr43
	s_mov_b32 s7, exec_lo
	v_cmpx_ngt_f64_e32 s[46:47], v[46:47]
	s_xor_b32 s10, exec_lo, s7
	s_cbranch_execz .LBB197_101
; %bb.100:                              ;   in Loop: Header=BB197_4 Depth=1
	v_mul_f64_e32 v[2:3], v[46:47], v[46:47]
	v_cmp_eq_f64_e64 s7, 0, v[16:17]
	v_cmp_class_f64_e64 s11, v[16:17], 0x204
	v_cmp_class_f64_e64 s12, v[14:15], 0x204
	s_delay_alu instid0(VALU_DEP_4) | instskip(NEXT) | instid1(VALU_DEP_1)
	v_add_f64_e32 v[42:43], 1.0, v[2:3]
	v_frexp_mant_f64_e32 v[44:45], v[42:43]
	v_frexp_exp_i32_f64_e32 v4, v[42:43]
	v_add_f64_e32 v[46:47], -1.0, v[42:43]
	s_delay_alu instid0(VALU_DEP_3) | instskip(NEXT) | instid1(VALU_DEP_2)
	v_cmp_gt_f64_e32 vcc_lo, s[30:31], v[44:45]
	v_add_f64_e64 v[44:45], v[46:47], -v[42:43]
	s_delay_alu instid0(VALU_DEP_4) | instskip(NEXT) | instid1(VALU_DEP_2)
	v_subrev_co_ci_u32_e64 v4, null, 0, v4, vcc_lo
	v_add_f64_e32 v[44:45], 1.0, v[44:45]
	s_delay_alu instid0(VALU_DEP_2) | instskip(SKIP_1) | instid1(VALU_DEP_2)
	v_dual_add_f64 v[46:47], v[2:3], -v[46:47] :: v_dual_sub_nc_u32 v12, 0, v4
	v_cmp_neq_f64_e64 s8, 0x7ff00000, v[2:3]
	v_ldexp_f64 v[42:43], v[42:43], v12
	s_delay_alu instid0(VALU_DEP_3) | instskip(NEXT) | instid1(VALU_DEP_2)
	v_add_f64_e32 v[44:45], v[46:47], v[44:45]
	v_add_f64_e32 v[48:49], 1.0, v[42:43]
	v_add_f64_e32 v[54:55], -1.0, v[42:43]
	s_delay_alu instid0(VALU_DEP_3) | instskip(NEXT) | instid1(VALU_DEP_3)
	v_ldexp_f64 v[44:45], v[44:45], v12
	v_add_f64_e32 v[46:47], -1.0, v[48:49]
	s_delay_alu instid0(VALU_DEP_3) | instskip(NEXT) | instid1(VALU_DEP_2)
	v_add_f64_e32 v[56:57], 1.0, v[54:55]
	v_add_f64_e64 v[46:47], v[42:43], -v[46:47]
	s_delay_alu instid0(VALU_DEP_2) | instskip(NEXT) | instid1(VALU_DEP_2)
	v_add_f64_e64 v[42:43], v[42:43], -v[56:57]
	v_add_f64_e32 v[46:47], v[44:45], v[46:47]
	s_delay_alu instid0(VALU_DEP_2) | instskip(NEXT) | instid1(VALU_DEP_2)
	v_add_f64_e32 v[42:43], v[44:45], v[42:43]
	v_add_f64_e32 v[50:51], v[48:49], v[46:47]
	s_delay_alu instid0(VALU_DEP_2) | instskip(NEXT) | instid1(VALU_DEP_2)
	v_add_f64_e32 v[56:57], v[54:55], v[42:43]
	v_rcp_f64_e32 v[52:53], v[50:51]
	v_add_f64_e64 v[48:49], v[48:49], -v[50:51]
	s_delay_alu instid0(VALU_DEP_2) | instskip(NEXT) | instid1(VALU_DEP_2)
	v_add_f64_e64 v[54:55], v[54:55], -v[56:57]
	v_add_f64_e32 v[46:47], v[46:47], v[48:49]
	s_delay_alu instid0(VALU_DEP_2) | instskip(NEXT) | instid1(TRANS32_DEP_1)
	v_add_f64_e32 v[42:43], v[42:43], v[54:55]
	v_fma_f64 v[58:59], -v[50:51], v[52:53], 1.0
	s_delay_alu instid0(VALU_DEP_1) | instskip(NEXT) | instid1(VALU_DEP_1)
	v_fmac_f64_e32 v[52:53], v[58:59], v[52:53]
	v_fma_f64 v[44:45], -v[50:51], v[52:53], 1.0
	s_delay_alu instid0(VALU_DEP_1) | instskip(NEXT) | instid1(VALU_DEP_1)
	v_fmac_f64_e32 v[52:53], v[44:45], v[52:53]
	v_mul_f64_e32 v[44:45], v[56:57], v[52:53]
	s_delay_alu instid0(VALU_DEP_1) | instskip(NEXT) | instid1(VALU_DEP_1)
	v_mul_f64_e32 v[58:59], v[50:51], v[44:45]
	v_fma_f64 v[48:49], v[44:45], v[50:51], -v[58:59]
	s_delay_alu instid0(VALU_DEP_1) | instskip(NEXT) | instid1(VALU_DEP_1)
	v_fmac_f64_e32 v[48:49], v[44:45], v[46:47]
	v_add_f64_e32 v[60:61], v[58:59], v[48:49]
	s_delay_alu instid0(VALU_DEP_1) | instskip(SKIP_1) | instid1(VALU_DEP_2)
	v_add_f64_e64 v[62:63], v[56:57], -v[60:61]
	v_add_f64_e64 v[54:55], v[60:61], -v[58:59]
	;; [unrolled: 1-line block ×3, first 2 shown]
	s_delay_alu instid0(VALU_DEP_2) | instskip(NEXT) | instid1(VALU_DEP_2)
	v_add_f64_e64 v[48:49], v[54:55], -v[48:49]
	v_add_f64_e64 v[56:57], v[56:57], -v[60:61]
	s_delay_alu instid0(VALU_DEP_1) | instskip(NEXT) | instid1(VALU_DEP_1)
	v_add_f64_e32 v[42:43], v[42:43], v[56:57]
	v_add_f64_e32 v[42:43], v[48:49], v[42:43]
	s_delay_alu instid0(VALU_DEP_1) | instskip(NEXT) | instid1(VALU_DEP_1)
	v_add_f64_e32 v[48:49], v[62:63], v[42:43]
	v_mul_f64_e32 v[54:55], v[52:53], v[48:49]
	v_add_f64_e64 v[60:61], v[62:63], -v[48:49]
	s_delay_alu instid0(VALU_DEP_2) | instskip(NEXT) | instid1(VALU_DEP_2)
	v_mul_f64_e32 v[56:57], v[50:51], v[54:55]
	v_add_f64_e32 v[42:43], v[42:43], v[60:61]
	s_delay_alu instid0(VALU_DEP_2) | instskip(NEXT) | instid1(VALU_DEP_1)
	v_fma_f64 v[50:51], v[54:55], v[50:51], -v[56:57]
	v_fmac_f64_e32 v[50:51], v[54:55], v[46:47]
	s_delay_alu instid0(VALU_DEP_1) | instskip(NEXT) | instid1(VALU_DEP_1)
	v_add_f64_e32 v[46:47], v[56:57], v[50:51]
	v_add_f64_e64 v[58:59], v[48:49], -v[46:47]
	v_add_f64_e64 v[56:57], v[46:47], -v[56:57]
	s_delay_alu instid0(VALU_DEP_2) | instskip(NEXT) | instid1(VALU_DEP_1)
	v_add_f64_e64 v[48:49], v[48:49], -v[58:59]
	v_add_f64_e64 v[46:47], v[48:49], -v[46:47]
	s_delay_alu instid0(VALU_DEP_3) | instskip(SKIP_1) | instid1(VALU_DEP_3)
	v_add_f64_e64 v[48:49], v[56:57], -v[50:51]
	v_max_num_f64_e64 v[50:51], |v[14:15]|, |v[14:15]|
	v_add_f64_e32 v[42:43], v[42:43], v[46:47]
	v_add_f64_e32 v[46:47], v[44:45], v[54:55]
	s_delay_alu instid0(VALU_DEP_2) | instskip(NEXT) | instid1(VALU_DEP_2)
	v_add_f64_e32 v[42:43], v[48:49], v[42:43]
	v_add_f64_e64 v[44:45], v[46:47], -v[44:45]
	v_max_num_f64_e64 v[48:49], |v[16:17]|, |v[16:17]|
	s_delay_alu instid0(VALU_DEP_3) | instskip(NEXT) | instid1(VALU_DEP_3)
	v_add_f64_e32 v[42:43], v[58:59], v[42:43]
	v_add_f64_e64 v[44:45], v[54:55], -v[44:45]
	s_delay_alu instid0(VALU_DEP_2) | instskip(NEXT) | instid1(VALU_DEP_1)
	v_mul_f64_e32 v[42:43], v[52:53], v[42:43]
	v_add_f64_e32 v[42:43], v[44:45], v[42:43]
	v_max_num_f64_e32 v[44:45], v[50:51], v[48:49]
	v_min_num_f64_e32 v[48:49], v[50:51], v[48:49]
	s_delay_alu instid0(VALU_DEP_3) | instskip(NEXT) | instid1(VALU_DEP_2)
	v_add_f64_e32 v[50:51], v[46:47], v[42:43]
	v_div_scale_f64 v[52:53], null, v[44:45], v[44:45], v[48:49]
	s_delay_alu instid0(VALU_DEP_2) | instskip(SKIP_1) | instid1(VALU_DEP_3)
	v_mul_f64_e32 v[54:55], v[50:51], v[50:51]
	v_add_f64_e64 v[46:47], v[50:51], -v[46:47]
	v_rcp_f64_e32 v[56:57], v[52:53]
	s_delay_alu instid0(VALU_DEP_2) | instskip(SKIP_1) | instid1(VALU_DEP_3)
	v_fmamk_f64 v[58:59], v[54:55], 0x3fc3ab76bf559e2b, v[24:25]
	v_mul_f64_e32 v[60:61], v[50:51], v[54:55]
	v_add_f64_e64 v[42:43], v[42:43], -v[46:47]
	s_delay_alu instid0(VALU_DEP_3) | instskip(NEXT) | instid1(TRANS32_DEP_1)
	v_fmaak_f64 v[58:59], v[54:55], v[58:59], 0x3fc7474dd7f4df2e
	v_fma_f64 v[62:63], -v[52:53], v[56:57], 1.0
	s_delay_alu instid0(VALU_DEP_2) | instskip(NEXT) | instid1(VALU_DEP_1)
	v_fmaak_f64 v[58:59], v[54:55], v[58:59], 0x3fcc71c016291751
	v_fmaak_f64 v[58:59], v[54:55], v[58:59], 0x3fd249249b27acf1
	s_delay_alu instid0(VALU_DEP_1) | instskip(SKIP_1) | instid1(VALU_DEP_2)
	v_fmaak_f64 v[58:59], v[54:55], v[58:59], 0x3fd99999998ef7b6
	v_ldexp_f64 v[42:43], v[42:43], 1
	v_fmaak_f64 v[54:55], v[54:55], v[58:59], 0x3fe5555555555780
	v_ldexp_f64 v[58:59], v[50:51], 1
	v_fmac_f64_e32 v[56:57], v[56:57], v[62:63]
	s_delay_alu instid0(VALU_DEP_3) | instskip(SKIP_2) | instid1(VALU_DEP_1)
	v_mul_f64_e32 v[54:55], v[60:61], v[54:55]
	v_cvt_f64_i32_e32 v[60:61], v4
	v_ashrrev_i32_e32 v4, 31, v15
	v_and_b32_e32 v21, 0x54442d18, v4
	v_and_b32_e32 v3, 0x400921fb, v4
	v_fma_f64 v[62:63], -v[52:53], v[56:57], 1.0
	v_add_f64_e32 v[50:51], v[58:59], v[54:55]
	v_mul_f64_e32 v[64:65], 0x3fe62e42fefa39ef, v[60:61]
	s_delay_alu instid0(VALU_DEP_3) | instskip(NEXT) | instid1(VALU_DEP_3)
	v_fmac_f64_e32 v[56:57], v[56:57], v[62:63]
	v_add_f64_e64 v[46:47], v[50:51], -v[58:59]
	v_div_scale_f64 v[58:59], vcc_lo, v[48:49], v[44:45], v[48:49]
	s_delay_alu instid0(VALU_DEP_4) | instskip(NEXT) | instid1(VALU_DEP_3)
	v_fma_f64 v[62:63], v[60:61], s[34:35], -v[64:65]
	v_add_f64_e64 v[46:47], v[54:55], -v[46:47]
	s_delay_alu instid0(VALU_DEP_3) | instskip(NEXT) | instid1(VALU_DEP_3)
	v_mul_f64_e32 v[54:55], v[58:59], v[56:57]
	v_fmac_f64_e32 v[62:63], 0x3c7abc9e3b39803f, v[60:61]
	s_delay_alu instid0(VALU_DEP_3) | instskip(NEXT) | instid1(VALU_DEP_3)
	v_add_f64_e32 v[42:43], v[42:43], v[46:47]
	v_fma_f64 v[46:47], -v[52:53], v[54:55], v[58:59]
	s_delay_alu instid0(VALU_DEP_3) | instskip(NEXT) | instid1(VALU_DEP_3)
	v_add_f64_e32 v[52:53], v[64:65], v[62:63]
	v_add_f64_e32 v[58:59], v[50:51], v[42:43]
	s_delay_alu instid0(VALU_DEP_3) | instskip(SKIP_1) | instid1(VALU_DEP_4)
	v_div_fmas_f64 v[46:47], v[46:47], v[56:57], v[54:55]
	v_cmp_gt_i32_e32 vcc_lo, 0, v15
	v_add_f64_e64 v[56:57], v[52:53], -v[64:65]
	v_cndmask_b32_e32 v2, 0x3fe921fb, v69, vcc_lo
	v_cndmask_b32_e32 v12, 0x54442d18, v68, vcc_lo
	s_delay_alu instid0(VALU_DEP_2) | instskip(SKIP_4) | instid1(VALU_DEP_4)
	v_bfi_b32 v2, 0x7fffffff, v2, v17
	v_add_f64_e32 v[54:55], v[52:53], v[58:59]
	v_div_fixup_f64 v[44:45], v[46:47], v[44:45], v[48:49]
	v_add_f64_e64 v[50:51], v[58:59], -v[50:51]
	v_add_f64_e64 v[56:57], v[62:63], -v[56:57]
	;; [unrolled: 1-line block ×3, first 2 shown]
	s_delay_alu instid0(VALU_DEP_4) | instskip(NEXT) | instid1(VALU_DEP_4)
	v_mul_f64_e32 v[48:49], v[44:45], v[44:45]
	v_add_f64_e64 v[42:43], v[42:43], -v[50:51]
	s_delay_alu instid0(VALU_DEP_3) | instskip(NEXT) | instid1(VALU_DEP_3)
	v_add_f64_e64 v[60:61], v[54:55], -v[46:47]
	v_fmamk_f64 v[64:65], v[48:49], 0x3eeba404b5e68a13, v[26:27]
	v_add_f64_e64 v[46:47], v[58:59], -v[46:47]
	s_delay_alu instid0(VALU_DEP_4) | instskip(NEXT) | instid1(VALU_DEP_3)
	v_add_f64_e32 v[58:59], v[56:57], v[42:43]
	v_fmaak_f64 v[64:65], v[48:49], v[64:65], 0x3f4b2bb069efb384
	s_delay_alu instid0(VALU_DEP_1) | instskip(SKIP_1) | instid1(VALU_DEP_2)
	v_fmaak_f64 v[64:65], v[48:49], v[64:65], 0xbf67952daf56de9b
	v_add_f64_e64 v[50:51], v[52:53], -v[60:61]
	v_fmaak_f64 v[52:53], v[48:49], v[64:65], 0x3f7d6d43a595c56f
	s_delay_alu instid0(VALU_DEP_1) | instskip(NEXT) | instid1(VALU_DEP_1)
	v_fmaak_f64 v[52:53], v[48:49], v[52:53], 0xbf8c6ea4a57d9582
	v_fmaak_f64 v[52:53], v[48:49], v[52:53], 0x3f967e295f08b19f
	s_delay_alu instid0(VALU_DEP_1) | instskip(NEXT) | instid1(VALU_DEP_1)
	v_fmaak_f64 v[52:53], v[48:49], v[52:53], 0xbf9e9ae6fc27006a
	v_fmaak_f64 v[52:53], v[48:49], v[52:53], 0x3fa2c15b5711927a
	v_add_f64_e32 v[46:47], v[46:47], v[50:51]
	s_delay_alu instid0(VALU_DEP_2) | instskip(SKIP_1) | instid1(VALU_DEP_2)
	v_fmaak_f64 v[50:51], v[48:49], v[52:53], 0xbfa59976e82d3ff0
	v_add_f64_e64 v[52:53], v[58:59], -v[56:57]
	v_fmaak_f64 v[50:51], v[48:49], v[50:51], 0x3fa82d5d6ef28734
	s_delay_alu instid0(VALU_DEP_1) | instskip(NEXT) | instid1(VALU_DEP_1)
	v_fmaak_f64 v[50:51], v[48:49], v[50:51], 0xbfaae5ce6a214619
	v_fmaak_f64 v[50:51], v[48:49], v[50:51], 0x3fae1bb48427b883
	s_delay_alu instid0(VALU_DEP_1) | instskip(SKIP_3) | instid1(VALU_DEP_4)
	v_fmaak_f64 v[50:51], v[48:49], v[50:51], 0xbfb110e48b207f05
	v_add_f64_e32 v[46:47], v[58:59], v[46:47]
	v_add_f64_e64 v[58:59], v[58:59], -v[52:53]
	v_add_f64_e64 v[42:43], v[42:43], -v[52:53]
	v_fmaak_f64 v[50:51], v[48:49], v[50:51], 0x3fb3b13657b87036
	s_delay_alu instid0(VALU_DEP_1) | instskip(NEXT) | instid1(VALU_DEP_1)
	v_fmaak_f64 v[50:51], v[48:49], v[50:51], 0xbfb745d119378e4f
	v_fmaak_f64 v[50:51], v[48:49], v[50:51], 0x3fbc71c717e1913c
	s_delay_alu instid0(VALU_DEP_1) | instskip(SKIP_1) | instid1(VALU_DEP_2)
	v_fmaak_f64 v[50:51], v[48:49], v[50:51], 0xbfc2492492376b7d
	v_add_f64_e32 v[60:61], v[54:55], v[46:47]
	v_fmaak_f64 v[50:51], v[48:49], v[50:51], 0x3fc99999999952cc
	s_delay_alu instid0(VALU_DEP_1) | instskip(NEXT) | instid1(VALU_DEP_1)
	v_fmaak_f64 v[50:51], v[48:49], v[50:51], 0xbfd5555555555523
	v_mul_f64_e32 v[48:49], v[48:49], v[50:51]
	v_add_f64_e64 v[50:51], v[56:57], -v[58:59]
	v_add_f64_e64 v[52:53], v[60:61], -v[54:55]
	s_delay_alu instid0(VALU_DEP_3) | instskip(NEXT) | instid1(VALU_DEP_3)
	v_fmac_f64_e32 v[44:45], v[44:45], v[48:49]
	v_add_f64_e32 v[42:43], v[42:43], v[50:51]
	s_delay_alu instid0(VALU_DEP_3) | instskip(NEXT) | instid1(VALU_DEP_3)
	v_add_f64_e64 v[46:47], v[46:47], -v[52:53]
	v_add_f64_e64 v[48:49], -v[44:45], s[40:41]
	s_delay_alu instid0(VALU_DEP_1) | instskip(NEXT) | instid1(VALU_DEP_2)
	v_dual_add_f64 v[42:43], v[42:43], v[46:47] :: v_dual_cndmask_b32 v45, v45, v49, s6
	v_cndmask_b32_e64 v44, v44, v48, s6
	s_delay_alu instid0(VALU_DEP_1) | instskip(NEXT) | instid1(VALU_DEP_3)
	v_add_f64_e64 v[46:47], -v[44:45], s[42:43]
	v_add_f64_e32 v[42:43], v[60:61], v[42:43]
	s_delay_alu instid0(VALU_DEP_2) | instskip(SKIP_1) | instid1(VALU_DEP_1)
	v_dual_cndmask_b32 v44, v44, v46, vcc_lo :: v_dual_cndmask_b32 v4, v45, v47, vcc_lo
	s_and_b32 vcc_lo, s11, s12
                                        ; implicit-def: $vgpr46_vgpr47
	v_cndmask_b32_e64 v21, v44, v21, s7
	s_delay_alu instid0(VALU_DEP_2) | instskip(NEXT) | instid1(VALU_DEP_4)
	v_cndmask_b32_e64 v3, v4, v3, s7
	v_mul_f64_e32 v[14:15], 0.5, v[42:43]
	s_delay_alu instid0(VALU_DEP_2) | instskip(NEXT) | instid1(VALU_DEP_2)
	v_dual_cndmask_b32 v43, v3, v2 :: v_dual_cndmask_b32 v42, v21, v12
	v_cndmask_b32_e64 v3, 0x7ff00000, v15, s8
	s_delay_alu instid0(VALU_DEP_3)
	v_cndmask_b32_e64 v2, 0, v14, s8
.LBB197_101:                            ;   in Loop: Header=BB197_4 Depth=1
	s_and_not1_saveexec_b32 s8, s10
	s_cbranch_execz .LBB197_103
; %bb.102:                              ;   in Loop: Header=BB197_4 Depth=1
	v_max_num_f64_e64 v[2:3], |v[16:17]|, |v[16:17]|
	v_max_num_f64_e64 v[42:43], |v[14:15]|, |v[14:15]|
	v_cmp_class_f64_e64 s11, v[14:15], 0x204
	v_cmp_eq_f64_e64 s7, 0, v[16:17]
	v_cmp_class_f64_e64 s10, v[16:17], 0x204
	v_ashrrev_i32_e32 v4, 31, v15
	s_delay_alu instid0(VALU_DEP_1) | instskip(SKIP_3) | instid1(VALU_DEP_1)
	v_and_b32_e32 v21, 0x54442d18, v4
	v_and_b32_e32 v4, 0x400921fb, v4
	v_max_num_f64_e32 v[44:45], v[42:43], v[2:3]
	v_min_num_f64_e32 v[2:3], v[42:43], v[2:3]
	v_div_scale_f64 v[42:43], null, v[44:45], v[44:45], v[2:3]
	v_div_scale_f64 v[52:53], vcc_lo, v[2:3], v[44:45], v[2:3]
	s_delay_alu instid0(VALU_DEP_2) | instskip(SKIP_1) | instid1(TRANS32_DEP_1)
	v_rcp_f64_e32 v[48:49], v[42:43]
	v_nop
	v_fma_f64 v[50:51], -v[42:43], v[48:49], 1.0
	s_delay_alu instid0(VALU_DEP_1) | instskip(NEXT) | instid1(VALU_DEP_1)
	v_fmac_f64_e32 v[48:49], v[48:49], v[50:51]
	v_fma_f64 v[50:51], -v[42:43], v[48:49], 1.0
	s_delay_alu instid0(VALU_DEP_1) | instskip(NEXT) | instid1(VALU_DEP_1)
	v_fmac_f64_e32 v[48:49], v[48:49], v[50:51]
	v_mul_f64_e32 v[50:51], v[52:53], v[48:49]
	s_delay_alu instid0(VALU_DEP_1) | instskip(NEXT) | instid1(VALU_DEP_1)
	v_fma_f64 v[42:43], -v[42:43], v[50:51], v[52:53]
	v_div_fmas_f64 v[42:43], v[42:43], v[48:49], v[50:51]
	v_cmp_gt_i32_e32 vcc_lo, 0, v15
	v_cndmask_b32_e32 v14, 0x3fe921fb, v69, vcc_lo
	v_cndmask_b32_e32 v12, 0x54442d18, v68, vcc_lo
	s_delay_alu instid0(VALU_DEP_2) | instskip(SKIP_1) | instid1(VALU_DEP_1)
	v_bfi_b32 v14, 0x7fffffff, v14, v17
	v_div_fixup_f64 v[2:3], v[42:43], v[44:45], v[2:3]
	v_mul_f64_e32 v[42:43], v[2:3], v[2:3]
	s_delay_alu instid0(VALU_DEP_1) | instskip(NEXT) | instid1(VALU_DEP_1)
	v_fmamk_f64 v[44:45], v[42:43], 0x3eeba404b5e68a13, v[26:27]
	v_fmaak_f64 v[44:45], v[42:43], v[44:45], 0x3f4b2bb069efb384
	s_delay_alu instid0(VALU_DEP_1) | instskip(NEXT) | instid1(VALU_DEP_1)
	v_fmaak_f64 v[44:45], v[42:43], v[44:45], 0xbf67952daf56de9b
	v_fmaak_f64 v[44:45], v[42:43], v[44:45], 0x3f7d6d43a595c56f
	s_delay_alu instid0(VALU_DEP_1) | instskip(NEXT) | instid1(VALU_DEP_1)
	v_fmaak_f64 v[44:45], v[42:43], v[44:45], 0xbf8c6ea4a57d9582
	;; [unrolled: 3-line block ×9, first 2 shown]
	v_mul_f64_e32 v[42:43], v[42:43], v[44:45]
	s_delay_alu instid0(VALU_DEP_1) | instskip(NEXT) | instid1(VALU_DEP_1)
	v_fmac_f64_e32 v[2:3], v[2:3], v[42:43]
	v_add_f64_e64 v[42:43], -v[2:3], s[40:41]
	s_delay_alu instid0(VALU_DEP_1) | instskip(NEXT) | instid1(VALU_DEP_1)
	v_dual_cndmask_b32 v43, v3, v43, s6 :: v_dual_cndmask_b32 v42, v2, v42, s6
	v_add_f64_e64 v[44:45], -v[42:43], s[42:43]
	s_delay_alu instid0(VALU_DEP_1) | instskip(NEXT) | instid1(VALU_DEP_2)
	v_dual_mul_f64 v[2:3], 0.5, v[46:47] :: v_dual_cndmask_b32 v15, v43, v45, vcc_lo
	v_cndmask_b32_e32 v42, v42, v44, vcc_lo
	s_and_b32 vcc_lo, s10, s11
	s_delay_alu instid0(VALU_DEP_1) | instskip(NEXT) | instid1(VALU_DEP_1)
	v_dual_cndmask_b32 v4, v15, v4, s7 :: v_dual_cndmask_b32 v21, v42, v21, s7
	v_dual_cndmask_b32 v43, v4, v14 :: v_dual_cndmask_b32 v42, v21, v12
	s_delay_alu instid0(VALU_DEP_4)
	v_mul_f64_e32 v[2:3], v[46:47], v[2:3]
.LBB197_103:                            ;   in Loop: Header=BB197_4 Depth=1
	s_or_b32 exec_lo, exec_lo, s8
.LBB197_104:                            ;   in Loop: Header=BB197_4 Depth=1
	s_delay_alu instid0(SALU_CYCLE_1)
	s_or_b32 exec_lo, exec_lo, s9
.LBB197_105:                            ;   in Loop: Header=BB197_4 Depth=1
	s_and_not1_saveexec_b32 s8, s33
	s_cbranch_execz .LBB197_107
; %bb.106:                              ;   in Loop: Header=BB197_4 Depth=1
	v_div_scale_f64 v[2:3], null, s[48:49], s[48:49], v[14:15]
	v_div_scale_f64 v[42:43], null, s[48:49], s[48:49], v[16:17]
	v_div_scale_f64 v[52:53], vcc_lo, v[14:15], s[48:49], v[14:15]
	s_delay_alu instid0(VALU_DEP_3) | instskip(NEXT) | instid1(VALU_DEP_2)
	v_rcp_f64_e32 v[44:45], v[2:3]
	v_rcp_f64_e32 v[46:47], v[42:43]
	s_delay_alu instid0(TRANS32_DEP_2) | instskip(NEXT) | instid1(TRANS32_DEP_1)
	v_fma_f64 v[48:49], -v[2:3], v[44:45], 1.0
	v_fma_f64 v[50:51], -v[42:43], v[46:47], 1.0
	s_delay_alu instid0(VALU_DEP_2) | instskip(NEXT) | instid1(VALU_DEP_2)
	v_fmac_f64_e32 v[44:45], v[44:45], v[48:49]
	v_fmac_f64_e32 v[46:47], v[46:47], v[50:51]
	s_delay_alu instid0(VALU_DEP_2) | instskip(NEXT) | instid1(VALU_DEP_2)
	v_fma_f64 v[48:49], -v[2:3], v[44:45], 1.0
	v_fma_f64 v[50:51], -v[42:43], v[46:47], 1.0
	s_delay_alu instid0(VALU_DEP_2) | instskip(SKIP_1) | instid1(VALU_DEP_3)
	v_fmac_f64_e32 v[44:45], v[44:45], v[48:49]
	v_div_scale_f64 v[48:49], s7, v[16:17], s[48:49], v[16:17]
	v_fmac_f64_e32 v[46:47], v[46:47], v[50:51]
	s_delay_alu instid0(VALU_DEP_3) | instskip(NEXT) | instid1(VALU_DEP_2)
	v_mul_f64_e32 v[50:51], v[52:53], v[44:45]
	v_mul_f64_e32 v[54:55], v[48:49], v[46:47]
	s_delay_alu instid0(VALU_DEP_2) | instskip(NEXT) | instid1(VALU_DEP_2)
	v_fma_f64 v[2:3], -v[2:3], v[50:51], v[52:53]
	v_fma_f64 v[42:43], -v[42:43], v[54:55], v[48:49]
	s_delay_alu instid0(VALU_DEP_2) | instskip(SKIP_1) | instid1(VALU_DEP_2)
	v_div_fmas_f64 v[2:3], v[2:3], v[44:45], v[50:51]
	s_mov_b32 vcc_lo, s7
	v_div_fmas_f64 v[42:43], v[42:43], v[46:47], v[54:55]
	s_delay_alu instid0(VALU_DEP_2) | instskip(NEXT) | instid1(VALU_DEP_2)
	v_div_fixup_f64 v[2:3], v[2:3], s[48:49], v[14:15]
	v_div_fixup_f64 v[42:43], v[42:43], s[48:49], v[16:17]
	s_delay_alu instid0(VALU_DEP_2) | instskip(NEXT) | instid1(VALU_DEP_2)
	v_cmp_class_f64_e64 s7, v[2:3], 0x204
	v_max_num_f64_e64 v[44:45], |v[2:3]|, |v[42:43]|
	v_cmp_class_f64_e64 s9, v[42:43], 0x204
	s_delay_alu instid0(VALU_DEP_2) | instskip(SKIP_2) | instid1(VALU_DEP_2)
	v_frexp_exp_i32_f64_e32 v4, v[44:45]
	s_or_b32 s7, s9, s7
	v_cmp_class_f64_e64 s9, v[14:15], 0x204
	v_sub_nc_u32_e32 v12, 0, v4
	s_delay_alu instid0(VALU_DEP_1) | instskip(SKIP_1) | instid1(VALU_DEP_2)
	v_ldexp_f64 v[44:45], |v[42:43]|, v12
	v_ldexp_f64 v[46:47], |v[2:3]|, v12
	v_mul_f64_e32 v[44:45], v[44:45], v[44:45]
	s_delay_alu instid0(VALU_DEP_1) | instskip(NEXT) | instid1(VALU_DEP_1)
	v_fmac_f64_e32 v[44:45], v[46:47], v[46:47]
	v_rsq_f64_e32 v[46:47], v[44:45]
	v_cmp_eq_f64_e32 vcc_lo, 0, v[44:45]
	s_delay_alu instid0(TRANS32_DEP_1) | instskip(SKIP_1) | instid1(VALU_DEP_1)
	v_mul_f64_e32 v[48:49], v[44:45], v[46:47]
	v_mul_f64_e32 v[46:47], 0.5, v[46:47]
	v_fma_f64 v[50:51], -v[46:47], v[48:49], 0.5
	s_delay_alu instid0(VALU_DEP_1) | instskip(SKIP_1) | instid1(VALU_DEP_2)
	v_fmac_f64_e32 v[48:49], v[48:49], v[50:51]
	v_fmac_f64_e32 v[46:47], v[46:47], v[50:51]
	v_fma_f64 v[50:51], -v[48:49], v[48:49], v[44:45]
	s_delay_alu instid0(VALU_DEP_1) | instskip(NEXT) | instid1(VALU_DEP_1)
	v_fmac_f64_e32 v[48:49], v[50:51], v[46:47]
	v_dual_cndmask_b32 v45, v49, v45 :: v_dual_cndmask_b32 v44, v48, v44
	v_cmp_o_f64_e32 vcc_lo, v[2:3], v[42:43]
	s_delay_alu instid0(VALU_DEP_2) | instskip(NEXT) | instid1(VALU_DEP_1)
	v_ldexp_f64 v[44:45], v[44:45], v4
	v_cndmask_b32_e32 v2, 0, v44, vcc_lo
	s_delay_alu instid0(VALU_DEP_2) | instskip(NEXT) | instid1(VALU_DEP_2)
	v_cndmask_b32_e32 v3, 0x7ff80000, v45, vcc_lo
	v_cndmask_b32_e64 v44, v2, 0, s7
	s_delay_alu instid0(VALU_DEP_2) | instskip(SKIP_1) | instid1(VALU_DEP_2)
	v_cndmask_b32_e64 v45, v3, 0x7ff00000, s7
	v_cmp_class_f64_e64 s7, v[16:17], 0x204
	v_frexp_mant_f64_e32 v[2:3], v[44:45]
	s_delay_alu instid0(VALU_DEP_1) | instskip(SKIP_1) | instid1(VALU_DEP_1)
	v_cmp_gt_f64_e32 vcc_lo, s[30:31], v[2:3]
	v_cndmask_b32_e64 v4, 0, 1, vcc_lo
	v_ldexp_f64 v[2:3], v[2:3], v4
	v_frexp_exp_i32_f64_e32 v4, v[44:45]
	s_delay_alu instid0(VALU_DEP_2) | instskip(SKIP_1) | instid1(VALU_DEP_3)
	v_add_f64_e32 v[42:43], 1.0, v[2:3]
	v_add_f64_e32 v[50:51], -1.0, v[2:3]
	v_subrev_co_ci_u32_e64 v4, null, 0, v4, vcc_lo
	s_delay_alu instid0(VALU_DEP_3) | instskip(SKIP_1) | instid1(VALU_DEP_1)
	v_rcp_f64_e32 v[46:47], v[42:43]
	v_add_f64_e32 v[52:53], -1.0, v[42:43]
	v_add_f64_e64 v[2:3], v[2:3], -v[52:53]
	s_delay_alu instid0(TRANS32_DEP_1) | instskip(NEXT) | instid1(VALU_DEP_1)
	v_fma_f64 v[48:49], -v[42:43], v[46:47], 1.0
	v_fmac_f64_e32 v[46:47], v[48:49], v[46:47]
	s_delay_alu instid0(VALU_DEP_1) | instskip(NEXT) | instid1(VALU_DEP_1)
	v_fma_f64 v[48:49], -v[42:43], v[46:47], 1.0
	v_fmac_f64_e32 v[46:47], v[48:49], v[46:47]
	s_delay_alu instid0(VALU_DEP_1) | instskip(NEXT) | instid1(VALU_DEP_1)
	v_mul_f64_e32 v[48:49], v[50:51], v[46:47]
	v_mul_f64_e32 v[54:55], v[42:43], v[48:49]
	s_delay_alu instid0(VALU_DEP_1) | instskip(NEXT) | instid1(VALU_DEP_1)
	v_fma_f64 v[42:43], v[48:49], v[42:43], -v[54:55]
	v_fmac_f64_e32 v[42:43], v[48:49], v[2:3]
	s_delay_alu instid0(VALU_DEP_1) | instskip(NEXT) | instid1(VALU_DEP_1)
	v_add_f64_e32 v[2:3], v[54:55], v[42:43]
	v_add_f64_e64 v[52:53], v[50:51], -v[2:3]
	v_add_f64_e64 v[54:55], v[2:3], -v[54:55]
	s_delay_alu instid0(VALU_DEP_2) | instskip(NEXT) | instid1(VALU_DEP_2)
	v_add_f64_e64 v[50:51], v[50:51], -v[52:53]
	v_add_f64_e64 v[42:43], v[54:55], -v[42:43]
	s_delay_alu instid0(VALU_DEP_2) | instskip(SKIP_1) | instid1(VALU_DEP_2)
	v_add_f64_e64 v[2:3], v[50:51], -v[2:3]
	v_max_num_f64_e64 v[50:51], |v[14:15]|, |v[14:15]|
	v_add_f64_e32 v[2:3], v[42:43], v[2:3]
	v_max_num_f64_e64 v[42:43], |v[16:17]|, |v[16:17]|
	s_delay_alu instid0(VALU_DEP_2) | instskip(NEXT) | instid1(VALU_DEP_1)
	v_add_f64_e32 v[2:3], v[52:53], v[2:3]
	v_mul_f64_e32 v[2:3], v[46:47], v[2:3]
	s_delay_alu instid0(VALU_DEP_3) | instskip(SKIP_1) | instid1(VALU_DEP_3)
	v_max_num_f64_e32 v[46:47], v[50:51], v[42:43]
	v_min_num_f64_e32 v[42:43], v[50:51], v[42:43]
	v_add_f64_e32 v[50:51], v[48:49], v[2:3]
	s_delay_alu instid0(VALU_DEP_2) | instskip(NEXT) | instid1(VALU_DEP_2)
	v_div_scale_f64 v[52:53], null, v[46:47], v[46:47], v[42:43]
	v_mul_f64_e32 v[54:55], v[50:51], v[50:51]
	v_add_f64_e64 v[48:49], v[50:51], -v[48:49]
	s_delay_alu instid0(VALU_DEP_3) | instskip(NEXT) | instid1(VALU_DEP_2)
	v_rcp_f64_e32 v[56:57], v[52:53]
	v_fmamk_f64 v[58:59], v[54:55], 0x3fc3ab76bf559e2b, v[24:25]
	v_mul_f64_e32 v[60:61], v[50:51], v[54:55]
	s_delay_alu instid0(VALU_DEP_3) | instskip(NEXT) | instid1(VALU_DEP_3)
	v_add_f64_e64 v[2:3], v[2:3], -v[48:49]
	v_fmaak_f64 v[58:59], v[54:55], v[58:59], 0x3fc7474dd7f4df2e
	s_delay_alu instid0(TRANS32_DEP_1) | instskip(NEXT) | instid1(VALU_DEP_2)
	v_fma_f64 v[62:63], -v[52:53], v[56:57], 1.0
	v_fmaak_f64 v[58:59], v[54:55], v[58:59], 0x3fcc71c016291751
	s_delay_alu instid0(VALU_DEP_1) | instskip(NEXT) | instid1(VALU_DEP_1)
	v_fmaak_f64 v[58:59], v[54:55], v[58:59], 0x3fd249249b27acf1
	v_fmaak_f64 v[58:59], v[54:55], v[58:59], 0x3fd99999998ef7b6
	v_ldexp_f64 v[2:3], v[2:3], 1
	s_delay_alu instid0(VALU_DEP_2) | instskip(SKIP_2) | instid1(VALU_DEP_3)
	v_fmaak_f64 v[54:55], v[54:55], v[58:59], 0x3fe5555555555780
	v_ldexp_f64 v[58:59], v[50:51], 1
	v_fmac_f64_e32 v[56:57], v[56:57], v[62:63]
	v_mul_f64_e32 v[54:55], v[60:61], v[54:55]
	v_cvt_f64_i32_e32 v[60:61], v4
	v_ashrrev_i32_e32 v4, 31, v15
	s_delay_alu instid0(VALU_DEP_1) | instskip(SKIP_4) | instid1(VALU_DEP_3)
	v_and_b32_e32 v21, 0x54442d18, v4
	v_and_b32_e32 v4, 0x400921fb, v4
	v_fma_f64 v[62:63], -v[52:53], v[56:57], 1.0
	v_add_f64_e32 v[50:51], v[58:59], v[54:55]
	v_mul_f64_e32 v[64:65], 0x3fe62e42fefa39ef, v[60:61]
	v_fmac_f64_e32 v[56:57], v[56:57], v[62:63]
	s_delay_alu instid0(VALU_DEP_3) | instskip(SKIP_1) | instid1(VALU_DEP_4)
	v_add_f64_e64 v[48:49], v[50:51], -v[58:59]
	v_div_scale_f64 v[58:59], vcc_lo, v[42:43], v[46:47], v[42:43]
	v_fma_f64 v[62:63], v[60:61], s[34:35], -v[64:65]
	s_delay_alu instid0(VALU_DEP_3) | instskip(NEXT) | instid1(VALU_DEP_3)
	v_add_f64_e64 v[48:49], v[54:55], -v[48:49]
	v_mul_f64_e32 v[54:55], v[58:59], v[56:57]
	s_delay_alu instid0(VALU_DEP_3) | instskip(NEXT) | instid1(VALU_DEP_3)
	v_fmac_f64_e32 v[62:63], 0x3c7abc9e3b39803f, v[60:61]
	v_add_f64_e32 v[2:3], v[2:3], v[48:49]
	s_delay_alu instid0(VALU_DEP_3) | instskip(NEXT) | instid1(VALU_DEP_3)
	v_fma_f64 v[48:49], -v[52:53], v[54:55], v[58:59]
	v_add_f64_e32 v[52:53], v[64:65], v[62:63]
	s_delay_alu instid0(VALU_DEP_3) | instskip(NEXT) | instid1(VALU_DEP_3)
	v_add_f64_e32 v[58:59], v[50:51], v[2:3]
	v_div_fmas_f64 v[48:49], v[48:49], v[56:57], v[54:55]
	v_cmp_class_f64_e64 vcc_lo, v[44:45], 0x204
	s_delay_alu instid0(VALU_DEP_4) | instskip(NEXT) | instid1(VALU_DEP_4)
	v_add_f64_e64 v[56:57], v[52:53], -v[64:65]
	v_add_f64_e32 v[54:55], v[52:53], v[58:59]
	s_delay_alu instid0(VALU_DEP_4) | instskip(SKIP_1) | instid1(VALU_DEP_4)
	v_div_fixup_f64 v[42:43], v[48:49], v[46:47], v[42:43]
	v_add_f64_e64 v[50:51], v[58:59], -v[50:51]
	v_add_f64_e64 v[56:57], v[62:63], -v[56:57]
	s_delay_alu instid0(VALU_DEP_4) | instskip(NEXT) | instid1(VALU_DEP_4)
	v_add_f64_e64 v[46:47], v[54:55], -v[52:53]
	v_mul_f64_e32 v[48:49], v[42:43], v[42:43]
	s_delay_alu instid0(VALU_DEP_4) | instskip(NEXT) | instid1(VALU_DEP_3)
	v_add_f64_e64 v[2:3], v[2:3], -v[50:51]
	v_add_f64_e64 v[60:61], v[54:55], -v[46:47]
	s_delay_alu instid0(VALU_DEP_3) | instskip(SKIP_1) | instid1(VALU_DEP_4)
	v_fmamk_f64 v[64:65], v[48:49], 0x3eeba404b5e68a13, v[26:27]
	v_add_f64_e64 v[46:47], v[58:59], -v[46:47]
	v_add_f64_e32 v[58:59], v[56:57], v[2:3]
	s_delay_alu instid0(VALU_DEP_3) | instskip(SKIP_1) | instid1(VALU_DEP_2)
	v_fmaak_f64 v[64:65], v[48:49], v[64:65], 0x3f4b2bb069efb384
	v_add_f64_e64 v[50:51], v[52:53], -v[60:61]
	v_fmaak_f64 v[52:53], v[48:49], v[64:65], 0xbf67952daf56de9b
	s_delay_alu instid0(VALU_DEP_1) | instskip(NEXT) | instid1(VALU_DEP_1)
	v_fmaak_f64 v[52:53], v[48:49], v[52:53], 0x3f7d6d43a595c56f
	v_fmaak_f64 v[52:53], v[48:49], v[52:53], 0xbf8c6ea4a57d9582
	s_delay_alu instid0(VALU_DEP_1) | instskip(SKIP_1) | instid1(VALU_DEP_2)
	v_fmaak_f64 v[52:53], v[48:49], v[52:53], 0x3f967e295f08b19f
	v_add_f64_e32 v[46:47], v[46:47], v[50:51]
	v_fmaak_f64 v[50:51], v[48:49], v[52:53], 0xbf9e9ae6fc27006a
	v_add_f64_e64 v[52:53], v[58:59], -v[56:57]
	s_delay_alu instid0(VALU_DEP_2) | instskip(NEXT) | instid1(VALU_DEP_1)
	v_fmaak_f64 v[50:51], v[48:49], v[50:51], 0x3fa2c15b5711927a
	v_fmaak_f64 v[50:51], v[48:49], v[50:51], 0xbfa59976e82d3ff0
	s_delay_alu instid0(VALU_DEP_1) | instskip(NEXT) | instid1(VALU_DEP_1)
	v_fmaak_f64 v[50:51], v[48:49], v[50:51], 0x3fa82d5d6ef28734
	v_fmaak_f64 v[50:51], v[48:49], v[50:51], 0xbfaae5ce6a214619
	v_add_f64_e32 v[46:47], v[58:59], v[46:47]
	v_add_f64_e64 v[58:59], v[58:59], -v[52:53]
	v_add_f64_e64 v[2:3], v[2:3], -v[52:53]
	s_delay_alu instid0(VALU_DEP_4) | instskip(NEXT) | instid1(VALU_DEP_1)
	v_fmaak_f64 v[50:51], v[48:49], v[50:51], 0x3fae1bb48427b883
	v_fmaak_f64 v[50:51], v[48:49], v[50:51], 0xbfb110e48b207f05
	s_delay_alu instid0(VALU_DEP_1) | instskip(NEXT) | instid1(VALU_DEP_1)
	v_fmaak_f64 v[50:51], v[48:49], v[50:51], 0x3fb3b13657b87036
	v_fmaak_f64 v[50:51], v[48:49], v[50:51], 0xbfb745d119378e4f
	s_delay_alu instid0(VALU_DEP_1) | instskip(SKIP_1) | instid1(VALU_DEP_2)
	v_fmaak_f64 v[50:51], v[48:49], v[50:51], 0x3fbc71c717e1913c
	v_add_f64_e32 v[60:61], v[54:55], v[46:47]
	v_fmaak_f64 v[50:51], v[48:49], v[50:51], 0xbfc2492492376b7d
	s_delay_alu instid0(VALU_DEP_1) | instskip(NEXT) | instid1(VALU_DEP_1)
	v_fmaak_f64 v[50:51], v[48:49], v[50:51], 0x3fc99999999952cc
	v_fmaak_f64 v[50:51], v[48:49], v[50:51], 0xbfd5555555555523
	s_delay_alu instid0(VALU_DEP_1) | instskip(SKIP_2) | instid1(VALU_DEP_3)
	v_mul_f64_e32 v[48:49], v[48:49], v[50:51]
	v_add_f64_e64 v[50:51], v[56:57], -v[58:59]
	v_add_f64_e64 v[52:53], v[60:61], -v[54:55]
	v_fmac_f64_e32 v[42:43], v[42:43], v[48:49]
	s_delay_alu instid0(VALU_DEP_3) | instskip(NEXT) | instid1(VALU_DEP_3)
	v_add_f64_e32 v[2:3], v[2:3], v[50:51]
	v_add_f64_e64 v[46:47], v[46:47], -v[52:53]
	s_delay_alu instid0(VALU_DEP_3) | instskip(NEXT) | instid1(VALU_DEP_2)
	v_add_f64_e64 v[48:49], -v[42:43], s[40:41]
	v_add_f64_e32 v[2:3], v[2:3], v[46:47]
	s_delay_alu instid0(VALU_DEP_2) | instskip(SKIP_1) | instid1(VALU_DEP_3)
	v_dual_cndmask_b32 v43, v43, v49, s6 :: v_dual_cndmask_b32 v42, v42, v48, s6
	v_cmp_gt_i32_e64 s6, 0, v15
	v_add_f64_e32 v[2:3], v[60:61], v[2:3]
	s_delay_alu instid0(VALU_DEP_3) | instskip(NEXT) | instid1(VALU_DEP_3)
	v_add_f64_e64 v[46:47], -v[42:43], s[42:43]
	v_cndmask_b32_e64 v12, 0x54442d18, v68, s6
	v_cndmask_b32_e64 v14, 0x3fe921fb, v69, s6
	s_delay_alu instid0(VALU_DEP_1) | instskip(SKIP_4) | instid1(VALU_DEP_2)
	v_bfi_b32 v14, 0x7fffffff, v14, v17
	v_dual_cndmask_b32 v3, v3, v45 :: v_dual_cndmask_b32 v2, v2, v44
	v_cmp_eq_f64_e32 vcc_lo, 0, v[16:17]
	v_dual_cndmask_b32 v42, v42, v46, s6 :: v_dual_cndmask_b32 v15, v43, v47, s6
	v_cmp_nge_f64_e64 s6, 0, v[44:45]
	v_dual_add_f64 v[2:3], 1.0, v[2:3] :: v_dual_cndmask_b32 v21, v42, v21, vcc_lo
	s_delay_alu instid0(VALU_DEP_3) | instskip(SKIP_1) | instid1(VALU_DEP_3)
	v_cndmask_b32_e32 v4, v15, v4, vcc_lo
	v_cmp_ngt_f64_e32 vcc_lo, 0, v[44:45]
	v_cndmask_b32_e64 v2, 0, v2, s6
	v_cmp_neq_f64_e64 s6, 0, v[44:45]
	v_cndmask_b32_e32 v3, 0x7ff80000, v3, vcc_lo
	s_and_b32 vcc_lo, s7, s9
	v_dual_cndmask_b32 v43, v4, v14 :: v_dual_cndmask_b32 v42, v21, v12
	s_delay_alu instid0(VALU_DEP_2)
	v_cndmask_b32_e64 v3, 0xfff00000, v3, s6
.LBB197_107:                            ;   in Loop: Header=BB197_4 Depth=1
	s_or_b32 exec_lo, exec_lo, s8
.LBB197_108:                            ;   in Loop: Header=BB197_4 Depth=1
	s_and_not1_saveexec_b32 s6, s17
	s_cbranch_execz .LBB197_114
; %bb.109:                              ;   in Loop: Header=BB197_4 Depth=1
	v_cmp_ngt_f64_e64 s7, 0x20000000, |v[14:15]|
	v_cmp_ngt_f64_e64 s8, 0x20000000, |v[16:17]|
                                        ; implicit-def: $vgpr44_vgpr45
	s_or_b32 s7, s8, s7
	s_delay_alu instid0(SALU_CYCLE_1) | instskip(NEXT) | instid1(SALU_CYCLE_1)
	s_and_saveexec_b32 s8, s7
	s_xor_b32 s7, exec_lo, s8
	s_cbranch_execz .LBB197_111
; %bb.110:                              ;   in Loop: Header=BB197_4 Depth=1
	v_mul_f64_e32 v[44:45], v[14:15], v[14:15]
	s_delay_alu instid0(VALU_DEP_1)
	v_fmac_f64_e32 v[44:45], v[16:17], v[16:17]
.LBB197_111:                            ;   in Loop: Header=BB197_4 Depth=1
	s_and_not1_saveexec_b32 s7, s7
	s_cbranch_execz .LBB197_113
; %bb.112:                              ;   in Loop: Header=BB197_4 Depth=1
	v_mul_f64_e32 v[2:3], 4.0, v[14:15]
	v_mul_f64_e32 v[14:15], 4.0, v[16:17]
	s_delay_alu instid0(VALU_DEP_2) | instskip(NEXT) | instid1(VALU_DEP_1)
	v_mul_f64_e32 v[2:3], v[2:3], v[2:3]
	v_fmac_f64_e32 v[2:3], v[14:15], v[14:15]
	s_delay_alu instid0(VALU_DEP_1)
	v_ldexp_f64 v[44:45], v[2:3], -4
.LBB197_113:                            ;   in Loop: Header=BB197_4 Depth=1
	s_or_b32 exec_lo, exec_lo, s7
	s_delay_alu instid0(VALU_DEP_1) | instskip(NEXT) | instid1(VALU_DEP_1)
	v_frexp_mant_f64_e32 v[2:3], v[44:45]
	v_cmp_gt_f64_e32 vcc_lo, s[30:31], v[2:3]
	v_cndmask_b32_e64 v4, 0, 1, vcc_lo
	s_delay_alu instid0(VALU_DEP_1) | instskip(SKIP_1) | instid1(VALU_DEP_1)
	v_ldexp_f64 v[2:3], v[2:3], v4
	v_frexp_exp_i32_f64_e32 v4, v[44:45]
	v_subrev_co_ci_u32_e64 v4, null, 0, v4, vcc_lo
	v_cmp_class_f64_e64 vcc_lo, v[44:45], 0x204
	s_delay_alu instid0(VALU_DEP_4) | instskip(SKIP_1) | instid1(VALU_DEP_2)
	v_add_f64_e32 v[14:15], 1.0, v[2:3]
	v_add_f64_e32 v[48:49], -1.0, v[2:3]
	v_rcp_f64_e32 v[42:43], v[14:15]
	v_add_f64_e32 v[50:51], -1.0, v[14:15]
	s_delay_alu instid0(VALU_DEP_1) | instskip(NEXT) | instid1(TRANS32_DEP_1)
	v_add_f64_e64 v[2:3], v[2:3], -v[50:51]
	v_fma_f64 v[46:47], -v[14:15], v[42:43], 1.0
	s_delay_alu instid0(VALU_DEP_1) | instskip(NEXT) | instid1(VALU_DEP_1)
	v_fmac_f64_e32 v[42:43], v[46:47], v[42:43]
	v_fma_f64 v[46:47], -v[14:15], v[42:43], 1.0
	s_delay_alu instid0(VALU_DEP_1) | instskip(NEXT) | instid1(VALU_DEP_1)
	v_fmac_f64_e32 v[42:43], v[46:47], v[42:43]
	v_mul_f64_e32 v[46:47], v[48:49], v[42:43]
	s_delay_alu instid0(VALU_DEP_1) | instskip(NEXT) | instid1(VALU_DEP_1)
	v_mul_f64_e32 v[52:53], v[14:15], v[46:47]
	v_fma_f64 v[14:15], v[46:47], v[14:15], -v[52:53]
	s_delay_alu instid0(VALU_DEP_1) | instskip(NEXT) | instid1(VALU_DEP_1)
	v_fmac_f64_e32 v[14:15], v[46:47], v[2:3]
	v_add_f64_e32 v[2:3], v[52:53], v[14:15]
	s_delay_alu instid0(VALU_DEP_1) | instskip(SKIP_1) | instid1(VALU_DEP_2)
	v_add_f64_e64 v[50:51], v[48:49], -v[2:3]
	v_add_f64_e64 v[52:53], v[2:3], -v[52:53]
	;; [unrolled: 1-line block ×3, first 2 shown]
	s_delay_alu instid0(VALU_DEP_2) | instskip(NEXT) | instid1(VALU_DEP_2)
	v_add_f64_e64 v[14:15], v[52:53], -v[14:15]
	v_add_f64_e64 v[2:3], v[48:49], -v[2:3]
	s_delay_alu instid0(VALU_DEP_1) | instskip(NEXT) | instid1(VALU_DEP_1)
	v_add_f64_e32 v[2:3], v[14:15], v[2:3]
	v_add_f64_e32 v[2:3], v[50:51], v[2:3]
	s_delay_alu instid0(VALU_DEP_1) | instskip(NEXT) | instid1(VALU_DEP_1)
	v_mul_f64_e32 v[2:3], v[42:43], v[2:3]
	v_add_f64_e32 v[14:15], v[46:47], v[2:3]
	s_delay_alu instid0(VALU_DEP_1) | instskip(NEXT) | instid1(VALU_DEP_1)
	v_mul_f64_e32 v[42:43], v[14:15], v[14:15]
	v_fmamk_f64 v[48:49], v[42:43], 0x3fc3ab76bf559e2b, v[24:25]
	v_mul_f64_e32 v[50:51], v[14:15], v[42:43]
	s_delay_alu instid0(VALU_DEP_2) | instskip(NEXT) | instid1(VALU_DEP_1)
	v_fmaak_f64 v[48:49], v[42:43], v[48:49], 0x3fc7474dd7f4df2e
	v_fmaak_f64 v[48:49], v[42:43], v[48:49], 0x3fcc71c016291751
	s_delay_alu instid0(VALU_DEP_1) | instskip(NEXT) | instid1(VALU_DEP_1)
	v_fmaak_f64 v[48:49], v[42:43], v[48:49], 0x3fd249249b27acf1
	v_fmaak_f64 v[48:49], v[42:43], v[48:49], 0x3fd99999998ef7b6
	s_delay_alu instid0(VALU_DEP_1) | instskip(SKIP_2) | instid1(VALU_DEP_3)
	v_fmaak_f64 v[42:43], v[42:43], v[48:49], 0x3fe5555555555780
	v_ldexp_f64 v[48:49], v[14:15], 1
	v_add_f64_e64 v[14:15], v[14:15], -v[46:47]
	v_mul_f64_e32 v[42:43], v[50:51], v[42:43]
	v_cvt_f64_i32_e32 v[50:51], v4
	s_delay_alu instid0(VALU_DEP_3) | instskip(NEXT) | instid1(VALU_DEP_3)
	v_add_f64_e64 v[2:3], v[2:3], -v[14:15]
	v_add_f64_e32 v[46:47], v[48:49], v[42:43]
	s_delay_alu instid0(VALU_DEP_3) | instskip(NEXT) | instid1(VALU_DEP_3)
	v_mul_f64_e32 v[52:53], 0x3fe62e42fefa39ef, v[50:51]
	v_ldexp_f64 v[2:3], v[2:3], 1
	s_delay_alu instid0(VALU_DEP_3) | instskip(NEXT) | instid1(VALU_DEP_3)
	v_add_f64_e64 v[14:15], v[46:47], -v[48:49]
	v_fma_f64 v[48:49], v[50:51], s[34:35], -v[52:53]
	s_delay_alu instid0(VALU_DEP_2) | instskip(NEXT) | instid1(VALU_DEP_2)
	v_add_f64_e64 v[14:15], v[42:43], -v[14:15]
	v_fmac_f64_e32 v[48:49], 0x3c7abc9e3b39803f, v[50:51]
	s_delay_alu instid0(VALU_DEP_2) | instskip(NEXT) | instid1(VALU_DEP_2)
	v_add_f64_e32 v[2:3], v[2:3], v[14:15]
	v_add_f64_e32 v[14:15], v[52:53], v[48:49]
	s_delay_alu instid0(VALU_DEP_2) | instskip(NEXT) | instid1(VALU_DEP_2)
	v_add_f64_e32 v[42:43], v[46:47], v[2:3]
	v_add_f64_e64 v[52:53], v[14:15], -v[52:53]
	s_delay_alu instid0(VALU_DEP_2) | instskip(SKIP_1) | instid1(VALU_DEP_3)
	v_add_f64_e32 v[50:51], v[14:15], v[42:43]
	v_add_f64_e64 v[46:47], v[42:43], -v[46:47]
	v_add_f64_e64 v[48:49], v[48:49], -v[52:53]
	s_delay_alu instid0(VALU_DEP_3) | instskip(NEXT) | instid1(VALU_DEP_3)
	v_add_f64_e64 v[54:55], v[50:51], -v[14:15]
	v_add_f64_e64 v[2:3], v[2:3], -v[46:47]
	s_delay_alu instid0(VALU_DEP_2) | instskip(SKIP_1) | instid1(VALU_DEP_3)
	v_add_f64_e64 v[56:57], v[50:51], -v[54:55]
	v_add_f64_e64 v[42:43], v[42:43], -v[54:55]
	v_add_f64_e32 v[46:47], v[48:49], v[2:3]
	s_delay_alu instid0(VALU_DEP_3) | instskip(NEXT) | instid1(VALU_DEP_1)
	v_add_f64_e64 v[14:15], v[14:15], -v[56:57]
	v_add_f64_e32 v[14:15], v[42:43], v[14:15]
	s_delay_alu instid0(VALU_DEP_3) | instskip(NEXT) | instid1(VALU_DEP_2)
	v_add_f64_e64 v[42:43], v[46:47], -v[48:49]
	v_add_f64_e32 v[14:15], v[46:47], v[14:15]
	s_delay_alu instid0(VALU_DEP_2) | instskip(SKIP_1) | instid1(VALU_DEP_3)
	v_add_f64_e64 v[46:47], v[46:47], -v[42:43]
	v_add_f64_e64 v[2:3], v[2:3], -v[42:43]
	v_add_f64_e32 v[52:53], v[50:51], v[14:15]
	s_delay_alu instid0(VALU_DEP_3) | instskip(NEXT) | instid1(VALU_DEP_2)
	v_add_f64_e64 v[42:43], v[48:49], -v[46:47]
	v_add_f64_e64 v[46:47], v[52:53], -v[50:51]
	s_delay_alu instid0(VALU_DEP_2) | instskip(SKIP_1) | instid1(VALU_DEP_3)
	v_add_f64_e32 v[2:3], v[2:3], v[42:43]
	v_mov_b64_e32 v[42:43], 0x7ff8000000000000
	v_add_f64_e64 v[14:15], v[14:15], -v[46:47]
	s_delay_alu instid0(VALU_DEP_1) | instskip(NEXT) | instid1(VALU_DEP_1)
	v_add_f64_e32 v[2:3], v[2:3], v[14:15]
	v_add_f64_e32 v[2:3], v[52:53], v[2:3]
	s_delay_alu instid0(VALU_DEP_1) | instskip(SKIP_1) | instid1(VALU_DEP_2)
	v_dual_cndmask_b32 v2, v2, v44 :: v_dual_cndmask_b32 v3, v3, v45
	v_cmp_ngt_f64_e32 vcc_lo, 0, v[44:45]
	v_cndmask_b32_e32 v3, 0x7ff80000, v3, vcc_lo
	v_cmp_nge_f64_e32 vcc_lo, 0, v[44:45]
	s_delay_alu instid0(VALU_DEP_4) | instskip(SKIP_1) | instid1(VALU_DEP_4)
	v_cndmask_b32_e32 v2, 0, v2, vcc_lo
	v_cmp_neq_f64_e32 vcc_lo, 0, v[44:45]
	v_cndmask_b32_e32 v3, 0xfff00000, v3, vcc_lo
.LBB197_114:                            ;   in Loop: Header=BB197_4 Depth=1
	s_or_b32 exec_lo, exec_lo, s6
                                        ; implicit-def: $vgpr14_vgpr15
                                        ; implicit-def: $vgpr44_vgpr45
	s_delay_alu instid0(SALU_CYCLE_1)
	s_mov_b32 s6, exec_lo
	v_cmpx_o_f64_e32 v[6:7], v[8:9]
	s_xor_b32 s17, exec_lo, s6
	s_cbranch_execnz .LBB197_120
; %bb.115:                              ;   in Loop: Header=BB197_4 Depth=1
	s_and_not1_saveexec_b32 s6, s17
	s_cbranch_execnz .LBB197_147
.LBB197_116:                            ;   in Loop: Header=BB197_4 Depth=1
	s_or_b32 exec_lo, exec_lo, s6
	s_and_saveexec_b32 s6, s2
	s_delay_alu instid0(SALU_CYCLE_1)
	s_xor_b32 s2, exec_lo, s6
	s_cbranch_execnz .LBB197_152
.LBB197_117:                            ;   in Loop: Header=BB197_4 Depth=1
	s_or_b32 exec_lo, exec_lo, s2
	s_and_saveexec_b32 s2, s3
	s_cbranch_execnz .LBB197_153
.LBB197_118:                            ;   in Loop: Header=BB197_4 Depth=1
	s_or_b32 exec_lo, exec_lo, s2
	s_and_saveexec_b32 s2, s4
	s_cbranch_execnz .LBB197_154
.LBB197_119:                            ;   in Loop: Header=BB197_4 Depth=1
	s_or_b32 exec_lo, exec_lo, s2
	s_and_saveexec_b32 s2, s5
	s_cbranch_execz .LBB197_3
	s_branch .LBB197_155
.LBB197_120:                            ;   in Loop: Header=BB197_4 Depth=1
	v_cmp_lt_f64_e64 s6, |v[6:7]|, |v[8:9]|
	v_and_b32_e32 v12, 0x7fffffff, v7
	v_and_b32_e32 v21, 0x7fffffff, v9
	v_mov_b32_e32 v4, v8
                                        ; implicit-def: $vgpr14_vgpr15
                                        ; implicit-def: $vgpr44_vgpr45
	s_mov_b32 s7, exec_lo
	s_delay_alu instid0(VALU_DEP_2) | instskip(NEXT) | instid1(VALU_DEP_1)
	v_dual_cndmask_b32 v49, v21, v12, s6 :: v_dual_cndmask_b32 v48, v8, v6, s6
	v_cmpx_nlt_f64_e32 s[24:25], v[48:49]
	s_xor_b32 s33, exec_lo, s7
	s_cbranch_execz .LBB197_144
; %bb.121:                              ;   in Loop: Header=BB197_4 Depth=1
	v_dual_cndmask_b32 v51, v12, v21, s6 :: v_dual_cndmask_b32 v50, v6, v4, s6
                                        ; implicit-def: $vgpr14_vgpr15
                                        ; implicit-def: $vgpr44_vgpr45
	s_mov_b32 s7, exec_lo
	s_delay_alu instid0(VALU_DEP_1)
	v_cmpx_neq_f64_e32 1.0, v[50:51]
	s_xor_b32 s54, exec_lo, s7
	s_cbranch_execz .LBB197_137
; %bb.122:                              ;   in Loop: Header=BB197_4 Depth=1
	v_max_num_f64_e32 v[14:15], v[48:49], v[48:49]
	v_max_num_f64_e32 v[44:45], v[50:51], v[50:51]
	s_delay_alu instid0(VALU_DEP_1) | instskip(SKIP_1) | instid1(VALU_DEP_2)
	v_min_num_f64_e32 v[46:47], v[44:45], v[14:15]
	v_max_num_f64_e32 v[14:15], v[44:45], v[14:15]
                                        ; implicit-def: $vgpr44_vgpr45
	v_cmp_ngt_f64_e32 vcc_lo, s[26:27], v[46:47]
	s_delay_alu instid0(VALU_DEP_2) | instskip(SKIP_1) | instid1(SALU_CYCLE_1)
	v_cmp_nlt_f64_e64 s7, s[28:29], v[14:15]
                                        ; implicit-def: $vgpr14_vgpr15
	s_and_b32 s7, s7, vcc_lo
	s_and_saveexec_b32 s8, s7
	s_delay_alu instid0(SALU_CYCLE_1)
	s_xor_b32 s55, exec_lo, s8
	s_cbranch_execz .LBB197_134
; %bb.123:                              ;   in Loop: Header=BB197_4 Depth=1
                                        ; implicit-def: $vgpr14_vgpr15
                                        ; implicit-def: $vgpr44_vgpr45
	s_mov_b32 s7, exec_lo
	v_cmpx_le_f64_e32 1.0, v[50:51]
	s_xor_b32 s10, exec_lo, s7
	s_cbranch_execz .LBB197_125
; %bb.124:                              ;   in Loop: Header=BB197_4 Depth=1
	v_add_f64_e32 v[14:15], -1.0, v[50:51]
	v_cmp_eq_f64_e64 s7, 0, v[8:9]
	v_add_f64_e32 v[44:45], 1.0, v[50:51]
	v_cmp_class_f64_e64 s12, v[6:7], 0x204
	v_cmp_class_f64_e64 s11, v[8:9], 0x204
	s_delay_alu instid0(VALU_DEP_3) | instskip(NEXT) | instid1(VALU_DEP_1)
	v_mul_f64_e32 v[46:47], v[14:15], v[44:45]
	v_fmac_f64_e32 v[46:47], v[48:49], v[48:49]
	s_delay_alu instid0(VALU_DEP_1) | instskip(SKIP_2) | instid1(VALU_DEP_3)
	v_add_f64_e32 v[14:15], 1.0, v[46:47]
	v_cmp_nge_f64_e64 s8, -1.0, v[46:47]
	v_cmp_neq_f64_e64 s9, 0x7ff00000, v[46:47]
	v_frexp_mant_f64_e32 v[44:45], v[14:15]
	v_frexp_exp_i32_f64_e32 v4, v[14:15]
	v_add_f64_e32 v[48:49], -1.0, v[14:15]
	s_delay_alu instid0(VALU_DEP_3) | instskip(NEXT) | instid1(VALU_DEP_2)
	v_cmp_gt_f64_e32 vcc_lo, s[30:31], v[44:45]
	v_add_f64_e64 v[44:45], v[48:49], -v[14:15]
	v_add_f64_e64 v[48:49], v[46:47], -v[48:49]
	v_subrev_co_ci_u32_e64 v4, null, 0, v4, vcc_lo
	s_delay_alu instid0(VALU_DEP_3) | instskip(NEXT) | instid1(VALU_DEP_2)
	v_add_f64_e32 v[44:45], 1.0, v[44:45]
	v_sub_nc_u32_e32 v12, 0, v4
	s_delay_alu instid0(VALU_DEP_1) | instskip(NEXT) | instid1(VALU_DEP_3)
	v_ldexp_f64 v[14:15], v[14:15], v12
	v_add_f64_e32 v[44:45], v[48:49], v[44:45]
	s_delay_alu instid0(VALU_DEP_2) | instskip(SKIP_1) | instid1(VALU_DEP_3)
	v_add_f64_e32 v[50:51], 1.0, v[14:15]
	v_add_f64_e32 v[56:57], -1.0, v[14:15]
	v_ldexp_f64 v[44:45], v[44:45], v12
	s_delay_alu instid0(VALU_DEP_3) | instskip(NEXT) | instid1(VALU_DEP_3)
	v_add_f64_e32 v[48:49], -1.0, v[50:51]
	v_add_f64_e32 v[58:59], 1.0, v[56:57]
	s_delay_alu instid0(VALU_DEP_2) | instskip(NEXT) | instid1(VALU_DEP_2)
	v_add_f64_e64 v[48:49], v[14:15], -v[48:49]
	v_add_f64_e64 v[14:15], v[14:15], -v[58:59]
	s_delay_alu instid0(VALU_DEP_2) | instskip(NEXT) | instid1(VALU_DEP_2)
	v_add_f64_e32 v[48:49], v[44:45], v[48:49]
	v_add_f64_e32 v[14:15], v[44:45], v[14:15]
	s_delay_alu instid0(VALU_DEP_2) | instskip(NEXT) | instid1(VALU_DEP_2)
	v_add_f64_e32 v[52:53], v[50:51], v[48:49]
	v_add_f64_e32 v[58:59], v[56:57], v[14:15]
	s_delay_alu instid0(VALU_DEP_2) | instskip(SKIP_1) | instid1(VALU_DEP_2)
	v_rcp_f64_e32 v[54:55], v[52:53]
	v_add_f64_e64 v[50:51], v[52:53], -v[50:51]
	v_add_f64_e64 v[56:57], v[58:59], -v[56:57]
	s_delay_alu instid0(VALU_DEP_2) | instskip(NEXT) | instid1(VALU_DEP_2)
	v_add_f64_e64 v[48:49], v[48:49], -v[50:51]
	v_add_f64_e64 v[14:15], v[14:15], -v[56:57]
	s_delay_alu instid0(TRANS32_DEP_1) | instskip(NEXT) | instid1(VALU_DEP_1)
	v_fma_f64 v[60:61], -v[52:53], v[54:55], 1.0
	v_fmac_f64_e32 v[54:55], v[60:61], v[54:55]
	s_delay_alu instid0(VALU_DEP_1) | instskip(NEXT) | instid1(VALU_DEP_1)
	v_fma_f64 v[44:45], -v[52:53], v[54:55], 1.0
	v_fmac_f64_e32 v[54:55], v[44:45], v[54:55]
	s_delay_alu instid0(VALU_DEP_1) | instskip(NEXT) | instid1(VALU_DEP_1)
	v_mul_f64_e32 v[44:45], v[58:59], v[54:55]
	v_mul_f64_e32 v[60:61], v[52:53], v[44:45]
	s_delay_alu instid0(VALU_DEP_1) | instskip(NEXT) | instid1(VALU_DEP_1)
	v_fma_f64 v[50:51], v[44:45], v[52:53], -v[60:61]
	v_fmac_f64_e32 v[50:51], v[44:45], v[48:49]
	s_delay_alu instid0(VALU_DEP_1) | instskip(NEXT) | instid1(VALU_DEP_1)
	v_add_f64_e32 v[62:63], v[60:61], v[50:51]
	v_add_f64_e64 v[64:65], v[58:59], -v[62:63]
	v_add_f64_e64 v[56:57], v[62:63], -v[60:61]
	s_delay_alu instid0(VALU_DEP_2) | instskip(NEXT) | instid1(VALU_DEP_2)
	v_add_f64_e64 v[58:59], v[58:59], -v[64:65]
	v_add_f64_e64 v[50:51], v[56:57], -v[50:51]
	s_delay_alu instid0(VALU_DEP_2) | instskip(NEXT) | instid1(VALU_DEP_1)
	v_add_f64_e64 v[58:59], v[58:59], -v[62:63]
	v_add_f64_e32 v[14:15], v[14:15], v[58:59]
	s_delay_alu instid0(VALU_DEP_1) | instskip(NEXT) | instid1(VALU_DEP_1)
	v_add_f64_e32 v[14:15], v[50:51], v[14:15]
	v_add_f64_e32 v[50:51], v[64:65], v[14:15]
	s_delay_alu instid0(VALU_DEP_1) | instskip(SKIP_1) | instid1(VALU_DEP_2)
	v_mul_f64_e32 v[56:57], v[54:55], v[50:51]
	v_add_f64_e64 v[62:63], v[64:65], -v[50:51]
	v_mul_f64_e32 v[58:59], v[52:53], v[56:57]
	s_delay_alu instid0(VALU_DEP_2) | instskip(NEXT) | instid1(VALU_DEP_2)
	v_add_f64_e32 v[14:15], v[14:15], v[62:63]
	v_fma_f64 v[52:53], v[56:57], v[52:53], -v[58:59]
	s_delay_alu instid0(VALU_DEP_1) | instskip(NEXT) | instid1(VALU_DEP_1)
	v_fmac_f64_e32 v[52:53], v[56:57], v[48:49]
	v_add_f64_e32 v[48:49], v[58:59], v[52:53]
	s_delay_alu instid0(VALU_DEP_1) | instskip(SKIP_1) | instid1(VALU_DEP_2)
	v_add_f64_e64 v[60:61], v[50:51], -v[48:49]
	v_add_f64_e64 v[58:59], v[48:49], -v[58:59]
	;; [unrolled: 1-line block ×3, first 2 shown]
	s_delay_alu instid0(VALU_DEP_1) | instskip(NEXT) | instid1(VALU_DEP_3)
	v_add_f64_e64 v[48:49], v[50:51], -v[48:49]
	v_add_f64_e64 v[50:51], v[58:59], -v[52:53]
	v_max_num_f64_e64 v[52:53], |v[6:7]|, |v[6:7]|
	s_delay_alu instid0(VALU_DEP_3) | instskip(SKIP_1) | instid1(VALU_DEP_2)
	v_add_f64_e32 v[14:15], v[14:15], v[48:49]
	v_add_f64_e32 v[48:49], v[44:45], v[56:57]
	v_add_f64_e32 v[14:15], v[50:51], v[14:15]
	s_delay_alu instid0(VALU_DEP_2) | instskip(SKIP_1) | instid1(VALU_DEP_3)
	v_add_f64_e64 v[44:45], v[48:49], -v[44:45]
	v_max_num_f64_e64 v[50:51], |v[8:9]|, |v[8:9]|
	v_add_f64_e32 v[14:15], v[60:61], v[14:15]
	s_delay_alu instid0(VALU_DEP_3) | instskip(NEXT) | instid1(VALU_DEP_2)
	v_add_f64_e64 v[44:45], v[56:57], -v[44:45]
	v_mul_f64_e32 v[14:15], v[54:55], v[14:15]
	s_delay_alu instid0(VALU_DEP_1) | instskip(SKIP_2) | instid1(VALU_DEP_3)
	v_add_f64_e32 v[14:15], v[44:45], v[14:15]
	v_max_num_f64_e32 v[44:45], v[52:53], v[50:51]
	v_min_num_f64_e32 v[50:51], v[52:53], v[50:51]
	v_add_f64_e32 v[52:53], v[48:49], v[14:15]
	s_delay_alu instid0(VALU_DEP_2) | instskip(NEXT) | instid1(VALU_DEP_2)
	v_div_scale_f64 v[54:55], null, v[44:45], v[44:45], v[50:51]
	v_mul_f64_e32 v[56:57], v[52:53], v[52:53]
	v_add_f64_e64 v[48:49], v[52:53], -v[48:49]
	s_delay_alu instid0(VALU_DEP_3) | instskip(NEXT) | instid1(VALU_DEP_2)
	v_rcp_f64_e32 v[58:59], v[54:55]
	v_fmamk_f64 v[60:61], v[56:57], 0x3fc3ab76bf559e2b, v[24:25]
	v_mul_f64_e32 v[62:63], v[52:53], v[56:57]
	s_delay_alu instid0(VALU_DEP_3) | instskip(NEXT) | instid1(VALU_DEP_3)
	v_add_f64_e64 v[14:15], v[14:15], -v[48:49]
	v_fmaak_f64 v[60:61], v[56:57], v[60:61], 0x3fc7474dd7f4df2e
	s_delay_alu instid0(TRANS32_DEP_1) | instskip(NEXT) | instid1(VALU_DEP_2)
	v_fma_f64 v[64:65], -v[54:55], v[58:59], 1.0
	v_fmaak_f64 v[60:61], v[56:57], v[60:61], 0x3fcc71c016291751
	s_delay_alu instid0(VALU_DEP_1) | instskip(NEXT) | instid1(VALU_DEP_1)
	v_fmaak_f64 v[60:61], v[56:57], v[60:61], 0x3fd249249b27acf1
	v_fmaak_f64 v[60:61], v[56:57], v[60:61], 0x3fd99999998ef7b6
	v_ldexp_f64 v[14:15], v[14:15], 1
	s_delay_alu instid0(VALU_DEP_2) | instskip(SKIP_2) | instid1(VALU_DEP_3)
	v_fmaak_f64 v[56:57], v[56:57], v[60:61], 0x3fe5555555555780
	v_ldexp_f64 v[60:61], v[52:53], 1
	v_fmac_f64_e32 v[58:59], v[58:59], v[64:65]
	v_mul_f64_e32 v[56:57], v[62:63], v[56:57]
	v_cvt_f64_i32_e32 v[62:63], v4
	v_ashrrev_i32_e32 v4, 31, v7
	s_delay_alu instid0(VALU_DEP_1) | instskip(SKIP_4) | instid1(VALU_DEP_3)
	v_and_b32_e32 v16, 0x54442d18, v4
	v_and_b32_e32 v4, 0x400921fb, v4
	v_fma_f64 v[64:65], -v[54:55], v[58:59], 1.0
	v_add_f64_e32 v[52:53], v[60:61], v[56:57]
	v_mul_f64_e32 v[66:67], 0x3fe62e42fefa39ef, v[62:63]
	v_fmac_f64_e32 v[58:59], v[58:59], v[64:65]
	s_delay_alu instid0(VALU_DEP_3) | instskip(SKIP_1) | instid1(VALU_DEP_4)
	v_add_f64_e64 v[48:49], v[52:53], -v[60:61]
	v_div_scale_f64 v[60:61], vcc_lo, v[50:51], v[44:45], v[50:51]
	v_fma_f64 v[64:65], v[62:63], s[34:35], -v[66:67]
	s_delay_alu instid0(VALU_DEP_3) | instskip(NEXT) | instid1(VALU_DEP_3)
	v_add_f64_e64 v[48:49], v[56:57], -v[48:49]
	v_mul_f64_e32 v[56:57], v[60:61], v[58:59]
	s_delay_alu instid0(VALU_DEP_3) | instskip(NEXT) | instid1(VALU_DEP_3)
	v_fmac_f64_e32 v[64:65], 0x3c7abc9e3b39803f, v[62:63]
	v_add_f64_e32 v[14:15], v[14:15], v[48:49]
	s_delay_alu instid0(VALU_DEP_3) | instskip(NEXT) | instid1(VALU_DEP_3)
	v_fma_f64 v[48:49], -v[54:55], v[56:57], v[60:61]
	v_add_f64_e32 v[54:55], v[66:67], v[64:65]
	s_delay_alu instid0(VALU_DEP_3) | instskip(NEXT) | instid1(VALU_DEP_3)
	v_add_f64_e32 v[60:61], v[52:53], v[14:15]
	v_div_fmas_f64 v[48:49], v[48:49], v[58:59], v[56:57]
	v_cmp_gt_i32_e32 vcc_lo, 0, v7
	s_delay_alu instid0(VALU_DEP_4) | instskip(SKIP_2) | instid1(VALU_DEP_1)
	v_add_f64_e64 v[58:59], v[54:55], -v[66:67]
	v_cndmask_b32_e32 v12, 0x54442d18, v68, vcc_lo
	v_cndmask_b32_e32 v6, 0x3fe921fb, v69, vcc_lo
	v_bfi_b32 v6, 0x7fffffff, v6, v9
	v_add_f64_e32 v[56:57], v[54:55], v[60:61]
	v_div_fixup_f64 v[44:45], v[48:49], v[44:45], v[50:51]
	v_add_f64_e64 v[52:53], v[60:61], -v[52:53]
	v_add_f64_e64 v[58:59], v[64:65], -v[58:59]
	s_delay_alu instid0(VALU_DEP_4) | instskip(NEXT) | instid1(VALU_DEP_4)
	v_add_f64_e64 v[48:49], v[56:57], -v[54:55]
	v_mul_f64_e32 v[50:51], v[44:45], v[44:45]
	s_delay_alu instid0(VALU_DEP_4) | instskip(NEXT) | instid1(VALU_DEP_3)
	v_add_f64_e64 v[14:15], v[14:15], -v[52:53]
	v_add_f64_e64 v[62:63], v[56:57], -v[48:49]
	s_delay_alu instid0(VALU_DEP_3) | instskip(SKIP_1) | instid1(VALU_DEP_4)
	v_fmamk_f64 v[66:67], v[50:51], 0x3eeba404b5e68a13, v[26:27]
	v_add_f64_e64 v[48:49], v[60:61], -v[48:49]
	v_add_f64_e32 v[60:61], v[58:59], v[14:15]
	s_delay_alu instid0(VALU_DEP_3) | instskip(SKIP_1) | instid1(VALU_DEP_2)
	v_fmaak_f64 v[66:67], v[50:51], v[66:67], 0x3f4b2bb069efb384
	v_add_f64_e64 v[52:53], v[54:55], -v[62:63]
	v_fmaak_f64 v[54:55], v[50:51], v[66:67], 0xbf67952daf56de9b
	s_delay_alu instid0(VALU_DEP_1) | instskip(NEXT) | instid1(VALU_DEP_1)
	v_fmaak_f64 v[54:55], v[50:51], v[54:55], 0x3f7d6d43a595c56f
	v_fmaak_f64 v[54:55], v[50:51], v[54:55], 0xbf8c6ea4a57d9582
	s_delay_alu instid0(VALU_DEP_1) | instskip(NEXT) | instid1(VALU_DEP_1)
	v_fmaak_f64 v[54:55], v[50:51], v[54:55], 0x3f967e295f08b19f
	v_fmaak_f64 v[54:55], v[50:51], v[54:55], 0xbf9e9ae6fc27006a
	v_add_f64_e32 v[48:49], v[48:49], v[52:53]
	s_delay_alu instid0(VALU_DEP_2) | instskip(SKIP_1) | instid1(VALU_DEP_2)
	v_fmaak_f64 v[52:53], v[50:51], v[54:55], 0x3fa2c15b5711927a
	v_add_f64_e64 v[54:55], v[60:61], -v[58:59]
	v_fmaak_f64 v[52:53], v[50:51], v[52:53], 0xbfa59976e82d3ff0
	s_delay_alu instid0(VALU_DEP_1) | instskip(NEXT) | instid1(VALU_DEP_1)
	v_fmaak_f64 v[52:53], v[50:51], v[52:53], 0x3fa82d5d6ef28734
	v_fmaak_f64 v[52:53], v[50:51], v[52:53], 0xbfaae5ce6a214619
	s_delay_alu instid0(VALU_DEP_1) | instskip(SKIP_3) | instid1(VALU_DEP_4)
	v_fmaak_f64 v[52:53], v[50:51], v[52:53], 0x3fae1bb48427b883
	v_add_f64_e32 v[48:49], v[60:61], v[48:49]
	v_add_f64_e64 v[60:61], v[60:61], -v[54:55]
	v_add_f64_e64 v[14:15], v[14:15], -v[54:55]
	v_fmaak_f64 v[52:53], v[50:51], v[52:53], 0xbfb110e48b207f05
	s_delay_alu instid0(VALU_DEP_1) | instskip(NEXT) | instid1(VALU_DEP_1)
	v_fmaak_f64 v[52:53], v[50:51], v[52:53], 0x3fb3b13657b87036
	v_fmaak_f64 v[52:53], v[50:51], v[52:53], 0xbfb745d119378e4f
	s_delay_alu instid0(VALU_DEP_1) | instskip(SKIP_1) | instid1(VALU_DEP_2)
	v_fmaak_f64 v[52:53], v[50:51], v[52:53], 0x3fbc71c717e1913c
	v_add_f64_e32 v[62:63], v[56:57], v[48:49]
	v_fmaak_f64 v[52:53], v[50:51], v[52:53], 0xbfc2492492376b7d
	s_delay_alu instid0(VALU_DEP_1) | instskip(NEXT) | instid1(VALU_DEP_1)
	v_fmaak_f64 v[52:53], v[50:51], v[52:53], 0x3fc99999999952cc
	v_fmaak_f64 v[52:53], v[50:51], v[52:53], 0xbfd5555555555523
	s_delay_alu instid0(VALU_DEP_1) | instskip(SKIP_2) | instid1(VALU_DEP_3)
	v_mul_f64_e32 v[50:51], v[50:51], v[52:53]
	v_add_f64_e64 v[52:53], v[58:59], -v[60:61]
	v_add_f64_e64 v[54:55], v[62:63], -v[56:57]
	v_fmac_f64_e32 v[44:45], v[44:45], v[50:51]
	s_delay_alu instid0(VALU_DEP_3) | instskip(NEXT) | instid1(VALU_DEP_3)
	v_add_f64_e32 v[14:15], v[14:15], v[52:53]
	v_add_f64_e64 v[48:49], v[48:49], -v[54:55]
	s_delay_alu instid0(VALU_DEP_3) | instskip(NEXT) | instid1(VALU_DEP_1)
	v_add_f64_e64 v[50:51], -v[44:45], s[40:41]
	v_dual_add_f64 v[14:15], v[14:15], v[48:49] :: v_dual_cndmask_b32 v45, v45, v51, s6
	s_delay_alu instid0(VALU_DEP_2) | instskip(NEXT) | instid1(VALU_DEP_1)
	v_cndmask_b32_e64 v44, v44, v50, s6
                                        ; implicit-def: $vgpr50_vgpr51
	v_add_f64_e64 v[48:49], -v[44:45], s[42:43]
	s_delay_alu instid0(VALU_DEP_1) | instskip(NEXT) | instid1(VALU_DEP_2)
	v_dual_add_f64 v[14:15], v[62:63], v[14:15] :: v_dual_cndmask_b32 v21, v44, v48, vcc_lo
	v_cndmask_b32_e32 v7, v45, v49, vcc_lo
	v_cmp_ngt_f64_e32 vcc_lo, -1.0, v[46:47]
	s_delay_alu instid0(VALU_DEP_3) | instskip(NEXT) | instid1(VALU_DEP_4)
	v_mul_f64_e32 v[14:15], 0.5, v[14:15]
                                        ; implicit-def: $vgpr48_vgpr49
	v_cndmask_b32_e64 v16, v21, v16, s7
	s_delay_alu instid0(VALU_DEP_4)
	v_cndmask_b32_e64 v4, v7, v4, s7
	s_and_b32 s7, s8, s9
	s_delay_alu instid0(VALU_DEP_3) | instid1(SALU_CYCLE_1)
	v_cndmask_b32_e64 v14, 0, v14, s7
	v_cmp_neq_f64_e64 s7, -1.0, v[46:47]
	v_cndmask_b32_e64 v15, 0x7ff00000, v15, s9
	s_delay_alu instid0(VALU_DEP_1) | instskip(SKIP_3) | instid1(VALU_DEP_3)
	v_cndmask_b32_e32 v7, 0x7ff80000, v15, vcc_lo
	s_and_b32 vcc_lo, s11, s12
	v_cndmask_b32_e32 v45, v4, v6, vcc_lo
	v_cndmask_b32_e32 v44, v16, v12, vcc_lo
	v_cndmask_b32_e64 v15, 0xfff00000, v7, s7
.LBB197_125:                            ;   in Loop: Header=BB197_4 Depth=1
	s_and_not1_saveexec_b32 s56, s10
	s_cbranch_execz .LBB197_133
; %bb.126:                              ;   in Loop: Header=BB197_4 Depth=1
	v_mul_f64_e32 v[46:47], v[48:49], v[48:49]
                                        ; implicit-def: $vgpr14_vgpr15
                                        ; implicit-def: $vgpr44_vgpr45
	s_mov_b32 s7, exec_lo
	s_delay_alu instid0(VALU_DEP_1) | instskip(NEXT) | instid1(VALU_DEP_1)
	v_fmac_f64_e32 v[46:47], v[50:51], v[50:51]
	v_cmpx_ge_f64_e32 s[44:45], v[46:47]
	s_xor_b32 s9, exec_lo, s7
	s_cbranch_execz .LBB197_128
; %bb.127:                              ;   in Loop: Header=BB197_4 Depth=1
	v_frexp_mant_f64_e32 v[14:15], v[46:47]
	v_cmp_eq_f64_e64 s7, 0, v[8:9]
	v_cmp_neq_f64_e64 s8, 0, v[46:47]
	v_cmp_class_f64_e64 s10, v[8:9], 0x204
	v_cmp_class_f64_e64 s11, v[6:7], 0x204
	v_cmp_gt_f64_e32 vcc_lo, s[30:31], v[14:15]
	v_cndmask_b32_e64 v4, 0, 1, vcc_lo
	s_delay_alu instid0(VALU_DEP_1) | instskip(SKIP_1) | instid1(VALU_DEP_2)
	v_ldexp_f64 v[14:15], v[14:15], v4
	v_frexp_exp_i32_f64_e32 v4, v[46:47]
	v_add_f64_e32 v[44:45], 1.0, v[14:15]
	v_add_f64_e32 v[52:53], -1.0, v[14:15]
	s_delay_alu instid0(VALU_DEP_3) | instskip(NEXT) | instid1(VALU_DEP_3)
	v_subrev_co_ci_u32_e64 v4, null, 0, v4, vcc_lo
	v_rcp_f64_e32 v[48:49], v[44:45]
	v_add_f64_e32 v[54:55], -1.0, v[44:45]
	s_delay_alu instid0(VALU_DEP_1) | instskip(NEXT) | instid1(TRANS32_DEP_1)
	v_add_f64_e64 v[14:15], v[14:15], -v[54:55]
	v_fma_f64 v[50:51], -v[44:45], v[48:49], 1.0
	s_delay_alu instid0(VALU_DEP_1) | instskip(NEXT) | instid1(VALU_DEP_1)
	v_fmac_f64_e32 v[48:49], v[50:51], v[48:49]
	v_fma_f64 v[50:51], -v[44:45], v[48:49], 1.0
	s_delay_alu instid0(VALU_DEP_1) | instskip(NEXT) | instid1(VALU_DEP_1)
	v_fmac_f64_e32 v[48:49], v[50:51], v[48:49]
	v_mul_f64_e32 v[50:51], v[52:53], v[48:49]
	s_delay_alu instid0(VALU_DEP_1) | instskip(NEXT) | instid1(VALU_DEP_1)
	v_mul_f64_e32 v[56:57], v[44:45], v[50:51]
	v_fma_f64 v[44:45], v[50:51], v[44:45], -v[56:57]
	s_delay_alu instid0(VALU_DEP_1) | instskip(NEXT) | instid1(VALU_DEP_1)
	v_fmac_f64_e32 v[44:45], v[50:51], v[14:15]
	v_add_f64_e32 v[14:15], v[56:57], v[44:45]
	s_delay_alu instid0(VALU_DEP_1) | instskip(SKIP_1) | instid1(VALU_DEP_2)
	v_add_f64_e64 v[54:55], v[52:53], -v[14:15]
	v_add_f64_e64 v[56:57], v[14:15], -v[56:57]
	;; [unrolled: 1-line block ×3, first 2 shown]
	s_delay_alu instid0(VALU_DEP_2) | instskip(NEXT) | instid1(VALU_DEP_2)
	v_add_f64_e64 v[44:45], v[56:57], -v[44:45]
	v_add_f64_e64 v[14:15], v[52:53], -v[14:15]
	v_max_num_f64_e64 v[52:53], |v[6:7]|, |v[6:7]|
	s_delay_alu instid0(VALU_DEP_2) | instskip(SKIP_1) | instid1(VALU_DEP_2)
	v_add_f64_e32 v[14:15], v[44:45], v[14:15]
	v_max_num_f64_e64 v[44:45], |v[8:9]|, |v[8:9]|
	v_add_f64_e32 v[14:15], v[54:55], v[14:15]
	s_delay_alu instid0(VALU_DEP_1) | instskip(NEXT) | instid1(VALU_DEP_3)
	v_mul_f64_e32 v[14:15], v[48:49], v[14:15]
	v_max_num_f64_e32 v[48:49], v[52:53], v[44:45]
	v_min_num_f64_e32 v[44:45], v[52:53], v[44:45]
	s_delay_alu instid0(VALU_DEP_3) | instskip(NEXT) | instid1(VALU_DEP_2)
	v_add_f64_e32 v[52:53], v[50:51], v[14:15]
	v_div_scale_f64 v[54:55], null, v[48:49], v[48:49], v[44:45]
	s_delay_alu instid0(VALU_DEP_2) | instskip(NEXT) | instid1(VALU_DEP_2)
	v_mul_f64_e32 v[56:57], v[52:53], v[52:53]
	v_rcp_f64_e32 v[58:59], v[54:55]
	s_delay_alu instid0(VALU_DEP_1) | instskip(SKIP_1) | instid1(VALU_DEP_2)
	v_fmamk_f64 v[60:61], v[56:57], 0x3fc3ab76bf559e2b, v[24:25]
	v_mul_f64_e32 v[62:63], v[52:53], v[56:57]
	v_fmaak_f64 v[60:61], v[56:57], v[60:61], 0x3fc7474dd7f4df2e
	s_delay_alu instid0(TRANS32_DEP_1) | instskip(NEXT) | instid1(VALU_DEP_2)
	v_fma_f64 v[64:65], -v[54:55], v[58:59], 1.0
	v_fmaak_f64 v[60:61], v[56:57], v[60:61], 0x3fcc71c016291751
	s_delay_alu instid0(VALU_DEP_1) | instskip(NEXT) | instid1(VALU_DEP_1)
	v_fmaak_f64 v[60:61], v[56:57], v[60:61], 0x3fd249249b27acf1
	v_fmaak_f64 v[60:61], v[56:57], v[60:61], 0x3fd99999998ef7b6
	s_delay_alu instid0(VALU_DEP_1) | instskip(SKIP_2) | instid1(VALU_DEP_3)
	v_fmaak_f64 v[56:57], v[56:57], v[60:61], 0x3fe5555555555780
	v_ldexp_f64 v[60:61], v[52:53], 1
	v_fmac_f64_e32 v[58:59], v[58:59], v[64:65]
	v_mul_f64_e32 v[56:57], v[62:63], v[56:57]
	v_cvt_f64_i32_e32 v[62:63], v4
	v_ashrrev_i32_e32 v4, 31, v7
	v_add_f64_e64 v[50:51], v[52:53], -v[50:51]
	s_delay_alu instid0(VALU_DEP_2)
	v_and_b32_e32 v16, 0x54442d18, v4
	v_and_b32_e32 v4, 0x400921fb, v4
	v_fma_f64 v[64:65], -v[54:55], v[58:59], 1.0
	v_add_f64_e32 v[52:53], v[60:61], v[56:57]
	v_mul_f64_e32 v[66:67], 0x3fe62e42fefa39ef, v[62:63]
	v_add_f64_e64 v[14:15], v[14:15], -v[50:51]
	s_delay_alu instid0(VALU_DEP_4) | instskip(NEXT) | instid1(VALU_DEP_4)
	v_fmac_f64_e32 v[58:59], v[58:59], v[64:65]
	v_add_f64_e64 v[50:51], v[52:53], -v[60:61]
	v_div_scale_f64 v[60:61], vcc_lo, v[44:45], v[48:49], v[44:45]
	v_fma_f64 v[64:65], v[62:63], s[34:35], -v[66:67]
	v_ldexp_f64 v[14:15], v[14:15], 1
	s_delay_alu instid0(VALU_DEP_4) | instskip(NEXT) | instid1(VALU_DEP_4)
	v_add_f64_e64 v[50:51], v[56:57], -v[50:51]
	v_mul_f64_e32 v[56:57], v[60:61], v[58:59]
	s_delay_alu instid0(VALU_DEP_4) | instskip(NEXT) | instid1(VALU_DEP_3)
	v_fmac_f64_e32 v[64:65], 0x3c7abc9e3b39803f, v[62:63]
	v_add_f64_e32 v[14:15], v[14:15], v[50:51]
	s_delay_alu instid0(VALU_DEP_3) | instskip(NEXT) | instid1(VALU_DEP_3)
	v_fma_f64 v[50:51], -v[54:55], v[56:57], v[60:61]
	v_add_f64_e32 v[54:55], v[66:67], v[64:65]
	s_delay_alu instid0(VALU_DEP_3) | instskip(NEXT) | instid1(VALU_DEP_3)
	v_add_f64_e32 v[60:61], v[52:53], v[14:15]
	v_div_fmas_f64 v[50:51], v[50:51], v[58:59], v[56:57]
	v_cmp_gt_i32_e32 vcc_lo, 0, v7
	s_delay_alu instid0(VALU_DEP_4)
	v_add_f64_e64 v[58:59], v[54:55], -v[66:67]
	v_cndmask_b32_e32 v12, 0x54442d18, v68, vcc_lo
	v_add_f64_e32 v[56:57], v[54:55], v[60:61]
	v_div_fixup_f64 v[44:45], v[50:51], v[48:49], v[44:45]
	v_add_f64_e64 v[52:53], v[60:61], -v[52:53]
	v_add_f64_e64 v[58:59], v[64:65], -v[58:59]
	s_delay_alu instid0(VALU_DEP_4) | instskip(NEXT) | instid1(VALU_DEP_4)
	v_add_f64_e64 v[48:49], v[56:57], -v[54:55]
	v_mul_f64_e32 v[50:51], v[44:45], v[44:45]
	s_delay_alu instid0(VALU_DEP_4) | instskip(NEXT) | instid1(VALU_DEP_3)
	v_add_f64_e64 v[14:15], v[14:15], -v[52:53]
	v_add_f64_e64 v[62:63], v[56:57], -v[48:49]
	s_delay_alu instid0(VALU_DEP_3) | instskip(SKIP_1) | instid1(VALU_DEP_4)
	v_fmamk_f64 v[66:67], v[50:51], 0x3eeba404b5e68a13, v[26:27]
	v_add_f64_e64 v[48:49], v[60:61], -v[48:49]
	v_add_f64_e32 v[60:61], v[58:59], v[14:15]
	s_delay_alu instid0(VALU_DEP_3) | instskip(NEXT) | instid1(VALU_DEP_1)
	v_fmaak_f64 v[66:67], v[50:51], v[66:67], 0x3f4b2bb069efb384
	v_fmaak_f64 v[66:67], v[50:51], v[66:67], 0xbf67952daf56de9b
	v_add_f64_e64 v[52:53], v[54:55], -v[62:63]
	s_delay_alu instid0(VALU_DEP_2) | instskip(NEXT) | instid1(VALU_DEP_1)
	v_fmaak_f64 v[54:55], v[50:51], v[66:67], 0x3f7d6d43a595c56f
	v_fmaak_f64 v[54:55], v[50:51], v[54:55], 0xbf8c6ea4a57d9582
	s_delay_alu instid0(VALU_DEP_1) | instskip(NEXT) | instid1(VALU_DEP_1)
	v_fmaak_f64 v[54:55], v[50:51], v[54:55], 0x3f967e295f08b19f
	v_fmaak_f64 v[54:55], v[50:51], v[54:55], 0xbf9e9ae6fc27006a
	s_delay_alu instid0(VALU_DEP_1) | instskip(SKIP_1) | instid1(VALU_DEP_2)
	v_fmaak_f64 v[54:55], v[50:51], v[54:55], 0x3fa2c15b5711927a
	v_add_f64_e32 v[48:49], v[48:49], v[52:53]
	v_fmaak_f64 v[52:53], v[50:51], v[54:55], 0xbfa59976e82d3ff0
	v_add_f64_e64 v[54:55], v[60:61], -v[58:59]
	s_delay_alu instid0(VALU_DEP_2) | instskip(NEXT) | instid1(VALU_DEP_1)
	v_fmaak_f64 v[52:53], v[50:51], v[52:53], 0x3fa82d5d6ef28734
	v_fmaak_f64 v[52:53], v[50:51], v[52:53], 0xbfaae5ce6a214619
	s_delay_alu instid0(VALU_DEP_1) | instskip(NEXT) | instid1(VALU_DEP_1)
	v_fmaak_f64 v[52:53], v[50:51], v[52:53], 0x3fae1bb48427b883
	v_fmaak_f64 v[52:53], v[50:51], v[52:53], 0xbfb110e48b207f05
	v_add_f64_e32 v[48:49], v[60:61], v[48:49]
	v_add_f64_e64 v[60:61], v[60:61], -v[54:55]
	v_add_f64_e64 v[14:15], v[14:15], -v[54:55]
	s_delay_alu instid0(VALU_DEP_4) | instskip(NEXT) | instid1(VALU_DEP_1)
	v_fmaak_f64 v[52:53], v[50:51], v[52:53], 0x3fb3b13657b87036
	v_fmaak_f64 v[52:53], v[50:51], v[52:53], 0xbfb745d119378e4f
	s_delay_alu instid0(VALU_DEP_1) | instskip(NEXT) | instid1(VALU_DEP_1)
	v_fmaak_f64 v[52:53], v[50:51], v[52:53], 0x3fbc71c717e1913c
	v_fmaak_f64 v[52:53], v[50:51], v[52:53], 0xbfc2492492376b7d
	v_add_f64_e32 v[62:63], v[56:57], v[48:49]
	s_delay_alu instid0(VALU_DEP_2) | instskip(NEXT) | instid1(VALU_DEP_1)
	v_fmaak_f64 v[52:53], v[50:51], v[52:53], 0x3fc99999999952cc
	v_fmaak_f64 v[52:53], v[50:51], v[52:53], 0xbfd5555555555523
	s_delay_alu instid0(VALU_DEP_1) | instskip(SKIP_2) | instid1(VALU_DEP_3)
	v_mul_f64_e32 v[50:51], v[50:51], v[52:53]
	v_add_f64_e64 v[52:53], v[58:59], -v[60:61]
	v_add_f64_e64 v[54:55], v[62:63], -v[56:57]
	v_fmac_f64_e32 v[44:45], v[44:45], v[50:51]
	s_delay_alu instid0(VALU_DEP_3) | instskip(NEXT) | instid1(VALU_DEP_3)
	v_add_f64_e32 v[14:15], v[14:15], v[52:53]
	v_add_f64_e64 v[48:49], v[48:49], -v[54:55]
	s_delay_alu instid0(VALU_DEP_3) | instskip(NEXT) | instid1(VALU_DEP_1)
	v_add_f64_e64 v[50:51], -v[44:45], s[40:41]
	v_dual_add_f64 v[14:15], v[14:15], v[48:49] :: v_dual_cndmask_b32 v45, v45, v51, s6
	s_delay_alu instid0(VALU_DEP_2) | instskip(NEXT) | instid1(VALU_DEP_1)
	v_cndmask_b32_e64 v44, v44, v50, s6
                                        ; implicit-def: $vgpr50_vgpr51
	v_add_f64_e64 v[48:49], -v[44:45], s[42:43]
	s_delay_alu instid0(VALU_DEP_1) | instskip(NEXT) | instid1(VALU_DEP_1)
	v_dual_add_f64 v[14:15], v[62:63], v[14:15] :: v_dual_cndmask_b32 v21, v44, v48, vcc_lo
	v_dual_mul_f64 v[6:7], 0.5, v[14:15] :: v_dual_cndmask_b32 v16, v21, v16, s7
	v_cndmask_b32_e32 v14, 0x3fe921fb, v69, vcc_lo
	s_delay_alu instid0(VALU_DEP_4) | instskip(SKIP_1) | instid1(VALU_DEP_3)
	v_cndmask_b32_e32 v15, v45, v49, vcc_lo
	s_and_b32 vcc_lo, s10, s11
                                        ; implicit-def: $vgpr48_vgpr49
	v_cndmask_b32_e32 v44, v16, v12, vcc_lo
	s_delay_alu instid0(VALU_DEP_3) | instskip(NEXT) | instid1(VALU_DEP_3)
	v_bfi_b32 v14, 0x7fffffff, v14, v9
	v_cndmask_b32_e64 v4, v15, v4, s7
	s_delay_alu instid0(VALU_DEP_1)
	v_cndmask_b32_e32 v45, v4, v14, vcc_lo
	v_cndmask_b32_e64 v15, 0xfff00000, v7, s8
	v_cndmask_b32_e64 v14, 0, v6, s8
.LBB197_128:                            ;   in Loop: Header=BB197_4 Depth=1
	s_and_not1_saveexec_b32 s57, s9
	s_cbranch_execz .LBB197_132
; %bb.129:                              ;   in Loop: Header=BB197_4 Depth=1
	v_and_b32_e32 v21, 0x7ffffff8, v51
	v_and_b32_e32 v45, 0x7ffffff8, v49
	v_mov_b32_e32 v44, v20
	s_mov_b32 s58, 0
	s_delay_alu instid0(VALU_DEP_3) | instskip(SKIP_1) | instid1(VALU_DEP_3)
	v_dual_add_f64 v[14:15], v[50:51], -v[20:21] :: v_dual_mov_b32 v52, v20
	v_mov_b32_e32 v50, v20
	v_add_f64_e64 v[46:47], v[48:49], -v[44:45]
	v_add_f64_e32 v[62:63], v[44:45], v[44:45]
	s_delay_alu instid0(VALU_DEP_4) | instskip(NEXT) | instid1(VALU_DEP_3)
	v_dual_mul_f64 v[48:49], v[44:45], v[44:45] :: v_dual_bitop2_b32 v51, -8, v15 bitop3:0x40
	v_dual_add_f64 v[54:55], v[20:21], v[20:21] :: v_dual_bitop2_b32 v53, -8, v47 bitop3:0x40
	s_delay_alu instid0(VALU_DEP_2) | instskip(SKIP_1) | instid1(VALU_DEP_3)
	v_add_f64_e64 v[64:65], v[14:15], -v[50:51]
	v_add_f64_e32 v[70:71], v[50:51], v[50:51]
	v_add_f64_e64 v[66:67], v[46:47], -v[52:53]
	v_add_f64_e32 v[72:73], v[52:53], v[52:53]
	v_mul_f64_e32 v[14:15], v[20:21], v[20:21]
	v_mul_f64_e32 v[46:47], v[62:63], v[52:53]
	;; [unrolled: 1-line block ×11, first 2 shown]
.LBB197_130:                            ;   Parent Loop BB197_4 Depth=1
                                        ; =>  This Inner Loop Header: Depth=2
	v_cmp_nlt_f64_e32 vcc_lo, v[14:15], v[48:49]
	v_dual_cndmask_b32 v67, v15, v49 :: v_dual_cndmask_b32 v66, v14, v48
	v_dual_cndmask_b32 v15, v49, v15 :: v_dual_cndmask_b32 v14, v48, v14
	s_delay_alu instid0(VALU_DEP_2) | instskip(NEXT) | instid1(VALU_DEP_1)
	v_cmp_nlt_f64_e64 s7, v[66:67], v[60:61]
	v_dual_cndmask_b32 v71, v67, v61, s7 :: v_dual_cndmask_b32 v70, v66, v60, s7
	v_dual_cndmask_b32 v49, v61, v67, s7 :: v_dual_cndmask_b32 v48, v60, v66, s7
	s_and_b32 s7, vcc_lo, s7
	s_delay_alu instid0(VALU_DEP_2) | instskip(NEXT) | instid1(VALU_DEP_1)
	v_cmp_nlt_f64_e64 s8, v[70:71], v[46:47]
	v_dual_cndmask_b32 v73, v71, v47, s8 :: v_dual_cndmask_b32 v72, v70, v46, s8
	v_dual_cndmask_b32 v61, v47, v71, s8 :: v_dual_cndmask_b32 v60, v46, v70, s8
	s_delay_alu instid0(VALU_DEP_2) | instskip(NEXT) | instid1(VALU_DEP_1)
	v_cmp_nlt_f64_e64 s9, v[72:73], v[58:59]
	v_dual_cndmask_b32 v75, v73, v59, s9 :: v_dual_cndmask_b32 v74, v72, v58, s9
	v_dual_cndmask_b32 v47, v59, v73, s9 :: v_dual_cndmask_b32 v46, v58, v72, s9
	s_and_b32 s8, s8, s9
	s_delay_alu instid0(VALU_DEP_2) | instskip(NEXT) | instid1(VALU_DEP_1)
	v_cmp_nlt_f64_e64 s10, v[74:75], v[44:45]
	v_dual_cndmask_b32 v77, v75, v45, s10 :: v_dual_cndmask_b32 v76, v74, v44, s10
	v_dual_cndmask_b32 v59, v45, v75, s10 :: v_dual_cndmask_b32 v58, v44, v74, s10
	s_delay_alu instid0(VALU_DEP_2) | instskip(NEXT) | instid1(VALU_DEP_1)
	v_cmp_nlt_f64_e64 s11, v[76:77], v[56:57]
	v_dual_cndmask_b32 v79, v77, v57, s11 :: v_dual_cndmask_b32 v78, v76, v56, s11
	s_and_b32 s9, s10, s11
	v_dual_cndmask_b32 v45, v57, v77, s11 :: v_dual_cndmask_b32 v44, v56, v76, s11
	s_delay_alu instid0(VALU_DEP_2) | instskip(NEXT) | instid1(VALU_DEP_1)
	v_cmp_nlt_f64_e64 s12, v[78:79], v[54:55]
	v_dual_cndmask_b32 v81, v79, v55, s12 :: v_dual_cndmask_b32 v80, v78, v54, s12
	s_and_b32 s9, s9, s12
	;; [unrolled: 5-line block ×6, first 2 shown]
	v_dual_cndmask_b32 v63, v65, v87, s16 :: v_dual_cndmask_b32 v62, v64, v86, s16
	s_and_b32 s8, s9, s8
	s_delay_alu instid0(VALU_DEP_2) | instskip(SKIP_1) | instid1(SALU_CYCLE_1)
	v_mov_b64_e32 v[64:65], v[66:67]
	s_and_b32 s7, s8, s7
	s_and_b32 s7, exec_lo, s7
	s_delay_alu instid0(SALU_CYCLE_1) | instskip(NEXT) | instid1(SALU_CYCLE_1)
	s_or_b32 s58, s7, s58
	s_and_not1_b32 exec_lo, exec_lo, s58
	s_cbranch_execnz .LBB197_130
; %bb.131:                              ;   in Loop: Header=BB197_4 Depth=1
	s_or_b32 exec_lo, exec_lo, s58
	v_add_f64_e32 v[14:15], -1.0, v[14:15]
	v_cmp_eq_f64_e64 s7, 0, v[8:9]
	v_cmp_class_f64_e64 s11, v[6:7], 0x204
	v_cmp_class_f64_e64 s10, v[8:9], 0x204
	s_delay_alu instid0(VALU_DEP_4) | instskip(NEXT) | instid1(VALU_DEP_1)
	v_add_f64_e32 v[14:15], v[14:15], v[48:49]
	v_add_f64_e32 v[14:15], v[14:15], v[60:61]
	s_delay_alu instid0(VALU_DEP_1) | instskip(NEXT) | instid1(VALU_DEP_1)
	v_add_f64_e32 v[14:15], v[14:15], v[46:47]
	v_add_f64_e32 v[14:15], v[14:15], v[58:59]
	s_delay_alu instid0(VALU_DEP_1) | instskip(NEXT) | instid1(VALU_DEP_1)
	;; [unrolled: 3-line block ×5, first 2 shown]
	v_add_f64_e32 v[46:47], v[66:67], v[14:15]
	v_add_f64_e32 v[14:15], 1.0, v[46:47]
	v_cmp_nge_f64_e64 s8, -1.0, v[46:47]
	v_cmp_neq_f64_e64 s9, 0x7ff00000, v[46:47]
	s_delay_alu instid0(VALU_DEP_3) | instskip(SKIP_2) | instid1(VALU_DEP_3)
	v_frexp_mant_f64_e32 v[44:45], v[14:15]
	v_frexp_exp_i32_f64_e32 v4, v[14:15]
	v_add_f64_e32 v[48:49], -1.0, v[14:15]
	v_cmp_gt_f64_e32 vcc_lo, s[30:31], v[44:45]
	s_delay_alu instid0(VALU_DEP_2) | instskip(SKIP_2) | instid1(VALU_DEP_3)
	v_add_f64_e64 v[44:45], v[48:49], -v[14:15]
	v_add_f64_e64 v[48:49], v[46:47], -v[48:49]
	v_subrev_co_ci_u32_e64 v4, null, 0, v4, vcc_lo
	v_add_f64_e32 v[44:45], 1.0, v[44:45]
	s_delay_alu instid0(VALU_DEP_2) | instskip(NEXT) | instid1(VALU_DEP_1)
	v_sub_nc_u32_e32 v12, 0, v4
	v_ldexp_f64 v[14:15], v[14:15], v12
	s_delay_alu instid0(VALU_DEP_3) | instskip(NEXT) | instid1(VALU_DEP_2)
	v_add_f64_e32 v[44:45], v[48:49], v[44:45]
	v_add_f64_e32 v[50:51], 1.0, v[14:15]
	v_add_f64_e32 v[56:57], -1.0, v[14:15]
	s_delay_alu instid0(VALU_DEP_3) | instskip(NEXT) | instid1(VALU_DEP_3)
	v_ldexp_f64 v[44:45], v[44:45], v12
	v_add_f64_e32 v[48:49], -1.0, v[50:51]
	s_delay_alu instid0(VALU_DEP_3) | instskip(NEXT) | instid1(VALU_DEP_2)
	v_add_f64_e32 v[58:59], 1.0, v[56:57]
	v_add_f64_e64 v[48:49], v[14:15], -v[48:49]
	s_delay_alu instid0(VALU_DEP_2) | instskip(NEXT) | instid1(VALU_DEP_2)
	v_add_f64_e64 v[14:15], v[14:15], -v[58:59]
	v_add_f64_e32 v[48:49], v[44:45], v[48:49]
	s_delay_alu instid0(VALU_DEP_2) | instskip(NEXT) | instid1(VALU_DEP_2)
	v_add_f64_e32 v[14:15], v[44:45], v[14:15]
	v_add_f64_e32 v[52:53], v[50:51], v[48:49]
	s_delay_alu instid0(VALU_DEP_2) | instskip(NEXT) | instid1(VALU_DEP_2)
	v_add_f64_e32 v[58:59], v[56:57], v[14:15]
	v_rcp_f64_e32 v[54:55], v[52:53]
	v_add_f64_e64 v[50:51], v[52:53], -v[50:51]
	s_delay_alu instid0(VALU_DEP_2) | instskip(NEXT) | instid1(VALU_DEP_2)
	v_add_f64_e64 v[56:57], v[58:59], -v[56:57]
	v_add_f64_e64 v[48:49], v[48:49], -v[50:51]
	s_delay_alu instid0(VALU_DEP_2) | instskip(NEXT) | instid1(TRANS32_DEP_1)
	v_add_f64_e64 v[14:15], v[14:15], -v[56:57]
	v_fma_f64 v[60:61], -v[52:53], v[54:55], 1.0
	s_delay_alu instid0(VALU_DEP_1) | instskip(NEXT) | instid1(VALU_DEP_1)
	v_fmac_f64_e32 v[54:55], v[60:61], v[54:55]
	v_fma_f64 v[44:45], -v[52:53], v[54:55], 1.0
	s_delay_alu instid0(VALU_DEP_1) | instskip(NEXT) | instid1(VALU_DEP_1)
	v_fmac_f64_e32 v[54:55], v[44:45], v[54:55]
	v_mul_f64_e32 v[44:45], v[58:59], v[54:55]
	s_delay_alu instid0(VALU_DEP_1) | instskip(NEXT) | instid1(VALU_DEP_1)
	v_mul_f64_e32 v[60:61], v[52:53], v[44:45]
	v_fma_f64 v[50:51], v[44:45], v[52:53], -v[60:61]
	s_delay_alu instid0(VALU_DEP_1) | instskip(NEXT) | instid1(VALU_DEP_1)
	v_fmac_f64_e32 v[50:51], v[44:45], v[48:49]
	v_add_f64_e32 v[62:63], v[60:61], v[50:51]
	s_delay_alu instid0(VALU_DEP_1) | instskip(SKIP_1) | instid1(VALU_DEP_2)
	v_add_f64_e64 v[64:65], v[58:59], -v[62:63]
	v_add_f64_e64 v[56:57], v[62:63], -v[60:61]
	;; [unrolled: 1-line block ×3, first 2 shown]
	s_delay_alu instid0(VALU_DEP_2) | instskip(NEXT) | instid1(VALU_DEP_2)
	v_add_f64_e64 v[50:51], v[56:57], -v[50:51]
	v_add_f64_e64 v[58:59], v[58:59], -v[62:63]
	s_delay_alu instid0(VALU_DEP_1) | instskip(NEXT) | instid1(VALU_DEP_1)
	v_add_f64_e32 v[14:15], v[14:15], v[58:59]
	v_add_f64_e32 v[14:15], v[50:51], v[14:15]
	s_delay_alu instid0(VALU_DEP_1) | instskip(NEXT) | instid1(VALU_DEP_1)
	v_add_f64_e32 v[50:51], v[64:65], v[14:15]
	v_mul_f64_e32 v[56:57], v[54:55], v[50:51]
	v_add_f64_e64 v[62:63], v[64:65], -v[50:51]
	s_delay_alu instid0(VALU_DEP_2) | instskip(NEXT) | instid1(VALU_DEP_2)
	v_mul_f64_e32 v[58:59], v[52:53], v[56:57]
	v_add_f64_e32 v[14:15], v[14:15], v[62:63]
	s_delay_alu instid0(VALU_DEP_2) | instskip(NEXT) | instid1(VALU_DEP_1)
	v_fma_f64 v[52:53], v[56:57], v[52:53], -v[58:59]
	v_fmac_f64_e32 v[52:53], v[56:57], v[48:49]
	s_delay_alu instid0(VALU_DEP_1) | instskip(NEXT) | instid1(VALU_DEP_1)
	v_add_f64_e32 v[48:49], v[58:59], v[52:53]
	v_add_f64_e64 v[60:61], v[50:51], -v[48:49]
	v_add_f64_e64 v[58:59], v[48:49], -v[58:59]
	s_delay_alu instid0(VALU_DEP_2) | instskip(NEXT) | instid1(VALU_DEP_1)
	v_add_f64_e64 v[50:51], v[50:51], -v[60:61]
	v_add_f64_e64 v[48:49], v[50:51], -v[48:49]
	s_delay_alu instid0(VALU_DEP_3) | instskip(SKIP_1) | instid1(VALU_DEP_3)
	v_add_f64_e64 v[50:51], v[58:59], -v[52:53]
	v_max_num_f64_e64 v[52:53], |v[6:7]|, |v[6:7]|
	v_add_f64_e32 v[14:15], v[14:15], v[48:49]
	v_add_f64_e32 v[48:49], v[44:45], v[56:57]
	s_delay_alu instid0(VALU_DEP_2) | instskip(NEXT) | instid1(VALU_DEP_2)
	v_add_f64_e32 v[14:15], v[50:51], v[14:15]
	v_add_f64_e64 v[44:45], v[48:49], -v[44:45]
	v_max_num_f64_e64 v[50:51], |v[8:9]|, |v[8:9]|
	s_delay_alu instid0(VALU_DEP_3) | instskip(NEXT) | instid1(VALU_DEP_3)
	v_add_f64_e32 v[14:15], v[60:61], v[14:15]
	v_add_f64_e64 v[44:45], v[56:57], -v[44:45]
	s_delay_alu instid0(VALU_DEP_2) | instskip(NEXT) | instid1(VALU_DEP_1)
	v_mul_f64_e32 v[14:15], v[54:55], v[14:15]
	v_add_f64_e32 v[14:15], v[44:45], v[14:15]
	v_max_num_f64_e32 v[44:45], v[52:53], v[50:51]
	v_min_num_f64_e32 v[50:51], v[52:53], v[50:51]
	s_delay_alu instid0(VALU_DEP_3) | instskip(NEXT) | instid1(VALU_DEP_2)
	v_add_f64_e32 v[52:53], v[48:49], v[14:15]
	v_div_scale_f64 v[54:55], null, v[44:45], v[44:45], v[50:51]
	s_delay_alu instid0(VALU_DEP_2) | instskip(SKIP_1) | instid1(VALU_DEP_3)
	v_mul_f64_e32 v[56:57], v[52:53], v[52:53]
	v_add_f64_e64 v[48:49], v[52:53], -v[48:49]
	v_rcp_f64_e32 v[58:59], v[54:55]
	s_delay_alu instid0(VALU_DEP_2) | instskip(SKIP_1) | instid1(VALU_DEP_3)
	v_fmamk_f64 v[60:61], v[56:57], 0x3fc3ab76bf559e2b, v[24:25]
	v_mul_f64_e32 v[62:63], v[52:53], v[56:57]
	v_add_f64_e64 v[14:15], v[14:15], -v[48:49]
	s_delay_alu instid0(VALU_DEP_3) | instskip(NEXT) | instid1(TRANS32_DEP_1)
	v_fmaak_f64 v[60:61], v[56:57], v[60:61], 0x3fc7474dd7f4df2e
	v_fma_f64 v[64:65], -v[54:55], v[58:59], 1.0
	s_delay_alu instid0(VALU_DEP_2) | instskip(NEXT) | instid1(VALU_DEP_1)
	v_fmaak_f64 v[60:61], v[56:57], v[60:61], 0x3fcc71c016291751
	v_fmaak_f64 v[60:61], v[56:57], v[60:61], 0x3fd249249b27acf1
	s_delay_alu instid0(VALU_DEP_1) | instskip(SKIP_1) | instid1(VALU_DEP_2)
	v_fmaak_f64 v[60:61], v[56:57], v[60:61], 0x3fd99999998ef7b6
	v_ldexp_f64 v[14:15], v[14:15], 1
	v_fmaak_f64 v[56:57], v[56:57], v[60:61], 0x3fe5555555555780
	v_ldexp_f64 v[60:61], v[52:53], 1
	v_fmac_f64_e32 v[58:59], v[58:59], v[64:65]
	s_delay_alu instid0(VALU_DEP_3) | instskip(SKIP_2) | instid1(VALU_DEP_1)
	v_mul_f64_e32 v[56:57], v[62:63], v[56:57]
	v_cvt_f64_i32_e32 v[62:63], v4
	v_ashrrev_i32_e32 v4, 31, v7
	v_and_b32_e32 v16, 0x54442d18, v4
	v_and_b32_e32 v4, 0x400921fb, v4
	v_fma_f64 v[64:65], -v[54:55], v[58:59], 1.0
	v_add_f64_e32 v[52:53], v[60:61], v[56:57]
	v_mul_f64_e32 v[66:67], 0x3fe62e42fefa39ef, v[62:63]
	s_delay_alu instid0(VALU_DEP_3) | instskip(NEXT) | instid1(VALU_DEP_3)
	v_fmac_f64_e32 v[58:59], v[58:59], v[64:65]
	v_add_f64_e64 v[48:49], v[52:53], -v[60:61]
	v_div_scale_f64 v[60:61], vcc_lo, v[50:51], v[44:45], v[50:51]
	s_delay_alu instid0(VALU_DEP_4) | instskip(NEXT) | instid1(VALU_DEP_3)
	v_fma_f64 v[64:65], v[62:63], s[34:35], -v[66:67]
	v_add_f64_e64 v[48:49], v[56:57], -v[48:49]
	s_delay_alu instid0(VALU_DEP_3) | instskip(NEXT) | instid1(VALU_DEP_3)
	v_mul_f64_e32 v[56:57], v[60:61], v[58:59]
	v_fmac_f64_e32 v[64:65], 0x3c7abc9e3b39803f, v[62:63]
	s_delay_alu instid0(VALU_DEP_3) | instskip(NEXT) | instid1(VALU_DEP_3)
	v_add_f64_e32 v[14:15], v[14:15], v[48:49]
	v_fma_f64 v[48:49], -v[54:55], v[56:57], v[60:61]
	s_delay_alu instid0(VALU_DEP_3) | instskip(NEXT) | instid1(VALU_DEP_3)
	v_add_f64_e32 v[54:55], v[66:67], v[64:65]
	v_add_f64_e32 v[60:61], v[52:53], v[14:15]
	s_delay_alu instid0(VALU_DEP_3) | instskip(SKIP_1) | instid1(VALU_DEP_4)
	v_div_fmas_f64 v[48:49], v[48:49], v[58:59], v[56:57]
	v_cmp_gt_i32_e32 vcc_lo, 0, v7
	v_add_f64_e64 v[58:59], v[54:55], -v[66:67]
	v_cndmask_b32_e32 v12, 0x54442d18, v68, vcc_lo
	v_cndmask_b32_e32 v6, 0x3fe921fb, v69, vcc_lo
	s_delay_alu instid0(VALU_DEP_1) | instskip(SKIP_4) | instid1(VALU_DEP_4)
	v_bfi_b32 v6, 0x7fffffff, v6, v9
	v_add_f64_e32 v[56:57], v[54:55], v[60:61]
	v_div_fixup_f64 v[44:45], v[48:49], v[44:45], v[50:51]
	v_add_f64_e64 v[52:53], v[60:61], -v[52:53]
	v_add_f64_e64 v[58:59], v[64:65], -v[58:59]
	;; [unrolled: 1-line block ×3, first 2 shown]
	s_delay_alu instid0(VALU_DEP_4) | instskip(NEXT) | instid1(VALU_DEP_4)
	v_mul_f64_e32 v[50:51], v[44:45], v[44:45]
	v_add_f64_e64 v[14:15], v[14:15], -v[52:53]
	s_delay_alu instid0(VALU_DEP_3) | instskip(NEXT) | instid1(VALU_DEP_3)
	v_add_f64_e64 v[62:63], v[56:57], -v[48:49]
	v_fmamk_f64 v[66:67], v[50:51], 0x3eeba404b5e68a13, v[26:27]
	v_add_f64_e64 v[48:49], v[60:61], -v[48:49]
	s_delay_alu instid0(VALU_DEP_4) | instskip(NEXT) | instid1(VALU_DEP_3)
	v_add_f64_e32 v[60:61], v[58:59], v[14:15]
	v_fmaak_f64 v[66:67], v[50:51], v[66:67], 0x3f4b2bb069efb384
	v_add_f64_e64 v[52:53], v[54:55], -v[62:63]
	s_delay_alu instid0(VALU_DEP_2) | instskip(NEXT) | instid1(VALU_DEP_1)
	v_fmaak_f64 v[54:55], v[50:51], v[66:67], 0xbf67952daf56de9b
	v_fmaak_f64 v[54:55], v[50:51], v[54:55], 0x3f7d6d43a595c56f
	s_delay_alu instid0(VALU_DEP_1) | instskip(NEXT) | instid1(VALU_DEP_1)
	v_fmaak_f64 v[54:55], v[50:51], v[54:55], 0xbf8c6ea4a57d9582
	v_fmaak_f64 v[54:55], v[50:51], v[54:55], 0x3f967e295f08b19f
	s_delay_alu instid0(VALU_DEP_1) | instskip(SKIP_1) | instid1(VALU_DEP_2)
	v_fmaak_f64 v[54:55], v[50:51], v[54:55], 0xbf9e9ae6fc27006a
	v_add_f64_e32 v[48:49], v[48:49], v[52:53]
	v_fmaak_f64 v[52:53], v[50:51], v[54:55], 0x3fa2c15b5711927a
	v_add_f64_e64 v[54:55], v[60:61], -v[58:59]
	s_delay_alu instid0(VALU_DEP_2) | instskip(NEXT) | instid1(VALU_DEP_1)
	v_fmaak_f64 v[52:53], v[50:51], v[52:53], 0xbfa59976e82d3ff0
	v_fmaak_f64 v[52:53], v[50:51], v[52:53], 0x3fa82d5d6ef28734
	s_delay_alu instid0(VALU_DEP_1) | instskip(NEXT) | instid1(VALU_DEP_1)
	v_fmaak_f64 v[52:53], v[50:51], v[52:53], 0xbfaae5ce6a214619
	v_fmaak_f64 v[52:53], v[50:51], v[52:53], 0x3fae1bb48427b883
	v_add_f64_e32 v[48:49], v[60:61], v[48:49]
	v_add_f64_e64 v[60:61], v[60:61], -v[54:55]
	v_add_f64_e64 v[14:15], v[14:15], -v[54:55]
	s_delay_alu instid0(VALU_DEP_4) | instskip(NEXT) | instid1(VALU_DEP_1)
	v_fmaak_f64 v[52:53], v[50:51], v[52:53], 0xbfb110e48b207f05
	v_fmaak_f64 v[52:53], v[50:51], v[52:53], 0x3fb3b13657b87036
	s_delay_alu instid0(VALU_DEP_1) | instskip(NEXT) | instid1(VALU_DEP_1)
	v_fmaak_f64 v[52:53], v[50:51], v[52:53], 0xbfb745d119378e4f
	v_fmaak_f64 v[52:53], v[50:51], v[52:53], 0x3fbc71c717e1913c
	v_add_f64_e32 v[62:63], v[56:57], v[48:49]
	s_delay_alu instid0(VALU_DEP_2) | instskip(NEXT) | instid1(VALU_DEP_1)
	v_fmaak_f64 v[52:53], v[50:51], v[52:53], 0xbfc2492492376b7d
	v_fmaak_f64 v[52:53], v[50:51], v[52:53], 0x3fc99999999952cc
	s_delay_alu instid0(VALU_DEP_1) | instskip(NEXT) | instid1(VALU_DEP_1)
	v_fmaak_f64 v[52:53], v[50:51], v[52:53], 0xbfd5555555555523
	v_mul_f64_e32 v[50:51], v[50:51], v[52:53]
	v_add_f64_e64 v[52:53], v[58:59], -v[60:61]
	v_add_f64_e64 v[54:55], v[62:63], -v[56:57]
	s_delay_alu instid0(VALU_DEP_3) | instskip(NEXT) | instid1(VALU_DEP_3)
	v_fmac_f64_e32 v[44:45], v[44:45], v[50:51]
	v_add_f64_e32 v[14:15], v[14:15], v[52:53]
	s_delay_alu instid0(VALU_DEP_3) | instskip(NEXT) | instid1(VALU_DEP_3)
	v_add_f64_e64 v[48:49], v[48:49], -v[54:55]
	v_add_f64_e64 v[50:51], -v[44:45], s[40:41]
	s_delay_alu instid0(VALU_DEP_1) | instskip(NEXT) | instid1(VALU_DEP_2)
	v_dual_add_f64 v[14:15], v[14:15], v[48:49] :: v_dual_cndmask_b32 v45, v45, v51, s6
	v_cndmask_b32_e64 v44, v44, v50, s6
	s_delay_alu instid0(VALU_DEP_1) | instskip(NEXT) | instid1(VALU_DEP_1)
	v_add_f64_e64 v[48:49], -v[44:45], s[42:43]
	v_dual_add_f64 v[14:15], v[62:63], v[14:15] :: v_dual_cndmask_b32 v21, v44, v48, vcc_lo
	s_delay_alu instid0(VALU_DEP_2) | instskip(SKIP_1) | instid1(VALU_DEP_3)
	v_cndmask_b32_e32 v7, v45, v49, vcc_lo
	v_cmp_ngt_f64_e32 vcc_lo, -1.0, v[46:47]
	v_dual_mul_f64 v[14:15], 0.5, v[14:15] :: v_dual_cndmask_b32 v16, v21, v16, s7
	s_delay_alu instid0(VALU_DEP_3)
	v_cndmask_b32_e64 v4, v7, v4, s7
	s_and_b32 s7, s8, s9
	s_delay_alu instid0(VALU_DEP_2) | instid1(SALU_CYCLE_1)
	v_cndmask_b32_e64 v14, 0, v14, s7
	v_cmp_neq_f64_e64 s7, -1.0, v[46:47]
	s_delay_alu instid0(VALU_DEP_4) | instskip(NEXT) | instid1(VALU_DEP_1)
	v_cndmask_b32_e64 v15, 0x7ff00000, v15, s9
	v_cndmask_b32_e32 v7, 0x7ff80000, v15, vcc_lo
	s_and_b32 vcc_lo, s10, s11
	v_cndmask_b32_e32 v45, v4, v6, vcc_lo
	v_cndmask_b32_e32 v44, v16, v12, vcc_lo
	s_delay_alu instid0(VALU_DEP_3)
	v_cndmask_b32_e64 v15, 0xfff00000, v7, s7
.LBB197_132:                            ;   in Loop: Header=BB197_4 Depth=1
	s_or_b32 exec_lo, exec_lo, s57
.LBB197_133:                            ;   in Loop: Header=BB197_4 Depth=1
	s_delay_alu instid0(SALU_CYCLE_1)
	s_or_b32 exec_lo, exec_lo, s56
.LBB197_134:                            ;   in Loop: Header=BB197_4 Depth=1
	s_and_not1_saveexec_b32 s9, s55
	s_cbranch_execz .LBB197_136
; %bb.135:                              ;   in Loop: Header=BB197_4 Depth=1
	v_max_num_f64_e64 v[14:15], |v[8:9]|, |v[8:9]|
	v_max_num_f64_e64 v[44:45], |v[6:7]|, |v[6:7]|
	v_cmp_class_f64_e64 s10, v[6:7], 0x204
	v_cmp_class_f64_e64 s11, v[8:9], 0x204
	v_cmp_eq_f64_e64 s8, 0, v[8:9]
	s_delay_alu instid0(VALU_DEP_4) | instskip(SKIP_2) | instid1(VALU_DEP_2)
	v_max_num_f64_e32 v[46:47], v[44:45], v[14:15]
	v_min_num_f64_e32 v[14:15], v[44:45], v[14:15]
	s_or_b32 s7, s11, s10
	v_frexp_exp_i32_f64_e32 v4, v[46:47]
	s_delay_alu instid0(VALU_DEP_1) | instskip(NEXT) | instid1(VALU_DEP_1)
	v_sub_nc_u32_e32 v12, 0, v4
	v_ldexp_f64 v[48:49], |v[8:9]|, v12
	v_ldexp_f64 v[50:51], |v[6:7]|, v12
	s_delay_alu instid0(VALU_DEP_2) | instskip(NEXT) | instid1(VALU_DEP_1)
	v_mul_f64_e32 v[48:49], v[48:49], v[48:49]
	v_fmac_f64_e32 v[48:49], v[50:51], v[50:51]
	s_delay_alu instid0(VALU_DEP_1) | instskip(SKIP_1) | instid1(TRANS32_DEP_1)
	v_rsq_f64_e32 v[50:51], v[48:49]
	v_cmp_eq_f64_e32 vcc_lo, 0, v[48:49]
	v_mul_f64_e32 v[52:53], v[48:49], v[50:51]
	v_mul_f64_e32 v[50:51], 0.5, v[50:51]
	s_delay_alu instid0(VALU_DEP_1) | instskip(NEXT) | instid1(VALU_DEP_1)
	v_fma_f64 v[54:55], -v[50:51], v[52:53], 0.5
	v_fmac_f64_e32 v[52:53], v[52:53], v[54:55]
	v_fmac_f64_e32 v[50:51], v[50:51], v[54:55]
	s_delay_alu instid0(VALU_DEP_2) | instskip(NEXT) | instid1(VALU_DEP_1)
	v_fma_f64 v[54:55], -v[52:53], v[52:53], v[48:49]
	v_fmac_f64_e32 v[52:53], v[54:55], v[50:51]
	s_delay_alu instid0(VALU_DEP_1) | instskip(NEXT) | instid1(VALU_DEP_1)
	v_dual_cndmask_b32 v49, v53, v49 :: v_dual_cndmask_b32 v48, v52, v48
	v_ldexp_f64 v[48:49], v[48:49], v4
	s_delay_alu instid0(VALU_DEP_1) | instskip(NEXT) | instid1(VALU_DEP_2)
	v_cndmask_b32_e64 v49, v49, 0x7ff00000, s7
	v_cndmask_b32_e64 v48, v48, 0, s7
	s_delay_alu instid0(VALU_DEP_1) | instskip(SKIP_1) | instid1(VALU_DEP_2)
	v_frexp_mant_f64_e32 v[50:51], v[48:49]
	v_cmp_class_f64_e64 s7, v[48:49], 0x204
	v_cmp_gt_f64_e32 vcc_lo, s[30:31], v[50:51]
	v_cndmask_b32_e64 v4, 0, 1, vcc_lo
	s_delay_alu instid0(VALU_DEP_1) | instskip(SKIP_1) | instid1(VALU_DEP_2)
	v_ldexp_f64 v[50:51], v[50:51], v4
	v_frexp_exp_i32_f64_e32 v4, v[48:49]
	v_add_f64_e32 v[52:53], 1.0, v[50:51]
	v_add_f64_e32 v[58:59], -1.0, v[50:51]
	s_delay_alu instid0(VALU_DEP_3) | instskip(SKIP_1) | instid1(VALU_DEP_4)
	v_subrev_co_ci_u32_e64 v4, null, 0, v4, vcc_lo
	v_div_scale_f64 v[66:67], vcc_lo, v[14:15], v[46:47], v[14:15]
	v_rcp_f64_e32 v[54:55], v[52:53]
	v_add_f64_e32 v[60:61], -1.0, v[52:53]
	s_delay_alu instid0(VALU_DEP_1) | instskip(NEXT) | instid1(TRANS32_DEP_1)
	v_add_f64_e64 v[50:51], v[50:51], -v[60:61]
	v_fma_f64 v[56:57], -v[52:53], v[54:55], 1.0
	s_delay_alu instid0(VALU_DEP_1) | instskip(NEXT) | instid1(VALU_DEP_1)
	v_fmac_f64_e32 v[54:55], v[56:57], v[54:55]
	v_fma_f64 v[56:57], -v[52:53], v[54:55], 1.0
	s_delay_alu instid0(VALU_DEP_1) | instskip(NEXT) | instid1(VALU_DEP_1)
	v_fmac_f64_e32 v[54:55], v[56:57], v[54:55]
	v_mul_f64_e32 v[56:57], v[58:59], v[54:55]
	s_delay_alu instid0(VALU_DEP_1) | instskip(NEXT) | instid1(VALU_DEP_1)
	v_mul_f64_e32 v[62:63], v[52:53], v[56:57]
	v_fma_f64 v[52:53], v[56:57], v[52:53], -v[62:63]
	s_delay_alu instid0(VALU_DEP_1) | instskip(NEXT) | instid1(VALU_DEP_1)
	v_fmac_f64_e32 v[52:53], v[56:57], v[50:51]
	v_add_f64_e32 v[50:51], v[62:63], v[52:53]
	s_delay_alu instid0(VALU_DEP_1) | instskip(SKIP_1) | instid1(VALU_DEP_2)
	v_add_f64_e64 v[60:61], v[58:59], -v[50:51]
	v_add_f64_e64 v[62:63], v[50:51], -v[62:63]
	;; [unrolled: 1-line block ×3, first 2 shown]
	s_delay_alu instid0(VALU_DEP_2) | instskip(NEXT) | instid1(VALU_DEP_2)
	v_add_f64_e64 v[52:53], v[62:63], -v[52:53]
	v_add_f64_e64 v[50:51], v[58:59], -v[50:51]
	s_delay_alu instid0(VALU_DEP_1) | instskip(NEXT) | instid1(VALU_DEP_1)
	v_add_f64_e32 v[50:51], v[52:53], v[50:51]
	v_add_f64_e32 v[50:51], v[60:61], v[50:51]
	s_delay_alu instid0(VALU_DEP_1) | instskip(SKIP_1) | instid1(VALU_DEP_2)
	v_mul_f64_e32 v[44:45], v[54:55], v[50:51]
	v_div_scale_f64 v[50:51], null, v[46:47], v[46:47], v[14:15]
	v_add_f64_e32 v[52:53], v[56:57], v[44:45]
	s_delay_alu instid0(VALU_DEP_2) | instskip(NEXT) | instid1(VALU_DEP_1)
	v_rcp_f64_e32 v[54:55], v[50:51]
	v_mul_f64_e32 v[58:59], v[52:53], v[52:53]
	s_delay_alu instid0(TRANS32_DEP_1) | instskip(NEXT) | instid1(VALU_DEP_2)
	v_fma_f64 v[62:63], -v[50:51], v[54:55], 1.0
	v_fmamk_f64 v[60:61], v[58:59], 0x3fc3ab76bf559e2b, v[24:25]
	v_mul_f64_e32 v[64:65], v[52:53], v[58:59]
	s_delay_alu instid0(VALU_DEP_3) | instskip(NEXT) | instid1(VALU_DEP_3)
	v_fmac_f64_e32 v[54:55], v[54:55], v[62:63]
	v_fmaak_f64 v[60:61], v[58:59], v[60:61], 0x3fc7474dd7f4df2e
	s_delay_alu instid0(VALU_DEP_1) | instskip(NEXT) | instid1(VALU_DEP_1)
	v_fmaak_f64 v[60:61], v[58:59], v[60:61], 0x3fcc71c016291751
	v_fmaak_f64 v[60:61], v[58:59], v[60:61], 0x3fd249249b27acf1
	s_delay_alu instid0(VALU_DEP_1) | instskip(NEXT) | instid1(VALU_DEP_1)
	v_fmaak_f64 v[60:61], v[58:59], v[60:61], 0x3fd99999998ef7b6
	v_fmaak_f64 v[58:59], v[58:59], v[60:61], 0x3fe5555555555780
	v_ldexp_f64 v[60:61], v[52:53], 1
	v_add_f64_e64 v[52:53], v[52:53], -v[56:57]
	v_fma_f64 v[62:63], -v[50:51], v[54:55], 1.0
	s_delay_alu instid0(VALU_DEP_4) | instskip(SKIP_2) | instid1(VALU_DEP_1)
	v_mul_f64_e32 v[58:59], v[64:65], v[58:59]
	v_cvt_f64_i32_e32 v[64:65], v4
	v_ashrrev_i32_e32 v4, 31, v7
	v_and_b32_e32 v16, 0x54442d18, v4
	v_and_b32_e32 v4, 0x400921fb, v4
	v_add_f64_e64 v[44:45], v[44:45], -v[52:53]
	v_fmac_f64_e32 v[54:55], v[54:55], v[62:63]
	v_add_f64_e32 v[56:57], v[60:61], v[58:59]
	v_mul_f64_e32 v[62:63], 0x3fe62e42fefa39ef, v[64:65]
	s_delay_alu instid0(VALU_DEP_4) | instskip(NEXT) | instid1(VALU_DEP_3)
	v_ldexp_f64 v[44:45], v[44:45], 1
	v_add_f64_e64 v[52:53], v[56:57], -v[60:61]
	v_mul_f64_e32 v[60:61], v[66:67], v[54:55]
	s_delay_alu instid0(VALU_DEP_4) | instskip(NEXT) | instid1(VALU_DEP_3)
	v_fma_f64 v[70:71], v[64:65], s[34:35], -v[62:63]
	v_add_f64_e64 v[52:53], v[58:59], -v[52:53]
	s_delay_alu instid0(VALU_DEP_3) | instskip(NEXT) | instid1(VALU_DEP_3)
	v_fma_f64 v[50:51], -v[50:51], v[60:61], v[66:67]
	v_fmac_f64_e32 v[70:71], 0x3c7abc9e3b39803f, v[64:65]
	s_delay_alu instid0(VALU_DEP_3) | instskip(NEXT) | instid1(VALU_DEP_3)
	v_add_f64_e32 v[44:45], v[44:45], v[52:53]
	v_div_fmas_f64 v[50:51], v[50:51], v[54:55], v[60:61]
	s_delay_alu instid0(VALU_DEP_3) | instskip(SKIP_3) | instid1(VALU_DEP_1)
	v_add_f64_e32 v[52:53], v[62:63], v[70:71]
	v_cmp_gt_i32_e32 vcc_lo, 0, v7
	v_cndmask_b32_e32 v12, 0x54442d18, v68, vcc_lo
	v_cndmask_b32_e32 v21, 0x3fe921fb, v69, vcc_lo
	v_bfi_b32 v21, 0x7fffffff, v21, v9
	v_add_f64_e32 v[54:55], v[56:57], v[44:45]
	v_div_fixup_f64 v[14:15], v[50:51], v[46:47], v[14:15]
	v_add_f64_e64 v[62:63], v[52:53], -v[62:63]
	s_delay_alu instid0(VALU_DEP_3) | instskip(NEXT) | instid1(VALU_DEP_3)
	v_add_f64_e32 v[46:47], v[52:53], v[54:55]
	v_mul_f64_e32 v[50:51], v[14:15], v[14:15]
	v_add_f64_e64 v[56:57], v[54:55], -v[56:57]
	s_delay_alu instid0(VALU_DEP_4) | instskip(NEXT) | instid1(VALU_DEP_4)
	v_add_f64_e64 v[62:63], v[70:71], -v[62:63]
	v_add_f64_e64 v[58:59], v[46:47], -v[52:53]
	s_delay_alu instid0(VALU_DEP_4) | instskip(NEXT) | instid1(VALU_DEP_4)
	v_fmamk_f64 v[60:61], v[50:51], 0x3eeba404b5e68a13, v[26:27]
	v_add_f64_e64 v[44:45], v[44:45], -v[56:57]
	s_delay_alu instid0(VALU_DEP_2) | instskip(NEXT) | instid1(VALU_DEP_1)
	v_fmaak_f64 v[60:61], v[50:51], v[60:61], 0x3f4b2bb069efb384
	v_fmaak_f64 v[60:61], v[50:51], v[60:61], 0xbf67952daf56de9b
	s_delay_alu instid0(VALU_DEP_1) | instskip(NEXT) | instid1(VALU_DEP_1)
	v_fmaak_f64 v[60:61], v[50:51], v[60:61], 0x3f7d6d43a595c56f
	v_fmaak_f64 v[60:61], v[50:51], v[60:61], 0xbf8c6ea4a57d9582
	v_add_f64_e64 v[64:65], v[46:47], -v[58:59]
	v_add_f64_e64 v[54:55], v[54:55], -v[58:59]
	v_add_f64_e32 v[58:59], v[62:63], v[44:45]
	s_delay_alu instid0(VALU_DEP_4) | instskip(NEXT) | instid1(VALU_DEP_1)
	v_fmaak_f64 v[60:61], v[50:51], v[60:61], 0x3f967e295f08b19f
	v_fmaak_f64 v[56:57], v[50:51], v[60:61], 0xbf9e9ae6fc27006a
	s_delay_alu instid0(VALU_DEP_1) | instskip(NEXT) | instid1(VALU_DEP_1)
	v_fmaak_f64 v[56:57], v[50:51], v[56:57], 0x3fa2c15b5711927a
	v_fmaak_f64 v[56:57], v[50:51], v[56:57], 0xbfa59976e82d3ff0
	s_delay_alu instid0(VALU_DEP_1) | instskip(SKIP_1) | instid1(VALU_DEP_2)
	v_fmaak_f64 v[56:57], v[50:51], v[56:57], 0x3fa82d5d6ef28734
	v_add_f64_e64 v[52:53], v[52:53], -v[64:65]
	v_fmaak_f64 v[56:57], v[50:51], v[56:57], 0xbfaae5ce6a214619
	s_delay_alu instid0(VALU_DEP_2) | instskip(NEXT) | instid1(VALU_DEP_2)
	v_add_f64_e32 v[52:53], v[54:55], v[52:53]
	v_fmaak_f64 v[54:55], v[50:51], v[56:57], 0x3fae1bb48427b883
	v_add_f64_e64 v[56:57], v[58:59], -v[62:63]
	s_delay_alu instid0(VALU_DEP_2) | instskip(NEXT) | instid1(VALU_DEP_1)
	v_fmaak_f64 v[54:55], v[50:51], v[54:55], 0xbfb110e48b207f05
	v_fmaak_f64 v[54:55], v[50:51], v[54:55], 0x3fb3b13657b87036
	s_delay_alu instid0(VALU_DEP_1) | instskip(NEXT) | instid1(VALU_DEP_1)
	v_fmaak_f64 v[54:55], v[50:51], v[54:55], 0xbfb745d119378e4f
	v_fmaak_f64 v[54:55], v[50:51], v[54:55], 0x3fbc71c717e1913c
	v_add_f64_e32 v[52:53], v[58:59], v[52:53]
	v_add_f64_e64 v[44:45], v[44:45], -v[56:57]
	s_delay_alu instid0(VALU_DEP_3) | instskip(NEXT) | instid1(VALU_DEP_1)
	v_fmaak_f64 v[54:55], v[50:51], v[54:55], 0xbfc2492492376b7d
	v_fmaak_f64 v[54:55], v[50:51], v[54:55], 0x3fc99999999952cc
	s_delay_alu instid0(VALU_DEP_1) | instskip(NEXT) | instid1(VALU_DEP_1)
	v_fmaak_f64 v[54:55], v[50:51], v[54:55], 0xbfd5555555555523
	v_mul_f64_e32 v[50:51], v[50:51], v[54:55]
	v_add_f64_e64 v[54:55], v[58:59], -v[56:57]
	v_add_f64_e32 v[58:59], v[46:47], v[52:53]
	s_delay_alu instid0(VALU_DEP_3) | instskip(NEXT) | instid1(VALU_DEP_3)
	v_fmac_f64_e32 v[14:15], v[14:15], v[50:51]
	v_add_f64_e64 v[50:51], v[62:63], -v[54:55]
	s_delay_alu instid0(VALU_DEP_3) | instskip(NEXT) | instid1(VALU_DEP_3)
	v_add_f64_e64 v[46:47], v[58:59], -v[46:47]
	v_add_f64_e64 v[54:55], -v[14:15], s[40:41]
	s_delay_alu instid0(VALU_DEP_3) | instskip(NEXT) | instid1(VALU_DEP_3)
	v_add_f64_e32 v[44:45], v[44:45], v[50:51]
	v_add_f64_e64 v[46:47], v[52:53], -v[46:47]
	s_delay_alu instid0(VALU_DEP_3) | instskip(NEXT) | instid1(VALU_DEP_2)
	v_dual_cndmask_b32 v15, v15, v55, s6 :: v_dual_cndmask_b32 v14, v14, v54, s6
	v_add_f64_e32 v[44:45], v[44:45], v[46:47]
	s_delay_alu instid0(VALU_DEP_2) | instskip(NEXT) | instid1(VALU_DEP_2)
	v_add_f64_e64 v[46:47], -v[14:15], s[42:43]
	v_add_f64_e32 v[6:7], v[58:59], v[44:45]
	s_delay_alu instid0(VALU_DEP_2) | instskip(SKIP_1) | instid1(VALU_DEP_2)
	v_dual_cndmask_b32 v14, v14, v46 :: v_dual_cndmask_b32 v15, v15, v47
	v_cmp_ngt_f64_e32 vcc_lo, 0, v[48:49]
	v_cndmask_b32_e64 v16, v14, v16, s8
	s_delay_alu instid0(VALU_DEP_3) | instskip(SKIP_2) | instid1(VALU_DEP_2)
	v_cndmask_b32_e64 v4, v15, v4, s8
	v_dual_cndmask_b32 v6, v6, v48, s7 :: v_dual_cndmask_b32 v7, v7, v49, s7
	v_cmp_nge_f64_e64 s7, 0, v[48:49]
	v_cndmask_b32_e32 v7, 0x7ff80000, v7, vcc_lo
	s_and_b32 vcc_lo, s11, s10
	v_cndmask_b32_e32 v45, v4, v21, vcc_lo
	v_dual_cndmask_b32 v44, v16, v12, vcc_lo :: v_dual_cndmask_b32 v14, 0, v6, s7
	v_cmp_neq_f64_e64 s7, 0, v[48:49]
	s_delay_alu instid0(VALU_DEP_1)
	v_cndmask_b32_e64 v15, 0xfff00000, v7, s7
.LBB197_136:                            ;   in Loop: Header=BB197_4 Depth=1
	s_or_b32 exec_lo, exec_lo, s9
                                        ; implicit-def: $vgpr48_vgpr49
.LBB197_137:                            ;   in Loop: Header=BB197_4 Depth=1
	s_and_not1_saveexec_b32 s9, s54
	s_cbranch_execz .LBB197_143
; %bb.138:                              ;   in Loop: Header=BB197_4 Depth=1
                                        ; implicit-def: $vgpr14_vgpr15
                                        ; implicit-def: $vgpr44_vgpr45
	s_mov_b32 s7, exec_lo
	v_cmpx_ngt_f64_e32 s[46:47], v[48:49]
	s_xor_b32 s10, exec_lo, s7
	s_cbranch_execz .LBB197_140
; %bb.139:                              ;   in Loop: Header=BB197_4 Depth=1
	v_mul_f64_e32 v[14:15], v[48:49], v[48:49]
	v_cmp_eq_f64_e64 s7, 0, v[8:9]
	v_cmp_class_f64_e64 s11, v[8:9], 0x204
	v_cmp_class_f64_e64 s12, v[6:7], 0x204
	s_delay_alu instid0(VALU_DEP_4) | instskip(NEXT) | instid1(VALU_DEP_1)
	v_add_f64_e32 v[44:45], 1.0, v[14:15]
	v_frexp_mant_f64_e32 v[46:47], v[44:45]
	v_frexp_exp_i32_f64_e32 v4, v[44:45]
	s_delay_alu instid0(VALU_DEP_2) | instskip(NEXT) | instid1(VALU_DEP_2)
	v_cmp_gt_f64_e32 vcc_lo, s[30:31], v[46:47]
	v_subrev_co_ci_u32_e64 v4, null, 0, v4, vcc_lo
	s_delay_alu instid0(VALU_DEP_1) | instskip(SKIP_1) | instid1(VALU_DEP_1)
	v_sub_nc_u32_e32 v12, 0, v4
	v_add_f64_e32 v[48:49], -1.0, v[44:45]
	v_add_f64_e64 v[46:47], v[48:49], -v[44:45]
	s_delay_alu instid0(VALU_DEP_3) | instskip(SKIP_1) | instid1(VALU_DEP_3)
	v_ldexp_f64 v[44:45], v[44:45], v12
	v_add_f64_e64 v[48:49], v[14:15], -v[48:49]
	v_add_f64_e32 v[46:47], 1.0, v[46:47]
	s_delay_alu instid0(VALU_DEP_3) | instskip(SKIP_1) | instid1(VALU_DEP_3)
	v_add_f64_e32 v[50:51], 1.0, v[44:45]
	v_add_f64_e32 v[56:57], -1.0, v[44:45]
	v_add_f64_e32 v[46:47], v[48:49], v[46:47]
	s_delay_alu instid0(VALU_DEP_3) | instskip(NEXT) | instid1(VALU_DEP_3)
	v_add_f64_e32 v[48:49], -1.0, v[50:51]
	v_add_f64_e32 v[58:59], 1.0, v[56:57]
	s_delay_alu instid0(VALU_DEP_3) | instskip(NEXT) | instid1(VALU_DEP_3)
	v_ldexp_f64 v[46:47], v[46:47], v12
	v_add_f64_e64 v[48:49], v[44:45], -v[48:49]
	s_delay_alu instid0(VALU_DEP_3) | instskip(NEXT) | instid1(VALU_DEP_2)
	v_add_f64_e64 v[44:45], v[44:45], -v[58:59]
	v_add_f64_e32 v[48:49], v[46:47], v[48:49]
	s_delay_alu instid0(VALU_DEP_2) | instskip(NEXT) | instid1(VALU_DEP_2)
	v_add_f64_e32 v[44:45], v[46:47], v[44:45]
	v_add_f64_e32 v[52:53], v[50:51], v[48:49]
	s_delay_alu instid0(VALU_DEP_2) | instskip(NEXT) | instid1(VALU_DEP_2)
	v_add_f64_e32 v[58:59], v[56:57], v[44:45]
	v_rcp_f64_e32 v[54:55], v[52:53]
	v_add_f64_e64 v[50:51], v[50:51], -v[52:53]
	s_delay_alu instid0(VALU_DEP_2) | instskip(NEXT) | instid1(VALU_DEP_2)
	v_add_f64_e64 v[56:57], v[56:57], -v[58:59]
	v_add_f64_e32 v[48:49], v[48:49], v[50:51]
	s_delay_alu instid0(VALU_DEP_2) | instskip(NEXT) | instid1(TRANS32_DEP_1)
	v_add_f64_e32 v[44:45], v[44:45], v[56:57]
	v_fma_f64 v[60:61], -v[52:53], v[54:55], 1.0
	s_delay_alu instid0(VALU_DEP_1) | instskip(NEXT) | instid1(VALU_DEP_1)
	v_fmac_f64_e32 v[54:55], v[60:61], v[54:55]
	v_fma_f64 v[46:47], -v[52:53], v[54:55], 1.0
	s_delay_alu instid0(VALU_DEP_1) | instskip(NEXT) | instid1(VALU_DEP_1)
	v_fmac_f64_e32 v[54:55], v[46:47], v[54:55]
	v_mul_f64_e32 v[46:47], v[58:59], v[54:55]
	s_delay_alu instid0(VALU_DEP_1) | instskip(NEXT) | instid1(VALU_DEP_1)
	v_mul_f64_e32 v[60:61], v[52:53], v[46:47]
	v_fma_f64 v[50:51], v[46:47], v[52:53], -v[60:61]
	s_delay_alu instid0(VALU_DEP_1) | instskip(NEXT) | instid1(VALU_DEP_1)
	v_fmac_f64_e32 v[50:51], v[46:47], v[48:49]
	v_add_f64_e32 v[62:63], v[60:61], v[50:51]
	s_delay_alu instid0(VALU_DEP_1) | instskip(SKIP_1) | instid1(VALU_DEP_2)
	v_add_f64_e64 v[64:65], v[58:59], -v[62:63]
	v_add_f64_e64 v[56:57], v[62:63], -v[60:61]
	;; [unrolled: 1-line block ×3, first 2 shown]
	s_delay_alu instid0(VALU_DEP_2) | instskip(NEXT) | instid1(VALU_DEP_2)
	v_add_f64_e64 v[50:51], v[56:57], -v[50:51]
	v_add_f64_e64 v[58:59], v[58:59], -v[62:63]
	s_delay_alu instid0(VALU_DEP_1) | instskip(NEXT) | instid1(VALU_DEP_1)
	v_add_f64_e32 v[44:45], v[44:45], v[58:59]
	v_add_f64_e32 v[44:45], v[50:51], v[44:45]
	s_delay_alu instid0(VALU_DEP_1) | instskip(NEXT) | instid1(VALU_DEP_1)
	v_add_f64_e32 v[50:51], v[64:65], v[44:45]
	v_mul_f64_e32 v[56:57], v[54:55], v[50:51]
	v_add_f64_e64 v[62:63], v[64:65], -v[50:51]
	s_delay_alu instid0(VALU_DEP_2) | instskip(NEXT) | instid1(VALU_DEP_2)
	v_mul_f64_e32 v[58:59], v[52:53], v[56:57]
	v_add_f64_e32 v[44:45], v[44:45], v[62:63]
	s_delay_alu instid0(VALU_DEP_2) | instskip(NEXT) | instid1(VALU_DEP_1)
	v_fma_f64 v[52:53], v[56:57], v[52:53], -v[58:59]
	v_fmac_f64_e32 v[52:53], v[56:57], v[48:49]
	s_delay_alu instid0(VALU_DEP_1) | instskip(NEXT) | instid1(VALU_DEP_1)
	v_add_f64_e32 v[48:49], v[58:59], v[52:53]
	v_add_f64_e64 v[60:61], v[50:51], -v[48:49]
	v_add_f64_e64 v[58:59], v[48:49], -v[58:59]
	s_delay_alu instid0(VALU_DEP_2) | instskip(NEXT) | instid1(VALU_DEP_1)
	v_add_f64_e64 v[50:51], v[50:51], -v[60:61]
	v_add_f64_e64 v[48:49], v[50:51], -v[48:49]
	s_delay_alu instid0(VALU_DEP_3) | instskip(SKIP_1) | instid1(VALU_DEP_3)
	v_add_f64_e64 v[50:51], v[58:59], -v[52:53]
	v_max_num_f64_e64 v[52:53], |v[6:7]|, |v[6:7]|
	v_add_f64_e32 v[44:45], v[44:45], v[48:49]
	v_add_f64_e32 v[48:49], v[46:47], v[56:57]
	s_delay_alu instid0(VALU_DEP_2) | instskip(NEXT) | instid1(VALU_DEP_2)
	v_add_f64_e32 v[44:45], v[50:51], v[44:45]
	v_add_f64_e64 v[46:47], v[48:49], -v[46:47]
	v_max_num_f64_e64 v[50:51], |v[8:9]|, |v[8:9]|
	s_delay_alu instid0(VALU_DEP_3) | instskip(NEXT) | instid1(VALU_DEP_3)
	v_add_f64_e32 v[44:45], v[60:61], v[44:45]
	v_add_f64_e64 v[46:47], v[56:57], -v[46:47]
	s_delay_alu instid0(VALU_DEP_2) | instskip(NEXT) | instid1(VALU_DEP_1)
	v_mul_f64_e32 v[44:45], v[54:55], v[44:45]
	v_add_f64_e32 v[44:45], v[46:47], v[44:45]
	v_max_num_f64_e32 v[46:47], v[52:53], v[50:51]
	v_min_num_f64_e32 v[50:51], v[52:53], v[50:51]
	s_delay_alu instid0(VALU_DEP_3) | instskip(NEXT) | instid1(VALU_DEP_2)
	v_add_f64_e32 v[52:53], v[48:49], v[44:45]
	v_div_scale_f64 v[54:55], null, v[46:47], v[46:47], v[50:51]
	s_delay_alu instid0(VALU_DEP_2) | instskip(SKIP_1) | instid1(VALU_DEP_3)
	v_mul_f64_e32 v[56:57], v[52:53], v[52:53]
	v_add_f64_e64 v[48:49], v[52:53], -v[48:49]
	v_rcp_f64_e32 v[58:59], v[54:55]
	s_delay_alu instid0(VALU_DEP_2) | instskip(SKIP_1) | instid1(VALU_DEP_3)
	v_fmamk_f64 v[60:61], v[56:57], 0x3fc3ab76bf559e2b, v[24:25]
	v_mul_f64_e32 v[62:63], v[52:53], v[56:57]
	v_add_f64_e64 v[44:45], v[44:45], -v[48:49]
	s_delay_alu instid0(VALU_DEP_3) | instskip(NEXT) | instid1(TRANS32_DEP_1)
	v_fmaak_f64 v[60:61], v[56:57], v[60:61], 0x3fc7474dd7f4df2e
	v_fma_f64 v[64:65], -v[54:55], v[58:59], 1.0
	s_delay_alu instid0(VALU_DEP_2) | instskip(NEXT) | instid1(VALU_DEP_1)
	v_fmaak_f64 v[60:61], v[56:57], v[60:61], 0x3fcc71c016291751
	v_fmaak_f64 v[60:61], v[56:57], v[60:61], 0x3fd249249b27acf1
	s_delay_alu instid0(VALU_DEP_1) | instskip(SKIP_1) | instid1(VALU_DEP_2)
	v_fmaak_f64 v[60:61], v[56:57], v[60:61], 0x3fd99999998ef7b6
	v_ldexp_f64 v[44:45], v[44:45], 1
	v_fmaak_f64 v[56:57], v[56:57], v[60:61], 0x3fe5555555555780
	v_ldexp_f64 v[60:61], v[52:53], 1
	v_fmac_f64_e32 v[58:59], v[58:59], v[64:65]
	s_delay_alu instid0(VALU_DEP_3) | instskip(SKIP_2) | instid1(VALU_DEP_1)
	v_mul_f64_e32 v[56:57], v[62:63], v[56:57]
	v_cvt_f64_i32_e32 v[62:63], v4
	v_ashrrev_i32_e32 v4, 31, v7
	v_and_b32_e32 v16, 0x54442d18, v4
	v_and_b32_e32 v4, 0x400921fb, v4
	v_fma_f64 v[64:65], -v[54:55], v[58:59], 1.0
	v_add_f64_e32 v[52:53], v[60:61], v[56:57]
	v_mul_f64_e32 v[66:67], 0x3fe62e42fefa39ef, v[62:63]
	s_delay_alu instid0(VALU_DEP_3) | instskip(NEXT) | instid1(VALU_DEP_3)
	v_fmac_f64_e32 v[58:59], v[58:59], v[64:65]
	v_add_f64_e64 v[48:49], v[52:53], -v[60:61]
	v_div_scale_f64 v[60:61], vcc_lo, v[50:51], v[46:47], v[50:51]
	s_delay_alu instid0(VALU_DEP_4) | instskip(NEXT) | instid1(VALU_DEP_3)
	v_fma_f64 v[64:65], v[62:63], s[34:35], -v[66:67]
	v_add_f64_e64 v[48:49], v[56:57], -v[48:49]
	s_delay_alu instid0(VALU_DEP_3) | instskip(NEXT) | instid1(VALU_DEP_3)
	v_mul_f64_e32 v[56:57], v[60:61], v[58:59]
	v_fmac_f64_e32 v[64:65], 0x3c7abc9e3b39803f, v[62:63]
	s_delay_alu instid0(VALU_DEP_3) | instskip(NEXT) | instid1(VALU_DEP_3)
	v_add_f64_e32 v[44:45], v[44:45], v[48:49]
	v_fma_f64 v[48:49], -v[54:55], v[56:57], v[60:61]
	s_delay_alu instid0(VALU_DEP_3) | instskip(NEXT) | instid1(VALU_DEP_3)
	v_add_f64_e32 v[54:55], v[66:67], v[64:65]
	v_add_f64_e32 v[60:61], v[52:53], v[44:45]
	s_delay_alu instid0(VALU_DEP_3) | instskip(SKIP_1) | instid1(VALU_DEP_4)
	v_div_fmas_f64 v[48:49], v[48:49], v[58:59], v[56:57]
	v_cmp_gt_i32_e32 vcc_lo, 0, v7
	v_add_f64_e64 v[58:59], v[54:55], -v[66:67]
	v_cndmask_b32_e32 v12, 0x54442d18, v68, vcc_lo
	v_add_f64_e32 v[56:57], v[54:55], v[60:61]
	v_div_fixup_f64 v[46:47], v[48:49], v[46:47], v[50:51]
	v_add_f64_e64 v[52:53], v[60:61], -v[52:53]
	v_add_f64_e64 v[58:59], v[64:65], -v[58:59]
	s_delay_alu instid0(VALU_DEP_4) | instskip(NEXT) | instid1(VALU_DEP_4)
	v_add_f64_e64 v[48:49], v[56:57], -v[54:55]
	v_mul_f64_e32 v[50:51], v[46:47], v[46:47]
	s_delay_alu instid0(VALU_DEP_4) | instskip(NEXT) | instid1(VALU_DEP_3)
	v_add_f64_e64 v[44:45], v[44:45], -v[52:53]
	v_add_f64_e64 v[62:63], v[56:57], -v[48:49]
	s_delay_alu instid0(VALU_DEP_3) | instskip(SKIP_1) | instid1(VALU_DEP_4)
	v_fmamk_f64 v[66:67], v[50:51], 0x3eeba404b5e68a13, v[26:27]
	v_add_f64_e64 v[48:49], v[60:61], -v[48:49]
	v_add_f64_e32 v[60:61], v[58:59], v[44:45]
	s_delay_alu instid0(VALU_DEP_3) | instskip(NEXT) | instid1(VALU_DEP_1)
	v_fmaak_f64 v[66:67], v[50:51], v[66:67], 0x3f4b2bb069efb384
	v_fmaak_f64 v[66:67], v[50:51], v[66:67], 0xbf67952daf56de9b
	v_add_f64_e64 v[52:53], v[54:55], -v[62:63]
	s_delay_alu instid0(VALU_DEP_2) | instskip(NEXT) | instid1(VALU_DEP_1)
	v_fmaak_f64 v[54:55], v[50:51], v[66:67], 0x3f7d6d43a595c56f
	v_fmaak_f64 v[54:55], v[50:51], v[54:55], 0xbf8c6ea4a57d9582
	s_delay_alu instid0(VALU_DEP_1) | instskip(NEXT) | instid1(VALU_DEP_1)
	v_fmaak_f64 v[54:55], v[50:51], v[54:55], 0x3f967e295f08b19f
	v_fmaak_f64 v[54:55], v[50:51], v[54:55], 0xbf9e9ae6fc27006a
	s_delay_alu instid0(VALU_DEP_1) | instskip(SKIP_1) | instid1(VALU_DEP_2)
	v_fmaak_f64 v[54:55], v[50:51], v[54:55], 0x3fa2c15b5711927a
	v_add_f64_e32 v[48:49], v[48:49], v[52:53]
	v_fmaak_f64 v[52:53], v[50:51], v[54:55], 0xbfa59976e82d3ff0
	v_add_f64_e64 v[54:55], v[60:61], -v[58:59]
	s_delay_alu instid0(VALU_DEP_2) | instskip(NEXT) | instid1(VALU_DEP_1)
	v_fmaak_f64 v[52:53], v[50:51], v[52:53], 0x3fa82d5d6ef28734
	v_fmaak_f64 v[52:53], v[50:51], v[52:53], 0xbfaae5ce6a214619
	s_delay_alu instid0(VALU_DEP_1) | instskip(NEXT) | instid1(VALU_DEP_1)
	v_fmaak_f64 v[52:53], v[50:51], v[52:53], 0x3fae1bb48427b883
	v_fmaak_f64 v[52:53], v[50:51], v[52:53], 0xbfb110e48b207f05
	v_add_f64_e32 v[48:49], v[60:61], v[48:49]
	v_add_f64_e64 v[60:61], v[60:61], -v[54:55]
	v_add_f64_e64 v[44:45], v[44:45], -v[54:55]
	s_delay_alu instid0(VALU_DEP_4) | instskip(NEXT) | instid1(VALU_DEP_1)
	v_fmaak_f64 v[52:53], v[50:51], v[52:53], 0x3fb3b13657b87036
	v_fmaak_f64 v[52:53], v[50:51], v[52:53], 0xbfb745d119378e4f
	s_delay_alu instid0(VALU_DEP_1) | instskip(NEXT) | instid1(VALU_DEP_1)
	v_fmaak_f64 v[52:53], v[50:51], v[52:53], 0x3fbc71c717e1913c
	v_fmaak_f64 v[52:53], v[50:51], v[52:53], 0xbfc2492492376b7d
	v_add_f64_e32 v[62:63], v[56:57], v[48:49]
	s_delay_alu instid0(VALU_DEP_2) | instskip(NEXT) | instid1(VALU_DEP_1)
	v_fmaak_f64 v[52:53], v[50:51], v[52:53], 0x3fc99999999952cc
	v_fmaak_f64 v[52:53], v[50:51], v[52:53], 0xbfd5555555555523
	s_delay_alu instid0(VALU_DEP_1) | instskip(SKIP_2) | instid1(VALU_DEP_3)
	v_mul_f64_e32 v[50:51], v[50:51], v[52:53]
	v_add_f64_e64 v[52:53], v[58:59], -v[60:61]
	v_add_f64_e64 v[54:55], v[62:63], -v[56:57]
	v_fmac_f64_e32 v[46:47], v[46:47], v[50:51]
	s_delay_alu instid0(VALU_DEP_3) | instskip(NEXT) | instid1(VALU_DEP_3)
	v_add_f64_e32 v[44:45], v[44:45], v[52:53]
	v_add_f64_e64 v[48:49], v[48:49], -v[54:55]
	s_delay_alu instid0(VALU_DEP_3) | instskip(NEXT) | instid1(VALU_DEP_1)
	v_add_f64_e64 v[50:51], -v[46:47], s[40:41]
	v_dual_add_f64 v[44:45], v[44:45], v[48:49] :: v_dual_cndmask_b32 v47, v47, v51, s6
	s_delay_alu instid0(VALU_DEP_2) | instskip(SKIP_2) | instid1(VALU_DEP_3)
	v_cndmask_b32_e64 v46, v46, v50, s6
	v_cmp_neq_f64_e64 s8, 0x7ff00000, v[14:15]
	v_cndmask_b32_e32 v14, 0x3fe921fb, v69, vcc_lo
	v_add_f64_e64 v[48:49], -v[46:47], s[42:43]
	s_delay_alu instid0(VALU_DEP_2) | instskip(SKIP_1) | instid1(VALU_DEP_3)
	v_bfi_b32 v14, 0x7fffffff, v14, v9
	v_add_f64_e32 v[44:45], v[62:63], v[44:45]
	v_dual_cndmask_b32 v21, v46, v48, vcc_lo :: v_dual_cndmask_b32 v15, v47, v49, vcc_lo
	s_and_b32 vcc_lo, s11, s12
                                        ; implicit-def: $vgpr48_vgpr49
	s_delay_alu instid0(VALU_DEP_1) | instskip(NEXT) | instid1(VALU_DEP_2)
	v_cndmask_b32_e64 v16, v21, v16, s7
	v_cndmask_b32_e64 v4, v15, v4, s7
	s_delay_alu instid0(VALU_DEP_1) | instskip(NEXT) | instid1(VALU_DEP_3)
	v_dual_mul_f64 v[6:7], 0.5, v[44:45] :: v_dual_cndmask_b32 v45, v4, v14, vcc_lo
	v_cndmask_b32_e32 v44, v16, v12, vcc_lo
	s_delay_alu instid0(VALU_DEP_2) | instskip(NEXT) | instid1(VALU_DEP_3)
	v_cndmask_b32_e64 v15, 0x7ff00000, v7, s8
	v_cndmask_b32_e64 v14, 0, v6, s8
.LBB197_140:                            ;   in Loop: Header=BB197_4 Depth=1
	s_and_not1_saveexec_b32 s8, s10
	s_cbranch_execz .LBB197_142
; %bb.141:                              ;   in Loop: Header=BB197_4 Depth=1
	v_max_num_f64_e64 v[14:15], |v[8:9]|, |v[8:9]|
	v_max_num_f64_e64 v[44:45], |v[6:7]|, |v[6:7]|
	v_ashrrev_i32_e32 v4, 31, v7
	v_cmp_eq_f64_e64 s7, 0, v[8:9]
	v_cmp_class_f64_e64 s10, v[8:9], 0x204
	v_cmp_class_f64_e64 s11, v[6:7], 0x204
	s_delay_alu instid0(VALU_DEP_4) | instskip(SKIP_3) | instid1(VALU_DEP_1)
	v_and_b32_e32 v16, 0x54442d18, v4
	v_and_b32_e32 v4, 0x400921fb, v4
	v_max_num_f64_e32 v[46:47], v[44:45], v[14:15]
	v_min_num_f64_e32 v[14:15], v[44:45], v[14:15]
	v_div_scale_f64 v[44:45], null, v[46:47], v[46:47], v[14:15]
	v_div_scale_f64 v[54:55], vcc_lo, v[14:15], v[46:47], v[14:15]
	s_delay_alu instid0(VALU_DEP_2) | instskip(SKIP_1) | instid1(TRANS32_DEP_1)
	v_rcp_f64_e32 v[50:51], v[44:45]
	v_nop
	v_fma_f64 v[52:53], -v[44:45], v[50:51], 1.0
	s_delay_alu instid0(VALU_DEP_1) | instskip(NEXT) | instid1(VALU_DEP_1)
	v_fmac_f64_e32 v[50:51], v[50:51], v[52:53]
	v_fma_f64 v[52:53], -v[44:45], v[50:51], 1.0
	s_delay_alu instid0(VALU_DEP_1) | instskip(NEXT) | instid1(VALU_DEP_1)
	v_fmac_f64_e32 v[50:51], v[50:51], v[52:53]
	v_mul_f64_e32 v[52:53], v[54:55], v[50:51]
	s_delay_alu instid0(VALU_DEP_1) | instskip(NEXT) | instid1(VALU_DEP_1)
	v_fma_f64 v[44:45], -v[44:45], v[52:53], v[54:55]
	v_div_fmas_f64 v[44:45], v[44:45], v[50:51], v[52:53]
	v_cmp_gt_i32_e32 vcc_lo, 0, v7
	v_cndmask_b32_e32 v6, 0x3fe921fb, v69, vcc_lo
	v_cndmask_b32_e32 v12, 0x54442d18, v68, vcc_lo
	s_delay_alu instid0(VALU_DEP_2) | instskip(SKIP_1) | instid1(VALU_DEP_1)
	v_bfi_b32 v6, 0x7fffffff, v6, v9
	v_div_fixup_f64 v[14:15], v[44:45], v[46:47], v[14:15]
	v_mul_f64_e32 v[44:45], v[14:15], v[14:15]
	s_delay_alu instid0(VALU_DEP_1) | instskip(NEXT) | instid1(VALU_DEP_1)
	v_fmamk_f64 v[46:47], v[44:45], 0x3eeba404b5e68a13, v[26:27]
	v_fmaak_f64 v[46:47], v[44:45], v[46:47], 0x3f4b2bb069efb384
	s_delay_alu instid0(VALU_DEP_1) | instskip(NEXT) | instid1(VALU_DEP_1)
	v_fmaak_f64 v[46:47], v[44:45], v[46:47], 0xbf67952daf56de9b
	v_fmaak_f64 v[46:47], v[44:45], v[46:47], 0x3f7d6d43a595c56f
	s_delay_alu instid0(VALU_DEP_1) | instskip(NEXT) | instid1(VALU_DEP_1)
	v_fmaak_f64 v[46:47], v[44:45], v[46:47], 0xbf8c6ea4a57d9582
	;; [unrolled: 3-line block ×9, first 2 shown]
	v_mul_f64_e32 v[44:45], v[44:45], v[46:47]
	s_delay_alu instid0(VALU_DEP_1) | instskip(NEXT) | instid1(VALU_DEP_1)
	v_fmac_f64_e32 v[14:15], v[14:15], v[44:45]
	v_add_f64_e64 v[44:45], -v[14:15], s[40:41]
	s_delay_alu instid0(VALU_DEP_1) | instskip(SKIP_1) | instid1(VALU_DEP_1)
	v_dual_cndmask_b32 v45, v15, v45, s6 :: v_dual_cndmask_b32 v44, v14, v44, s6
	v_mul_f64_e32 v[14:15], 0.5, v[48:49]
	v_mul_f64_e32 v[14:15], v[48:49], v[14:15]
	s_delay_alu instid0(VALU_DEP_3) | instskip(NEXT) | instid1(VALU_DEP_1)
	v_add_f64_e64 v[46:47], -v[44:45], s[42:43]
	v_dual_cndmask_b32 v21, v44, v46, vcc_lo :: v_dual_cndmask_b32 v7, v45, v47, vcc_lo
	s_and_b32 vcc_lo, s10, s11
	s_delay_alu instid0(VALU_DEP_1) | instskip(NEXT) | instid1(VALU_DEP_2)
	v_cndmask_b32_e64 v16, v21, v16, s7
	v_cndmask_b32_e64 v4, v7, v4, s7
	s_delay_alu instid0(VALU_DEP_2) | instskip(NEXT) | instid1(VALU_DEP_2)
	v_cndmask_b32_e32 v44, v16, v12, vcc_lo
	v_cndmask_b32_e32 v45, v4, v6, vcc_lo
.LBB197_142:                            ;   in Loop: Header=BB197_4 Depth=1
	s_or_b32 exec_lo, exec_lo, s8
.LBB197_143:                            ;   in Loop: Header=BB197_4 Depth=1
	s_delay_alu instid0(SALU_CYCLE_1)
	s_or_b32 exec_lo, exec_lo, s9
.LBB197_144:                            ;   in Loop: Header=BB197_4 Depth=1
	s_and_not1_saveexec_b32 s8, s33
	s_cbranch_execz .LBB197_146
; %bb.145:                              ;   in Loop: Header=BB197_4 Depth=1
	v_div_scale_f64 v[14:15], null, s[48:49], s[48:49], v[6:7]
	v_div_scale_f64 v[44:45], null, s[48:49], s[48:49], v[8:9]
	v_div_scale_f64 v[54:55], vcc_lo, v[6:7], s[48:49], v[6:7]
	s_delay_alu instid0(VALU_DEP_3) | instskip(NEXT) | instid1(VALU_DEP_2)
	v_rcp_f64_e32 v[46:47], v[14:15]
	v_rcp_f64_e32 v[48:49], v[44:45]
	s_delay_alu instid0(TRANS32_DEP_2) | instskip(NEXT) | instid1(TRANS32_DEP_1)
	v_fma_f64 v[50:51], -v[14:15], v[46:47], 1.0
	v_fma_f64 v[52:53], -v[44:45], v[48:49], 1.0
	s_delay_alu instid0(VALU_DEP_2) | instskip(NEXT) | instid1(VALU_DEP_2)
	v_fmac_f64_e32 v[46:47], v[46:47], v[50:51]
	v_fmac_f64_e32 v[48:49], v[48:49], v[52:53]
	s_delay_alu instid0(VALU_DEP_2) | instskip(NEXT) | instid1(VALU_DEP_2)
	v_fma_f64 v[50:51], -v[14:15], v[46:47], 1.0
	v_fma_f64 v[52:53], -v[44:45], v[48:49], 1.0
	s_delay_alu instid0(VALU_DEP_2) | instskip(SKIP_1) | instid1(VALU_DEP_3)
	v_fmac_f64_e32 v[46:47], v[46:47], v[50:51]
	v_div_scale_f64 v[50:51], s7, v[8:9], s[48:49], v[8:9]
	v_fmac_f64_e32 v[48:49], v[48:49], v[52:53]
	s_delay_alu instid0(VALU_DEP_3) | instskip(NEXT) | instid1(VALU_DEP_2)
	v_mul_f64_e32 v[52:53], v[54:55], v[46:47]
	v_mul_f64_e32 v[56:57], v[50:51], v[48:49]
	s_delay_alu instid0(VALU_DEP_2) | instskip(NEXT) | instid1(VALU_DEP_2)
	v_fma_f64 v[14:15], -v[14:15], v[52:53], v[54:55]
	v_fma_f64 v[44:45], -v[44:45], v[56:57], v[50:51]
	s_delay_alu instid0(VALU_DEP_2) | instskip(SKIP_1) | instid1(VALU_DEP_2)
	v_div_fmas_f64 v[14:15], v[14:15], v[46:47], v[52:53]
	s_mov_b32 vcc_lo, s7
	v_div_fmas_f64 v[44:45], v[44:45], v[48:49], v[56:57]
	s_delay_alu instid0(VALU_DEP_2) | instskip(NEXT) | instid1(VALU_DEP_2)
	v_div_fixup_f64 v[14:15], v[14:15], s[48:49], v[6:7]
	v_div_fixup_f64 v[44:45], v[44:45], s[48:49], v[8:9]
	s_delay_alu instid0(VALU_DEP_2) | instskip(NEXT) | instid1(VALU_DEP_2)
	v_cmp_class_f64_e64 s7, v[14:15], 0x204
	v_max_num_f64_e64 v[46:47], |v[14:15]|, |v[44:45]|
	v_cmp_class_f64_e64 s9, v[44:45], 0x204
	s_delay_alu instid0(VALU_DEP_2) | instskip(SKIP_2) | instid1(VALU_DEP_2)
	v_frexp_exp_i32_f64_e32 v4, v[46:47]
	s_or_b32 s7, s9, s7
	v_cmp_class_f64_e64 s9, v[6:7], 0x204
	v_sub_nc_u32_e32 v12, 0, v4
	s_delay_alu instid0(VALU_DEP_1) | instskip(SKIP_1) | instid1(VALU_DEP_2)
	v_ldexp_f64 v[46:47], |v[44:45]|, v12
	v_ldexp_f64 v[48:49], |v[14:15]|, v12
	v_mul_f64_e32 v[46:47], v[46:47], v[46:47]
	s_delay_alu instid0(VALU_DEP_1) | instskip(NEXT) | instid1(VALU_DEP_1)
	v_fmac_f64_e32 v[46:47], v[48:49], v[48:49]
	v_rsq_f64_e32 v[48:49], v[46:47]
	v_cmp_eq_f64_e32 vcc_lo, 0, v[46:47]
	s_delay_alu instid0(TRANS32_DEP_1) | instskip(SKIP_1) | instid1(VALU_DEP_1)
	v_mul_f64_e32 v[50:51], v[46:47], v[48:49]
	v_mul_f64_e32 v[48:49], 0.5, v[48:49]
	v_fma_f64 v[52:53], -v[48:49], v[50:51], 0.5
	s_delay_alu instid0(VALU_DEP_1) | instskip(SKIP_1) | instid1(VALU_DEP_2)
	v_fmac_f64_e32 v[50:51], v[50:51], v[52:53]
	v_fmac_f64_e32 v[48:49], v[48:49], v[52:53]
	v_fma_f64 v[52:53], -v[50:51], v[50:51], v[46:47]
	s_delay_alu instid0(VALU_DEP_1) | instskip(NEXT) | instid1(VALU_DEP_1)
	v_fmac_f64_e32 v[50:51], v[52:53], v[48:49]
	v_dual_cndmask_b32 v47, v51, v47 :: v_dual_cndmask_b32 v46, v50, v46
	v_cmp_o_f64_e32 vcc_lo, v[14:15], v[44:45]
	s_delay_alu instid0(VALU_DEP_2) | instskip(NEXT) | instid1(VALU_DEP_1)
	v_ldexp_f64 v[46:47], v[46:47], v4
	v_cndmask_b32_e32 v4, 0, v46, vcc_lo
	s_delay_alu instid0(VALU_DEP_2) | instskip(NEXT) | instid1(VALU_DEP_2)
	v_cndmask_b32_e32 v12, 0x7ff80000, v47, vcc_lo
	v_cndmask_b32_e64 v46, v4, 0, s7
	s_delay_alu instid0(VALU_DEP_2) | instskip(SKIP_1) | instid1(VALU_DEP_2)
	v_cndmask_b32_e64 v47, v12, 0x7ff00000, s7
	v_cmp_class_f64_e64 s7, v[8:9], 0x204
	v_frexp_mant_f64_e32 v[14:15], v[46:47]
	s_delay_alu instid0(VALU_DEP_1) | instskip(SKIP_1) | instid1(VALU_DEP_1)
	v_cmp_gt_f64_e32 vcc_lo, s[30:31], v[14:15]
	v_cndmask_b32_e64 v4, 0, 1, vcc_lo
	v_ldexp_f64 v[14:15], v[14:15], v4
	v_frexp_exp_i32_f64_e32 v4, v[46:47]
	s_delay_alu instid0(VALU_DEP_2) | instskip(SKIP_1) | instid1(VALU_DEP_3)
	v_add_f64_e32 v[44:45], 1.0, v[14:15]
	v_add_f64_e32 v[52:53], -1.0, v[14:15]
	v_subrev_co_ci_u32_e64 v4, null, 0, v4, vcc_lo
	s_delay_alu instid0(VALU_DEP_3) | instskip(SKIP_1) | instid1(VALU_DEP_1)
	v_rcp_f64_e32 v[48:49], v[44:45]
	v_add_f64_e32 v[54:55], -1.0, v[44:45]
	v_add_f64_e64 v[14:15], v[14:15], -v[54:55]
	s_delay_alu instid0(TRANS32_DEP_1) | instskip(NEXT) | instid1(VALU_DEP_1)
	v_fma_f64 v[50:51], -v[44:45], v[48:49], 1.0
	v_fmac_f64_e32 v[48:49], v[50:51], v[48:49]
	s_delay_alu instid0(VALU_DEP_1) | instskip(NEXT) | instid1(VALU_DEP_1)
	v_fma_f64 v[50:51], -v[44:45], v[48:49], 1.0
	v_fmac_f64_e32 v[48:49], v[50:51], v[48:49]
	s_delay_alu instid0(VALU_DEP_1) | instskip(NEXT) | instid1(VALU_DEP_1)
	v_mul_f64_e32 v[50:51], v[52:53], v[48:49]
	v_mul_f64_e32 v[56:57], v[44:45], v[50:51]
	s_delay_alu instid0(VALU_DEP_1) | instskip(NEXT) | instid1(VALU_DEP_1)
	v_fma_f64 v[44:45], v[50:51], v[44:45], -v[56:57]
	v_fmac_f64_e32 v[44:45], v[50:51], v[14:15]
	s_delay_alu instid0(VALU_DEP_1) | instskip(NEXT) | instid1(VALU_DEP_1)
	v_add_f64_e32 v[14:15], v[56:57], v[44:45]
	v_add_f64_e64 v[54:55], v[52:53], -v[14:15]
	v_add_f64_e64 v[56:57], v[14:15], -v[56:57]
	s_delay_alu instid0(VALU_DEP_2) | instskip(NEXT) | instid1(VALU_DEP_2)
	v_add_f64_e64 v[52:53], v[52:53], -v[54:55]
	v_add_f64_e64 v[44:45], v[56:57], -v[44:45]
	s_delay_alu instid0(VALU_DEP_2) | instskip(SKIP_1) | instid1(VALU_DEP_2)
	v_add_f64_e64 v[14:15], v[52:53], -v[14:15]
	v_max_num_f64_e64 v[52:53], |v[6:7]|, |v[6:7]|
	v_add_f64_e32 v[14:15], v[44:45], v[14:15]
	v_max_num_f64_e64 v[44:45], |v[8:9]|, |v[8:9]|
	s_delay_alu instid0(VALU_DEP_2) | instskip(NEXT) | instid1(VALU_DEP_1)
	v_add_f64_e32 v[14:15], v[54:55], v[14:15]
	v_mul_f64_e32 v[14:15], v[48:49], v[14:15]
	s_delay_alu instid0(VALU_DEP_3) | instskip(SKIP_1) | instid1(VALU_DEP_3)
	v_max_num_f64_e32 v[48:49], v[52:53], v[44:45]
	v_min_num_f64_e32 v[44:45], v[52:53], v[44:45]
	v_add_f64_e32 v[52:53], v[50:51], v[14:15]
	s_delay_alu instid0(VALU_DEP_2) | instskip(NEXT) | instid1(VALU_DEP_2)
	v_div_scale_f64 v[54:55], null, v[48:49], v[48:49], v[44:45]
	v_mul_f64_e32 v[56:57], v[52:53], v[52:53]
	v_add_f64_e64 v[50:51], v[52:53], -v[50:51]
	s_delay_alu instid0(VALU_DEP_3) | instskip(NEXT) | instid1(VALU_DEP_2)
	v_rcp_f64_e32 v[58:59], v[54:55]
	v_fmamk_f64 v[60:61], v[56:57], 0x3fc3ab76bf559e2b, v[24:25]
	v_mul_f64_e32 v[62:63], v[52:53], v[56:57]
	s_delay_alu instid0(VALU_DEP_3) | instskip(NEXT) | instid1(VALU_DEP_3)
	v_add_f64_e64 v[14:15], v[14:15], -v[50:51]
	v_fmaak_f64 v[60:61], v[56:57], v[60:61], 0x3fc7474dd7f4df2e
	s_delay_alu instid0(TRANS32_DEP_1) | instskip(NEXT) | instid1(VALU_DEP_2)
	v_fma_f64 v[64:65], -v[54:55], v[58:59], 1.0
	v_fmaak_f64 v[60:61], v[56:57], v[60:61], 0x3fcc71c016291751
	s_delay_alu instid0(VALU_DEP_1) | instskip(NEXT) | instid1(VALU_DEP_1)
	v_fmaak_f64 v[60:61], v[56:57], v[60:61], 0x3fd249249b27acf1
	v_fmaak_f64 v[60:61], v[56:57], v[60:61], 0x3fd99999998ef7b6
	v_ldexp_f64 v[14:15], v[14:15], 1
	s_delay_alu instid0(VALU_DEP_2) | instskip(SKIP_2) | instid1(VALU_DEP_3)
	v_fmaak_f64 v[56:57], v[56:57], v[60:61], 0x3fe5555555555780
	v_ldexp_f64 v[60:61], v[52:53], 1
	v_fmac_f64_e32 v[58:59], v[58:59], v[64:65]
	v_mul_f64_e32 v[56:57], v[62:63], v[56:57]
	v_cvt_f64_i32_e32 v[62:63], v4
	v_ashrrev_i32_e32 v4, 31, v7
	s_delay_alu instid0(VALU_DEP_1) | instskip(SKIP_4) | instid1(VALU_DEP_3)
	v_and_b32_e32 v16, 0x54442d18, v4
	v_and_b32_e32 v4, 0x400921fb, v4
	v_fma_f64 v[64:65], -v[54:55], v[58:59], 1.0
	v_add_f64_e32 v[52:53], v[60:61], v[56:57]
	v_mul_f64_e32 v[66:67], 0x3fe62e42fefa39ef, v[62:63]
	v_fmac_f64_e32 v[58:59], v[58:59], v[64:65]
	s_delay_alu instid0(VALU_DEP_3) | instskip(SKIP_1) | instid1(VALU_DEP_4)
	v_add_f64_e64 v[50:51], v[52:53], -v[60:61]
	v_div_scale_f64 v[60:61], vcc_lo, v[44:45], v[48:49], v[44:45]
	v_fma_f64 v[64:65], v[62:63], s[34:35], -v[66:67]
	s_delay_alu instid0(VALU_DEP_3) | instskip(NEXT) | instid1(VALU_DEP_3)
	v_add_f64_e64 v[50:51], v[56:57], -v[50:51]
	v_mul_f64_e32 v[56:57], v[60:61], v[58:59]
	s_delay_alu instid0(VALU_DEP_3) | instskip(NEXT) | instid1(VALU_DEP_3)
	v_fmac_f64_e32 v[64:65], 0x3c7abc9e3b39803f, v[62:63]
	v_add_f64_e32 v[14:15], v[14:15], v[50:51]
	s_delay_alu instid0(VALU_DEP_3) | instskip(NEXT) | instid1(VALU_DEP_3)
	v_fma_f64 v[50:51], -v[54:55], v[56:57], v[60:61]
	v_add_f64_e32 v[54:55], v[66:67], v[64:65]
	s_delay_alu instid0(VALU_DEP_3) | instskip(NEXT) | instid1(VALU_DEP_3)
	v_add_f64_e32 v[60:61], v[52:53], v[14:15]
	v_div_fmas_f64 v[50:51], v[50:51], v[58:59], v[56:57]
	v_cmp_class_f64_e64 vcc_lo, v[46:47], 0x204
	s_delay_alu instid0(VALU_DEP_4) | instskip(NEXT) | instid1(VALU_DEP_4)
	v_add_f64_e64 v[58:59], v[54:55], -v[66:67]
	v_add_f64_e32 v[56:57], v[54:55], v[60:61]
	s_delay_alu instid0(VALU_DEP_4) | instskip(SKIP_1) | instid1(VALU_DEP_4)
	v_div_fixup_f64 v[44:45], v[50:51], v[48:49], v[44:45]
	v_add_f64_e64 v[52:53], v[60:61], -v[52:53]
	v_add_f64_e64 v[58:59], v[64:65], -v[58:59]
	s_delay_alu instid0(VALU_DEP_4) | instskip(NEXT) | instid1(VALU_DEP_4)
	v_add_f64_e64 v[48:49], v[56:57], -v[54:55]
	v_mul_f64_e32 v[50:51], v[44:45], v[44:45]
	s_delay_alu instid0(VALU_DEP_4) | instskip(NEXT) | instid1(VALU_DEP_3)
	v_add_f64_e64 v[14:15], v[14:15], -v[52:53]
	v_add_f64_e64 v[62:63], v[56:57], -v[48:49]
	s_delay_alu instid0(VALU_DEP_3) | instskip(SKIP_1) | instid1(VALU_DEP_4)
	v_fmamk_f64 v[66:67], v[50:51], 0x3eeba404b5e68a13, v[26:27]
	v_add_f64_e64 v[48:49], v[60:61], -v[48:49]
	v_add_f64_e32 v[60:61], v[58:59], v[14:15]
	s_delay_alu instid0(VALU_DEP_3) | instskip(SKIP_1) | instid1(VALU_DEP_2)
	v_fmaak_f64 v[66:67], v[50:51], v[66:67], 0x3f4b2bb069efb384
	v_add_f64_e64 v[52:53], v[54:55], -v[62:63]
	v_fmaak_f64 v[54:55], v[50:51], v[66:67], 0xbf67952daf56de9b
	s_delay_alu instid0(VALU_DEP_1) | instskip(NEXT) | instid1(VALU_DEP_1)
	v_fmaak_f64 v[54:55], v[50:51], v[54:55], 0x3f7d6d43a595c56f
	v_fmaak_f64 v[54:55], v[50:51], v[54:55], 0xbf8c6ea4a57d9582
	s_delay_alu instid0(VALU_DEP_1) | instskip(SKIP_1) | instid1(VALU_DEP_2)
	v_fmaak_f64 v[54:55], v[50:51], v[54:55], 0x3f967e295f08b19f
	v_add_f64_e32 v[48:49], v[48:49], v[52:53]
	v_fmaak_f64 v[52:53], v[50:51], v[54:55], 0xbf9e9ae6fc27006a
	v_add_f64_e64 v[54:55], v[60:61], -v[58:59]
	s_delay_alu instid0(VALU_DEP_2) | instskip(NEXT) | instid1(VALU_DEP_1)
	v_fmaak_f64 v[52:53], v[50:51], v[52:53], 0x3fa2c15b5711927a
	v_fmaak_f64 v[52:53], v[50:51], v[52:53], 0xbfa59976e82d3ff0
	s_delay_alu instid0(VALU_DEP_1) | instskip(NEXT) | instid1(VALU_DEP_1)
	v_fmaak_f64 v[52:53], v[50:51], v[52:53], 0x3fa82d5d6ef28734
	v_fmaak_f64 v[52:53], v[50:51], v[52:53], 0xbfaae5ce6a214619
	v_add_f64_e32 v[48:49], v[60:61], v[48:49]
	v_add_f64_e64 v[60:61], v[60:61], -v[54:55]
	v_add_f64_e64 v[14:15], v[14:15], -v[54:55]
	s_delay_alu instid0(VALU_DEP_4) | instskip(NEXT) | instid1(VALU_DEP_1)
	v_fmaak_f64 v[52:53], v[50:51], v[52:53], 0x3fae1bb48427b883
	v_fmaak_f64 v[52:53], v[50:51], v[52:53], 0xbfb110e48b207f05
	s_delay_alu instid0(VALU_DEP_1) | instskip(NEXT) | instid1(VALU_DEP_1)
	v_fmaak_f64 v[52:53], v[50:51], v[52:53], 0x3fb3b13657b87036
	v_fmaak_f64 v[52:53], v[50:51], v[52:53], 0xbfb745d119378e4f
	s_delay_alu instid0(VALU_DEP_1) | instskip(SKIP_1) | instid1(VALU_DEP_2)
	v_fmaak_f64 v[52:53], v[50:51], v[52:53], 0x3fbc71c717e1913c
	v_add_f64_e32 v[62:63], v[56:57], v[48:49]
	v_fmaak_f64 v[52:53], v[50:51], v[52:53], 0xbfc2492492376b7d
	s_delay_alu instid0(VALU_DEP_1) | instskip(NEXT) | instid1(VALU_DEP_1)
	v_fmaak_f64 v[52:53], v[50:51], v[52:53], 0x3fc99999999952cc
	v_fmaak_f64 v[52:53], v[50:51], v[52:53], 0xbfd5555555555523
	s_delay_alu instid0(VALU_DEP_1) | instskip(SKIP_2) | instid1(VALU_DEP_3)
	v_mul_f64_e32 v[50:51], v[50:51], v[52:53]
	v_add_f64_e64 v[52:53], v[58:59], -v[60:61]
	v_add_f64_e64 v[54:55], v[62:63], -v[56:57]
	v_fmac_f64_e32 v[44:45], v[44:45], v[50:51]
	s_delay_alu instid0(VALU_DEP_3) | instskip(NEXT) | instid1(VALU_DEP_3)
	v_add_f64_e32 v[14:15], v[14:15], v[52:53]
	v_add_f64_e64 v[48:49], v[48:49], -v[54:55]
	s_delay_alu instid0(VALU_DEP_3) | instskip(NEXT) | instid1(VALU_DEP_1)
	v_add_f64_e64 v[50:51], -v[44:45], s[40:41]
	v_dual_add_f64 v[14:15], v[14:15], v[48:49] :: v_dual_cndmask_b32 v45, v45, v51, s6
	s_delay_alu instid0(VALU_DEP_2) | instskip(SKIP_1) | instid1(VALU_DEP_3)
	v_cndmask_b32_e64 v44, v44, v50, s6
	v_cmp_gt_i32_e64 s6, 0, v7
	v_add_f64_e32 v[14:15], v[62:63], v[14:15]
	s_delay_alu instid0(VALU_DEP_3) | instskip(NEXT) | instid1(VALU_DEP_3)
	v_add_f64_e64 v[48:49], -v[44:45], s[42:43]
	v_cndmask_b32_e64 v12, 0x54442d18, v68, s6
	v_cndmask_b32_e64 v6, 0x3fe921fb, v69, s6
	s_delay_alu instid0(VALU_DEP_1) | instskip(SKIP_4) | instid1(VALU_DEP_2)
	v_bfi_b32 v6, 0x7fffffff, v6, v9
	v_dual_cndmask_b32 v15, v15, v47 :: v_dual_cndmask_b32 v14, v14, v46
	v_cmp_eq_f64_e32 vcc_lo, 0, v[8:9]
	v_dual_cndmask_b32 v21, v44, v48, s6 :: v_dual_cndmask_b32 v7, v45, v49, s6
	v_cmp_nge_f64_e64 s6, 0, v[46:47]
	v_dual_add_f64 v[14:15], 1.0, v[14:15] :: v_dual_cndmask_b32 v16, v21, v16, vcc_lo
	s_delay_alu instid0(VALU_DEP_3) | instskip(SKIP_1) | instid1(VALU_DEP_3)
	v_cndmask_b32_e32 v4, v7, v4, vcc_lo
	v_cmp_ngt_f64_e32 vcc_lo, 0, v[46:47]
	v_cndmask_b32_e64 v14, 0, v14, s6
	v_cmp_neq_f64_e64 s6, 0, v[46:47]
	v_cndmask_b32_e32 v7, 0x7ff80000, v15, vcc_lo
	s_and_b32 vcc_lo, s7, s9
	v_cndmask_b32_e32 v45, v4, v6, vcc_lo
	v_cndmask_b32_e32 v44, v16, v12, vcc_lo
	s_delay_alu instid0(VALU_DEP_3)
	v_cndmask_b32_e64 v15, 0xfff00000, v7, s6
.LBB197_146:                            ;   in Loop: Header=BB197_4 Depth=1
	s_or_b32 exec_lo, exec_lo, s8
	s_and_not1_saveexec_b32 s6, s17
	s_cbranch_execz .LBB197_116
.LBB197_147:                            ;   in Loop: Header=BB197_4 Depth=1
	v_cmp_ngt_f64_e64 s7, 0x20000000, |v[6:7]|
	v_cmp_ngt_f64_e64 s8, 0x20000000, |v[8:9]|
                                        ; implicit-def: $vgpr46_vgpr47
	s_or_b32 s7, s8, s7
	s_delay_alu instid0(SALU_CYCLE_1) | instskip(NEXT) | instid1(SALU_CYCLE_1)
	s_and_saveexec_b32 s8, s7
	s_xor_b32 s7, exec_lo, s8
	s_cbranch_execz .LBB197_149
; %bb.148:                              ;   in Loop: Header=BB197_4 Depth=1
	v_mul_f64_e32 v[46:47], v[6:7], v[6:7]
	s_delay_alu instid0(VALU_DEP_1)
	v_fmac_f64_e32 v[46:47], v[8:9], v[8:9]
.LBB197_149:                            ;   in Loop: Header=BB197_4 Depth=1
	s_and_not1_saveexec_b32 s7, s7
	s_cbranch_execz .LBB197_151
; %bb.150:                              ;   in Loop: Header=BB197_4 Depth=1
	v_mul_f64_e32 v[6:7], 4.0, v[6:7]
	v_mul_f64_e32 v[14:15], 4.0, v[8:9]
	s_delay_alu instid0(VALU_DEP_2) | instskip(NEXT) | instid1(VALU_DEP_1)
	v_mul_f64_e32 v[6:7], v[6:7], v[6:7]
	v_fmac_f64_e32 v[6:7], v[14:15], v[14:15]
	s_delay_alu instid0(VALU_DEP_1)
	v_ldexp_f64 v[46:47], v[6:7], -4
.LBB197_151:                            ;   in Loop: Header=BB197_4 Depth=1
	s_or_b32 exec_lo, exec_lo, s7
	s_delay_alu instid0(VALU_DEP_1) | instskip(NEXT) | instid1(VALU_DEP_1)
	v_frexp_mant_f64_e32 v[6:7], v[46:47]
	v_cmp_gt_f64_e32 vcc_lo, s[30:31], v[6:7]
	v_cndmask_b32_e64 v4, 0, 1, vcc_lo
	s_delay_alu instid0(VALU_DEP_1) | instskip(SKIP_1) | instid1(VALU_DEP_2)
	v_ldexp_f64 v[6:7], v[6:7], v4
	v_frexp_exp_i32_f64_e32 v4, v[46:47]
	v_add_f64_e32 v[14:15], 1.0, v[6:7]
	v_add_f64_e32 v[50:51], -1.0, v[6:7]
	s_delay_alu instid0(VALU_DEP_3) | instskip(SKIP_1) | instid1(VALU_DEP_4)
	v_subrev_co_ci_u32_e64 v4, null, 0, v4, vcc_lo
	v_cmp_class_f64_e64 vcc_lo, v[46:47], 0x204
	v_rcp_f64_e32 v[44:45], v[14:15]
	v_add_f64_e32 v[52:53], -1.0, v[14:15]
	s_delay_alu instid0(VALU_DEP_1) | instskip(NEXT) | instid1(TRANS32_DEP_1)
	v_add_f64_e64 v[6:7], v[6:7], -v[52:53]
	v_fma_f64 v[48:49], -v[14:15], v[44:45], 1.0
	s_delay_alu instid0(VALU_DEP_1) | instskip(NEXT) | instid1(VALU_DEP_1)
	v_fmac_f64_e32 v[44:45], v[48:49], v[44:45]
	v_fma_f64 v[48:49], -v[14:15], v[44:45], 1.0
	s_delay_alu instid0(VALU_DEP_1) | instskip(NEXT) | instid1(VALU_DEP_1)
	v_fmac_f64_e32 v[44:45], v[48:49], v[44:45]
	v_mul_f64_e32 v[48:49], v[50:51], v[44:45]
	s_delay_alu instid0(VALU_DEP_1) | instskip(NEXT) | instid1(VALU_DEP_1)
	v_mul_f64_e32 v[54:55], v[14:15], v[48:49]
	v_fma_f64 v[14:15], v[48:49], v[14:15], -v[54:55]
	s_delay_alu instid0(VALU_DEP_1) | instskip(NEXT) | instid1(VALU_DEP_1)
	v_fmac_f64_e32 v[14:15], v[48:49], v[6:7]
	v_add_f64_e32 v[6:7], v[54:55], v[14:15]
	s_delay_alu instid0(VALU_DEP_1) | instskip(SKIP_1) | instid1(VALU_DEP_2)
	v_add_f64_e64 v[52:53], v[50:51], -v[6:7]
	v_add_f64_e64 v[54:55], v[6:7], -v[54:55]
	;; [unrolled: 1-line block ×3, first 2 shown]
	s_delay_alu instid0(VALU_DEP_2) | instskip(NEXT) | instid1(VALU_DEP_2)
	v_add_f64_e64 v[14:15], v[54:55], -v[14:15]
	v_add_f64_e64 v[6:7], v[50:51], -v[6:7]
	s_delay_alu instid0(VALU_DEP_1) | instskip(NEXT) | instid1(VALU_DEP_1)
	v_add_f64_e32 v[6:7], v[14:15], v[6:7]
	v_add_f64_e32 v[6:7], v[52:53], v[6:7]
	s_delay_alu instid0(VALU_DEP_1) | instskip(NEXT) | instid1(VALU_DEP_1)
	v_mul_f64_e32 v[6:7], v[44:45], v[6:7]
	v_add_f64_e32 v[14:15], v[48:49], v[6:7]
	s_delay_alu instid0(VALU_DEP_1) | instskip(NEXT) | instid1(VALU_DEP_1)
	v_mul_f64_e32 v[44:45], v[14:15], v[14:15]
	v_fmamk_f64 v[50:51], v[44:45], 0x3fc3ab76bf559e2b, v[24:25]
	v_mul_f64_e32 v[52:53], v[14:15], v[44:45]
	s_delay_alu instid0(VALU_DEP_2) | instskip(NEXT) | instid1(VALU_DEP_1)
	v_fmaak_f64 v[50:51], v[44:45], v[50:51], 0x3fc7474dd7f4df2e
	v_fmaak_f64 v[50:51], v[44:45], v[50:51], 0x3fcc71c016291751
	s_delay_alu instid0(VALU_DEP_1) | instskip(NEXT) | instid1(VALU_DEP_1)
	v_fmaak_f64 v[50:51], v[44:45], v[50:51], 0x3fd249249b27acf1
	v_fmaak_f64 v[50:51], v[44:45], v[50:51], 0x3fd99999998ef7b6
	s_delay_alu instid0(VALU_DEP_1) | instskip(SKIP_2) | instid1(VALU_DEP_3)
	v_fmaak_f64 v[44:45], v[44:45], v[50:51], 0x3fe5555555555780
	v_ldexp_f64 v[50:51], v[14:15], 1
	v_add_f64_e64 v[14:15], v[14:15], -v[48:49]
	v_mul_f64_e32 v[44:45], v[52:53], v[44:45]
	v_cvt_f64_i32_e32 v[52:53], v4
	s_delay_alu instid0(VALU_DEP_3) | instskip(NEXT) | instid1(VALU_DEP_3)
	v_add_f64_e64 v[6:7], v[6:7], -v[14:15]
	v_add_f64_e32 v[48:49], v[50:51], v[44:45]
	s_delay_alu instid0(VALU_DEP_3) | instskip(NEXT) | instid1(VALU_DEP_3)
	v_mul_f64_e32 v[54:55], 0x3fe62e42fefa39ef, v[52:53]
	v_ldexp_f64 v[6:7], v[6:7], 1
	s_delay_alu instid0(VALU_DEP_3) | instskip(NEXT) | instid1(VALU_DEP_3)
	v_add_f64_e64 v[14:15], v[48:49], -v[50:51]
	v_fma_f64 v[50:51], v[52:53], s[34:35], -v[54:55]
	s_delay_alu instid0(VALU_DEP_2) | instskip(NEXT) | instid1(VALU_DEP_2)
	v_add_f64_e64 v[14:15], v[44:45], -v[14:15]
	v_fmac_f64_e32 v[50:51], 0x3c7abc9e3b39803f, v[52:53]
	s_delay_alu instid0(VALU_DEP_2) | instskip(NEXT) | instid1(VALU_DEP_2)
	v_add_f64_e32 v[6:7], v[6:7], v[14:15]
	v_add_f64_e32 v[14:15], v[54:55], v[50:51]
	s_delay_alu instid0(VALU_DEP_2) | instskip(NEXT) | instid1(VALU_DEP_2)
	v_add_f64_e32 v[44:45], v[48:49], v[6:7]
	v_add_f64_e64 v[54:55], v[14:15], -v[54:55]
	s_delay_alu instid0(VALU_DEP_2) | instskip(SKIP_1) | instid1(VALU_DEP_3)
	v_add_f64_e32 v[52:53], v[14:15], v[44:45]
	v_add_f64_e64 v[48:49], v[44:45], -v[48:49]
	v_add_f64_e64 v[50:51], v[50:51], -v[54:55]
	s_delay_alu instid0(VALU_DEP_3) | instskip(NEXT) | instid1(VALU_DEP_3)
	v_add_f64_e64 v[56:57], v[52:53], -v[14:15]
	v_add_f64_e64 v[6:7], v[6:7], -v[48:49]
	s_delay_alu instid0(VALU_DEP_2) | instskip(SKIP_1) | instid1(VALU_DEP_3)
	v_add_f64_e64 v[58:59], v[52:53], -v[56:57]
	v_add_f64_e64 v[44:45], v[44:45], -v[56:57]
	v_add_f64_e32 v[48:49], v[50:51], v[6:7]
	s_delay_alu instid0(VALU_DEP_3) | instskip(NEXT) | instid1(VALU_DEP_1)
	v_add_f64_e64 v[14:15], v[14:15], -v[58:59]
	v_add_f64_e32 v[14:15], v[44:45], v[14:15]
	s_delay_alu instid0(VALU_DEP_3) | instskip(NEXT) | instid1(VALU_DEP_2)
	v_add_f64_e64 v[44:45], v[48:49], -v[50:51]
	v_add_f64_e32 v[14:15], v[48:49], v[14:15]
	s_delay_alu instid0(VALU_DEP_2) | instskip(SKIP_1) | instid1(VALU_DEP_3)
	v_add_f64_e64 v[48:49], v[48:49], -v[44:45]
	v_add_f64_e64 v[6:7], v[6:7], -v[44:45]
	v_add_f64_e32 v[54:55], v[52:53], v[14:15]
	s_delay_alu instid0(VALU_DEP_3) | instskip(NEXT) | instid1(VALU_DEP_2)
	v_add_f64_e64 v[44:45], v[50:51], -v[48:49]
	v_add_f64_e64 v[48:49], v[54:55], -v[52:53]
	s_delay_alu instid0(VALU_DEP_2) | instskip(SKIP_1) | instid1(VALU_DEP_3)
	v_add_f64_e32 v[6:7], v[6:7], v[44:45]
	v_mov_b64_e32 v[44:45], 0x7ff8000000000000
	v_add_f64_e64 v[14:15], v[14:15], -v[48:49]
	s_delay_alu instid0(VALU_DEP_1) | instskip(NEXT) | instid1(VALU_DEP_1)
	v_add_f64_e32 v[6:7], v[6:7], v[14:15]
	v_add_f64_e32 v[6:7], v[54:55], v[6:7]
	s_delay_alu instid0(VALU_DEP_1) | instskip(SKIP_1) | instid1(VALU_DEP_2)
	v_dual_cndmask_b32 v4, v6, v46, vcc_lo :: v_dual_cndmask_b32 v6, v7, v47, vcc_lo
	v_cmp_ngt_f64_e32 vcc_lo, 0, v[46:47]
	v_cndmask_b32_e32 v6, 0x7ff80000, v6, vcc_lo
	v_cmp_nge_f64_e32 vcc_lo, 0, v[46:47]
	s_delay_alu instid0(VALU_DEP_4) | instskip(SKIP_1) | instid1(VALU_DEP_4)
	v_cndmask_b32_e32 v14, 0, v4, vcc_lo
	v_cmp_neq_f64_e32 vcc_lo, 0, v[46:47]
	v_cndmask_b32_e32 v15, 0xfff00000, v6, vcc_lo
	s_or_b32 exec_lo, exec_lo, s6
	s_and_saveexec_b32 s6, s2
	s_delay_alu instid0(SALU_CYCLE_1)
	s_xor_b32 s2, exec_lo, s6
	s_cbranch_execz .LBB197_117
.LBB197_152:                            ;   in Loop: Header=BB197_4 Depth=1
	v_bfi_b32 v39, 0x7fffffff, v39, v13
	s_delay_alu instid0(VALU_DEP_1) | instskip(SKIP_1) | instid1(VALU_DEP_2)
	v_fma_f64 v[6:7], 0, v[38:39], v[36:37]
	v_fmac_f64_e32 v[38:39], 0x80000000, v[36:37]
	v_mul_f64_e32 v[36:37], 0x3ff71547652b82fe, v[6:7]
	s_delay_alu instid0(VALU_DEP_2)
	v_mul_f64_e32 v[38:39], 0x3ff71547652b82fe, v[38:39]
	global_store_b128 v[28:29], v[36:39], off
	s_wait_xcnt 0x0
	s_or_b32 exec_lo, exec_lo, s2
	s_and_saveexec_b32 s2, s3
	s_cbranch_execz .LBB197_118
.LBB197_153:                            ;   in Loop: Header=BB197_4 Depth=1
	v_bfi_b32 v41, 0x7fffffff, v41, v5
	s_delay_alu instid0(VALU_DEP_1) | instskip(SKIP_1) | instid1(VALU_DEP_2)
	v_fma_f64 v[4:5], 0, v[40:41], v[10:11]
	v_fmac_f64_e32 v[40:41], 0x80000000, v[10:11]
	v_mul_f64_e32 v[4:5], 0x3ff71547652b82fe, v[4:5]
	s_delay_alu instid0(VALU_DEP_2)
	v_mul_f64_e32 v[6:7], 0x3ff71547652b82fe, v[40:41]
	global_store_b128 v[30:31], v[4:7], off
	s_wait_xcnt 0x0
	s_or_b32 exec_lo, exec_lo, s2
	s_and_saveexec_b32 s2, s4
	s_cbranch_execz .LBB197_119
.LBB197_154:                            ;   in Loop: Header=BB197_4 Depth=1
	v_bfi_b32 v43, 0x7fffffff, v43, v17
	s_delay_alu instid0(VALU_DEP_1) | instskip(SKIP_1) | instid1(VALU_DEP_2)
	v_fma_f64 v[4:5], 0, v[42:43], v[2:3]
	v_fmac_f64_e32 v[42:43], 0x80000000, v[2:3]
	v_mul_f64_e32 v[2:3], 0x3ff71547652b82fe, v[4:5]
	s_delay_alu instid0(VALU_DEP_2)
	v_mul_f64_e32 v[4:5], 0x3ff71547652b82fe, v[42:43]
	global_store_b128 v[32:33], v[2:5], off
	s_wait_xcnt 0x0
	s_or_b32 exec_lo, exec_lo, s2
	s_and_saveexec_b32 s2, s5
	s_cbranch_execz .LBB197_3
.LBB197_155:                            ;   in Loop: Header=BB197_4 Depth=1
	v_bfi_b32 v45, 0x7fffffff, v45, v9
	s_delay_alu instid0(VALU_DEP_1) | instskip(SKIP_1) | instid1(VALU_DEP_2)
	v_fma_f64 v[2:3], 0, v[44:45], v[14:15]
	v_fmac_f64_e32 v[44:45], 0x80000000, v[14:15]
	v_mul_f64_e32 v[2:3], 0x3ff71547652b82fe, v[2:3]
	s_delay_alu instid0(VALU_DEP_2)
	v_mul_f64_e32 v[4:5], 0x3ff71547652b82fe, v[44:45]
	global_store_b128 v[34:35], v[2:5], off
	s_branch .LBB197_3
.LBB197_156:
	s_cbranch_execz .LBB197_158
	s_branch .LBB197_297
.LBB197_157:
.LBB197_158:
	v_min_i64 v[18:19], 0x10000, s[20:21]
	v_dual_mov_b32 v20, 0 :: v_dual_lshlrev_b32 v2, 2, v0
	s_mov_b32 s2, exec_lo
	s_delay_alu instid0(VALU_DEP_1) | instskip(NEXT) | instid1(VALU_DEP_1)
	v_mov_b32_e32 v3, v20
	v_cmpx_lt_i64_e64 v[2:3], v[18:19]
	s_cbranch_execz .LBB197_297
; %bb.159:
	s_load_b32 s0, s[0:1], 0xd3c
	v_mov_b64_e32 v[22:23], 0x3fc385386b47b09a
	v_mov_b64_e32 v[24:25], 0xbf23e260bd3237f4
	v_dual_mov_b32 v1, v20 :: v_dual_mov_b32 v60, 0x7f3321d2
	v_mov_b32_e32 v61, 0x4002d97c
	s_mov_b32 s37, 0
	s_mov_b64 s[12:13], 0x7fd1ccf385ebc8a0
	s_mov_b64 s[14:15], 0x358dee7a4ad4b81f
	;; [unrolled: 1-line block ×10, first 2 shown]
	s_mov_b32 s11, s37
                                        ; implicit-def: $vgpr2_vgpr3
                                        ; implicit-def: $vgpr2_vgpr3
                                        ; implicit-def: $vgpr2_vgpr3
                                        ; implicit-def: $vgpr2_vgpr3
                                        ; implicit-def: $vgpr2_vgpr3
                                        ; implicit-def: $vgpr2_vgpr3
                                        ; implicit-def: $vgpr2_vgpr3
                                        ; implicit-def: $vgpr2_vgpr3
                                        ; implicit-def: $vgpr2_vgpr3
                                        ; implicit-def: $vgpr2_vgpr3
                                        ; implicit-def: $vgpr2_vgpr3
                                        ; implicit-def: $vgpr2_vgpr3
                                        ; implicit-def: $vgpr2_vgpr3
                                        ; implicit-def: $vgpr2_vgpr3
                                        ; implicit-def: $vgpr2_vgpr3
                                        ; implicit-def: $vgpr2_vgpr3
                                        ; implicit-def: $vgpr2_vgpr3
                                        ; implicit-def: $vgpr2_vgpr3
                                        ; implicit-def: $vgpr2_vgpr3
                                        ; implicit-def: $vgpr2_vgpr3
                                        ; implicit-def: $vgpr2_vgpr3
                                        ; implicit-def: $vgpr2_vgpr3
                                        ; implicit-def: $vgpr2_vgpr3
	s_wait_kmcnt 0x0
	s_and_b32 s36, s0, 0xffff
	s_branch .LBB197_162
.LBB197_160:                            ;   in Loop: Header=BB197_162 Depth=1
	s_or_b32 exec_lo, exec_lo, s1
	s_delay_alu instid0(VALU_DEP_1) | instskip(NEXT) | instid1(VALU_DEP_1)
	v_frexp_mant_f64_e32 v[2:3], v[38:39]
	v_cmp_gt_f64_e32 vcc_lo, s[20:21], v[2:3]
	v_cndmask_b32_e64 v4, 0, 1, vcc_lo
	s_delay_alu instid0(VALU_DEP_1) | instskip(SKIP_1) | instid1(VALU_DEP_2)
	v_ldexp_f64 v[2:3], v[2:3], v4
	v_frexp_exp_i32_f64_e32 v4, v[38:39]
	v_add_f64_e32 v[14:15], 1.0, v[2:3]
	v_add_f64_e32 v[42:43], -1.0, v[2:3]
	s_delay_alu instid0(VALU_DEP_3) | instskip(SKIP_1) | instid1(VALU_DEP_4)
	v_subrev_co_ci_u32_e64 v4, null, 0, v4, vcc_lo
	v_cmp_class_f64_e64 vcc_lo, v[38:39], 0x204
	v_rcp_f64_e32 v[36:37], v[14:15]
	v_add_f64_e32 v[44:45], -1.0, v[14:15]
	s_delay_alu instid0(VALU_DEP_1) | instskip(NEXT) | instid1(TRANS32_DEP_1)
	v_add_f64_e64 v[2:3], v[2:3], -v[44:45]
	v_fma_f64 v[40:41], -v[14:15], v[36:37], 1.0
	s_delay_alu instid0(VALU_DEP_1) | instskip(NEXT) | instid1(VALU_DEP_1)
	v_fmac_f64_e32 v[36:37], v[40:41], v[36:37]
	v_fma_f64 v[40:41], -v[14:15], v[36:37], 1.0
	s_delay_alu instid0(VALU_DEP_1) | instskip(NEXT) | instid1(VALU_DEP_1)
	v_fmac_f64_e32 v[36:37], v[40:41], v[36:37]
	v_mul_f64_e32 v[40:41], v[42:43], v[36:37]
	s_delay_alu instid0(VALU_DEP_1) | instskip(NEXT) | instid1(VALU_DEP_1)
	v_mul_f64_e32 v[46:47], v[14:15], v[40:41]
	v_fma_f64 v[14:15], v[40:41], v[14:15], -v[46:47]
	s_delay_alu instid0(VALU_DEP_1) | instskip(NEXT) | instid1(VALU_DEP_1)
	v_fmac_f64_e32 v[14:15], v[40:41], v[2:3]
	v_add_f64_e32 v[2:3], v[46:47], v[14:15]
	s_delay_alu instid0(VALU_DEP_1) | instskip(SKIP_1) | instid1(VALU_DEP_2)
	v_add_f64_e64 v[44:45], v[42:43], -v[2:3]
	v_add_f64_e64 v[46:47], v[2:3], -v[46:47]
	;; [unrolled: 1-line block ×3, first 2 shown]
	s_delay_alu instid0(VALU_DEP_2) | instskip(NEXT) | instid1(VALU_DEP_2)
	v_add_f64_e64 v[14:15], v[46:47], -v[14:15]
	v_add_f64_e64 v[2:3], v[42:43], -v[2:3]
	s_delay_alu instid0(VALU_DEP_1) | instskip(NEXT) | instid1(VALU_DEP_1)
	v_add_f64_e32 v[2:3], v[14:15], v[2:3]
	v_add_f64_e32 v[2:3], v[44:45], v[2:3]
	s_delay_alu instid0(VALU_DEP_1) | instskip(NEXT) | instid1(VALU_DEP_1)
	v_mul_f64_e32 v[2:3], v[36:37], v[2:3]
	v_add_f64_e32 v[14:15], v[40:41], v[2:3]
	s_delay_alu instid0(VALU_DEP_1) | instskip(NEXT) | instid1(VALU_DEP_1)
	v_mul_f64_e32 v[36:37], v[14:15], v[14:15]
	v_fmamk_f64 v[42:43], v[36:37], 0x3fc3ab76bf559e2b, v[22:23]
	v_mul_f64_e32 v[44:45], v[14:15], v[36:37]
	s_delay_alu instid0(VALU_DEP_2) | instskip(NEXT) | instid1(VALU_DEP_1)
	v_fmaak_f64 v[42:43], v[36:37], v[42:43], 0x3fc7474dd7f4df2e
	v_fmaak_f64 v[42:43], v[36:37], v[42:43], 0x3fcc71c016291751
	s_delay_alu instid0(VALU_DEP_1) | instskip(NEXT) | instid1(VALU_DEP_1)
	v_fmaak_f64 v[42:43], v[36:37], v[42:43], 0x3fd249249b27acf1
	v_fmaak_f64 v[42:43], v[36:37], v[42:43], 0x3fd99999998ef7b6
	s_delay_alu instid0(VALU_DEP_1) | instskip(SKIP_2) | instid1(VALU_DEP_3)
	v_fmaak_f64 v[36:37], v[36:37], v[42:43], 0x3fe5555555555780
	v_ldexp_f64 v[42:43], v[14:15], 1
	v_add_f64_e64 v[14:15], v[14:15], -v[40:41]
	v_mul_f64_e32 v[36:37], v[44:45], v[36:37]
	v_cvt_f64_i32_e32 v[44:45], v4
	s_delay_alu instid0(VALU_DEP_3) | instskip(NEXT) | instid1(VALU_DEP_3)
	v_add_f64_e64 v[2:3], v[2:3], -v[14:15]
	v_add_f64_e32 v[40:41], v[42:43], v[36:37]
	s_delay_alu instid0(VALU_DEP_3) | instskip(NEXT) | instid1(VALU_DEP_3)
	v_mul_f64_e32 v[46:47], 0x3fe62e42fefa39ef, v[44:45]
	v_ldexp_f64 v[2:3], v[2:3], 1
	s_delay_alu instid0(VALU_DEP_3) | instskip(NEXT) | instid1(VALU_DEP_3)
	v_add_f64_e64 v[14:15], v[40:41], -v[42:43]
	v_fma_f64 v[42:43], v[44:45], s[22:23], -v[46:47]
	s_delay_alu instid0(VALU_DEP_2) | instskip(NEXT) | instid1(VALU_DEP_2)
	v_add_f64_e64 v[14:15], v[36:37], -v[14:15]
	v_fmac_f64_e32 v[42:43], 0x3c7abc9e3b39803f, v[44:45]
	s_delay_alu instid0(VALU_DEP_2) | instskip(NEXT) | instid1(VALU_DEP_2)
	v_add_f64_e32 v[2:3], v[2:3], v[14:15]
	v_add_f64_e32 v[14:15], v[46:47], v[42:43]
	s_delay_alu instid0(VALU_DEP_2) | instskip(NEXT) | instid1(VALU_DEP_2)
	v_add_f64_e32 v[36:37], v[40:41], v[2:3]
	v_add_f64_e64 v[46:47], v[14:15], -v[46:47]
	s_delay_alu instid0(VALU_DEP_2) | instskip(SKIP_1) | instid1(VALU_DEP_3)
	v_add_f64_e32 v[44:45], v[14:15], v[36:37]
	v_add_f64_e64 v[40:41], v[36:37], -v[40:41]
	v_add_f64_e64 v[42:43], v[42:43], -v[46:47]
	s_delay_alu instid0(VALU_DEP_3) | instskip(NEXT) | instid1(VALU_DEP_3)
	v_add_f64_e64 v[48:49], v[44:45], -v[14:15]
	v_add_f64_e64 v[2:3], v[2:3], -v[40:41]
	s_delay_alu instid0(VALU_DEP_2) | instskip(SKIP_1) | instid1(VALU_DEP_3)
	v_add_f64_e64 v[50:51], v[44:45], -v[48:49]
	v_add_f64_e64 v[36:37], v[36:37], -v[48:49]
	v_add_f64_e32 v[40:41], v[42:43], v[2:3]
	s_delay_alu instid0(VALU_DEP_3) | instskip(NEXT) | instid1(VALU_DEP_1)
	v_add_f64_e64 v[14:15], v[14:15], -v[50:51]
	v_add_f64_e32 v[14:15], v[36:37], v[14:15]
	s_delay_alu instid0(VALU_DEP_3) | instskip(NEXT) | instid1(VALU_DEP_2)
	v_add_f64_e64 v[36:37], v[40:41], -v[42:43]
	v_add_f64_e32 v[14:15], v[40:41], v[14:15]
	s_delay_alu instid0(VALU_DEP_2) | instskip(SKIP_1) | instid1(VALU_DEP_3)
	v_add_f64_e64 v[40:41], v[40:41], -v[36:37]
	v_add_f64_e64 v[2:3], v[2:3], -v[36:37]
	v_add_f64_e32 v[46:47], v[44:45], v[14:15]
	s_delay_alu instid0(VALU_DEP_3) | instskip(NEXT) | instid1(VALU_DEP_2)
	v_add_f64_e64 v[36:37], v[42:43], -v[40:41]
	v_add_f64_e64 v[40:41], v[46:47], -v[44:45]
	s_delay_alu instid0(VALU_DEP_2) | instskip(SKIP_1) | instid1(VALU_DEP_3)
	v_add_f64_e32 v[2:3], v[2:3], v[36:37]
	v_mov_b64_e32 v[36:37], 0x7ff8000000000000
	v_add_f64_e64 v[14:15], v[14:15], -v[40:41]
	s_delay_alu instid0(VALU_DEP_1) | instskip(NEXT) | instid1(VALU_DEP_1)
	v_add_f64_e32 v[2:3], v[2:3], v[14:15]
	v_add_f64_e32 v[2:3], v[46:47], v[2:3]
	s_delay_alu instid0(VALU_DEP_1) | instskip(SKIP_1) | instid1(VALU_DEP_2)
	v_dual_cndmask_b32 v2, v2, v38 :: v_dual_cndmask_b32 v3, v3, v39
	v_cmp_ngt_f64_e32 vcc_lo, 0, v[38:39]
	v_cndmask_b32_e32 v3, 0x7ff80000, v3, vcc_lo
	v_cmp_nge_f64_e32 vcc_lo, 0, v[38:39]
	s_delay_alu instid0(VALU_DEP_4) | instskip(SKIP_1) | instid1(VALU_DEP_4)
	v_cndmask_b32_e32 v14, 0, v2, vcc_lo
	v_cmp_neq_f64_e32 vcc_lo, 0, v[38:39]
	v_cndmask_b32_e32 v15, 0xfff00000, v3, vcc_lo
.LBB197_161:                            ;   in Loop: Header=BB197_162 Depth=1
	s_or_b32 exec_lo, exec_lo, s0
	v_bfi_b32 v29, 0x7fffffff, v29, v9
	v_bfi_b32 v11, 0x7fffffff, v11, v17
	v_bfi_b32 v7, 0x7fffffff, v7, v13
	v_bfi_b32 v37, 0x7fffffff, v37, v5
	v_add_nc_u64_e32 v[0:1], s[36:37], v[0:1]
	v_fma_f64 v[12:13], 0, v[28:29], v[30:31]
	v_fmac_f64_e32 v[28:29], 0x80000000, v[30:31]
	v_fma_f64 v[2:3], 0, v[10:11], v[34:35]
	v_fmac_f64_e32 v[10:11], 0x80000000, v[34:35]
	;; [unrolled: 2-line block ×4, first 2 shown]
	v_mul_f64_e32 v[12:13], 0x3ff71547652b82fe, v[12:13]
	v_mul_f64_e32 v[14:15], 0x3ff71547652b82fe, v[28:29]
	;; [unrolled: 1-line block ×8, first 2 shown]
	v_lshlrev_b64_e32 v[6:7], 2, v[0:1]
	s_clause 0x3
	global_store_b128 v[26:27], v[12:15], off
	global_store_b128 v[26:27], v[8:11], off offset:16
	global_store_b128 v[26:27], v[2:5], off offset:32
	;; [unrolled: 1-line block ×3, first 2 shown]
	v_cmp_ge_i64_e32 vcc_lo, v[6:7], v[18:19]
	s_or_b32 s11, vcc_lo, s11
	s_wait_xcnt 0x0
	s_and_not1_b32 exec_lo, exec_lo, s11
	s_cbranch_execz .LBB197_297
.LBB197_162:                            ; =>This Loop Header: Depth=1
                                        ;     Child Loop BB197_173 Depth 2
                                        ;     Child Loop BB197_207 Depth 2
                                        ;     Child Loop BB197_241 Depth 2
                                        ;     Child Loop BB197_275 Depth 2
	v_lshlrev_b64_e32 v[2:3], 6, v[0:1]
                                        ; implicit-def: $vgpr30_vgpr31
                                        ; implicit-def: $vgpr28_vgpr29
	s_mov_b32 s0, exec_lo
	s_delay_alu instid0(VALU_DEP_1)
	v_add_nc_u64_e32 v[26:27], s[18:19], v[2:3]
	s_clause 0x3
	global_load_b128 v[6:9], v[26:27], off
	global_load_b128 v[10:13], v[26:27], off offset:16
	global_load_b128 v[2:5], v[26:27], off offset:48
	;; [unrolled: 1-line block ×3, first 2 shown]
	s_wait_loadcnt 0x3
	s_wait_xcnt 0x0
	v_cmpx_o_f64_e32 v[6:7], v[8:9]
	s_xor_b32 s33, exec_lo, s0
	s_cbranch_execz .LBB197_190
; %bb.163:                              ;   in Loop: Header=BB197_162 Depth=1
	v_cmp_lt_f64_e64 s0, |v[6:7]|, |v[8:9]|
	v_and_b32_e32 v33, 0x7fffffff, v7
	v_and_b32_e32 v21, 0x7fffffff, v9
	v_mov_b32_e32 v32, v8
                                        ; implicit-def: $vgpr30_vgpr31
                                        ; implicit-def: $vgpr28_vgpr29
	s_mov_b32 s1, exec_lo
	s_delay_alu instid0(VALU_DEP_2) | instskip(NEXT) | instid1(VALU_DEP_1)
	v_dual_cndmask_b32 v35, v21, v33, s0 :: v_dual_cndmask_b32 v34, v8, v6, s0
	v_cmpx_nlt_f64_e32 s[12:13], v[34:35]
	s_xor_b32 s38, exec_lo, s1
	s_cbranch_execz .LBB197_187
; %bb.164:                              ;   in Loop: Header=BB197_162 Depth=1
	v_dual_cndmask_b32 v37, v33, v21, s0 :: v_dual_cndmask_b32 v36, v6, v32, s0
                                        ; implicit-def: $vgpr30_vgpr31
                                        ; implicit-def: $vgpr28_vgpr29
	s_mov_b32 s1, exec_lo
	s_delay_alu instid0(VALU_DEP_1)
	v_cmpx_neq_f64_e32 1.0, v[36:37]
	s_xor_b32 s39, exec_lo, s1
	s_cbranch_execz .LBB197_180
; %bb.165:                              ;   in Loop: Header=BB197_162 Depth=1
	v_max_num_f64_e32 v[28:29], v[34:35], v[34:35]
	v_max_num_f64_e32 v[30:31], v[36:37], v[36:37]
	s_delay_alu instid0(VALU_DEP_1) | instskip(SKIP_1) | instid1(VALU_DEP_2)
	v_min_num_f64_e32 v[32:33], v[30:31], v[28:29]
	v_max_num_f64_e32 v[28:29], v[30:31], v[28:29]
                                        ; implicit-def: $vgpr30_vgpr31
	v_cmp_ngt_f64_e32 vcc_lo, s[14:15], v[32:33]
	s_delay_alu instid0(VALU_DEP_2) | instskip(SKIP_1) | instid1(SALU_CYCLE_1)
	v_cmp_nlt_f64_e64 s1, s[16:17], v[28:29]
                                        ; implicit-def: $vgpr28_vgpr29
	s_and_b32 s1, s1, vcc_lo
	s_and_saveexec_b32 s2, s1
	s_delay_alu instid0(SALU_CYCLE_1)
	s_xor_b32 s40, exec_lo, s2
	s_cbranch_execz .LBB197_177
; %bb.166:                              ;   in Loop: Header=BB197_162 Depth=1
                                        ; implicit-def: $vgpr30_vgpr31
                                        ; implicit-def: $vgpr28_vgpr29
	s_mov_b32 s1, exec_lo
	v_cmpx_le_f64_e32 1.0, v[36:37]
	s_xor_b32 s4, exec_lo, s1
	s_cbranch_execz .LBB197_168
; %bb.167:                              ;   in Loop: Header=BB197_162 Depth=1
	v_add_f64_e32 v[28:29], -1.0, v[36:37]
	v_cmp_eq_f64_e64 s1, 0, v[8:9]
	v_add_f64_e32 v[30:31], 1.0, v[36:37]
	v_cmp_class_f64_e64 s6, v[6:7], 0x204
	v_cmp_class_f64_e64 s5, v[8:9], 0x204
	s_delay_alu instid0(VALU_DEP_3) | instskip(NEXT) | instid1(VALU_DEP_1)
	v_mul_f64_e32 v[32:33], v[28:29], v[30:31]
	v_fmac_f64_e32 v[32:33], v[34:35], v[34:35]
	s_delay_alu instid0(VALU_DEP_1) | instskip(SKIP_2) | instid1(VALU_DEP_3)
	v_add_f64_e32 v[28:29], 1.0, v[32:33]
	v_cmp_nge_f64_e64 s2, -1.0, v[32:33]
	v_cmp_neq_f64_e64 s3, 0x7ff00000, v[32:33]
	v_frexp_mant_f64_e32 v[30:31], v[28:29]
	v_frexp_exp_i32_f64_e32 v21, v[28:29]
	v_add_f64_e32 v[34:35], -1.0, v[28:29]
	s_delay_alu instid0(VALU_DEP_3) | instskip(NEXT) | instid1(VALU_DEP_2)
	v_cmp_gt_f64_e32 vcc_lo, s[20:21], v[30:31]
	v_add_f64_e64 v[30:31], v[34:35], -v[28:29]
	v_add_f64_e64 v[34:35], v[32:33], -v[34:35]
	v_subrev_co_ci_u32_e64 v21, null, 0, v21, vcc_lo
	s_delay_alu instid0(VALU_DEP_1) | instskip(NEXT) | instid1(VALU_DEP_1)
	v_dual_add_f64 v[30:31], 1.0, v[30:31] :: v_dual_sub_nc_u32 v38, 0, v21
	v_ldexp_f64 v[28:29], v[28:29], v38
	s_delay_alu instid0(VALU_DEP_2) | instskip(NEXT) | instid1(VALU_DEP_2)
	v_add_f64_e32 v[30:31], v[34:35], v[30:31]
	v_add_f64_e32 v[36:37], 1.0, v[28:29]
	v_add_f64_e32 v[42:43], -1.0, v[28:29]
	s_delay_alu instid0(VALU_DEP_3) | instskip(NEXT) | instid1(VALU_DEP_3)
	v_ldexp_f64 v[30:31], v[30:31], v38
	v_add_f64_e32 v[34:35], -1.0, v[36:37]
	s_delay_alu instid0(VALU_DEP_3) | instskip(NEXT) | instid1(VALU_DEP_2)
	v_add_f64_e32 v[44:45], 1.0, v[42:43]
	v_add_f64_e64 v[34:35], v[28:29], -v[34:35]
	s_delay_alu instid0(VALU_DEP_2) | instskip(NEXT) | instid1(VALU_DEP_2)
	v_add_f64_e64 v[28:29], v[28:29], -v[44:45]
	v_add_f64_e32 v[34:35], v[30:31], v[34:35]
	s_delay_alu instid0(VALU_DEP_2) | instskip(NEXT) | instid1(VALU_DEP_2)
	v_add_f64_e32 v[28:29], v[30:31], v[28:29]
	v_add_f64_e32 v[38:39], v[36:37], v[34:35]
	s_delay_alu instid0(VALU_DEP_2) | instskip(NEXT) | instid1(VALU_DEP_2)
	v_add_f64_e32 v[44:45], v[42:43], v[28:29]
	v_rcp_f64_e32 v[40:41], v[38:39]
	v_add_f64_e64 v[36:37], v[38:39], -v[36:37]
	s_delay_alu instid0(VALU_DEP_2) | instskip(NEXT) | instid1(VALU_DEP_2)
	v_add_f64_e64 v[42:43], v[44:45], -v[42:43]
	v_add_f64_e64 v[34:35], v[34:35], -v[36:37]
	s_delay_alu instid0(VALU_DEP_2) | instskip(NEXT) | instid1(TRANS32_DEP_1)
	v_add_f64_e64 v[28:29], v[28:29], -v[42:43]
	v_fma_f64 v[46:47], -v[38:39], v[40:41], 1.0
	s_delay_alu instid0(VALU_DEP_1) | instskip(NEXT) | instid1(VALU_DEP_1)
	v_fmac_f64_e32 v[40:41], v[46:47], v[40:41]
	v_fma_f64 v[30:31], -v[38:39], v[40:41], 1.0
	s_delay_alu instid0(VALU_DEP_1) | instskip(NEXT) | instid1(VALU_DEP_1)
	v_fmac_f64_e32 v[40:41], v[30:31], v[40:41]
	v_mul_f64_e32 v[30:31], v[44:45], v[40:41]
	s_delay_alu instid0(VALU_DEP_1) | instskip(NEXT) | instid1(VALU_DEP_1)
	v_mul_f64_e32 v[46:47], v[38:39], v[30:31]
	v_fma_f64 v[36:37], v[30:31], v[38:39], -v[46:47]
	s_delay_alu instid0(VALU_DEP_1) | instskip(NEXT) | instid1(VALU_DEP_1)
	v_fmac_f64_e32 v[36:37], v[30:31], v[34:35]
	v_add_f64_e32 v[48:49], v[46:47], v[36:37]
	s_delay_alu instid0(VALU_DEP_1) | instskip(SKIP_1) | instid1(VALU_DEP_2)
	v_add_f64_e64 v[50:51], v[44:45], -v[48:49]
	v_add_f64_e64 v[42:43], v[48:49], -v[46:47]
	;; [unrolled: 1-line block ×3, first 2 shown]
	s_delay_alu instid0(VALU_DEP_2) | instskip(NEXT) | instid1(VALU_DEP_2)
	v_add_f64_e64 v[36:37], v[42:43], -v[36:37]
	v_add_f64_e64 v[44:45], v[44:45], -v[48:49]
	s_delay_alu instid0(VALU_DEP_1) | instskip(NEXT) | instid1(VALU_DEP_1)
	v_add_f64_e32 v[28:29], v[28:29], v[44:45]
	v_add_f64_e32 v[28:29], v[36:37], v[28:29]
	s_delay_alu instid0(VALU_DEP_1) | instskip(NEXT) | instid1(VALU_DEP_1)
	v_add_f64_e32 v[36:37], v[50:51], v[28:29]
	v_mul_f64_e32 v[42:43], v[40:41], v[36:37]
	v_add_f64_e64 v[48:49], v[50:51], -v[36:37]
	s_delay_alu instid0(VALU_DEP_2) | instskip(NEXT) | instid1(VALU_DEP_2)
	v_mul_f64_e32 v[44:45], v[38:39], v[42:43]
	v_add_f64_e32 v[28:29], v[28:29], v[48:49]
	s_delay_alu instid0(VALU_DEP_2) | instskip(NEXT) | instid1(VALU_DEP_1)
	v_fma_f64 v[38:39], v[42:43], v[38:39], -v[44:45]
	v_fmac_f64_e32 v[38:39], v[42:43], v[34:35]
	s_delay_alu instid0(VALU_DEP_1) | instskip(NEXT) | instid1(VALU_DEP_1)
	v_add_f64_e32 v[34:35], v[44:45], v[38:39]
	v_add_f64_e64 v[46:47], v[36:37], -v[34:35]
	v_add_f64_e64 v[44:45], v[34:35], -v[44:45]
	s_delay_alu instid0(VALU_DEP_2) | instskip(NEXT) | instid1(VALU_DEP_1)
	v_add_f64_e64 v[36:37], v[36:37], -v[46:47]
	v_add_f64_e64 v[34:35], v[36:37], -v[34:35]
	s_delay_alu instid0(VALU_DEP_3) | instskip(SKIP_1) | instid1(VALU_DEP_3)
	v_add_f64_e64 v[36:37], v[44:45], -v[38:39]
	v_max_num_f64_e64 v[38:39], |v[6:7]|, |v[6:7]|
	v_add_f64_e32 v[28:29], v[28:29], v[34:35]
	v_add_f64_e32 v[34:35], v[30:31], v[42:43]
	s_delay_alu instid0(VALU_DEP_2) | instskip(NEXT) | instid1(VALU_DEP_2)
	v_add_f64_e32 v[28:29], v[36:37], v[28:29]
	v_add_f64_e64 v[30:31], v[34:35], -v[30:31]
	v_max_num_f64_e64 v[36:37], |v[8:9]|, |v[8:9]|
	s_delay_alu instid0(VALU_DEP_3) | instskip(NEXT) | instid1(VALU_DEP_3)
	v_add_f64_e32 v[28:29], v[46:47], v[28:29]
	v_add_f64_e64 v[30:31], v[42:43], -v[30:31]
	s_delay_alu instid0(VALU_DEP_2) | instskip(NEXT) | instid1(VALU_DEP_1)
	v_mul_f64_e32 v[28:29], v[40:41], v[28:29]
	v_add_f64_e32 v[28:29], v[30:31], v[28:29]
	v_max_num_f64_e32 v[30:31], v[38:39], v[36:37]
	v_min_num_f64_e32 v[36:37], v[38:39], v[36:37]
	s_delay_alu instid0(VALU_DEP_3) | instskip(NEXT) | instid1(VALU_DEP_2)
	v_add_f64_e32 v[38:39], v[34:35], v[28:29]
	v_div_scale_f64 v[40:41], null, v[30:31], v[30:31], v[36:37]
	s_delay_alu instid0(VALU_DEP_2) | instskip(SKIP_1) | instid1(VALU_DEP_3)
	v_mul_f64_e32 v[42:43], v[38:39], v[38:39]
	v_add_f64_e64 v[34:35], v[38:39], -v[34:35]
	v_rcp_f64_e32 v[44:45], v[40:41]
	s_delay_alu instid0(VALU_DEP_2) | instskip(SKIP_1) | instid1(VALU_DEP_3)
	v_fmamk_f64 v[46:47], v[42:43], 0x3fc3ab76bf559e2b, v[22:23]
	v_mul_f64_e32 v[48:49], v[38:39], v[42:43]
	v_add_f64_e64 v[28:29], v[28:29], -v[34:35]
	s_delay_alu instid0(VALU_DEP_3) | instskip(NEXT) | instid1(TRANS32_DEP_1)
	v_fmaak_f64 v[46:47], v[42:43], v[46:47], 0x3fc7474dd7f4df2e
	v_fma_f64 v[50:51], -v[40:41], v[44:45], 1.0
	s_delay_alu instid0(VALU_DEP_2) | instskip(NEXT) | instid1(VALU_DEP_1)
	v_fmaak_f64 v[46:47], v[42:43], v[46:47], 0x3fcc71c016291751
	v_fmaak_f64 v[46:47], v[42:43], v[46:47], 0x3fd249249b27acf1
	s_delay_alu instid0(VALU_DEP_1) | instskip(SKIP_1) | instid1(VALU_DEP_2)
	v_fmaak_f64 v[46:47], v[42:43], v[46:47], 0x3fd99999998ef7b6
	v_ldexp_f64 v[28:29], v[28:29], 1
	v_fmaak_f64 v[42:43], v[42:43], v[46:47], 0x3fe5555555555780
	v_ldexp_f64 v[46:47], v[38:39], 1
	v_fmac_f64_e32 v[44:45], v[44:45], v[50:51]
	s_delay_alu instid0(VALU_DEP_3) | instskip(SKIP_2) | instid1(VALU_DEP_4)
	v_mul_f64_e32 v[42:43], v[48:49], v[42:43]
	v_cvt_f64_i32_e32 v[48:49], v21
	v_ashrrev_i32_e32 v21, 31, v7
	v_fma_f64 v[50:51], -v[40:41], v[44:45], 1.0
	s_delay_alu instid0(VALU_DEP_4) | instskip(NEXT) | instid1(VALU_DEP_4)
	v_add_f64_e32 v[38:39], v[46:47], v[42:43]
	v_mul_f64_e32 v[52:53], 0x3fe62e42fefa39ef, v[48:49]
	s_delay_alu instid0(VALU_DEP_3) | instskip(NEXT) | instid1(VALU_DEP_3)
	v_fmac_f64_e32 v[44:45], v[44:45], v[50:51]
	v_add_f64_e64 v[34:35], v[38:39], -v[46:47]
	v_div_scale_f64 v[46:47], vcc_lo, v[36:37], v[30:31], v[36:37]
	s_delay_alu instid0(VALU_DEP_4) | instskip(NEXT) | instid1(VALU_DEP_3)
	v_fma_f64 v[50:51], v[48:49], s[22:23], -v[52:53]
	v_add_f64_e64 v[34:35], v[42:43], -v[34:35]
	s_delay_alu instid0(VALU_DEP_3) | instskip(NEXT) | instid1(VALU_DEP_3)
	v_mul_f64_e32 v[42:43], v[46:47], v[44:45]
	v_fmac_f64_e32 v[50:51], 0x3c7abc9e3b39803f, v[48:49]
	s_delay_alu instid0(VALU_DEP_3) | instskip(NEXT) | instid1(VALU_DEP_3)
	v_add_f64_e32 v[28:29], v[28:29], v[34:35]
	v_fma_f64 v[34:35], -v[40:41], v[42:43], v[46:47]
	s_delay_alu instid0(VALU_DEP_3) | instskip(NEXT) | instid1(VALU_DEP_3)
	v_add_f64_e32 v[40:41], v[52:53], v[50:51]
	v_add_f64_e32 v[46:47], v[38:39], v[28:29]
	s_delay_alu instid0(VALU_DEP_3) | instskip(SKIP_1) | instid1(VALU_DEP_4)
	v_div_fmas_f64 v[34:35], v[34:35], v[44:45], v[42:43]
	v_cmp_gt_i32_e32 vcc_lo, 0, v7
	v_add_f64_e64 v[44:45], v[40:41], -v[52:53]
	v_and_b32_e32 v7, 0x400921fb, v21
	v_cndmask_b32_e32 v6, 0x3fe921fb, v61, vcc_lo
	s_delay_alu instid0(VALU_DEP_1) | instskip(SKIP_4) | instid1(VALU_DEP_4)
	v_bfi_b32 v6, 0x7fffffff, v6, v9
	v_add_f64_e32 v[42:43], v[40:41], v[46:47]
	v_div_fixup_f64 v[30:31], v[34:35], v[30:31], v[36:37]
	v_add_f64_e64 v[38:39], v[46:47], -v[38:39]
	v_add_f64_e64 v[44:45], v[50:51], -v[44:45]
	;; [unrolled: 1-line block ×3, first 2 shown]
	s_delay_alu instid0(VALU_DEP_4) | instskip(NEXT) | instid1(VALU_DEP_4)
	v_mul_f64_e32 v[36:37], v[30:31], v[30:31]
	v_add_f64_e64 v[28:29], v[28:29], -v[38:39]
	s_delay_alu instid0(VALU_DEP_3) | instskip(NEXT) | instid1(VALU_DEP_3)
	v_add_f64_e64 v[48:49], v[42:43], -v[34:35]
	v_fmamk_f64 v[52:53], v[36:37], 0x3eeba404b5e68a13, v[24:25]
	v_add_f64_e64 v[34:35], v[46:47], -v[34:35]
	s_delay_alu instid0(VALU_DEP_4) | instskip(NEXT) | instid1(VALU_DEP_3)
	v_add_f64_e32 v[46:47], v[44:45], v[28:29]
	v_fmaak_f64 v[52:53], v[36:37], v[52:53], 0x3f4b2bb069efb384
	v_add_f64_e64 v[38:39], v[40:41], -v[48:49]
	s_delay_alu instid0(VALU_DEP_2) | instskip(NEXT) | instid1(VALU_DEP_1)
	v_fmaak_f64 v[40:41], v[36:37], v[52:53], 0xbf67952daf56de9b
	v_fmaak_f64 v[40:41], v[36:37], v[40:41], 0x3f7d6d43a595c56f
	s_delay_alu instid0(VALU_DEP_1) | instskip(NEXT) | instid1(VALU_DEP_1)
	v_fmaak_f64 v[40:41], v[36:37], v[40:41], 0xbf8c6ea4a57d9582
	v_fmaak_f64 v[40:41], v[36:37], v[40:41], 0x3f967e295f08b19f
	s_delay_alu instid0(VALU_DEP_1) | instskip(SKIP_1) | instid1(VALU_DEP_2)
	v_fmaak_f64 v[40:41], v[36:37], v[40:41], 0xbf9e9ae6fc27006a
	v_add_f64_e32 v[34:35], v[34:35], v[38:39]
	v_fmaak_f64 v[38:39], v[36:37], v[40:41], 0x3fa2c15b5711927a
	v_add_f64_e64 v[40:41], v[46:47], -v[44:45]
	s_delay_alu instid0(VALU_DEP_2) | instskip(NEXT) | instid1(VALU_DEP_1)
	v_fmaak_f64 v[38:39], v[36:37], v[38:39], 0xbfa59976e82d3ff0
	v_fmaak_f64 v[38:39], v[36:37], v[38:39], 0x3fa82d5d6ef28734
	s_delay_alu instid0(VALU_DEP_1) | instskip(NEXT) | instid1(VALU_DEP_1)
	v_fmaak_f64 v[38:39], v[36:37], v[38:39], 0xbfaae5ce6a214619
	v_fmaak_f64 v[38:39], v[36:37], v[38:39], 0x3fae1bb48427b883
	v_add_f64_e32 v[34:35], v[46:47], v[34:35]
	v_add_f64_e64 v[46:47], v[46:47], -v[40:41]
	v_add_f64_e64 v[28:29], v[28:29], -v[40:41]
	s_delay_alu instid0(VALU_DEP_4) | instskip(NEXT) | instid1(VALU_DEP_1)
	v_fmaak_f64 v[38:39], v[36:37], v[38:39], 0xbfb110e48b207f05
	v_fmaak_f64 v[38:39], v[36:37], v[38:39], 0x3fb3b13657b87036
	s_delay_alu instid0(VALU_DEP_1) | instskip(NEXT) | instid1(VALU_DEP_1)
	v_fmaak_f64 v[38:39], v[36:37], v[38:39], 0xbfb745d119378e4f
	v_fmaak_f64 v[38:39], v[36:37], v[38:39], 0x3fbc71c717e1913c
	v_add_f64_e32 v[48:49], v[42:43], v[34:35]
	s_delay_alu instid0(VALU_DEP_2) | instskip(NEXT) | instid1(VALU_DEP_1)
	v_fmaak_f64 v[38:39], v[36:37], v[38:39], 0xbfc2492492376b7d
	v_fmaak_f64 v[38:39], v[36:37], v[38:39], 0x3fc99999999952cc
	s_delay_alu instid0(VALU_DEP_1) | instskip(NEXT) | instid1(VALU_DEP_1)
	v_fmaak_f64 v[38:39], v[36:37], v[38:39], 0xbfd5555555555523
	v_mul_f64_e32 v[36:37], v[36:37], v[38:39]
	v_add_f64_e64 v[38:39], v[44:45], -v[46:47]
	v_add_f64_e64 v[40:41], v[48:49], -v[42:43]
	s_delay_alu instid0(VALU_DEP_3) | instskip(NEXT) | instid1(VALU_DEP_3)
	v_fmac_f64_e32 v[30:31], v[30:31], v[36:37]
	v_add_f64_e32 v[28:29], v[28:29], v[38:39]
	s_delay_alu instid0(VALU_DEP_3) | instskip(NEXT) | instid1(VALU_DEP_3)
	v_add_f64_e64 v[34:35], v[34:35], -v[40:41]
	v_add_f64_e64 v[36:37], -v[30:31], s[24:25]
	s_delay_alu instid0(VALU_DEP_1) | instskip(NEXT) | instid1(VALU_DEP_2)
	v_dual_add_f64 v[28:29], v[28:29], v[34:35] :: v_dual_cndmask_b32 v31, v31, v37, s0
	v_cndmask_b32_e64 v30, v30, v36, s0
	v_and_b32_e32 v37, 0x54442d18, v21
	v_cndmask_b32_e32 v36, 0x54442d18, v60, vcc_lo
	s_delay_alu instid0(VALU_DEP_3) | instskip(NEXT) | instid1(VALU_DEP_1)
	v_add_f64_e64 v[34:35], -v[30:31], s[26:27]
	v_dual_add_f64 v[28:29], v[48:49], v[28:29] :: v_dual_cndmask_b32 v30, v30, v34, vcc_lo
	s_delay_alu instid0(VALU_DEP_2) | instskip(SKIP_1) | instid1(VALU_DEP_3)
	v_cndmask_b32_e32 v21, v31, v35, vcc_lo
	v_cmp_ngt_f64_e32 vcc_lo, -1.0, v[32:33]
	v_mul_f64_e32 v[28:29], 0.5, v[28:29]
	s_delay_alu instid0(VALU_DEP_3)
	v_dual_cndmask_b32 v34, v30, v37, s1 :: v_dual_cndmask_b32 v7, v21, v7, s1
	s_and_b32 s1, s2, s3
	s_delay_alu instid0(VALU_DEP_2) | instid1(SALU_CYCLE_1)
	v_cndmask_b32_e64 v30, 0, v28, s1
	v_cmp_neq_f64_e64 s1, -1.0, v[32:33]
	s_delay_alu instid0(VALU_DEP_4) | instskip(NEXT) | instid1(VALU_DEP_1)
	v_cndmask_b32_e64 v29, 0x7ff00000, v29, s3
	v_cndmask_b32_e32 v21, 0x7ff80000, v29, vcc_lo
	s_and_b32 vcc_lo, s6, s5
	v_dual_cndmask_b32 v29, v7, v6 :: v_dual_cndmask_b32 v28, v34, v36
                                        ; implicit-def: $vgpr34_vgpr35
                                        ; implicit-def: $vgpr36_vgpr37
	s_delay_alu instid0(VALU_DEP_2)
	v_cndmask_b32_e64 v31, 0xfff00000, v21, s1
.LBB197_168:                            ;   in Loop: Header=BB197_162 Depth=1
	s_and_not1_saveexec_b32 s41, s4
	s_cbranch_execz .LBB197_176
; %bb.169:                              ;   in Loop: Header=BB197_162 Depth=1
	v_mul_f64_e32 v[32:33], v[34:35], v[34:35]
                                        ; implicit-def: $vgpr30_vgpr31
                                        ; implicit-def: $vgpr28_vgpr29
	s_mov_b32 s1, exec_lo
	s_delay_alu instid0(VALU_DEP_1) | instskip(NEXT) | instid1(VALU_DEP_1)
	v_fmac_f64_e32 v[32:33], v[36:37], v[36:37]
	v_cmpx_ge_f64_e32 s[28:29], v[32:33]
	s_xor_b32 s3, exec_lo, s1
	s_cbranch_execz .LBB197_171
; %bb.170:                              ;   in Loop: Header=BB197_162 Depth=1
	v_frexp_mant_f64_e32 v[28:29], v[32:33]
	v_cmp_eq_f64_e64 s1, 0, v[8:9]
	v_cmp_neq_f64_e64 s2, 0, v[32:33]
	v_cmp_class_f64_e64 s4, v[8:9], 0x204
	v_cmp_class_f64_e64 s5, v[6:7], 0x204
	v_cmp_gt_f64_e32 vcc_lo, s[20:21], v[28:29]
	v_cndmask_b32_e64 v21, 0, 1, vcc_lo
	s_delay_alu instid0(VALU_DEP_1) | instskip(SKIP_1) | instid1(VALU_DEP_2)
	v_ldexp_f64 v[28:29], v[28:29], v21
	v_frexp_exp_i32_f64_e32 v21, v[32:33]
	v_add_f64_e32 v[30:31], 1.0, v[28:29]
	v_add_f64_e32 v[38:39], -1.0, v[28:29]
	s_delay_alu instid0(VALU_DEP_3) | instskip(NEXT) | instid1(VALU_DEP_3)
	v_subrev_co_ci_u32_e64 v21, null, 0, v21, vcc_lo
	v_rcp_f64_e32 v[34:35], v[30:31]
	v_add_f64_e32 v[40:41], -1.0, v[30:31]
	s_delay_alu instid0(VALU_DEP_1) | instskip(NEXT) | instid1(TRANS32_DEP_1)
	v_add_f64_e64 v[28:29], v[28:29], -v[40:41]
	v_fma_f64 v[36:37], -v[30:31], v[34:35], 1.0
	s_delay_alu instid0(VALU_DEP_1) | instskip(NEXT) | instid1(VALU_DEP_1)
	v_fmac_f64_e32 v[34:35], v[36:37], v[34:35]
	v_fma_f64 v[36:37], -v[30:31], v[34:35], 1.0
	s_delay_alu instid0(VALU_DEP_1) | instskip(NEXT) | instid1(VALU_DEP_1)
	v_fmac_f64_e32 v[34:35], v[36:37], v[34:35]
	v_mul_f64_e32 v[36:37], v[38:39], v[34:35]
	s_delay_alu instid0(VALU_DEP_1) | instskip(NEXT) | instid1(VALU_DEP_1)
	v_mul_f64_e32 v[42:43], v[30:31], v[36:37]
	v_fma_f64 v[30:31], v[36:37], v[30:31], -v[42:43]
	s_delay_alu instid0(VALU_DEP_1) | instskip(NEXT) | instid1(VALU_DEP_1)
	v_fmac_f64_e32 v[30:31], v[36:37], v[28:29]
	v_add_f64_e32 v[28:29], v[42:43], v[30:31]
	s_delay_alu instid0(VALU_DEP_1) | instskip(SKIP_1) | instid1(VALU_DEP_2)
	v_add_f64_e64 v[40:41], v[38:39], -v[28:29]
	v_add_f64_e64 v[42:43], v[28:29], -v[42:43]
	;; [unrolled: 1-line block ×3, first 2 shown]
	s_delay_alu instid0(VALU_DEP_2) | instskip(NEXT) | instid1(VALU_DEP_2)
	v_add_f64_e64 v[30:31], v[42:43], -v[30:31]
	v_add_f64_e64 v[28:29], v[38:39], -v[28:29]
	v_max_num_f64_e64 v[38:39], |v[6:7]|, |v[6:7]|
	s_delay_alu instid0(VALU_DEP_2) | instskip(SKIP_1) | instid1(VALU_DEP_2)
	v_add_f64_e32 v[28:29], v[30:31], v[28:29]
	v_max_num_f64_e64 v[30:31], |v[8:9]|, |v[8:9]|
	v_add_f64_e32 v[28:29], v[40:41], v[28:29]
	s_delay_alu instid0(VALU_DEP_1) | instskip(NEXT) | instid1(VALU_DEP_3)
	v_mul_f64_e32 v[28:29], v[34:35], v[28:29]
	v_max_num_f64_e32 v[34:35], v[38:39], v[30:31]
	v_min_num_f64_e32 v[30:31], v[38:39], v[30:31]
	s_delay_alu instid0(VALU_DEP_3) | instskip(NEXT) | instid1(VALU_DEP_2)
	v_add_f64_e32 v[38:39], v[36:37], v[28:29]
	v_div_scale_f64 v[40:41], null, v[34:35], v[34:35], v[30:31]
	s_delay_alu instid0(VALU_DEP_2) | instskip(SKIP_1) | instid1(VALU_DEP_3)
	v_mul_f64_e32 v[42:43], v[38:39], v[38:39]
	v_add_f64_e64 v[36:37], v[38:39], -v[36:37]
	v_rcp_f64_e32 v[44:45], v[40:41]
	s_delay_alu instid0(VALU_DEP_2) | instskip(SKIP_1) | instid1(VALU_DEP_3)
	v_fmamk_f64 v[46:47], v[42:43], 0x3fc3ab76bf559e2b, v[22:23]
	v_mul_f64_e32 v[48:49], v[38:39], v[42:43]
	v_add_f64_e64 v[28:29], v[28:29], -v[36:37]
	s_delay_alu instid0(VALU_DEP_3) | instskip(NEXT) | instid1(TRANS32_DEP_1)
	v_fmaak_f64 v[46:47], v[42:43], v[46:47], 0x3fc7474dd7f4df2e
	v_fma_f64 v[50:51], -v[40:41], v[44:45], 1.0
	s_delay_alu instid0(VALU_DEP_2) | instskip(NEXT) | instid1(VALU_DEP_1)
	v_fmaak_f64 v[46:47], v[42:43], v[46:47], 0x3fcc71c016291751
	v_fmaak_f64 v[46:47], v[42:43], v[46:47], 0x3fd249249b27acf1
	s_delay_alu instid0(VALU_DEP_1) | instskip(SKIP_1) | instid1(VALU_DEP_2)
	v_fmaak_f64 v[46:47], v[42:43], v[46:47], 0x3fd99999998ef7b6
	v_ldexp_f64 v[28:29], v[28:29], 1
	v_fmaak_f64 v[42:43], v[42:43], v[46:47], 0x3fe5555555555780
	v_ldexp_f64 v[46:47], v[38:39], 1
	v_fmac_f64_e32 v[44:45], v[44:45], v[50:51]
	s_delay_alu instid0(VALU_DEP_3) | instskip(SKIP_2) | instid1(VALU_DEP_4)
	v_mul_f64_e32 v[42:43], v[48:49], v[42:43]
	v_cvt_f64_i32_e32 v[48:49], v21
	v_ashrrev_i32_e32 v21, 31, v7
	v_fma_f64 v[50:51], -v[40:41], v[44:45], 1.0
	s_delay_alu instid0(VALU_DEP_4) | instskip(NEXT) | instid1(VALU_DEP_4)
	v_add_f64_e32 v[38:39], v[46:47], v[42:43]
	v_mul_f64_e32 v[52:53], 0x3fe62e42fefa39ef, v[48:49]
	s_delay_alu instid0(VALU_DEP_3) | instskip(NEXT) | instid1(VALU_DEP_3)
	v_fmac_f64_e32 v[44:45], v[44:45], v[50:51]
	v_add_f64_e64 v[36:37], v[38:39], -v[46:47]
	v_div_scale_f64 v[46:47], vcc_lo, v[30:31], v[34:35], v[30:31]
	s_delay_alu instid0(VALU_DEP_4) | instskip(NEXT) | instid1(VALU_DEP_3)
	v_fma_f64 v[50:51], v[48:49], s[22:23], -v[52:53]
	v_add_f64_e64 v[36:37], v[42:43], -v[36:37]
	s_delay_alu instid0(VALU_DEP_3) | instskip(NEXT) | instid1(VALU_DEP_3)
	v_mul_f64_e32 v[42:43], v[46:47], v[44:45]
	v_fmac_f64_e32 v[50:51], 0x3c7abc9e3b39803f, v[48:49]
	s_delay_alu instid0(VALU_DEP_3) | instskip(NEXT) | instid1(VALU_DEP_3)
	v_add_f64_e32 v[28:29], v[28:29], v[36:37]
	v_fma_f64 v[36:37], -v[40:41], v[42:43], v[46:47]
	s_delay_alu instid0(VALU_DEP_3) | instskip(NEXT) | instid1(VALU_DEP_3)
	v_add_f64_e32 v[40:41], v[52:53], v[50:51]
	v_add_f64_e32 v[46:47], v[38:39], v[28:29]
	s_delay_alu instid0(VALU_DEP_3) | instskip(SKIP_1) | instid1(VALU_DEP_4)
	v_div_fmas_f64 v[36:37], v[36:37], v[44:45], v[42:43]
	v_cmp_gt_i32_e32 vcc_lo, 0, v7
	v_add_f64_e64 v[44:45], v[40:41], -v[52:53]
	s_delay_alu instid0(VALU_DEP_4) | instskip(NEXT) | instid1(VALU_DEP_4)
	v_add_f64_e32 v[42:43], v[40:41], v[46:47]
	v_div_fixup_f64 v[30:31], v[36:37], v[34:35], v[30:31]
	v_add_f64_e64 v[38:39], v[46:47], -v[38:39]
	s_delay_alu instid0(VALU_DEP_4) | instskip(NEXT) | instid1(VALU_DEP_4)
	v_add_f64_e64 v[44:45], v[50:51], -v[44:45]
	v_add_f64_e64 v[34:35], v[42:43], -v[40:41]
	s_delay_alu instid0(VALU_DEP_4) | instskip(NEXT) | instid1(VALU_DEP_4)
	v_mul_f64_e32 v[36:37], v[30:31], v[30:31]
	v_add_f64_e64 v[28:29], v[28:29], -v[38:39]
	s_delay_alu instid0(VALU_DEP_3) | instskip(NEXT) | instid1(VALU_DEP_3)
	v_add_f64_e64 v[48:49], v[42:43], -v[34:35]
	v_fmamk_f64 v[52:53], v[36:37], 0x3eeba404b5e68a13, v[24:25]
	v_add_f64_e64 v[34:35], v[46:47], -v[34:35]
	s_delay_alu instid0(VALU_DEP_4) | instskip(NEXT) | instid1(VALU_DEP_3)
	v_add_f64_e32 v[46:47], v[44:45], v[28:29]
	v_fmaak_f64 v[52:53], v[36:37], v[52:53], 0x3f4b2bb069efb384
	s_delay_alu instid0(VALU_DEP_1) | instskip(SKIP_1) | instid1(VALU_DEP_2)
	v_fmaak_f64 v[52:53], v[36:37], v[52:53], 0xbf67952daf56de9b
	v_add_f64_e64 v[38:39], v[40:41], -v[48:49]
	v_fmaak_f64 v[40:41], v[36:37], v[52:53], 0x3f7d6d43a595c56f
	s_delay_alu instid0(VALU_DEP_1) | instskip(NEXT) | instid1(VALU_DEP_1)
	v_fmaak_f64 v[40:41], v[36:37], v[40:41], 0xbf8c6ea4a57d9582
	v_fmaak_f64 v[40:41], v[36:37], v[40:41], 0x3f967e295f08b19f
	s_delay_alu instid0(VALU_DEP_1) | instskip(NEXT) | instid1(VALU_DEP_1)
	v_fmaak_f64 v[40:41], v[36:37], v[40:41], 0xbf9e9ae6fc27006a
	v_fmaak_f64 v[40:41], v[36:37], v[40:41], 0x3fa2c15b5711927a
	v_add_f64_e32 v[34:35], v[34:35], v[38:39]
	s_delay_alu instid0(VALU_DEP_2) | instskip(SKIP_1) | instid1(VALU_DEP_2)
	v_fmaak_f64 v[38:39], v[36:37], v[40:41], 0xbfa59976e82d3ff0
	v_add_f64_e64 v[40:41], v[46:47], -v[44:45]
	v_fmaak_f64 v[38:39], v[36:37], v[38:39], 0x3fa82d5d6ef28734
	s_delay_alu instid0(VALU_DEP_1) | instskip(NEXT) | instid1(VALU_DEP_1)
	v_fmaak_f64 v[38:39], v[36:37], v[38:39], 0xbfaae5ce6a214619
	v_fmaak_f64 v[38:39], v[36:37], v[38:39], 0x3fae1bb48427b883
	s_delay_alu instid0(VALU_DEP_1) | instskip(SKIP_3) | instid1(VALU_DEP_4)
	v_fmaak_f64 v[38:39], v[36:37], v[38:39], 0xbfb110e48b207f05
	v_add_f64_e32 v[34:35], v[46:47], v[34:35]
	v_add_f64_e64 v[46:47], v[46:47], -v[40:41]
	v_add_f64_e64 v[28:29], v[28:29], -v[40:41]
	v_fmaak_f64 v[38:39], v[36:37], v[38:39], 0x3fb3b13657b87036
	s_delay_alu instid0(VALU_DEP_1) | instskip(NEXT) | instid1(VALU_DEP_1)
	v_fmaak_f64 v[38:39], v[36:37], v[38:39], 0xbfb745d119378e4f
	v_fmaak_f64 v[38:39], v[36:37], v[38:39], 0x3fbc71c717e1913c
	s_delay_alu instid0(VALU_DEP_1) | instskip(SKIP_1) | instid1(VALU_DEP_2)
	v_fmaak_f64 v[38:39], v[36:37], v[38:39], 0xbfc2492492376b7d
	v_add_f64_e32 v[48:49], v[42:43], v[34:35]
	v_fmaak_f64 v[38:39], v[36:37], v[38:39], 0x3fc99999999952cc
	s_delay_alu instid0(VALU_DEP_1) | instskip(NEXT) | instid1(VALU_DEP_1)
	v_fmaak_f64 v[38:39], v[36:37], v[38:39], 0xbfd5555555555523
	v_mul_f64_e32 v[36:37], v[36:37], v[38:39]
	v_add_f64_e64 v[38:39], v[44:45], -v[46:47]
	v_add_f64_e64 v[40:41], v[48:49], -v[42:43]
	s_delay_alu instid0(VALU_DEP_3) | instskip(NEXT) | instid1(VALU_DEP_3)
	v_fmac_f64_e32 v[30:31], v[30:31], v[36:37]
	v_add_f64_e32 v[28:29], v[28:29], v[38:39]
	s_delay_alu instid0(VALU_DEP_3) | instskip(NEXT) | instid1(VALU_DEP_3)
	v_add_f64_e64 v[34:35], v[34:35], -v[40:41]
	v_add_f64_e64 v[36:37], -v[30:31], s[24:25]
	s_delay_alu instid0(VALU_DEP_1) | instskip(NEXT) | instid1(VALU_DEP_2)
	v_dual_add_f64 v[28:29], v[28:29], v[34:35] :: v_dual_cndmask_b32 v31, v31, v37, s0
	v_cndmask_b32_e64 v30, v30, v36, s0
	v_and_b32_e32 v37, 0x54442d18, v21
	v_and_b32_e32 v21, 0x400921fb, v21
	v_cndmask_b32_e32 v36, 0x54442d18, v60, vcc_lo
	s_delay_alu instid0(VALU_DEP_4) | instskip(NEXT) | instid1(VALU_DEP_1)
	v_add_f64_e64 v[34:35], -v[30:31], s[26:27]
	v_dual_add_f64 v[28:29], v[48:49], v[28:29] :: v_dual_cndmask_b32 v30, v30, v34, vcc_lo
	s_delay_alu instid0(VALU_DEP_1) | instskip(NEXT) | instid1(VALU_DEP_2)
	v_cndmask_b32_e64 v32, v30, v37, s1
	v_mul_f64_e32 v[6:7], 0.5, v[28:29]
	v_cndmask_b32_e32 v28, 0x3fe921fb, v61, vcc_lo
	v_cndmask_b32_e32 v29, v31, v35, vcc_lo
	s_and_b32 vcc_lo, s5, s4
                                        ; implicit-def: $vgpr34_vgpr35
	s_delay_alu instid0(VALU_DEP_2) | instskip(NEXT) | instid1(VALU_DEP_2)
	v_bfi_b32 v28, 0x7fffffff, v28, v9
	v_cndmask_b32_e64 v21, v29, v21, s1
	s_delay_alu instid0(VALU_DEP_1)
	v_cndmask_b32_e32 v29, v21, v28, vcc_lo
	v_cndmask_b32_e32 v28, v32, v36, vcc_lo
                                        ; implicit-def: $vgpr36_vgpr37
	v_cndmask_b32_e64 v31, 0xfff00000, v7, s2
	v_cndmask_b32_e64 v30, 0, v6, s2
.LBB197_171:                            ;   in Loop: Header=BB197_162 Depth=1
	s_and_not1_saveexec_b32 s42, s3
	s_cbranch_execz .LBB197_175
; %bb.172:                              ;   in Loop: Header=BB197_162 Depth=1
	v_and_b32_e32 v21, 0x7ffffff8, v37
	v_and_b32_e32 v31, 0x7ffffff8, v35
	v_mov_b32_e32 v30, v20
	s_mov_b32 s43, 0
	v_mov_b32_e32 v38, v20
	v_add_f64_e64 v[28:29], v[36:37], -v[20:21]
	s_delay_alu instid0(VALU_DEP_3) | instskip(SKIP_2) | instid1(VALU_DEP_4)
	v_dual_add_f64 v[32:33], v[34:35], -v[30:31] :: v_dual_mov_b32 v36, v20
	v_add_f64_e32 v[40:41], v[20:21], v[20:21]
	v_add_f64_e32 v[48:49], v[30:31], v[30:31]
	v_dual_mul_f64 v[34:35], v[30:31], v[30:31] :: v_dual_bitop2_b32 v37, -8, v29 bitop3:0x40
	s_delay_alu instid0(VALU_DEP_4) | instskip(NEXT) | instid1(VALU_DEP_2)
	v_and_b32_e32 v39, -8, v33
	v_add_f64_e64 v[50:51], v[28:29], -v[36:37]
	v_add_f64_e32 v[54:55], v[36:37], v[36:37]
	s_delay_alu instid0(VALU_DEP_3)
	v_add_f64_e64 v[52:53], v[32:33], -v[38:39]
	v_add_f64_e32 v[56:57], v[38:39], v[38:39]
	v_mul_f64_e32 v[28:29], v[20:21], v[20:21]
	v_mul_f64_e32 v[46:47], v[40:41], v[36:37]
	;; [unrolled: 1-line block ×11, first 2 shown]
.LBB197_173:                            ;   Parent Loop BB197_162 Depth=1
                                        ; =>  This Inner Loop Header: Depth=2
	v_cmp_nlt_f64_e32 vcc_lo, v[28:29], v[34:35]
	v_dual_cndmask_b32 v53, v29, v35 :: v_dual_cndmask_b32 v52, v28, v34
	v_dual_cndmask_b32 v29, v35, v29 :: v_dual_cndmask_b32 v28, v34, v28
	s_delay_alu instid0(VALU_DEP_2) | instskip(NEXT) | instid1(VALU_DEP_1)
	v_cmp_nlt_f64_e64 s1, v[52:53], v[46:47]
	v_dual_cndmask_b32 v55, v53, v47, s1 :: v_dual_cndmask_b32 v54, v52, v46, s1
	v_dual_cndmask_b32 v35, v47, v53, s1 :: v_dual_cndmask_b32 v34, v46, v52, s1
	s_and_b32 s1, vcc_lo, s1
	s_delay_alu instid0(VALU_DEP_2) | instskip(NEXT) | instid1(VALU_DEP_1)
	v_cmp_nlt_f64_e64 s2, v[54:55], v[32:33]
	v_dual_cndmask_b32 v57, v55, v33, s2 :: v_dual_cndmask_b32 v56, v54, v32, s2
	v_dual_cndmask_b32 v47, v33, v55, s2 :: v_dual_cndmask_b32 v46, v32, v54, s2
	s_delay_alu instid0(VALU_DEP_2) | instskip(NEXT) | instid1(VALU_DEP_1)
	v_cmp_nlt_f64_e64 s3, v[56:57], v[44:45]
	v_dual_cndmask_b32 v59, v57, v45, s3 :: v_dual_cndmask_b32 v58, v56, v44, s3
	v_dual_cndmask_b32 v33, v45, v57, s3 :: v_dual_cndmask_b32 v32, v44, v56, s3
	s_and_b32 s2, s2, s3
	s_delay_alu instid0(VALU_DEP_2) | instskip(NEXT) | instid1(VALU_DEP_1)
	v_cmp_nlt_f64_e64 s4, v[58:59], v[30:31]
	v_dual_cndmask_b32 v63, v59, v31, s4 :: v_dual_cndmask_b32 v62, v58, v30, s4
	v_dual_cndmask_b32 v45, v31, v59, s4 :: v_dual_cndmask_b32 v44, v30, v58, s4
	s_delay_alu instid0(VALU_DEP_2) | instskip(NEXT) | instid1(VALU_DEP_1)
	v_cmp_nlt_f64_e64 s5, v[62:63], v[42:43]
	v_dual_cndmask_b32 v65, v63, v43, s5 :: v_dual_cndmask_b32 v64, v62, v42, s5
	s_and_b32 s3, s4, s5
	v_dual_cndmask_b32 v31, v43, v63, s5 :: v_dual_cndmask_b32 v30, v42, v62, s5
	s_delay_alu instid0(VALU_DEP_2) | instskip(NEXT) | instid1(VALU_DEP_1)
	v_cmp_nlt_f64_e64 s6, v[64:65], v[40:41]
	v_dual_cndmask_b32 v67, v65, v41, s6 :: v_dual_cndmask_b32 v66, v64, v40, s6
	s_and_b32 s3, s3, s6
	;; [unrolled: 5-line block ×6, first 2 shown]
	v_dual_cndmask_b32 v49, v51, v73, s10 :: v_dual_cndmask_b32 v48, v50, v72, s10
	s_and_b32 s2, s3, s2
	s_delay_alu instid0(VALU_DEP_2) | instskip(SKIP_1) | instid1(SALU_CYCLE_1)
	v_mov_b64_e32 v[50:51], v[52:53]
	s_and_b32 s1, s2, s1
	s_and_b32 s1, exec_lo, s1
	s_delay_alu instid0(SALU_CYCLE_1) | instskip(NEXT) | instid1(SALU_CYCLE_1)
	s_or_b32 s43, s1, s43
	s_and_not1_b32 exec_lo, exec_lo, s43
	s_cbranch_execnz .LBB197_173
; %bb.174:                              ;   in Loop: Header=BB197_162 Depth=1
	s_or_b32 exec_lo, exec_lo, s43
	v_add_f64_e32 v[28:29], -1.0, v[28:29]
	v_cmp_eq_f64_e64 s1, 0, v[8:9]
	v_cmp_class_f64_e64 s4, v[8:9], 0x204
	v_cmp_class_f64_e64 s5, v[6:7], 0x204
	s_delay_alu instid0(VALU_DEP_4) | instskip(NEXT) | instid1(VALU_DEP_1)
	v_add_f64_e32 v[28:29], v[28:29], v[34:35]
	v_add_f64_e32 v[28:29], v[28:29], v[46:47]
	s_delay_alu instid0(VALU_DEP_1) | instskip(NEXT) | instid1(VALU_DEP_1)
	v_add_f64_e32 v[28:29], v[28:29], v[32:33]
	v_add_f64_e32 v[28:29], v[28:29], v[44:45]
	s_delay_alu instid0(VALU_DEP_1) | instskip(NEXT) | instid1(VALU_DEP_1)
	;; [unrolled: 3-line block ×5, first 2 shown]
	v_add_f64_e32 v[32:33], v[52:53], v[28:29]
	v_add_f64_e32 v[28:29], 1.0, v[32:33]
	v_cmp_neq_f64_e64 s3, 0x7ff00000, v[32:33]
	s_delay_alu instid0(VALU_DEP_2) | instskip(SKIP_2) | instid1(VALU_DEP_3)
	v_frexp_mant_f64_e32 v[30:31], v[28:29]
	v_frexp_exp_i32_f64_e32 v21, v[28:29]
	v_add_f64_e32 v[34:35], -1.0, v[28:29]
	v_cmp_gt_f64_e32 vcc_lo, s[20:21], v[30:31]
	s_delay_alu instid0(VALU_DEP_2) | instskip(SKIP_2) | instid1(VALU_DEP_1)
	v_add_f64_e64 v[30:31], v[34:35], -v[28:29]
	v_add_f64_e64 v[34:35], v[32:33], -v[34:35]
	v_subrev_co_ci_u32_e64 v21, null, 0, v21, vcc_lo
	v_dual_add_f64 v[30:31], 1.0, v[30:31] :: v_dual_sub_nc_u32 v38, 0, v21
	s_delay_alu instid0(VALU_DEP_1) | instskip(NEXT) | instid1(VALU_DEP_2)
	v_ldexp_f64 v[28:29], v[28:29], v38
	v_add_f64_e32 v[30:31], v[34:35], v[30:31]
	s_delay_alu instid0(VALU_DEP_2) | instskip(SKIP_1) | instid1(VALU_DEP_3)
	v_add_f64_e32 v[36:37], 1.0, v[28:29]
	v_add_f64_e32 v[42:43], -1.0, v[28:29]
	v_ldexp_f64 v[30:31], v[30:31], v38
	s_delay_alu instid0(VALU_DEP_3) | instskip(NEXT) | instid1(VALU_DEP_3)
	v_add_f64_e32 v[34:35], -1.0, v[36:37]
	v_add_f64_e32 v[44:45], 1.0, v[42:43]
	s_delay_alu instid0(VALU_DEP_2) | instskip(NEXT) | instid1(VALU_DEP_2)
	v_add_f64_e64 v[34:35], v[28:29], -v[34:35]
	v_add_f64_e64 v[28:29], v[28:29], -v[44:45]
	s_delay_alu instid0(VALU_DEP_2) | instskip(NEXT) | instid1(VALU_DEP_2)
	v_add_f64_e32 v[34:35], v[30:31], v[34:35]
	v_add_f64_e32 v[28:29], v[30:31], v[28:29]
	s_delay_alu instid0(VALU_DEP_2) | instskip(NEXT) | instid1(VALU_DEP_2)
	v_add_f64_e32 v[38:39], v[36:37], v[34:35]
	v_add_f64_e32 v[44:45], v[42:43], v[28:29]
	s_delay_alu instid0(VALU_DEP_2) | instskip(SKIP_1) | instid1(VALU_DEP_2)
	v_rcp_f64_e32 v[40:41], v[38:39]
	v_add_f64_e64 v[36:37], v[38:39], -v[36:37]
	v_add_f64_e64 v[42:43], v[44:45], -v[42:43]
	s_delay_alu instid0(VALU_DEP_2) | instskip(NEXT) | instid1(VALU_DEP_2)
	v_add_f64_e64 v[34:35], v[34:35], -v[36:37]
	v_add_f64_e64 v[28:29], v[28:29], -v[42:43]
	s_delay_alu instid0(TRANS32_DEP_1) | instskip(NEXT) | instid1(VALU_DEP_1)
	v_fma_f64 v[46:47], -v[38:39], v[40:41], 1.0
	v_fmac_f64_e32 v[40:41], v[46:47], v[40:41]
	s_delay_alu instid0(VALU_DEP_1) | instskip(NEXT) | instid1(VALU_DEP_1)
	v_fma_f64 v[30:31], -v[38:39], v[40:41], 1.0
	v_fmac_f64_e32 v[40:41], v[30:31], v[40:41]
	s_delay_alu instid0(VALU_DEP_1) | instskip(NEXT) | instid1(VALU_DEP_1)
	v_mul_f64_e32 v[30:31], v[44:45], v[40:41]
	v_mul_f64_e32 v[46:47], v[38:39], v[30:31]
	s_delay_alu instid0(VALU_DEP_1) | instskip(NEXT) | instid1(VALU_DEP_1)
	v_fma_f64 v[36:37], v[30:31], v[38:39], -v[46:47]
	v_fmac_f64_e32 v[36:37], v[30:31], v[34:35]
	s_delay_alu instid0(VALU_DEP_1) | instskip(NEXT) | instid1(VALU_DEP_1)
	v_add_f64_e32 v[48:49], v[46:47], v[36:37]
	v_add_f64_e64 v[50:51], v[44:45], -v[48:49]
	v_add_f64_e64 v[42:43], v[48:49], -v[46:47]
	s_delay_alu instid0(VALU_DEP_2) | instskip(NEXT) | instid1(VALU_DEP_2)
	v_add_f64_e64 v[44:45], v[44:45], -v[50:51]
	v_add_f64_e64 v[36:37], v[42:43], -v[36:37]
	s_delay_alu instid0(VALU_DEP_2) | instskip(NEXT) | instid1(VALU_DEP_1)
	v_add_f64_e64 v[44:45], v[44:45], -v[48:49]
	v_add_f64_e32 v[28:29], v[28:29], v[44:45]
	s_delay_alu instid0(VALU_DEP_1) | instskip(NEXT) | instid1(VALU_DEP_1)
	v_add_f64_e32 v[28:29], v[36:37], v[28:29]
	v_add_f64_e32 v[36:37], v[50:51], v[28:29]
	s_delay_alu instid0(VALU_DEP_1) | instskip(SKIP_1) | instid1(VALU_DEP_2)
	v_mul_f64_e32 v[42:43], v[40:41], v[36:37]
	v_add_f64_e64 v[48:49], v[50:51], -v[36:37]
	v_mul_f64_e32 v[44:45], v[38:39], v[42:43]
	s_delay_alu instid0(VALU_DEP_2) | instskip(NEXT) | instid1(VALU_DEP_2)
	v_add_f64_e32 v[28:29], v[28:29], v[48:49]
	v_fma_f64 v[38:39], v[42:43], v[38:39], -v[44:45]
	s_delay_alu instid0(VALU_DEP_1) | instskip(NEXT) | instid1(VALU_DEP_1)
	v_fmac_f64_e32 v[38:39], v[42:43], v[34:35]
	v_add_f64_e32 v[34:35], v[44:45], v[38:39]
	s_delay_alu instid0(VALU_DEP_1) | instskip(SKIP_1) | instid1(VALU_DEP_2)
	v_add_f64_e64 v[46:47], v[36:37], -v[34:35]
	v_add_f64_e64 v[44:45], v[34:35], -v[44:45]
	;; [unrolled: 1-line block ×3, first 2 shown]
	s_delay_alu instid0(VALU_DEP_1) | instskip(NEXT) | instid1(VALU_DEP_3)
	v_add_f64_e64 v[34:35], v[36:37], -v[34:35]
	v_add_f64_e64 v[36:37], v[44:45], -v[38:39]
	v_max_num_f64_e64 v[38:39], |v[6:7]|, |v[6:7]|
	s_delay_alu instid0(VALU_DEP_3) | instskip(SKIP_1) | instid1(VALU_DEP_2)
	v_add_f64_e32 v[28:29], v[28:29], v[34:35]
	v_add_f64_e32 v[34:35], v[30:31], v[42:43]
	;; [unrolled: 1-line block ×3, first 2 shown]
	s_delay_alu instid0(VALU_DEP_2) | instskip(SKIP_1) | instid1(VALU_DEP_3)
	v_add_f64_e64 v[30:31], v[34:35], -v[30:31]
	v_max_num_f64_e64 v[36:37], |v[8:9]|, |v[8:9]|
	v_add_f64_e32 v[28:29], v[46:47], v[28:29]
	s_delay_alu instid0(VALU_DEP_3) | instskip(NEXT) | instid1(VALU_DEP_2)
	v_add_f64_e64 v[30:31], v[42:43], -v[30:31]
	v_mul_f64_e32 v[28:29], v[40:41], v[28:29]
	s_delay_alu instid0(VALU_DEP_1) | instskip(SKIP_2) | instid1(VALU_DEP_3)
	v_add_f64_e32 v[28:29], v[30:31], v[28:29]
	v_max_num_f64_e32 v[30:31], v[38:39], v[36:37]
	v_min_num_f64_e32 v[36:37], v[38:39], v[36:37]
	v_add_f64_e32 v[38:39], v[34:35], v[28:29]
	s_delay_alu instid0(VALU_DEP_2) | instskip(NEXT) | instid1(VALU_DEP_2)
	v_div_scale_f64 v[40:41], null, v[30:31], v[30:31], v[36:37]
	v_mul_f64_e32 v[42:43], v[38:39], v[38:39]
	v_add_f64_e64 v[34:35], v[38:39], -v[34:35]
	s_delay_alu instid0(VALU_DEP_3) | instskip(NEXT) | instid1(VALU_DEP_2)
	v_rcp_f64_e32 v[44:45], v[40:41]
	v_fmamk_f64 v[46:47], v[42:43], 0x3fc3ab76bf559e2b, v[22:23]
	v_mul_f64_e32 v[48:49], v[38:39], v[42:43]
	s_delay_alu instid0(VALU_DEP_3) | instskip(NEXT) | instid1(VALU_DEP_3)
	v_add_f64_e64 v[28:29], v[28:29], -v[34:35]
	v_fmaak_f64 v[46:47], v[42:43], v[46:47], 0x3fc7474dd7f4df2e
	s_delay_alu instid0(TRANS32_DEP_1) | instskip(NEXT) | instid1(VALU_DEP_2)
	v_fma_f64 v[50:51], -v[40:41], v[44:45], 1.0
	v_fmaak_f64 v[46:47], v[42:43], v[46:47], 0x3fcc71c016291751
	s_delay_alu instid0(VALU_DEP_1) | instskip(NEXT) | instid1(VALU_DEP_1)
	v_fmaak_f64 v[46:47], v[42:43], v[46:47], 0x3fd249249b27acf1
	v_fmaak_f64 v[46:47], v[42:43], v[46:47], 0x3fd99999998ef7b6
	v_ldexp_f64 v[28:29], v[28:29], 1
	s_delay_alu instid0(VALU_DEP_2) | instskip(SKIP_2) | instid1(VALU_DEP_3)
	v_fmaak_f64 v[42:43], v[42:43], v[46:47], 0x3fe5555555555780
	v_ldexp_f64 v[46:47], v[38:39], 1
	v_fmac_f64_e32 v[44:45], v[44:45], v[50:51]
	v_mul_f64_e32 v[42:43], v[48:49], v[42:43]
	v_cvt_f64_i32_e32 v[48:49], v21
	v_ashrrev_i32_e32 v21, 31, v7
	s_delay_alu instid0(VALU_DEP_4) | instskip(NEXT) | instid1(VALU_DEP_4)
	v_fma_f64 v[50:51], -v[40:41], v[44:45], 1.0
	v_add_f64_e32 v[38:39], v[46:47], v[42:43]
	s_delay_alu instid0(VALU_DEP_4) | instskip(NEXT) | instid1(VALU_DEP_3)
	v_mul_f64_e32 v[52:53], 0x3fe62e42fefa39ef, v[48:49]
	v_fmac_f64_e32 v[44:45], v[44:45], v[50:51]
	s_delay_alu instid0(VALU_DEP_3) | instskip(SKIP_1) | instid1(VALU_DEP_4)
	v_add_f64_e64 v[34:35], v[38:39], -v[46:47]
	v_div_scale_f64 v[46:47], vcc_lo, v[36:37], v[30:31], v[36:37]
	v_fma_f64 v[50:51], v[48:49], s[22:23], -v[52:53]
	s_delay_alu instid0(VALU_DEP_3) | instskip(NEXT) | instid1(VALU_DEP_3)
	v_add_f64_e64 v[34:35], v[42:43], -v[34:35]
	v_mul_f64_e32 v[42:43], v[46:47], v[44:45]
	s_delay_alu instid0(VALU_DEP_3) | instskip(NEXT) | instid1(VALU_DEP_3)
	v_fmac_f64_e32 v[50:51], 0x3c7abc9e3b39803f, v[48:49]
	v_add_f64_e32 v[28:29], v[28:29], v[34:35]
	s_delay_alu instid0(VALU_DEP_3) | instskip(NEXT) | instid1(VALU_DEP_3)
	v_fma_f64 v[34:35], -v[40:41], v[42:43], v[46:47]
	v_add_f64_e32 v[40:41], v[52:53], v[50:51]
	s_delay_alu instid0(VALU_DEP_3) | instskip(NEXT) | instid1(VALU_DEP_3)
	v_add_f64_e32 v[46:47], v[38:39], v[28:29]
	v_div_fmas_f64 v[34:35], v[34:35], v[44:45], v[42:43]
	v_cmp_gt_i32_e32 vcc_lo, 0, v7
	s_delay_alu instid0(VALU_DEP_4) | instskip(SKIP_2) | instid1(VALU_DEP_1)
	v_add_f64_e64 v[44:45], v[40:41], -v[52:53]
	v_and_b32_e32 v7, 0x400921fb, v21
	v_cndmask_b32_e32 v6, 0x3fe921fb, v61, vcc_lo
	v_bfi_b32 v6, 0x7fffffff, v6, v9
	v_add_f64_e32 v[42:43], v[40:41], v[46:47]
	v_div_fixup_f64 v[30:31], v[34:35], v[30:31], v[36:37]
	v_add_f64_e64 v[38:39], v[46:47], -v[38:39]
	v_add_f64_e64 v[44:45], v[50:51], -v[44:45]
	s_delay_alu instid0(VALU_DEP_4) | instskip(NEXT) | instid1(VALU_DEP_4)
	v_add_f64_e64 v[34:35], v[42:43], -v[40:41]
	v_mul_f64_e32 v[36:37], v[30:31], v[30:31]
	s_delay_alu instid0(VALU_DEP_4) | instskip(NEXT) | instid1(VALU_DEP_3)
	v_add_f64_e64 v[28:29], v[28:29], -v[38:39]
	v_add_f64_e64 v[48:49], v[42:43], -v[34:35]
	s_delay_alu instid0(VALU_DEP_3) | instskip(SKIP_1) | instid1(VALU_DEP_4)
	v_fmamk_f64 v[52:53], v[36:37], 0x3eeba404b5e68a13, v[24:25]
	v_add_f64_e64 v[34:35], v[46:47], -v[34:35]
	v_add_f64_e32 v[46:47], v[44:45], v[28:29]
	s_delay_alu instid0(VALU_DEP_3) | instskip(SKIP_1) | instid1(VALU_DEP_2)
	v_fmaak_f64 v[52:53], v[36:37], v[52:53], 0x3f4b2bb069efb384
	v_add_f64_e64 v[38:39], v[40:41], -v[48:49]
	v_fmaak_f64 v[40:41], v[36:37], v[52:53], 0xbf67952daf56de9b
	s_delay_alu instid0(VALU_DEP_1) | instskip(NEXT) | instid1(VALU_DEP_1)
	v_fmaak_f64 v[40:41], v[36:37], v[40:41], 0x3f7d6d43a595c56f
	v_fmaak_f64 v[40:41], v[36:37], v[40:41], 0xbf8c6ea4a57d9582
	s_delay_alu instid0(VALU_DEP_1) | instskip(NEXT) | instid1(VALU_DEP_1)
	v_fmaak_f64 v[40:41], v[36:37], v[40:41], 0x3f967e295f08b19f
	v_fmaak_f64 v[40:41], v[36:37], v[40:41], 0xbf9e9ae6fc27006a
	v_add_f64_e32 v[34:35], v[34:35], v[38:39]
	s_delay_alu instid0(VALU_DEP_2) | instskip(SKIP_1) | instid1(VALU_DEP_2)
	v_fmaak_f64 v[38:39], v[36:37], v[40:41], 0x3fa2c15b5711927a
	v_add_f64_e64 v[40:41], v[46:47], -v[44:45]
	v_fmaak_f64 v[38:39], v[36:37], v[38:39], 0xbfa59976e82d3ff0
	s_delay_alu instid0(VALU_DEP_1) | instskip(NEXT) | instid1(VALU_DEP_1)
	v_fmaak_f64 v[38:39], v[36:37], v[38:39], 0x3fa82d5d6ef28734
	v_fmaak_f64 v[38:39], v[36:37], v[38:39], 0xbfaae5ce6a214619
	s_delay_alu instid0(VALU_DEP_1) | instskip(SKIP_3) | instid1(VALU_DEP_4)
	v_fmaak_f64 v[38:39], v[36:37], v[38:39], 0x3fae1bb48427b883
	v_add_f64_e32 v[34:35], v[46:47], v[34:35]
	v_add_f64_e64 v[46:47], v[46:47], -v[40:41]
	v_add_f64_e64 v[28:29], v[28:29], -v[40:41]
	v_fmaak_f64 v[38:39], v[36:37], v[38:39], 0xbfb110e48b207f05
	s_delay_alu instid0(VALU_DEP_1) | instskip(NEXT) | instid1(VALU_DEP_1)
	v_fmaak_f64 v[38:39], v[36:37], v[38:39], 0x3fb3b13657b87036
	v_fmaak_f64 v[38:39], v[36:37], v[38:39], 0xbfb745d119378e4f
	s_delay_alu instid0(VALU_DEP_1) | instskip(SKIP_1) | instid1(VALU_DEP_2)
	v_fmaak_f64 v[38:39], v[36:37], v[38:39], 0x3fbc71c717e1913c
	v_add_f64_e32 v[48:49], v[42:43], v[34:35]
	v_fmaak_f64 v[38:39], v[36:37], v[38:39], 0xbfc2492492376b7d
	s_delay_alu instid0(VALU_DEP_1) | instskip(NEXT) | instid1(VALU_DEP_1)
	v_fmaak_f64 v[38:39], v[36:37], v[38:39], 0x3fc99999999952cc
	v_fmaak_f64 v[38:39], v[36:37], v[38:39], 0xbfd5555555555523
	s_delay_alu instid0(VALU_DEP_1) | instskip(SKIP_2) | instid1(VALU_DEP_3)
	v_mul_f64_e32 v[36:37], v[36:37], v[38:39]
	v_add_f64_e64 v[38:39], v[44:45], -v[46:47]
	v_add_f64_e64 v[40:41], v[48:49], -v[42:43]
	v_fmac_f64_e32 v[30:31], v[30:31], v[36:37]
	s_delay_alu instid0(VALU_DEP_3) | instskip(NEXT) | instid1(VALU_DEP_3)
	v_add_f64_e32 v[28:29], v[28:29], v[38:39]
	v_add_f64_e64 v[34:35], v[34:35], -v[40:41]
	s_delay_alu instid0(VALU_DEP_3) | instskip(NEXT) | instid1(VALU_DEP_1)
	v_add_f64_e64 v[36:37], -v[30:31], s[24:25]
	v_dual_add_f64 v[28:29], v[28:29], v[34:35] :: v_dual_cndmask_b32 v31, v31, v37, s0
	s_delay_alu instid0(VALU_DEP_2) | instskip(SKIP_2) | instid1(VALU_DEP_3)
	v_cndmask_b32_e64 v30, v30, v36, s0
	v_cndmask_b32_e32 v36, 0x54442d18, v60, vcc_lo
	v_and_b32_e32 v37, 0x54442d18, v21
	v_add_f64_e64 v[34:35], -v[30:31], s[26:27]
	s_delay_alu instid0(VALU_DEP_1) | instskip(NEXT) | instid1(VALU_DEP_2)
	v_dual_add_f64 v[28:29], v[48:49], v[28:29] :: v_dual_cndmask_b32 v30, v30, v34, vcc_lo
	v_cndmask_b32_e32 v21, v31, v35, vcc_lo
	v_cmp_ngt_f64_e32 vcc_lo, -1.0, v[32:33]
	s_delay_alu instid0(VALU_DEP_3) | instskip(NEXT) | instid1(VALU_DEP_3)
	v_mul_f64_e32 v[28:29], 0.5, v[28:29]
	v_dual_cndmask_b32 v34, v30, v37, s1 :: v_dual_cndmask_b32 v7, v21, v7, s1
	s_delay_alu instid0(VALU_DEP_2) | instskip(NEXT) | instid1(VALU_DEP_1)
	v_cndmask_b32_e64 v29, 0x7ff00000, v29, s3
	v_cndmask_b32_e32 v21, 0x7ff80000, v29, vcc_lo
	s_and_b32 vcc_lo, s5, s4
	s_delay_alu instid0(VALU_DEP_3) | instskip(SKIP_2) | instid1(SALU_CYCLE_1)
	v_cndmask_b32_e32 v29, v7, v6, vcc_lo
	v_cmp_nge_f64_e64 s2, -1.0, v[32:33]
	s_and_b32 s1, s2, s3
	v_cndmask_b32_e64 v30, 0, v28, s1
	v_cmp_neq_f64_e64 s1, -1.0, v[32:33]
	v_cndmask_b32_e32 v28, v34, v36, vcc_lo
	s_delay_alu instid0(VALU_DEP_2)
	v_cndmask_b32_e64 v31, 0xfff00000, v21, s1
.LBB197_175:                            ;   in Loop: Header=BB197_162 Depth=1
	s_or_b32 exec_lo, exec_lo, s42
.LBB197_176:                            ;   in Loop: Header=BB197_162 Depth=1
	s_delay_alu instid0(SALU_CYCLE_1)
	s_or_b32 exec_lo, exec_lo, s41
.LBB197_177:                            ;   in Loop: Header=BB197_162 Depth=1
	s_and_not1_saveexec_b32 s3, s40
	s_cbranch_execz .LBB197_179
; %bb.178:                              ;   in Loop: Header=BB197_162 Depth=1
	v_max_num_f64_e64 v[28:29], |v[8:9]|, |v[8:9]|
	v_max_num_f64_e64 v[30:31], |v[6:7]|, |v[6:7]|
	v_cmp_class_f64_e64 s4, v[6:7], 0x204
	v_cmp_class_f64_e64 s5, v[8:9], 0x204
	v_cmp_eq_f64_e64 s2, 0, v[8:9]
	s_delay_alu instid0(VALU_DEP_4) | instskip(SKIP_2) | instid1(VALU_DEP_2)
	v_max_num_f64_e32 v[32:33], v[30:31], v[28:29]
	v_min_num_f64_e32 v[28:29], v[30:31], v[28:29]
	s_or_b32 s1, s4, s5
	v_frexp_exp_i32_f64_e32 v21, v[32:33]
	s_delay_alu instid0(VALU_DEP_1) | instskip(NEXT) | instid1(VALU_DEP_1)
	v_sub_nc_u32_e32 v36, 0, v21
	v_ldexp_f64 v[34:35], |v[8:9]|, v36
	s_delay_alu instid0(VALU_DEP_1) | instskip(SKIP_1) | instid1(VALU_DEP_1)
	v_mul_f64_e32 v[34:35], v[34:35], v[34:35]
	v_ldexp_f64 v[36:37], |v[6:7]|, v36
	v_fmac_f64_e32 v[34:35], v[36:37], v[36:37]
	s_delay_alu instid0(VALU_DEP_1) | instskip(SKIP_1) | instid1(TRANS32_DEP_1)
	v_rsq_f64_e32 v[36:37], v[34:35]
	v_cmp_eq_f64_e32 vcc_lo, 0, v[34:35]
	v_mul_f64_e32 v[38:39], v[34:35], v[36:37]
	v_mul_f64_e32 v[36:37], 0.5, v[36:37]
	s_delay_alu instid0(VALU_DEP_1) | instskip(NEXT) | instid1(VALU_DEP_1)
	v_fma_f64 v[40:41], -v[36:37], v[38:39], 0.5
	v_fmac_f64_e32 v[38:39], v[38:39], v[40:41]
	v_fmac_f64_e32 v[36:37], v[36:37], v[40:41]
	s_delay_alu instid0(VALU_DEP_2) | instskip(NEXT) | instid1(VALU_DEP_1)
	v_fma_f64 v[40:41], -v[38:39], v[38:39], v[34:35]
	v_fmac_f64_e32 v[38:39], v[40:41], v[36:37]
	s_delay_alu instid0(VALU_DEP_1) | instskip(NEXT) | instid1(VALU_DEP_1)
	v_dual_cndmask_b32 v35, v39, v35 :: v_dual_cndmask_b32 v34, v38, v34
	v_ldexp_f64 v[34:35], v[34:35], v21
	v_ashrrev_i32_e32 v21, 31, v7
	s_delay_alu instid0(VALU_DEP_2) | instskip(NEXT) | instid1(VALU_DEP_3)
	v_cndmask_b32_e64 v35, v35, 0x7ff00000, s1
	v_cndmask_b32_e64 v34, v34, 0, s1
	s_delay_alu instid0(VALU_DEP_1) | instskip(SKIP_1) | instid1(VALU_DEP_2)
	v_frexp_mant_f64_e32 v[36:37], v[34:35]
	v_cmp_class_f64_e64 s1, v[34:35], 0x204
	v_cmp_gt_f64_e32 vcc_lo, s[20:21], v[36:37]
	v_cndmask_b32_e64 v6, 0, 1, vcc_lo
	s_delay_alu instid0(VALU_DEP_1) | instskip(SKIP_1) | instid1(VALU_DEP_2)
	v_ldexp_f64 v[36:37], v[36:37], v6
	v_frexp_exp_i32_f64_e32 v6, v[34:35]
	v_add_f64_e32 v[38:39], 1.0, v[36:37]
	v_add_f64_e32 v[44:45], -1.0, v[36:37]
	s_delay_alu instid0(VALU_DEP_3) | instskip(SKIP_1) | instid1(VALU_DEP_4)
	v_subrev_co_ci_u32_e64 v6, null, 0, v6, vcc_lo
	v_div_scale_f64 v[52:53], vcc_lo, v[28:29], v[32:33], v[28:29]
	v_rcp_f64_e32 v[40:41], v[38:39]
	v_add_f64_e32 v[46:47], -1.0, v[38:39]
	s_delay_alu instid0(VALU_DEP_1) | instskip(NEXT) | instid1(TRANS32_DEP_1)
	v_add_f64_e64 v[36:37], v[36:37], -v[46:47]
	v_fma_f64 v[42:43], -v[38:39], v[40:41], 1.0
	s_delay_alu instid0(VALU_DEP_1) | instskip(NEXT) | instid1(VALU_DEP_1)
	v_fmac_f64_e32 v[40:41], v[42:43], v[40:41]
	v_fma_f64 v[42:43], -v[38:39], v[40:41], 1.0
	s_delay_alu instid0(VALU_DEP_1) | instskip(NEXT) | instid1(VALU_DEP_1)
	v_fmac_f64_e32 v[40:41], v[42:43], v[40:41]
	v_mul_f64_e32 v[42:43], v[44:45], v[40:41]
	s_delay_alu instid0(VALU_DEP_1) | instskip(NEXT) | instid1(VALU_DEP_1)
	v_mul_f64_e32 v[48:49], v[38:39], v[42:43]
	v_fma_f64 v[38:39], v[42:43], v[38:39], -v[48:49]
	s_delay_alu instid0(VALU_DEP_1) | instskip(NEXT) | instid1(VALU_DEP_1)
	v_fmac_f64_e32 v[38:39], v[42:43], v[36:37]
	v_add_f64_e32 v[36:37], v[48:49], v[38:39]
	s_delay_alu instid0(VALU_DEP_1) | instskip(SKIP_1) | instid1(VALU_DEP_2)
	v_add_f64_e64 v[46:47], v[44:45], -v[36:37]
	v_add_f64_e64 v[48:49], v[36:37], -v[48:49]
	;; [unrolled: 1-line block ×3, first 2 shown]
	s_delay_alu instid0(VALU_DEP_2) | instskip(NEXT) | instid1(VALU_DEP_2)
	v_add_f64_e64 v[38:39], v[48:49], -v[38:39]
	v_add_f64_e64 v[36:37], v[44:45], -v[36:37]
	s_delay_alu instid0(VALU_DEP_1) | instskip(NEXT) | instid1(VALU_DEP_1)
	v_add_f64_e32 v[36:37], v[38:39], v[36:37]
	v_add_f64_e32 v[36:37], v[46:47], v[36:37]
	s_delay_alu instid0(VALU_DEP_1) | instskip(SKIP_1) | instid1(VALU_DEP_2)
	v_mul_f64_e32 v[30:31], v[40:41], v[36:37]
	v_div_scale_f64 v[36:37], null, v[32:33], v[32:33], v[28:29]
	v_add_f64_e32 v[38:39], v[42:43], v[30:31]
	s_delay_alu instid0(VALU_DEP_2) | instskip(NEXT) | instid1(VALU_DEP_1)
	v_rcp_f64_e32 v[40:41], v[36:37]
	v_mul_f64_e32 v[44:45], v[38:39], v[38:39]
	s_delay_alu instid0(TRANS32_DEP_1) | instskip(NEXT) | instid1(VALU_DEP_2)
	v_fma_f64 v[48:49], -v[36:37], v[40:41], 1.0
	v_fmamk_f64 v[46:47], v[44:45], 0x3fc3ab76bf559e2b, v[22:23]
	v_mul_f64_e32 v[50:51], v[38:39], v[44:45]
	s_delay_alu instid0(VALU_DEP_2) | instskip(NEXT) | instid1(VALU_DEP_4)
	v_fmaak_f64 v[46:47], v[44:45], v[46:47], 0x3fc7474dd7f4df2e
	v_fmac_f64_e32 v[40:41], v[40:41], v[48:49]
	s_delay_alu instid0(VALU_DEP_2) | instskip(NEXT) | instid1(VALU_DEP_1)
	v_fmaak_f64 v[46:47], v[44:45], v[46:47], 0x3fcc71c016291751
	v_fmaak_f64 v[46:47], v[44:45], v[46:47], 0x3fd249249b27acf1
	s_delay_alu instid0(VALU_DEP_1) | instskip(NEXT) | instid1(VALU_DEP_1)
	v_fmaak_f64 v[46:47], v[44:45], v[46:47], 0x3fd99999998ef7b6
	v_fmaak_f64 v[44:45], v[44:45], v[46:47], 0x3fe5555555555780
	v_ldexp_f64 v[46:47], v[38:39], 1
	v_add_f64_e64 v[38:39], v[38:39], -v[42:43]
	v_fma_f64 v[48:49], -v[36:37], v[40:41], 1.0
	s_delay_alu instid0(VALU_DEP_4) | instskip(SKIP_1) | instid1(VALU_DEP_4)
	v_mul_f64_e32 v[44:45], v[50:51], v[44:45]
	v_cvt_f64_i32_e32 v[50:51], v6
	v_add_f64_e64 v[30:31], v[30:31], -v[38:39]
	s_delay_alu instid0(VALU_DEP_4) | instskip(NEXT) | instid1(VALU_DEP_4)
	v_fmac_f64_e32 v[40:41], v[40:41], v[48:49]
	v_add_f64_e32 v[42:43], v[46:47], v[44:45]
	s_delay_alu instid0(VALU_DEP_4) | instskip(NEXT) | instid1(VALU_DEP_4)
	v_mul_f64_e32 v[48:49], 0x3fe62e42fefa39ef, v[50:51]
	v_ldexp_f64 v[30:31], v[30:31], 1
	s_delay_alu instid0(VALU_DEP_3) | instskip(SKIP_1) | instid1(VALU_DEP_4)
	v_add_f64_e64 v[38:39], v[42:43], -v[46:47]
	v_mul_f64_e32 v[46:47], v[52:53], v[40:41]
	v_fma_f64 v[54:55], v[50:51], s[22:23], -v[48:49]
	s_delay_alu instid0(VALU_DEP_3) | instskip(NEXT) | instid1(VALU_DEP_3)
	v_add_f64_e64 v[38:39], v[44:45], -v[38:39]
	v_fma_f64 v[36:37], -v[36:37], v[46:47], v[52:53]
	s_delay_alu instid0(VALU_DEP_3) | instskip(NEXT) | instid1(VALU_DEP_3)
	v_fmac_f64_e32 v[54:55], 0x3c7abc9e3b39803f, v[50:51]
	v_add_f64_e32 v[30:31], v[30:31], v[38:39]
	s_delay_alu instid0(VALU_DEP_3) | instskip(NEXT) | instid1(VALU_DEP_3)
	v_div_fmas_f64 v[36:37], v[36:37], v[40:41], v[46:47]
	v_add_f64_e32 v[38:39], v[48:49], v[54:55]
	v_cmp_gt_i32_e32 vcc_lo, 0, v7
	s_delay_alu instid0(VALU_DEP_4) | instskip(NEXT) | instid1(VALU_DEP_4)
	v_add_f64_e32 v[40:41], v[42:43], v[30:31]
	v_div_fixup_f64 v[28:29], v[36:37], v[32:33], v[28:29]
	s_delay_alu instid0(VALU_DEP_4) | instskip(NEXT) | instid1(VALU_DEP_3)
	v_add_f64_e64 v[48:49], v[38:39], -v[48:49]
	v_add_f64_e32 v[32:33], v[38:39], v[40:41]
	s_delay_alu instid0(VALU_DEP_3) | instskip(SKIP_1) | instid1(VALU_DEP_4)
	v_mul_f64_e32 v[36:37], v[28:29], v[28:29]
	v_add_f64_e64 v[42:43], v[40:41], -v[42:43]
	v_add_f64_e64 v[48:49], v[54:55], -v[48:49]
	s_delay_alu instid0(VALU_DEP_4) | instskip(NEXT) | instid1(VALU_DEP_4)
	v_add_f64_e64 v[44:45], v[32:33], -v[38:39]
	v_fmamk_f64 v[46:47], v[36:37], 0x3eeba404b5e68a13, v[24:25]
	s_delay_alu instid0(VALU_DEP_4) | instskip(NEXT) | instid1(VALU_DEP_2)
	v_add_f64_e64 v[30:31], v[30:31], -v[42:43]
	v_fmaak_f64 v[46:47], v[36:37], v[46:47], 0x3f4b2bb069efb384
	s_delay_alu instid0(VALU_DEP_1) | instskip(NEXT) | instid1(VALU_DEP_1)
	v_fmaak_f64 v[46:47], v[36:37], v[46:47], 0xbf67952daf56de9b
	v_fmaak_f64 v[46:47], v[36:37], v[46:47], 0x3f7d6d43a595c56f
	s_delay_alu instid0(VALU_DEP_1) | instskip(SKIP_3) | instid1(VALU_DEP_4)
	v_fmaak_f64 v[46:47], v[36:37], v[46:47], 0xbf8c6ea4a57d9582
	v_add_f64_e64 v[50:51], v[32:33], -v[44:45]
	v_add_f64_e64 v[40:41], v[40:41], -v[44:45]
	v_add_f64_e32 v[44:45], v[48:49], v[30:31]
	v_fmaak_f64 v[46:47], v[36:37], v[46:47], 0x3f967e295f08b19f
	s_delay_alu instid0(VALU_DEP_1) | instskip(NEXT) | instid1(VALU_DEP_1)
	v_fmaak_f64 v[42:43], v[36:37], v[46:47], 0xbf9e9ae6fc27006a
	v_fmaak_f64 v[42:43], v[36:37], v[42:43], 0x3fa2c15b5711927a
	s_delay_alu instid0(VALU_DEP_1) | instskip(NEXT) | instid1(VALU_DEP_1)
	v_fmaak_f64 v[42:43], v[36:37], v[42:43], 0xbfa59976e82d3ff0
	v_fmaak_f64 v[42:43], v[36:37], v[42:43], 0x3fa82d5d6ef28734
	v_add_f64_e64 v[38:39], v[38:39], -v[50:51]
	s_delay_alu instid0(VALU_DEP_2) | instskip(NEXT) | instid1(VALU_DEP_2)
	v_fmaak_f64 v[42:43], v[36:37], v[42:43], 0xbfaae5ce6a214619
	v_add_f64_e32 v[38:39], v[40:41], v[38:39]
	s_delay_alu instid0(VALU_DEP_2) | instskip(SKIP_1) | instid1(VALU_DEP_2)
	v_fmaak_f64 v[40:41], v[36:37], v[42:43], 0x3fae1bb48427b883
	v_add_f64_e64 v[42:43], v[44:45], -v[48:49]
	v_fmaak_f64 v[40:41], v[36:37], v[40:41], 0xbfb110e48b207f05
	s_delay_alu instid0(VALU_DEP_1) | instskip(NEXT) | instid1(VALU_DEP_1)
	v_fmaak_f64 v[40:41], v[36:37], v[40:41], 0x3fb3b13657b87036
	v_fmaak_f64 v[40:41], v[36:37], v[40:41], 0xbfb745d119378e4f
	s_delay_alu instid0(VALU_DEP_1) | instskip(SKIP_2) | instid1(VALU_DEP_3)
	v_fmaak_f64 v[40:41], v[36:37], v[40:41], 0x3fbc71c717e1913c
	v_add_f64_e32 v[38:39], v[44:45], v[38:39]
	v_add_f64_e64 v[30:31], v[30:31], -v[42:43]
	v_fmaak_f64 v[40:41], v[36:37], v[40:41], 0xbfc2492492376b7d
	s_delay_alu instid0(VALU_DEP_1) | instskip(NEXT) | instid1(VALU_DEP_1)
	v_fmaak_f64 v[40:41], v[36:37], v[40:41], 0x3fc99999999952cc
	v_fmaak_f64 v[40:41], v[36:37], v[40:41], 0xbfd5555555555523
	s_delay_alu instid0(VALU_DEP_1) | instskip(SKIP_2) | instid1(VALU_DEP_3)
	v_mul_f64_e32 v[36:37], v[36:37], v[40:41]
	v_add_f64_e64 v[40:41], v[44:45], -v[42:43]
	v_add_f64_e32 v[44:45], v[32:33], v[38:39]
	v_fmac_f64_e32 v[28:29], v[28:29], v[36:37]
	s_delay_alu instid0(VALU_DEP_3) | instskip(NEXT) | instid1(VALU_DEP_3)
	v_add_f64_e64 v[36:37], v[48:49], -v[40:41]
	v_add_f64_e64 v[32:33], v[44:45], -v[32:33]
	s_delay_alu instid0(VALU_DEP_3) | instskip(NEXT) | instid1(VALU_DEP_3)
	v_add_f64_e64 v[40:41], -v[28:29], s[24:25]
	v_add_f64_e32 v[30:31], v[30:31], v[36:37]
	v_cndmask_b32_e32 v36, 0x54442d18, v60, vcc_lo
	v_and_b32_e32 v37, 0x54442d18, v21
	v_and_b32_e32 v21, 0x400921fb, v21
	v_add_f64_e64 v[32:33], v[38:39], -v[32:33]
	v_dual_cndmask_b32 v29, v29, v41, s0 :: v_dual_cndmask_b32 v28, v28, v40, s0
	s_delay_alu instid0(VALU_DEP_2) | instskip(NEXT) | instid1(VALU_DEP_2)
	v_add_f64_e32 v[30:31], v[30:31], v[32:33]
	v_add_f64_e64 v[32:33], -v[28:29], s[26:27]
	s_delay_alu instid0(VALU_DEP_2) | instskip(NEXT) | instid1(VALU_DEP_2)
	v_add_f64_e32 v[6:7], v[44:45], v[30:31]
	v_cndmask_b32_e32 v28, v28, v32, vcc_lo
	v_cndmask_b32_e32 v30, 0x3fe921fb, v61, vcc_lo
	s_delay_alu instid0(VALU_DEP_4) | instskip(SKIP_1) | instid1(VALU_DEP_4)
	v_cndmask_b32_e32 v29, v29, v33, vcc_lo
	v_cmp_ngt_f64_e32 vcc_lo, 0, v[34:35]
	v_cndmask_b32_e64 v28, v28, v37, s2
	s_delay_alu instid0(VALU_DEP_4) | instskip(NEXT) | instid1(VALU_DEP_4)
	v_bfi_b32 v30, 0x7fffffff, v30, v9
	v_dual_cndmask_b32 v21, v29, v21, s2 :: v_dual_cndmask_b32 v6, v6, v34, s1
	v_cndmask_b32_e64 v7, v7, v35, s1
	v_cmp_nge_f64_e64 s1, 0, v[34:35]
	s_delay_alu instid0(VALU_DEP_2) | instskip(SKIP_4) | instid1(VALU_DEP_1)
	v_cndmask_b32_e32 v7, 0x7ff80000, v7, vcc_lo
	s_and_b32 vcc_lo, s4, s5
	v_dual_cndmask_b32 v29, v21, v30 :: v_dual_cndmask_b32 v28, v28, v36
	v_cndmask_b32_e64 v30, 0, v6, s1
	v_cmp_neq_f64_e64 s1, 0, v[34:35]
	v_cndmask_b32_e64 v31, 0xfff00000, v7, s1
.LBB197_179:                            ;   in Loop: Header=BB197_162 Depth=1
	s_or_b32 exec_lo, exec_lo, s3
                                        ; implicit-def: $vgpr34_vgpr35
.LBB197_180:                            ;   in Loop: Header=BB197_162 Depth=1
	s_and_not1_saveexec_b32 s3, s39
	s_cbranch_execz .LBB197_186
; %bb.181:                              ;   in Loop: Header=BB197_162 Depth=1
                                        ; implicit-def: $vgpr30_vgpr31
                                        ; implicit-def: $vgpr28_vgpr29
	s_mov_b32 s1, exec_lo
	v_cmpx_ngt_f64_e32 s[30:31], v[34:35]
	s_xor_b32 s4, exec_lo, s1
	s_cbranch_execz .LBB197_183
; %bb.182:                              ;   in Loop: Header=BB197_162 Depth=1
	v_mul_f64_e32 v[28:29], v[34:35], v[34:35]
	v_cmp_eq_f64_e64 s1, 0, v[8:9]
	v_cmp_class_f64_e64 s5, v[8:9], 0x204
	v_cmp_class_f64_e64 s6, v[6:7], 0x204
	s_delay_alu instid0(VALU_DEP_4) | instskip(NEXT) | instid1(VALU_DEP_1)
	v_add_f64_e32 v[30:31], 1.0, v[28:29]
	v_frexp_mant_f64_e32 v[32:33], v[30:31]
	v_frexp_exp_i32_f64_e32 v21, v[30:31]
	v_add_f64_e32 v[34:35], -1.0, v[30:31]
	s_delay_alu instid0(VALU_DEP_3) | instskip(NEXT) | instid1(VALU_DEP_2)
	v_cmp_gt_f64_e32 vcc_lo, s[20:21], v[32:33]
	v_add_f64_e64 v[32:33], v[34:35], -v[30:31]
	s_delay_alu instid0(VALU_DEP_4) | instskip(NEXT) | instid1(VALU_DEP_1)
	v_subrev_co_ci_u32_e64 v21, null, 0, v21, vcc_lo
	v_dual_add_f64 v[34:35], v[28:29], -v[34:35] :: v_dual_sub_nc_u32 v38, 0, v21
	v_cmp_neq_f64_e64 s2, 0x7ff00000, v[28:29]
	s_delay_alu instid0(VALU_DEP_4) | instskip(NEXT) | instid1(VALU_DEP_3)
	v_add_f64_e32 v[32:33], 1.0, v[32:33]
	v_ldexp_f64 v[30:31], v[30:31], v38
	s_delay_alu instid0(VALU_DEP_2) | instskip(NEXT) | instid1(VALU_DEP_2)
	v_add_f64_e32 v[32:33], v[34:35], v[32:33]
	v_add_f64_e32 v[36:37], 1.0, v[30:31]
	v_add_f64_e32 v[42:43], -1.0, v[30:31]
	s_delay_alu instid0(VALU_DEP_3) | instskip(NEXT) | instid1(VALU_DEP_3)
	v_ldexp_f64 v[32:33], v[32:33], v38
	v_add_f64_e32 v[34:35], -1.0, v[36:37]
	s_delay_alu instid0(VALU_DEP_3) | instskip(NEXT) | instid1(VALU_DEP_2)
	v_add_f64_e32 v[44:45], 1.0, v[42:43]
	v_add_f64_e64 v[34:35], v[30:31], -v[34:35]
	s_delay_alu instid0(VALU_DEP_2) | instskip(NEXT) | instid1(VALU_DEP_2)
	v_add_f64_e64 v[30:31], v[30:31], -v[44:45]
	v_add_f64_e32 v[34:35], v[32:33], v[34:35]
	s_delay_alu instid0(VALU_DEP_2) | instskip(NEXT) | instid1(VALU_DEP_2)
	v_add_f64_e32 v[30:31], v[32:33], v[30:31]
	v_add_f64_e32 v[38:39], v[36:37], v[34:35]
	s_delay_alu instid0(VALU_DEP_2) | instskip(NEXT) | instid1(VALU_DEP_2)
	v_add_f64_e32 v[44:45], v[42:43], v[30:31]
	v_rcp_f64_e32 v[40:41], v[38:39]
	v_add_f64_e64 v[36:37], v[36:37], -v[38:39]
	s_delay_alu instid0(VALU_DEP_2) | instskip(NEXT) | instid1(VALU_DEP_2)
	v_add_f64_e64 v[42:43], v[42:43], -v[44:45]
	v_add_f64_e32 v[34:35], v[34:35], v[36:37]
	s_delay_alu instid0(VALU_DEP_2) | instskip(NEXT) | instid1(TRANS32_DEP_1)
	v_add_f64_e32 v[30:31], v[30:31], v[42:43]
	v_fma_f64 v[46:47], -v[38:39], v[40:41], 1.0
	s_delay_alu instid0(VALU_DEP_1) | instskip(NEXT) | instid1(VALU_DEP_1)
	v_fmac_f64_e32 v[40:41], v[46:47], v[40:41]
	v_fma_f64 v[32:33], -v[38:39], v[40:41], 1.0
	s_delay_alu instid0(VALU_DEP_1) | instskip(NEXT) | instid1(VALU_DEP_1)
	v_fmac_f64_e32 v[40:41], v[32:33], v[40:41]
	v_mul_f64_e32 v[32:33], v[44:45], v[40:41]
	s_delay_alu instid0(VALU_DEP_1) | instskip(NEXT) | instid1(VALU_DEP_1)
	v_mul_f64_e32 v[46:47], v[38:39], v[32:33]
	v_fma_f64 v[36:37], v[32:33], v[38:39], -v[46:47]
	s_delay_alu instid0(VALU_DEP_1) | instskip(NEXT) | instid1(VALU_DEP_1)
	v_fmac_f64_e32 v[36:37], v[32:33], v[34:35]
	v_add_f64_e32 v[48:49], v[46:47], v[36:37]
	s_delay_alu instid0(VALU_DEP_1) | instskip(SKIP_1) | instid1(VALU_DEP_2)
	v_add_f64_e64 v[50:51], v[44:45], -v[48:49]
	v_add_f64_e64 v[42:43], v[48:49], -v[46:47]
	;; [unrolled: 1-line block ×3, first 2 shown]
	s_delay_alu instid0(VALU_DEP_2) | instskip(NEXT) | instid1(VALU_DEP_2)
	v_add_f64_e64 v[36:37], v[42:43], -v[36:37]
	v_add_f64_e64 v[44:45], v[44:45], -v[48:49]
	s_delay_alu instid0(VALU_DEP_1) | instskip(NEXT) | instid1(VALU_DEP_1)
	v_add_f64_e32 v[30:31], v[30:31], v[44:45]
	v_add_f64_e32 v[30:31], v[36:37], v[30:31]
	s_delay_alu instid0(VALU_DEP_1) | instskip(NEXT) | instid1(VALU_DEP_1)
	v_add_f64_e32 v[36:37], v[50:51], v[30:31]
	v_mul_f64_e32 v[42:43], v[40:41], v[36:37]
	v_add_f64_e64 v[48:49], v[50:51], -v[36:37]
	s_delay_alu instid0(VALU_DEP_2) | instskip(NEXT) | instid1(VALU_DEP_2)
	v_mul_f64_e32 v[44:45], v[38:39], v[42:43]
	v_add_f64_e32 v[30:31], v[30:31], v[48:49]
	s_delay_alu instid0(VALU_DEP_2) | instskip(NEXT) | instid1(VALU_DEP_1)
	v_fma_f64 v[38:39], v[42:43], v[38:39], -v[44:45]
	v_fmac_f64_e32 v[38:39], v[42:43], v[34:35]
	s_delay_alu instid0(VALU_DEP_1) | instskip(NEXT) | instid1(VALU_DEP_1)
	v_add_f64_e32 v[34:35], v[44:45], v[38:39]
	v_add_f64_e64 v[46:47], v[36:37], -v[34:35]
	v_add_f64_e64 v[44:45], v[34:35], -v[44:45]
	s_delay_alu instid0(VALU_DEP_2) | instskip(NEXT) | instid1(VALU_DEP_1)
	v_add_f64_e64 v[36:37], v[36:37], -v[46:47]
	v_add_f64_e64 v[34:35], v[36:37], -v[34:35]
	s_delay_alu instid0(VALU_DEP_3) | instskip(SKIP_1) | instid1(VALU_DEP_3)
	v_add_f64_e64 v[36:37], v[44:45], -v[38:39]
	v_max_num_f64_e64 v[38:39], |v[6:7]|, |v[6:7]|
	v_add_f64_e32 v[30:31], v[30:31], v[34:35]
	v_add_f64_e32 v[34:35], v[32:33], v[42:43]
	s_delay_alu instid0(VALU_DEP_2) | instskip(NEXT) | instid1(VALU_DEP_2)
	v_add_f64_e32 v[30:31], v[36:37], v[30:31]
	v_add_f64_e64 v[32:33], v[34:35], -v[32:33]
	v_max_num_f64_e64 v[36:37], |v[8:9]|, |v[8:9]|
	s_delay_alu instid0(VALU_DEP_3) | instskip(NEXT) | instid1(VALU_DEP_3)
	v_add_f64_e32 v[30:31], v[46:47], v[30:31]
	v_add_f64_e64 v[32:33], v[42:43], -v[32:33]
	s_delay_alu instid0(VALU_DEP_2) | instskip(NEXT) | instid1(VALU_DEP_1)
	v_mul_f64_e32 v[30:31], v[40:41], v[30:31]
	v_add_f64_e32 v[30:31], v[32:33], v[30:31]
	v_max_num_f64_e32 v[32:33], v[38:39], v[36:37]
	v_min_num_f64_e32 v[36:37], v[38:39], v[36:37]
	s_delay_alu instid0(VALU_DEP_3) | instskip(NEXT) | instid1(VALU_DEP_2)
	v_add_f64_e32 v[38:39], v[34:35], v[30:31]
	v_div_scale_f64 v[40:41], null, v[32:33], v[32:33], v[36:37]
	s_delay_alu instid0(VALU_DEP_2) | instskip(SKIP_1) | instid1(VALU_DEP_3)
	v_mul_f64_e32 v[42:43], v[38:39], v[38:39]
	v_add_f64_e64 v[34:35], v[38:39], -v[34:35]
	v_rcp_f64_e32 v[44:45], v[40:41]
	s_delay_alu instid0(VALU_DEP_2) | instskip(SKIP_1) | instid1(VALU_DEP_3)
	v_fmamk_f64 v[46:47], v[42:43], 0x3fc3ab76bf559e2b, v[22:23]
	v_mul_f64_e32 v[48:49], v[38:39], v[42:43]
	v_add_f64_e64 v[30:31], v[30:31], -v[34:35]
	s_delay_alu instid0(VALU_DEP_3) | instskip(NEXT) | instid1(TRANS32_DEP_1)
	v_fmaak_f64 v[46:47], v[42:43], v[46:47], 0x3fc7474dd7f4df2e
	v_fma_f64 v[50:51], -v[40:41], v[44:45], 1.0
	s_delay_alu instid0(VALU_DEP_2) | instskip(NEXT) | instid1(VALU_DEP_1)
	v_fmaak_f64 v[46:47], v[42:43], v[46:47], 0x3fcc71c016291751
	v_fmaak_f64 v[46:47], v[42:43], v[46:47], 0x3fd249249b27acf1
	s_delay_alu instid0(VALU_DEP_1) | instskip(SKIP_1) | instid1(VALU_DEP_2)
	v_fmaak_f64 v[46:47], v[42:43], v[46:47], 0x3fd99999998ef7b6
	v_ldexp_f64 v[30:31], v[30:31], 1
	v_fmaak_f64 v[42:43], v[42:43], v[46:47], 0x3fe5555555555780
	v_ldexp_f64 v[46:47], v[38:39], 1
	v_fmac_f64_e32 v[44:45], v[44:45], v[50:51]
	s_delay_alu instid0(VALU_DEP_3) | instskip(SKIP_2) | instid1(VALU_DEP_4)
	v_mul_f64_e32 v[42:43], v[48:49], v[42:43]
	v_cvt_f64_i32_e32 v[48:49], v21
	v_ashrrev_i32_e32 v21, 31, v7
	v_fma_f64 v[50:51], -v[40:41], v[44:45], 1.0
	s_delay_alu instid0(VALU_DEP_4) | instskip(NEXT) | instid1(VALU_DEP_4)
	v_add_f64_e32 v[38:39], v[46:47], v[42:43]
	v_mul_f64_e32 v[52:53], 0x3fe62e42fefa39ef, v[48:49]
	s_delay_alu instid0(VALU_DEP_3) | instskip(NEXT) | instid1(VALU_DEP_3)
	v_fmac_f64_e32 v[44:45], v[44:45], v[50:51]
	v_add_f64_e64 v[34:35], v[38:39], -v[46:47]
	v_div_scale_f64 v[46:47], vcc_lo, v[36:37], v[32:33], v[36:37]
	s_delay_alu instid0(VALU_DEP_4) | instskip(NEXT) | instid1(VALU_DEP_3)
	v_fma_f64 v[50:51], v[48:49], s[22:23], -v[52:53]
	v_add_f64_e64 v[34:35], v[42:43], -v[34:35]
	s_delay_alu instid0(VALU_DEP_3) | instskip(NEXT) | instid1(VALU_DEP_3)
	v_mul_f64_e32 v[42:43], v[46:47], v[44:45]
	v_fmac_f64_e32 v[50:51], 0x3c7abc9e3b39803f, v[48:49]
	s_delay_alu instid0(VALU_DEP_3) | instskip(NEXT) | instid1(VALU_DEP_3)
	v_add_f64_e32 v[30:31], v[30:31], v[34:35]
	v_fma_f64 v[34:35], -v[40:41], v[42:43], v[46:47]
	s_delay_alu instid0(VALU_DEP_3) | instskip(NEXT) | instid1(VALU_DEP_3)
	v_add_f64_e32 v[40:41], v[52:53], v[50:51]
	v_add_f64_e32 v[46:47], v[38:39], v[30:31]
	s_delay_alu instid0(VALU_DEP_3) | instskip(SKIP_1) | instid1(VALU_DEP_4)
	v_div_fmas_f64 v[34:35], v[34:35], v[44:45], v[42:43]
	v_cmp_gt_i32_e32 vcc_lo, 0, v7
	v_add_f64_e64 v[44:45], v[40:41], -v[52:53]
	v_cndmask_b32_e32 v28, 0x3fe921fb, v61, vcc_lo
	s_delay_alu instid0(VALU_DEP_1) | instskip(SKIP_4) | instid1(VALU_DEP_4)
	v_bfi_b32 v28, 0x7fffffff, v28, v9
	v_add_f64_e32 v[42:43], v[40:41], v[46:47]
	v_div_fixup_f64 v[32:33], v[34:35], v[32:33], v[36:37]
	v_add_f64_e64 v[38:39], v[46:47], -v[38:39]
	v_add_f64_e64 v[44:45], v[50:51], -v[44:45]
	;; [unrolled: 1-line block ×3, first 2 shown]
	s_delay_alu instid0(VALU_DEP_4) | instskip(NEXT) | instid1(VALU_DEP_4)
	v_mul_f64_e32 v[36:37], v[32:33], v[32:33]
	v_add_f64_e64 v[30:31], v[30:31], -v[38:39]
	s_delay_alu instid0(VALU_DEP_3) | instskip(NEXT) | instid1(VALU_DEP_3)
	v_add_f64_e64 v[48:49], v[42:43], -v[34:35]
	v_fmamk_f64 v[52:53], v[36:37], 0x3eeba404b5e68a13, v[24:25]
	v_add_f64_e64 v[34:35], v[46:47], -v[34:35]
	s_delay_alu instid0(VALU_DEP_4) | instskip(NEXT) | instid1(VALU_DEP_3)
	v_add_f64_e32 v[46:47], v[44:45], v[30:31]
	v_fmaak_f64 v[52:53], v[36:37], v[52:53], 0x3f4b2bb069efb384
	s_delay_alu instid0(VALU_DEP_1) | instskip(SKIP_1) | instid1(VALU_DEP_2)
	v_fmaak_f64 v[52:53], v[36:37], v[52:53], 0xbf67952daf56de9b
	v_add_f64_e64 v[38:39], v[40:41], -v[48:49]
	v_fmaak_f64 v[40:41], v[36:37], v[52:53], 0x3f7d6d43a595c56f
	s_delay_alu instid0(VALU_DEP_1) | instskip(NEXT) | instid1(VALU_DEP_1)
	v_fmaak_f64 v[40:41], v[36:37], v[40:41], 0xbf8c6ea4a57d9582
	v_fmaak_f64 v[40:41], v[36:37], v[40:41], 0x3f967e295f08b19f
	s_delay_alu instid0(VALU_DEP_1) | instskip(NEXT) | instid1(VALU_DEP_1)
	v_fmaak_f64 v[40:41], v[36:37], v[40:41], 0xbf9e9ae6fc27006a
	v_fmaak_f64 v[40:41], v[36:37], v[40:41], 0x3fa2c15b5711927a
	v_add_f64_e32 v[34:35], v[34:35], v[38:39]
	s_delay_alu instid0(VALU_DEP_2) | instskip(SKIP_1) | instid1(VALU_DEP_2)
	v_fmaak_f64 v[38:39], v[36:37], v[40:41], 0xbfa59976e82d3ff0
	v_add_f64_e64 v[40:41], v[46:47], -v[44:45]
	v_fmaak_f64 v[38:39], v[36:37], v[38:39], 0x3fa82d5d6ef28734
	s_delay_alu instid0(VALU_DEP_1) | instskip(NEXT) | instid1(VALU_DEP_1)
	v_fmaak_f64 v[38:39], v[36:37], v[38:39], 0xbfaae5ce6a214619
	v_fmaak_f64 v[38:39], v[36:37], v[38:39], 0x3fae1bb48427b883
	s_delay_alu instid0(VALU_DEP_1) | instskip(SKIP_3) | instid1(VALU_DEP_4)
	v_fmaak_f64 v[38:39], v[36:37], v[38:39], 0xbfb110e48b207f05
	v_add_f64_e32 v[34:35], v[46:47], v[34:35]
	v_add_f64_e64 v[46:47], v[46:47], -v[40:41]
	v_add_f64_e64 v[30:31], v[30:31], -v[40:41]
	v_fmaak_f64 v[38:39], v[36:37], v[38:39], 0x3fb3b13657b87036
	s_delay_alu instid0(VALU_DEP_1) | instskip(NEXT) | instid1(VALU_DEP_1)
	v_fmaak_f64 v[38:39], v[36:37], v[38:39], 0xbfb745d119378e4f
	v_fmaak_f64 v[38:39], v[36:37], v[38:39], 0x3fbc71c717e1913c
	s_delay_alu instid0(VALU_DEP_1) | instskip(SKIP_1) | instid1(VALU_DEP_2)
	v_fmaak_f64 v[38:39], v[36:37], v[38:39], 0xbfc2492492376b7d
	v_add_f64_e32 v[48:49], v[42:43], v[34:35]
	v_fmaak_f64 v[38:39], v[36:37], v[38:39], 0x3fc99999999952cc
	s_delay_alu instid0(VALU_DEP_1) | instskip(NEXT) | instid1(VALU_DEP_1)
	v_fmaak_f64 v[38:39], v[36:37], v[38:39], 0xbfd5555555555523
	v_mul_f64_e32 v[36:37], v[36:37], v[38:39]
	v_add_f64_e64 v[38:39], v[44:45], -v[46:47]
	v_add_f64_e64 v[40:41], v[48:49], -v[42:43]
	s_delay_alu instid0(VALU_DEP_3) | instskip(NEXT) | instid1(VALU_DEP_3)
	v_fmac_f64_e32 v[32:33], v[32:33], v[36:37]
	v_add_f64_e32 v[30:31], v[30:31], v[38:39]
	s_delay_alu instid0(VALU_DEP_3) | instskip(NEXT) | instid1(VALU_DEP_3)
	v_add_f64_e64 v[34:35], v[34:35], -v[40:41]
	v_add_f64_e64 v[36:37], -v[32:33], s[24:25]
	s_delay_alu instid0(VALU_DEP_1) | instskip(NEXT) | instid1(VALU_DEP_2)
	v_dual_add_f64 v[30:31], v[30:31], v[34:35] :: v_dual_cndmask_b32 v33, v33, v37, s0
	v_cndmask_b32_e64 v32, v32, v36, s0
	v_and_b32_e32 v37, 0x54442d18, v21
	v_and_b32_e32 v21, 0x400921fb, v21
	v_cndmask_b32_e32 v36, 0x54442d18, v60, vcc_lo
	s_delay_alu instid0(VALU_DEP_4) | instskip(SKIP_1) | instid1(VALU_DEP_2)
	v_add_f64_e64 v[34:35], -v[32:33], s[26:27]
	v_add_f64_e32 v[30:31], v[48:49], v[30:31]
	v_dual_cndmask_b32 v32, v32, v34 :: v_dual_cndmask_b32 v29, v33, v35
	s_and_b32 vcc_lo, s6, s5
                                        ; implicit-def: $vgpr34_vgpr35
	s_delay_alu instid0(VALU_DEP_1) | instskip(NEXT) | instid1(VALU_DEP_2)
	v_cndmask_b32_e64 v32, v32, v37, s1
	v_dual_mul_f64 v[6:7], 0.5, v[30:31] :: v_dual_cndmask_b32 v21, v29, v21, s1
	s_delay_alu instid0(VALU_DEP_1) | instskip(NEXT) | instid1(VALU_DEP_3)
	v_cndmask_b32_e32 v29, v21, v28, vcc_lo
	v_cndmask_b32_e32 v28, v32, v36, vcc_lo
	s_delay_alu instid0(VALU_DEP_3) | instskip(NEXT) | instid1(VALU_DEP_4)
	v_cndmask_b32_e64 v31, 0x7ff00000, v7, s2
	v_cndmask_b32_e64 v30, 0, v6, s2
.LBB197_183:                            ;   in Loop: Header=BB197_162 Depth=1
	s_and_not1_saveexec_b32 s2, s4
	s_cbranch_execz .LBB197_185
; %bb.184:                              ;   in Loop: Header=BB197_162 Depth=1
	v_max_num_f64_e64 v[28:29], |v[8:9]|, |v[8:9]|
	v_max_num_f64_e64 v[30:31], |v[6:7]|, |v[6:7]|
	v_cmp_eq_f64_e64 s1, 0, v[8:9]
	v_cmp_class_f64_e64 s5, v[6:7], 0x204
	v_cmp_class_f64_e64 s4, v[8:9], 0x204
	s_delay_alu instid0(VALU_DEP_4) | instskip(SKIP_1) | instid1(VALU_DEP_1)
	v_dual_max_num_f64 v[32:33], v[30:31], v[28:29] :: v_dual_ashrrev_i32 v21, 31, v7
	v_min_num_f64_e32 v[28:29], v[30:31], v[28:29]
	v_div_scale_f64 v[30:31], null, v[32:33], v[32:33], v[28:29]
	v_div_scale_f64 v[40:41], vcc_lo, v[28:29], v[32:33], v[28:29]
	s_delay_alu instid0(VALU_DEP_2) | instskip(SKIP_1) | instid1(TRANS32_DEP_1)
	v_rcp_f64_e32 v[36:37], v[30:31]
	v_nop
	v_fma_f64 v[38:39], -v[30:31], v[36:37], 1.0
	s_delay_alu instid0(VALU_DEP_1) | instskip(NEXT) | instid1(VALU_DEP_1)
	v_fmac_f64_e32 v[36:37], v[36:37], v[38:39]
	v_fma_f64 v[38:39], -v[30:31], v[36:37], 1.0
	s_delay_alu instid0(VALU_DEP_1) | instskip(NEXT) | instid1(VALU_DEP_1)
	v_fmac_f64_e32 v[36:37], v[36:37], v[38:39]
	v_mul_f64_e32 v[38:39], v[40:41], v[36:37]
	s_delay_alu instid0(VALU_DEP_1) | instskip(NEXT) | instid1(VALU_DEP_1)
	v_fma_f64 v[30:31], -v[30:31], v[38:39], v[40:41]
	v_div_fmas_f64 v[30:31], v[30:31], v[36:37], v[38:39]
	v_cmp_gt_i32_e32 vcc_lo, 0, v7
	v_and_b32_e32 v7, 0x400921fb, v21
	v_and_b32_e32 v37, 0x54442d18, v21
	v_cndmask_b32_e32 v36, 0x54442d18, v60, vcc_lo
	v_cndmask_b32_e32 v6, 0x3fe921fb, v61, vcc_lo
	s_delay_alu instid0(VALU_DEP_1) | instskip(SKIP_1) | instid1(VALU_DEP_1)
	v_bfi_b32 v6, 0x7fffffff, v6, v9
	v_div_fixup_f64 v[28:29], v[30:31], v[32:33], v[28:29]
	v_mul_f64_e32 v[30:31], v[28:29], v[28:29]
	s_delay_alu instid0(VALU_DEP_1) | instskip(NEXT) | instid1(VALU_DEP_1)
	v_fmamk_f64 v[32:33], v[30:31], 0x3eeba404b5e68a13, v[24:25]
	v_fmaak_f64 v[32:33], v[30:31], v[32:33], 0x3f4b2bb069efb384
	s_delay_alu instid0(VALU_DEP_1) | instskip(NEXT) | instid1(VALU_DEP_1)
	v_fmaak_f64 v[32:33], v[30:31], v[32:33], 0xbf67952daf56de9b
	v_fmaak_f64 v[32:33], v[30:31], v[32:33], 0x3f7d6d43a595c56f
	s_delay_alu instid0(VALU_DEP_1) | instskip(NEXT) | instid1(VALU_DEP_1)
	v_fmaak_f64 v[32:33], v[30:31], v[32:33], 0xbf8c6ea4a57d9582
	;; [unrolled: 3-line block ×9, first 2 shown]
	v_mul_f64_e32 v[30:31], v[30:31], v[32:33]
	s_delay_alu instid0(VALU_DEP_1) | instskip(NEXT) | instid1(VALU_DEP_1)
	v_fmac_f64_e32 v[28:29], v[28:29], v[30:31]
	v_add_f64_e64 v[30:31], -v[28:29], s[24:25]
	s_delay_alu instid0(VALU_DEP_1) | instskip(NEXT) | instid1(VALU_DEP_1)
	v_dual_cndmask_b32 v29, v29, v31, s0 :: v_dual_cndmask_b32 v28, v28, v30, s0
	v_add_f64_e64 v[32:33], -v[28:29], s[26:27]
	s_delay_alu instid0(VALU_DEP_1) | instskip(SKIP_2) | instid1(VALU_DEP_2)
	v_dual_cndmask_b32 v21, v29, v33 :: v_dual_cndmask_b32 v28, v28, v32
	v_mul_f64_e32 v[30:31], 0.5, v[34:35]
	s_and_b32 vcc_lo, s5, s4
	v_dual_cndmask_b32 v7, v21, v7, s1 :: v_dual_cndmask_b32 v28, v28, v37, s1
	s_delay_alu instid0(VALU_DEP_1) | instskip(NEXT) | instid1(VALU_DEP_3)
	v_dual_cndmask_b32 v29, v7, v6 :: v_dual_cndmask_b32 v28, v28, v36
	v_mul_f64_e32 v[30:31], v[34:35], v[30:31]
.LBB197_185:                            ;   in Loop: Header=BB197_162 Depth=1
	s_or_b32 exec_lo, exec_lo, s2
.LBB197_186:                            ;   in Loop: Header=BB197_162 Depth=1
	s_delay_alu instid0(SALU_CYCLE_1)
	s_or_b32 exec_lo, exec_lo, s3
.LBB197_187:                            ;   in Loop: Header=BB197_162 Depth=1
	s_and_not1_saveexec_b32 s2, s38
	s_cbranch_execz .LBB197_189
; %bb.188:                              ;   in Loop: Header=BB197_162 Depth=1
	v_div_scale_f64 v[28:29], null, s[34:35], s[34:35], v[6:7]
	v_div_scale_f64 v[30:31], null, s[34:35], s[34:35], v[8:9]
	v_div_scale_f64 v[40:41], vcc_lo, v[6:7], s[34:35], v[6:7]
	s_delay_alu instid0(VALU_DEP_3) | instskip(NEXT) | instid1(VALU_DEP_2)
	v_rcp_f64_e32 v[32:33], v[28:29]
	v_rcp_f64_e32 v[34:35], v[30:31]
	s_delay_alu instid0(TRANS32_DEP_2) | instskip(NEXT) | instid1(TRANS32_DEP_1)
	v_fma_f64 v[36:37], -v[28:29], v[32:33], 1.0
	v_fma_f64 v[38:39], -v[30:31], v[34:35], 1.0
	s_delay_alu instid0(VALU_DEP_2) | instskip(NEXT) | instid1(VALU_DEP_2)
	v_fmac_f64_e32 v[32:33], v[32:33], v[36:37]
	v_fmac_f64_e32 v[34:35], v[34:35], v[38:39]
	s_delay_alu instid0(VALU_DEP_2) | instskip(NEXT) | instid1(VALU_DEP_2)
	v_fma_f64 v[36:37], -v[28:29], v[32:33], 1.0
	v_fma_f64 v[38:39], -v[30:31], v[34:35], 1.0
	s_delay_alu instid0(VALU_DEP_2) | instskip(SKIP_1) | instid1(VALU_DEP_3)
	v_fmac_f64_e32 v[32:33], v[32:33], v[36:37]
	v_div_scale_f64 v[36:37], s1, v[8:9], s[34:35], v[8:9]
	v_fmac_f64_e32 v[34:35], v[34:35], v[38:39]
	s_delay_alu instid0(VALU_DEP_3) | instskip(NEXT) | instid1(VALU_DEP_2)
	v_mul_f64_e32 v[38:39], v[40:41], v[32:33]
	v_mul_f64_e32 v[42:43], v[36:37], v[34:35]
	s_delay_alu instid0(VALU_DEP_2) | instskip(NEXT) | instid1(VALU_DEP_2)
	v_fma_f64 v[28:29], -v[28:29], v[38:39], v[40:41]
	v_fma_f64 v[30:31], -v[30:31], v[42:43], v[36:37]
	s_delay_alu instid0(VALU_DEP_2) | instskip(SKIP_1) | instid1(VALU_DEP_2)
	v_div_fmas_f64 v[28:29], v[28:29], v[32:33], v[38:39]
	s_mov_b32 vcc_lo, s1
	v_div_fmas_f64 v[30:31], v[30:31], v[34:35], v[42:43]
	s_delay_alu instid0(VALU_DEP_2) | instskip(NEXT) | instid1(VALU_DEP_2)
	v_div_fixup_f64 v[28:29], v[28:29], s[34:35], v[6:7]
	v_div_fixup_f64 v[30:31], v[30:31], s[34:35], v[8:9]
	s_delay_alu instid0(VALU_DEP_2) | instskip(NEXT) | instid1(VALU_DEP_2)
	v_cmp_class_f64_e64 s1, v[28:29], 0x204
	v_max_num_f64_e64 v[32:33], |v[28:29]|, |v[30:31]|
	v_cmp_class_f64_e64 s3, v[30:31], 0x204
	s_delay_alu instid0(VALU_DEP_2) | instskip(SKIP_2) | instid1(VALU_DEP_2)
	v_frexp_exp_i32_f64_e32 v21, v[32:33]
	s_or_b32 s1, s1, s3
	v_cmp_class_f64_e64 s3, v[6:7], 0x204
	v_sub_nc_u32_e32 v34, 0, v21
	s_delay_alu instid0(VALU_DEP_1) | instskip(SKIP_1) | instid1(VALU_DEP_2)
	v_ldexp_f64 v[32:33], |v[30:31]|, v34
	v_ldexp_f64 v[34:35], |v[28:29]|, v34
	v_mul_f64_e32 v[32:33], v[32:33], v[32:33]
	s_delay_alu instid0(VALU_DEP_1) | instskip(NEXT) | instid1(VALU_DEP_1)
	v_fmac_f64_e32 v[32:33], v[34:35], v[34:35]
	v_rsq_f64_e32 v[34:35], v[32:33]
	v_cmp_eq_f64_e32 vcc_lo, 0, v[32:33]
	s_delay_alu instid0(TRANS32_DEP_1) | instskip(SKIP_1) | instid1(VALU_DEP_1)
	v_mul_f64_e32 v[36:37], v[32:33], v[34:35]
	v_mul_f64_e32 v[34:35], 0.5, v[34:35]
	v_fma_f64 v[38:39], -v[34:35], v[36:37], 0.5
	s_delay_alu instid0(VALU_DEP_1) | instskip(SKIP_1) | instid1(VALU_DEP_2)
	v_fmac_f64_e32 v[36:37], v[36:37], v[38:39]
	v_fmac_f64_e32 v[34:35], v[34:35], v[38:39]
	v_fma_f64 v[38:39], -v[36:37], v[36:37], v[32:33]
	s_delay_alu instid0(VALU_DEP_1) | instskip(NEXT) | instid1(VALU_DEP_1)
	v_fmac_f64_e32 v[36:37], v[38:39], v[34:35]
	v_dual_cndmask_b32 v33, v37, v33 :: v_dual_cndmask_b32 v32, v36, v32
	v_cmp_o_f64_e32 vcc_lo, v[28:29], v[30:31]
	s_delay_alu instid0(VALU_DEP_2) | instskip(NEXT) | instid1(VALU_DEP_1)
	v_ldexp_f64 v[32:33], v[32:33], v21
	v_cndmask_b32_e32 v21, 0, v32, vcc_lo
	s_delay_alu instid0(VALU_DEP_2) | instskip(NEXT) | instid1(VALU_DEP_2)
	v_cndmask_b32_e32 v28, 0x7ff80000, v33, vcc_lo
	v_cndmask_b32_e64 v32, v21, 0, s1
	s_delay_alu instid0(VALU_DEP_2) | instskip(SKIP_1) | instid1(VALU_DEP_2)
	v_cndmask_b32_e64 v33, v28, 0x7ff00000, s1
	v_cmp_class_f64_e64 s1, v[8:9], 0x204
	v_frexp_mant_f64_e32 v[28:29], v[32:33]
	s_delay_alu instid0(VALU_DEP_1) | instskip(SKIP_1) | instid1(VALU_DEP_1)
	v_cmp_gt_f64_e32 vcc_lo, s[20:21], v[28:29]
	v_cndmask_b32_e64 v21, 0, 1, vcc_lo
	v_ldexp_f64 v[28:29], v[28:29], v21
	v_frexp_exp_i32_f64_e32 v21, v[32:33]
	s_delay_alu instid0(VALU_DEP_2) | instskip(SKIP_1) | instid1(VALU_DEP_3)
	v_add_f64_e32 v[30:31], 1.0, v[28:29]
	v_add_f64_e32 v[38:39], -1.0, v[28:29]
	v_subrev_co_ci_u32_e64 v21, null, 0, v21, vcc_lo
	s_delay_alu instid0(VALU_DEP_3) | instskip(SKIP_1) | instid1(VALU_DEP_1)
	v_rcp_f64_e32 v[34:35], v[30:31]
	v_add_f64_e32 v[40:41], -1.0, v[30:31]
	v_add_f64_e64 v[28:29], v[28:29], -v[40:41]
	s_delay_alu instid0(TRANS32_DEP_1) | instskip(NEXT) | instid1(VALU_DEP_1)
	v_fma_f64 v[36:37], -v[30:31], v[34:35], 1.0
	v_fmac_f64_e32 v[34:35], v[36:37], v[34:35]
	s_delay_alu instid0(VALU_DEP_1) | instskip(NEXT) | instid1(VALU_DEP_1)
	v_fma_f64 v[36:37], -v[30:31], v[34:35], 1.0
	v_fmac_f64_e32 v[34:35], v[36:37], v[34:35]
	s_delay_alu instid0(VALU_DEP_1) | instskip(NEXT) | instid1(VALU_DEP_1)
	v_mul_f64_e32 v[36:37], v[38:39], v[34:35]
	v_mul_f64_e32 v[42:43], v[30:31], v[36:37]
	s_delay_alu instid0(VALU_DEP_1) | instskip(NEXT) | instid1(VALU_DEP_1)
	v_fma_f64 v[30:31], v[36:37], v[30:31], -v[42:43]
	v_fmac_f64_e32 v[30:31], v[36:37], v[28:29]
	s_delay_alu instid0(VALU_DEP_1) | instskip(NEXT) | instid1(VALU_DEP_1)
	v_add_f64_e32 v[28:29], v[42:43], v[30:31]
	v_add_f64_e64 v[40:41], v[38:39], -v[28:29]
	v_add_f64_e64 v[42:43], v[28:29], -v[42:43]
	s_delay_alu instid0(VALU_DEP_2) | instskip(NEXT) | instid1(VALU_DEP_2)
	v_add_f64_e64 v[38:39], v[38:39], -v[40:41]
	v_add_f64_e64 v[30:31], v[42:43], -v[30:31]
	s_delay_alu instid0(VALU_DEP_2) | instskip(SKIP_1) | instid1(VALU_DEP_2)
	v_add_f64_e64 v[28:29], v[38:39], -v[28:29]
	v_max_num_f64_e64 v[38:39], |v[6:7]|, |v[6:7]|
	v_add_f64_e32 v[28:29], v[30:31], v[28:29]
	v_max_num_f64_e64 v[30:31], |v[8:9]|, |v[8:9]|
	s_delay_alu instid0(VALU_DEP_2) | instskip(NEXT) | instid1(VALU_DEP_1)
	v_add_f64_e32 v[28:29], v[40:41], v[28:29]
	v_mul_f64_e32 v[28:29], v[34:35], v[28:29]
	s_delay_alu instid0(VALU_DEP_3) | instskip(SKIP_1) | instid1(VALU_DEP_3)
	v_max_num_f64_e32 v[34:35], v[38:39], v[30:31]
	v_min_num_f64_e32 v[30:31], v[38:39], v[30:31]
	v_add_f64_e32 v[38:39], v[36:37], v[28:29]
	s_delay_alu instid0(VALU_DEP_2) | instskip(NEXT) | instid1(VALU_DEP_2)
	v_div_scale_f64 v[40:41], null, v[34:35], v[34:35], v[30:31]
	v_mul_f64_e32 v[42:43], v[38:39], v[38:39]
	v_add_f64_e64 v[36:37], v[38:39], -v[36:37]
	s_delay_alu instid0(VALU_DEP_3) | instskip(NEXT) | instid1(VALU_DEP_2)
	v_rcp_f64_e32 v[44:45], v[40:41]
	v_fmamk_f64 v[46:47], v[42:43], 0x3fc3ab76bf559e2b, v[22:23]
	v_mul_f64_e32 v[48:49], v[38:39], v[42:43]
	s_delay_alu instid0(VALU_DEP_3) | instskip(NEXT) | instid1(VALU_DEP_3)
	v_add_f64_e64 v[28:29], v[28:29], -v[36:37]
	v_fmaak_f64 v[46:47], v[42:43], v[46:47], 0x3fc7474dd7f4df2e
	s_delay_alu instid0(TRANS32_DEP_1) | instskip(NEXT) | instid1(VALU_DEP_2)
	v_fma_f64 v[50:51], -v[40:41], v[44:45], 1.0
	v_fmaak_f64 v[46:47], v[42:43], v[46:47], 0x3fcc71c016291751
	s_delay_alu instid0(VALU_DEP_1) | instskip(NEXT) | instid1(VALU_DEP_1)
	v_fmaak_f64 v[46:47], v[42:43], v[46:47], 0x3fd249249b27acf1
	v_fmaak_f64 v[46:47], v[42:43], v[46:47], 0x3fd99999998ef7b6
	v_ldexp_f64 v[28:29], v[28:29], 1
	s_delay_alu instid0(VALU_DEP_2) | instskip(SKIP_2) | instid1(VALU_DEP_3)
	v_fmaak_f64 v[42:43], v[42:43], v[46:47], 0x3fe5555555555780
	v_ldexp_f64 v[46:47], v[38:39], 1
	v_fmac_f64_e32 v[44:45], v[44:45], v[50:51]
	v_mul_f64_e32 v[42:43], v[48:49], v[42:43]
	v_cvt_f64_i32_e32 v[48:49], v21
	v_ashrrev_i32_e32 v21, 31, v7
	s_delay_alu instid0(VALU_DEP_4) | instskip(NEXT) | instid1(VALU_DEP_4)
	v_fma_f64 v[50:51], -v[40:41], v[44:45], 1.0
	v_add_f64_e32 v[38:39], v[46:47], v[42:43]
	s_delay_alu instid0(VALU_DEP_4) | instskip(NEXT) | instid1(VALU_DEP_3)
	v_mul_f64_e32 v[52:53], 0x3fe62e42fefa39ef, v[48:49]
	v_fmac_f64_e32 v[44:45], v[44:45], v[50:51]
	s_delay_alu instid0(VALU_DEP_3) | instskip(SKIP_1) | instid1(VALU_DEP_4)
	v_add_f64_e64 v[36:37], v[38:39], -v[46:47]
	v_div_scale_f64 v[46:47], vcc_lo, v[30:31], v[34:35], v[30:31]
	v_fma_f64 v[50:51], v[48:49], s[22:23], -v[52:53]
	s_delay_alu instid0(VALU_DEP_3) | instskip(NEXT) | instid1(VALU_DEP_3)
	v_add_f64_e64 v[36:37], v[42:43], -v[36:37]
	v_mul_f64_e32 v[42:43], v[46:47], v[44:45]
	s_delay_alu instid0(VALU_DEP_3) | instskip(NEXT) | instid1(VALU_DEP_3)
	v_fmac_f64_e32 v[50:51], 0x3c7abc9e3b39803f, v[48:49]
	v_add_f64_e32 v[28:29], v[28:29], v[36:37]
	s_delay_alu instid0(VALU_DEP_3) | instskip(NEXT) | instid1(VALU_DEP_3)
	v_fma_f64 v[36:37], -v[40:41], v[42:43], v[46:47]
	v_add_f64_e32 v[40:41], v[52:53], v[50:51]
	s_delay_alu instid0(VALU_DEP_3) | instskip(NEXT) | instid1(VALU_DEP_3)
	v_add_f64_e32 v[46:47], v[38:39], v[28:29]
	v_div_fmas_f64 v[36:37], v[36:37], v[44:45], v[42:43]
	v_cmp_class_f64_e64 vcc_lo, v[32:33], 0x204
	s_delay_alu instid0(VALU_DEP_4) | instskip(NEXT) | instid1(VALU_DEP_4)
	v_add_f64_e64 v[44:45], v[40:41], -v[52:53]
	v_add_f64_e32 v[42:43], v[40:41], v[46:47]
	s_delay_alu instid0(VALU_DEP_4) | instskip(SKIP_1) | instid1(VALU_DEP_4)
	v_div_fixup_f64 v[30:31], v[36:37], v[34:35], v[30:31]
	v_add_f64_e64 v[38:39], v[46:47], -v[38:39]
	v_add_f64_e64 v[44:45], v[50:51], -v[44:45]
	s_delay_alu instid0(VALU_DEP_4) | instskip(NEXT) | instid1(VALU_DEP_4)
	v_add_f64_e64 v[34:35], v[42:43], -v[40:41]
	v_mul_f64_e32 v[36:37], v[30:31], v[30:31]
	s_delay_alu instid0(VALU_DEP_4) | instskip(NEXT) | instid1(VALU_DEP_3)
	v_add_f64_e64 v[28:29], v[28:29], -v[38:39]
	v_add_f64_e64 v[48:49], v[42:43], -v[34:35]
	s_delay_alu instid0(VALU_DEP_3) | instskip(SKIP_1) | instid1(VALU_DEP_4)
	v_fmamk_f64 v[52:53], v[36:37], 0x3eeba404b5e68a13, v[24:25]
	v_add_f64_e64 v[34:35], v[46:47], -v[34:35]
	v_add_f64_e32 v[46:47], v[44:45], v[28:29]
	s_delay_alu instid0(VALU_DEP_3) | instskip(SKIP_1) | instid1(VALU_DEP_2)
	v_fmaak_f64 v[52:53], v[36:37], v[52:53], 0x3f4b2bb069efb384
	v_add_f64_e64 v[38:39], v[40:41], -v[48:49]
	v_fmaak_f64 v[40:41], v[36:37], v[52:53], 0xbf67952daf56de9b
	s_delay_alu instid0(VALU_DEP_1) | instskip(NEXT) | instid1(VALU_DEP_1)
	v_fmaak_f64 v[40:41], v[36:37], v[40:41], 0x3f7d6d43a595c56f
	v_fmaak_f64 v[40:41], v[36:37], v[40:41], 0xbf8c6ea4a57d9582
	s_delay_alu instid0(VALU_DEP_1) | instskip(SKIP_1) | instid1(VALU_DEP_2)
	v_fmaak_f64 v[40:41], v[36:37], v[40:41], 0x3f967e295f08b19f
	v_add_f64_e32 v[34:35], v[34:35], v[38:39]
	v_fmaak_f64 v[38:39], v[36:37], v[40:41], 0xbf9e9ae6fc27006a
	v_add_f64_e64 v[40:41], v[46:47], -v[44:45]
	s_delay_alu instid0(VALU_DEP_2) | instskip(NEXT) | instid1(VALU_DEP_1)
	v_fmaak_f64 v[38:39], v[36:37], v[38:39], 0x3fa2c15b5711927a
	v_fmaak_f64 v[38:39], v[36:37], v[38:39], 0xbfa59976e82d3ff0
	s_delay_alu instid0(VALU_DEP_1) | instskip(NEXT) | instid1(VALU_DEP_1)
	v_fmaak_f64 v[38:39], v[36:37], v[38:39], 0x3fa82d5d6ef28734
	v_fmaak_f64 v[38:39], v[36:37], v[38:39], 0xbfaae5ce6a214619
	v_add_f64_e32 v[34:35], v[46:47], v[34:35]
	v_add_f64_e64 v[46:47], v[46:47], -v[40:41]
	v_add_f64_e64 v[28:29], v[28:29], -v[40:41]
	s_delay_alu instid0(VALU_DEP_4) | instskip(NEXT) | instid1(VALU_DEP_1)
	v_fmaak_f64 v[38:39], v[36:37], v[38:39], 0x3fae1bb48427b883
	v_fmaak_f64 v[38:39], v[36:37], v[38:39], 0xbfb110e48b207f05
	s_delay_alu instid0(VALU_DEP_1) | instskip(NEXT) | instid1(VALU_DEP_1)
	v_fmaak_f64 v[38:39], v[36:37], v[38:39], 0x3fb3b13657b87036
	v_fmaak_f64 v[38:39], v[36:37], v[38:39], 0xbfb745d119378e4f
	s_delay_alu instid0(VALU_DEP_1) | instskip(SKIP_1) | instid1(VALU_DEP_2)
	v_fmaak_f64 v[38:39], v[36:37], v[38:39], 0x3fbc71c717e1913c
	v_add_f64_e32 v[48:49], v[42:43], v[34:35]
	v_fmaak_f64 v[38:39], v[36:37], v[38:39], 0xbfc2492492376b7d
	s_delay_alu instid0(VALU_DEP_1) | instskip(NEXT) | instid1(VALU_DEP_1)
	v_fmaak_f64 v[38:39], v[36:37], v[38:39], 0x3fc99999999952cc
	v_fmaak_f64 v[38:39], v[36:37], v[38:39], 0xbfd5555555555523
	s_delay_alu instid0(VALU_DEP_1) | instskip(SKIP_2) | instid1(VALU_DEP_3)
	v_mul_f64_e32 v[36:37], v[36:37], v[38:39]
	v_add_f64_e64 v[38:39], v[44:45], -v[46:47]
	v_add_f64_e64 v[40:41], v[48:49], -v[42:43]
	v_fmac_f64_e32 v[30:31], v[30:31], v[36:37]
	s_delay_alu instid0(VALU_DEP_3) | instskip(NEXT) | instid1(VALU_DEP_3)
	v_add_f64_e32 v[28:29], v[28:29], v[38:39]
	v_add_f64_e64 v[34:35], v[34:35], -v[40:41]
	s_delay_alu instid0(VALU_DEP_3) | instskip(NEXT) | instid1(VALU_DEP_1)
	v_add_f64_e64 v[36:37], -v[30:31], s[24:25]
	v_dual_add_f64 v[28:29], v[28:29], v[34:35] :: v_dual_cndmask_b32 v31, v31, v37, s0
	s_delay_alu instid0(VALU_DEP_2)
	v_cndmask_b32_e64 v30, v30, v36, s0
	v_cmp_gt_i32_e64 s0, 0, v7
	v_and_b32_e32 v37, 0x54442d18, v21
	v_and_b32_e32 v7, 0x400921fb, v21
	v_add_f64_e32 v[28:29], v[48:49], v[28:29]
	v_add_f64_e64 v[34:35], -v[30:31], s[26:27]
	v_cndmask_b32_e64 v36, 0x54442d18, v60, s0
	v_cndmask_b32_e64 v6, 0x3fe921fb, v61, s0
	s_delay_alu instid0(VALU_DEP_1) | instskip(SKIP_4) | instid1(VALU_DEP_4)
	v_bfi_b32 v6, 0x7fffffff, v6, v9
	v_dual_cndmask_b32 v29, v29, v33 :: v_dual_cndmask_b32 v28, v28, v32
	v_cmp_eq_f64_e32 vcc_lo, 0, v[8:9]
	v_dual_cndmask_b32 v30, v30, v34, s0 :: v_dual_cndmask_b32 v21, v31, v35, s0
	v_cmp_nge_f64_e64 s0, 0, v[32:33]
	v_add_f64_e32 v[28:29], 1.0, v[28:29]
	s_delay_alu instid0(VALU_DEP_3) | instskip(SKIP_1) | instid1(VALU_DEP_3)
	v_dual_cndmask_b32 v34, v30, v37 :: v_dual_cndmask_b32 v7, v21, v7
	v_cmp_ngt_f64_e32 vcc_lo, 0, v[32:33]
	v_cndmask_b32_e64 v30, 0, v28, s0
	v_cmp_neq_f64_e64 s0, 0, v[32:33]
	v_cndmask_b32_e32 v21, 0x7ff80000, v29, vcc_lo
	s_and_b32 vcc_lo, s3, s1
	v_dual_cndmask_b32 v29, v7, v6 :: v_dual_cndmask_b32 v28, v34, v36
	s_delay_alu instid0(VALU_DEP_2)
	v_cndmask_b32_e64 v31, 0xfff00000, v21, s0
.LBB197_189:                            ;   in Loop: Header=BB197_162 Depth=1
	s_or_b32 exec_lo, exec_lo, s2
.LBB197_190:                            ;   in Loop: Header=BB197_162 Depth=1
	s_and_not1_saveexec_b32 s0, s33
	s_cbranch_execz .LBB197_196
; %bb.191:                              ;   in Loop: Header=BB197_162 Depth=1
	v_cmp_ngt_f64_e64 s1, 0x20000000, |v[6:7]|
	v_cmp_ngt_f64_e64 s2, 0x20000000, |v[8:9]|
                                        ; implicit-def: $vgpr32_vgpr33
	s_or_b32 s1, s1, s2
	s_delay_alu instid0(SALU_CYCLE_1) | instskip(NEXT) | instid1(SALU_CYCLE_1)
	s_and_saveexec_b32 s2, s1
	s_xor_b32 s1, exec_lo, s2
	s_cbranch_execz .LBB197_193
; %bb.192:                              ;   in Loop: Header=BB197_162 Depth=1
	v_mul_f64_e32 v[32:33], v[8:9], v[8:9]
	s_delay_alu instid0(VALU_DEP_1)
	v_fmac_f64_e32 v[32:33], v[6:7], v[6:7]
.LBB197_193:                            ;   in Loop: Header=BB197_162 Depth=1
	s_and_not1_saveexec_b32 s1, s1
	s_cbranch_execz .LBB197_195
; %bb.194:                              ;   in Loop: Header=BB197_162 Depth=1
	v_mul_f64_e32 v[28:29], 4.0, v[8:9]
	v_mul_f64_e32 v[6:7], 4.0, v[6:7]
	s_delay_alu instid0(VALU_DEP_2) | instskip(NEXT) | instid1(VALU_DEP_1)
	v_mul_f64_e32 v[28:29], v[28:29], v[28:29]
	v_fmac_f64_e32 v[28:29], v[6:7], v[6:7]
	s_delay_alu instid0(VALU_DEP_1)
	v_ldexp_f64 v[32:33], v[28:29], -4
.LBB197_195:                            ;   in Loop: Header=BB197_162 Depth=1
	s_or_b32 exec_lo, exec_lo, s1
	s_delay_alu instid0(VALU_DEP_1) | instskip(NEXT) | instid1(VALU_DEP_1)
	v_frexp_mant_f64_e32 v[6:7], v[32:33]
	v_cmp_gt_f64_e32 vcc_lo, s[20:21], v[6:7]
	v_cndmask_b32_e64 v8, 0, 1, vcc_lo
	s_delay_alu instid0(VALU_DEP_1) | instskip(SKIP_1) | instid1(VALU_DEP_1)
	v_ldexp_f64 v[6:7], v[6:7], v8
	v_frexp_exp_i32_f64_e32 v8, v[32:33]
	v_subrev_co_ci_u32_e64 v8, null, 0, v8, vcc_lo
	v_cmp_class_f64_e64 vcc_lo, v[32:33], 0x204
	s_delay_alu instid0(VALU_DEP_4) | instskip(SKIP_1) | instid1(VALU_DEP_2)
	v_add_f64_e32 v[28:29], 1.0, v[6:7]
	v_add_f64_e32 v[36:37], -1.0, v[6:7]
	v_rcp_f64_e32 v[30:31], v[28:29]
	v_add_f64_e32 v[38:39], -1.0, v[28:29]
	s_delay_alu instid0(VALU_DEP_1) | instskip(NEXT) | instid1(TRANS32_DEP_1)
	v_add_f64_e64 v[6:7], v[6:7], -v[38:39]
	v_fma_f64 v[34:35], -v[28:29], v[30:31], 1.0
	s_delay_alu instid0(VALU_DEP_1) | instskip(NEXT) | instid1(VALU_DEP_1)
	v_fmac_f64_e32 v[30:31], v[34:35], v[30:31]
	v_fma_f64 v[34:35], -v[28:29], v[30:31], 1.0
	s_delay_alu instid0(VALU_DEP_1) | instskip(NEXT) | instid1(VALU_DEP_1)
	v_fmac_f64_e32 v[30:31], v[34:35], v[30:31]
	v_mul_f64_e32 v[34:35], v[36:37], v[30:31]
	s_delay_alu instid0(VALU_DEP_1) | instskip(NEXT) | instid1(VALU_DEP_1)
	v_mul_f64_e32 v[40:41], v[28:29], v[34:35]
	v_fma_f64 v[28:29], v[34:35], v[28:29], -v[40:41]
	s_delay_alu instid0(VALU_DEP_1) | instskip(NEXT) | instid1(VALU_DEP_1)
	v_fmac_f64_e32 v[28:29], v[34:35], v[6:7]
	v_add_f64_e32 v[6:7], v[40:41], v[28:29]
	s_delay_alu instid0(VALU_DEP_1) | instskip(SKIP_1) | instid1(VALU_DEP_2)
	v_add_f64_e64 v[38:39], v[36:37], -v[6:7]
	v_add_f64_e64 v[40:41], v[6:7], -v[40:41]
	;; [unrolled: 1-line block ×3, first 2 shown]
	s_delay_alu instid0(VALU_DEP_2) | instskip(NEXT) | instid1(VALU_DEP_2)
	v_add_f64_e64 v[28:29], v[40:41], -v[28:29]
	v_add_f64_e64 v[6:7], v[36:37], -v[6:7]
	s_delay_alu instid0(VALU_DEP_1) | instskip(NEXT) | instid1(VALU_DEP_1)
	v_add_f64_e32 v[6:7], v[28:29], v[6:7]
	v_add_f64_e32 v[6:7], v[38:39], v[6:7]
	s_delay_alu instid0(VALU_DEP_1) | instskip(NEXT) | instid1(VALU_DEP_1)
	v_mul_f64_e32 v[6:7], v[30:31], v[6:7]
	v_add_f64_e32 v[28:29], v[34:35], v[6:7]
	s_delay_alu instid0(VALU_DEP_1) | instskip(NEXT) | instid1(VALU_DEP_1)
	v_mul_f64_e32 v[30:31], v[28:29], v[28:29]
	v_fmamk_f64 v[36:37], v[30:31], 0x3fc3ab76bf559e2b, v[22:23]
	v_mul_f64_e32 v[38:39], v[28:29], v[30:31]
	s_delay_alu instid0(VALU_DEP_2) | instskip(NEXT) | instid1(VALU_DEP_1)
	v_fmaak_f64 v[36:37], v[30:31], v[36:37], 0x3fc7474dd7f4df2e
	v_fmaak_f64 v[36:37], v[30:31], v[36:37], 0x3fcc71c016291751
	s_delay_alu instid0(VALU_DEP_1) | instskip(NEXT) | instid1(VALU_DEP_1)
	v_fmaak_f64 v[36:37], v[30:31], v[36:37], 0x3fd249249b27acf1
	v_fmaak_f64 v[36:37], v[30:31], v[36:37], 0x3fd99999998ef7b6
	s_delay_alu instid0(VALU_DEP_1) | instskip(SKIP_2) | instid1(VALU_DEP_3)
	v_fmaak_f64 v[30:31], v[30:31], v[36:37], 0x3fe5555555555780
	v_ldexp_f64 v[36:37], v[28:29], 1
	v_add_f64_e64 v[28:29], v[28:29], -v[34:35]
	v_mul_f64_e32 v[30:31], v[38:39], v[30:31]
	v_cvt_f64_i32_e32 v[38:39], v8
	s_delay_alu instid0(VALU_DEP_3) | instskip(NEXT) | instid1(VALU_DEP_3)
	v_add_f64_e64 v[6:7], v[6:7], -v[28:29]
	v_add_f64_e32 v[34:35], v[36:37], v[30:31]
	s_delay_alu instid0(VALU_DEP_3) | instskip(NEXT) | instid1(VALU_DEP_3)
	v_mul_f64_e32 v[40:41], 0x3fe62e42fefa39ef, v[38:39]
	v_ldexp_f64 v[6:7], v[6:7], 1
	s_delay_alu instid0(VALU_DEP_3) | instskip(NEXT) | instid1(VALU_DEP_3)
	v_add_f64_e64 v[28:29], v[34:35], -v[36:37]
	v_fma_f64 v[36:37], v[38:39], s[22:23], -v[40:41]
	s_delay_alu instid0(VALU_DEP_2) | instskip(NEXT) | instid1(VALU_DEP_2)
	v_add_f64_e64 v[28:29], v[30:31], -v[28:29]
	v_fmac_f64_e32 v[36:37], 0x3c7abc9e3b39803f, v[38:39]
	s_delay_alu instid0(VALU_DEP_2) | instskip(NEXT) | instid1(VALU_DEP_2)
	v_add_f64_e32 v[6:7], v[6:7], v[28:29]
	v_add_f64_e32 v[28:29], v[40:41], v[36:37]
	s_delay_alu instid0(VALU_DEP_2) | instskip(NEXT) | instid1(VALU_DEP_2)
	v_add_f64_e32 v[30:31], v[34:35], v[6:7]
	v_add_f64_e64 v[40:41], v[28:29], -v[40:41]
	s_delay_alu instid0(VALU_DEP_2) | instskip(SKIP_1) | instid1(VALU_DEP_3)
	v_add_f64_e32 v[38:39], v[28:29], v[30:31]
	v_add_f64_e64 v[34:35], v[30:31], -v[34:35]
	v_add_f64_e64 v[36:37], v[36:37], -v[40:41]
	s_delay_alu instid0(VALU_DEP_3) | instskip(NEXT) | instid1(VALU_DEP_3)
	v_add_f64_e64 v[42:43], v[38:39], -v[28:29]
	v_add_f64_e64 v[6:7], v[6:7], -v[34:35]
	s_delay_alu instid0(VALU_DEP_2) | instskip(SKIP_1) | instid1(VALU_DEP_3)
	v_add_f64_e64 v[44:45], v[38:39], -v[42:43]
	v_add_f64_e64 v[30:31], v[30:31], -v[42:43]
	v_add_f64_e32 v[34:35], v[36:37], v[6:7]
	s_delay_alu instid0(VALU_DEP_3) | instskip(NEXT) | instid1(VALU_DEP_1)
	v_add_f64_e64 v[28:29], v[28:29], -v[44:45]
	v_add_f64_e32 v[28:29], v[30:31], v[28:29]
	s_delay_alu instid0(VALU_DEP_3) | instskip(NEXT) | instid1(VALU_DEP_2)
	v_add_f64_e64 v[30:31], v[34:35], -v[36:37]
	v_add_f64_e32 v[28:29], v[34:35], v[28:29]
	s_delay_alu instid0(VALU_DEP_2) | instskip(SKIP_1) | instid1(VALU_DEP_3)
	v_add_f64_e64 v[34:35], v[34:35], -v[30:31]
	v_add_f64_e64 v[6:7], v[6:7], -v[30:31]
	v_add_f64_e32 v[40:41], v[38:39], v[28:29]
	s_delay_alu instid0(VALU_DEP_3) | instskip(NEXT) | instid1(VALU_DEP_2)
	v_add_f64_e64 v[30:31], v[36:37], -v[34:35]
	v_add_f64_e64 v[34:35], v[40:41], -v[38:39]
	s_delay_alu instid0(VALU_DEP_2) | instskip(NEXT) | instid1(VALU_DEP_2)
	v_add_f64_e32 v[6:7], v[6:7], v[30:31]
	v_add_f64_e64 v[28:29], v[28:29], -v[34:35]
	s_delay_alu instid0(VALU_DEP_1) | instskip(SKIP_1) | instid1(VALU_DEP_2)
	v_add_f64_e32 v[6:7], v[6:7], v[28:29]
	v_mov_b64_e32 v[28:29], 0x7ff8000000000000
	v_add_f64_e32 v[6:7], v[40:41], v[6:7]
	s_delay_alu instid0(VALU_DEP_1) | instskip(SKIP_1) | instid1(VALU_DEP_2)
	v_dual_cndmask_b32 v6, v6, v32 :: v_dual_cndmask_b32 v7, v7, v33
	v_cmp_ngt_f64_e32 vcc_lo, 0, v[32:33]
	v_cndmask_b32_e32 v7, 0x7ff80000, v7, vcc_lo
	v_cmp_nge_f64_e32 vcc_lo, 0, v[32:33]
	s_delay_alu instid0(VALU_DEP_4) | instskip(SKIP_1) | instid1(VALU_DEP_4)
	v_cndmask_b32_e32 v30, 0, v6, vcc_lo
	v_cmp_neq_f64_e32 vcc_lo, 0, v[32:33]
	v_cndmask_b32_e32 v31, 0xfff00000, v7, vcc_lo
.LBB197_196:                            ;   in Loop: Header=BB197_162 Depth=1
	s_or_b32 exec_lo, exec_lo, s0
                                        ; implicit-def: $vgpr32_vgpr33
                                        ; implicit-def: $vgpr6_vgpr7
	s_delay_alu instid0(SALU_CYCLE_1)
	s_mov_b32 s0, exec_lo
	s_wait_loadcnt 0x2
	v_cmpx_o_f64_e32 v[10:11], v[12:13]
	s_xor_b32 s33, exec_lo, s0
	s_cbranch_execz .LBB197_224
; %bb.197:                              ;   in Loop: Header=BB197_162 Depth=1
	v_cmp_lt_f64_e64 s0, |v[10:11]|, |v[12:13]|
	v_and_b32_e32 v34, 0x7fffffff, v11
	v_and_b32_e32 v21, 0x7fffffff, v13
                                        ; implicit-def: $vgpr32_vgpr33
                                        ; implicit-def: $vgpr6_vgpr7
	s_mov_b32 s1, exec_lo
	s_delay_alu instid0(VALU_DEP_1) | instskip(SKIP_1) | instid1(VALU_DEP_1)
	v_dual_mov_b32 v8, v12 :: v_dual_cndmask_b32 v37, v21, v34, s0
	v_cndmask_b32_e64 v36, v12, v10, s0
	v_cmpx_nlt_f64_e32 s[12:13], v[36:37]
	s_xor_b32 s38, exec_lo, s1
	s_cbranch_execz .LBB197_221
; %bb.198:                              ;   in Loop: Header=BB197_162 Depth=1
	v_cndmask_b32_e64 v39, v34, v21, s0
	v_cndmask_b32_e64 v38, v10, v8, s0
                                        ; implicit-def: $vgpr32_vgpr33
                                        ; implicit-def: $vgpr6_vgpr7
	s_mov_b32 s1, exec_lo
	s_delay_alu instid0(VALU_DEP_1)
	v_cmpx_neq_f64_e32 1.0, v[38:39]
	s_xor_b32 s39, exec_lo, s1
	s_cbranch_execz .LBB197_214
; %bb.199:                              ;   in Loop: Header=BB197_162 Depth=1
	v_max_num_f64_e32 v[6:7], v[36:37], v[36:37]
	v_max_num_f64_e32 v[32:33], v[38:39], v[38:39]
	s_delay_alu instid0(VALU_DEP_1) | instskip(SKIP_1) | instid1(VALU_DEP_2)
	v_min_num_f64_e32 v[34:35], v[32:33], v[6:7]
	v_max_num_f64_e32 v[6:7], v[32:33], v[6:7]
                                        ; implicit-def: $vgpr32_vgpr33
	v_cmp_ngt_f64_e32 vcc_lo, s[14:15], v[34:35]
	s_delay_alu instid0(VALU_DEP_2) | instskip(SKIP_1) | instid1(SALU_CYCLE_1)
	v_cmp_nlt_f64_e64 s1, s[16:17], v[6:7]
                                        ; implicit-def: $vgpr6_vgpr7
	s_and_b32 s1, s1, vcc_lo
	s_and_saveexec_b32 s2, s1
	s_delay_alu instid0(SALU_CYCLE_1)
	s_xor_b32 s40, exec_lo, s2
	s_cbranch_execz .LBB197_211
; %bb.200:                              ;   in Loop: Header=BB197_162 Depth=1
                                        ; implicit-def: $vgpr32_vgpr33
                                        ; implicit-def: $vgpr6_vgpr7
	s_mov_b32 s1, exec_lo
	v_cmpx_le_f64_e32 1.0, v[38:39]
	s_xor_b32 s4, exec_lo, s1
	s_cbranch_execz .LBB197_202
; %bb.201:                              ;   in Loop: Header=BB197_162 Depth=1
	v_add_f64_e32 v[6:7], -1.0, v[38:39]
	v_cmp_eq_f64_e64 s1, 0, v[12:13]
	v_add_f64_e32 v[32:33], 1.0, v[38:39]
	v_cmp_class_f64_e64 s6, v[10:11], 0x204
	v_cmp_class_f64_e64 s5, v[12:13], 0x204
	s_delay_alu instid0(VALU_DEP_3) | instskip(NEXT) | instid1(VALU_DEP_1)
	v_mul_f64_e32 v[34:35], v[6:7], v[32:33]
	v_fmac_f64_e32 v[34:35], v[36:37], v[36:37]
	s_delay_alu instid0(VALU_DEP_1) | instskip(SKIP_2) | instid1(VALU_DEP_3)
	v_add_f64_e32 v[6:7], 1.0, v[34:35]
	v_cmp_nge_f64_e64 s2, -1.0, v[34:35]
	v_cmp_neq_f64_e64 s3, 0x7ff00000, v[34:35]
	v_frexp_mant_f64_e32 v[32:33], v[6:7]
	v_frexp_exp_i32_f64_e32 v8, v[6:7]
	v_add_f64_e32 v[36:37], -1.0, v[6:7]
	s_delay_alu instid0(VALU_DEP_3) | instskip(NEXT) | instid1(VALU_DEP_2)
	v_cmp_gt_f64_e32 vcc_lo, s[20:21], v[32:33]
	v_add_f64_e64 v[32:33], v[36:37], -v[6:7]
	v_add_f64_e64 v[36:37], v[34:35], -v[36:37]
	v_subrev_co_ci_u32_e64 v8, null, 0, v8, vcc_lo
	s_delay_alu instid0(VALU_DEP_3) | instskip(NEXT) | instid1(VALU_DEP_2)
	v_add_f64_e32 v[32:33], 1.0, v[32:33]
	v_sub_nc_u32_e32 v21, 0, v8
	s_delay_alu instid0(VALU_DEP_1) | instskip(NEXT) | instid1(VALU_DEP_3)
	v_ldexp_f64 v[6:7], v[6:7], v21
	v_add_f64_e32 v[32:33], v[36:37], v[32:33]
	s_delay_alu instid0(VALU_DEP_2) | instskip(SKIP_1) | instid1(VALU_DEP_3)
	v_add_f64_e32 v[38:39], 1.0, v[6:7]
	v_add_f64_e32 v[44:45], -1.0, v[6:7]
	v_ldexp_f64 v[32:33], v[32:33], v21
	s_delay_alu instid0(VALU_DEP_3) | instskip(NEXT) | instid1(VALU_DEP_3)
	v_add_f64_e32 v[36:37], -1.0, v[38:39]
	v_add_f64_e32 v[46:47], 1.0, v[44:45]
	s_delay_alu instid0(VALU_DEP_2) | instskip(NEXT) | instid1(VALU_DEP_2)
	v_add_f64_e64 v[36:37], v[6:7], -v[36:37]
	v_add_f64_e64 v[6:7], v[6:7], -v[46:47]
	s_delay_alu instid0(VALU_DEP_2) | instskip(NEXT) | instid1(VALU_DEP_2)
	v_add_f64_e32 v[36:37], v[32:33], v[36:37]
	v_add_f64_e32 v[6:7], v[32:33], v[6:7]
	s_delay_alu instid0(VALU_DEP_2) | instskip(NEXT) | instid1(VALU_DEP_2)
	v_add_f64_e32 v[40:41], v[38:39], v[36:37]
	v_add_f64_e32 v[46:47], v[44:45], v[6:7]
	s_delay_alu instid0(VALU_DEP_2) | instskip(SKIP_1) | instid1(VALU_DEP_2)
	v_rcp_f64_e32 v[42:43], v[40:41]
	v_add_f64_e64 v[38:39], v[40:41], -v[38:39]
	v_add_f64_e64 v[44:45], v[46:47], -v[44:45]
	s_delay_alu instid0(VALU_DEP_2) | instskip(NEXT) | instid1(VALU_DEP_2)
	v_add_f64_e64 v[36:37], v[36:37], -v[38:39]
	v_add_f64_e64 v[6:7], v[6:7], -v[44:45]
	s_delay_alu instid0(TRANS32_DEP_1) | instskip(NEXT) | instid1(VALU_DEP_1)
	v_fma_f64 v[48:49], -v[40:41], v[42:43], 1.0
	v_fmac_f64_e32 v[42:43], v[48:49], v[42:43]
	s_delay_alu instid0(VALU_DEP_1) | instskip(NEXT) | instid1(VALU_DEP_1)
	v_fma_f64 v[32:33], -v[40:41], v[42:43], 1.0
	v_fmac_f64_e32 v[42:43], v[32:33], v[42:43]
	s_delay_alu instid0(VALU_DEP_1) | instskip(NEXT) | instid1(VALU_DEP_1)
	v_mul_f64_e32 v[32:33], v[46:47], v[42:43]
	v_mul_f64_e32 v[48:49], v[40:41], v[32:33]
	s_delay_alu instid0(VALU_DEP_1) | instskip(NEXT) | instid1(VALU_DEP_1)
	v_fma_f64 v[38:39], v[32:33], v[40:41], -v[48:49]
	v_fmac_f64_e32 v[38:39], v[32:33], v[36:37]
	s_delay_alu instid0(VALU_DEP_1) | instskip(NEXT) | instid1(VALU_DEP_1)
	v_add_f64_e32 v[50:51], v[48:49], v[38:39]
	v_add_f64_e64 v[52:53], v[46:47], -v[50:51]
	v_add_f64_e64 v[44:45], v[50:51], -v[48:49]
	s_delay_alu instid0(VALU_DEP_2) | instskip(NEXT) | instid1(VALU_DEP_2)
	v_add_f64_e64 v[46:47], v[46:47], -v[52:53]
	v_add_f64_e64 v[38:39], v[44:45], -v[38:39]
	s_delay_alu instid0(VALU_DEP_2) | instskip(NEXT) | instid1(VALU_DEP_1)
	v_add_f64_e64 v[46:47], v[46:47], -v[50:51]
	v_add_f64_e32 v[6:7], v[6:7], v[46:47]
	s_delay_alu instid0(VALU_DEP_1) | instskip(NEXT) | instid1(VALU_DEP_1)
	v_add_f64_e32 v[6:7], v[38:39], v[6:7]
	v_add_f64_e32 v[38:39], v[52:53], v[6:7]
	s_delay_alu instid0(VALU_DEP_1) | instskip(SKIP_1) | instid1(VALU_DEP_2)
	v_mul_f64_e32 v[44:45], v[42:43], v[38:39]
	v_add_f64_e64 v[50:51], v[52:53], -v[38:39]
	v_mul_f64_e32 v[46:47], v[40:41], v[44:45]
	s_delay_alu instid0(VALU_DEP_2) | instskip(NEXT) | instid1(VALU_DEP_2)
	v_add_f64_e32 v[6:7], v[6:7], v[50:51]
	v_fma_f64 v[40:41], v[44:45], v[40:41], -v[46:47]
	s_delay_alu instid0(VALU_DEP_1) | instskip(NEXT) | instid1(VALU_DEP_1)
	v_fmac_f64_e32 v[40:41], v[44:45], v[36:37]
	v_add_f64_e32 v[36:37], v[46:47], v[40:41]
	s_delay_alu instid0(VALU_DEP_1) | instskip(SKIP_1) | instid1(VALU_DEP_2)
	v_add_f64_e64 v[48:49], v[38:39], -v[36:37]
	v_add_f64_e64 v[46:47], v[36:37], -v[46:47]
	v_add_f64_e64 v[38:39], v[38:39], -v[48:49]
	s_delay_alu instid0(VALU_DEP_1) | instskip(NEXT) | instid1(VALU_DEP_3)
	v_add_f64_e64 v[36:37], v[38:39], -v[36:37]
	v_add_f64_e64 v[38:39], v[46:47], -v[40:41]
	v_max_num_f64_e64 v[40:41], |v[10:11]|, |v[10:11]|
	s_delay_alu instid0(VALU_DEP_3) | instskip(SKIP_1) | instid1(VALU_DEP_2)
	v_add_f64_e32 v[6:7], v[6:7], v[36:37]
	v_add_f64_e32 v[36:37], v[32:33], v[44:45]
	;; [unrolled: 1-line block ×3, first 2 shown]
	s_delay_alu instid0(VALU_DEP_2) | instskip(SKIP_1) | instid1(VALU_DEP_3)
	v_add_f64_e64 v[32:33], v[36:37], -v[32:33]
	v_max_num_f64_e64 v[38:39], |v[12:13]|, |v[12:13]|
	v_add_f64_e32 v[6:7], v[48:49], v[6:7]
	s_delay_alu instid0(VALU_DEP_3) | instskip(NEXT) | instid1(VALU_DEP_2)
	v_add_f64_e64 v[32:33], v[44:45], -v[32:33]
	v_mul_f64_e32 v[6:7], v[42:43], v[6:7]
	s_delay_alu instid0(VALU_DEP_1) | instskip(SKIP_2) | instid1(VALU_DEP_3)
	v_add_f64_e32 v[6:7], v[32:33], v[6:7]
	v_max_num_f64_e32 v[32:33], v[40:41], v[38:39]
	v_min_num_f64_e32 v[38:39], v[40:41], v[38:39]
	v_add_f64_e32 v[40:41], v[36:37], v[6:7]
	s_delay_alu instid0(VALU_DEP_2) | instskip(NEXT) | instid1(VALU_DEP_2)
	v_div_scale_f64 v[42:43], null, v[32:33], v[32:33], v[38:39]
	v_mul_f64_e32 v[44:45], v[40:41], v[40:41]
	v_add_f64_e64 v[36:37], v[40:41], -v[36:37]
	s_delay_alu instid0(VALU_DEP_3) | instskip(NEXT) | instid1(VALU_DEP_2)
	v_rcp_f64_e32 v[46:47], v[42:43]
	v_fmamk_f64 v[48:49], v[44:45], 0x3fc3ab76bf559e2b, v[22:23]
	v_mul_f64_e32 v[50:51], v[40:41], v[44:45]
	s_delay_alu instid0(VALU_DEP_3) | instskip(NEXT) | instid1(VALU_DEP_3)
	v_add_f64_e64 v[6:7], v[6:7], -v[36:37]
	v_fmaak_f64 v[48:49], v[44:45], v[48:49], 0x3fc7474dd7f4df2e
	s_delay_alu instid0(TRANS32_DEP_1) | instskip(NEXT) | instid1(VALU_DEP_2)
	v_fma_f64 v[52:53], -v[42:43], v[46:47], 1.0
	v_fmaak_f64 v[48:49], v[44:45], v[48:49], 0x3fcc71c016291751
	s_delay_alu instid0(VALU_DEP_1) | instskip(NEXT) | instid1(VALU_DEP_1)
	v_fmaak_f64 v[48:49], v[44:45], v[48:49], 0x3fd249249b27acf1
	v_fmaak_f64 v[48:49], v[44:45], v[48:49], 0x3fd99999998ef7b6
	v_ldexp_f64 v[6:7], v[6:7], 1
	s_delay_alu instid0(VALU_DEP_2) | instskip(SKIP_2) | instid1(VALU_DEP_3)
	v_fmaak_f64 v[44:45], v[44:45], v[48:49], 0x3fe5555555555780
	v_ldexp_f64 v[48:49], v[40:41], 1
	v_fmac_f64_e32 v[46:47], v[46:47], v[52:53]
	v_mul_f64_e32 v[44:45], v[50:51], v[44:45]
	v_cvt_f64_i32_e32 v[50:51], v8
	v_ashrrev_i32_e32 v8, 31, v11
	s_delay_alu instid0(VALU_DEP_4) | instskip(NEXT) | instid1(VALU_DEP_4)
	v_fma_f64 v[52:53], -v[42:43], v[46:47], 1.0
	v_add_f64_e32 v[40:41], v[48:49], v[44:45]
	s_delay_alu instid0(VALU_DEP_4) | instskip(NEXT) | instid1(VALU_DEP_3)
	v_mul_f64_e32 v[54:55], 0x3fe62e42fefa39ef, v[50:51]
	v_fmac_f64_e32 v[46:47], v[46:47], v[52:53]
	s_delay_alu instid0(VALU_DEP_3) | instskip(SKIP_1) | instid1(VALU_DEP_4)
	v_add_f64_e64 v[36:37], v[40:41], -v[48:49]
	v_div_scale_f64 v[48:49], vcc_lo, v[38:39], v[32:33], v[38:39]
	v_fma_f64 v[52:53], v[50:51], s[22:23], -v[54:55]
	s_delay_alu instid0(VALU_DEP_3) | instskip(NEXT) | instid1(VALU_DEP_3)
	v_add_f64_e64 v[36:37], v[44:45], -v[36:37]
	v_mul_f64_e32 v[44:45], v[48:49], v[46:47]
	s_delay_alu instid0(VALU_DEP_3) | instskip(NEXT) | instid1(VALU_DEP_3)
	v_fmac_f64_e32 v[52:53], 0x3c7abc9e3b39803f, v[50:51]
	v_add_f64_e32 v[6:7], v[6:7], v[36:37]
	s_delay_alu instid0(VALU_DEP_3) | instskip(NEXT) | instid1(VALU_DEP_3)
	v_fma_f64 v[36:37], -v[42:43], v[44:45], v[48:49]
	v_add_f64_e32 v[42:43], v[54:55], v[52:53]
	s_delay_alu instid0(VALU_DEP_3) | instskip(NEXT) | instid1(VALU_DEP_3)
	v_add_f64_e32 v[48:49], v[40:41], v[6:7]
	v_div_fmas_f64 v[36:37], v[36:37], v[46:47], v[44:45]
	v_cmp_gt_i32_e32 vcc_lo, 0, v11
	s_delay_alu instid0(VALU_DEP_4) | instskip(SKIP_2) | instid1(VALU_DEP_1)
	v_add_f64_e64 v[46:47], v[42:43], -v[54:55]
	v_cndmask_b32_e32 v21, 0x54442d18, v60, vcc_lo
	v_cndmask_b32_e32 v10, 0x3fe921fb, v61, vcc_lo
	v_bfi_b32 v10, 0x7fffffff, v10, v13
	v_add_f64_e32 v[44:45], v[42:43], v[48:49]
	v_div_fixup_f64 v[32:33], v[36:37], v[32:33], v[38:39]
	v_add_f64_e64 v[40:41], v[48:49], -v[40:41]
	v_add_f64_e64 v[46:47], v[52:53], -v[46:47]
	s_delay_alu instid0(VALU_DEP_4) | instskip(NEXT) | instid1(VALU_DEP_4)
	v_add_f64_e64 v[36:37], v[44:45], -v[42:43]
	v_mul_f64_e32 v[38:39], v[32:33], v[32:33]
	s_delay_alu instid0(VALU_DEP_4) | instskip(NEXT) | instid1(VALU_DEP_3)
	v_add_f64_e64 v[6:7], v[6:7], -v[40:41]
	v_add_f64_e64 v[50:51], v[44:45], -v[36:37]
	s_delay_alu instid0(VALU_DEP_3) | instskip(SKIP_1) | instid1(VALU_DEP_4)
	v_fmamk_f64 v[54:55], v[38:39], 0x3eeba404b5e68a13, v[24:25]
	v_add_f64_e64 v[36:37], v[48:49], -v[36:37]
	v_add_f64_e32 v[48:49], v[46:47], v[6:7]
	s_delay_alu instid0(VALU_DEP_3) | instskip(SKIP_1) | instid1(VALU_DEP_2)
	v_fmaak_f64 v[54:55], v[38:39], v[54:55], 0x3f4b2bb069efb384
	v_add_f64_e64 v[40:41], v[42:43], -v[50:51]
	v_fmaak_f64 v[42:43], v[38:39], v[54:55], 0xbf67952daf56de9b
	s_delay_alu instid0(VALU_DEP_1) | instskip(NEXT) | instid1(VALU_DEP_1)
	v_fmaak_f64 v[42:43], v[38:39], v[42:43], 0x3f7d6d43a595c56f
	v_fmaak_f64 v[42:43], v[38:39], v[42:43], 0xbf8c6ea4a57d9582
	s_delay_alu instid0(VALU_DEP_1) | instskip(NEXT) | instid1(VALU_DEP_1)
	v_fmaak_f64 v[42:43], v[38:39], v[42:43], 0x3f967e295f08b19f
	v_fmaak_f64 v[42:43], v[38:39], v[42:43], 0xbf9e9ae6fc27006a
	v_add_f64_e32 v[36:37], v[36:37], v[40:41]
	s_delay_alu instid0(VALU_DEP_2) | instskip(SKIP_1) | instid1(VALU_DEP_2)
	v_fmaak_f64 v[40:41], v[38:39], v[42:43], 0x3fa2c15b5711927a
	v_add_f64_e64 v[42:43], v[48:49], -v[46:47]
	v_fmaak_f64 v[40:41], v[38:39], v[40:41], 0xbfa59976e82d3ff0
	s_delay_alu instid0(VALU_DEP_1) | instskip(NEXT) | instid1(VALU_DEP_1)
	v_fmaak_f64 v[40:41], v[38:39], v[40:41], 0x3fa82d5d6ef28734
	v_fmaak_f64 v[40:41], v[38:39], v[40:41], 0xbfaae5ce6a214619
	s_delay_alu instid0(VALU_DEP_1) | instskip(SKIP_3) | instid1(VALU_DEP_4)
	v_fmaak_f64 v[40:41], v[38:39], v[40:41], 0x3fae1bb48427b883
	v_add_f64_e32 v[36:37], v[48:49], v[36:37]
	v_add_f64_e64 v[48:49], v[48:49], -v[42:43]
	v_add_f64_e64 v[6:7], v[6:7], -v[42:43]
	v_fmaak_f64 v[40:41], v[38:39], v[40:41], 0xbfb110e48b207f05
	s_delay_alu instid0(VALU_DEP_1) | instskip(NEXT) | instid1(VALU_DEP_1)
	v_fmaak_f64 v[40:41], v[38:39], v[40:41], 0x3fb3b13657b87036
	v_fmaak_f64 v[40:41], v[38:39], v[40:41], 0xbfb745d119378e4f
	s_delay_alu instid0(VALU_DEP_1) | instskip(SKIP_1) | instid1(VALU_DEP_2)
	v_fmaak_f64 v[40:41], v[38:39], v[40:41], 0x3fbc71c717e1913c
	v_add_f64_e32 v[50:51], v[44:45], v[36:37]
	v_fmaak_f64 v[40:41], v[38:39], v[40:41], 0xbfc2492492376b7d
	s_delay_alu instid0(VALU_DEP_1) | instskip(NEXT) | instid1(VALU_DEP_1)
	v_fmaak_f64 v[40:41], v[38:39], v[40:41], 0x3fc99999999952cc
	v_fmaak_f64 v[40:41], v[38:39], v[40:41], 0xbfd5555555555523
	s_delay_alu instid0(VALU_DEP_1) | instskip(SKIP_2) | instid1(VALU_DEP_3)
	v_mul_f64_e32 v[38:39], v[38:39], v[40:41]
	v_add_f64_e64 v[40:41], v[46:47], -v[48:49]
	v_add_f64_e64 v[42:43], v[50:51], -v[44:45]
	v_fmac_f64_e32 v[32:33], v[32:33], v[38:39]
	s_delay_alu instid0(VALU_DEP_3) | instskip(NEXT) | instid1(VALU_DEP_3)
	v_add_f64_e32 v[6:7], v[6:7], v[40:41]
	v_add_f64_e64 v[36:37], v[36:37], -v[42:43]
	s_delay_alu instid0(VALU_DEP_3) | instskip(NEXT) | instid1(VALU_DEP_1)
	v_add_f64_e64 v[38:39], -v[32:33], s[24:25]
	v_dual_add_f64 v[6:7], v[6:7], v[36:37] :: v_dual_cndmask_b32 v33, v33, v39, s0
	s_delay_alu instid0(VALU_DEP_2) | instskip(SKIP_2) | instid1(VALU_DEP_3)
	v_cndmask_b32_e64 v32, v32, v38, s0
	v_and_b32_e32 v38, 0x54442d18, v8
	v_and_b32_e32 v8, 0x400921fb, v8
	v_add_f64_e64 v[36:37], -v[32:33], s[26:27]
	s_delay_alu instid0(VALU_DEP_1) | instskip(NEXT) | instid1(VALU_DEP_2)
	v_dual_add_f64 v[6:7], v[50:51], v[6:7] :: v_dual_cndmask_b32 v32, v32, v36, vcc_lo
	v_cndmask_b32_e32 v11, v33, v37, vcc_lo
	v_cmp_ngt_f64_e32 vcc_lo, -1.0, v[34:35]
	s_delay_alu instid0(VALU_DEP_3) | instskip(NEXT) | instid1(VALU_DEP_3)
	v_mul_f64_e32 v[6:7], 0.5, v[6:7]
	v_dual_cndmask_b32 v36, v32, v38, s1 :: v_dual_cndmask_b32 v8, v11, v8, s1
	s_and_b32 s1, s2, s3
                                        ; implicit-def: $vgpr38_vgpr39
	s_delay_alu instid0(VALU_DEP_2) | instid1(SALU_CYCLE_1)
	v_cndmask_b32_e64 v32, 0, v6, s1
	v_cmp_neq_f64_e64 s1, -1.0, v[34:35]
	s_delay_alu instid0(VALU_DEP_4) | instskip(NEXT) | instid1(VALU_DEP_1)
	v_cndmask_b32_e64 v7, 0x7ff00000, v7, s3
	v_cndmask_b32_e32 v11, 0x7ff80000, v7, vcc_lo
	s_and_b32 vcc_lo, s6, s5
	v_cndmask_b32_e32 v7, v8, v10, vcc_lo
	v_cndmask_b32_e32 v6, v36, v21, vcc_lo
                                        ; implicit-def: $vgpr36_vgpr37
	s_delay_alu instid0(VALU_DEP_3)
	v_cndmask_b32_e64 v33, 0xfff00000, v11, s1
.LBB197_202:                            ;   in Loop: Header=BB197_162 Depth=1
	s_and_not1_saveexec_b32 s41, s4
	s_cbranch_execz .LBB197_210
; %bb.203:                              ;   in Loop: Header=BB197_162 Depth=1
	v_mul_f64_e32 v[34:35], v[36:37], v[36:37]
                                        ; implicit-def: $vgpr32_vgpr33
                                        ; implicit-def: $vgpr6_vgpr7
	s_mov_b32 s1, exec_lo
	s_delay_alu instid0(VALU_DEP_1) | instskip(NEXT) | instid1(VALU_DEP_1)
	v_fmac_f64_e32 v[34:35], v[38:39], v[38:39]
	v_cmpx_ge_f64_e32 s[28:29], v[34:35]
	s_xor_b32 s3, exec_lo, s1
	s_cbranch_execz .LBB197_205
; %bb.204:                              ;   in Loop: Header=BB197_162 Depth=1
	v_frexp_mant_f64_e32 v[6:7], v[34:35]
	v_cmp_eq_f64_e64 s1, 0, v[12:13]
	v_cmp_neq_f64_e64 s2, 0, v[34:35]
	v_cmp_class_f64_e64 s4, v[12:13], 0x204
	v_cmp_class_f64_e64 s5, v[10:11], 0x204
	v_cmp_gt_f64_e32 vcc_lo, s[20:21], v[6:7]
	v_cndmask_b32_e64 v8, 0, 1, vcc_lo
	s_delay_alu instid0(VALU_DEP_1) | instskip(SKIP_1) | instid1(VALU_DEP_2)
	v_ldexp_f64 v[6:7], v[6:7], v8
	v_frexp_exp_i32_f64_e32 v8, v[34:35]
	v_add_f64_e32 v[32:33], 1.0, v[6:7]
	v_add_f64_e32 v[40:41], -1.0, v[6:7]
	s_delay_alu instid0(VALU_DEP_3) | instskip(NEXT) | instid1(VALU_DEP_3)
	v_subrev_co_ci_u32_e64 v8, null, 0, v8, vcc_lo
	v_rcp_f64_e32 v[36:37], v[32:33]
	v_add_f64_e32 v[42:43], -1.0, v[32:33]
	s_delay_alu instid0(VALU_DEP_1) | instskip(NEXT) | instid1(TRANS32_DEP_1)
	v_add_f64_e64 v[6:7], v[6:7], -v[42:43]
	v_fma_f64 v[38:39], -v[32:33], v[36:37], 1.0
	s_delay_alu instid0(VALU_DEP_1) | instskip(NEXT) | instid1(VALU_DEP_1)
	v_fmac_f64_e32 v[36:37], v[38:39], v[36:37]
	v_fma_f64 v[38:39], -v[32:33], v[36:37], 1.0
	s_delay_alu instid0(VALU_DEP_1) | instskip(NEXT) | instid1(VALU_DEP_1)
	v_fmac_f64_e32 v[36:37], v[38:39], v[36:37]
	v_mul_f64_e32 v[38:39], v[40:41], v[36:37]
	s_delay_alu instid0(VALU_DEP_1) | instskip(NEXT) | instid1(VALU_DEP_1)
	v_mul_f64_e32 v[44:45], v[32:33], v[38:39]
	v_fma_f64 v[32:33], v[38:39], v[32:33], -v[44:45]
	s_delay_alu instid0(VALU_DEP_1) | instskip(NEXT) | instid1(VALU_DEP_1)
	v_fmac_f64_e32 v[32:33], v[38:39], v[6:7]
	v_add_f64_e32 v[6:7], v[44:45], v[32:33]
	s_delay_alu instid0(VALU_DEP_1) | instskip(SKIP_1) | instid1(VALU_DEP_2)
	v_add_f64_e64 v[42:43], v[40:41], -v[6:7]
	v_add_f64_e64 v[44:45], v[6:7], -v[44:45]
	;; [unrolled: 1-line block ×3, first 2 shown]
	s_delay_alu instid0(VALU_DEP_2) | instskip(NEXT) | instid1(VALU_DEP_2)
	v_add_f64_e64 v[32:33], v[44:45], -v[32:33]
	v_add_f64_e64 v[6:7], v[40:41], -v[6:7]
	v_max_num_f64_e64 v[40:41], |v[10:11]|, |v[10:11]|
	s_delay_alu instid0(VALU_DEP_2) | instskip(SKIP_1) | instid1(VALU_DEP_2)
	v_add_f64_e32 v[6:7], v[32:33], v[6:7]
	v_max_num_f64_e64 v[32:33], |v[12:13]|, |v[12:13]|
	v_add_f64_e32 v[6:7], v[42:43], v[6:7]
	s_delay_alu instid0(VALU_DEP_1) | instskip(NEXT) | instid1(VALU_DEP_3)
	v_mul_f64_e32 v[6:7], v[36:37], v[6:7]
	v_max_num_f64_e32 v[36:37], v[40:41], v[32:33]
	v_min_num_f64_e32 v[32:33], v[40:41], v[32:33]
	s_delay_alu instid0(VALU_DEP_3) | instskip(NEXT) | instid1(VALU_DEP_2)
	v_add_f64_e32 v[40:41], v[38:39], v[6:7]
	v_div_scale_f64 v[42:43], null, v[36:37], v[36:37], v[32:33]
	s_delay_alu instid0(VALU_DEP_2) | instskip(NEXT) | instid1(VALU_DEP_2)
	v_mul_f64_e32 v[44:45], v[40:41], v[40:41]
	v_rcp_f64_e32 v[46:47], v[42:43]
	s_delay_alu instid0(VALU_DEP_1) | instskip(SKIP_1) | instid1(VALU_DEP_2)
	v_fmamk_f64 v[48:49], v[44:45], 0x3fc3ab76bf559e2b, v[22:23]
	v_mul_f64_e32 v[50:51], v[40:41], v[44:45]
	v_fmaak_f64 v[48:49], v[44:45], v[48:49], 0x3fc7474dd7f4df2e
	s_delay_alu instid0(TRANS32_DEP_1) | instskip(NEXT) | instid1(VALU_DEP_2)
	v_fma_f64 v[52:53], -v[42:43], v[46:47], 1.0
	v_fmaak_f64 v[48:49], v[44:45], v[48:49], 0x3fcc71c016291751
	s_delay_alu instid0(VALU_DEP_1) | instskip(NEXT) | instid1(VALU_DEP_1)
	v_fmaak_f64 v[48:49], v[44:45], v[48:49], 0x3fd249249b27acf1
	v_fmaak_f64 v[48:49], v[44:45], v[48:49], 0x3fd99999998ef7b6
	s_delay_alu instid0(VALU_DEP_1) | instskip(SKIP_2) | instid1(VALU_DEP_3)
	v_fmaak_f64 v[44:45], v[44:45], v[48:49], 0x3fe5555555555780
	v_ldexp_f64 v[48:49], v[40:41], 1
	v_fmac_f64_e32 v[46:47], v[46:47], v[52:53]
	v_mul_f64_e32 v[44:45], v[50:51], v[44:45]
	v_cvt_f64_i32_e32 v[50:51], v8
	v_ashrrev_i32_e32 v8, 31, v11
	v_add_f64_e64 v[38:39], v[40:41], -v[38:39]
	v_fma_f64 v[52:53], -v[42:43], v[46:47], 1.0
	v_add_f64_e32 v[40:41], v[48:49], v[44:45]
	v_mul_f64_e32 v[54:55], 0x3fe62e42fefa39ef, v[50:51]
	s_delay_alu instid0(VALU_DEP_4) | instskip(NEXT) | instid1(VALU_DEP_4)
	v_add_f64_e64 v[6:7], v[6:7], -v[38:39]
	v_fmac_f64_e32 v[46:47], v[46:47], v[52:53]
	s_delay_alu instid0(VALU_DEP_4) | instskip(SKIP_3) | instid1(VALU_DEP_4)
	v_add_f64_e64 v[38:39], v[40:41], -v[48:49]
	v_div_scale_f64 v[48:49], vcc_lo, v[32:33], v[36:37], v[32:33]
	v_fma_f64 v[52:53], v[50:51], s[22:23], -v[54:55]
	v_ldexp_f64 v[6:7], v[6:7], 1
	v_add_f64_e64 v[38:39], v[44:45], -v[38:39]
	s_delay_alu instid0(VALU_DEP_4) | instskip(NEXT) | instid1(VALU_DEP_4)
	v_mul_f64_e32 v[44:45], v[48:49], v[46:47]
	v_fmac_f64_e32 v[52:53], 0x3c7abc9e3b39803f, v[50:51]
	s_delay_alu instid0(VALU_DEP_3) | instskip(NEXT) | instid1(VALU_DEP_3)
	v_add_f64_e32 v[6:7], v[6:7], v[38:39]
	v_fma_f64 v[38:39], -v[42:43], v[44:45], v[48:49]
	s_delay_alu instid0(VALU_DEP_3) | instskip(NEXT) | instid1(VALU_DEP_3)
	v_add_f64_e32 v[42:43], v[54:55], v[52:53]
	v_add_f64_e32 v[48:49], v[40:41], v[6:7]
	s_delay_alu instid0(VALU_DEP_3) | instskip(SKIP_1) | instid1(VALU_DEP_4)
	v_div_fmas_f64 v[38:39], v[38:39], v[46:47], v[44:45]
	v_cmp_gt_i32_e32 vcc_lo, 0, v11
	v_add_f64_e64 v[46:47], v[42:43], -v[54:55]
	v_cndmask_b32_e32 v21, 0x54442d18, v60, vcc_lo
	v_add_f64_e32 v[44:45], v[42:43], v[48:49]
	v_div_fixup_f64 v[32:33], v[38:39], v[36:37], v[32:33]
	v_add_f64_e64 v[40:41], v[48:49], -v[40:41]
	v_add_f64_e64 v[46:47], v[52:53], -v[46:47]
	s_delay_alu instid0(VALU_DEP_4) | instskip(NEXT) | instid1(VALU_DEP_4)
	v_add_f64_e64 v[36:37], v[44:45], -v[42:43]
	v_mul_f64_e32 v[38:39], v[32:33], v[32:33]
	s_delay_alu instid0(VALU_DEP_4) | instskip(NEXT) | instid1(VALU_DEP_3)
	v_add_f64_e64 v[6:7], v[6:7], -v[40:41]
	v_add_f64_e64 v[50:51], v[44:45], -v[36:37]
	s_delay_alu instid0(VALU_DEP_3) | instskip(SKIP_1) | instid1(VALU_DEP_4)
	v_fmamk_f64 v[54:55], v[38:39], 0x3eeba404b5e68a13, v[24:25]
	v_add_f64_e64 v[36:37], v[48:49], -v[36:37]
	v_add_f64_e32 v[48:49], v[46:47], v[6:7]
	s_delay_alu instid0(VALU_DEP_3) | instskip(NEXT) | instid1(VALU_DEP_1)
	v_fmaak_f64 v[54:55], v[38:39], v[54:55], 0x3f4b2bb069efb384
	v_fmaak_f64 v[54:55], v[38:39], v[54:55], 0xbf67952daf56de9b
	v_add_f64_e64 v[40:41], v[42:43], -v[50:51]
	s_delay_alu instid0(VALU_DEP_2) | instskip(NEXT) | instid1(VALU_DEP_1)
	v_fmaak_f64 v[42:43], v[38:39], v[54:55], 0x3f7d6d43a595c56f
	v_fmaak_f64 v[42:43], v[38:39], v[42:43], 0xbf8c6ea4a57d9582
	s_delay_alu instid0(VALU_DEP_1) | instskip(NEXT) | instid1(VALU_DEP_1)
	v_fmaak_f64 v[42:43], v[38:39], v[42:43], 0x3f967e295f08b19f
	v_fmaak_f64 v[42:43], v[38:39], v[42:43], 0xbf9e9ae6fc27006a
	s_delay_alu instid0(VALU_DEP_1) | instskip(SKIP_1) | instid1(VALU_DEP_2)
	v_fmaak_f64 v[42:43], v[38:39], v[42:43], 0x3fa2c15b5711927a
	v_add_f64_e32 v[36:37], v[36:37], v[40:41]
	v_fmaak_f64 v[40:41], v[38:39], v[42:43], 0xbfa59976e82d3ff0
	v_add_f64_e64 v[42:43], v[48:49], -v[46:47]
	s_delay_alu instid0(VALU_DEP_2) | instskip(NEXT) | instid1(VALU_DEP_1)
	v_fmaak_f64 v[40:41], v[38:39], v[40:41], 0x3fa82d5d6ef28734
	v_fmaak_f64 v[40:41], v[38:39], v[40:41], 0xbfaae5ce6a214619
	s_delay_alu instid0(VALU_DEP_1) | instskip(NEXT) | instid1(VALU_DEP_1)
	v_fmaak_f64 v[40:41], v[38:39], v[40:41], 0x3fae1bb48427b883
	v_fmaak_f64 v[40:41], v[38:39], v[40:41], 0xbfb110e48b207f05
	v_add_f64_e32 v[36:37], v[48:49], v[36:37]
	v_add_f64_e64 v[48:49], v[48:49], -v[42:43]
	v_add_f64_e64 v[6:7], v[6:7], -v[42:43]
	s_delay_alu instid0(VALU_DEP_4) | instskip(NEXT) | instid1(VALU_DEP_1)
	v_fmaak_f64 v[40:41], v[38:39], v[40:41], 0x3fb3b13657b87036
	v_fmaak_f64 v[40:41], v[38:39], v[40:41], 0xbfb745d119378e4f
	s_delay_alu instid0(VALU_DEP_1) | instskip(NEXT) | instid1(VALU_DEP_1)
	v_fmaak_f64 v[40:41], v[38:39], v[40:41], 0x3fbc71c717e1913c
	v_fmaak_f64 v[40:41], v[38:39], v[40:41], 0xbfc2492492376b7d
	v_add_f64_e32 v[50:51], v[44:45], v[36:37]
	s_delay_alu instid0(VALU_DEP_2) | instskip(NEXT) | instid1(VALU_DEP_1)
	v_fmaak_f64 v[40:41], v[38:39], v[40:41], 0x3fc99999999952cc
	v_fmaak_f64 v[40:41], v[38:39], v[40:41], 0xbfd5555555555523
	s_delay_alu instid0(VALU_DEP_1) | instskip(SKIP_2) | instid1(VALU_DEP_3)
	v_mul_f64_e32 v[38:39], v[38:39], v[40:41]
	v_add_f64_e64 v[40:41], v[46:47], -v[48:49]
	v_add_f64_e64 v[42:43], v[50:51], -v[44:45]
	v_fmac_f64_e32 v[32:33], v[32:33], v[38:39]
	s_delay_alu instid0(VALU_DEP_3) | instskip(NEXT) | instid1(VALU_DEP_3)
	v_add_f64_e32 v[6:7], v[6:7], v[40:41]
	v_add_f64_e64 v[36:37], v[36:37], -v[42:43]
	s_delay_alu instid0(VALU_DEP_3) | instskip(NEXT) | instid1(VALU_DEP_1)
	v_add_f64_e64 v[38:39], -v[32:33], s[24:25]
	v_dual_add_f64 v[6:7], v[6:7], v[36:37] :: v_dual_cndmask_b32 v33, v33, v39, s0
	s_delay_alu instid0(VALU_DEP_2) | instskip(SKIP_1) | instid1(VALU_DEP_2)
	v_cndmask_b32_e64 v32, v32, v38, s0
	v_and_b32_e32 v38, 0x54442d18, v8
	v_add_f64_e64 v[36:37], -v[32:33], s[26:27]
	s_delay_alu instid0(VALU_DEP_1) | instskip(NEXT) | instid1(VALU_DEP_1)
	v_dual_add_f64 v[6:7], v[50:51], v[6:7] :: v_dual_cndmask_b32 v32, v32, v36, vcc_lo
	v_cndmask_b32_e64 v34, v32, v38, s1
                                        ; implicit-def: $vgpr38_vgpr39
	s_delay_alu instid0(VALU_DEP_2) | instskip(SKIP_4) | instid1(VALU_DEP_3)
	v_mul_f64_e32 v[10:11], 0.5, v[6:7]
	v_cndmask_b32_e32 v6, 0x3fe921fb, v61, vcc_lo
	v_and_b32_e32 v7, 0x400921fb, v8
	v_cndmask_b32_e32 v8, v33, v37, vcc_lo
	s_and_b32 vcc_lo, s5, s4
                                        ; implicit-def: $vgpr36_vgpr37
	v_bfi_b32 v6, 0x7fffffff, v6, v13
	s_delay_alu instid0(VALU_DEP_2) | instskip(NEXT) | instid1(VALU_DEP_1)
	v_cndmask_b32_e64 v7, v8, v7, s1
	v_dual_cndmask_b32 v7, v7, v6 :: v_dual_cndmask_b32 v6, v34, v21
	v_cndmask_b32_e64 v33, 0xfff00000, v11, s2
	v_cndmask_b32_e64 v32, 0, v10, s2
.LBB197_205:                            ;   in Loop: Header=BB197_162 Depth=1
	s_and_not1_saveexec_b32 s42, s3
	s_cbranch_execz .LBB197_209
; %bb.206:                              ;   in Loop: Header=BB197_162 Depth=1
	v_and_b32_e32 v21, 0x7ffffff8, v39
	v_and_b32_e32 v33, 0x7ffffff8, v37
	v_mov_b32_e32 v32, v20
	s_mov_b32 s43, 0
	s_delay_alu instid0(VALU_DEP_3) | instskip(SKIP_1) | instid1(VALU_DEP_3)
	v_dual_add_f64 v[6:7], v[38:39], -v[20:21] :: v_dual_mov_b32 v40, v20
	v_mov_b32_e32 v38, v20
	v_add_f64_e64 v[34:35], v[36:37], -v[32:33]
	v_add_f64_e32 v[50:51], v[32:33], v[32:33]
	s_delay_alu instid0(VALU_DEP_4) | instskip(NEXT) | instid1(VALU_DEP_3)
	v_dual_mul_f64 v[36:37], v[32:33], v[32:33] :: v_dual_bitop2_b32 v39, -8, v7 bitop3:0x40
	v_dual_add_f64 v[42:43], v[20:21], v[20:21] :: v_dual_bitop2_b32 v41, -8, v35 bitop3:0x40
	s_delay_alu instid0(VALU_DEP_2) | instskip(SKIP_1) | instid1(VALU_DEP_3)
	v_add_f64_e64 v[52:53], v[6:7], -v[38:39]
	v_add_f64_e32 v[56:57], v[38:39], v[38:39]
	v_add_f64_e64 v[54:55], v[34:35], -v[40:41]
	v_add_f64_e32 v[58:59], v[40:41], v[40:41]
	v_mul_f64_e32 v[6:7], v[20:21], v[20:21]
	v_mul_f64_e32 v[34:35], v[50:51], v[40:41]
	;; [unrolled: 1-line block ×11, first 2 shown]
.LBB197_207:                            ;   Parent Loop BB197_162 Depth=1
                                        ; =>  This Inner Loop Header: Depth=2
	v_cmp_nlt_f64_e32 vcc_lo, v[6:7], v[36:37]
	v_dual_cndmask_b32 v55, v7, v37 :: v_dual_cndmask_b32 v54, v6, v36
	v_dual_cndmask_b32 v7, v37, v7 :: v_dual_cndmask_b32 v6, v36, v6
	s_delay_alu instid0(VALU_DEP_2) | instskip(NEXT) | instid1(VALU_DEP_1)
	v_cmp_nlt_f64_e64 s1, v[54:55], v[48:49]
	v_dual_cndmask_b32 v57, v55, v49, s1 :: v_dual_cndmask_b32 v56, v54, v48, s1
	v_dual_cndmask_b32 v37, v49, v55, s1 :: v_dual_cndmask_b32 v36, v48, v54, s1
	s_and_b32 s1, vcc_lo, s1
	s_delay_alu instid0(VALU_DEP_2) | instskip(NEXT) | instid1(VALU_DEP_1)
	v_cmp_nlt_f64_e64 s2, v[56:57], v[34:35]
	v_dual_cndmask_b32 v59, v57, v35, s2 :: v_dual_cndmask_b32 v58, v56, v34, s2
	v_dual_cndmask_b32 v49, v35, v57, s2 :: v_dual_cndmask_b32 v48, v34, v56, s2
	s_delay_alu instid0(VALU_DEP_2) | instskip(NEXT) | instid1(VALU_DEP_1)
	v_cmp_nlt_f64_e64 s3, v[58:59], v[46:47]
	v_dual_cndmask_b32 v63, v59, v47, s3 :: v_dual_cndmask_b32 v62, v58, v46, s3
	v_dual_cndmask_b32 v35, v47, v59, s3 :: v_dual_cndmask_b32 v34, v46, v58, s3
	s_and_b32 s2, s2, s3
	s_delay_alu instid0(VALU_DEP_2) | instskip(NEXT) | instid1(VALU_DEP_1)
	v_cmp_nlt_f64_e64 s4, v[62:63], v[32:33]
	v_dual_cndmask_b32 v65, v63, v33, s4 :: v_dual_cndmask_b32 v64, v62, v32, s4
	v_dual_cndmask_b32 v47, v33, v63, s4 :: v_dual_cndmask_b32 v46, v32, v62, s4
	s_delay_alu instid0(VALU_DEP_2) | instskip(NEXT) | instid1(VALU_DEP_1)
	v_cmp_nlt_f64_e64 s5, v[64:65], v[44:45]
	v_dual_cndmask_b32 v67, v65, v45, s5 :: v_dual_cndmask_b32 v66, v64, v44, s5
	s_and_b32 s3, s4, s5
	v_dual_cndmask_b32 v33, v45, v65, s5 :: v_dual_cndmask_b32 v32, v44, v64, s5
	s_delay_alu instid0(VALU_DEP_2) | instskip(NEXT) | instid1(VALU_DEP_1)
	v_cmp_nlt_f64_e64 s6, v[66:67], v[42:43]
	v_dual_cndmask_b32 v69, v67, v43, s6 :: v_dual_cndmask_b32 v68, v66, v42, s6
	s_and_b32 s3, s3, s6
	;; [unrolled: 5-line block ×6, first 2 shown]
	v_dual_cndmask_b32 v51, v53, v75, s10 :: v_dual_cndmask_b32 v50, v52, v74, s10
	s_and_b32 s2, s3, s2
	s_delay_alu instid0(VALU_DEP_2) | instskip(SKIP_1) | instid1(SALU_CYCLE_1)
	v_mov_b64_e32 v[52:53], v[54:55]
	s_and_b32 s1, s2, s1
	s_and_b32 s1, exec_lo, s1
	s_delay_alu instid0(SALU_CYCLE_1) | instskip(NEXT) | instid1(SALU_CYCLE_1)
	s_or_b32 s43, s1, s43
	s_and_not1_b32 exec_lo, exec_lo, s43
	s_cbranch_execnz .LBB197_207
; %bb.208:                              ;   in Loop: Header=BB197_162 Depth=1
	s_or_b32 exec_lo, exec_lo, s43
	v_add_f64_e32 v[6:7], -1.0, v[6:7]
	v_cmp_eq_f64_e64 s1, 0, v[12:13]
	v_cmp_class_f64_e64 s4, v[12:13], 0x204
	v_cmp_class_f64_e64 s5, v[10:11], 0x204
	s_delay_alu instid0(VALU_DEP_4) | instskip(NEXT) | instid1(VALU_DEP_1)
	v_add_f64_e32 v[6:7], v[6:7], v[36:37]
	v_add_f64_e32 v[6:7], v[6:7], v[48:49]
	s_delay_alu instid0(VALU_DEP_1) | instskip(NEXT) | instid1(VALU_DEP_1)
	v_add_f64_e32 v[6:7], v[6:7], v[34:35]
	v_add_f64_e32 v[6:7], v[6:7], v[46:47]
	s_delay_alu instid0(VALU_DEP_1) | instskip(NEXT) | instid1(VALU_DEP_1)
	;; [unrolled: 3-line block ×5, first 2 shown]
	v_add_f64_e32 v[34:35], v[54:55], v[6:7]
	v_add_f64_e32 v[6:7], 1.0, v[34:35]
	v_cmp_neq_f64_e64 s3, 0x7ff00000, v[34:35]
	v_cmp_nge_f64_e64 s2, -1.0, v[34:35]
	s_delay_alu instid0(VALU_DEP_3) | instskip(SKIP_2) | instid1(VALU_DEP_3)
	v_frexp_mant_f64_e32 v[32:33], v[6:7]
	v_frexp_exp_i32_f64_e32 v8, v[6:7]
	v_add_f64_e32 v[36:37], -1.0, v[6:7]
	v_cmp_gt_f64_e32 vcc_lo, s[20:21], v[32:33]
	s_delay_alu instid0(VALU_DEP_2) | instskip(SKIP_2) | instid1(VALU_DEP_3)
	v_add_f64_e64 v[32:33], v[36:37], -v[6:7]
	v_add_f64_e64 v[36:37], v[34:35], -v[36:37]
	v_subrev_co_ci_u32_e64 v8, null, 0, v8, vcc_lo
	v_add_f64_e32 v[32:33], 1.0, v[32:33]
	s_delay_alu instid0(VALU_DEP_2) | instskip(NEXT) | instid1(VALU_DEP_1)
	v_sub_nc_u32_e32 v21, 0, v8
	v_ldexp_f64 v[6:7], v[6:7], v21
	s_delay_alu instid0(VALU_DEP_3) | instskip(NEXT) | instid1(VALU_DEP_2)
	v_add_f64_e32 v[32:33], v[36:37], v[32:33]
	v_add_f64_e32 v[38:39], 1.0, v[6:7]
	v_add_f64_e32 v[44:45], -1.0, v[6:7]
	s_delay_alu instid0(VALU_DEP_3) | instskip(NEXT) | instid1(VALU_DEP_3)
	v_ldexp_f64 v[32:33], v[32:33], v21
	v_add_f64_e32 v[36:37], -1.0, v[38:39]
	s_delay_alu instid0(VALU_DEP_3) | instskip(NEXT) | instid1(VALU_DEP_2)
	v_add_f64_e32 v[46:47], 1.0, v[44:45]
	v_add_f64_e64 v[36:37], v[6:7], -v[36:37]
	s_delay_alu instid0(VALU_DEP_2) | instskip(NEXT) | instid1(VALU_DEP_2)
	v_add_f64_e64 v[6:7], v[6:7], -v[46:47]
	v_add_f64_e32 v[36:37], v[32:33], v[36:37]
	s_delay_alu instid0(VALU_DEP_2) | instskip(NEXT) | instid1(VALU_DEP_2)
	v_add_f64_e32 v[6:7], v[32:33], v[6:7]
	v_add_f64_e32 v[40:41], v[38:39], v[36:37]
	s_delay_alu instid0(VALU_DEP_2) | instskip(NEXT) | instid1(VALU_DEP_2)
	v_add_f64_e32 v[46:47], v[44:45], v[6:7]
	v_rcp_f64_e32 v[42:43], v[40:41]
	v_add_f64_e64 v[38:39], v[40:41], -v[38:39]
	s_delay_alu instid0(VALU_DEP_2) | instskip(NEXT) | instid1(VALU_DEP_2)
	v_add_f64_e64 v[44:45], v[46:47], -v[44:45]
	v_add_f64_e64 v[36:37], v[36:37], -v[38:39]
	s_delay_alu instid0(VALU_DEP_2) | instskip(NEXT) | instid1(TRANS32_DEP_1)
	v_add_f64_e64 v[6:7], v[6:7], -v[44:45]
	v_fma_f64 v[48:49], -v[40:41], v[42:43], 1.0
	s_delay_alu instid0(VALU_DEP_1) | instskip(NEXT) | instid1(VALU_DEP_1)
	v_fmac_f64_e32 v[42:43], v[48:49], v[42:43]
	v_fma_f64 v[32:33], -v[40:41], v[42:43], 1.0
	s_delay_alu instid0(VALU_DEP_1) | instskip(NEXT) | instid1(VALU_DEP_1)
	v_fmac_f64_e32 v[42:43], v[32:33], v[42:43]
	v_mul_f64_e32 v[32:33], v[46:47], v[42:43]
	s_delay_alu instid0(VALU_DEP_1) | instskip(NEXT) | instid1(VALU_DEP_1)
	v_mul_f64_e32 v[48:49], v[40:41], v[32:33]
	v_fma_f64 v[38:39], v[32:33], v[40:41], -v[48:49]
	s_delay_alu instid0(VALU_DEP_1) | instskip(NEXT) | instid1(VALU_DEP_1)
	v_fmac_f64_e32 v[38:39], v[32:33], v[36:37]
	v_add_f64_e32 v[50:51], v[48:49], v[38:39]
	s_delay_alu instid0(VALU_DEP_1) | instskip(SKIP_1) | instid1(VALU_DEP_2)
	v_add_f64_e64 v[52:53], v[46:47], -v[50:51]
	v_add_f64_e64 v[44:45], v[50:51], -v[48:49]
	;; [unrolled: 1-line block ×3, first 2 shown]
	s_delay_alu instid0(VALU_DEP_2) | instskip(NEXT) | instid1(VALU_DEP_2)
	v_add_f64_e64 v[38:39], v[44:45], -v[38:39]
	v_add_f64_e64 v[46:47], v[46:47], -v[50:51]
	s_delay_alu instid0(VALU_DEP_1) | instskip(NEXT) | instid1(VALU_DEP_1)
	v_add_f64_e32 v[6:7], v[6:7], v[46:47]
	v_add_f64_e32 v[6:7], v[38:39], v[6:7]
	s_delay_alu instid0(VALU_DEP_1) | instskip(NEXT) | instid1(VALU_DEP_1)
	v_add_f64_e32 v[38:39], v[52:53], v[6:7]
	v_mul_f64_e32 v[44:45], v[42:43], v[38:39]
	v_add_f64_e64 v[50:51], v[52:53], -v[38:39]
	s_delay_alu instid0(VALU_DEP_2) | instskip(NEXT) | instid1(VALU_DEP_2)
	v_mul_f64_e32 v[46:47], v[40:41], v[44:45]
	v_add_f64_e32 v[6:7], v[6:7], v[50:51]
	s_delay_alu instid0(VALU_DEP_2) | instskip(NEXT) | instid1(VALU_DEP_1)
	v_fma_f64 v[40:41], v[44:45], v[40:41], -v[46:47]
	v_fmac_f64_e32 v[40:41], v[44:45], v[36:37]
	s_delay_alu instid0(VALU_DEP_1) | instskip(NEXT) | instid1(VALU_DEP_1)
	v_add_f64_e32 v[36:37], v[46:47], v[40:41]
	v_add_f64_e64 v[48:49], v[38:39], -v[36:37]
	v_add_f64_e64 v[46:47], v[36:37], -v[46:47]
	s_delay_alu instid0(VALU_DEP_2) | instskip(NEXT) | instid1(VALU_DEP_1)
	v_add_f64_e64 v[38:39], v[38:39], -v[48:49]
	v_add_f64_e64 v[36:37], v[38:39], -v[36:37]
	s_delay_alu instid0(VALU_DEP_3) | instskip(SKIP_1) | instid1(VALU_DEP_3)
	v_add_f64_e64 v[38:39], v[46:47], -v[40:41]
	v_max_num_f64_e64 v[40:41], |v[10:11]|, |v[10:11]|
	v_add_f64_e32 v[6:7], v[6:7], v[36:37]
	v_add_f64_e32 v[36:37], v[32:33], v[44:45]
	s_delay_alu instid0(VALU_DEP_2) | instskip(NEXT) | instid1(VALU_DEP_2)
	v_add_f64_e32 v[6:7], v[38:39], v[6:7]
	v_add_f64_e64 v[32:33], v[36:37], -v[32:33]
	v_max_num_f64_e64 v[38:39], |v[12:13]|, |v[12:13]|
	s_delay_alu instid0(VALU_DEP_3) | instskip(NEXT) | instid1(VALU_DEP_3)
	v_add_f64_e32 v[6:7], v[48:49], v[6:7]
	v_add_f64_e64 v[32:33], v[44:45], -v[32:33]
	s_delay_alu instid0(VALU_DEP_2) | instskip(NEXT) | instid1(VALU_DEP_1)
	v_mul_f64_e32 v[6:7], v[42:43], v[6:7]
	v_add_f64_e32 v[6:7], v[32:33], v[6:7]
	v_max_num_f64_e32 v[32:33], v[40:41], v[38:39]
	v_min_num_f64_e32 v[38:39], v[40:41], v[38:39]
	s_delay_alu instid0(VALU_DEP_3) | instskip(NEXT) | instid1(VALU_DEP_2)
	v_add_f64_e32 v[40:41], v[36:37], v[6:7]
	v_div_scale_f64 v[42:43], null, v[32:33], v[32:33], v[38:39]
	s_delay_alu instid0(VALU_DEP_2) | instskip(SKIP_1) | instid1(VALU_DEP_3)
	v_mul_f64_e32 v[44:45], v[40:41], v[40:41]
	v_add_f64_e64 v[36:37], v[40:41], -v[36:37]
	v_rcp_f64_e32 v[46:47], v[42:43]
	s_delay_alu instid0(VALU_DEP_2) | instskip(SKIP_1) | instid1(VALU_DEP_3)
	v_fmamk_f64 v[48:49], v[44:45], 0x3fc3ab76bf559e2b, v[22:23]
	v_mul_f64_e32 v[50:51], v[40:41], v[44:45]
	v_add_f64_e64 v[6:7], v[6:7], -v[36:37]
	s_delay_alu instid0(VALU_DEP_3) | instskip(NEXT) | instid1(TRANS32_DEP_1)
	v_fmaak_f64 v[48:49], v[44:45], v[48:49], 0x3fc7474dd7f4df2e
	v_fma_f64 v[52:53], -v[42:43], v[46:47], 1.0
	s_delay_alu instid0(VALU_DEP_2) | instskip(NEXT) | instid1(VALU_DEP_1)
	v_fmaak_f64 v[48:49], v[44:45], v[48:49], 0x3fcc71c016291751
	v_fmaak_f64 v[48:49], v[44:45], v[48:49], 0x3fd249249b27acf1
	s_delay_alu instid0(VALU_DEP_1) | instskip(SKIP_1) | instid1(VALU_DEP_2)
	v_fmaak_f64 v[48:49], v[44:45], v[48:49], 0x3fd99999998ef7b6
	v_ldexp_f64 v[6:7], v[6:7], 1
	v_fmaak_f64 v[44:45], v[44:45], v[48:49], 0x3fe5555555555780
	v_ldexp_f64 v[48:49], v[40:41], 1
	v_fmac_f64_e32 v[46:47], v[46:47], v[52:53]
	s_delay_alu instid0(VALU_DEP_3) | instskip(SKIP_2) | instid1(VALU_DEP_4)
	v_mul_f64_e32 v[44:45], v[50:51], v[44:45]
	v_cvt_f64_i32_e32 v[50:51], v8
	v_ashrrev_i32_e32 v8, 31, v11
	v_fma_f64 v[52:53], -v[42:43], v[46:47], 1.0
	s_delay_alu instid0(VALU_DEP_4) | instskip(NEXT) | instid1(VALU_DEP_4)
	v_add_f64_e32 v[40:41], v[48:49], v[44:45]
	v_mul_f64_e32 v[54:55], 0x3fe62e42fefa39ef, v[50:51]
	s_delay_alu instid0(VALU_DEP_3) | instskip(NEXT) | instid1(VALU_DEP_3)
	v_fmac_f64_e32 v[46:47], v[46:47], v[52:53]
	v_add_f64_e64 v[36:37], v[40:41], -v[48:49]
	v_div_scale_f64 v[48:49], vcc_lo, v[38:39], v[32:33], v[38:39]
	s_delay_alu instid0(VALU_DEP_4) | instskip(NEXT) | instid1(VALU_DEP_3)
	v_fma_f64 v[52:53], v[50:51], s[22:23], -v[54:55]
	v_add_f64_e64 v[36:37], v[44:45], -v[36:37]
	s_delay_alu instid0(VALU_DEP_3) | instskip(NEXT) | instid1(VALU_DEP_3)
	v_mul_f64_e32 v[44:45], v[48:49], v[46:47]
	v_fmac_f64_e32 v[52:53], 0x3c7abc9e3b39803f, v[50:51]
	s_delay_alu instid0(VALU_DEP_3) | instskip(NEXT) | instid1(VALU_DEP_3)
	v_add_f64_e32 v[6:7], v[6:7], v[36:37]
	v_fma_f64 v[36:37], -v[42:43], v[44:45], v[48:49]
	s_delay_alu instid0(VALU_DEP_3) | instskip(NEXT) | instid1(VALU_DEP_3)
	v_add_f64_e32 v[42:43], v[54:55], v[52:53]
	v_add_f64_e32 v[48:49], v[40:41], v[6:7]
	s_delay_alu instid0(VALU_DEP_3) | instskip(SKIP_1) | instid1(VALU_DEP_4)
	v_div_fmas_f64 v[36:37], v[36:37], v[46:47], v[44:45]
	v_cmp_gt_i32_e32 vcc_lo, 0, v11
	v_add_f64_e64 v[46:47], v[42:43], -v[54:55]
	v_cndmask_b32_e32 v21, 0x54442d18, v60, vcc_lo
	v_cndmask_b32_e32 v10, 0x3fe921fb, v61, vcc_lo
	s_delay_alu instid0(VALU_DEP_1) | instskip(SKIP_4) | instid1(VALU_DEP_4)
	v_bfi_b32 v10, 0x7fffffff, v10, v13
	v_add_f64_e32 v[44:45], v[42:43], v[48:49]
	v_div_fixup_f64 v[32:33], v[36:37], v[32:33], v[38:39]
	v_add_f64_e64 v[40:41], v[48:49], -v[40:41]
	v_add_f64_e64 v[46:47], v[52:53], -v[46:47]
	;; [unrolled: 1-line block ×3, first 2 shown]
	s_delay_alu instid0(VALU_DEP_4) | instskip(NEXT) | instid1(VALU_DEP_4)
	v_mul_f64_e32 v[38:39], v[32:33], v[32:33]
	v_add_f64_e64 v[6:7], v[6:7], -v[40:41]
	s_delay_alu instid0(VALU_DEP_3) | instskip(NEXT) | instid1(VALU_DEP_3)
	v_add_f64_e64 v[50:51], v[44:45], -v[36:37]
	v_fmamk_f64 v[54:55], v[38:39], 0x3eeba404b5e68a13, v[24:25]
	v_add_f64_e64 v[36:37], v[48:49], -v[36:37]
	s_delay_alu instid0(VALU_DEP_4) | instskip(NEXT) | instid1(VALU_DEP_3)
	v_add_f64_e32 v[48:49], v[46:47], v[6:7]
	v_fmaak_f64 v[54:55], v[38:39], v[54:55], 0x3f4b2bb069efb384
	v_add_f64_e64 v[40:41], v[42:43], -v[50:51]
	s_delay_alu instid0(VALU_DEP_2) | instskip(NEXT) | instid1(VALU_DEP_1)
	v_fmaak_f64 v[42:43], v[38:39], v[54:55], 0xbf67952daf56de9b
	v_fmaak_f64 v[42:43], v[38:39], v[42:43], 0x3f7d6d43a595c56f
	s_delay_alu instid0(VALU_DEP_1) | instskip(NEXT) | instid1(VALU_DEP_1)
	v_fmaak_f64 v[42:43], v[38:39], v[42:43], 0xbf8c6ea4a57d9582
	v_fmaak_f64 v[42:43], v[38:39], v[42:43], 0x3f967e295f08b19f
	s_delay_alu instid0(VALU_DEP_1) | instskip(SKIP_1) | instid1(VALU_DEP_2)
	v_fmaak_f64 v[42:43], v[38:39], v[42:43], 0xbf9e9ae6fc27006a
	v_add_f64_e32 v[36:37], v[36:37], v[40:41]
	v_fmaak_f64 v[40:41], v[38:39], v[42:43], 0x3fa2c15b5711927a
	v_add_f64_e64 v[42:43], v[48:49], -v[46:47]
	s_delay_alu instid0(VALU_DEP_2) | instskip(NEXT) | instid1(VALU_DEP_1)
	v_fmaak_f64 v[40:41], v[38:39], v[40:41], 0xbfa59976e82d3ff0
	v_fmaak_f64 v[40:41], v[38:39], v[40:41], 0x3fa82d5d6ef28734
	s_delay_alu instid0(VALU_DEP_1) | instskip(NEXT) | instid1(VALU_DEP_1)
	v_fmaak_f64 v[40:41], v[38:39], v[40:41], 0xbfaae5ce6a214619
	v_fmaak_f64 v[40:41], v[38:39], v[40:41], 0x3fae1bb48427b883
	v_add_f64_e32 v[36:37], v[48:49], v[36:37]
	v_add_f64_e64 v[48:49], v[48:49], -v[42:43]
	v_add_f64_e64 v[6:7], v[6:7], -v[42:43]
	s_delay_alu instid0(VALU_DEP_4) | instskip(NEXT) | instid1(VALU_DEP_1)
	v_fmaak_f64 v[40:41], v[38:39], v[40:41], 0xbfb110e48b207f05
	v_fmaak_f64 v[40:41], v[38:39], v[40:41], 0x3fb3b13657b87036
	s_delay_alu instid0(VALU_DEP_1) | instskip(NEXT) | instid1(VALU_DEP_1)
	v_fmaak_f64 v[40:41], v[38:39], v[40:41], 0xbfb745d119378e4f
	v_fmaak_f64 v[40:41], v[38:39], v[40:41], 0x3fbc71c717e1913c
	v_add_f64_e32 v[50:51], v[44:45], v[36:37]
	s_delay_alu instid0(VALU_DEP_2) | instskip(NEXT) | instid1(VALU_DEP_1)
	v_fmaak_f64 v[40:41], v[38:39], v[40:41], 0xbfc2492492376b7d
	v_fmaak_f64 v[40:41], v[38:39], v[40:41], 0x3fc99999999952cc
	s_delay_alu instid0(VALU_DEP_1) | instskip(NEXT) | instid1(VALU_DEP_1)
	v_fmaak_f64 v[40:41], v[38:39], v[40:41], 0xbfd5555555555523
	v_mul_f64_e32 v[38:39], v[38:39], v[40:41]
	v_add_f64_e64 v[40:41], v[46:47], -v[48:49]
	v_add_f64_e64 v[42:43], v[50:51], -v[44:45]
	s_delay_alu instid0(VALU_DEP_3) | instskip(NEXT) | instid1(VALU_DEP_3)
	v_fmac_f64_e32 v[32:33], v[32:33], v[38:39]
	v_add_f64_e32 v[6:7], v[6:7], v[40:41]
	s_delay_alu instid0(VALU_DEP_3) | instskip(NEXT) | instid1(VALU_DEP_3)
	v_add_f64_e64 v[36:37], v[36:37], -v[42:43]
	v_add_f64_e64 v[38:39], -v[32:33], s[24:25]
	s_delay_alu instid0(VALU_DEP_1) | instskip(NEXT) | instid1(VALU_DEP_2)
	v_dual_add_f64 v[6:7], v[6:7], v[36:37] :: v_dual_cndmask_b32 v33, v33, v39, s0
	v_cndmask_b32_e64 v32, v32, v38, s0
	v_and_b32_e32 v38, 0x54442d18, v8
	v_and_b32_e32 v8, 0x400921fb, v8
	s_delay_alu instid0(VALU_DEP_3) | instskip(NEXT) | instid1(VALU_DEP_1)
	v_add_f64_e64 v[36:37], -v[32:33], s[26:27]
	v_dual_add_f64 v[6:7], v[50:51], v[6:7] :: v_dual_cndmask_b32 v32, v32, v36, vcc_lo
	s_delay_alu instid0(VALU_DEP_2) | instskip(SKIP_1) | instid1(VALU_DEP_3)
	v_cndmask_b32_e32 v11, v33, v37, vcc_lo
	v_cmp_ngt_f64_e32 vcc_lo, -1.0, v[34:35]
	v_mul_f64_e32 v[6:7], 0.5, v[6:7]
	s_delay_alu instid0(VALU_DEP_3) | instskip(SKIP_1) | instid1(VALU_DEP_2)
	v_dual_cndmask_b32 v36, v32, v38, s1 :: v_dual_cndmask_b32 v8, v11, v8, s1
	s_and_b32 s1, s2, s3
	v_cndmask_b32_e64 v7, 0x7ff00000, v7, s3
	s_delay_alu instid0(VALU_DEP_3) | instskip(NEXT) | instid1(VALU_DEP_2)
	v_cndmask_b32_e64 v32, 0, v6, s1
	v_cndmask_b32_e32 v11, 0x7ff80000, v7, vcc_lo
	s_and_b32 vcc_lo, s5, s4
	v_cndmask_b32_e32 v6, v36, v21, vcc_lo
	v_cmp_neq_f64_e64 s1, -1.0, v[34:35]
	v_cndmask_b32_e32 v7, v8, v10, vcc_lo
	s_delay_alu instid0(VALU_DEP_2)
	v_cndmask_b32_e64 v33, 0xfff00000, v11, s1
.LBB197_209:                            ;   in Loop: Header=BB197_162 Depth=1
	s_or_b32 exec_lo, exec_lo, s42
.LBB197_210:                            ;   in Loop: Header=BB197_162 Depth=1
	s_delay_alu instid0(SALU_CYCLE_1)
	s_or_b32 exec_lo, exec_lo, s41
.LBB197_211:                            ;   in Loop: Header=BB197_162 Depth=1
	s_and_not1_saveexec_b32 s3, s40
	s_cbranch_execz .LBB197_213
; %bb.212:                              ;   in Loop: Header=BB197_162 Depth=1
	v_max_num_f64_e64 v[6:7], |v[12:13]|, |v[12:13]|
	v_max_num_f64_e64 v[32:33], |v[10:11]|, |v[10:11]|
	v_cmp_class_f64_e64 s4, v[10:11], 0x204
	v_cmp_class_f64_e64 s5, v[12:13], 0x204
	v_cmp_eq_f64_e64 s2, 0, v[12:13]
	s_delay_alu instid0(VALU_DEP_4) | instskip(SKIP_2) | instid1(VALU_DEP_2)
	v_max_num_f64_e32 v[34:35], v[32:33], v[6:7]
	v_min_num_f64_e32 v[6:7], v[32:33], v[6:7]
	s_or_b32 s1, s4, s5
	v_frexp_exp_i32_f64_e32 v8, v[34:35]
	s_delay_alu instid0(VALU_DEP_1) | instskip(NEXT) | instid1(VALU_DEP_1)
	v_sub_nc_u32_e32 v21, 0, v8
	v_ldexp_f64 v[36:37], |v[12:13]|, v21
	v_ldexp_f64 v[38:39], |v[10:11]|, v21
	s_delay_alu instid0(VALU_DEP_2) | instskip(NEXT) | instid1(VALU_DEP_1)
	v_mul_f64_e32 v[36:37], v[36:37], v[36:37]
	v_fmac_f64_e32 v[36:37], v[38:39], v[38:39]
	s_delay_alu instid0(VALU_DEP_1) | instskip(SKIP_1) | instid1(TRANS32_DEP_1)
	v_rsq_f64_e32 v[38:39], v[36:37]
	v_cmp_eq_f64_e32 vcc_lo, 0, v[36:37]
	v_mul_f64_e32 v[40:41], v[36:37], v[38:39]
	v_mul_f64_e32 v[38:39], 0.5, v[38:39]
	s_delay_alu instid0(VALU_DEP_1) | instskip(NEXT) | instid1(VALU_DEP_1)
	v_fma_f64 v[42:43], -v[38:39], v[40:41], 0.5
	v_fmac_f64_e32 v[40:41], v[40:41], v[42:43]
	v_fmac_f64_e32 v[38:39], v[38:39], v[42:43]
	s_delay_alu instid0(VALU_DEP_2) | instskip(NEXT) | instid1(VALU_DEP_1)
	v_fma_f64 v[42:43], -v[40:41], v[40:41], v[36:37]
	v_fmac_f64_e32 v[40:41], v[42:43], v[38:39]
	s_delay_alu instid0(VALU_DEP_1) | instskip(NEXT) | instid1(VALU_DEP_1)
	v_dual_cndmask_b32 v37, v41, v37 :: v_dual_cndmask_b32 v36, v40, v36
	v_ldexp_f64 v[36:37], v[36:37], v8
	s_delay_alu instid0(VALU_DEP_1) | instskip(NEXT) | instid1(VALU_DEP_2)
	v_cndmask_b32_e64 v37, v37, 0x7ff00000, s1
	v_cndmask_b32_e64 v36, v36, 0, s1
	s_delay_alu instid0(VALU_DEP_1) | instskip(SKIP_1) | instid1(VALU_DEP_2)
	v_frexp_mant_f64_e32 v[38:39], v[36:37]
	v_cmp_class_f64_e64 s1, v[36:37], 0x204
	v_cmp_gt_f64_e32 vcc_lo, s[20:21], v[38:39]
	v_cndmask_b32_e64 v8, 0, 1, vcc_lo
	s_delay_alu instid0(VALU_DEP_1) | instskip(SKIP_1) | instid1(VALU_DEP_2)
	v_ldexp_f64 v[38:39], v[38:39], v8
	v_frexp_exp_i32_f64_e32 v8, v[36:37]
	v_add_f64_e32 v[40:41], 1.0, v[38:39]
	v_add_f64_e32 v[46:47], -1.0, v[38:39]
	s_delay_alu instid0(VALU_DEP_3) | instskip(SKIP_1) | instid1(VALU_DEP_4)
	v_subrev_co_ci_u32_e64 v8, null, 0, v8, vcc_lo
	v_div_scale_f64 v[54:55], vcc_lo, v[6:7], v[34:35], v[6:7]
	v_rcp_f64_e32 v[42:43], v[40:41]
	v_add_f64_e32 v[48:49], -1.0, v[40:41]
	s_delay_alu instid0(VALU_DEP_1) | instskip(NEXT) | instid1(TRANS32_DEP_1)
	v_add_f64_e64 v[38:39], v[38:39], -v[48:49]
	v_fma_f64 v[44:45], -v[40:41], v[42:43], 1.0
	s_delay_alu instid0(VALU_DEP_1) | instskip(NEXT) | instid1(VALU_DEP_1)
	v_fmac_f64_e32 v[42:43], v[44:45], v[42:43]
	v_fma_f64 v[44:45], -v[40:41], v[42:43], 1.0
	s_delay_alu instid0(VALU_DEP_1) | instskip(NEXT) | instid1(VALU_DEP_1)
	v_fmac_f64_e32 v[42:43], v[44:45], v[42:43]
	v_mul_f64_e32 v[44:45], v[46:47], v[42:43]
	s_delay_alu instid0(VALU_DEP_1) | instskip(NEXT) | instid1(VALU_DEP_1)
	v_mul_f64_e32 v[50:51], v[40:41], v[44:45]
	v_fma_f64 v[40:41], v[44:45], v[40:41], -v[50:51]
	s_delay_alu instid0(VALU_DEP_1) | instskip(NEXT) | instid1(VALU_DEP_1)
	v_fmac_f64_e32 v[40:41], v[44:45], v[38:39]
	v_add_f64_e32 v[38:39], v[50:51], v[40:41]
	s_delay_alu instid0(VALU_DEP_1) | instskip(SKIP_1) | instid1(VALU_DEP_2)
	v_add_f64_e64 v[48:49], v[46:47], -v[38:39]
	v_add_f64_e64 v[50:51], v[38:39], -v[50:51]
	;; [unrolled: 1-line block ×3, first 2 shown]
	s_delay_alu instid0(VALU_DEP_2) | instskip(NEXT) | instid1(VALU_DEP_2)
	v_add_f64_e64 v[40:41], v[50:51], -v[40:41]
	v_add_f64_e64 v[38:39], v[46:47], -v[38:39]
	s_delay_alu instid0(VALU_DEP_1) | instskip(NEXT) | instid1(VALU_DEP_1)
	v_add_f64_e32 v[38:39], v[40:41], v[38:39]
	v_add_f64_e32 v[38:39], v[48:49], v[38:39]
	s_delay_alu instid0(VALU_DEP_1) | instskip(SKIP_1) | instid1(VALU_DEP_2)
	v_mul_f64_e32 v[32:33], v[42:43], v[38:39]
	v_div_scale_f64 v[38:39], null, v[34:35], v[34:35], v[6:7]
	v_add_f64_e32 v[40:41], v[44:45], v[32:33]
	s_delay_alu instid0(VALU_DEP_2) | instskip(NEXT) | instid1(VALU_DEP_1)
	v_rcp_f64_e32 v[42:43], v[38:39]
	v_mul_f64_e32 v[46:47], v[40:41], v[40:41]
	s_delay_alu instid0(TRANS32_DEP_1) | instskip(NEXT) | instid1(VALU_DEP_2)
	v_fma_f64 v[50:51], -v[38:39], v[42:43], 1.0
	v_fmamk_f64 v[48:49], v[46:47], 0x3fc3ab76bf559e2b, v[22:23]
	v_mul_f64_e32 v[52:53], v[40:41], v[46:47]
	s_delay_alu instid0(VALU_DEP_3) | instskip(NEXT) | instid1(VALU_DEP_3)
	v_fmac_f64_e32 v[42:43], v[42:43], v[50:51]
	v_fmaak_f64 v[48:49], v[46:47], v[48:49], 0x3fc7474dd7f4df2e
	s_delay_alu instid0(VALU_DEP_1) | instskip(NEXT) | instid1(VALU_DEP_1)
	v_fmaak_f64 v[48:49], v[46:47], v[48:49], 0x3fcc71c016291751
	v_fmaak_f64 v[48:49], v[46:47], v[48:49], 0x3fd249249b27acf1
	s_delay_alu instid0(VALU_DEP_1) | instskip(NEXT) | instid1(VALU_DEP_1)
	v_fmaak_f64 v[48:49], v[46:47], v[48:49], 0x3fd99999998ef7b6
	v_fmaak_f64 v[46:47], v[46:47], v[48:49], 0x3fe5555555555780
	v_ldexp_f64 v[48:49], v[40:41], 1
	v_add_f64_e64 v[40:41], v[40:41], -v[44:45]
	v_fma_f64 v[50:51], -v[38:39], v[42:43], 1.0
	s_delay_alu instid0(VALU_DEP_4) | instskip(SKIP_1) | instid1(VALU_DEP_4)
	v_mul_f64_e32 v[46:47], v[52:53], v[46:47]
	v_cvt_f64_i32_e32 v[52:53], v8
	v_dual_add_f64 v[32:33], v[32:33], -v[40:41] :: v_dual_ashrrev_i32 v8, 31, v11
	s_delay_alu instid0(VALU_DEP_4) | instskip(NEXT) | instid1(VALU_DEP_4)
	v_fmac_f64_e32 v[42:43], v[42:43], v[50:51]
	v_add_f64_e32 v[44:45], v[48:49], v[46:47]
	s_delay_alu instid0(VALU_DEP_4) | instskip(NEXT) | instid1(VALU_DEP_4)
	v_mul_f64_e32 v[50:51], 0x3fe62e42fefa39ef, v[52:53]
	v_ldexp_f64 v[32:33], v[32:33], 1
	s_delay_alu instid0(VALU_DEP_3) | instskip(SKIP_1) | instid1(VALU_DEP_4)
	v_add_f64_e64 v[40:41], v[44:45], -v[48:49]
	v_mul_f64_e32 v[48:49], v[54:55], v[42:43]
	v_fma_f64 v[56:57], v[52:53], s[22:23], -v[50:51]
	s_delay_alu instid0(VALU_DEP_3) | instskip(NEXT) | instid1(VALU_DEP_3)
	v_add_f64_e64 v[40:41], v[46:47], -v[40:41]
	v_fma_f64 v[38:39], -v[38:39], v[48:49], v[54:55]
	s_delay_alu instid0(VALU_DEP_3) | instskip(NEXT) | instid1(VALU_DEP_3)
	v_fmac_f64_e32 v[56:57], 0x3c7abc9e3b39803f, v[52:53]
	v_add_f64_e32 v[32:33], v[32:33], v[40:41]
	s_delay_alu instid0(VALU_DEP_3) | instskip(NEXT) | instid1(VALU_DEP_3)
	v_div_fmas_f64 v[38:39], v[38:39], v[42:43], v[48:49]
	v_add_f64_e32 v[40:41], v[50:51], v[56:57]
	v_cmp_gt_i32_e32 vcc_lo, 0, v11
	v_cndmask_b32_e32 v21, 0x54442d18, v60, vcc_lo
	v_add_f64_e32 v[42:43], v[44:45], v[32:33]
	v_div_fixup_f64 v[6:7], v[38:39], v[34:35], v[6:7]
	v_add_f64_e64 v[50:51], v[40:41], -v[50:51]
	s_delay_alu instid0(VALU_DEP_3) | instskip(NEXT) | instid1(VALU_DEP_3)
	v_add_f64_e32 v[34:35], v[40:41], v[42:43]
	v_mul_f64_e32 v[38:39], v[6:7], v[6:7]
	v_add_f64_e64 v[44:45], v[42:43], -v[44:45]
	s_delay_alu instid0(VALU_DEP_4) | instskip(NEXT) | instid1(VALU_DEP_4)
	v_add_f64_e64 v[50:51], v[56:57], -v[50:51]
	v_add_f64_e64 v[46:47], v[34:35], -v[40:41]
	s_delay_alu instid0(VALU_DEP_4) | instskip(NEXT) | instid1(VALU_DEP_4)
	v_fmamk_f64 v[48:49], v[38:39], 0x3eeba404b5e68a13, v[24:25]
	v_add_f64_e64 v[32:33], v[32:33], -v[44:45]
	s_delay_alu instid0(VALU_DEP_2) | instskip(NEXT) | instid1(VALU_DEP_1)
	v_fmaak_f64 v[48:49], v[38:39], v[48:49], 0x3f4b2bb069efb384
	v_fmaak_f64 v[48:49], v[38:39], v[48:49], 0xbf67952daf56de9b
	s_delay_alu instid0(VALU_DEP_1) | instskip(NEXT) | instid1(VALU_DEP_1)
	v_fmaak_f64 v[48:49], v[38:39], v[48:49], 0x3f7d6d43a595c56f
	v_fmaak_f64 v[48:49], v[38:39], v[48:49], 0xbf8c6ea4a57d9582
	v_add_f64_e64 v[52:53], v[34:35], -v[46:47]
	v_add_f64_e64 v[42:43], v[42:43], -v[46:47]
	v_add_f64_e32 v[46:47], v[50:51], v[32:33]
	s_delay_alu instid0(VALU_DEP_4) | instskip(NEXT) | instid1(VALU_DEP_1)
	v_fmaak_f64 v[48:49], v[38:39], v[48:49], 0x3f967e295f08b19f
	v_fmaak_f64 v[44:45], v[38:39], v[48:49], 0xbf9e9ae6fc27006a
	s_delay_alu instid0(VALU_DEP_1) | instskip(NEXT) | instid1(VALU_DEP_1)
	v_fmaak_f64 v[44:45], v[38:39], v[44:45], 0x3fa2c15b5711927a
	v_fmaak_f64 v[44:45], v[38:39], v[44:45], 0xbfa59976e82d3ff0
	s_delay_alu instid0(VALU_DEP_1) | instskip(SKIP_1) | instid1(VALU_DEP_2)
	v_fmaak_f64 v[44:45], v[38:39], v[44:45], 0x3fa82d5d6ef28734
	v_add_f64_e64 v[40:41], v[40:41], -v[52:53]
	v_fmaak_f64 v[44:45], v[38:39], v[44:45], 0xbfaae5ce6a214619
	s_delay_alu instid0(VALU_DEP_2) | instskip(NEXT) | instid1(VALU_DEP_2)
	v_add_f64_e32 v[40:41], v[42:43], v[40:41]
	v_fmaak_f64 v[42:43], v[38:39], v[44:45], 0x3fae1bb48427b883
	v_add_f64_e64 v[44:45], v[46:47], -v[50:51]
	s_delay_alu instid0(VALU_DEP_2) | instskip(NEXT) | instid1(VALU_DEP_1)
	v_fmaak_f64 v[42:43], v[38:39], v[42:43], 0xbfb110e48b207f05
	v_fmaak_f64 v[42:43], v[38:39], v[42:43], 0x3fb3b13657b87036
	s_delay_alu instid0(VALU_DEP_1) | instskip(NEXT) | instid1(VALU_DEP_1)
	v_fmaak_f64 v[42:43], v[38:39], v[42:43], 0xbfb745d119378e4f
	v_fmaak_f64 v[42:43], v[38:39], v[42:43], 0x3fbc71c717e1913c
	v_add_f64_e32 v[40:41], v[46:47], v[40:41]
	v_add_f64_e64 v[32:33], v[32:33], -v[44:45]
	s_delay_alu instid0(VALU_DEP_3) | instskip(NEXT) | instid1(VALU_DEP_1)
	v_fmaak_f64 v[42:43], v[38:39], v[42:43], 0xbfc2492492376b7d
	v_fmaak_f64 v[42:43], v[38:39], v[42:43], 0x3fc99999999952cc
	s_delay_alu instid0(VALU_DEP_1) | instskip(NEXT) | instid1(VALU_DEP_1)
	v_fmaak_f64 v[42:43], v[38:39], v[42:43], 0xbfd5555555555523
	v_mul_f64_e32 v[38:39], v[38:39], v[42:43]
	v_add_f64_e64 v[42:43], v[46:47], -v[44:45]
	v_add_f64_e32 v[46:47], v[34:35], v[40:41]
	s_delay_alu instid0(VALU_DEP_3) | instskip(NEXT) | instid1(VALU_DEP_3)
	v_fmac_f64_e32 v[6:7], v[6:7], v[38:39]
	v_add_f64_e64 v[38:39], v[50:51], -v[42:43]
	s_delay_alu instid0(VALU_DEP_3) | instskip(NEXT) | instid1(VALU_DEP_3)
	v_add_f64_e64 v[34:35], v[46:47], -v[34:35]
	v_add_f64_e64 v[42:43], -v[6:7], s[24:25]
	s_delay_alu instid0(VALU_DEP_3) | instskip(SKIP_4) | instid1(VALU_DEP_2)
	v_add_f64_e32 v[32:33], v[32:33], v[38:39]
	v_and_b32_e32 v38, 0x54442d18, v8
	v_and_b32_e32 v8, 0x400921fb, v8
	v_add_f64_e64 v[34:35], v[40:41], -v[34:35]
	v_dual_cndmask_b32 v7, v7, v43, s0 :: v_dual_cndmask_b32 v6, v6, v42, s0
	v_add_f64_e32 v[32:33], v[32:33], v[34:35]
	s_delay_alu instid0(VALU_DEP_2) | instskip(NEXT) | instid1(VALU_DEP_2)
	v_add_f64_e64 v[34:35], -v[6:7], s[26:27]
	v_add_f64_e32 v[10:11], v[46:47], v[32:33]
	s_delay_alu instid0(VALU_DEP_2) | instskip(SKIP_1) | instid1(VALU_DEP_4)
	v_cndmask_b32_e32 v6, v6, v34, vcc_lo
	v_cndmask_b32_e32 v32, 0x3fe921fb, v61, vcc_lo
	;; [unrolled: 1-line block ×3, first 2 shown]
	v_cmp_ngt_f64_e32 vcc_lo, 0, v[36:37]
	s_delay_alu instid0(VALU_DEP_4) | instskip(NEXT) | instid1(VALU_DEP_4)
	v_cndmask_b32_e64 v6, v6, v38, s2
	v_bfi_b32 v32, 0x7fffffff, v32, v13
	s_delay_alu instid0(VALU_DEP_4) | instskip(SKIP_2) | instid1(VALU_DEP_2)
	v_cndmask_b32_e64 v7, v7, v8, s2
	v_dual_cndmask_b32 v10, v10, v36, s1 :: v_dual_cndmask_b32 v11, v11, v37, s1
	v_cmp_nge_f64_e64 s1, 0, v[36:37]
	v_cndmask_b32_e32 v8, 0x7ff80000, v11, vcc_lo
	s_and_b32 vcc_lo, s4, s5
	v_dual_cndmask_b32 v7, v7, v32 :: v_dual_cndmask_b32 v6, v6, v21
	v_cndmask_b32_e64 v32, 0, v10, s1
	v_cmp_neq_f64_e64 s1, 0, v[36:37]
	s_delay_alu instid0(VALU_DEP_1)
	v_cndmask_b32_e64 v33, 0xfff00000, v8, s1
.LBB197_213:                            ;   in Loop: Header=BB197_162 Depth=1
	s_or_b32 exec_lo, exec_lo, s3
                                        ; implicit-def: $vgpr36_vgpr37
.LBB197_214:                            ;   in Loop: Header=BB197_162 Depth=1
	s_and_not1_saveexec_b32 s3, s39
	s_cbranch_execz .LBB197_220
; %bb.215:                              ;   in Loop: Header=BB197_162 Depth=1
                                        ; implicit-def: $vgpr32_vgpr33
                                        ; implicit-def: $vgpr6_vgpr7
	s_mov_b32 s1, exec_lo
	v_cmpx_ngt_f64_e32 s[30:31], v[36:37]
	s_xor_b32 s4, exec_lo, s1
	s_cbranch_execz .LBB197_217
; %bb.216:                              ;   in Loop: Header=BB197_162 Depth=1
	v_mul_f64_e32 v[6:7], v[36:37], v[36:37]
	v_cmp_eq_f64_e64 s1, 0, v[12:13]
	v_cmp_class_f64_e64 s5, v[12:13], 0x204
	v_cmp_class_f64_e64 s6, v[10:11], 0x204
	s_delay_alu instid0(VALU_DEP_4) | instskip(NEXT) | instid1(VALU_DEP_1)
	v_add_f64_e32 v[32:33], 1.0, v[6:7]
	v_frexp_mant_f64_e32 v[34:35], v[32:33]
	v_frexp_exp_i32_f64_e32 v8, v[32:33]
	s_delay_alu instid0(VALU_DEP_2) | instskip(NEXT) | instid1(VALU_DEP_2)
	v_cmp_gt_f64_e32 vcc_lo, s[20:21], v[34:35]
	v_subrev_co_ci_u32_e64 v8, null, 0, v8, vcc_lo
	s_delay_alu instid0(VALU_DEP_1) | instskip(SKIP_1) | instid1(VALU_DEP_1)
	v_sub_nc_u32_e32 v21, 0, v8
	v_add_f64_e32 v[36:37], -1.0, v[32:33]
	v_add_f64_e64 v[34:35], v[36:37], -v[32:33]
	s_delay_alu instid0(VALU_DEP_3) | instskip(SKIP_1) | instid1(VALU_DEP_3)
	v_ldexp_f64 v[32:33], v[32:33], v21
	v_add_f64_e64 v[36:37], v[6:7], -v[36:37]
	v_add_f64_e32 v[34:35], 1.0, v[34:35]
	s_delay_alu instid0(VALU_DEP_3) | instskip(SKIP_1) | instid1(VALU_DEP_3)
	v_add_f64_e32 v[38:39], 1.0, v[32:33]
	v_add_f64_e32 v[44:45], -1.0, v[32:33]
	v_add_f64_e32 v[34:35], v[36:37], v[34:35]
	s_delay_alu instid0(VALU_DEP_3) | instskip(NEXT) | instid1(VALU_DEP_3)
	v_add_f64_e32 v[36:37], -1.0, v[38:39]
	v_add_f64_e32 v[46:47], 1.0, v[44:45]
	s_delay_alu instid0(VALU_DEP_3) | instskip(NEXT) | instid1(VALU_DEP_3)
	v_ldexp_f64 v[34:35], v[34:35], v21
	v_add_f64_e64 v[36:37], v[32:33], -v[36:37]
	s_delay_alu instid0(VALU_DEP_3) | instskip(NEXT) | instid1(VALU_DEP_2)
	v_add_f64_e64 v[32:33], v[32:33], -v[46:47]
	v_add_f64_e32 v[36:37], v[34:35], v[36:37]
	s_delay_alu instid0(VALU_DEP_2) | instskip(NEXT) | instid1(VALU_DEP_2)
	v_add_f64_e32 v[32:33], v[34:35], v[32:33]
	v_add_f64_e32 v[40:41], v[38:39], v[36:37]
	s_delay_alu instid0(VALU_DEP_2) | instskip(NEXT) | instid1(VALU_DEP_2)
	v_add_f64_e32 v[46:47], v[44:45], v[32:33]
	v_rcp_f64_e32 v[42:43], v[40:41]
	v_add_f64_e64 v[38:39], v[38:39], -v[40:41]
	s_delay_alu instid0(VALU_DEP_2) | instskip(NEXT) | instid1(VALU_DEP_2)
	v_add_f64_e64 v[44:45], v[44:45], -v[46:47]
	v_add_f64_e32 v[36:37], v[36:37], v[38:39]
	s_delay_alu instid0(VALU_DEP_2) | instskip(NEXT) | instid1(TRANS32_DEP_1)
	v_add_f64_e32 v[32:33], v[32:33], v[44:45]
	v_fma_f64 v[48:49], -v[40:41], v[42:43], 1.0
	s_delay_alu instid0(VALU_DEP_1) | instskip(NEXT) | instid1(VALU_DEP_1)
	v_fmac_f64_e32 v[42:43], v[48:49], v[42:43]
	v_fma_f64 v[34:35], -v[40:41], v[42:43], 1.0
	s_delay_alu instid0(VALU_DEP_1) | instskip(NEXT) | instid1(VALU_DEP_1)
	v_fmac_f64_e32 v[42:43], v[34:35], v[42:43]
	v_mul_f64_e32 v[34:35], v[46:47], v[42:43]
	s_delay_alu instid0(VALU_DEP_1) | instskip(NEXT) | instid1(VALU_DEP_1)
	v_mul_f64_e32 v[48:49], v[40:41], v[34:35]
	v_fma_f64 v[38:39], v[34:35], v[40:41], -v[48:49]
	s_delay_alu instid0(VALU_DEP_1) | instskip(NEXT) | instid1(VALU_DEP_1)
	v_fmac_f64_e32 v[38:39], v[34:35], v[36:37]
	v_add_f64_e32 v[50:51], v[48:49], v[38:39]
	s_delay_alu instid0(VALU_DEP_1) | instskip(SKIP_1) | instid1(VALU_DEP_2)
	v_add_f64_e64 v[52:53], v[46:47], -v[50:51]
	v_add_f64_e64 v[44:45], v[50:51], -v[48:49]
	;; [unrolled: 1-line block ×3, first 2 shown]
	s_delay_alu instid0(VALU_DEP_2) | instskip(NEXT) | instid1(VALU_DEP_2)
	v_add_f64_e64 v[38:39], v[44:45], -v[38:39]
	v_add_f64_e64 v[46:47], v[46:47], -v[50:51]
	s_delay_alu instid0(VALU_DEP_1) | instskip(NEXT) | instid1(VALU_DEP_1)
	v_add_f64_e32 v[32:33], v[32:33], v[46:47]
	v_add_f64_e32 v[32:33], v[38:39], v[32:33]
	s_delay_alu instid0(VALU_DEP_1) | instskip(NEXT) | instid1(VALU_DEP_1)
	v_add_f64_e32 v[38:39], v[52:53], v[32:33]
	v_mul_f64_e32 v[44:45], v[42:43], v[38:39]
	v_add_f64_e64 v[50:51], v[52:53], -v[38:39]
	s_delay_alu instid0(VALU_DEP_2) | instskip(NEXT) | instid1(VALU_DEP_2)
	v_mul_f64_e32 v[46:47], v[40:41], v[44:45]
	v_add_f64_e32 v[32:33], v[32:33], v[50:51]
	s_delay_alu instid0(VALU_DEP_2) | instskip(NEXT) | instid1(VALU_DEP_1)
	v_fma_f64 v[40:41], v[44:45], v[40:41], -v[46:47]
	v_fmac_f64_e32 v[40:41], v[44:45], v[36:37]
	s_delay_alu instid0(VALU_DEP_1) | instskip(NEXT) | instid1(VALU_DEP_1)
	v_add_f64_e32 v[36:37], v[46:47], v[40:41]
	v_add_f64_e64 v[48:49], v[38:39], -v[36:37]
	v_add_f64_e64 v[46:47], v[36:37], -v[46:47]
	s_delay_alu instid0(VALU_DEP_2) | instskip(NEXT) | instid1(VALU_DEP_1)
	v_add_f64_e64 v[38:39], v[38:39], -v[48:49]
	v_add_f64_e64 v[36:37], v[38:39], -v[36:37]
	s_delay_alu instid0(VALU_DEP_3) | instskip(SKIP_1) | instid1(VALU_DEP_3)
	v_add_f64_e64 v[38:39], v[46:47], -v[40:41]
	v_max_num_f64_e64 v[40:41], |v[10:11]|, |v[10:11]|
	v_add_f64_e32 v[32:33], v[32:33], v[36:37]
	v_add_f64_e32 v[36:37], v[34:35], v[44:45]
	s_delay_alu instid0(VALU_DEP_2) | instskip(NEXT) | instid1(VALU_DEP_2)
	v_add_f64_e32 v[32:33], v[38:39], v[32:33]
	v_add_f64_e64 v[34:35], v[36:37], -v[34:35]
	v_max_num_f64_e64 v[38:39], |v[12:13]|, |v[12:13]|
	s_delay_alu instid0(VALU_DEP_3) | instskip(NEXT) | instid1(VALU_DEP_3)
	v_add_f64_e32 v[32:33], v[48:49], v[32:33]
	v_add_f64_e64 v[34:35], v[44:45], -v[34:35]
	s_delay_alu instid0(VALU_DEP_2) | instskip(NEXT) | instid1(VALU_DEP_1)
	v_mul_f64_e32 v[32:33], v[42:43], v[32:33]
	v_add_f64_e32 v[32:33], v[34:35], v[32:33]
	v_max_num_f64_e32 v[34:35], v[40:41], v[38:39]
	v_min_num_f64_e32 v[38:39], v[40:41], v[38:39]
	s_delay_alu instid0(VALU_DEP_3) | instskip(NEXT) | instid1(VALU_DEP_2)
	v_add_f64_e32 v[40:41], v[36:37], v[32:33]
	v_div_scale_f64 v[42:43], null, v[34:35], v[34:35], v[38:39]
	s_delay_alu instid0(VALU_DEP_2) | instskip(SKIP_1) | instid1(VALU_DEP_3)
	v_mul_f64_e32 v[44:45], v[40:41], v[40:41]
	v_add_f64_e64 v[36:37], v[40:41], -v[36:37]
	v_rcp_f64_e32 v[46:47], v[42:43]
	s_delay_alu instid0(VALU_DEP_2) | instskip(SKIP_1) | instid1(VALU_DEP_3)
	v_fmamk_f64 v[48:49], v[44:45], 0x3fc3ab76bf559e2b, v[22:23]
	v_mul_f64_e32 v[50:51], v[40:41], v[44:45]
	v_add_f64_e64 v[32:33], v[32:33], -v[36:37]
	s_delay_alu instid0(VALU_DEP_3) | instskip(NEXT) | instid1(TRANS32_DEP_1)
	v_fmaak_f64 v[48:49], v[44:45], v[48:49], 0x3fc7474dd7f4df2e
	v_fma_f64 v[52:53], -v[42:43], v[46:47], 1.0
	s_delay_alu instid0(VALU_DEP_2) | instskip(NEXT) | instid1(VALU_DEP_1)
	v_fmaak_f64 v[48:49], v[44:45], v[48:49], 0x3fcc71c016291751
	v_fmaak_f64 v[48:49], v[44:45], v[48:49], 0x3fd249249b27acf1
	s_delay_alu instid0(VALU_DEP_1) | instskip(SKIP_1) | instid1(VALU_DEP_2)
	v_fmaak_f64 v[48:49], v[44:45], v[48:49], 0x3fd99999998ef7b6
	v_ldexp_f64 v[32:33], v[32:33], 1
	v_fmaak_f64 v[44:45], v[44:45], v[48:49], 0x3fe5555555555780
	v_ldexp_f64 v[48:49], v[40:41], 1
	v_fmac_f64_e32 v[46:47], v[46:47], v[52:53]
	s_delay_alu instid0(VALU_DEP_3) | instskip(SKIP_2) | instid1(VALU_DEP_4)
	v_mul_f64_e32 v[44:45], v[50:51], v[44:45]
	v_cvt_f64_i32_e32 v[50:51], v8
	v_ashrrev_i32_e32 v8, 31, v11
	v_fma_f64 v[52:53], -v[42:43], v[46:47], 1.0
	s_delay_alu instid0(VALU_DEP_4) | instskip(NEXT) | instid1(VALU_DEP_4)
	v_add_f64_e32 v[40:41], v[48:49], v[44:45]
	v_mul_f64_e32 v[54:55], 0x3fe62e42fefa39ef, v[50:51]
	s_delay_alu instid0(VALU_DEP_3) | instskip(NEXT) | instid1(VALU_DEP_3)
	v_fmac_f64_e32 v[46:47], v[46:47], v[52:53]
	v_add_f64_e64 v[36:37], v[40:41], -v[48:49]
	v_div_scale_f64 v[48:49], vcc_lo, v[38:39], v[34:35], v[38:39]
	s_delay_alu instid0(VALU_DEP_4) | instskip(NEXT) | instid1(VALU_DEP_3)
	v_fma_f64 v[52:53], v[50:51], s[22:23], -v[54:55]
	v_add_f64_e64 v[36:37], v[44:45], -v[36:37]
	s_delay_alu instid0(VALU_DEP_3) | instskip(NEXT) | instid1(VALU_DEP_3)
	v_mul_f64_e32 v[44:45], v[48:49], v[46:47]
	v_fmac_f64_e32 v[52:53], 0x3c7abc9e3b39803f, v[50:51]
	s_delay_alu instid0(VALU_DEP_3) | instskip(NEXT) | instid1(VALU_DEP_3)
	v_add_f64_e32 v[32:33], v[32:33], v[36:37]
	v_fma_f64 v[36:37], -v[42:43], v[44:45], v[48:49]
	s_delay_alu instid0(VALU_DEP_3) | instskip(NEXT) | instid1(VALU_DEP_3)
	v_add_f64_e32 v[42:43], v[54:55], v[52:53]
	v_add_f64_e32 v[48:49], v[40:41], v[32:33]
	s_delay_alu instid0(VALU_DEP_3) | instskip(SKIP_1) | instid1(VALU_DEP_4)
	v_div_fmas_f64 v[36:37], v[36:37], v[46:47], v[44:45]
	v_cmp_gt_i32_e32 vcc_lo, 0, v11
	v_add_f64_e64 v[46:47], v[42:43], -v[54:55]
	v_cndmask_b32_e32 v21, 0x54442d18, v60, vcc_lo
	v_add_f64_e32 v[44:45], v[42:43], v[48:49]
	v_div_fixup_f64 v[34:35], v[36:37], v[34:35], v[38:39]
	v_add_f64_e64 v[40:41], v[48:49], -v[40:41]
	v_add_f64_e64 v[46:47], v[52:53], -v[46:47]
	s_delay_alu instid0(VALU_DEP_4) | instskip(NEXT) | instid1(VALU_DEP_4)
	v_add_f64_e64 v[36:37], v[44:45], -v[42:43]
	v_mul_f64_e32 v[38:39], v[34:35], v[34:35]
	s_delay_alu instid0(VALU_DEP_4) | instskip(NEXT) | instid1(VALU_DEP_3)
	v_add_f64_e64 v[32:33], v[32:33], -v[40:41]
	v_add_f64_e64 v[50:51], v[44:45], -v[36:37]
	s_delay_alu instid0(VALU_DEP_3) | instskip(SKIP_1) | instid1(VALU_DEP_4)
	v_fmamk_f64 v[54:55], v[38:39], 0x3eeba404b5e68a13, v[24:25]
	v_add_f64_e64 v[36:37], v[48:49], -v[36:37]
	v_add_f64_e32 v[48:49], v[46:47], v[32:33]
	s_delay_alu instid0(VALU_DEP_3) | instskip(NEXT) | instid1(VALU_DEP_1)
	v_fmaak_f64 v[54:55], v[38:39], v[54:55], 0x3f4b2bb069efb384
	v_fmaak_f64 v[54:55], v[38:39], v[54:55], 0xbf67952daf56de9b
	v_add_f64_e64 v[40:41], v[42:43], -v[50:51]
	s_delay_alu instid0(VALU_DEP_2) | instskip(NEXT) | instid1(VALU_DEP_1)
	v_fmaak_f64 v[42:43], v[38:39], v[54:55], 0x3f7d6d43a595c56f
	v_fmaak_f64 v[42:43], v[38:39], v[42:43], 0xbf8c6ea4a57d9582
	s_delay_alu instid0(VALU_DEP_1) | instskip(NEXT) | instid1(VALU_DEP_1)
	v_fmaak_f64 v[42:43], v[38:39], v[42:43], 0x3f967e295f08b19f
	v_fmaak_f64 v[42:43], v[38:39], v[42:43], 0xbf9e9ae6fc27006a
	s_delay_alu instid0(VALU_DEP_1) | instskip(SKIP_1) | instid1(VALU_DEP_2)
	v_fmaak_f64 v[42:43], v[38:39], v[42:43], 0x3fa2c15b5711927a
	v_add_f64_e32 v[36:37], v[36:37], v[40:41]
	v_fmaak_f64 v[40:41], v[38:39], v[42:43], 0xbfa59976e82d3ff0
	v_add_f64_e64 v[42:43], v[48:49], -v[46:47]
	s_delay_alu instid0(VALU_DEP_2) | instskip(NEXT) | instid1(VALU_DEP_1)
	v_fmaak_f64 v[40:41], v[38:39], v[40:41], 0x3fa82d5d6ef28734
	v_fmaak_f64 v[40:41], v[38:39], v[40:41], 0xbfaae5ce6a214619
	s_delay_alu instid0(VALU_DEP_1) | instskip(NEXT) | instid1(VALU_DEP_1)
	v_fmaak_f64 v[40:41], v[38:39], v[40:41], 0x3fae1bb48427b883
	v_fmaak_f64 v[40:41], v[38:39], v[40:41], 0xbfb110e48b207f05
	v_add_f64_e32 v[36:37], v[48:49], v[36:37]
	v_add_f64_e64 v[48:49], v[48:49], -v[42:43]
	v_add_f64_e64 v[32:33], v[32:33], -v[42:43]
	s_delay_alu instid0(VALU_DEP_4) | instskip(NEXT) | instid1(VALU_DEP_1)
	v_fmaak_f64 v[40:41], v[38:39], v[40:41], 0x3fb3b13657b87036
	v_fmaak_f64 v[40:41], v[38:39], v[40:41], 0xbfb745d119378e4f
	s_delay_alu instid0(VALU_DEP_1) | instskip(NEXT) | instid1(VALU_DEP_1)
	v_fmaak_f64 v[40:41], v[38:39], v[40:41], 0x3fbc71c717e1913c
	v_fmaak_f64 v[40:41], v[38:39], v[40:41], 0xbfc2492492376b7d
	v_add_f64_e32 v[50:51], v[44:45], v[36:37]
	s_delay_alu instid0(VALU_DEP_2) | instskip(NEXT) | instid1(VALU_DEP_1)
	v_fmaak_f64 v[40:41], v[38:39], v[40:41], 0x3fc99999999952cc
	v_fmaak_f64 v[40:41], v[38:39], v[40:41], 0xbfd5555555555523
	s_delay_alu instid0(VALU_DEP_1) | instskip(SKIP_2) | instid1(VALU_DEP_3)
	v_mul_f64_e32 v[38:39], v[38:39], v[40:41]
	v_add_f64_e64 v[40:41], v[46:47], -v[48:49]
	v_add_f64_e64 v[42:43], v[50:51], -v[44:45]
	v_fmac_f64_e32 v[34:35], v[34:35], v[38:39]
	s_delay_alu instid0(VALU_DEP_3) | instskip(NEXT) | instid1(VALU_DEP_3)
	v_add_f64_e32 v[32:33], v[32:33], v[40:41]
	v_add_f64_e64 v[36:37], v[36:37], -v[42:43]
	s_delay_alu instid0(VALU_DEP_3) | instskip(NEXT) | instid1(VALU_DEP_1)
	v_add_f64_e64 v[38:39], -v[34:35], s[24:25]
	v_dual_add_f64 v[32:33], v[32:33], v[36:37] :: v_dual_cndmask_b32 v35, v35, v39, s0
	s_delay_alu instid0(VALU_DEP_2)
	v_cndmask_b32_e64 v34, v34, v38, s0
	v_cmp_neq_f64_e64 s2, 0x7ff00000, v[6:7]
	v_and_b32_e32 v38, 0x54442d18, v8
	v_cndmask_b32_e32 v6, 0x3fe921fb, v61, vcc_lo
	v_and_b32_e32 v7, 0x400921fb, v8
	v_add_f64_e64 v[36:37], -v[34:35], s[26:27]
	s_delay_alu instid0(VALU_DEP_3) | instskip(SKIP_1) | instid1(VALU_DEP_3)
	v_bfi_b32 v6, 0x7fffffff, v6, v13
	v_add_f64_e32 v[32:33], v[50:51], v[32:33]
	v_dual_cndmask_b32 v34, v34, v36, vcc_lo :: v_dual_cndmask_b32 v8, v35, v37, vcc_lo
	s_and_b32 vcc_lo, s6, s5
                                        ; implicit-def: $vgpr36_vgpr37
	s_delay_alu instid0(VALU_DEP_1) | instskip(NEXT) | instid1(VALU_DEP_1)
	v_dual_cndmask_b32 v34, v34, v38, s1 :: v_dual_cndmask_b32 v7, v8, v7, s1
	v_dual_mul_f64 v[10:11], 0.5, v[32:33] :: v_dual_cndmask_b32 v7, v7, v6, vcc_lo
	s_delay_alu instid0(VALU_DEP_2) | instskip(NEXT) | instid1(VALU_DEP_2)
	v_cndmask_b32_e32 v6, v34, v21, vcc_lo
	v_cndmask_b32_e64 v33, 0x7ff00000, v11, s2
	s_delay_alu instid0(VALU_DEP_3)
	v_cndmask_b32_e64 v32, 0, v10, s2
.LBB197_217:                            ;   in Loop: Header=BB197_162 Depth=1
	s_and_not1_saveexec_b32 s2, s4
	s_cbranch_execz .LBB197_219
; %bb.218:                              ;   in Loop: Header=BB197_162 Depth=1
	v_max_num_f64_e64 v[6:7], |v[12:13]|, |v[12:13]|
	v_max_num_f64_e64 v[32:33], |v[10:11]|, |v[10:11]|
	v_cmp_eq_f64_e64 s1, 0, v[12:13]
	v_cmp_class_f64_e64 s4, v[12:13], 0x204
	v_cmp_class_f64_e64 s5, v[10:11], 0x204
	v_ashrrev_i32_e32 v8, 31, v11
	v_max_num_f64_e32 v[34:35], v[32:33], v[6:7]
	v_min_num_f64_e32 v[6:7], v[32:33], v[6:7]
	s_delay_alu instid0(VALU_DEP_1) | instskip(SKIP_1) | instid1(VALU_DEP_2)
	v_div_scale_f64 v[32:33], null, v[34:35], v[34:35], v[6:7]
	v_div_scale_f64 v[42:43], vcc_lo, v[6:7], v[34:35], v[6:7]
	v_rcp_f64_e32 v[38:39], v[32:33]
	v_nop
	s_delay_alu instid0(TRANS32_DEP_1) | instskip(NEXT) | instid1(VALU_DEP_1)
	v_fma_f64 v[40:41], -v[32:33], v[38:39], 1.0
	v_fmac_f64_e32 v[38:39], v[38:39], v[40:41]
	s_delay_alu instid0(VALU_DEP_1) | instskip(NEXT) | instid1(VALU_DEP_1)
	v_fma_f64 v[40:41], -v[32:33], v[38:39], 1.0
	v_fmac_f64_e32 v[38:39], v[38:39], v[40:41]
	s_delay_alu instid0(VALU_DEP_1) | instskip(NEXT) | instid1(VALU_DEP_1)
	v_mul_f64_e32 v[40:41], v[42:43], v[38:39]
	v_fma_f64 v[32:33], -v[32:33], v[40:41], v[42:43]
	s_delay_alu instid0(VALU_DEP_1)
	v_div_fmas_f64 v[32:33], v[32:33], v[38:39], v[40:41]
	v_and_b32_e32 v38, 0x54442d18, v8
	v_and_b32_e32 v8, 0x400921fb, v8
	v_cmp_gt_i32_e32 vcc_lo, 0, v11
	v_cndmask_b32_e32 v10, 0x3fe921fb, v61, vcc_lo
	v_cndmask_b32_e32 v21, 0x54442d18, v60, vcc_lo
	s_delay_alu instid0(VALU_DEP_2) | instskip(SKIP_1) | instid1(VALU_DEP_1)
	v_bfi_b32 v10, 0x7fffffff, v10, v13
	v_div_fixup_f64 v[6:7], v[32:33], v[34:35], v[6:7]
	v_mul_f64_e32 v[32:33], v[6:7], v[6:7]
	s_delay_alu instid0(VALU_DEP_1) | instskip(NEXT) | instid1(VALU_DEP_1)
	v_fmamk_f64 v[34:35], v[32:33], 0x3eeba404b5e68a13, v[24:25]
	v_fmaak_f64 v[34:35], v[32:33], v[34:35], 0x3f4b2bb069efb384
	s_delay_alu instid0(VALU_DEP_1) | instskip(NEXT) | instid1(VALU_DEP_1)
	v_fmaak_f64 v[34:35], v[32:33], v[34:35], 0xbf67952daf56de9b
	v_fmaak_f64 v[34:35], v[32:33], v[34:35], 0x3f7d6d43a595c56f
	s_delay_alu instid0(VALU_DEP_1) | instskip(NEXT) | instid1(VALU_DEP_1)
	v_fmaak_f64 v[34:35], v[32:33], v[34:35], 0xbf8c6ea4a57d9582
	v_fmaak_f64 v[34:35], v[32:33], v[34:35], 0x3f967e295f08b19f
	s_delay_alu instid0(VALU_DEP_1) | instskip(NEXT) | instid1(VALU_DEP_1)
	v_fmaak_f64 v[34:35], v[32:33], v[34:35], 0xbf9e9ae6fc27006a
	v_fmaak_f64 v[34:35], v[32:33], v[34:35], 0x3fa2c15b5711927a
	s_delay_alu instid0(VALU_DEP_1) | instskip(NEXT) | instid1(VALU_DEP_1)
	v_fmaak_f64 v[34:35], v[32:33], v[34:35], 0xbfa59976e82d3ff0
	v_fmaak_f64 v[34:35], v[32:33], v[34:35], 0x3fa82d5d6ef28734
	s_delay_alu instid0(VALU_DEP_1) | instskip(NEXT) | instid1(VALU_DEP_1)
	v_fmaak_f64 v[34:35], v[32:33], v[34:35], 0xbfaae5ce6a214619
	v_fmaak_f64 v[34:35], v[32:33], v[34:35], 0x3fae1bb48427b883
	s_delay_alu instid0(VALU_DEP_1) | instskip(NEXT) | instid1(VALU_DEP_1)
	v_fmaak_f64 v[34:35], v[32:33], v[34:35], 0xbfb110e48b207f05
	v_fmaak_f64 v[34:35], v[32:33], v[34:35], 0x3fb3b13657b87036
	s_delay_alu instid0(VALU_DEP_1) | instskip(NEXT) | instid1(VALU_DEP_1)
	v_fmaak_f64 v[34:35], v[32:33], v[34:35], 0xbfb745d119378e4f
	v_fmaak_f64 v[34:35], v[32:33], v[34:35], 0x3fbc71c717e1913c
	s_delay_alu instid0(VALU_DEP_1) | instskip(NEXT) | instid1(VALU_DEP_1)
	v_fmaak_f64 v[34:35], v[32:33], v[34:35], 0xbfc2492492376b7d
	v_fmaak_f64 v[34:35], v[32:33], v[34:35], 0x3fc99999999952cc
	s_delay_alu instid0(VALU_DEP_1) | instskip(NEXT) | instid1(VALU_DEP_1)
	v_fmaak_f64 v[34:35], v[32:33], v[34:35], 0xbfd5555555555523
	v_mul_f64_e32 v[32:33], v[32:33], v[34:35]
	s_delay_alu instid0(VALU_DEP_1) | instskip(NEXT) | instid1(VALU_DEP_1)
	v_fmac_f64_e32 v[6:7], v[6:7], v[32:33]
	v_add_f64_e64 v[32:33], -v[6:7], s[24:25]
	s_delay_alu instid0(VALU_DEP_1) | instskip(NEXT) | instid1(VALU_DEP_1)
	v_dual_cndmask_b32 v7, v7, v33, s0 :: v_dual_cndmask_b32 v6, v6, v32, s0
	v_add_f64_e64 v[34:35], -v[6:7], s[26:27]
	s_delay_alu instid0(VALU_DEP_1) | instskip(NEXT) | instid1(VALU_DEP_2)
	v_dual_mul_f64 v[32:33], 0.5, v[36:37] :: v_dual_cndmask_b32 v7, v7, v35, vcc_lo
	v_cndmask_b32_e32 v6, v6, v34, vcc_lo
	s_and_b32 vcc_lo, s5, s4
	s_delay_alu instid0(VALU_DEP_1) | instskip(NEXT) | instid1(VALU_DEP_1)
	v_dual_cndmask_b32 v7, v7, v8, s1 :: v_dual_cndmask_b32 v6, v6, v38, s1
	v_dual_cndmask_b32 v7, v7, v10 :: v_dual_cndmask_b32 v6, v6, v21
	s_delay_alu instid0(VALU_DEP_4)
	v_mul_f64_e32 v[32:33], v[36:37], v[32:33]
.LBB197_219:                            ;   in Loop: Header=BB197_162 Depth=1
	s_or_b32 exec_lo, exec_lo, s2
.LBB197_220:                            ;   in Loop: Header=BB197_162 Depth=1
	s_delay_alu instid0(SALU_CYCLE_1)
	s_or_b32 exec_lo, exec_lo, s3
.LBB197_221:                            ;   in Loop: Header=BB197_162 Depth=1
	s_and_not1_saveexec_b32 s2, s38
	s_cbranch_execz .LBB197_223
; %bb.222:                              ;   in Loop: Header=BB197_162 Depth=1
	v_div_scale_f64 v[6:7], null, s[34:35], s[34:35], v[10:11]
	v_div_scale_f64 v[32:33], null, s[34:35], s[34:35], v[12:13]
	v_div_scale_f64 v[42:43], vcc_lo, v[10:11], s[34:35], v[10:11]
	s_delay_alu instid0(VALU_DEP_3) | instskip(NEXT) | instid1(VALU_DEP_2)
	v_rcp_f64_e32 v[34:35], v[6:7]
	v_rcp_f64_e32 v[36:37], v[32:33]
	s_delay_alu instid0(TRANS32_DEP_2) | instskip(NEXT) | instid1(TRANS32_DEP_1)
	v_fma_f64 v[38:39], -v[6:7], v[34:35], 1.0
	v_fma_f64 v[40:41], -v[32:33], v[36:37], 1.0
	s_delay_alu instid0(VALU_DEP_2) | instskip(NEXT) | instid1(VALU_DEP_2)
	v_fmac_f64_e32 v[34:35], v[34:35], v[38:39]
	v_fmac_f64_e32 v[36:37], v[36:37], v[40:41]
	s_delay_alu instid0(VALU_DEP_2) | instskip(NEXT) | instid1(VALU_DEP_2)
	v_fma_f64 v[38:39], -v[6:7], v[34:35], 1.0
	v_fma_f64 v[40:41], -v[32:33], v[36:37], 1.0
	s_delay_alu instid0(VALU_DEP_2) | instskip(SKIP_1) | instid1(VALU_DEP_3)
	v_fmac_f64_e32 v[34:35], v[34:35], v[38:39]
	v_div_scale_f64 v[38:39], s1, v[12:13], s[34:35], v[12:13]
	v_fmac_f64_e32 v[36:37], v[36:37], v[40:41]
	s_delay_alu instid0(VALU_DEP_3) | instskip(NEXT) | instid1(VALU_DEP_2)
	v_mul_f64_e32 v[40:41], v[42:43], v[34:35]
	v_mul_f64_e32 v[44:45], v[38:39], v[36:37]
	s_delay_alu instid0(VALU_DEP_2) | instskip(NEXT) | instid1(VALU_DEP_2)
	v_fma_f64 v[6:7], -v[6:7], v[40:41], v[42:43]
	v_fma_f64 v[32:33], -v[32:33], v[44:45], v[38:39]
	s_delay_alu instid0(VALU_DEP_2) | instskip(SKIP_1) | instid1(VALU_DEP_2)
	v_div_fmas_f64 v[6:7], v[6:7], v[34:35], v[40:41]
	s_mov_b32 vcc_lo, s1
	v_div_fmas_f64 v[32:33], v[32:33], v[36:37], v[44:45]
	s_delay_alu instid0(VALU_DEP_2) | instskip(NEXT) | instid1(VALU_DEP_2)
	v_div_fixup_f64 v[6:7], v[6:7], s[34:35], v[10:11]
	v_div_fixup_f64 v[32:33], v[32:33], s[34:35], v[12:13]
	s_delay_alu instid0(VALU_DEP_2) | instskip(NEXT) | instid1(VALU_DEP_2)
	v_cmp_class_f64_e64 s1, v[6:7], 0x204
	v_max_num_f64_e64 v[34:35], |v[6:7]|, |v[32:33]|
	v_cmp_class_f64_e64 s3, v[32:33], 0x204
	s_delay_alu instid0(VALU_DEP_2) | instskip(SKIP_2) | instid1(VALU_DEP_2)
	v_frexp_exp_i32_f64_e32 v8, v[34:35]
	s_or_b32 s1, s1, s3
	v_cmp_class_f64_e64 s3, v[10:11], 0x204
	v_sub_nc_u32_e32 v21, 0, v8
	s_delay_alu instid0(VALU_DEP_1) | instskip(SKIP_1) | instid1(VALU_DEP_2)
	v_ldexp_f64 v[34:35], |v[32:33]|, v21
	v_ldexp_f64 v[36:37], |v[6:7]|, v21
	v_mul_f64_e32 v[34:35], v[34:35], v[34:35]
	s_delay_alu instid0(VALU_DEP_1) | instskip(NEXT) | instid1(VALU_DEP_1)
	v_fmac_f64_e32 v[34:35], v[36:37], v[36:37]
	v_rsq_f64_e32 v[36:37], v[34:35]
	v_cmp_eq_f64_e32 vcc_lo, 0, v[34:35]
	s_delay_alu instid0(TRANS32_DEP_1) | instskip(SKIP_1) | instid1(VALU_DEP_1)
	v_mul_f64_e32 v[38:39], v[34:35], v[36:37]
	v_mul_f64_e32 v[36:37], 0.5, v[36:37]
	v_fma_f64 v[40:41], -v[36:37], v[38:39], 0.5
	s_delay_alu instid0(VALU_DEP_1) | instskip(SKIP_1) | instid1(VALU_DEP_2)
	v_fmac_f64_e32 v[38:39], v[38:39], v[40:41]
	v_fmac_f64_e32 v[36:37], v[36:37], v[40:41]
	v_fma_f64 v[40:41], -v[38:39], v[38:39], v[34:35]
	s_delay_alu instid0(VALU_DEP_1) | instskip(NEXT) | instid1(VALU_DEP_1)
	v_fmac_f64_e32 v[38:39], v[40:41], v[36:37]
	v_dual_cndmask_b32 v35, v39, v35 :: v_dual_cndmask_b32 v34, v38, v34
	v_cmp_o_f64_e32 vcc_lo, v[6:7], v[32:33]
	s_delay_alu instid0(VALU_DEP_2) | instskip(NEXT) | instid1(VALU_DEP_1)
	v_ldexp_f64 v[34:35], v[34:35], v8
	v_cndmask_b32_e32 v6, 0, v34, vcc_lo
	s_delay_alu instid0(VALU_DEP_2) | instskip(NEXT) | instid1(VALU_DEP_2)
	v_cndmask_b32_e32 v7, 0x7ff80000, v35, vcc_lo
	v_cndmask_b32_e64 v34, v6, 0, s1
	s_delay_alu instid0(VALU_DEP_2) | instskip(SKIP_1) | instid1(VALU_DEP_2)
	v_cndmask_b32_e64 v35, v7, 0x7ff00000, s1
	v_cmp_class_f64_e64 s1, v[12:13], 0x204
	v_frexp_mant_f64_e32 v[6:7], v[34:35]
	s_delay_alu instid0(VALU_DEP_1) | instskip(SKIP_1) | instid1(VALU_DEP_1)
	v_cmp_gt_f64_e32 vcc_lo, s[20:21], v[6:7]
	v_cndmask_b32_e64 v8, 0, 1, vcc_lo
	v_ldexp_f64 v[6:7], v[6:7], v8
	v_frexp_exp_i32_f64_e32 v8, v[34:35]
	s_delay_alu instid0(VALU_DEP_2) | instskip(SKIP_1) | instid1(VALU_DEP_3)
	v_add_f64_e32 v[32:33], 1.0, v[6:7]
	v_add_f64_e32 v[40:41], -1.0, v[6:7]
	v_subrev_co_ci_u32_e64 v8, null, 0, v8, vcc_lo
	s_delay_alu instid0(VALU_DEP_3) | instskip(SKIP_1) | instid1(VALU_DEP_1)
	v_rcp_f64_e32 v[36:37], v[32:33]
	v_add_f64_e32 v[42:43], -1.0, v[32:33]
	v_add_f64_e64 v[6:7], v[6:7], -v[42:43]
	s_delay_alu instid0(TRANS32_DEP_1) | instskip(NEXT) | instid1(VALU_DEP_1)
	v_fma_f64 v[38:39], -v[32:33], v[36:37], 1.0
	v_fmac_f64_e32 v[36:37], v[38:39], v[36:37]
	s_delay_alu instid0(VALU_DEP_1) | instskip(NEXT) | instid1(VALU_DEP_1)
	v_fma_f64 v[38:39], -v[32:33], v[36:37], 1.0
	v_fmac_f64_e32 v[36:37], v[38:39], v[36:37]
	s_delay_alu instid0(VALU_DEP_1) | instskip(NEXT) | instid1(VALU_DEP_1)
	v_mul_f64_e32 v[38:39], v[40:41], v[36:37]
	v_mul_f64_e32 v[44:45], v[32:33], v[38:39]
	s_delay_alu instid0(VALU_DEP_1) | instskip(NEXT) | instid1(VALU_DEP_1)
	v_fma_f64 v[32:33], v[38:39], v[32:33], -v[44:45]
	v_fmac_f64_e32 v[32:33], v[38:39], v[6:7]
	s_delay_alu instid0(VALU_DEP_1) | instskip(NEXT) | instid1(VALU_DEP_1)
	v_add_f64_e32 v[6:7], v[44:45], v[32:33]
	v_add_f64_e64 v[42:43], v[40:41], -v[6:7]
	v_add_f64_e64 v[44:45], v[6:7], -v[44:45]
	s_delay_alu instid0(VALU_DEP_2) | instskip(NEXT) | instid1(VALU_DEP_2)
	v_add_f64_e64 v[40:41], v[40:41], -v[42:43]
	v_add_f64_e64 v[32:33], v[44:45], -v[32:33]
	s_delay_alu instid0(VALU_DEP_2) | instskip(SKIP_1) | instid1(VALU_DEP_2)
	v_add_f64_e64 v[6:7], v[40:41], -v[6:7]
	v_max_num_f64_e64 v[40:41], |v[10:11]|, |v[10:11]|
	v_add_f64_e32 v[6:7], v[32:33], v[6:7]
	v_max_num_f64_e64 v[32:33], |v[12:13]|, |v[12:13]|
	s_delay_alu instid0(VALU_DEP_2) | instskip(NEXT) | instid1(VALU_DEP_1)
	v_add_f64_e32 v[6:7], v[42:43], v[6:7]
	v_mul_f64_e32 v[6:7], v[36:37], v[6:7]
	s_delay_alu instid0(VALU_DEP_3) | instskip(SKIP_1) | instid1(VALU_DEP_3)
	v_max_num_f64_e32 v[36:37], v[40:41], v[32:33]
	v_min_num_f64_e32 v[32:33], v[40:41], v[32:33]
	v_add_f64_e32 v[40:41], v[38:39], v[6:7]
	s_delay_alu instid0(VALU_DEP_2) | instskip(NEXT) | instid1(VALU_DEP_2)
	v_div_scale_f64 v[42:43], null, v[36:37], v[36:37], v[32:33]
	v_mul_f64_e32 v[44:45], v[40:41], v[40:41]
	v_add_f64_e64 v[38:39], v[40:41], -v[38:39]
	s_delay_alu instid0(VALU_DEP_3) | instskip(NEXT) | instid1(VALU_DEP_2)
	v_rcp_f64_e32 v[46:47], v[42:43]
	v_fmamk_f64 v[48:49], v[44:45], 0x3fc3ab76bf559e2b, v[22:23]
	v_mul_f64_e32 v[50:51], v[40:41], v[44:45]
	s_delay_alu instid0(VALU_DEP_3) | instskip(NEXT) | instid1(VALU_DEP_3)
	v_add_f64_e64 v[6:7], v[6:7], -v[38:39]
	v_fmaak_f64 v[48:49], v[44:45], v[48:49], 0x3fc7474dd7f4df2e
	s_delay_alu instid0(TRANS32_DEP_1) | instskip(NEXT) | instid1(VALU_DEP_2)
	v_fma_f64 v[52:53], -v[42:43], v[46:47], 1.0
	v_fmaak_f64 v[48:49], v[44:45], v[48:49], 0x3fcc71c016291751
	s_delay_alu instid0(VALU_DEP_1) | instskip(NEXT) | instid1(VALU_DEP_1)
	v_fmaak_f64 v[48:49], v[44:45], v[48:49], 0x3fd249249b27acf1
	v_fmaak_f64 v[48:49], v[44:45], v[48:49], 0x3fd99999998ef7b6
	v_ldexp_f64 v[6:7], v[6:7], 1
	s_delay_alu instid0(VALU_DEP_2) | instskip(SKIP_2) | instid1(VALU_DEP_3)
	v_fmaak_f64 v[44:45], v[44:45], v[48:49], 0x3fe5555555555780
	v_ldexp_f64 v[48:49], v[40:41], 1
	v_fmac_f64_e32 v[46:47], v[46:47], v[52:53]
	v_mul_f64_e32 v[44:45], v[50:51], v[44:45]
	v_cvt_f64_i32_e32 v[50:51], v8
	v_ashrrev_i32_e32 v8, 31, v11
	s_delay_alu instid0(VALU_DEP_4) | instskip(NEXT) | instid1(VALU_DEP_4)
	v_fma_f64 v[52:53], -v[42:43], v[46:47], 1.0
	v_add_f64_e32 v[40:41], v[48:49], v[44:45]
	s_delay_alu instid0(VALU_DEP_4) | instskip(NEXT) | instid1(VALU_DEP_3)
	v_mul_f64_e32 v[54:55], 0x3fe62e42fefa39ef, v[50:51]
	v_fmac_f64_e32 v[46:47], v[46:47], v[52:53]
	s_delay_alu instid0(VALU_DEP_3) | instskip(SKIP_1) | instid1(VALU_DEP_4)
	v_add_f64_e64 v[38:39], v[40:41], -v[48:49]
	v_div_scale_f64 v[48:49], vcc_lo, v[32:33], v[36:37], v[32:33]
	v_fma_f64 v[52:53], v[50:51], s[22:23], -v[54:55]
	s_delay_alu instid0(VALU_DEP_3) | instskip(NEXT) | instid1(VALU_DEP_3)
	v_add_f64_e64 v[38:39], v[44:45], -v[38:39]
	v_mul_f64_e32 v[44:45], v[48:49], v[46:47]
	s_delay_alu instid0(VALU_DEP_3) | instskip(NEXT) | instid1(VALU_DEP_3)
	v_fmac_f64_e32 v[52:53], 0x3c7abc9e3b39803f, v[50:51]
	v_add_f64_e32 v[6:7], v[6:7], v[38:39]
	s_delay_alu instid0(VALU_DEP_3) | instskip(NEXT) | instid1(VALU_DEP_3)
	v_fma_f64 v[38:39], -v[42:43], v[44:45], v[48:49]
	v_add_f64_e32 v[42:43], v[54:55], v[52:53]
	s_delay_alu instid0(VALU_DEP_3) | instskip(NEXT) | instid1(VALU_DEP_3)
	v_add_f64_e32 v[48:49], v[40:41], v[6:7]
	v_div_fmas_f64 v[38:39], v[38:39], v[46:47], v[44:45]
	v_cmp_class_f64_e64 vcc_lo, v[34:35], 0x204
	s_delay_alu instid0(VALU_DEP_4) | instskip(NEXT) | instid1(VALU_DEP_4)
	v_add_f64_e64 v[46:47], v[42:43], -v[54:55]
	v_add_f64_e32 v[44:45], v[42:43], v[48:49]
	s_delay_alu instid0(VALU_DEP_4) | instskip(SKIP_1) | instid1(VALU_DEP_4)
	v_div_fixup_f64 v[32:33], v[38:39], v[36:37], v[32:33]
	v_add_f64_e64 v[40:41], v[48:49], -v[40:41]
	v_add_f64_e64 v[46:47], v[52:53], -v[46:47]
	s_delay_alu instid0(VALU_DEP_4) | instskip(NEXT) | instid1(VALU_DEP_4)
	v_add_f64_e64 v[36:37], v[44:45], -v[42:43]
	v_mul_f64_e32 v[38:39], v[32:33], v[32:33]
	s_delay_alu instid0(VALU_DEP_4) | instskip(NEXT) | instid1(VALU_DEP_3)
	v_add_f64_e64 v[6:7], v[6:7], -v[40:41]
	v_add_f64_e64 v[50:51], v[44:45], -v[36:37]
	s_delay_alu instid0(VALU_DEP_3) | instskip(SKIP_1) | instid1(VALU_DEP_4)
	v_fmamk_f64 v[54:55], v[38:39], 0x3eeba404b5e68a13, v[24:25]
	v_add_f64_e64 v[36:37], v[48:49], -v[36:37]
	v_add_f64_e32 v[48:49], v[46:47], v[6:7]
	s_delay_alu instid0(VALU_DEP_3) | instskip(SKIP_1) | instid1(VALU_DEP_2)
	v_fmaak_f64 v[54:55], v[38:39], v[54:55], 0x3f4b2bb069efb384
	v_add_f64_e64 v[40:41], v[42:43], -v[50:51]
	v_fmaak_f64 v[42:43], v[38:39], v[54:55], 0xbf67952daf56de9b
	s_delay_alu instid0(VALU_DEP_1) | instskip(NEXT) | instid1(VALU_DEP_1)
	v_fmaak_f64 v[42:43], v[38:39], v[42:43], 0x3f7d6d43a595c56f
	v_fmaak_f64 v[42:43], v[38:39], v[42:43], 0xbf8c6ea4a57d9582
	s_delay_alu instid0(VALU_DEP_1) | instskip(SKIP_1) | instid1(VALU_DEP_2)
	v_fmaak_f64 v[42:43], v[38:39], v[42:43], 0x3f967e295f08b19f
	v_add_f64_e32 v[36:37], v[36:37], v[40:41]
	v_fmaak_f64 v[40:41], v[38:39], v[42:43], 0xbf9e9ae6fc27006a
	v_add_f64_e64 v[42:43], v[48:49], -v[46:47]
	s_delay_alu instid0(VALU_DEP_2) | instskip(NEXT) | instid1(VALU_DEP_1)
	v_fmaak_f64 v[40:41], v[38:39], v[40:41], 0x3fa2c15b5711927a
	v_fmaak_f64 v[40:41], v[38:39], v[40:41], 0xbfa59976e82d3ff0
	s_delay_alu instid0(VALU_DEP_1) | instskip(NEXT) | instid1(VALU_DEP_1)
	v_fmaak_f64 v[40:41], v[38:39], v[40:41], 0x3fa82d5d6ef28734
	v_fmaak_f64 v[40:41], v[38:39], v[40:41], 0xbfaae5ce6a214619
	v_add_f64_e32 v[36:37], v[48:49], v[36:37]
	v_add_f64_e64 v[48:49], v[48:49], -v[42:43]
	v_add_f64_e64 v[6:7], v[6:7], -v[42:43]
	s_delay_alu instid0(VALU_DEP_4) | instskip(NEXT) | instid1(VALU_DEP_1)
	v_fmaak_f64 v[40:41], v[38:39], v[40:41], 0x3fae1bb48427b883
	v_fmaak_f64 v[40:41], v[38:39], v[40:41], 0xbfb110e48b207f05
	s_delay_alu instid0(VALU_DEP_1) | instskip(NEXT) | instid1(VALU_DEP_1)
	v_fmaak_f64 v[40:41], v[38:39], v[40:41], 0x3fb3b13657b87036
	v_fmaak_f64 v[40:41], v[38:39], v[40:41], 0xbfb745d119378e4f
	s_delay_alu instid0(VALU_DEP_1) | instskip(SKIP_1) | instid1(VALU_DEP_2)
	v_fmaak_f64 v[40:41], v[38:39], v[40:41], 0x3fbc71c717e1913c
	v_add_f64_e32 v[50:51], v[44:45], v[36:37]
	v_fmaak_f64 v[40:41], v[38:39], v[40:41], 0xbfc2492492376b7d
	s_delay_alu instid0(VALU_DEP_1) | instskip(NEXT) | instid1(VALU_DEP_1)
	v_fmaak_f64 v[40:41], v[38:39], v[40:41], 0x3fc99999999952cc
	v_fmaak_f64 v[40:41], v[38:39], v[40:41], 0xbfd5555555555523
	s_delay_alu instid0(VALU_DEP_1) | instskip(SKIP_2) | instid1(VALU_DEP_3)
	v_mul_f64_e32 v[38:39], v[38:39], v[40:41]
	v_add_f64_e64 v[40:41], v[46:47], -v[48:49]
	v_add_f64_e64 v[42:43], v[50:51], -v[44:45]
	v_fmac_f64_e32 v[32:33], v[32:33], v[38:39]
	s_delay_alu instid0(VALU_DEP_3) | instskip(NEXT) | instid1(VALU_DEP_3)
	v_add_f64_e32 v[6:7], v[6:7], v[40:41]
	v_add_f64_e64 v[36:37], v[36:37], -v[42:43]
	s_delay_alu instid0(VALU_DEP_3) | instskip(NEXT) | instid1(VALU_DEP_1)
	v_add_f64_e64 v[38:39], -v[32:33], s[24:25]
	v_dual_add_f64 v[6:7], v[6:7], v[36:37] :: v_dual_cndmask_b32 v33, v33, v39, s0
	s_delay_alu instid0(VALU_DEP_2)
	v_cndmask_b32_e64 v32, v32, v38, s0
	v_cmp_gt_i32_e64 s0, 0, v11
	v_and_b32_e32 v38, 0x54442d18, v8
	v_and_b32_e32 v8, 0x400921fb, v8
	v_add_f64_e32 v[6:7], v[50:51], v[6:7]
	v_add_f64_e64 v[36:37], -v[32:33], s[26:27]
	v_cndmask_b32_e64 v21, 0x54442d18, v60, s0
	v_cndmask_b32_e64 v10, 0x3fe921fb, v61, s0
	s_delay_alu instid0(VALU_DEP_1) | instskip(SKIP_4) | instid1(VALU_DEP_4)
	v_bfi_b32 v10, 0x7fffffff, v10, v13
	v_dual_cndmask_b32 v7, v7, v35 :: v_dual_cndmask_b32 v6, v6, v34
	v_cmp_eq_f64_e32 vcc_lo, 0, v[12:13]
	v_dual_cndmask_b32 v32, v32, v36, s0 :: v_dual_cndmask_b32 v11, v33, v37, s0
	v_cmp_nge_f64_e64 s0, 0, v[34:35]
	v_add_f64_e32 v[6:7], 1.0, v[6:7]
	s_delay_alu instid0(VALU_DEP_3) | instskip(SKIP_1) | instid1(VALU_DEP_3)
	v_dual_cndmask_b32 v36, v32, v38, vcc_lo :: v_dual_cndmask_b32 v8, v11, v8, vcc_lo
	v_cmp_ngt_f64_e32 vcc_lo, 0, v[34:35]
	v_cndmask_b32_e64 v32, 0, v6, s0
	v_cmp_neq_f64_e64 s0, 0, v[34:35]
	v_cndmask_b32_e32 v11, 0x7ff80000, v7, vcc_lo
	s_and_b32 vcc_lo, s3, s1
	v_cndmask_b32_e32 v7, v8, v10, vcc_lo
	v_cndmask_b32_e32 v6, v36, v21, vcc_lo
	s_delay_alu instid0(VALU_DEP_3)
	v_cndmask_b32_e64 v33, 0xfff00000, v11, s0
.LBB197_223:                            ;   in Loop: Header=BB197_162 Depth=1
	s_or_b32 exec_lo, exec_lo, s2
.LBB197_224:                            ;   in Loop: Header=BB197_162 Depth=1
	s_and_not1_saveexec_b32 s0, s33
	s_cbranch_execz .LBB197_230
; %bb.225:                              ;   in Loop: Header=BB197_162 Depth=1
	v_cmp_ngt_f64_e64 s1, 0x20000000, |v[10:11]|
	v_cmp_ngt_f64_e64 s2, 0x20000000, |v[12:13]|
                                        ; implicit-def: $vgpr34_vgpr35
	s_or_b32 s1, s1, s2
	s_delay_alu instid0(SALU_CYCLE_1) | instskip(NEXT) | instid1(SALU_CYCLE_1)
	s_and_saveexec_b32 s2, s1
	s_xor_b32 s1, exec_lo, s2
	s_cbranch_execz .LBB197_227
; %bb.226:                              ;   in Loop: Header=BB197_162 Depth=1
	v_mul_f64_e32 v[34:35], v[12:13], v[12:13]
	s_delay_alu instid0(VALU_DEP_1)
	v_fmac_f64_e32 v[34:35], v[10:11], v[10:11]
.LBB197_227:                            ;   in Loop: Header=BB197_162 Depth=1
	s_and_not1_saveexec_b32 s1, s1
	s_cbranch_execz .LBB197_229
; %bb.228:                              ;   in Loop: Header=BB197_162 Depth=1
	v_mul_f64_e32 v[6:7], 4.0, v[12:13]
	v_mul_f64_e32 v[10:11], 4.0, v[10:11]
	s_delay_alu instid0(VALU_DEP_2) | instskip(NEXT) | instid1(VALU_DEP_1)
	v_mul_f64_e32 v[6:7], v[6:7], v[6:7]
	v_fmac_f64_e32 v[6:7], v[10:11], v[10:11]
	s_delay_alu instid0(VALU_DEP_1)
	v_ldexp_f64 v[34:35], v[6:7], -4
.LBB197_229:                            ;   in Loop: Header=BB197_162 Depth=1
	s_or_b32 exec_lo, exec_lo, s1
	s_delay_alu instid0(VALU_DEP_1) | instskip(NEXT) | instid1(VALU_DEP_1)
	v_frexp_mant_f64_e32 v[6:7], v[34:35]
	v_cmp_gt_f64_e32 vcc_lo, s[20:21], v[6:7]
	v_cndmask_b32_e64 v8, 0, 1, vcc_lo
	s_delay_alu instid0(VALU_DEP_1) | instskip(SKIP_1) | instid1(VALU_DEP_2)
	v_ldexp_f64 v[6:7], v[6:7], v8
	v_frexp_exp_i32_f64_e32 v8, v[34:35]
	v_add_f64_e32 v[10:11], 1.0, v[6:7]
	v_add_f64_e32 v[38:39], -1.0, v[6:7]
	s_delay_alu instid0(VALU_DEP_3) | instskip(SKIP_1) | instid1(VALU_DEP_4)
	v_subrev_co_ci_u32_e64 v8, null, 0, v8, vcc_lo
	v_cmp_class_f64_e64 vcc_lo, v[34:35], 0x204
	v_rcp_f64_e32 v[32:33], v[10:11]
	v_add_f64_e32 v[40:41], -1.0, v[10:11]
	s_delay_alu instid0(VALU_DEP_1) | instskip(NEXT) | instid1(TRANS32_DEP_1)
	v_add_f64_e64 v[6:7], v[6:7], -v[40:41]
	v_fma_f64 v[36:37], -v[10:11], v[32:33], 1.0
	s_delay_alu instid0(VALU_DEP_1) | instskip(NEXT) | instid1(VALU_DEP_1)
	v_fmac_f64_e32 v[32:33], v[36:37], v[32:33]
	v_fma_f64 v[36:37], -v[10:11], v[32:33], 1.0
	s_delay_alu instid0(VALU_DEP_1) | instskip(NEXT) | instid1(VALU_DEP_1)
	v_fmac_f64_e32 v[32:33], v[36:37], v[32:33]
	v_mul_f64_e32 v[36:37], v[38:39], v[32:33]
	s_delay_alu instid0(VALU_DEP_1) | instskip(NEXT) | instid1(VALU_DEP_1)
	v_mul_f64_e32 v[42:43], v[10:11], v[36:37]
	v_fma_f64 v[10:11], v[36:37], v[10:11], -v[42:43]
	s_delay_alu instid0(VALU_DEP_1) | instskip(NEXT) | instid1(VALU_DEP_1)
	v_fmac_f64_e32 v[10:11], v[36:37], v[6:7]
	v_add_f64_e32 v[6:7], v[42:43], v[10:11]
	s_delay_alu instid0(VALU_DEP_1) | instskip(SKIP_1) | instid1(VALU_DEP_2)
	v_add_f64_e64 v[40:41], v[38:39], -v[6:7]
	v_add_f64_e64 v[42:43], v[6:7], -v[42:43]
	;; [unrolled: 1-line block ×3, first 2 shown]
	s_delay_alu instid0(VALU_DEP_2) | instskip(NEXT) | instid1(VALU_DEP_2)
	v_add_f64_e64 v[10:11], v[42:43], -v[10:11]
	v_add_f64_e64 v[6:7], v[38:39], -v[6:7]
	s_delay_alu instid0(VALU_DEP_1) | instskip(NEXT) | instid1(VALU_DEP_1)
	v_add_f64_e32 v[6:7], v[10:11], v[6:7]
	v_add_f64_e32 v[6:7], v[40:41], v[6:7]
	s_delay_alu instid0(VALU_DEP_1) | instskip(NEXT) | instid1(VALU_DEP_1)
	v_mul_f64_e32 v[6:7], v[32:33], v[6:7]
	v_add_f64_e32 v[10:11], v[36:37], v[6:7]
	s_delay_alu instid0(VALU_DEP_1) | instskip(NEXT) | instid1(VALU_DEP_1)
	v_mul_f64_e32 v[32:33], v[10:11], v[10:11]
	v_fmamk_f64 v[38:39], v[32:33], 0x3fc3ab76bf559e2b, v[22:23]
	v_mul_f64_e32 v[40:41], v[10:11], v[32:33]
	s_delay_alu instid0(VALU_DEP_2) | instskip(NEXT) | instid1(VALU_DEP_1)
	v_fmaak_f64 v[38:39], v[32:33], v[38:39], 0x3fc7474dd7f4df2e
	v_fmaak_f64 v[38:39], v[32:33], v[38:39], 0x3fcc71c016291751
	s_delay_alu instid0(VALU_DEP_1) | instskip(NEXT) | instid1(VALU_DEP_1)
	v_fmaak_f64 v[38:39], v[32:33], v[38:39], 0x3fd249249b27acf1
	v_fmaak_f64 v[38:39], v[32:33], v[38:39], 0x3fd99999998ef7b6
	s_delay_alu instid0(VALU_DEP_1) | instskip(SKIP_2) | instid1(VALU_DEP_3)
	v_fmaak_f64 v[32:33], v[32:33], v[38:39], 0x3fe5555555555780
	v_ldexp_f64 v[38:39], v[10:11], 1
	v_add_f64_e64 v[10:11], v[10:11], -v[36:37]
	v_mul_f64_e32 v[32:33], v[40:41], v[32:33]
	v_cvt_f64_i32_e32 v[40:41], v8
	s_delay_alu instid0(VALU_DEP_3) | instskip(NEXT) | instid1(VALU_DEP_3)
	v_add_f64_e64 v[6:7], v[6:7], -v[10:11]
	v_add_f64_e32 v[36:37], v[38:39], v[32:33]
	s_delay_alu instid0(VALU_DEP_3) | instskip(NEXT) | instid1(VALU_DEP_3)
	v_mul_f64_e32 v[42:43], 0x3fe62e42fefa39ef, v[40:41]
	v_ldexp_f64 v[6:7], v[6:7], 1
	s_delay_alu instid0(VALU_DEP_3) | instskip(NEXT) | instid1(VALU_DEP_3)
	v_add_f64_e64 v[10:11], v[36:37], -v[38:39]
	v_fma_f64 v[38:39], v[40:41], s[22:23], -v[42:43]
	s_delay_alu instid0(VALU_DEP_2) | instskip(NEXT) | instid1(VALU_DEP_2)
	v_add_f64_e64 v[10:11], v[32:33], -v[10:11]
	v_fmac_f64_e32 v[38:39], 0x3c7abc9e3b39803f, v[40:41]
	s_delay_alu instid0(VALU_DEP_2) | instskip(NEXT) | instid1(VALU_DEP_2)
	v_add_f64_e32 v[6:7], v[6:7], v[10:11]
	v_add_f64_e32 v[10:11], v[42:43], v[38:39]
	s_delay_alu instid0(VALU_DEP_2) | instskip(NEXT) | instid1(VALU_DEP_2)
	v_add_f64_e32 v[32:33], v[36:37], v[6:7]
	v_add_f64_e64 v[42:43], v[10:11], -v[42:43]
	s_delay_alu instid0(VALU_DEP_2) | instskip(SKIP_1) | instid1(VALU_DEP_3)
	v_add_f64_e32 v[40:41], v[10:11], v[32:33]
	v_add_f64_e64 v[36:37], v[32:33], -v[36:37]
	v_add_f64_e64 v[38:39], v[38:39], -v[42:43]
	s_delay_alu instid0(VALU_DEP_3) | instskip(NEXT) | instid1(VALU_DEP_3)
	v_add_f64_e64 v[44:45], v[40:41], -v[10:11]
	v_add_f64_e64 v[6:7], v[6:7], -v[36:37]
	s_delay_alu instid0(VALU_DEP_2) | instskip(SKIP_1) | instid1(VALU_DEP_3)
	v_add_f64_e64 v[46:47], v[40:41], -v[44:45]
	v_add_f64_e64 v[32:33], v[32:33], -v[44:45]
	v_add_f64_e32 v[36:37], v[38:39], v[6:7]
	s_delay_alu instid0(VALU_DEP_3) | instskip(NEXT) | instid1(VALU_DEP_1)
	v_add_f64_e64 v[10:11], v[10:11], -v[46:47]
	v_add_f64_e32 v[10:11], v[32:33], v[10:11]
	s_delay_alu instid0(VALU_DEP_3) | instskip(NEXT) | instid1(VALU_DEP_2)
	v_add_f64_e64 v[32:33], v[36:37], -v[38:39]
	v_add_f64_e32 v[10:11], v[36:37], v[10:11]
	s_delay_alu instid0(VALU_DEP_2) | instskip(SKIP_1) | instid1(VALU_DEP_3)
	v_add_f64_e64 v[36:37], v[36:37], -v[32:33]
	v_add_f64_e64 v[6:7], v[6:7], -v[32:33]
	v_add_f64_e32 v[42:43], v[40:41], v[10:11]
	s_delay_alu instid0(VALU_DEP_3) | instskip(NEXT) | instid1(VALU_DEP_2)
	v_add_f64_e64 v[32:33], v[38:39], -v[36:37]
	v_add_f64_e64 v[36:37], v[42:43], -v[40:41]
	s_delay_alu instid0(VALU_DEP_2) | instskip(NEXT) | instid1(VALU_DEP_2)
	v_add_f64_e32 v[6:7], v[6:7], v[32:33]
	v_add_f64_e64 v[10:11], v[10:11], -v[36:37]
	s_delay_alu instid0(VALU_DEP_1) | instskip(NEXT) | instid1(VALU_DEP_1)
	v_add_f64_e32 v[6:7], v[6:7], v[10:11]
	v_add_f64_e32 v[6:7], v[42:43], v[6:7]
	s_delay_alu instid0(VALU_DEP_1) | instskip(SKIP_1) | instid1(VALU_DEP_2)
	v_dual_cndmask_b32 v6, v6, v34 :: v_dual_cndmask_b32 v7, v7, v35
	v_cmp_ngt_f64_e32 vcc_lo, 0, v[34:35]
	v_cndmask_b32_e32 v8, 0x7ff80000, v7, vcc_lo
	v_cmp_nge_f64_e32 vcc_lo, 0, v[34:35]
	s_delay_alu instid0(VALU_DEP_4)
	v_cndmask_b32_e32 v32, 0, v6, vcc_lo
	v_cmp_neq_f64_e32 vcc_lo, 0, v[34:35]
	v_mov_b64_e32 v[6:7], 0x7ff8000000000000
	v_cndmask_b32_e32 v33, 0xfff00000, v8, vcc_lo
.LBB197_230:                            ;   in Loop: Header=BB197_162 Depth=1
	s_or_b32 exec_lo, exec_lo, s0
                                        ; implicit-def: $vgpr34_vgpr35
                                        ; implicit-def: $vgpr10_vgpr11
	s_delay_alu instid0(SALU_CYCLE_1)
	s_mov_b32 s0, exec_lo
	s_wait_loadcnt 0x0
	v_cmpx_o_f64_e32 v[14:15], v[16:17]
	s_xor_b32 s33, exec_lo, s0
	s_cbranch_execz .LBB197_258
; %bb.231:                              ;   in Loop: Header=BB197_162 Depth=1
	v_cmp_lt_f64_e64 s0, |v[14:15]|, |v[16:17]|
	v_and_b32_e32 v12, 0x7fffffff, v15
	v_and_b32_e32 v21, 0x7fffffff, v17
	v_mov_b32_e32 v8, v16
                                        ; implicit-def: $vgpr34_vgpr35
                                        ; implicit-def: $vgpr10_vgpr11
	s_mov_b32 s1, exec_lo
	s_delay_alu instid0(VALU_DEP_2) | instskip(NEXT) | instid1(VALU_DEP_1)
	v_dual_cndmask_b32 v39, v21, v12, s0 :: v_dual_cndmask_b32 v38, v16, v14, s0
	v_cmpx_nlt_f64_e32 s[12:13], v[38:39]
	s_xor_b32 s38, exec_lo, s1
	s_cbranch_execz .LBB197_255
; %bb.232:                              ;   in Loop: Header=BB197_162 Depth=1
	v_dual_cndmask_b32 v41, v12, v21, s0 :: v_dual_cndmask_b32 v40, v14, v8, s0
                                        ; implicit-def: $vgpr34_vgpr35
                                        ; implicit-def: $vgpr10_vgpr11
	s_mov_b32 s1, exec_lo
	s_delay_alu instid0(VALU_DEP_1)
	v_cmpx_neq_f64_e32 1.0, v[40:41]
	s_xor_b32 s39, exec_lo, s1
	s_cbranch_execz .LBB197_248
; %bb.233:                              ;   in Loop: Header=BB197_162 Depth=1
	v_max_num_f64_e32 v[10:11], v[38:39], v[38:39]
	v_max_num_f64_e32 v[34:35], v[40:41], v[40:41]
	s_delay_alu instid0(VALU_DEP_1) | instskip(SKIP_1) | instid1(VALU_DEP_2)
	v_min_num_f64_e32 v[36:37], v[34:35], v[10:11]
	v_max_num_f64_e32 v[10:11], v[34:35], v[10:11]
                                        ; implicit-def: $vgpr34_vgpr35
	v_cmp_ngt_f64_e32 vcc_lo, s[14:15], v[36:37]
	s_delay_alu instid0(VALU_DEP_2) | instskip(SKIP_1) | instid1(SALU_CYCLE_1)
	v_cmp_nlt_f64_e64 s1, s[16:17], v[10:11]
                                        ; implicit-def: $vgpr10_vgpr11
	s_and_b32 s1, s1, vcc_lo
	s_and_saveexec_b32 s2, s1
	s_delay_alu instid0(SALU_CYCLE_1)
	s_xor_b32 s40, exec_lo, s2
	s_cbranch_execz .LBB197_245
; %bb.234:                              ;   in Loop: Header=BB197_162 Depth=1
                                        ; implicit-def: $vgpr34_vgpr35
                                        ; implicit-def: $vgpr10_vgpr11
	s_mov_b32 s1, exec_lo
	v_cmpx_le_f64_e32 1.0, v[40:41]
	s_xor_b32 s4, exec_lo, s1
	s_cbranch_execz .LBB197_236
; %bb.235:                              ;   in Loop: Header=BB197_162 Depth=1
	v_add_f64_e32 v[10:11], -1.0, v[40:41]
	v_add_f64_e32 v[34:35], 1.0, v[40:41]
	v_cmp_eq_f64_e64 s1, 0, v[16:17]
	v_cmp_class_f64_e64 s6, v[14:15], 0x204
	v_cmp_class_f64_e64 s5, v[16:17], 0x204
	s_delay_alu instid0(VALU_DEP_4) | instskip(NEXT) | instid1(VALU_DEP_1)
	v_mul_f64_e32 v[36:37], v[10:11], v[34:35]
	v_fmac_f64_e32 v[36:37], v[38:39], v[38:39]
	s_delay_alu instid0(VALU_DEP_1) | instskip(SKIP_2) | instid1(VALU_DEP_3)
	v_add_f64_e32 v[10:11], 1.0, v[36:37]
	v_cmp_nge_f64_e64 s2, -1.0, v[36:37]
	v_cmp_neq_f64_e64 s3, 0x7ff00000, v[36:37]
	v_frexp_mant_f64_e32 v[34:35], v[10:11]
	v_frexp_exp_i32_f64_e32 v8, v[10:11]
	v_add_f64_e32 v[38:39], -1.0, v[10:11]
	s_delay_alu instid0(VALU_DEP_3) | instskip(NEXT) | instid1(VALU_DEP_2)
	v_cmp_gt_f64_e32 vcc_lo, s[20:21], v[34:35]
	v_add_f64_e64 v[34:35], v[38:39], -v[10:11]
	v_add_f64_e64 v[38:39], v[36:37], -v[38:39]
	v_subrev_co_ci_u32_e64 v8, null, 0, v8, vcc_lo
	s_delay_alu instid0(VALU_DEP_1) | instskip(NEXT) | instid1(VALU_DEP_1)
	v_dual_add_f64 v[34:35], 1.0, v[34:35] :: v_dual_sub_nc_u32 v12, 0, v8
	v_ldexp_f64 v[10:11], v[10:11], v12
	s_delay_alu instid0(VALU_DEP_2) | instskip(NEXT) | instid1(VALU_DEP_2)
	v_add_f64_e32 v[34:35], v[38:39], v[34:35]
	v_add_f64_e32 v[40:41], 1.0, v[10:11]
	v_add_f64_e32 v[46:47], -1.0, v[10:11]
	s_delay_alu instid0(VALU_DEP_3) | instskip(NEXT) | instid1(VALU_DEP_3)
	v_ldexp_f64 v[34:35], v[34:35], v12
	v_add_f64_e32 v[38:39], -1.0, v[40:41]
	s_delay_alu instid0(VALU_DEP_3) | instskip(NEXT) | instid1(VALU_DEP_2)
	v_add_f64_e32 v[48:49], 1.0, v[46:47]
	v_add_f64_e64 v[38:39], v[10:11], -v[38:39]
	s_delay_alu instid0(VALU_DEP_2) | instskip(NEXT) | instid1(VALU_DEP_2)
	v_add_f64_e64 v[10:11], v[10:11], -v[48:49]
	v_add_f64_e32 v[38:39], v[34:35], v[38:39]
	s_delay_alu instid0(VALU_DEP_2) | instskip(NEXT) | instid1(VALU_DEP_2)
	v_add_f64_e32 v[10:11], v[34:35], v[10:11]
	v_add_f64_e32 v[42:43], v[40:41], v[38:39]
	s_delay_alu instid0(VALU_DEP_2) | instskip(NEXT) | instid1(VALU_DEP_2)
	v_add_f64_e32 v[48:49], v[46:47], v[10:11]
	v_rcp_f64_e32 v[44:45], v[42:43]
	v_add_f64_e64 v[40:41], v[42:43], -v[40:41]
	s_delay_alu instid0(VALU_DEP_2) | instskip(NEXT) | instid1(VALU_DEP_2)
	v_add_f64_e64 v[46:47], v[48:49], -v[46:47]
	v_add_f64_e64 v[38:39], v[38:39], -v[40:41]
	s_delay_alu instid0(VALU_DEP_2) | instskip(NEXT) | instid1(TRANS32_DEP_1)
	v_add_f64_e64 v[10:11], v[10:11], -v[46:47]
	v_fma_f64 v[50:51], -v[42:43], v[44:45], 1.0
	s_delay_alu instid0(VALU_DEP_1) | instskip(NEXT) | instid1(VALU_DEP_1)
	v_fmac_f64_e32 v[44:45], v[50:51], v[44:45]
	v_fma_f64 v[34:35], -v[42:43], v[44:45], 1.0
	s_delay_alu instid0(VALU_DEP_1) | instskip(NEXT) | instid1(VALU_DEP_1)
	v_fmac_f64_e32 v[44:45], v[34:35], v[44:45]
	v_mul_f64_e32 v[34:35], v[48:49], v[44:45]
	s_delay_alu instid0(VALU_DEP_1) | instskip(NEXT) | instid1(VALU_DEP_1)
	v_mul_f64_e32 v[50:51], v[42:43], v[34:35]
	v_fma_f64 v[40:41], v[34:35], v[42:43], -v[50:51]
	s_delay_alu instid0(VALU_DEP_1) | instskip(NEXT) | instid1(VALU_DEP_1)
	v_fmac_f64_e32 v[40:41], v[34:35], v[38:39]
	v_add_f64_e32 v[52:53], v[50:51], v[40:41]
	s_delay_alu instid0(VALU_DEP_1) | instskip(SKIP_1) | instid1(VALU_DEP_2)
	v_add_f64_e64 v[54:55], v[48:49], -v[52:53]
	v_add_f64_e64 v[46:47], v[52:53], -v[50:51]
	;; [unrolled: 1-line block ×3, first 2 shown]
	s_delay_alu instid0(VALU_DEP_2) | instskip(NEXT) | instid1(VALU_DEP_2)
	v_add_f64_e64 v[40:41], v[46:47], -v[40:41]
	v_add_f64_e64 v[48:49], v[48:49], -v[52:53]
	s_delay_alu instid0(VALU_DEP_1) | instskip(NEXT) | instid1(VALU_DEP_1)
	v_add_f64_e32 v[10:11], v[10:11], v[48:49]
	v_add_f64_e32 v[10:11], v[40:41], v[10:11]
	s_delay_alu instid0(VALU_DEP_1) | instskip(NEXT) | instid1(VALU_DEP_1)
	v_add_f64_e32 v[40:41], v[54:55], v[10:11]
	v_mul_f64_e32 v[46:47], v[44:45], v[40:41]
	v_add_f64_e64 v[52:53], v[54:55], -v[40:41]
	s_delay_alu instid0(VALU_DEP_2) | instskip(NEXT) | instid1(VALU_DEP_2)
	v_mul_f64_e32 v[48:49], v[42:43], v[46:47]
	v_add_f64_e32 v[10:11], v[10:11], v[52:53]
	s_delay_alu instid0(VALU_DEP_2) | instskip(NEXT) | instid1(VALU_DEP_1)
	v_fma_f64 v[42:43], v[46:47], v[42:43], -v[48:49]
	v_fmac_f64_e32 v[42:43], v[46:47], v[38:39]
	s_delay_alu instid0(VALU_DEP_1) | instskip(NEXT) | instid1(VALU_DEP_1)
	v_add_f64_e32 v[38:39], v[48:49], v[42:43]
	v_add_f64_e64 v[50:51], v[40:41], -v[38:39]
	v_add_f64_e64 v[48:49], v[38:39], -v[48:49]
	s_delay_alu instid0(VALU_DEP_2) | instskip(NEXT) | instid1(VALU_DEP_1)
	v_add_f64_e64 v[40:41], v[40:41], -v[50:51]
	v_add_f64_e64 v[38:39], v[40:41], -v[38:39]
	s_delay_alu instid0(VALU_DEP_3) | instskip(SKIP_1) | instid1(VALU_DEP_3)
	v_add_f64_e64 v[40:41], v[48:49], -v[42:43]
	v_max_num_f64_e64 v[42:43], |v[14:15]|, |v[14:15]|
	v_add_f64_e32 v[10:11], v[10:11], v[38:39]
	v_add_f64_e32 v[38:39], v[34:35], v[46:47]
	s_delay_alu instid0(VALU_DEP_2) | instskip(NEXT) | instid1(VALU_DEP_2)
	v_add_f64_e32 v[10:11], v[40:41], v[10:11]
	v_add_f64_e64 v[34:35], v[38:39], -v[34:35]
	v_max_num_f64_e64 v[40:41], |v[16:17]|, |v[16:17]|
	s_delay_alu instid0(VALU_DEP_3) | instskip(NEXT) | instid1(VALU_DEP_3)
	v_add_f64_e32 v[10:11], v[50:51], v[10:11]
	v_add_f64_e64 v[34:35], v[46:47], -v[34:35]
	s_delay_alu instid0(VALU_DEP_2) | instskip(NEXT) | instid1(VALU_DEP_1)
	v_mul_f64_e32 v[10:11], v[44:45], v[10:11]
	v_add_f64_e32 v[10:11], v[34:35], v[10:11]
	v_max_num_f64_e32 v[34:35], v[42:43], v[40:41]
	v_min_num_f64_e32 v[40:41], v[42:43], v[40:41]
	s_delay_alu instid0(VALU_DEP_3) | instskip(NEXT) | instid1(VALU_DEP_2)
	v_add_f64_e32 v[42:43], v[38:39], v[10:11]
	v_div_scale_f64 v[44:45], null, v[34:35], v[34:35], v[40:41]
	s_delay_alu instid0(VALU_DEP_2) | instskip(SKIP_1) | instid1(VALU_DEP_3)
	v_mul_f64_e32 v[46:47], v[42:43], v[42:43]
	v_add_f64_e64 v[38:39], v[42:43], -v[38:39]
	v_rcp_f64_e32 v[48:49], v[44:45]
	s_delay_alu instid0(VALU_DEP_2) | instskip(SKIP_1) | instid1(VALU_DEP_3)
	v_fmamk_f64 v[50:51], v[46:47], 0x3fc3ab76bf559e2b, v[22:23]
	v_mul_f64_e32 v[52:53], v[42:43], v[46:47]
	v_add_f64_e64 v[10:11], v[10:11], -v[38:39]
	s_delay_alu instid0(VALU_DEP_3) | instskip(NEXT) | instid1(TRANS32_DEP_1)
	v_fmaak_f64 v[50:51], v[46:47], v[50:51], 0x3fc7474dd7f4df2e
	v_fma_f64 v[54:55], -v[44:45], v[48:49], 1.0
	s_delay_alu instid0(VALU_DEP_2) | instskip(NEXT) | instid1(VALU_DEP_1)
	v_fmaak_f64 v[50:51], v[46:47], v[50:51], 0x3fcc71c016291751
	v_fmaak_f64 v[50:51], v[46:47], v[50:51], 0x3fd249249b27acf1
	s_delay_alu instid0(VALU_DEP_1) | instskip(SKIP_1) | instid1(VALU_DEP_2)
	v_fmaak_f64 v[50:51], v[46:47], v[50:51], 0x3fd99999998ef7b6
	v_ldexp_f64 v[10:11], v[10:11], 1
	v_fmaak_f64 v[46:47], v[46:47], v[50:51], 0x3fe5555555555780
	v_ldexp_f64 v[50:51], v[42:43], 1
	v_fmac_f64_e32 v[48:49], v[48:49], v[54:55]
	s_delay_alu instid0(VALU_DEP_3) | instskip(SKIP_2) | instid1(VALU_DEP_1)
	v_mul_f64_e32 v[46:47], v[52:53], v[46:47]
	v_cvt_f64_i32_e32 v[52:53], v8
	v_ashrrev_i32_e32 v8, 31, v15
	v_and_b32_e32 v21, 0x54442d18, v8
	v_and_b32_e32 v8, 0x400921fb, v8
	v_fma_f64 v[54:55], -v[44:45], v[48:49], 1.0
	v_add_f64_e32 v[42:43], v[50:51], v[46:47]
	v_mul_f64_e32 v[56:57], 0x3fe62e42fefa39ef, v[52:53]
	s_delay_alu instid0(VALU_DEP_3) | instskip(NEXT) | instid1(VALU_DEP_3)
	v_fmac_f64_e32 v[48:49], v[48:49], v[54:55]
	v_add_f64_e64 v[38:39], v[42:43], -v[50:51]
	v_div_scale_f64 v[50:51], vcc_lo, v[40:41], v[34:35], v[40:41]
	s_delay_alu instid0(VALU_DEP_4) | instskip(NEXT) | instid1(VALU_DEP_3)
	v_fma_f64 v[54:55], v[52:53], s[22:23], -v[56:57]
	v_add_f64_e64 v[38:39], v[46:47], -v[38:39]
	s_delay_alu instid0(VALU_DEP_3) | instskip(NEXT) | instid1(VALU_DEP_3)
	v_mul_f64_e32 v[46:47], v[50:51], v[48:49]
	v_fmac_f64_e32 v[54:55], 0x3c7abc9e3b39803f, v[52:53]
	s_delay_alu instid0(VALU_DEP_3) | instskip(NEXT) | instid1(VALU_DEP_3)
	v_add_f64_e32 v[10:11], v[10:11], v[38:39]
	v_fma_f64 v[38:39], -v[44:45], v[46:47], v[50:51]
	s_delay_alu instid0(VALU_DEP_3) | instskip(NEXT) | instid1(VALU_DEP_3)
	v_add_f64_e32 v[44:45], v[56:57], v[54:55]
	v_add_f64_e32 v[50:51], v[42:43], v[10:11]
	s_delay_alu instid0(VALU_DEP_3) | instskip(SKIP_1) | instid1(VALU_DEP_4)
	v_div_fmas_f64 v[38:39], v[38:39], v[48:49], v[46:47]
	v_cmp_gt_i32_e32 vcc_lo, 0, v15
	v_add_f64_e64 v[48:49], v[44:45], -v[56:57]
	v_cndmask_b32_e32 v12, 0x54442d18, v60, vcc_lo
	v_cndmask_b32_e32 v14, 0x3fe921fb, v61, vcc_lo
	s_delay_alu instid0(VALU_DEP_1) | instskip(SKIP_4) | instid1(VALU_DEP_4)
	v_bfi_b32 v14, 0x7fffffff, v14, v17
	v_add_f64_e32 v[46:47], v[44:45], v[50:51]
	v_div_fixup_f64 v[34:35], v[38:39], v[34:35], v[40:41]
	v_add_f64_e64 v[42:43], v[50:51], -v[42:43]
	v_add_f64_e64 v[48:49], v[54:55], -v[48:49]
	v_add_f64_e64 v[38:39], v[46:47], -v[44:45]
	s_delay_alu instid0(VALU_DEP_4) | instskip(NEXT) | instid1(VALU_DEP_4)
	v_mul_f64_e32 v[40:41], v[34:35], v[34:35]
	v_add_f64_e64 v[10:11], v[10:11], -v[42:43]
	s_delay_alu instid0(VALU_DEP_3) | instskip(NEXT) | instid1(VALU_DEP_3)
	v_add_f64_e64 v[52:53], v[46:47], -v[38:39]
	v_fmamk_f64 v[56:57], v[40:41], 0x3eeba404b5e68a13, v[24:25]
	v_add_f64_e64 v[38:39], v[50:51], -v[38:39]
	s_delay_alu instid0(VALU_DEP_4) | instskip(NEXT) | instid1(VALU_DEP_3)
	v_add_f64_e32 v[50:51], v[48:49], v[10:11]
	v_fmaak_f64 v[56:57], v[40:41], v[56:57], 0x3f4b2bb069efb384
	v_add_f64_e64 v[42:43], v[44:45], -v[52:53]
	s_delay_alu instid0(VALU_DEP_2) | instskip(NEXT) | instid1(VALU_DEP_1)
	v_fmaak_f64 v[44:45], v[40:41], v[56:57], 0xbf67952daf56de9b
	v_fmaak_f64 v[44:45], v[40:41], v[44:45], 0x3f7d6d43a595c56f
	s_delay_alu instid0(VALU_DEP_1) | instskip(NEXT) | instid1(VALU_DEP_1)
	v_fmaak_f64 v[44:45], v[40:41], v[44:45], 0xbf8c6ea4a57d9582
	v_fmaak_f64 v[44:45], v[40:41], v[44:45], 0x3f967e295f08b19f
	s_delay_alu instid0(VALU_DEP_1) | instskip(SKIP_1) | instid1(VALU_DEP_2)
	v_fmaak_f64 v[44:45], v[40:41], v[44:45], 0xbf9e9ae6fc27006a
	v_add_f64_e32 v[38:39], v[38:39], v[42:43]
	v_fmaak_f64 v[42:43], v[40:41], v[44:45], 0x3fa2c15b5711927a
	v_add_f64_e64 v[44:45], v[50:51], -v[48:49]
	s_delay_alu instid0(VALU_DEP_2) | instskip(NEXT) | instid1(VALU_DEP_1)
	v_fmaak_f64 v[42:43], v[40:41], v[42:43], 0xbfa59976e82d3ff0
	v_fmaak_f64 v[42:43], v[40:41], v[42:43], 0x3fa82d5d6ef28734
	s_delay_alu instid0(VALU_DEP_1) | instskip(NEXT) | instid1(VALU_DEP_1)
	v_fmaak_f64 v[42:43], v[40:41], v[42:43], 0xbfaae5ce6a214619
	v_fmaak_f64 v[42:43], v[40:41], v[42:43], 0x3fae1bb48427b883
	v_add_f64_e32 v[38:39], v[50:51], v[38:39]
	v_add_f64_e64 v[50:51], v[50:51], -v[44:45]
	v_add_f64_e64 v[10:11], v[10:11], -v[44:45]
	s_delay_alu instid0(VALU_DEP_4) | instskip(NEXT) | instid1(VALU_DEP_1)
	v_fmaak_f64 v[42:43], v[40:41], v[42:43], 0xbfb110e48b207f05
	v_fmaak_f64 v[42:43], v[40:41], v[42:43], 0x3fb3b13657b87036
	s_delay_alu instid0(VALU_DEP_1) | instskip(NEXT) | instid1(VALU_DEP_1)
	v_fmaak_f64 v[42:43], v[40:41], v[42:43], 0xbfb745d119378e4f
	v_fmaak_f64 v[42:43], v[40:41], v[42:43], 0x3fbc71c717e1913c
	v_add_f64_e32 v[52:53], v[46:47], v[38:39]
	s_delay_alu instid0(VALU_DEP_2) | instskip(NEXT) | instid1(VALU_DEP_1)
	v_fmaak_f64 v[42:43], v[40:41], v[42:43], 0xbfc2492492376b7d
	v_fmaak_f64 v[42:43], v[40:41], v[42:43], 0x3fc99999999952cc
	s_delay_alu instid0(VALU_DEP_1) | instskip(NEXT) | instid1(VALU_DEP_1)
	v_fmaak_f64 v[42:43], v[40:41], v[42:43], 0xbfd5555555555523
	v_mul_f64_e32 v[40:41], v[40:41], v[42:43]
	v_add_f64_e64 v[42:43], v[48:49], -v[50:51]
	v_add_f64_e64 v[44:45], v[52:53], -v[46:47]
	s_delay_alu instid0(VALU_DEP_3) | instskip(NEXT) | instid1(VALU_DEP_3)
	v_fmac_f64_e32 v[34:35], v[34:35], v[40:41]
	v_add_f64_e32 v[10:11], v[10:11], v[42:43]
	s_delay_alu instid0(VALU_DEP_3) | instskip(NEXT) | instid1(VALU_DEP_3)
	v_add_f64_e64 v[38:39], v[38:39], -v[44:45]
	v_add_f64_e64 v[40:41], -v[34:35], s[24:25]
	s_delay_alu instid0(VALU_DEP_2) | instskip(NEXT) | instid1(VALU_DEP_2)
	v_add_f64_e32 v[10:11], v[10:11], v[38:39]
	v_dual_cndmask_b32 v35, v35, v41, s0 :: v_dual_cndmask_b32 v34, v34, v40, s0
                                        ; implicit-def: $vgpr40_vgpr41
	s_delay_alu instid0(VALU_DEP_1) | instskip(NEXT) | instid1(VALU_DEP_3)
	v_add_f64_e64 v[38:39], -v[34:35], s[26:27]
	v_add_f64_e32 v[10:11], v[52:53], v[10:11]
	s_delay_alu instid0(VALU_DEP_2) | instskip(SKIP_1) | instid1(VALU_DEP_3)
	v_dual_cndmask_b32 v34, v34, v38 :: v_dual_cndmask_b32 v15, v35, v39
	v_cmp_ngt_f64_e32 vcc_lo, -1.0, v[36:37]
	v_mul_f64_e32 v[10:11], 0.5, v[10:11]
                                        ; implicit-def: $vgpr38_vgpr39
	s_delay_alu instid0(VALU_DEP_3)
	v_dual_cndmask_b32 v21, v34, v21, s1 :: v_dual_cndmask_b32 v8, v15, v8, s1
	s_and_b32 s1, s2, s3
	s_delay_alu instid0(VALU_DEP_2) | instid1(SALU_CYCLE_1)
	v_cndmask_b32_e64 v34, 0, v10, s1
	v_cmp_neq_f64_e64 s1, -1.0, v[36:37]
	s_delay_alu instid0(VALU_DEP_4) | instskip(NEXT) | instid1(VALU_DEP_1)
	v_cndmask_b32_e64 v11, 0x7ff00000, v11, s3
	v_cndmask_b32_e32 v15, 0x7ff80000, v11, vcc_lo
	s_and_b32 vcc_lo, s6, s5
	v_dual_cndmask_b32 v11, v8, v14 :: v_dual_cndmask_b32 v10, v21, v12
	s_delay_alu instid0(VALU_DEP_2)
	v_cndmask_b32_e64 v35, 0xfff00000, v15, s1
.LBB197_236:                            ;   in Loop: Header=BB197_162 Depth=1
	s_and_not1_saveexec_b32 s41, s4
	s_cbranch_execz .LBB197_244
; %bb.237:                              ;   in Loop: Header=BB197_162 Depth=1
	v_mul_f64_e32 v[36:37], v[38:39], v[38:39]
                                        ; implicit-def: $vgpr34_vgpr35
                                        ; implicit-def: $vgpr10_vgpr11
	s_mov_b32 s1, exec_lo
	s_delay_alu instid0(VALU_DEP_1) | instskip(NEXT) | instid1(VALU_DEP_1)
	v_fmac_f64_e32 v[36:37], v[40:41], v[40:41]
	v_cmpx_ge_f64_e32 s[28:29], v[36:37]
	s_xor_b32 s3, exec_lo, s1
	s_cbranch_execz .LBB197_239
; %bb.238:                              ;   in Loop: Header=BB197_162 Depth=1
	v_frexp_mant_f64_e32 v[10:11], v[36:37]
	v_cmp_eq_f64_e64 s1, 0, v[16:17]
	v_cmp_neq_f64_e64 s2, 0, v[36:37]
	v_cmp_class_f64_e64 s4, v[16:17], 0x204
	v_cmp_class_f64_e64 s5, v[14:15], 0x204
	v_cmp_gt_f64_e32 vcc_lo, s[20:21], v[10:11]
	v_cndmask_b32_e64 v8, 0, 1, vcc_lo
	s_delay_alu instid0(VALU_DEP_1) | instskip(SKIP_1) | instid1(VALU_DEP_2)
	v_ldexp_f64 v[10:11], v[10:11], v8
	v_frexp_exp_i32_f64_e32 v8, v[36:37]
	v_add_f64_e32 v[34:35], 1.0, v[10:11]
	v_add_f64_e32 v[42:43], -1.0, v[10:11]
	s_delay_alu instid0(VALU_DEP_3) | instskip(NEXT) | instid1(VALU_DEP_3)
	v_subrev_co_ci_u32_e64 v8, null, 0, v8, vcc_lo
	v_rcp_f64_e32 v[38:39], v[34:35]
	v_add_f64_e32 v[44:45], -1.0, v[34:35]
	s_delay_alu instid0(VALU_DEP_1) | instskip(NEXT) | instid1(TRANS32_DEP_1)
	v_add_f64_e64 v[10:11], v[10:11], -v[44:45]
	v_fma_f64 v[40:41], -v[34:35], v[38:39], 1.0
	s_delay_alu instid0(VALU_DEP_1) | instskip(NEXT) | instid1(VALU_DEP_1)
	v_fmac_f64_e32 v[38:39], v[40:41], v[38:39]
	v_fma_f64 v[40:41], -v[34:35], v[38:39], 1.0
	s_delay_alu instid0(VALU_DEP_1) | instskip(NEXT) | instid1(VALU_DEP_1)
	v_fmac_f64_e32 v[38:39], v[40:41], v[38:39]
	v_mul_f64_e32 v[40:41], v[42:43], v[38:39]
	s_delay_alu instid0(VALU_DEP_1) | instskip(NEXT) | instid1(VALU_DEP_1)
	v_mul_f64_e32 v[46:47], v[34:35], v[40:41]
	v_fma_f64 v[34:35], v[40:41], v[34:35], -v[46:47]
	s_delay_alu instid0(VALU_DEP_1) | instskip(NEXT) | instid1(VALU_DEP_1)
	v_fmac_f64_e32 v[34:35], v[40:41], v[10:11]
	v_add_f64_e32 v[10:11], v[46:47], v[34:35]
	s_delay_alu instid0(VALU_DEP_1) | instskip(SKIP_1) | instid1(VALU_DEP_2)
	v_add_f64_e64 v[44:45], v[42:43], -v[10:11]
	v_add_f64_e64 v[46:47], v[10:11], -v[46:47]
	;; [unrolled: 1-line block ×3, first 2 shown]
	s_delay_alu instid0(VALU_DEP_2) | instskip(NEXT) | instid1(VALU_DEP_2)
	v_add_f64_e64 v[34:35], v[46:47], -v[34:35]
	v_add_f64_e64 v[10:11], v[42:43], -v[10:11]
	v_max_num_f64_e64 v[42:43], |v[14:15]|, |v[14:15]|
	s_delay_alu instid0(VALU_DEP_2) | instskip(SKIP_1) | instid1(VALU_DEP_2)
	v_add_f64_e32 v[10:11], v[34:35], v[10:11]
	v_max_num_f64_e64 v[34:35], |v[16:17]|, |v[16:17]|
	v_add_f64_e32 v[10:11], v[44:45], v[10:11]
	s_delay_alu instid0(VALU_DEP_1) | instskip(NEXT) | instid1(VALU_DEP_3)
	v_mul_f64_e32 v[10:11], v[38:39], v[10:11]
	v_max_num_f64_e32 v[38:39], v[42:43], v[34:35]
	v_min_num_f64_e32 v[34:35], v[42:43], v[34:35]
	s_delay_alu instid0(VALU_DEP_3) | instskip(NEXT) | instid1(VALU_DEP_2)
	v_add_f64_e32 v[42:43], v[40:41], v[10:11]
	v_div_scale_f64 v[44:45], null, v[38:39], v[38:39], v[34:35]
	s_delay_alu instid0(VALU_DEP_2) | instskip(SKIP_1) | instid1(VALU_DEP_3)
	v_mul_f64_e32 v[46:47], v[42:43], v[42:43]
	v_add_f64_e64 v[40:41], v[42:43], -v[40:41]
	v_rcp_f64_e32 v[48:49], v[44:45]
	s_delay_alu instid0(VALU_DEP_2) | instskip(SKIP_1) | instid1(VALU_DEP_3)
	v_fmamk_f64 v[50:51], v[46:47], 0x3fc3ab76bf559e2b, v[22:23]
	v_mul_f64_e32 v[52:53], v[42:43], v[46:47]
	v_add_f64_e64 v[10:11], v[10:11], -v[40:41]
	s_delay_alu instid0(VALU_DEP_3) | instskip(NEXT) | instid1(TRANS32_DEP_1)
	v_fmaak_f64 v[50:51], v[46:47], v[50:51], 0x3fc7474dd7f4df2e
	v_fma_f64 v[54:55], -v[44:45], v[48:49], 1.0
	s_delay_alu instid0(VALU_DEP_2) | instskip(NEXT) | instid1(VALU_DEP_1)
	v_fmaak_f64 v[50:51], v[46:47], v[50:51], 0x3fcc71c016291751
	v_fmaak_f64 v[50:51], v[46:47], v[50:51], 0x3fd249249b27acf1
	s_delay_alu instid0(VALU_DEP_1) | instskip(SKIP_1) | instid1(VALU_DEP_2)
	v_fmaak_f64 v[50:51], v[46:47], v[50:51], 0x3fd99999998ef7b6
	v_ldexp_f64 v[10:11], v[10:11], 1
	v_fmaak_f64 v[46:47], v[46:47], v[50:51], 0x3fe5555555555780
	v_ldexp_f64 v[50:51], v[42:43], 1
	v_fmac_f64_e32 v[48:49], v[48:49], v[54:55]
	s_delay_alu instid0(VALU_DEP_3) | instskip(SKIP_2) | instid1(VALU_DEP_1)
	v_mul_f64_e32 v[46:47], v[52:53], v[46:47]
	v_cvt_f64_i32_e32 v[52:53], v8
	v_ashrrev_i32_e32 v8, 31, v15
	v_and_b32_e32 v21, 0x54442d18, v8
	v_and_b32_e32 v8, 0x400921fb, v8
	v_fma_f64 v[54:55], -v[44:45], v[48:49], 1.0
	v_add_f64_e32 v[42:43], v[50:51], v[46:47]
	v_mul_f64_e32 v[56:57], 0x3fe62e42fefa39ef, v[52:53]
	s_delay_alu instid0(VALU_DEP_3) | instskip(NEXT) | instid1(VALU_DEP_3)
	v_fmac_f64_e32 v[48:49], v[48:49], v[54:55]
	v_add_f64_e64 v[40:41], v[42:43], -v[50:51]
	v_div_scale_f64 v[50:51], vcc_lo, v[34:35], v[38:39], v[34:35]
	s_delay_alu instid0(VALU_DEP_4) | instskip(NEXT) | instid1(VALU_DEP_3)
	v_fma_f64 v[54:55], v[52:53], s[22:23], -v[56:57]
	v_add_f64_e64 v[40:41], v[46:47], -v[40:41]
	s_delay_alu instid0(VALU_DEP_3) | instskip(NEXT) | instid1(VALU_DEP_3)
	v_mul_f64_e32 v[46:47], v[50:51], v[48:49]
	v_fmac_f64_e32 v[54:55], 0x3c7abc9e3b39803f, v[52:53]
	s_delay_alu instid0(VALU_DEP_3) | instskip(NEXT) | instid1(VALU_DEP_3)
	v_add_f64_e32 v[10:11], v[10:11], v[40:41]
	v_fma_f64 v[40:41], -v[44:45], v[46:47], v[50:51]
	s_delay_alu instid0(VALU_DEP_3) | instskip(NEXT) | instid1(VALU_DEP_3)
	v_add_f64_e32 v[44:45], v[56:57], v[54:55]
	v_add_f64_e32 v[50:51], v[42:43], v[10:11]
	s_delay_alu instid0(VALU_DEP_3) | instskip(SKIP_1) | instid1(VALU_DEP_4)
	v_div_fmas_f64 v[40:41], v[40:41], v[48:49], v[46:47]
	v_cmp_gt_i32_e32 vcc_lo, 0, v15
	v_add_f64_e64 v[48:49], v[44:45], -v[56:57]
	v_cndmask_b32_e32 v12, 0x54442d18, v60, vcc_lo
	v_add_f64_e32 v[46:47], v[44:45], v[50:51]
	v_div_fixup_f64 v[34:35], v[40:41], v[38:39], v[34:35]
	v_add_f64_e64 v[42:43], v[50:51], -v[42:43]
	v_add_f64_e64 v[48:49], v[54:55], -v[48:49]
	s_delay_alu instid0(VALU_DEP_4) | instskip(NEXT) | instid1(VALU_DEP_4)
	v_add_f64_e64 v[38:39], v[46:47], -v[44:45]
	v_mul_f64_e32 v[40:41], v[34:35], v[34:35]
	s_delay_alu instid0(VALU_DEP_4) | instskip(NEXT) | instid1(VALU_DEP_3)
	v_add_f64_e64 v[10:11], v[10:11], -v[42:43]
	v_add_f64_e64 v[52:53], v[46:47], -v[38:39]
	s_delay_alu instid0(VALU_DEP_3) | instskip(SKIP_1) | instid1(VALU_DEP_4)
	v_fmamk_f64 v[56:57], v[40:41], 0x3eeba404b5e68a13, v[24:25]
	v_add_f64_e64 v[38:39], v[50:51], -v[38:39]
	v_add_f64_e32 v[50:51], v[48:49], v[10:11]
	s_delay_alu instid0(VALU_DEP_3) | instskip(NEXT) | instid1(VALU_DEP_1)
	v_fmaak_f64 v[56:57], v[40:41], v[56:57], 0x3f4b2bb069efb384
	v_fmaak_f64 v[56:57], v[40:41], v[56:57], 0xbf67952daf56de9b
	v_add_f64_e64 v[42:43], v[44:45], -v[52:53]
	s_delay_alu instid0(VALU_DEP_2) | instskip(NEXT) | instid1(VALU_DEP_1)
	v_fmaak_f64 v[44:45], v[40:41], v[56:57], 0x3f7d6d43a595c56f
	v_fmaak_f64 v[44:45], v[40:41], v[44:45], 0xbf8c6ea4a57d9582
	s_delay_alu instid0(VALU_DEP_1) | instskip(NEXT) | instid1(VALU_DEP_1)
	v_fmaak_f64 v[44:45], v[40:41], v[44:45], 0x3f967e295f08b19f
	v_fmaak_f64 v[44:45], v[40:41], v[44:45], 0xbf9e9ae6fc27006a
	s_delay_alu instid0(VALU_DEP_1) | instskip(SKIP_1) | instid1(VALU_DEP_2)
	v_fmaak_f64 v[44:45], v[40:41], v[44:45], 0x3fa2c15b5711927a
	v_add_f64_e32 v[38:39], v[38:39], v[42:43]
	v_fmaak_f64 v[42:43], v[40:41], v[44:45], 0xbfa59976e82d3ff0
	v_add_f64_e64 v[44:45], v[50:51], -v[48:49]
	s_delay_alu instid0(VALU_DEP_2) | instskip(NEXT) | instid1(VALU_DEP_1)
	v_fmaak_f64 v[42:43], v[40:41], v[42:43], 0x3fa82d5d6ef28734
	v_fmaak_f64 v[42:43], v[40:41], v[42:43], 0xbfaae5ce6a214619
	s_delay_alu instid0(VALU_DEP_1) | instskip(NEXT) | instid1(VALU_DEP_1)
	v_fmaak_f64 v[42:43], v[40:41], v[42:43], 0x3fae1bb48427b883
	v_fmaak_f64 v[42:43], v[40:41], v[42:43], 0xbfb110e48b207f05
	v_add_f64_e32 v[38:39], v[50:51], v[38:39]
	v_add_f64_e64 v[50:51], v[50:51], -v[44:45]
	v_add_f64_e64 v[10:11], v[10:11], -v[44:45]
	s_delay_alu instid0(VALU_DEP_4) | instskip(NEXT) | instid1(VALU_DEP_1)
	v_fmaak_f64 v[42:43], v[40:41], v[42:43], 0x3fb3b13657b87036
	v_fmaak_f64 v[42:43], v[40:41], v[42:43], 0xbfb745d119378e4f
	s_delay_alu instid0(VALU_DEP_1) | instskip(NEXT) | instid1(VALU_DEP_1)
	v_fmaak_f64 v[42:43], v[40:41], v[42:43], 0x3fbc71c717e1913c
	v_fmaak_f64 v[42:43], v[40:41], v[42:43], 0xbfc2492492376b7d
	v_add_f64_e32 v[52:53], v[46:47], v[38:39]
	s_delay_alu instid0(VALU_DEP_2) | instskip(NEXT) | instid1(VALU_DEP_1)
	v_fmaak_f64 v[42:43], v[40:41], v[42:43], 0x3fc99999999952cc
	v_fmaak_f64 v[42:43], v[40:41], v[42:43], 0xbfd5555555555523
	s_delay_alu instid0(VALU_DEP_1) | instskip(SKIP_2) | instid1(VALU_DEP_3)
	v_mul_f64_e32 v[40:41], v[40:41], v[42:43]
	v_add_f64_e64 v[42:43], v[48:49], -v[50:51]
	v_add_f64_e64 v[44:45], v[52:53], -v[46:47]
	v_fmac_f64_e32 v[34:35], v[34:35], v[40:41]
	s_delay_alu instid0(VALU_DEP_3) | instskip(NEXT) | instid1(VALU_DEP_3)
	v_add_f64_e32 v[10:11], v[10:11], v[42:43]
	v_add_f64_e64 v[38:39], v[38:39], -v[44:45]
	s_delay_alu instid0(VALU_DEP_3) | instskip(NEXT) | instid1(VALU_DEP_2)
	v_add_f64_e64 v[40:41], -v[34:35], s[24:25]
	v_add_f64_e32 v[10:11], v[10:11], v[38:39]
	s_delay_alu instid0(VALU_DEP_2) | instskip(NEXT) | instid1(VALU_DEP_1)
	v_dual_cndmask_b32 v35, v35, v41, s0 :: v_dual_cndmask_b32 v34, v34, v40, s0
                                        ; implicit-def: $vgpr40_vgpr41
	v_add_f64_e64 v[38:39], -v[34:35], s[26:27]
	s_delay_alu instid0(VALU_DEP_3) | instskip(NEXT) | instid1(VALU_DEP_2)
	v_add_f64_e32 v[10:11], v[52:53], v[10:11]
	v_cndmask_b32_e32 v34, v34, v38, vcc_lo
	s_delay_alu instid0(VALU_DEP_1) | instskip(SKIP_3) | instid1(VALU_DEP_2)
	v_dual_mul_f64 v[14:15], 0.5, v[10:11] :: v_dual_cndmask_b32 v21, v34, v21, s1
	v_cndmask_b32_e32 v10, 0x3fe921fb, v61, vcc_lo
	v_cndmask_b32_e32 v11, v35, v39, vcc_lo
	s_and_b32 vcc_lo, s5, s4
                                        ; implicit-def: $vgpr38_vgpr39
	v_bfi_b32 v10, 0x7fffffff, v10, v17
	s_delay_alu instid0(VALU_DEP_2) | instskip(NEXT) | instid1(VALU_DEP_1)
	v_cndmask_b32_e64 v8, v11, v8, s1
	v_dual_cndmask_b32 v11, v8, v10 :: v_dual_cndmask_b32 v10, v21, v12
	v_cndmask_b32_e64 v35, 0xfff00000, v15, s2
	v_cndmask_b32_e64 v34, 0, v14, s2
.LBB197_239:                            ;   in Loop: Header=BB197_162 Depth=1
	s_and_not1_saveexec_b32 s42, s3
	s_cbranch_execz .LBB197_243
; %bb.240:                              ;   in Loop: Header=BB197_162 Depth=1
	v_and_b32_e32 v21, 0x7ffffff8, v41
	v_and_b32_e32 v35, 0x7ffffff8, v39
	v_mov_b32_e32 v34, v20
	s_mov_b32 s43, 0
	v_mov_b32_e32 v42, v20
	v_add_f64_e64 v[10:11], v[40:41], -v[20:21]
	s_delay_alu instid0(VALU_DEP_3)
	v_dual_add_f64 v[36:37], v[38:39], -v[34:35] :: v_dual_mov_b32 v40, v20
	v_add_f64_e32 v[44:45], v[20:21], v[20:21]
	v_mul_f64_e32 v[38:39], v[34:35], v[34:35]
	v_add_f64_e32 v[52:53], v[34:35], v[34:35]
	v_and_b32_e32 v41, -8, v11
	v_and_b32_e32 v43, -8, v37
	s_delay_alu instid0(VALU_DEP_2) | instskip(SKIP_1) | instid1(VALU_DEP_3)
	v_add_f64_e64 v[54:55], v[10:11], -v[40:41]
	v_add_f64_e32 v[58:59], v[40:41], v[40:41]
	v_add_f64_e64 v[56:57], v[36:37], -v[42:43]
	v_add_f64_e32 v[62:63], v[42:43], v[42:43]
	v_mul_f64_e32 v[10:11], v[20:21], v[20:21]
	v_mul_f64_e32 v[50:51], v[44:45], v[40:41]
	;; [unrolled: 1-line block ×11, first 2 shown]
.LBB197_241:                            ;   Parent Loop BB197_162 Depth=1
                                        ; =>  This Inner Loop Header: Depth=2
	v_cmp_nlt_f64_e32 vcc_lo, v[10:11], v[38:39]
	v_dual_cndmask_b32 v57, v11, v39 :: v_dual_cndmask_b32 v56, v10, v38
	v_dual_cndmask_b32 v11, v39, v11 :: v_dual_cndmask_b32 v10, v38, v10
	s_delay_alu instid0(VALU_DEP_2) | instskip(NEXT) | instid1(VALU_DEP_1)
	v_cmp_nlt_f64_e64 s1, v[56:57], v[50:51]
	v_dual_cndmask_b32 v59, v57, v51, s1 :: v_dual_cndmask_b32 v58, v56, v50, s1
	v_dual_cndmask_b32 v39, v51, v57, s1 :: v_dual_cndmask_b32 v38, v50, v56, s1
	s_and_b32 s1, vcc_lo, s1
	s_delay_alu instid0(VALU_DEP_2) | instskip(NEXT) | instid1(VALU_DEP_1)
	v_cmp_nlt_f64_e64 s2, v[58:59], v[36:37]
	v_dual_cndmask_b32 v63, v59, v37, s2 :: v_dual_cndmask_b32 v62, v58, v36, s2
	v_dual_cndmask_b32 v51, v37, v59, s2 :: v_dual_cndmask_b32 v50, v36, v58, s2
	s_delay_alu instid0(VALU_DEP_2) | instskip(NEXT) | instid1(VALU_DEP_1)
	v_cmp_nlt_f64_e64 s3, v[62:63], v[48:49]
	v_dual_cndmask_b32 v65, v63, v49, s3 :: v_dual_cndmask_b32 v64, v62, v48, s3
	v_dual_cndmask_b32 v37, v49, v63, s3 :: v_dual_cndmask_b32 v36, v48, v62, s3
	s_and_b32 s2, s2, s3
	s_delay_alu instid0(VALU_DEP_2) | instskip(NEXT) | instid1(VALU_DEP_1)
	v_cmp_nlt_f64_e64 s4, v[64:65], v[34:35]
	v_dual_cndmask_b32 v67, v65, v35, s4 :: v_dual_cndmask_b32 v66, v64, v34, s4
	v_dual_cndmask_b32 v49, v35, v65, s4 :: v_dual_cndmask_b32 v48, v34, v64, s4
	s_delay_alu instid0(VALU_DEP_2) | instskip(NEXT) | instid1(VALU_DEP_1)
	v_cmp_nlt_f64_e64 s5, v[66:67], v[46:47]
	v_dual_cndmask_b32 v69, v67, v47, s5 :: v_dual_cndmask_b32 v68, v66, v46, s5
	s_and_b32 s3, s4, s5
	v_dual_cndmask_b32 v35, v47, v67, s5 :: v_dual_cndmask_b32 v34, v46, v66, s5
	s_delay_alu instid0(VALU_DEP_2) | instskip(NEXT) | instid1(VALU_DEP_1)
	v_cmp_nlt_f64_e64 s6, v[68:69], v[44:45]
	v_dual_cndmask_b32 v71, v69, v45, s6 :: v_dual_cndmask_b32 v70, v68, v44, s6
	s_and_b32 s3, s3, s6
	;; [unrolled: 5-line block ×6, first 2 shown]
	v_dual_cndmask_b32 v53, v55, v77, s10 :: v_dual_cndmask_b32 v52, v54, v76, s10
	s_and_b32 s2, s3, s2
	s_delay_alu instid0(VALU_DEP_2) | instskip(SKIP_1) | instid1(SALU_CYCLE_1)
	v_mov_b64_e32 v[54:55], v[56:57]
	s_and_b32 s1, s2, s1
	s_and_b32 s1, exec_lo, s1
	s_delay_alu instid0(SALU_CYCLE_1) | instskip(NEXT) | instid1(SALU_CYCLE_1)
	s_or_b32 s43, s1, s43
	s_and_not1_b32 exec_lo, exec_lo, s43
	s_cbranch_execnz .LBB197_241
; %bb.242:                              ;   in Loop: Header=BB197_162 Depth=1
	s_or_b32 exec_lo, exec_lo, s43
	v_add_f64_e32 v[10:11], -1.0, v[10:11]
	v_cmp_eq_f64_e64 s1, 0, v[16:17]
	v_cmp_class_f64_e64 s5, v[14:15], 0x204
	v_cmp_class_f64_e64 s4, v[16:17], 0x204
	s_delay_alu instid0(VALU_DEP_4) | instskip(NEXT) | instid1(VALU_DEP_1)
	v_add_f64_e32 v[10:11], v[10:11], v[38:39]
	v_add_f64_e32 v[10:11], v[10:11], v[50:51]
	s_delay_alu instid0(VALU_DEP_1) | instskip(NEXT) | instid1(VALU_DEP_1)
	v_add_f64_e32 v[10:11], v[10:11], v[36:37]
	v_add_f64_e32 v[10:11], v[10:11], v[48:49]
	s_delay_alu instid0(VALU_DEP_1) | instskip(NEXT) | instid1(VALU_DEP_1)
	;; [unrolled: 3-line block ×5, first 2 shown]
	v_add_f64_e32 v[36:37], v[56:57], v[10:11]
	v_add_f64_e32 v[10:11], 1.0, v[36:37]
	s_delay_alu instid0(VALU_DEP_1) | instskip(SKIP_2) | instid1(VALU_DEP_3)
	v_frexp_mant_f64_e32 v[34:35], v[10:11]
	v_frexp_exp_i32_f64_e32 v8, v[10:11]
	v_add_f64_e32 v[38:39], -1.0, v[10:11]
	v_cmp_gt_f64_e32 vcc_lo, s[20:21], v[34:35]
	s_delay_alu instid0(VALU_DEP_2) | instskip(SKIP_2) | instid1(VALU_DEP_1)
	v_add_f64_e64 v[34:35], v[38:39], -v[10:11]
	v_add_f64_e64 v[38:39], v[36:37], -v[38:39]
	v_subrev_co_ci_u32_e64 v8, null, 0, v8, vcc_lo
	v_dual_add_f64 v[34:35], 1.0, v[34:35] :: v_dual_sub_nc_u32 v12, 0, v8
	s_delay_alu instid0(VALU_DEP_1) | instskip(NEXT) | instid1(VALU_DEP_2)
	v_ldexp_f64 v[10:11], v[10:11], v12
	v_add_f64_e32 v[34:35], v[38:39], v[34:35]
	s_delay_alu instid0(VALU_DEP_2) | instskip(SKIP_1) | instid1(VALU_DEP_3)
	v_add_f64_e32 v[40:41], 1.0, v[10:11]
	v_add_f64_e32 v[46:47], -1.0, v[10:11]
	v_ldexp_f64 v[34:35], v[34:35], v12
	s_delay_alu instid0(VALU_DEP_3) | instskip(NEXT) | instid1(VALU_DEP_3)
	v_add_f64_e32 v[38:39], -1.0, v[40:41]
	v_add_f64_e32 v[48:49], 1.0, v[46:47]
	s_delay_alu instid0(VALU_DEP_2) | instskip(NEXT) | instid1(VALU_DEP_2)
	v_add_f64_e64 v[38:39], v[10:11], -v[38:39]
	v_add_f64_e64 v[10:11], v[10:11], -v[48:49]
	s_delay_alu instid0(VALU_DEP_2) | instskip(NEXT) | instid1(VALU_DEP_2)
	v_add_f64_e32 v[38:39], v[34:35], v[38:39]
	v_add_f64_e32 v[10:11], v[34:35], v[10:11]
	s_delay_alu instid0(VALU_DEP_2) | instskip(NEXT) | instid1(VALU_DEP_2)
	v_add_f64_e32 v[42:43], v[40:41], v[38:39]
	v_add_f64_e32 v[48:49], v[46:47], v[10:11]
	s_delay_alu instid0(VALU_DEP_2) | instskip(SKIP_1) | instid1(VALU_DEP_2)
	v_rcp_f64_e32 v[44:45], v[42:43]
	v_add_f64_e64 v[40:41], v[42:43], -v[40:41]
	v_add_f64_e64 v[46:47], v[48:49], -v[46:47]
	s_delay_alu instid0(VALU_DEP_2) | instskip(NEXT) | instid1(VALU_DEP_2)
	v_add_f64_e64 v[38:39], v[38:39], -v[40:41]
	v_add_f64_e64 v[10:11], v[10:11], -v[46:47]
	s_delay_alu instid0(TRANS32_DEP_1) | instskip(NEXT) | instid1(VALU_DEP_1)
	v_fma_f64 v[50:51], -v[42:43], v[44:45], 1.0
	v_fmac_f64_e32 v[44:45], v[50:51], v[44:45]
	s_delay_alu instid0(VALU_DEP_1) | instskip(NEXT) | instid1(VALU_DEP_1)
	v_fma_f64 v[34:35], -v[42:43], v[44:45], 1.0
	v_fmac_f64_e32 v[44:45], v[34:35], v[44:45]
	s_delay_alu instid0(VALU_DEP_1) | instskip(NEXT) | instid1(VALU_DEP_1)
	v_mul_f64_e32 v[34:35], v[48:49], v[44:45]
	v_mul_f64_e32 v[50:51], v[42:43], v[34:35]
	s_delay_alu instid0(VALU_DEP_1) | instskip(NEXT) | instid1(VALU_DEP_1)
	v_fma_f64 v[40:41], v[34:35], v[42:43], -v[50:51]
	v_fmac_f64_e32 v[40:41], v[34:35], v[38:39]
	s_delay_alu instid0(VALU_DEP_1) | instskip(NEXT) | instid1(VALU_DEP_1)
	v_add_f64_e32 v[52:53], v[50:51], v[40:41]
	v_add_f64_e64 v[54:55], v[48:49], -v[52:53]
	v_add_f64_e64 v[46:47], v[52:53], -v[50:51]
	s_delay_alu instid0(VALU_DEP_2) | instskip(NEXT) | instid1(VALU_DEP_2)
	v_add_f64_e64 v[48:49], v[48:49], -v[54:55]
	v_add_f64_e64 v[40:41], v[46:47], -v[40:41]
	s_delay_alu instid0(VALU_DEP_2) | instskip(NEXT) | instid1(VALU_DEP_1)
	v_add_f64_e64 v[48:49], v[48:49], -v[52:53]
	v_add_f64_e32 v[10:11], v[10:11], v[48:49]
	s_delay_alu instid0(VALU_DEP_1) | instskip(NEXT) | instid1(VALU_DEP_1)
	v_add_f64_e32 v[10:11], v[40:41], v[10:11]
	v_add_f64_e32 v[40:41], v[54:55], v[10:11]
	s_delay_alu instid0(VALU_DEP_1) | instskip(SKIP_1) | instid1(VALU_DEP_2)
	v_mul_f64_e32 v[46:47], v[44:45], v[40:41]
	v_add_f64_e64 v[52:53], v[54:55], -v[40:41]
	v_mul_f64_e32 v[48:49], v[42:43], v[46:47]
	s_delay_alu instid0(VALU_DEP_2) | instskip(NEXT) | instid1(VALU_DEP_2)
	v_add_f64_e32 v[10:11], v[10:11], v[52:53]
	v_fma_f64 v[42:43], v[46:47], v[42:43], -v[48:49]
	s_delay_alu instid0(VALU_DEP_1) | instskip(NEXT) | instid1(VALU_DEP_1)
	v_fmac_f64_e32 v[42:43], v[46:47], v[38:39]
	v_add_f64_e32 v[38:39], v[48:49], v[42:43]
	s_delay_alu instid0(VALU_DEP_1) | instskip(SKIP_1) | instid1(VALU_DEP_2)
	v_add_f64_e64 v[50:51], v[40:41], -v[38:39]
	v_add_f64_e64 v[48:49], v[38:39], -v[48:49]
	;; [unrolled: 1-line block ×3, first 2 shown]
	s_delay_alu instid0(VALU_DEP_1) | instskip(NEXT) | instid1(VALU_DEP_3)
	v_add_f64_e64 v[38:39], v[40:41], -v[38:39]
	v_add_f64_e64 v[40:41], v[48:49], -v[42:43]
	v_max_num_f64_e64 v[42:43], |v[14:15]|, |v[14:15]|
	s_delay_alu instid0(VALU_DEP_3) | instskip(SKIP_1) | instid1(VALU_DEP_2)
	v_add_f64_e32 v[10:11], v[10:11], v[38:39]
	v_add_f64_e32 v[38:39], v[34:35], v[46:47]
	;; [unrolled: 1-line block ×3, first 2 shown]
	s_delay_alu instid0(VALU_DEP_2) | instskip(SKIP_1) | instid1(VALU_DEP_3)
	v_add_f64_e64 v[34:35], v[38:39], -v[34:35]
	v_max_num_f64_e64 v[40:41], |v[16:17]|, |v[16:17]|
	v_add_f64_e32 v[10:11], v[50:51], v[10:11]
	s_delay_alu instid0(VALU_DEP_3) | instskip(NEXT) | instid1(VALU_DEP_2)
	v_add_f64_e64 v[34:35], v[46:47], -v[34:35]
	v_mul_f64_e32 v[10:11], v[44:45], v[10:11]
	s_delay_alu instid0(VALU_DEP_1) | instskip(SKIP_2) | instid1(VALU_DEP_3)
	v_add_f64_e32 v[10:11], v[34:35], v[10:11]
	v_max_num_f64_e32 v[34:35], v[42:43], v[40:41]
	v_min_num_f64_e32 v[40:41], v[42:43], v[40:41]
	v_add_f64_e32 v[42:43], v[38:39], v[10:11]
	s_delay_alu instid0(VALU_DEP_2) | instskip(NEXT) | instid1(VALU_DEP_2)
	v_div_scale_f64 v[44:45], null, v[34:35], v[34:35], v[40:41]
	v_mul_f64_e32 v[46:47], v[42:43], v[42:43]
	v_add_f64_e64 v[38:39], v[42:43], -v[38:39]
	s_delay_alu instid0(VALU_DEP_3) | instskip(NEXT) | instid1(VALU_DEP_2)
	v_rcp_f64_e32 v[48:49], v[44:45]
	v_fmamk_f64 v[50:51], v[46:47], 0x3fc3ab76bf559e2b, v[22:23]
	v_mul_f64_e32 v[52:53], v[42:43], v[46:47]
	s_delay_alu instid0(VALU_DEP_3) | instskip(NEXT) | instid1(VALU_DEP_3)
	v_add_f64_e64 v[10:11], v[10:11], -v[38:39]
	v_fmaak_f64 v[50:51], v[46:47], v[50:51], 0x3fc7474dd7f4df2e
	s_delay_alu instid0(TRANS32_DEP_1) | instskip(NEXT) | instid1(VALU_DEP_2)
	v_fma_f64 v[54:55], -v[44:45], v[48:49], 1.0
	v_fmaak_f64 v[50:51], v[46:47], v[50:51], 0x3fcc71c016291751
	s_delay_alu instid0(VALU_DEP_1) | instskip(NEXT) | instid1(VALU_DEP_1)
	v_fmaak_f64 v[50:51], v[46:47], v[50:51], 0x3fd249249b27acf1
	v_fmaak_f64 v[50:51], v[46:47], v[50:51], 0x3fd99999998ef7b6
	v_ldexp_f64 v[10:11], v[10:11], 1
	s_delay_alu instid0(VALU_DEP_2) | instskip(SKIP_2) | instid1(VALU_DEP_3)
	v_fmaak_f64 v[46:47], v[46:47], v[50:51], 0x3fe5555555555780
	v_ldexp_f64 v[50:51], v[42:43], 1
	v_fmac_f64_e32 v[48:49], v[48:49], v[54:55]
	v_mul_f64_e32 v[46:47], v[52:53], v[46:47]
	v_cvt_f64_i32_e32 v[52:53], v8
	v_ashrrev_i32_e32 v8, 31, v15
	s_delay_alu instid0(VALU_DEP_1) | instskip(SKIP_4) | instid1(VALU_DEP_3)
	v_and_b32_e32 v21, 0x54442d18, v8
	v_and_b32_e32 v8, 0x400921fb, v8
	v_fma_f64 v[54:55], -v[44:45], v[48:49], 1.0
	v_add_f64_e32 v[42:43], v[50:51], v[46:47]
	v_mul_f64_e32 v[56:57], 0x3fe62e42fefa39ef, v[52:53]
	v_fmac_f64_e32 v[48:49], v[48:49], v[54:55]
	s_delay_alu instid0(VALU_DEP_3) | instskip(SKIP_1) | instid1(VALU_DEP_4)
	v_add_f64_e64 v[38:39], v[42:43], -v[50:51]
	v_div_scale_f64 v[50:51], vcc_lo, v[40:41], v[34:35], v[40:41]
	v_fma_f64 v[54:55], v[52:53], s[22:23], -v[56:57]
	s_delay_alu instid0(VALU_DEP_3) | instskip(NEXT) | instid1(VALU_DEP_3)
	v_add_f64_e64 v[38:39], v[46:47], -v[38:39]
	v_mul_f64_e32 v[46:47], v[50:51], v[48:49]
	s_delay_alu instid0(VALU_DEP_3) | instskip(NEXT) | instid1(VALU_DEP_3)
	v_fmac_f64_e32 v[54:55], 0x3c7abc9e3b39803f, v[52:53]
	v_add_f64_e32 v[10:11], v[10:11], v[38:39]
	s_delay_alu instid0(VALU_DEP_3) | instskip(NEXT) | instid1(VALU_DEP_3)
	v_fma_f64 v[38:39], -v[44:45], v[46:47], v[50:51]
	v_add_f64_e32 v[44:45], v[56:57], v[54:55]
	s_delay_alu instid0(VALU_DEP_3) | instskip(NEXT) | instid1(VALU_DEP_3)
	v_add_f64_e32 v[50:51], v[42:43], v[10:11]
	v_div_fmas_f64 v[38:39], v[38:39], v[48:49], v[46:47]
	v_cmp_gt_i32_e32 vcc_lo, 0, v15
	s_delay_alu instid0(VALU_DEP_4) | instskip(SKIP_2) | instid1(VALU_DEP_1)
	v_add_f64_e64 v[48:49], v[44:45], -v[56:57]
	v_cndmask_b32_e32 v12, 0x54442d18, v60, vcc_lo
	v_cndmask_b32_e32 v14, 0x3fe921fb, v61, vcc_lo
	v_bfi_b32 v14, 0x7fffffff, v14, v17
	v_add_f64_e32 v[46:47], v[44:45], v[50:51]
	v_div_fixup_f64 v[34:35], v[38:39], v[34:35], v[40:41]
	v_add_f64_e64 v[42:43], v[50:51], -v[42:43]
	v_add_f64_e64 v[48:49], v[54:55], -v[48:49]
	s_delay_alu instid0(VALU_DEP_4) | instskip(NEXT) | instid1(VALU_DEP_4)
	v_add_f64_e64 v[38:39], v[46:47], -v[44:45]
	v_mul_f64_e32 v[40:41], v[34:35], v[34:35]
	s_delay_alu instid0(VALU_DEP_4) | instskip(NEXT) | instid1(VALU_DEP_3)
	v_add_f64_e64 v[10:11], v[10:11], -v[42:43]
	v_add_f64_e64 v[52:53], v[46:47], -v[38:39]
	s_delay_alu instid0(VALU_DEP_3) | instskip(SKIP_1) | instid1(VALU_DEP_4)
	v_fmamk_f64 v[56:57], v[40:41], 0x3eeba404b5e68a13, v[24:25]
	v_add_f64_e64 v[38:39], v[50:51], -v[38:39]
	v_add_f64_e32 v[50:51], v[48:49], v[10:11]
	s_delay_alu instid0(VALU_DEP_3) | instskip(SKIP_1) | instid1(VALU_DEP_2)
	v_fmaak_f64 v[56:57], v[40:41], v[56:57], 0x3f4b2bb069efb384
	v_add_f64_e64 v[42:43], v[44:45], -v[52:53]
	v_fmaak_f64 v[44:45], v[40:41], v[56:57], 0xbf67952daf56de9b
	s_delay_alu instid0(VALU_DEP_1) | instskip(NEXT) | instid1(VALU_DEP_1)
	v_fmaak_f64 v[44:45], v[40:41], v[44:45], 0x3f7d6d43a595c56f
	v_fmaak_f64 v[44:45], v[40:41], v[44:45], 0xbf8c6ea4a57d9582
	s_delay_alu instid0(VALU_DEP_1) | instskip(NEXT) | instid1(VALU_DEP_1)
	v_fmaak_f64 v[44:45], v[40:41], v[44:45], 0x3f967e295f08b19f
	v_fmaak_f64 v[44:45], v[40:41], v[44:45], 0xbf9e9ae6fc27006a
	v_add_f64_e32 v[38:39], v[38:39], v[42:43]
	s_delay_alu instid0(VALU_DEP_2) | instskip(SKIP_1) | instid1(VALU_DEP_2)
	v_fmaak_f64 v[42:43], v[40:41], v[44:45], 0x3fa2c15b5711927a
	v_add_f64_e64 v[44:45], v[50:51], -v[48:49]
	v_fmaak_f64 v[42:43], v[40:41], v[42:43], 0xbfa59976e82d3ff0
	s_delay_alu instid0(VALU_DEP_1) | instskip(NEXT) | instid1(VALU_DEP_1)
	v_fmaak_f64 v[42:43], v[40:41], v[42:43], 0x3fa82d5d6ef28734
	v_fmaak_f64 v[42:43], v[40:41], v[42:43], 0xbfaae5ce6a214619
	s_delay_alu instid0(VALU_DEP_1) | instskip(SKIP_3) | instid1(VALU_DEP_4)
	v_fmaak_f64 v[42:43], v[40:41], v[42:43], 0x3fae1bb48427b883
	v_add_f64_e32 v[38:39], v[50:51], v[38:39]
	v_add_f64_e64 v[50:51], v[50:51], -v[44:45]
	v_add_f64_e64 v[10:11], v[10:11], -v[44:45]
	v_fmaak_f64 v[42:43], v[40:41], v[42:43], 0xbfb110e48b207f05
	s_delay_alu instid0(VALU_DEP_1) | instskip(NEXT) | instid1(VALU_DEP_1)
	v_fmaak_f64 v[42:43], v[40:41], v[42:43], 0x3fb3b13657b87036
	v_fmaak_f64 v[42:43], v[40:41], v[42:43], 0xbfb745d119378e4f
	s_delay_alu instid0(VALU_DEP_1) | instskip(SKIP_1) | instid1(VALU_DEP_2)
	v_fmaak_f64 v[42:43], v[40:41], v[42:43], 0x3fbc71c717e1913c
	v_add_f64_e32 v[52:53], v[46:47], v[38:39]
	v_fmaak_f64 v[42:43], v[40:41], v[42:43], 0xbfc2492492376b7d
	s_delay_alu instid0(VALU_DEP_1) | instskip(NEXT) | instid1(VALU_DEP_1)
	v_fmaak_f64 v[42:43], v[40:41], v[42:43], 0x3fc99999999952cc
	v_fmaak_f64 v[42:43], v[40:41], v[42:43], 0xbfd5555555555523
	s_delay_alu instid0(VALU_DEP_1) | instskip(SKIP_2) | instid1(VALU_DEP_3)
	v_mul_f64_e32 v[40:41], v[40:41], v[42:43]
	v_add_f64_e64 v[42:43], v[48:49], -v[50:51]
	v_add_f64_e64 v[44:45], v[52:53], -v[46:47]
	v_fmac_f64_e32 v[34:35], v[34:35], v[40:41]
	s_delay_alu instid0(VALU_DEP_3) | instskip(NEXT) | instid1(VALU_DEP_3)
	v_add_f64_e32 v[10:11], v[10:11], v[42:43]
	v_add_f64_e64 v[38:39], v[38:39], -v[44:45]
	s_delay_alu instid0(VALU_DEP_3) | instskip(NEXT) | instid1(VALU_DEP_2)
	v_add_f64_e64 v[40:41], -v[34:35], s[24:25]
	v_add_f64_e32 v[10:11], v[10:11], v[38:39]
	s_delay_alu instid0(VALU_DEP_2) | instskip(SKIP_2) | instid1(VALU_DEP_3)
	v_dual_cndmask_b32 v35, v35, v41, s0 :: v_dual_cndmask_b32 v34, v34, v40, s0
	v_cmp_nge_f64_e64 s2, -1.0, v[36:37]
	v_cmp_neq_f64_e64 s3, 0x7ff00000, v[36:37]
	v_add_f64_e64 v[38:39], -v[34:35], s[26:27]
	v_add_f64_e32 v[10:11], v[52:53], v[10:11]
	s_delay_alu instid0(VALU_DEP_2) | instskip(SKIP_1) | instid1(VALU_DEP_2)
	v_dual_cndmask_b32 v34, v34, v38 :: v_dual_cndmask_b32 v15, v35, v39
	v_cmp_ngt_f64_e32 vcc_lo, -1.0, v[36:37]
	v_dual_mul_f64 v[10:11], 0.5, v[10:11] :: v_dual_cndmask_b32 v21, v34, v21, s1
	s_delay_alu instid0(VALU_DEP_3)
	v_cndmask_b32_e64 v8, v15, v8, s1
	s_and_b32 s1, s2, s3
	s_delay_alu instid0(VALU_DEP_2) | instid1(SALU_CYCLE_1)
	v_cndmask_b32_e64 v34, 0, v10, s1
	v_cmp_neq_f64_e64 s1, -1.0, v[36:37]
	s_delay_alu instid0(VALU_DEP_4) | instskip(NEXT) | instid1(VALU_DEP_1)
	v_cndmask_b32_e64 v11, 0x7ff00000, v11, s3
	v_cndmask_b32_e32 v15, 0x7ff80000, v11, vcc_lo
	s_and_b32 vcc_lo, s5, s4
	v_dual_cndmask_b32 v11, v8, v14 :: v_dual_cndmask_b32 v10, v21, v12
	s_delay_alu instid0(VALU_DEP_2)
	v_cndmask_b32_e64 v35, 0xfff00000, v15, s1
.LBB197_243:                            ;   in Loop: Header=BB197_162 Depth=1
	s_or_b32 exec_lo, exec_lo, s42
.LBB197_244:                            ;   in Loop: Header=BB197_162 Depth=1
	s_delay_alu instid0(SALU_CYCLE_1)
	s_or_b32 exec_lo, exec_lo, s41
.LBB197_245:                            ;   in Loop: Header=BB197_162 Depth=1
	s_and_not1_saveexec_b32 s3, s40
	s_cbranch_execz .LBB197_247
; %bb.246:                              ;   in Loop: Header=BB197_162 Depth=1
	v_max_num_f64_e64 v[10:11], |v[16:17]|, |v[16:17]|
	v_max_num_f64_e64 v[34:35], |v[14:15]|, |v[14:15]|
	v_cmp_class_f64_e64 s4, v[14:15], 0x204
	v_cmp_class_f64_e64 s5, v[16:17], 0x204
	v_cmp_eq_f64_e64 s2, 0, v[16:17]
	s_delay_alu instid0(VALU_DEP_4) | instskip(SKIP_2) | instid1(VALU_DEP_2)
	v_max_num_f64_e32 v[36:37], v[34:35], v[10:11]
	v_min_num_f64_e32 v[10:11], v[34:35], v[10:11]
	s_or_b32 s1, s4, s5
	v_frexp_exp_i32_f64_e32 v8, v[36:37]
	s_delay_alu instid0(VALU_DEP_1) | instskip(NEXT) | instid1(VALU_DEP_1)
	v_sub_nc_u32_e32 v12, 0, v8
	v_ldexp_f64 v[38:39], |v[16:17]|, v12
	v_ldexp_f64 v[40:41], |v[14:15]|, v12
	s_delay_alu instid0(VALU_DEP_2) | instskip(NEXT) | instid1(VALU_DEP_1)
	v_mul_f64_e32 v[38:39], v[38:39], v[38:39]
	v_fmac_f64_e32 v[38:39], v[40:41], v[40:41]
	s_delay_alu instid0(VALU_DEP_1) | instskip(SKIP_1) | instid1(TRANS32_DEP_1)
	v_rsq_f64_e32 v[40:41], v[38:39]
	v_cmp_eq_f64_e32 vcc_lo, 0, v[38:39]
	v_mul_f64_e32 v[42:43], v[38:39], v[40:41]
	v_mul_f64_e32 v[40:41], 0.5, v[40:41]
	s_delay_alu instid0(VALU_DEP_1) | instskip(NEXT) | instid1(VALU_DEP_1)
	v_fma_f64 v[44:45], -v[40:41], v[42:43], 0.5
	v_fmac_f64_e32 v[42:43], v[42:43], v[44:45]
	v_fmac_f64_e32 v[40:41], v[40:41], v[44:45]
	s_delay_alu instid0(VALU_DEP_2) | instskip(NEXT) | instid1(VALU_DEP_1)
	v_fma_f64 v[44:45], -v[42:43], v[42:43], v[38:39]
	v_fmac_f64_e32 v[42:43], v[44:45], v[40:41]
	s_delay_alu instid0(VALU_DEP_1) | instskip(NEXT) | instid1(VALU_DEP_1)
	v_dual_cndmask_b32 v39, v43, v39 :: v_dual_cndmask_b32 v38, v42, v38
	v_ldexp_f64 v[38:39], v[38:39], v8
	s_delay_alu instid0(VALU_DEP_1) | instskip(NEXT) | instid1(VALU_DEP_2)
	v_cndmask_b32_e64 v39, v39, 0x7ff00000, s1
	v_cndmask_b32_e64 v38, v38, 0, s1
	s_delay_alu instid0(VALU_DEP_1) | instskip(SKIP_1) | instid1(VALU_DEP_2)
	v_frexp_mant_f64_e32 v[40:41], v[38:39]
	v_cmp_class_f64_e64 s1, v[38:39], 0x204
	v_cmp_gt_f64_e32 vcc_lo, s[20:21], v[40:41]
	v_cndmask_b32_e64 v8, 0, 1, vcc_lo
	s_delay_alu instid0(VALU_DEP_1) | instskip(SKIP_1) | instid1(VALU_DEP_2)
	v_ldexp_f64 v[40:41], v[40:41], v8
	v_frexp_exp_i32_f64_e32 v8, v[38:39]
	v_add_f64_e32 v[42:43], 1.0, v[40:41]
	v_add_f64_e32 v[48:49], -1.0, v[40:41]
	s_delay_alu instid0(VALU_DEP_3) | instskip(SKIP_1) | instid1(VALU_DEP_4)
	v_subrev_co_ci_u32_e64 v8, null, 0, v8, vcc_lo
	v_div_scale_f64 v[56:57], vcc_lo, v[10:11], v[36:37], v[10:11]
	v_rcp_f64_e32 v[44:45], v[42:43]
	v_add_f64_e32 v[50:51], -1.0, v[42:43]
	s_delay_alu instid0(VALU_DEP_1) | instskip(NEXT) | instid1(TRANS32_DEP_1)
	v_add_f64_e64 v[40:41], v[40:41], -v[50:51]
	v_fma_f64 v[46:47], -v[42:43], v[44:45], 1.0
	s_delay_alu instid0(VALU_DEP_1) | instskip(NEXT) | instid1(VALU_DEP_1)
	v_fmac_f64_e32 v[44:45], v[46:47], v[44:45]
	v_fma_f64 v[46:47], -v[42:43], v[44:45], 1.0
	s_delay_alu instid0(VALU_DEP_1) | instskip(NEXT) | instid1(VALU_DEP_1)
	v_fmac_f64_e32 v[44:45], v[46:47], v[44:45]
	v_mul_f64_e32 v[46:47], v[48:49], v[44:45]
	s_delay_alu instid0(VALU_DEP_1) | instskip(NEXT) | instid1(VALU_DEP_1)
	v_mul_f64_e32 v[52:53], v[42:43], v[46:47]
	v_fma_f64 v[42:43], v[46:47], v[42:43], -v[52:53]
	s_delay_alu instid0(VALU_DEP_1) | instskip(NEXT) | instid1(VALU_DEP_1)
	v_fmac_f64_e32 v[42:43], v[46:47], v[40:41]
	v_add_f64_e32 v[40:41], v[52:53], v[42:43]
	s_delay_alu instid0(VALU_DEP_1) | instskip(SKIP_1) | instid1(VALU_DEP_2)
	v_add_f64_e64 v[50:51], v[48:49], -v[40:41]
	v_add_f64_e64 v[52:53], v[40:41], -v[52:53]
	;; [unrolled: 1-line block ×3, first 2 shown]
	s_delay_alu instid0(VALU_DEP_2) | instskip(NEXT) | instid1(VALU_DEP_2)
	v_add_f64_e64 v[42:43], v[52:53], -v[42:43]
	v_add_f64_e64 v[40:41], v[48:49], -v[40:41]
	s_delay_alu instid0(VALU_DEP_1) | instskip(NEXT) | instid1(VALU_DEP_1)
	v_add_f64_e32 v[40:41], v[42:43], v[40:41]
	v_add_f64_e32 v[40:41], v[50:51], v[40:41]
	s_delay_alu instid0(VALU_DEP_1) | instskip(SKIP_1) | instid1(VALU_DEP_2)
	v_mul_f64_e32 v[34:35], v[44:45], v[40:41]
	v_div_scale_f64 v[40:41], null, v[36:37], v[36:37], v[10:11]
	v_add_f64_e32 v[42:43], v[46:47], v[34:35]
	s_delay_alu instid0(VALU_DEP_2) | instskip(NEXT) | instid1(VALU_DEP_1)
	v_rcp_f64_e32 v[44:45], v[40:41]
	v_mul_f64_e32 v[48:49], v[42:43], v[42:43]
	s_delay_alu instid0(TRANS32_DEP_1) | instskip(NEXT) | instid1(VALU_DEP_2)
	v_fma_f64 v[52:53], -v[40:41], v[44:45], 1.0
	v_fmamk_f64 v[50:51], v[48:49], 0x3fc3ab76bf559e2b, v[22:23]
	v_mul_f64_e32 v[54:55], v[42:43], v[48:49]
	s_delay_alu instid0(VALU_DEP_3) | instskip(NEXT) | instid1(VALU_DEP_3)
	v_fmac_f64_e32 v[44:45], v[44:45], v[52:53]
	v_fmaak_f64 v[50:51], v[48:49], v[50:51], 0x3fc7474dd7f4df2e
	s_delay_alu instid0(VALU_DEP_1) | instskip(NEXT) | instid1(VALU_DEP_1)
	v_fmaak_f64 v[50:51], v[48:49], v[50:51], 0x3fcc71c016291751
	v_fmaak_f64 v[50:51], v[48:49], v[50:51], 0x3fd249249b27acf1
	s_delay_alu instid0(VALU_DEP_1) | instskip(NEXT) | instid1(VALU_DEP_1)
	v_fmaak_f64 v[50:51], v[48:49], v[50:51], 0x3fd99999998ef7b6
	v_fmaak_f64 v[48:49], v[48:49], v[50:51], 0x3fe5555555555780
	v_ldexp_f64 v[50:51], v[42:43], 1
	v_add_f64_e64 v[42:43], v[42:43], -v[46:47]
	v_fma_f64 v[52:53], -v[40:41], v[44:45], 1.0
	s_delay_alu instid0(VALU_DEP_4) | instskip(SKIP_2) | instid1(VALU_DEP_1)
	v_mul_f64_e32 v[48:49], v[54:55], v[48:49]
	v_cvt_f64_i32_e32 v[54:55], v8
	v_ashrrev_i32_e32 v8, 31, v15
	v_and_b32_e32 v21, 0x54442d18, v8
	v_and_b32_e32 v8, 0x400921fb, v8
	v_add_f64_e64 v[34:35], v[34:35], -v[42:43]
	v_fmac_f64_e32 v[44:45], v[44:45], v[52:53]
	v_add_f64_e32 v[46:47], v[50:51], v[48:49]
	v_mul_f64_e32 v[52:53], 0x3fe62e42fefa39ef, v[54:55]
	s_delay_alu instid0(VALU_DEP_4) | instskip(NEXT) | instid1(VALU_DEP_3)
	v_ldexp_f64 v[34:35], v[34:35], 1
	v_add_f64_e64 v[42:43], v[46:47], -v[50:51]
	v_mul_f64_e32 v[50:51], v[56:57], v[44:45]
	s_delay_alu instid0(VALU_DEP_4) | instskip(NEXT) | instid1(VALU_DEP_3)
	v_fma_f64 v[58:59], v[54:55], s[22:23], -v[52:53]
	v_add_f64_e64 v[42:43], v[48:49], -v[42:43]
	s_delay_alu instid0(VALU_DEP_3) | instskip(NEXT) | instid1(VALU_DEP_3)
	v_fma_f64 v[40:41], -v[40:41], v[50:51], v[56:57]
	v_fmac_f64_e32 v[58:59], 0x3c7abc9e3b39803f, v[54:55]
	s_delay_alu instid0(VALU_DEP_3) | instskip(NEXT) | instid1(VALU_DEP_3)
	v_add_f64_e32 v[34:35], v[34:35], v[42:43]
	v_div_fmas_f64 v[40:41], v[40:41], v[44:45], v[50:51]
	s_delay_alu instid0(VALU_DEP_3)
	v_add_f64_e32 v[42:43], v[52:53], v[58:59]
	v_cmp_gt_i32_e32 vcc_lo, 0, v15
	v_cndmask_b32_e32 v12, 0x54442d18, v60, vcc_lo
	v_add_f64_e32 v[44:45], v[46:47], v[34:35]
	v_div_fixup_f64 v[10:11], v[40:41], v[36:37], v[10:11]
	v_add_f64_e64 v[52:53], v[42:43], -v[52:53]
	s_delay_alu instid0(VALU_DEP_3) | instskip(NEXT) | instid1(VALU_DEP_3)
	v_add_f64_e32 v[36:37], v[42:43], v[44:45]
	v_mul_f64_e32 v[40:41], v[10:11], v[10:11]
	v_add_f64_e64 v[46:47], v[44:45], -v[46:47]
	s_delay_alu instid0(VALU_DEP_4) | instskip(NEXT) | instid1(VALU_DEP_4)
	v_add_f64_e64 v[52:53], v[58:59], -v[52:53]
	v_add_f64_e64 v[48:49], v[36:37], -v[42:43]
	s_delay_alu instid0(VALU_DEP_4) | instskip(NEXT) | instid1(VALU_DEP_4)
	v_fmamk_f64 v[50:51], v[40:41], 0x3eeba404b5e68a13, v[24:25]
	v_add_f64_e64 v[34:35], v[34:35], -v[46:47]
	s_delay_alu instid0(VALU_DEP_2) | instskip(NEXT) | instid1(VALU_DEP_1)
	v_fmaak_f64 v[50:51], v[40:41], v[50:51], 0x3f4b2bb069efb384
	v_fmaak_f64 v[50:51], v[40:41], v[50:51], 0xbf67952daf56de9b
	s_delay_alu instid0(VALU_DEP_1) | instskip(NEXT) | instid1(VALU_DEP_1)
	v_fmaak_f64 v[50:51], v[40:41], v[50:51], 0x3f7d6d43a595c56f
	v_fmaak_f64 v[50:51], v[40:41], v[50:51], 0xbf8c6ea4a57d9582
	v_add_f64_e64 v[54:55], v[36:37], -v[48:49]
	v_add_f64_e64 v[44:45], v[44:45], -v[48:49]
	v_add_f64_e32 v[48:49], v[52:53], v[34:35]
	s_delay_alu instid0(VALU_DEP_4) | instskip(NEXT) | instid1(VALU_DEP_1)
	v_fmaak_f64 v[50:51], v[40:41], v[50:51], 0x3f967e295f08b19f
	v_fmaak_f64 v[46:47], v[40:41], v[50:51], 0xbf9e9ae6fc27006a
	s_delay_alu instid0(VALU_DEP_1) | instskip(NEXT) | instid1(VALU_DEP_1)
	v_fmaak_f64 v[46:47], v[40:41], v[46:47], 0x3fa2c15b5711927a
	v_fmaak_f64 v[46:47], v[40:41], v[46:47], 0xbfa59976e82d3ff0
	s_delay_alu instid0(VALU_DEP_1) | instskip(SKIP_1) | instid1(VALU_DEP_2)
	v_fmaak_f64 v[46:47], v[40:41], v[46:47], 0x3fa82d5d6ef28734
	v_add_f64_e64 v[42:43], v[42:43], -v[54:55]
	v_fmaak_f64 v[46:47], v[40:41], v[46:47], 0xbfaae5ce6a214619
	s_delay_alu instid0(VALU_DEP_2) | instskip(NEXT) | instid1(VALU_DEP_2)
	v_add_f64_e32 v[42:43], v[44:45], v[42:43]
	v_fmaak_f64 v[44:45], v[40:41], v[46:47], 0x3fae1bb48427b883
	v_add_f64_e64 v[46:47], v[48:49], -v[52:53]
	s_delay_alu instid0(VALU_DEP_2) | instskip(NEXT) | instid1(VALU_DEP_1)
	v_fmaak_f64 v[44:45], v[40:41], v[44:45], 0xbfb110e48b207f05
	v_fmaak_f64 v[44:45], v[40:41], v[44:45], 0x3fb3b13657b87036
	s_delay_alu instid0(VALU_DEP_1) | instskip(NEXT) | instid1(VALU_DEP_1)
	v_fmaak_f64 v[44:45], v[40:41], v[44:45], 0xbfb745d119378e4f
	v_fmaak_f64 v[44:45], v[40:41], v[44:45], 0x3fbc71c717e1913c
	v_add_f64_e32 v[42:43], v[48:49], v[42:43]
	v_add_f64_e64 v[34:35], v[34:35], -v[46:47]
	s_delay_alu instid0(VALU_DEP_3) | instskip(NEXT) | instid1(VALU_DEP_1)
	v_fmaak_f64 v[44:45], v[40:41], v[44:45], 0xbfc2492492376b7d
	v_fmaak_f64 v[44:45], v[40:41], v[44:45], 0x3fc99999999952cc
	s_delay_alu instid0(VALU_DEP_1) | instskip(NEXT) | instid1(VALU_DEP_1)
	v_fmaak_f64 v[44:45], v[40:41], v[44:45], 0xbfd5555555555523
	v_mul_f64_e32 v[40:41], v[40:41], v[44:45]
	v_add_f64_e64 v[44:45], v[48:49], -v[46:47]
	v_add_f64_e32 v[48:49], v[36:37], v[42:43]
	s_delay_alu instid0(VALU_DEP_3) | instskip(NEXT) | instid1(VALU_DEP_3)
	v_fmac_f64_e32 v[10:11], v[10:11], v[40:41]
	v_add_f64_e64 v[40:41], v[52:53], -v[44:45]
	s_delay_alu instid0(VALU_DEP_3) | instskip(NEXT) | instid1(VALU_DEP_3)
	v_add_f64_e64 v[36:37], v[48:49], -v[36:37]
	v_add_f64_e64 v[44:45], -v[10:11], s[24:25]
	s_delay_alu instid0(VALU_DEP_3) | instskip(NEXT) | instid1(VALU_DEP_3)
	v_add_f64_e32 v[34:35], v[34:35], v[40:41]
	v_add_f64_e64 v[36:37], v[42:43], -v[36:37]
	s_delay_alu instid0(VALU_DEP_3) | instskip(NEXT) | instid1(VALU_DEP_2)
	v_dual_cndmask_b32 v11, v11, v45, s0 :: v_dual_cndmask_b32 v10, v10, v44, s0
	v_add_f64_e32 v[34:35], v[34:35], v[36:37]
	s_delay_alu instid0(VALU_DEP_2) | instskip(NEXT) | instid1(VALU_DEP_1)
	v_add_f64_e64 v[36:37], -v[10:11], s[26:27]
	v_dual_add_f64 v[14:15], v[48:49], v[34:35] :: v_dual_cndmask_b32 v10, v10, v36, vcc_lo
	v_cndmask_b32_e32 v34, 0x3fe921fb, v61, vcc_lo
	s_delay_alu instid0(VALU_DEP_3) | instskip(SKIP_1) | instid1(VALU_DEP_4)
	v_cndmask_b32_e32 v11, v11, v37, vcc_lo
	v_cmp_ngt_f64_e32 vcc_lo, 0, v[38:39]
	v_cndmask_b32_e64 v10, v10, v21, s2
	s_delay_alu instid0(VALU_DEP_4) | instskip(NEXT) | instid1(VALU_DEP_4)
	v_bfi_b32 v34, 0x7fffffff, v34, v17
	v_dual_cndmask_b32 v8, v11, v8, s2 :: v_dual_cndmask_b32 v14, v14, v38, s1
	v_cndmask_b32_e64 v15, v15, v39, s1
	v_cmp_nge_f64_e64 s1, 0, v[38:39]
	s_delay_alu instid0(VALU_DEP_2) | instskip(SKIP_4) | instid1(VALU_DEP_1)
	v_cndmask_b32_e32 v15, 0x7ff80000, v15, vcc_lo
	s_and_b32 vcc_lo, s4, s5
	v_dual_cndmask_b32 v11, v8, v34 :: v_dual_cndmask_b32 v10, v10, v12
	v_cndmask_b32_e64 v34, 0, v14, s1
	v_cmp_neq_f64_e64 s1, 0, v[38:39]
	v_cndmask_b32_e64 v35, 0xfff00000, v15, s1
.LBB197_247:                            ;   in Loop: Header=BB197_162 Depth=1
	s_or_b32 exec_lo, exec_lo, s3
                                        ; implicit-def: $vgpr38_vgpr39
.LBB197_248:                            ;   in Loop: Header=BB197_162 Depth=1
	s_and_not1_saveexec_b32 s3, s39
	s_cbranch_execz .LBB197_254
; %bb.249:                              ;   in Loop: Header=BB197_162 Depth=1
                                        ; implicit-def: $vgpr34_vgpr35
                                        ; implicit-def: $vgpr10_vgpr11
	s_mov_b32 s1, exec_lo
	v_cmpx_ngt_f64_e32 s[30:31], v[38:39]
	s_xor_b32 s4, exec_lo, s1
	s_cbranch_execz .LBB197_251
; %bb.250:                              ;   in Loop: Header=BB197_162 Depth=1
	v_mul_f64_e32 v[10:11], v[38:39], v[38:39]
	v_cmp_eq_f64_e64 s1, 0, v[16:17]
	v_cmp_class_f64_e64 s5, v[16:17], 0x204
	v_cmp_class_f64_e64 s6, v[14:15], 0x204
	s_delay_alu instid0(VALU_DEP_4) | instskip(NEXT) | instid1(VALU_DEP_1)
	v_add_f64_e32 v[34:35], 1.0, v[10:11]
	v_frexp_mant_f64_e32 v[36:37], v[34:35]
	v_frexp_exp_i32_f64_e32 v8, v[34:35]
	v_add_f64_e32 v[38:39], -1.0, v[34:35]
	s_delay_alu instid0(VALU_DEP_3) | instskip(NEXT) | instid1(VALU_DEP_2)
	v_cmp_gt_f64_e32 vcc_lo, s[20:21], v[36:37]
	v_add_f64_e64 v[36:37], v[38:39], -v[34:35]
	s_delay_alu instid0(VALU_DEP_4) | instskip(NEXT) | instid1(VALU_DEP_2)
	v_subrev_co_ci_u32_e64 v8, null, 0, v8, vcc_lo
	v_add_f64_e32 v[36:37], 1.0, v[36:37]
	s_delay_alu instid0(VALU_DEP_2) | instskip(SKIP_1) | instid1(VALU_DEP_2)
	v_dual_add_f64 v[38:39], v[10:11], -v[38:39] :: v_dual_sub_nc_u32 v12, 0, v8
	v_cmp_neq_f64_e64 s2, 0x7ff00000, v[10:11]
	v_ldexp_f64 v[34:35], v[34:35], v12
	s_delay_alu instid0(VALU_DEP_3) | instskip(NEXT) | instid1(VALU_DEP_2)
	v_add_f64_e32 v[36:37], v[38:39], v[36:37]
	v_add_f64_e32 v[40:41], 1.0, v[34:35]
	v_add_f64_e32 v[46:47], -1.0, v[34:35]
	s_delay_alu instid0(VALU_DEP_3) | instskip(NEXT) | instid1(VALU_DEP_3)
	v_ldexp_f64 v[36:37], v[36:37], v12
	v_add_f64_e32 v[38:39], -1.0, v[40:41]
	s_delay_alu instid0(VALU_DEP_3) | instskip(NEXT) | instid1(VALU_DEP_2)
	v_add_f64_e32 v[48:49], 1.0, v[46:47]
	v_add_f64_e64 v[38:39], v[34:35], -v[38:39]
	s_delay_alu instid0(VALU_DEP_2) | instskip(NEXT) | instid1(VALU_DEP_2)
	v_add_f64_e64 v[34:35], v[34:35], -v[48:49]
	v_add_f64_e32 v[38:39], v[36:37], v[38:39]
	s_delay_alu instid0(VALU_DEP_2) | instskip(NEXT) | instid1(VALU_DEP_2)
	v_add_f64_e32 v[34:35], v[36:37], v[34:35]
	v_add_f64_e32 v[42:43], v[40:41], v[38:39]
	s_delay_alu instid0(VALU_DEP_2) | instskip(NEXT) | instid1(VALU_DEP_2)
	v_add_f64_e32 v[48:49], v[46:47], v[34:35]
	v_rcp_f64_e32 v[44:45], v[42:43]
	v_add_f64_e64 v[40:41], v[40:41], -v[42:43]
	s_delay_alu instid0(VALU_DEP_2) | instskip(NEXT) | instid1(VALU_DEP_2)
	v_add_f64_e64 v[46:47], v[46:47], -v[48:49]
	v_add_f64_e32 v[38:39], v[38:39], v[40:41]
	s_delay_alu instid0(VALU_DEP_2) | instskip(NEXT) | instid1(TRANS32_DEP_1)
	v_add_f64_e32 v[34:35], v[34:35], v[46:47]
	v_fma_f64 v[50:51], -v[42:43], v[44:45], 1.0
	s_delay_alu instid0(VALU_DEP_1) | instskip(NEXT) | instid1(VALU_DEP_1)
	v_fmac_f64_e32 v[44:45], v[50:51], v[44:45]
	v_fma_f64 v[36:37], -v[42:43], v[44:45], 1.0
	s_delay_alu instid0(VALU_DEP_1) | instskip(NEXT) | instid1(VALU_DEP_1)
	v_fmac_f64_e32 v[44:45], v[36:37], v[44:45]
	v_mul_f64_e32 v[36:37], v[48:49], v[44:45]
	s_delay_alu instid0(VALU_DEP_1) | instskip(NEXT) | instid1(VALU_DEP_1)
	v_mul_f64_e32 v[50:51], v[42:43], v[36:37]
	v_fma_f64 v[40:41], v[36:37], v[42:43], -v[50:51]
	s_delay_alu instid0(VALU_DEP_1) | instskip(NEXT) | instid1(VALU_DEP_1)
	v_fmac_f64_e32 v[40:41], v[36:37], v[38:39]
	v_add_f64_e32 v[52:53], v[50:51], v[40:41]
	s_delay_alu instid0(VALU_DEP_1) | instskip(SKIP_1) | instid1(VALU_DEP_2)
	v_add_f64_e64 v[54:55], v[48:49], -v[52:53]
	v_add_f64_e64 v[46:47], v[52:53], -v[50:51]
	;; [unrolled: 1-line block ×3, first 2 shown]
	s_delay_alu instid0(VALU_DEP_2) | instskip(NEXT) | instid1(VALU_DEP_2)
	v_add_f64_e64 v[40:41], v[46:47], -v[40:41]
	v_add_f64_e64 v[48:49], v[48:49], -v[52:53]
	s_delay_alu instid0(VALU_DEP_1) | instskip(NEXT) | instid1(VALU_DEP_1)
	v_add_f64_e32 v[34:35], v[34:35], v[48:49]
	v_add_f64_e32 v[34:35], v[40:41], v[34:35]
	s_delay_alu instid0(VALU_DEP_1) | instskip(NEXT) | instid1(VALU_DEP_1)
	v_add_f64_e32 v[40:41], v[54:55], v[34:35]
	v_mul_f64_e32 v[46:47], v[44:45], v[40:41]
	v_add_f64_e64 v[52:53], v[54:55], -v[40:41]
	s_delay_alu instid0(VALU_DEP_2) | instskip(NEXT) | instid1(VALU_DEP_2)
	v_mul_f64_e32 v[48:49], v[42:43], v[46:47]
	v_add_f64_e32 v[34:35], v[34:35], v[52:53]
	s_delay_alu instid0(VALU_DEP_2) | instskip(NEXT) | instid1(VALU_DEP_1)
	v_fma_f64 v[42:43], v[46:47], v[42:43], -v[48:49]
	v_fmac_f64_e32 v[42:43], v[46:47], v[38:39]
	s_delay_alu instid0(VALU_DEP_1) | instskip(NEXT) | instid1(VALU_DEP_1)
	v_add_f64_e32 v[38:39], v[48:49], v[42:43]
	v_add_f64_e64 v[50:51], v[40:41], -v[38:39]
	v_add_f64_e64 v[48:49], v[38:39], -v[48:49]
	s_delay_alu instid0(VALU_DEP_2) | instskip(NEXT) | instid1(VALU_DEP_1)
	v_add_f64_e64 v[40:41], v[40:41], -v[50:51]
	v_add_f64_e64 v[38:39], v[40:41], -v[38:39]
	s_delay_alu instid0(VALU_DEP_3) | instskip(SKIP_1) | instid1(VALU_DEP_3)
	v_add_f64_e64 v[40:41], v[48:49], -v[42:43]
	v_max_num_f64_e64 v[42:43], |v[14:15]|, |v[14:15]|
	v_add_f64_e32 v[34:35], v[34:35], v[38:39]
	v_add_f64_e32 v[38:39], v[36:37], v[46:47]
	s_delay_alu instid0(VALU_DEP_2) | instskip(NEXT) | instid1(VALU_DEP_2)
	v_add_f64_e32 v[34:35], v[40:41], v[34:35]
	v_add_f64_e64 v[36:37], v[38:39], -v[36:37]
	v_max_num_f64_e64 v[40:41], |v[16:17]|, |v[16:17]|
	s_delay_alu instid0(VALU_DEP_3) | instskip(NEXT) | instid1(VALU_DEP_3)
	v_add_f64_e32 v[34:35], v[50:51], v[34:35]
	v_add_f64_e64 v[36:37], v[46:47], -v[36:37]
	s_delay_alu instid0(VALU_DEP_2) | instskip(NEXT) | instid1(VALU_DEP_1)
	v_mul_f64_e32 v[34:35], v[44:45], v[34:35]
	v_add_f64_e32 v[34:35], v[36:37], v[34:35]
	v_max_num_f64_e32 v[36:37], v[42:43], v[40:41]
	v_min_num_f64_e32 v[40:41], v[42:43], v[40:41]
	s_delay_alu instid0(VALU_DEP_3) | instskip(NEXT) | instid1(VALU_DEP_2)
	v_add_f64_e32 v[42:43], v[38:39], v[34:35]
	v_div_scale_f64 v[44:45], null, v[36:37], v[36:37], v[40:41]
	s_delay_alu instid0(VALU_DEP_2) | instskip(SKIP_1) | instid1(VALU_DEP_3)
	v_mul_f64_e32 v[46:47], v[42:43], v[42:43]
	v_add_f64_e64 v[38:39], v[42:43], -v[38:39]
	v_rcp_f64_e32 v[48:49], v[44:45]
	s_delay_alu instid0(VALU_DEP_2) | instskip(SKIP_1) | instid1(VALU_DEP_3)
	v_fmamk_f64 v[50:51], v[46:47], 0x3fc3ab76bf559e2b, v[22:23]
	v_mul_f64_e32 v[52:53], v[42:43], v[46:47]
	v_add_f64_e64 v[34:35], v[34:35], -v[38:39]
	s_delay_alu instid0(VALU_DEP_3) | instskip(NEXT) | instid1(TRANS32_DEP_1)
	v_fmaak_f64 v[50:51], v[46:47], v[50:51], 0x3fc7474dd7f4df2e
	v_fma_f64 v[54:55], -v[44:45], v[48:49], 1.0
	s_delay_alu instid0(VALU_DEP_2) | instskip(NEXT) | instid1(VALU_DEP_1)
	v_fmaak_f64 v[50:51], v[46:47], v[50:51], 0x3fcc71c016291751
	v_fmaak_f64 v[50:51], v[46:47], v[50:51], 0x3fd249249b27acf1
	s_delay_alu instid0(VALU_DEP_1) | instskip(SKIP_1) | instid1(VALU_DEP_2)
	v_fmaak_f64 v[50:51], v[46:47], v[50:51], 0x3fd99999998ef7b6
	v_ldexp_f64 v[34:35], v[34:35], 1
	v_fmaak_f64 v[46:47], v[46:47], v[50:51], 0x3fe5555555555780
	v_ldexp_f64 v[50:51], v[42:43], 1
	v_fmac_f64_e32 v[48:49], v[48:49], v[54:55]
	s_delay_alu instid0(VALU_DEP_3) | instskip(SKIP_2) | instid1(VALU_DEP_1)
	v_mul_f64_e32 v[46:47], v[52:53], v[46:47]
	v_cvt_f64_i32_e32 v[52:53], v8
	v_ashrrev_i32_e32 v8, 31, v15
	v_and_b32_e32 v21, 0x54442d18, v8
	v_and_b32_e32 v8, 0x400921fb, v8
	v_fma_f64 v[54:55], -v[44:45], v[48:49], 1.0
	v_add_f64_e32 v[42:43], v[50:51], v[46:47]
	v_mul_f64_e32 v[56:57], 0x3fe62e42fefa39ef, v[52:53]
	s_delay_alu instid0(VALU_DEP_3) | instskip(NEXT) | instid1(VALU_DEP_3)
	v_fmac_f64_e32 v[48:49], v[48:49], v[54:55]
	v_add_f64_e64 v[38:39], v[42:43], -v[50:51]
	v_div_scale_f64 v[50:51], vcc_lo, v[40:41], v[36:37], v[40:41]
	s_delay_alu instid0(VALU_DEP_4) | instskip(NEXT) | instid1(VALU_DEP_3)
	v_fma_f64 v[54:55], v[52:53], s[22:23], -v[56:57]
	v_add_f64_e64 v[38:39], v[46:47], -v[38:39]
	s_delay_alu instid0(VALU_DEP_3) | instskip(NEXT) | instid1(VALU_DEP_3)
	v_mul_f64_e32 v[46:47], v[50:51], v[48:49]
	v_fmac_f64_e32 v[54:55], 0x3c7abc9e3b39803f, v[52:53]
	s_delay_alu instid0(VALU_DEP_3) | instskip(NEXT) | instid1(VALU_DEP_3)
	v_add_f64_e32 v[34:35], v[34:35], v[38:39]
	v_fma_f64 v[38:39], -v[44:45], v[46:47], v[50:51]
	s_delay_alu instid0(VALU_DEP_3) | instskip(NEXT) | instid1(VALU_DEP_3)
	v_add_f64_e32 v[44:45], v[56:57], v[54:55]
	v_add_f64_e32 v[50:51], v[42:43], v[34:35]
	s_delay_alu instid0(VALU_DEP_3) | instskip(SKIP_1) | instid1(VALU_DEP_4)
	v_div_fmas_f64 v[38:39], v[38:39], v[48:49], v[46:47]
	v_cmp_gt_i32_e32 vcc_lo, 0, v15
	v_add_f64_e64 v[48:49], v[44:45], -v[56:57]
	v_cndmask_b32_e32 v10, 0x3fe921fb, v61, vcc_lo
	v_cndmask_b32_e32 v12, 0x54442d18, v60, vcc_lo
	s_delay_alu instid0(VALU_DEP_2) | instskip(SKIP_4) | instid1(VALU_DEP_4)
	v_bfi_b32 v10, 0x7fffffff, v10, v17
	v_add_f64_e32 v[46:47], v[44:45], v[50:51]
	v_div_fixup_f64 v[36:37], v[38:39], v[36:37], v[40:41]
	v_add_f64_e64 v[42:43], v[50:51], -v[42:43]
	v_add_f64_e64 v[48:49], v[54:55], -v[48:49]
	;; [unrolled: 1-line block ×3, first 2 shown]
	s_delay_alu instid0(VALU_DEP_4) | instskip(NEXT) | instid1(VALU_DEP_4)
	v_mul_f64_e32 v[40:41], v[36:37], v[36:37]
	v_add_f64_e64 v[34:35], v[34:35], -v[42:43]
	s_delay_alu instid0(VALU_DEP_3) | instskip(NEXT) | instid1(VALU_DEP_3)
	v_add_f64_e64 v[52:53], v[46:47], -v[38:39]
	v_fmamk_f64 v[56:57], v[40:41], 0x3eeba404b5e68a13, v[24:25]
	v_add_f64_e64 v[38:39], v[50:51], -v[38:39]
	s_delay_alu instid0(VALU_DEP_4) | instskip(NEXT) | instid1(VALU_DEP_3)
	v_add_f64_e32 v[50:51], v[48:49], v[34:35]
	v_fmaak_f64 v[56:57], v[40:41], v[56:57], 0x3f4b2bb069efb384
	s_delay_alu instid0(VALU_DEP_1) | instskip(SKIP_1) | instid1(VALU_DEP_2)
	v_fmaak_f64 v[56:57], v[40:41], v[56:57], 0xbf67952daf56de9b
	v_add_f64_e64 v[42:43], v[44:45], -v[52:53]
	v_fmaak_f64 v[44:45], v[40:41], v[56:57], 0x3f7d6d43a595c56f
	s_delay_alu instid0(VALU_DEP_1) | instskip(NEXT) | instid1(VALU_DEP_1)
	v_fmaak_f64 v[44:45], v[40:41], v[44:45], 0xbf8c6ea4a57d9582
	v_fmaak_f64 v[44:45], v[40:41], v[44:45], 0x3f967e295f08b19f
	s_delay_alu instid0(VALU_DEP_1) | instskip(NEXT) | instid1(VALU_DEP_1)
	v_fmaak_f64 v[44:45], v[40:41], v[44:45], 0xbf9e9ae6fc27006a
	v_fmaak_f64 v[44:45], v[40:41], v[44:45], 0x3fa2c15b5711927a
	v_add_f64_e32 v[38:39], v[38:39], v[42:43]
	s_delay_alu instid0(VALU_DEP_2) | instskip(SKIP_1) | instid1(VALU_DEP_2)
	v_fmaak_f64 v[42:43], v[40:41], v[44:45], 0xbfa59976e82d3ff0
	v_add_f64_e64 v[44:45], v[50:51], -v[48:49]
	v_fmaak_f64 v[42:43], v[40:41], v[42:43], 0x3fa82d5d6ef28734
	s_delay_alu instid0(VALU_DEP_1) | instskip(NEXT) | instid1(VALU_DEP_1)
	v_fmaak_f64 v[42:43], v[40:41], v[42:43], 0xbfaae5ce6a214619
	v_fmaak_f64 v[42:43], v[40:41], v[42:43], 0x3fae1bb48427b883
	s_delay_alu instid0(VALU_DEP_1) | instskip(SKIP_3) | instid1(VALU_DEP_4)
	v_fmaak_f64 v[42:43], v[40:41], v[42:43], 0xbfb110e48b207f05
	v_add_f64_e32 v[38:39], v[50:51], v[38:39]
	v_add_f64_e64 v[50:51], v[50:51], -v[44:45]
	v_add_f64_e64 v[34:35], v[34:35], -v[44:45]
	v_fmaak_f64 v[42:43], v[40:41], v[42:43], 0x3fb3b13657b87036
	s_delay_alu instid0(VALU_DEP_1) | instskip(NEXT) | instid1(VALU_DEP_1)
	v_fmaak_f64 v[42:43], v[40:41], v[42:43], 0xbfb745d119378e4f
	v_fmaak_f64 v[42:43], v[40:41], v[42:43], 0x3fbc71c717e1913c
	s_delay_alu instid0(VALU_DEP_1) | instskip(SKIP_1) | instid1(VALU_DEP_2)
	v_fmaak_f64 v[42:43], v[40:41], v[42:43], 0xbfc2492492376b7d
	v_add_f64_e32 v[52:53], v[46:47], v[38:39]
	v_fmaak_f64 v[42:43], v[40:41], v[42:43], 0x3fc99999999952cc
	s_delay_alu instid0(VALU_DEP_1) | instskip(NEXT) | instid1(VALU_DEP_1)
	v_fmaak_f64 v[42:43], v[40:41], v[42:43], 0xbfd5555555555523
	v_mul_f64_e32 v[40:41], v[40:41], v[42:43]
	v_add_f64_e64 v[42:43], v[48:49], -v[50:51]
	v_add_f64_e64 v[44:45], v[52:53], -v[46:47]
	s_delay_alu instid0(VALU_DEP_3) | instskip(NEXT) | instid1(VALU_DEP_3)
	v_fmac_f64_e32 v[36:37], v[36:37], v[40:41]
	v_add_f64_e32 v[34:35], v[34:35], v[42:43]
	s_delay_alu instid0(VALU_DEP_3) | instskip(NEXT) | instid1(VALU_DEP_3)
	v_add_f64_e64 v[38:39], v[38:39], -v[44:45]
	v_add_f64_e64 v[40:41], -v[36:37], s[24:25]
	s_delay_alu instid0(VALU_DEP_1) | instskip(NEXT) | instid1(VALU_DEP_2)
	v_dual_add_f64 v[34:35], v[34:35], v[38:39] :: v_dual_cndmask_b32 v37, v37, v41, s0
	v_cndmask_b32_e64 v36, v36, v40, s0
	s_delay_alu instid0(VALU_DEP_1) | instskip(NEXT) | instid1(VALU_DEP_3)
	v_add_f64_e64 v[38:39], -v[36:37], s[26:27]
	v_add_f64_e32 v[34:35], v[52:53], v[34:35]
	s_delay_alu instid0(VALU_DEP_2) | instskip(SKIP_1) | instid1(VALU_DEP_1)
	v_dual_cndmask_b32 v36, v36, v38 :: v_dual_cndmask_b32 v11, v37, v39
	s_and_b32 vcc_lo, s6, s5
                                        ; implicit-def: $vgpr38_vgpr39
	v_dual_cndmask_b32 v21, v36, v21, s1 :: v_dual_cndmask_b32 v8, v11, v8, s1
	s_delay_alu instid0(VALU_DEP_3) | instskip(NEXT) | instid1(VALU_DEP_2)
	v_mul_f64_e32 v[14:15], 0.5, v[34:35]
	v_dual_cndmask_b32 v11, v8, v10 :: v_dual_cndmask_b32 v10, v21, v12
	s_delay_alu instid0(VALU_DEP_2) | instskip(NEXT) | instid1(VALU_DEP_3)
	v_cndmask_b32_e64 v35, 0x7ff00000, v15, s2
	v_cndmask_b32_e64 v34, 0, v14, s2
.LBB197_251:                            ;   in Loop: Header=BB197_162 Depth=1
	s_and_not1_saveexec_b32 s2, s4
	s_cbranch_execz .LBB197_253
; %bb.252:                              ;   in Loop: Header=BB197_162 Depth=1
	v_max_num_f64_e64 v[10:11], |v[16:17]|, |v[16:17]|
	v_max_num_f64_e64 v[34:35], |v[14:15]|, |v[14:15]|
	v_cmp_eq_f64_e64 s1, 0, v[16:17]
	v_cmp_class_f64_e64 s4, v[16:17], 0x204
	v_cmp_class_f64_e64 s5, v[14:15], 0x204
	v_ashrrev_i32_e32 v8, 31, v15
	s_delay_alu instid0(VALU_DEP_1) | instskip(SKIP_3) | instid1(VALU_DEP_1)
	v_and_b32_e32 v21, 0x54442d18, v8
	v_and_b32_e32 v8, 0x400921fb, v8
	v_max_num_f64_e32 v[36:37], v[34:35], v[10:11]
	v_min_num_f64_e32 v[10:11], v[34:35], v[10:11]
	v_div_scale_f64 v[34:35], null, v[36:37], v[36:37], v[10:11]
	v_div_scale_f64 v[44:45], vcc_lo, v[10:11], v[36:37], v[10:11]
	s_delay_alu instid0(VALU_DEP_2) | instskip(SKIP_1) | instid1(TRANS32_DEP_1)
	v_rcp_f64_e32 v[40:41], v[34:35]
	v_nop
	v_fma_f64 v[42:43], -v[34:35], v[40:41], 1.0
	s_delay_alu instid0(VALU_DEP_1) | instskip(NEXT) | instid1(VALU_DEP_1)
	v_fmac_f64_e32 v[40:41], v[40:41], v[42:43]
	v_fma_f64 v[42:43], -v[34:35], v[40:41], 1.0
	s_delay_alu instid0(VALU_DEP_1) | instskip(NEXT) | instid1(VALU_DEP_1)
	v_fmac_f64_e32 v[40:41], v[40:41], v[42:43]
	v_mul_f64_e32 v[42:43], v[44:45], v[40:41]
	s_delay_alu instid0(VALU_DEP_1) | instskip(NEXT) | instid1(VALU_DEP_1)
	v_fma_f64 v[34:35], -v[34:35], v[42:43], v[44:45]
	v_div_fmas_f64 v[34:35], v[34:35], v[40:41], v[42:43]
	v_cmp_gt_i32_e32 vcc_lo, 0, v15
	v_cndmask_b32_e32 v14, 0x3fe921fb, v61, vcc_lo
	v_cndmask_b32_e32 v12, 0x54442d18, v60, vcc_lo
	s_delay_alu instid0(VALU_DEP_2) | instskip(SKIP_1) | instid1(VALU_DEP_1)
	v_bfi_b32 v14, 0x7fffffff, v14, v17
	v_div_fixup_f64 v[10:11], v[34:35], v[36:37], v[10:11]
	v_mul_f64_e32 v[34:35], v[10:11], v[10:11]
	s_delay_alu instid0(VALU_DEP_1) | instskip(NEXT) | instid1(VALU_DEP_1)
	v_fmamk_f64 v[36:37], v[34:35], 0x3eeba404b5e68a13, v[24:25]
	v_fmaak_f64 v[36:37], v[34:35], v[36:37], 0x3f4b2bb069efb384
	s_delay_alu instid0(VALU_DEP_1) | instskip(NEXT) | instid1(VALU_DEP_1)
	v_fmaak_f64 v[36:37], v[34:35], v[36:37], 0xbf67952daf56de9b
	v_fmaak_f64 v[36:37], v[34:35], v[36:37], 0x3f7d6d43a595c56f
	s_delay_alu instid0(VALU_DEP_1) | instskip(NEXT) | instid1(VALU_DEP_1)
	v_fmaak_f64 v[36:37], v[34:35], v[36:37], 0xbf8c6ea4a57d9582
	;; [unrolled: 3-line block ×9, first 2 shown]
	v_mul_f64_e32 v[34:35], v[34:35], v[36:37]
	s_delay_alu instid0(VALU_DEP_1) | instskip(NEXT) | instid1(VALU_DEP_1)
	v_fmac_f64_e32 v[10:11], v[10:11], v[34:35]
	v_add_f64_e64 v[34:35], -v[10:11], s[24:25]
	s_delay_alu instid0(VALU_DEP_1) | instskip(NEXT) | instid1(VALU_DEP_1)
	v_dual_cndmask_b32 v11, v11, v35, s0 :: v_dual_cndmask_b32 v10, v10, v34, s0
	v_add_f64_e64 v[36:37], -v[10:11], s[26:27]
	s_delay_alu instid0(VALU_DEP_1) | instskip(NEXT) | instid1(VALU_DEP_2)
	v_dual_mul_f64 v[34:35], 0.5, v[38:39] :: v_dual_cndmask_b32 v11, v11, v37, vcc_lo
	v_cndmask_b32_e32 v10, v10, v36, vcc_lo
	s_and_b32 vcc_lo, s5, s4
	s_delay_alu instid0(VALU_DEP_1) | instskip(NEXT) | instid1(VALU_DEP_1)
	v_dual_cndmask_b32 v8, v11, v8, s1 :: v_dual_cndmask_b32 v10, v10, v21, s1
	v_dual_cndmask_b32 v11, v8, v14 :: v_dual_cndmask_b32 v10, v10, v12
	s_delay_alu instid0(VALU_DEP_4)
	v_mul_f64_e32 v[34:35], v[38:39], v[34:35]
.LBB197_253:                            ;   in Loop: Header=BB197_162 Depth=1
	s_or_b32 exec_lo, exec_lo, s2
.LBB197_254:                            ;   in Loop: Header=BB197_162 Depth=1
	s_delay_alu instid0(SALU_CYCLE_1)
	s_or_b32 exec_lo, exec_lo, s3
.LBB197_255:                            ;   in Loop: Header=BB197_162 Depth=1
	s_and_not1_saveexec_b32 s2, s38
	s_cbranch_execz .LBB197_257
; %bb.256:                              ;   in Loop: Header=BB197_162 Depth=1
	v_div_scale_f64 v[10:11], null, s[34:35], s[34:35], v[14:15]
	v_div_scale_f64 v[34:35], null, s[34:35], s[34:35], v[16:17]
	v_div_scale_f64 v[44:45], vcc_lo, v[14:15], s[34:35], v[14:15]
	s_delay_alu instid0(VALU_DEP_3) | instskip(NEXT) | instid1(VALU_DEP_2)
	v_rcp_f64_e32 v[36:37], v[10:11]
	v_rcp_f64_e32 v[38:39], v[34:35]
	s_delay_alu instid0(TRANS32_DEP_2) | instskip(NEXT) | instid1(TRANS32_DEP_1)
	v_fma_f64 v[40:41], -v[10:11], v[36:37], 1.0
	v_fma_f64 v[42:43], -v[34:35], v[38:39], 1.0
	s_delay_alu instid0(VALU_DEP_2) | instskip(NEXT) | instid1(VALU_DEP_2)
	v_fmac_f64_e32 v[36:37], v[36:37], v[40:41]
	v_fmac_f64_e32 v[38:39], v[38:39], v[42:43]
	s_delay_alu instid0(VALU_DEP_2) | instskip(NEXT) | instid1(VALU_DEP_2)
	v_fma_f64 v[40:41], -v[10:11], v[36:37], 1.0
	v_fma_f64 v[42:43], -v[34:35], v[38:39], 1.0
	s_delay_alu instid0(VALU_DEP_2) | instskip(SKIP_1) | instid1(VALU_DEP_3)
	v_fmac_f64_e32 v[36:37], v[36:37], v[40:41]
	v_div_scale_f64 v[40:41], s1, v[16:17], s[34:35], v[16:17]
	v_fmac_f64_e32 v[38:39], v[38:39], v[42:43]
	s_delay_alu instid0(VALU_DEP_3) | instskip(NEXT) | instid1(VALU_DEP_2)
	v_mul_f64_e32 v[42:43], v[44:45], v[36:37]
	v_mul_f64_e32 v[46:47], v[40:41], v[38:39]
	s_delay_alu instid0(VALU_DEP_2) | instskip(NEXT) | instid1(VALU_DEP_2)
	v_fma_f64 v[10:11], -v[10:11], v[42:43], v[44:45]
	v_fma_f64 v[34:35], -v[34:35], v[46:47], v[40:41]
	s_delay_alu instid0(VALU_DEP_2) | instskip(SKIP_1) | instid1(VALU_DEP_2)
	v_div_fmas_f64 v[10:11], v[10:11], v[36:37], v[42:43]
	s_mov_b32 vcc_lo, s1
	v_div_fmas_f64 v[34:35], v[34:35], v[38:39], v[46:47]
	s_delay_alu instid0(VALU_DEP_2) | instskip(NEXT) | instid1(VALU_DEP_2)
	v_div_fixup_f64 v[10:11], v[10:11], s[34:35], v[14:15]
	v_div_fixup_f64 v[34:35], v[34:35], s[34:35], v[16:17]
	s_delay_alu instid0(VALU_DEP_2) | instskip(NEXT) | instid1(VALU_DEP_2)
	v_cmp_class_f64_e64 s1, v[10:11], 0x204
	v_max_num_f64_e64 v[36:37], |v[10:11]|, |v[34:35]|
	v_cmp_class_f64_e64 s3, v[34:35], 0x204
	s_delay_alu instid0(VALU_DEP_2) | instskip(SKIP_2) | instid1(VALU_DEP_2)
	v_frexp_exp_i32_f64_e32 v8, v[36:37]
	s_or_b32 s1, s1, s3
	v_cmp_class_f64_e64 s3, v[14:15], 0x204
	v_sub_nc_u32_e32 v12, 0, v8
	s_delay_alu instid0(VALU_DEP_1) | instskip(SKIP_1) | instid1(VALU_DEP_2)
	v_ldexp_f64 v[36:37], |v[34:35]|, v12
	v_ldexp_f64 v[38:39], |v[10:11]|, v12
	v_mul_f64_e32 v[36:37], v[36:37], v[36:37]
	s_delay_alu instid0(VALU_DEP_1) | instskip(NEXT) | instid1(VALU_DEP_1)
	v_fmac_f64_e32 v[36:37], v[38:39], v[38:39]
	v_rsq_f64_e32 v[38:39], v[36:37]
	v_cmp_eq_f64_e32 vcc_lo, 0, v[36:37]
	s_delay_alu instid0(TRANS32_DEP_1) | instskip(SKIP_1) | instid1(VALU_DEP_1)
	v_mul_f64_e32 v[40:41], v[36:37], v[38:39]
	v_mul_f64_e32 v[38:39], 0.5, v[38:39]
	v_fma_f64 v[42:43], -v[38:39], v[40:41], 0.5
	s_delay_alu instid0(VALU_DEP_1) | instskip(SKIP_1) | instid1(VALU_DEP_2)
	v_fmac_f64_e32 v[40:41], v[40:41], v[42:43]
	v_fmac_f64_e32 v[38:39], v[38:39], v[42:43]
	v_fma_f64 v[42:43], -v[40:41], v[40:41], v[36:37]
	s_delay_alu instid0(VALU_DEP_1) | instskip(NEXT) | instid1(VALU_DEP_1)
	v_fmac_f64_e32 v[40:41], v[42:43], v[38:39]
	v_dual_cndmask_b32 v37, v41, v37 :: v_dual_cndmask_b32 v36, v40, v36
	v_cmp_o_f64_e32 vcc_lo, v[10:11], v[34:35]
	s_delay_alu instid0(VALU_DEP_2) | instskip(NEXT) | instid1(VALU_DEP_1)
	v_ldexp_f64 v[36:37], v[36:37], v8
	v_cndmask_b32_e32 v8, 0, v36, vcc_lo
	s_delay_alu instid0(VALU_DEP_2) | instskip(NEXT) | instid1(VALU_DEP_2)
	v_cndmask_b32_e32 v10, 0x7ff80000, v37, vcc_lo
	v_cndmask_b32_e64 v36, v8, 0, s1
	s_delay_alu instid0(VALU_DEP_2) | instskip(SKIP_1) | instid1(VALU_DEP_2)
	v_cndmask_b32_e64 v37, v10, 0x7ff00000, s1
	v_cmp_class_f64_e64 s1, v[16:17], 0x204
	v_frexp_mant_f64_e32 v[10:11], v[36:37]
	s_delay_alu instid0(VALU_DEP_1) | instskip(SKIP_1) | instid1(VALU_DEP_1)
	v_cmp_gt_f64_e32 vcc_lo, s[20:21], v[10:11]
	v_cndmask_b32_e64 v8, 0, 1, vcc_lo
	v_ldexp_f64 v[10:11], v[10:11], v8
	v_frexp_exp_i32_f64_e32 v8, v[36:37]
	s_delay_alu instid0(VALU_DEP_2) | instskip(SKIP_1) | instid1(VALU_DEP_3)
	v_add_f64_e32 v[34:35], 1.0, v[10:11]
	v_add_f64_e32 v[42:43], -1.0, v[10:11]
	v_subrev_co_ci_u32_e64 v8, null, 0, v8, vcc_lo
	s_delay_alu instid0(VALU_DEP_3) | instskip(SKIP_1) | instid1(VALU_DEP_1)
	v_rcp_f64_e32 v[38:39], v[34:35]
	v_add_f64_e32 v[44:45], -1.0, v[34:35]
	v_add_f64_e64 v[10:11], v[10:11], -v[44:45]
	s_delay_alu instid0(TRANS32_DEP_1) | instskip(NEXT) | instid1(VALU_DEP_1)
	v_fma_f64 v[40:41], -v[34:35], v[38:39], 1.0
	v_fmac_f64_e32 v[38:39], v[40:41], v[38:39]
	s_delay_alu instid0(VALU_DEP_1) | instskip(NEXT) | instid1(VALU_DEP_1)
	v_fma_f64 v[40:41], -v[34:35], v[38:39], 1.0
	v_fmac_f64_e32 v[38:39], v[40:41], v[38:39]
	s_delay_alu instid0(VALU_DEP_1) | instskip(NEXT) | instid1(VALU_DEP_1)
	v_mul_f64_e32 v[40:41], v[42:43], v[38:39]
	v_mul_f64_e32 v[46:47], v[34:35], v[40:41]
	s_delay_alu instid0(VALU_DEP_1) | instskip(NEXT) | instid1(VALU_DEP_1)
	v_fma_f64 v[34:35], v[40:41], v[34:35], -v[46:47]
	v_fmac_f64_e32 v[34:35], v[40:41], v[10:11]
	s_delay_alu instid0(VALU_DEP_1) | instskip(NEXT) | instid1(VALU_DEP_1)
	v_add_f64_e32 v[10:11], v[46:47], v[34:35]
	v_add_f64_e64 v[44:45], v[42:43], -v[10:11]
	v_add_f64_e64 v[46:47], v[10:11], -v[46:47]
	s_delay_alu instid0(VALU_DEP_2) | instskip(NEXT) | instid1(VALU_DEP_2)
	v_add_f64_e64 v[42:43], v[42:43], -v[44:45]
	v_add_f64_e64 v[34:35], v[46:47], -v[34:35]
	s_delay_alu instid0(VALU_DEP_2) | instskip(SKIP_1) | instid1(VALU_DEP_2)
	v_add_f64_e64 v[10:11], v[42:43], -v[10:11]
	v_max_num_f64_e64 v[42:43], |v[14:15]|, |v[14:15]|
	v_add_f64_e32 v[10:11], v[34:35], v[10:11]
	v_max_num_f64_e64 v[34:35], |v[16:17]|, |v[16:17]|
	s_delay_alu instid0(VALU_DEP_2) | instskip(NEXT) | instid1(VALU_DEP_1)
	v_add_f64_e32 v[10:11], v[44:45], v[10:11]
	v_mul_f64_e32 v[10:11], v[38:39], v[10:11]
	s_delay_alu instid0(VALU_DEP_3) | instskip(SKIP_1) | instid1(VALU_DEP_3)
	v_max_num_f64_e32 v[38:39], v[42:43], v[34:35]
	v_min_num_f64_e32 v[34:35], v[42:43], v[34:35]
	v_add_f64_e32 v[42:43], v[40:41], v[10:11]
	s_delay_alu instid0(VALU_DEP_2) | instskip(NEXT) | instid1(VALU_DEP_2)
	v_div_scale_f64 v[44:45], null, v[38:39], v[38:39], v[34:35]
	v_mul_f64_e32 v[46:47], v[42:43], v[42:43]
	v_add_f64_e64 v[40:41], v[42:43], -v[40:41]
	s_delay_alu instid0(VALU_DEP_3) | instskip(NEXT) | instid1(VALU_DEP_2)
	v_rcp_f64_e32 v[48:49], v[44:45]
	v_fmamk_f64 v[50:51], v[46:47], 0x3fc3ab76bf559e2b, v[22:23]
	v_mul_f64_e32 v[52:53], v[42:43], v[46:47]
	s_delay_alu instid0(VALU_DEP_3) | instskip(NEXT) | instid1(VALU_DEP_3)
	v_add_f64_e64 v[10:11], v[10:11], -v[40:41]
	v_fmaak_f64 v[50:51], v[46:47], v[50:51], 0x3fc7474dd7f4df2e
	s_delay_alu instid0(TRANS32_DEP_1) | instskip(NEXT) | instid1(VALU_DEP_2)
	v_fma_f64 v[54:55], -v[44:45], v[48:49], 1.0
	v_fmaak_f64 v[50:51], v[46:47], v[50:51], 0x3fcc71c016291751
	s_delay_alu instid0(VALU_DEP_1) | instskip(NEXT) | instid1(VALU_DEP_1)
	v_fmaak_f64 v[50:51], v[46:47], v[50:51], 0x3fd249249b27acf1
	v_fmaak_f64 v[50:51], v[46:47], v[50:51], 0x3fd99999998ef7b6
	v_ldexp_f64 v[10:11], v[10:11], 1
	s_delay_alu instid0(VALU_DEP_2) | instskip(SKIP_2) | instid1(VALU_DEP_3)
	v_fmaak_f64 v[46:47], v[46:47], v[50:51], 0x3fe5555555555780
	v_ldexp_f64 v[50:51], v[42:43], 1
	v_fmac_f64_e32 v[48:49], v[48:49], v[54:55]
	v_mul_f64_e32 v[46:47], v[52:53], v[46:47]
	v_cvt_f64_i32_e32 v[52:53], v8
	v_ashrrev_i32_e32 v8, 31, v15
	s_delay_alu instid0(VALU_DEP_1) | instskip(SKIP_4) | instid1(VALU_DEP_3)
	v_and_b32_e32 v21, 0x54442d18, v8
	v_and_b32_e32 v8, 0x400921fb, v8
	v_fma_f64 v[54:55], -v[44:45], v[48:49], 1.0
	v_add_f64_e32 v[42:43], v[50:51], v[46:47]
	v_mul_f64_e32 v[56:57], 0x3fe62e42fefa39ef, v[52:53]
	v_fmac_f64_e32 v[48:49], v[48:49], v[54:55]
	s_delay_alu instid0(VALU_DEP_3) | instskip(SKIP_1) | instid1(VALU_DEP_4)
	v_add_f64_e64 v[40:41], v[42:43], -v[50:51]
	v_div_scale_f64 v[50:51], vcc_lo, v[34:35], v[38:39], v[34:35]
	v_fma_f64 v[54:55], v[52:53], s[22:23], -v[56:57]
	s_delay_alu instid0(VALU_DEP_3) | instskip(NEXT) | instid1(VALU_DEP_3)
	v_add_f64_e64 v[40:41], v[46:47], -v[40:41]
	v_mul_f64_e32 v[46:47], v[50:51], v[48:49]
	s_delay_alu instid0(VALU_DEP_3) | instskip(NEXT) | instid1(VALU_DEP_3)
	v_fmac_f64_e32 v[54:55], 0x3c7abc9e3b39803f, v[52:53]
	v_add_f64_e32 v[10:11], v[10:11], v[40:41]
	s_delay_alu instid0(VALU_DEP_3) | instskip(NEXT) | instid1(VALU_DEP_3)
	v_fma_f64 v[40:41], -v[44:45], v[46:47], v[50:51]
	v_add_f64_e32 v[44:45], v[56:57], v[54:55]
	s_delay_alu instid0(VALU_DEP_3) | instskip(NEXT) | instid1(VALU_DEP_3)
	v_add_f64_e32 v[50:51], v[42:43], v[10:11]
	v_div_fmas_f64 v[40:41], v[40:41], v[48:49], v[46:47]
	v_cmp_class_f64_e64 vcc_lo, v[36:37], 0x204
	s_delay_alu instid0(VALU_DEP_4) | instskip(NEXT) | instid1(VALU_DEP_4)
	v_add_f64_e64 v[48:49], v[44:45], -v[56:57]
	v_add_f64_e32 v[46:47], v[44:45], v[50:51]
	s_delay_alu instid0(VALU_DEP_4) | instskip(SKIP_1) | instid1(VALU_DEP_4)
	v_div_fixup_f64 v[34:35], v[40:41], v[38:39], v[34:35]
	v_add_f64_e64 v[42:43], v[50:51], -v[42:43]
	v_add_f64_e64 v[48:49], v[54:55], -v[48:49]
	s_delay_alu instid0(VALU_DEP_4) | instskip(NEXT) | instid1(VALU_DEP_4)
	v_add_f64_e64 v[38:39], v[46:47], -v[44:45]
	v_mul_f64_e32 v[40:41], v[34:35], v[34:35]
	s_delay_alu instid0(VALU_DEP_4) | instskip(NEXT) | instid1(VALU_DEP_3)
	v_add_f64_e64 v[10:11], v[10:11], -v[42:43]
	v_add_f64_e64 v[52:53], v[46:47], -v[38:39]
	s_delay_alu instid0(VALU_DEP_3) | instskip(SKIP_1) | instid1(VALU_DEP_4)
	v_fmamk_f64 v[56:57], v[40:41], 0x3eeba404b5e68a13, v[24:25]
	v_add_f64_e64 v[38:39], v[50:51], -v[38:39]
	v_add_f64_e32 v[50:51], v[48:49], v[10:11]
	s_delay_alu instid0(VALU_DEP_3) | instskip(SKIP_1) | instid1(VALU_DEP_2)
	v_fmaak_f64 v[56:57], v[40:41], v[56:57], 0x3f4b2bb069efb384
	v_add_f64_e64 v[42:43], v[44:45], -v[52:53]
	v_fmaak_f64 v[44:45], v[40:41], v[56:57], 0xbf67952daf56de9b
	s_delay_alu instid0(VALU_DEP_1) | instskip(NEXT) | instid1(VALU_DEP_1)
	v_fmaak_f64 v[44:45], v[40:41], v[44:45], 0x3f7d6d43a595c56f
	v_fmaak_f64 v[44:45], v[40:41], v[44:45], 0xbf8c6ea4a57d9582
	s_delay_alu instid0(VALU_DEP_1) | instskip(SKIP_1) | instid1(VALU_DEP_2)
	v_fmaak_f64 v[44:45], v[40:41], v[44:45], 0x3f967e295f08b19f
	v_add_f64_e32 v[38:39], v[38:39], v[42:43]
	v_fmaak_f64 v[42:43], v[40:41], v[44:45], 0xbf9e9ae6fc27006a
	v_add_f64_e64 v[44:45], v[50:51], -v[48:49]
	s_delay_alu instid0(VALU_DEP_2) | instskip(NEXT) | instid1(VALU_DEP_1)
	v_fmaak_f64 v[42:43], v[40:41], v[42:43], 0x3fa2c15b5711927a
	v_fmaak_f64 v[42:43], v[40:41], v[42:43], 0xbfa59976e82d3ff0
	s_delay_alu instid0(VALU_DEP_1) | instskip(NEXT) | instid1(VALU_DEP_1)
	v_fmaak_f64 v[42:43], v[40:41], v[42:43], 0x3fa82d5d6ef28734
	v_fmaak_f64 v[42:43], v[40:41], v[42:43], 0xbfaae5ce6a214619
	v_add_f64_e32 v[38:39], v[50:51], v[38:39]
	v_add_f64_e64 v[50:51], v[50:51], -v[44:45]
	v_add_f64_e64 v[10:11], v[10:11], -v[44:45]
	s_delay_alu instid0(VALU_DEP_4) | instskip(NEXT) | instid1(VALU_DEP_1)
	v_fmaak_f64 v[42:43], v[40:41], v[42:43], 0x3fae1bb48427b883
	v_fmaak_f64 v[42:43], v[40:41], v[42:43], 0xbfb110e48b207f05
	s_delay_alu instid0(VALU_DEP_1) | instskip(NEXT) | instid1(VALU_DEP_1)
	v_fmaak_f64 v[42:43], v[40:41], v[42:43], 0x3fb3b13657b87036
	v_fmaak_f64 v[42:43], v[40:41], v[42:43], 0xbfb745d119378e4f
	s_delay_alu instid0(VALU_DEP_1) | instskip(SKIP_1) | instid1(VALU_DEP_2)
	v_fmaak_f64 v[42:43], v[40:41], v[42:43], 0x3fbc71c717e1913c
	v_add_f64_e32 v[52:53], v[46:47], v[38:39]
	v_fmaak_f64 v[42:43], v[40:41], v[42:43], 0xbfc2492492376b7d
	s_delay_alu instid0(VALU_DEP_1) | instskip(NEXT) | instid1(VALU_DEP_1)
	v_fmaak_f64 v[42:43], v[40:41], v[42:43], 0x3fc99999999952cc
	v_fmaak_f64 v[42:43], v[40:41], v[42:43], 0xbfd5555555555523
	s_delay_alu instid0(VALU_DEP_1) | instskip(SKIP_2) | instid1(VALU_DEP_3)
	v_mul_f64_e32 v[40:41], v[40:41], v[42:43]
	v_add_f64_e64 v[42:43], v[48:49], -v[50:51]
	v_add_f64_e64 v[44:45], v[52:53], -v[46:47]
	v_fmac_f64_e32 v[34:35], v[34:35], v[40:41]
	s_delay_alu instid0(VALU_DEP_3) | instskip(NEXT) | instid1(VALU_DEP_3)
	v_add_f64_e32 v[10:11], v[10:11], v[42:43]
	v_add_f64_e64 v[38:39], v[38:39], -v[44:45]
	s_delay_alu instid0(VALU_DEP_3) | instskip(NEXT) | instid1(VALU_DEP_2)
	v_add_f64_e64 v[40:41], -v[34:35], s[24:25]
	v_add_f64_e32 v[10:11], v[10:11], v[38:39]
	s_delay_alu instid0(VALU_DEP_2) | instskip(SKIP_1) | instid1(VALU_DEP_3)
	v_dual_cndmask_b32 v35, v35, v41, s0 :: v_dual_cndmask_b32 v34, v34, v40, s0
	v_cmp_gt_i32_e64 s0, 0, v15
	v_add_f64_e32 v[10:11], v[52:53], v[10:11]
	s_delay_alu instid0(VALU_DEP_3) | instskip(NEXT) | instid1(VALU_DEP_3)
	v_add_f64_e64 v[38:39], -v[34:35], s[26:27]
	v_cndmask_b32_e64 v12, 0x54442d18, v60, s0
	v_cndmask_b32_e64 v14, 0x3fe921fb, v61, s0
	s_delay_alu instid0(VALU_DEP_1) | instskip(SKIP_4) | instid1(VALU_DEP_2)
	v_bfi_b32 v14, 0x7fffffff, v14, v17
	v_dual_cndmask_b32 v11, v11, v37 :: v_dual_cndmask_b32 v10, v10, v36
	v_cmp_eq_f64_e32 vcc_lo, 0, v[16:17]
	v_dual_cndmask_b32 v34, v34, v38, s0 :: v_dual_cndmask_b32 v15, v35, v39, s0
	v_cmp_nge_f64_e64 s0, 0, v[36:37]
	v_dual_add_f64 v[10:11], 1.0, v[10:11] :: v_dual_cndmask_b32 v21, v34, v21, vcc_lo
	s_delay_alu instid0(VALU_DEP_3) | instskip(SKIP_1) | instid1(VALU_DEP_3)
	v_cndmask_b32_e32 v8, v15, v8, vcc_lo
	v_cmp_ngt_f64_e32 vcc_lo, 0, v[36:37]
	v_cndmask_b32_e64 v34, 0, v10, s0
	v_cmp_neq_f64_e64 s0, 0, v[36:37]
	v_cndmask_b32_e32 v15, 0x7ff80000, v11, vcc_lo
	s_and_b32 vcc_lo, s3, s1
	v_dual_cndmask_b32 v11, v8, v14 :: v_dual_cndmask_b32 v10, v21, v12
	s_delay_alu instid0(VALU_DEP_2)
	v_cndmask_b32_e64 v35, 0xfff00000, v15, s0
.LBB197_257:                            ;   in Loop: Header=BB197_162 Depth=1
	s_or_b32 exec_lo, exec_lo, s2
.LBB197_258:                            ;   in Loop: Header=BB197_162 Depth=1
	s_and_not1_saveexec_b32 s0, s33
	s_cbranch_execz .LBB197_264
; %bb.259:                              ;   in Loop: Header=BB197_162 Depth=1
	v_cmp_ngt_f64_e64 s1, 0x20000000, |v[14:15]|
	v_cmp_ngt_f64_e64 s2, 0x20000000, |v[16:17]|
                                        ; implicit-def: $vgpr36_vgpr37
	s_or_b32 s1, s1, s2
	s_delay_alu instid0(SALU_CYCLE_1) | instskip(NEXT) | instid1(SALU_CYCLE_1)
	s_and_saveexec_b32 s2, s1
	s_xor_b32 s1, exec_lo, s2
	s_cbranch_execz .LBB197_261
; %bb.260:                              ;   in Loop: Header=BB197_162 Depth=1
	v_mul_f64_e32 v[36:37], v[16:17], v[16:17]
	s_delay_alu instid0(VALU_DEP_1)
	v_fmac_f64_e32 v[36:37], v[14:15], v[14:15]
.LBB197_261:                            ;   in Loop: Header=BB197_162 Depth=1
	s_and_not1_saveexec_b32 s1, s1
	s_cbranch_execz .LBB197_263
; %bb.262:                              ;   in Loop: Header=BB197_162 Depth=1
	v_mul_f64_e32 v[10:11], 4.0, v[16:17]
	v_mul_f64_e32 v[14:15], 4.0, v[14:15]
	s_delay_alu instid0(VALU_DEP_2) | instskip(NEXT) | instid1(VALU_DEP_1)
	v_mul_f64_e32 v[10:11], v[10:11], v[10:11]
	v_fmac_f64_e32 v[10:11], v[14:15], v[14:15]
	s_delay_alu instid0(VALU_DEP_1)
	v_ldexp_f64 v[36:37], v[10:11], -4
.LBB197_263:                            ;   in Loop: Header=BB197_162 Depth=1
	s_or_b32 exec_lo, exec_lo, s1
	s_delay_alu instid0(VALU_DEP_1) | instskip(NEXT) | instid1(VALU_DEP_1)
	v_frexp_mant_f64_e32 v[10:11], v[36:37]
	v_cmp_gt_f64_e32 vcc_lo, s[20:21], v[10:11]
	v_cndmask_b32_e64 v8, 0, 1, vcc_lo
	s_delay_alu instid0(VALU_DEP_1) | instskip(SKIP_1) | instid1(VALU_DEP_1)
	v_ldexp_f64 v[10:11], v[10:11], v8
	v_frexp_exp_i32_f64_e32 v8, v[36:37]
	v_subrev_co_ci_u32_e64 v8, null, 0, v8, vcc_lo
	v_cmp_class_f64_e64 vcc_lo, v[36:37], 0x204
	s_delay_alu instid0(VALU_DEP_4) | instskip(SKIP_1) | instid1(VALU_DEP_2)
	v_add_f64_e32 v[14:15], 1.0, v[10:11]
	v_add_f64_e32 v[40:41], -1.0, v[10:11]
	v_rcp_f64_e32 v[34:35], v[14:15]
	v_add_f64_e32 v[42:43], -1.0, v[14:15]
	s_delay_alu instid0(VALU_DEP_1) | instskip(NEXT) | instid1(TRANS32_DEP_1)
	v_add_f64_e64 v[10:11], v[10:11], -v[42:43]
	v_fma_f64 v[38:39], -v[14:15], v[34:35], 1.0
	s_delay_alu instid0(VALU_DEP_1) | instskip(NEXT) | instid1(VALU_DEP_1)
	v_fmac_f64_e32 v[34:35], v[38:39], v[34:35]
	v_fma_f64 v[38:39], -v[14:15], v[34:35], 1.0
	s_delay_alu instid0(VALU_DEP_1) | instskip(NEXT) | instid1(VALU_DEP_1)
	v_fmac_f64_e32 v[34:35], v[38:39], v[34:35]
	v_mul_f64_e32 v[38:39], v[40:41], v[34:35]
	s_delay_alu instid0(VALU_DEP_1) | instskip(NEXT) | instid1(VALU_DEP_1)
	v_mul_f64_e32 v[44:45], v[14:15], v[38:39]
	v_fma_f64 v[14:15], v[38:39], v[14:15], -v[44:45]
	s_delay_alu instid0(VALU_DEP_1) | instskip(NEXT) | instid1(VALU_DEP_1)
	v_fmac_f64_e32 v[14:15], v[38:39], v[10:11]
	v_add_f64_e32 v[10:11], v[44:45], v[14:15]
	s_delay_alu instid0(VALU_DEP_1) | instskip(SKIP_1) | instid1(VALU_DEP_2)
	v_add_f64_e64 v[42:43], v[40:41], -v[10:11]
	v_add_f64_e64 v[44:45], v[10:11], -v[44:45]
	v_add_f64_e64 v[40:41], v[40:41], -v[42:43]
	s_delay_alu instid0(VALU_DEP_2) | instskip(NEXT) | instid1(VALU_DEP_2)
	v_add_f64_e64 v[14:15], v[44:45], -v[14:15]
	v_add_f64_e64 v[10:11], v[40:41], -v[10:11]
	s_delay_alu instid0(VALU_DEP_1) | instskip(NEXT) | instid1(VALU_DEP_1)
	v_add_f64_e32 v[10:11], v[14:15], v[10:11]
	v_add_f64_e32 v[10:11], v[42:43], v[10:11]
	s_delay_alu instid0(VALU_DEP_1) | instskip(NEXT) | instid1(VALU_DEP_1)
	v_mul_f64_e32 v[10:11], v[34:35], v[10:11]
	v_add_f64_e32 v[14:15], v[38:39], v[10:11]
	s_delay_alu instid0(VALU_DEP_1) | instskip(NEXT) | instid1(VALU_DEP_1)
	v_mul_f64_e32 v[34:35], v[14:15], v[14:15]
	v_fmamk_f64 v[40:41], v[34:35], 0x3fc3ab76bf559e2b, v[22:23]
	v_mul_f64_e32 v[42:43], v[14:15], v[34:35]
	s_delay_alu instid0(VALU_DEP_2) | instskip(NEXT) | instid1(VALU_DEP_1)
	v_fmaak_f64 v[40:41], v[34:35], v[40:41], 0x3fc7474dd7f4df2e
	v_fmaak_f64 v[40:41], v[34:35], v[40:41], 0x3fcc71c016291751
	s_delay_alu instid0(VALU_DEP_1) | instskip(NEXT) | instid1(VALU_DEP_1)
	v_fmaak_f64 v[40:41], v[34:35], v[40:41], 0x3fd249249b27acf1
	v_fmaak_f64 v[40:41], v[34:35], v[40:41], 0x3fd99999998ef7b6
	s_delay_alu instid0(VALU_DEP_1) | instskip(SKIP_2) | instid1(VALU_DEP_3)
	v_fmaak_f64 v[34:35], v[34:35], v[40:41], 0x3fe5555555555780
	v_ldexp_f64 v[40:41], v[14:15], 1
	v_add_f64_e64 v[14:15], v[14:15], -v[38:39]
	v_mul_f64_e32 v[34:35], v[42:43], v[34:35]
	v_cvt_f64_i32_e32 v[42:43], v8
	s_delay_alu instid0(VALU_DEP_3) | instskip(NEXT) | instid1(VALU_DEP_3)
	v_add_f64_e64 v[10:11], v[10:11], -v[14:15]
	v_add_f64_e32 v[38:39], v[40:41], v[34:35]
	s_delay_alu instid0(VALU_DEP_3) | instskip(NEXT) | instid1(VALU_DEP_3)
	v_mul_f64_e32 v[44:45], 0x3fe62e42fefa39ef, v[42:43]
	v_ldexp_f64 v[10:11], v[10:11], 1
	s_delay_alu instid0(VALU_DEP_3) | instskip(NEXT) | instid1(VALU_DEP_3)
	v_add_f64_e64 v[14:15], v[38:39], -v[40:41]
	v_fma_f64 v[40:41], v[42:43], s[22:23], -v[44:45]
	s_delay_alu instid0(VALU_DEP_2) | instskip(NEXT) | instid1(VALU_DEP_2)
	v_add_f64_e64 v[14:15], v[34:35], -v[14:15]
	v_fmac_f64_e32 v[40:41], 0x3c7abc9e3b39803f, v[42:43]
	s_delay_alu instid0(VALU_DEP_2) | instskip(NEXT) | instid1(VALU_DEP_2)
	v_add_f64_e32 v[10:11], v[10:11], v[14:15]
	v_add_f64_e32 v[14:15], v[44:45], v[40:41]
	s_delay_alu instid0(VALU_DEP_2) | instskip(NEXT) | instid1(VALU_DEP_2)
	v_add_f64_e32 v[34:35], v[38:39], v[10:11]
	v_add_f64_e64 v[44:45], v[14:15], -v[44:45]
	s_delay_alu instid0(VALU_DEP_2) | instskip(SKIP_1) | instid1(VALU_DEP_3)
	v_add_f64_e32 v[42:43], v[14:15], v[34:35]
	v_add_f64_e64 v[38:39], v[34:35], -v[38:39]
	v_add_f64_e64 v[40:41], v[40:41], -v[44:45]
	s_delay_alu instid0(VALU_DEP_3) | instskip(NEXT) | instid1(VALU_DEP_3)
	v_add_f64_e64 v[46:47], v[42:43], -v[14:15]
	v_add_f64_e64 v[10:11], v[10:11], -v[38:39]
	s_delay_alu instid0(VALU_DEP_2) | instskip(SKIP_1) | instid1(VALU_DEP_3)
	v_add_f64_e64 v[48:49], v[42:43], -v[46:47]
	v_add_f64_e64 v[34:35], v[34:35], -v[46:47]
	v_add_f64_e32 v[38:39], v[40:41], v[10:11]
	s_delay_alu instid0(VALU_DEP_3) | instskip(NEXT) | instid1(VALU_DEP_1)
	v_add_f64_e64 v[14:15], v[14:15], -v[48:49]
	v_add_f64_e32 v[14:15], v[34:35], v[14:15]
	s_delay_alu instid0(VALU_DEP_3) | instskip(NEXT) | instid1(VALU_DEP_2)
	v_add_f64_e64 v[34:35], v[38:39], -v[40:41]
	v_add_f64_e32 v[14:15], v[38:39], v[14:15]
	s_delay_alu instid0(VALU_DEP_2) | instskip(SKIP_1) | instid1(VALU_DEP_3)
	v_add_f64_e64 v[38:39], v[38:39], -v[34:35]
	v_add_f64_e64 v[10:11], v[10:11], -v[34:35]
	v_add_f64_e32 v[44:45], v[42:43], v[14:15]
	s_delay_alu instid0(VALU_DEP_3) | instskip(NEXT) | instid1(VALU_DEP_2)
	v_add_f64_e64 v[34:35], v[40:41], -v[38:39]
	v_add_f64_e64 v[38:39], v[44:45], -v[42:43]
	s_delay_alu instid0(VALU_DEP_2) | instskip(NEXT) | instid1(VALU_DEP_2)
	v_add_f64_e32 v[10:11], v[10:11], v[34:35]
	v_add_f64_e64 v[14:15], v[14:15], -v[38:39]
	s_delay_alu instid0(VALU_DEP_1) | instskip(NEXT) | instid1(VALU_DEP_1)
	v_add_f64_e32 v[10:11], v[10:11], v[14:15]
	v_add_f64_e32 v[10:11], v[44:45], v[10:11]
	s_delay_alu instid0(VALU_DEP_1) | instskip(SKIP_1) | instid1(VALU_DEP_2)
	v_dual_cndmask_b32 v8, v10, v36, vcc_lo :: v_dual_cndmask_b32 v10, v11, v37, vcc_lo
	v_cmp_ngt_f64_e32 vcc_lo, 0, v[36:37]
	v_cndmask_b32_e32 v12, 0x7ff80000, v10, vcc_lo
	v_cmp_nge_f64_e32 vcc_lo, 0, v[36:37]
	v_mov_b64_e32 v[10:11], 0x7ff8000000000000
	v_cndmask_b32_e32 v34, 0, v8, vcc_lo
	v_cmp_neq_f64_e32 vcc_lo, 0, v[36:37]
	v_cndmask_b32_e32 v35, 0xfff00000, v12, vcc_lo
.LBB197_264:                            ;   in Loop: Header=BB197_162 Depth=1
	s_or_b32 exec_lo, exec_lo, s0
                                        ; implicit-def: $vgpr14_vgpr15
                                        ; implicit-def: $vgpr36_vgpr37
	s_delay_alu instid0(SALU_CYCLE_1)
	s_mov_b32 s0, exec_lo
	v_cmpx_o_f64_e32 v[2:3], v[4:5]
	s_xor_b32 s33, exec_lo, s0
	s_cbranch_execz .LBB197_292
; %bb.265:                              ;   in Loop: Header=BB197_162 Depth=1
	v_cmp_lt_f64_e64 s0, |v[2:3]|, |v[4:5]|
	v_and_b32_e32 v12, 0x7fffffff, v3
	v_and_b32_e32 v21, 0x7fffffff, v5
	v_mov_b32_e32 v8, v4
                                        ; implicit-def: $vgpr14_vgpr15
                                        ; implicit-def: $vgpr36_vgpr37
	s_mov_b32 s1, exec_lo
	s_delay_alu instid0(VALU_DEP_2) | instskip(NEXT) | instid1(VALU_DEP_1)
	v_dual_cndmask_b32 v41, v21, v12, s0 :: v_dual_cndmask_b32 v40, v4, v2, s0
	v_cmpx_nlt_f64_e32 s[12:13], v[40:41]
	s_xor_b32 s38, exec_lo, s1
	s_cbranch_execz .LBB197_289
; %bb.266:                              ;   in Loop: Header=BB197_162 Depth=1
	v_dual_cndmask_b32 v43, v12, v21, s0 :: v_dual_cndmask_b32 v42, v2, v8, s0
                                        ; implicit-def: $vgpr14_vgpr15
                                        ; implicit-def: $vgpr36_vgpr37
	s_mov_b32 s1, exec_lo
	s_delay_alu instid0(VALU_DEP_1)
	v_cmpx_neq_f64_e32 1.0, v[42:43]
	s_xor_b32 s39, exec_lo, s1
	s_cbranch_execz .LBB197_282
; %bb.267:                              ;   in Loop: Header=BB197_162 Depth=1
	v_max_num_f64_e32 v[14:15], v[40:41], v[40:41]
	v_max_num_f64_e32 v[36:37], v[42:43], v[42:43]
	s_delay_alu instid0(VALU_DEP_1) | instskip(SKIP_1) | instid1(VALU_DEP_2)
	v_min_num_f64_e32 v[38:39], v[36:37], v[14:15]
	v_max_num_f64_e32 v[14:15], v[36:37], v[14:15]
                                        ; implicit-def: $vgpr36_vgpr37
	v_cmp_ngt_f64_e32 vcc_lo, s[14:15], v[38:39]
	s_delay_alu instid0(VALU_DEP_2) | instskip(SKIP_1) | instid1(SALU_CYCLE_1)
	v_cmp_nlt_f64_e64 s1, s[16:17], v[14:15]
                                        ; implicit-def: $vgpr14_vgpr15
	s_and_b32 s1, s1, vcc_lo
	s_and_saveexec_b32 s2, s1
	s_delay_alu instid0(SALU_CYCLE_1)
	s_xor_b32 s40, exec_lo, s2
	s_cbranch_execz .LBB197_279
; %bb.268:                              ;   in Loop: Header=BB197_162 Depth=1
                                        ; implicit-def: $vgpr14_vgpr15
                                        ; implicit-def: $vgpr36_vgpr37
	s_mov_b32 s1, exec_lo
	v_cmpx_le_f64_e32 1.0, v[42:43]
	s_xor_b32 s4, exec_lo, s1
	s_cbranch_execz .LBB197_270
; %bb.269:                              ;   in Loop: Header=BB197_162 Depth=1
	v_add_f64_e32 v[14:15], -1.0, v[42:43]
	v_cmp_eq_f64_e64 s1, 0, v[4:5]
	v_add_f64_e32 v[36:37], 1.0, v[42:43]
	v_cmp_class_f64_e64 s6, v[2:3], 0x204
	v_cmp_class_f64_e64 s5, v[4:5], 0x204
	s_delay_alu instid0(VALU_DEP_3) | instskip(NEXT) | instid1(VALU_DEP_1)
	v_mul_f64_e32 v[38:39], v[14:15], v[36:37]
	v_fmac_f64_e32 v[38:39], v[40:41], v[40:41]
	s_delay_alu instid0(VALU_DEP_1) | instskip(SKIP_2) | instid1(VALU_DEP_3)
	v_add_f64_e32 v[14:15], 1.0, v[38:39]
	v_cmp_nge_f64_e64 s2, -1.0, v[38:39]
	v_cmp_neq_f64_e64 s3, 0x7ff00000, v[38:39]
	v_frexp_mant_f64_e32 v[36:37], v[14:15]
	v_frexp_exp_i32_f64_e32 v8, v[14:15]
	v_add_f64_e32 v[40:41], -1.0, v[14:15]
	s_delay_alu instid0(VALU_DEP_3) | instskip(NEXT) | instid1(VALU_DEP_2)
	v_cmp_gt_f64_e32 vcc_lo, s[20:21], v[36:37]
	v_add_f64_e64 v[36:37], v[40:41], -v[14:15]
	v_add_f64_e64 v[40:41], v[38:39], -v[40:41]
	v_subrev_co_ci_u32_e64 v8, null, 0, v8, vcc_lo
	s_delay_alu instid0(VALU_DEP_3) | instskip(NEXT) | instid1(VALU_DEP_2)
	v_add_f64_e32 v[36:37], 1.0, v[36:37]
	v_sub_nc_u32_e32 v12, 0, v8
	s_delay_alu instid0(VALU_DEP_1) | instskip(NEXT) | instid1(VALU_DEP_3)
	v_ldexp_f64 v[14:15], v[14:15], v12
	v_add_f64_e32 v[36:37], v[40:41], v[36:37]
	s_delay_alu instid0(VALU_DEP_2) | instskip(SKIP_1) | instid1(VALU_DEP_3)
	v_add_f64_e32 v[42:43], 1.0, v[14:15]
	v_add_f64_e32 v[48:49], -1.0, v[14:15]
	v_ldexp_f64 v[36:37], v[36:37], v12
	s_delay_alu instid0(VALU_DEP_3) | instskip(NEXT) | instid1(VALU_DEP_3)
	v_add_f64_e32 v[40:41], -1.0, v[42:43]
	v_add_f64_e32 v[50:51], 1.0, v[48:49]
	s_delay_alu instid0(VALU_DEP_2) | instskip(NEXT) | instid1(VALU_DEP_2)
	v_add_f64_e64 v[40:41], v[14:15], -v[40:41]
	v_add_f64_e64 v[14:15], v[14:15], -v[50:51]
	s_delay_alu instid0(VALU_DEP_2) | instskip(NEXT) | instid1(VALU_DEP_2)
	v_add_f64_e32 v[40:41], v[36:37], v[40:41]
	v_add_f64_e32 v[14:15], v[36:37], v[14:15]
	s_delay_alu instid0(VALU_DEP_2) | instskip(NEXT) | instid1(VALU_DEP_2)
	v_add_f64_e32 v[44:45], v[42:43], v[40:41]
	v_add_f64_e32 v[50:51], v[48:49], v[14:15]
	s_delay_alu instid0(VALU_DEP_2) | instskip(SKIP_1) | instid1(VALU_DEP_2)
	v_rcp_f64_e32 v[46:47], v[44:45]
	v_add_f64_e64 v[42:43], v[44:45], -v[42:43]
	v_add_f64_e64 v[48:49], v[50:51], -v[48:49]
	s_delay_alu instid0(VALU_DEP_2) | instskip(NEXT) | instid1(VALU_DEP_2)
	v_add_f64_e64 v[40:41], v[40:41], -v[42:43]
	v_add_f64_e64 v[14:15], v[14:15], -v[48:49]
	s_delay_alu instid0(TRANS32_DEP_1) | instskip(NEXT) | instid1(VALU_DEP_1)
	v_fma_f64 v[52:53], -v[44:45], v[46:47], 1.0
	v_fmac_f64_e32 v[46:47], v[52:53], v[46:47]
	s_delay_alu instid0(VALU_DEP_1) | instskip(NEXT) | instid1(VALU_DEP_1)
	v_fma_f64 v[36:37], -v[44:45], v[46:47], 1.0
	v_fmac_f64_e32 v[46:47], v[36:37], v[46:47]
	s_delay_alu instid0(VALU_DEP_1) | instskip(NEXT) | instid1(VALU_DEP_1)
	v_mul_f64_e32 v[36:37], v[50:51], v[46:47]
	v_mul_f64_e32 v[52:53], v[44:45], v[36:37]
	s_delay_alu instid0(VALU_DEP_1) | instskip(NEXT) | instid1(VALU_DEP_1)
	v_fma_f64 v[42:43], v[36:37], v[44:45], -v[52:53]
	v_fmac_f64_e32 v[42:43], v[36:37], v[40:41]
	s_delay_alu instid0(VALU_DEP_1) | instskip(NEXT) | instid1(VALU_DEP_1)
	v_add_f64_e32 v[54:55], v[52:53], v[42:43]
	v_add_f64_e64 v[56:57], v[50:51], -v[54:55]
	v_add_f64_e64 v[48:49], v[54:55], -v[52:53]
	s_delay_alu instid0(VALU_DEP_2) | instskip(NEXT) | instid1(VALU_DEP_2)
	v_add_f64_e64 v[50:51], v[50:51], -v[56:57]
	v_add_f64_e64 v[42:43], v[48:49], -v[42:43]
	s_delay_alu instid0(VALU_DEP_2) | instskip(NEXT) | instid1(VALU_DEP_1)
	v_add_f64_e64 v[50:51], v[50:51], -v[54:55]
	v_add_f64_e32 v[14:15], v[14:15], v[50:51]
	s_delay_alu instid0(VALU_DEP_1) | instskip(NEXT) | instid1(VALU_DEP_1)
	v_add_f64_e32 v[14:15], v[42:43], v[14:15]
	v_add_f64_e32 v[42:43], v[56:57], v[14:15]
	s_delay_alu instid0(VALU_DEP_1) | instskip(SKIP_1) | instid1(VALU_DEP_2)
	v_mul_f64_e32 v[48:49], v[46:47], v[42:43]
	v_add_f64_e64 v[54:55], v[56:57], -v[42:43]
	v_mul_f64_e32 v[50:51], v[44:45], v[48:49]
	s_delay_alu instid0(VALU_DEP_2) | instskip(NEXT) | instid1(VALU_DEP_2)
	v_add_f64_e32 v[14:15], v[14:15], v[54:55]
	v_fma_f64 v[44:45], v[48:49], v[44:45], -v[50:51]
	s_delay_alu instid0(VALU_DEP_1) | instskip(NEXT) | instid1(VALU_DEP_1)
	v_fmac_f64_e32 v[44:45], v[48:49], v[40:41]
	v_add_f64_e32 v[40:41], v[50:51], v[44:45]
	s_delay_alu instid0(VALU_DEP_1) | instskip(SKIP_1) | instid1(VALU_DEP_2)
	v_add_f64_e64 v[52:53], v[42:43], -v[40:41]
	v_add_f64_e64 v[50:51], v[40:41], -v[50:51]
	;; [unrolled: 1-line block ×3, first 2 shown]
	s_delay_alu instid0(VALU_DEP_1) | instskip(NEXT) | instid1(VALU_DEP_3)
	v_add_f64_e64 v[40:41], v[42:43], -v[40:41]
	v_add_f64_e64 v[42:43], v[50:51], -v[44:45]
	v_max_num_f64_e64 v[44:45], |v[2:3]|, |v[2:3]|
	s_delay_alu instid0(VALU_DEP_3) | instskip(SKIP_1) | instid1(VALU_DEP_2)
	v_add_f64_e32 v[14:15], v[14:15], v[40:41]
	v_add_f64_e32 v[40:41], v[36:37], v[48:49]
	;; [unrolled: 1-line block ×3, first 2 shown]
	s_delay_alu instid0(VALU_DEP_2) | instskip(SKIP_1) | instid1(VALU_DEP_3)
	v_add_f64_e64 v[36:37], v[40:41], -v[36:37]
	v_max_num_f64_e64 v[42:43], |v[4:5]|, |v[4:5]|
	v_add_f64_e32 v[14:15], v[52:53], v[14:15]
	s_delay_alu instid0(VALU_DEP_3) | instskip(NEXT) | instid1(VALU_DEP_2)
	v_add_f64_e64 v[36:37], v[48:49], -v[36:37]
	v_mul_f64_e32 v[14:15], v[46:47], v[14:15]
	s_delay_alu instid0(VALU_DEP_1) | instskip(SKIP_2) | instid1(VALU_DEP_3)
	v_add_f64_e32 v[14:15], v[36:37], v[14:15]
	v_max_num_f64_e32 v[36:37], v[44:45], v[42:43]
	v_min_num_f64_e32 v[42:43], v[44:45], v[42:43]
	v_add_f64_e32 v[44:45], v[40:41], v[14:15]
	s_delay_alu instid0(VALU_DEP_2) | instskip(NEXT) | instid1(VALU_DEP_2)
	v_div_scale_f64 v[46:47], null, v[36:37], v[36:37], v[42:43]
	v_mul_f64_e32 v[48:49], v[44:45], v[44:45]
	v_add_f64_e64 v[40:41], v[44:45], -v[40:41]
	s_delay_alu instid0(VALU_DEP_3) | instskip(NEXT) | instid1(VALU_DEP_2)
	v_rcp_f64_e32 v[50:51], v[46:47]
	v_fmamk_f64 v[52:53], v[48:49], 0x3fc3ab76bf559e2b, v[22:23]
	v_mul_f64_e32 v[54:55], v[44:45], v[48:49]
	s_delay_alu instid0(VALU_DEP_3) | instskip(NEXT) | instid1(VALU_DEP_3)
	v_add_f64_e64 v[14:15], v[14:15], -v[40:41]
	v_fmaak_f64 v[52:53], v[48:49], v[52:53], 0x3fc7474dd7f4df2e
	s_delay_alu instid0(TRANS32_DEP_1) | instskip(NEXT) | instid1(VALU_DEP_2)
	v_fma_f64 v[56:57], -v[46:47], v[50:51], 1.0
	v_fmaak_f64 v[52:53], v[48:49], v[52:53], 0x3fcc71c016291751
	s_delay_alu instid0(VALU_DEP_1) | instskip(NEXT) | instid1(VALU_DEP_1)
	v_fmaak_f64 v[52:53], v[48:49], v[52:53], 0x3fd249249b27acf1
	v_fmaak_f64 v[52:53], v[48:49], v[52:53], 0x3fd99999998ef7b6
	v_ldexp_f64 v[14:15], v[14:15], 1
	s_delay_alu instid0(VALU_DEP_2) | instskip(SKIP_2) | instid1(VALU_DEP_3)
	v_fmaak_f64 v[48:49], v[48:49], v[52:53], 0x3fe5555555555780
	v_ldexp_f64 v[52:53], v[44:45], 1
	v_fmac_f64_e32 v[50:51], v[50:51], v[56:57]
	v_mul_f64_e32 v[48:49], v[54:55], v[48:49]
	v_cvt_f64_i32_e32 v[54:55], v8
	v_ashrrev_i32_e32 v8, 31, v3
	s_delay_alu instid0(VALU_DEP_1) | instskip(SKIP_3) | instid1(VALU_DEP_3)
	v_and_b32_e32 v16, 0x54442d18, v8
	v_fma_f64 v[56:57], -v[46:47], v[50:51], 1.0
	v_add_f64_e32 v[44:45], v[52:53], v[48:49]
	v_mul_f64_e32 v[58:59], 0x3fe62e42fefa39ef, v[54:55]
	v_fmac_f64_e32 v[50:51], v[50:51], v[56:57]
	s_delay_alu instid0(VALU_DEP_3) | instskip(SKIP_1) | instid1(VALU_DEP_4)
	v_add_f64_e64 v[40:41], v[44:45], -v[52:53]
	v_div_scale_f64 v[52:53], vcc_lo, v[42:43], v[36:37], v[42:43]
	v_fma_f64 v[56:57], v[54:55], s[22:23], -v[58:59]
	s_delay_alu instid0(VALU_DEP_3) | instskip(NEXT) | instid1(VALU_DEP_3)
	v_add_f64_e64 v[40:41], v[48:49], -v[40:41]
	v_mul_f64_e32 v[48:49], v[52:53], v[50:51]
	s_delay_alu instid0(VALU_DEP_3) | instskip(NEXT) | instid1(VALU_DEP_3)
	v_fmac_f64_e32 v[56:57], 0x3c7abc9e3b39803f, v[54:55]
	v_add_f64_e32 v[14:15], v[14:15], v[40:41]
	s_delay_alu instid0(VALU_DEP_3) | instskip(NEXT) | instid1(VALU_DEP_3)
	v_fma_f64 v[40:41], -v[46:47], v[48:49], v[52:53]
	v_add_f64_e32 v[46:47], v[58:59], v[56:57]
	s_delay_alu instid0(VALU_DEP_3) | instskip(NEXT) | instid1(VALU_DEP_3)
	v_add_f64_e32 v[52:53], v[44:45], v[14:15]
	v_div_fmas_f64 v[40:41], v[40:41], v[50:51], v[48:49]
	v_cmp_gt_i32_e32 vcc_lo, 0, v3
	s_delay_alu instid0(VALU_DEP_4) | instskip(SKIP_3) | instid1(VALU_DEP_1)
	v_add_f64_e64 v[50:51], v[46:47], -v[58:59]
	v_and_b32_e32 v3, 0x400921fb, v8
	v_cndmask_b32_e32 v12, 0x54442d18, v60, vcc_lo
	v_cndmask_b32_e32 v2, 0x3fe921fb, v61, vcc_lo
	v_bfi_b32 v2, 0x7fffffff, v2, v5
	v_add_f64_e32 v[48:49], v[46:47], v[52:53]
	v_div_fixup_f64 v[36:37], v[40:41], v[36:37], v[42:43]
	v_add_f64_e64 v[44:45], v[52:53], -v[44:45]
	v_add_f64_e64 v[50:51], v[56:57], -v[50:51]
	s_delay_alu instid0(VALU_DEP_4) | instskip(NEXT) | instid1(VALU_DEP_4)
	v_add_f64_e64 v[40:41], v[48:49], -v[46:47]
	v_mul_f64_e32 v[42:43], v[36:37], v[36:37]
	s_delay_alu instid0(VALU_DEP_4) | instskip(NEXT) | instid1(VALU_DEP_3)
	v_add_f64_e64 v[14:15], v[14:15], -v[44:45]
	v_add_f64_e64 v[54:55], v[48:49], -v[40:41]
	s_delay_alu instid0(VALU_DEP_3) | instskip(SKIP_1) | instid1(VALU_DEP_4)
	v_fmamk_f64 v[58:59], v[42:43], 0x3eeba404b5e68a13, v[24:25]
	v_add_f64_e64 v[40:41], v[52:53], -v[40:41]
	v_add_f64_e32 v[52:53], v[50:51], v[14:15]
	s_delay_alu instid0(VALU_DEP_3) | instskip(SKIP_1) | instid1(VALU_DEP_2)
	v_fmaak_f64 v[58:59], v[42:43], v[58:59], 0x3f4b2bb069efb384
	v_add_f64_e64 v[44:45], v[46:47], -v[54:55]
	v_fmaak_f64 v[46:47], v[42:43], v[58:59], 0xbf67952daf56de9b
	s_delay_alu instid0(VALU_DEP_1) | instskip(NEXT) | instid1(VALU_DEP_1)
	v_fmaak_f64 v[46:47], v[42:43], v[46:47], 0x3f7d6d43a595c56f
	v_fmaak_f64 v[46:47], v[42:43], v[46:47], 0xbf8c6ea4a57d9582
	s_delay_alu instid0(VALU_DEP_1) | instskip(NEXT) | instid1(VALU_DEP_1)
	v_fmaak_f64 v[46:47], v[42:43], v[46:47], 0x3f967e295f08b19f
	v_fmaak_f64 v[46:47], v[42:43], v[46:47], 0xbf9e9ae6fc27006a
	v_add_f64_e32 v[40:41], v[40:41], v[44:45]
	s_delay_alu instid0(VALU_DEP_2) | instskip(SKIP_1) | instid1(VALU_DEP_2)
	v_fmaak_f64 v[44:45], v[42:43], v[46:47], 0x3fa2c15b5711927a
	v_add_f64_e64 v[46:47], v[52:53], -v[50:51]
	v_fmaak_f64 v[44:45], v[42:43], v[44:45], 0xbfa59976e82d3ff0
	s_delay_alu instid0(VALU_DEP_1) | instskip(NEXT) | instid1(VALU_DEP_1)
	v_fmaak_f64 v[44:45], v[42:43], v[44:45], 0x3fa82d5d6ef28734
	v_fmaak_f64 v[44:45], v[42:43], v[44:45], 0xbfaae5ce6a214619
	s_delay_alu instid0(VALU_DEP_1) | instskip(SKIP_3) | instid1(VALU_DEP_4)
	v_fmaak_f64 v[44:45], v[42:43], v[44:45], 0x3fae1bb48427b883
	v_add_f64_e32 v[40:41], v[52:53], v[40:41]
	v_add_f64_e64 v[52:53], v[52:53], -v[46:47]
	v_add_f64_e64 v[14:15], v[14:15], -v[46:47]
	v_fmaak_f64 v[44:45], v[42:43], v[44:45], 0xbfb110e48b207f05
	s_delay_alu instid0(VALU_DEP_1) | instskip(NEXT) | instid1(VALU_DEP_1)
	v_fmaak_f64 v[44:45], v[42:43], v[44:45], 0x3fb3b13657b87036
	v_fmaak_f64 v[44:45], v[42:43], v[44:45], 0xbfb745d119378e4f
	s_delay_alu instid0(VALU_DEP_1) | instskip(SKIP_1) | instid1(VALU_DEP_2)
	v_fmaak_f64 v[44:45], v[42:43], v[44:45], 0x3fbc71c717e1913c
	v_add_f64_e32 v[54:55], v[48:49], v[40:41]
	v_fmaak_f64 v[44:45], v[42:43], v[44:45], 0xbfc2492492376b7d
	s_delay_alu instid0(VALU_DEP_1) | instskip(NEXT) | instid1(VALU_DEP_1)
	v_fmaak_f64 v[44:45], v[42:43], v[44:45], 0x3fc99999999952cc
	v_fmaak_f64 v[44:45], v[42:43], v[44:45], 0xbfd5555555555523
	s_delay_alu instid0(VALU_DEP_1) | instskip(SKIP_2) | instid1(VALU_DEP_3)
	v_mul_f64_e32 v[42:43], v[42:43], v[44:45]
	v_add_f64_e64 v[44:45], v[50:51], -v[52:53]
	v_add_f64_e64 v[46:47], v[54:55], -v[48:49]
	v_fmac_f64_e32 v[36:37], v[36:37], v[42:43]
	s_delay_alu instid0(VALU_DEP_3) | instskip(NEXT) | instid1(VALU_DEP_3)
	v_add_f64_e32 v[14:15], v[14:15], v[44:45]
	v_add_f64_e64 v[40:41], v[40:41], -v[46:47]
	s_delay_alu instid0(VALU_DEP_3) | instskip(NEXT) | instid1(VALU_DEP_1)
	v_add_f64_e64 v[42:43], -v[36:37], s[24:25]
	v_dual_add_f64 v[14:15], v[14:15], v[40:41] :: v_dual_cndmask_b32 v37, v37, v43, s0
	s_delay_alu instid0(VALU_DEP_2) | instskip(NEXT) | instid1(VALU_DEP_1)
	v_cndmask_b32_e64 v36, v36, v42, s0
                                        ; implicit-def: $vgpr42_vgpr43
	v_add_f64_e64 v[40:41], -v[36:37], s[26:27]
	s_delay_alu instid0(VALU_DEP_1) | instskip(NEXT) | instid1(VALU_DEP_2)
	v_dual_add_f64 v[14:15], v[54:55], v[14:15] :: v_dual_cndmask_b32 v21, v36, v40, vcc_lo
	v_cndmask_b32_e32 v8, v37, v41, vcc_lo
	v_cmp_ngt_f64_e32 vcc_lo, -1.0, v[38:39]
	s_delay_alu instid0(VALU_DEP_3) | instskip(NEXT) | instid1(VALU_DEP_3)
	v_mul_f64_e32 v[14:15], 0.5, v[14:15]
                                        ; implicit-def: $vgpr40_vgpr41
	v_dual_cndmask_b32 v16, v21, v16, s1 :: v_dual_cndmask_b32 v3, v8, v3, s1
	s_and_b32 s1, s2, s3
	s_delay_alu instid0(VALU_DEP_2) | instid1(SALU_CYCLE_1)
	v_cndmask_b32_e64 v14, 0, v14, s1
	v_cmp_neq_f64_e64 s1, -1.0, v[38:39]
	s_delay_alu instid0(VALU_DEP_4) | instskip(NEXT) | instid1(VALU_DEP_1)
	v_cndmask_b32_e64 v15, 0x7ff00000, v15, s3
	v_cndmask_b32_e32 v8, 0x7ff80000, v15, vcc_lo
	s_and_b32 vcc_lo, s6, s5
	v_dual_cndmask_b32 v37, v3, v2 :: v_dual_cndmask_b32 v36, v16, v12
	s_delay_alu instid0(VALU_DEP_2)
	v_cndmask_b32_e64 v15, 0xfff00000, v8, s1
.LBB197_270:                            ;   in Loop: Header=BB197_162 Depth=1
	s_and_not1_saveexec_b32 s41, s4
	s_cbranch_execz .LBB197_278
; %bb.271:                              ;   in Loop: Header=BB197_162 Depth=1
	v_mul_f64_e32 v[38:39], v[40:41], v[40:41]
                                        ; implicit-def: $vgpr14_vgpr15
                                        ; implicit-def: $vgpr36_vgpr37
	s_mov_b32 s1, exec_lo
	s_delay_alu instid0(VALU_DEP_1) | instskip(NEXT) | instid1(VALU_DEP_1)
	v_fmac_f64_e32 v[38:39], v[42:43], v[42:43]
	v_cmpx_ge_f64_e32 s[28:29], v[38:39]
	s_xor_b32 s3, exec_lo, s1
	s_cbranch_execz .LBB197_273
; %bb.272:                              ;   in Loop: Header=BB197_162 Depth=1
	v_frexp_mant_f64_e32 v[14:15], v[38:39]
	v_cmp_eq_f64_e64 s1, 0, v[4:5]
	v_cmp_neq_f64_e64 s2, 0, v[38:39]
	v_cmp_class_f64_e64 s4, v[4:5], 0x204
	v_cmp_class_f64_e64 s5, v[2:3], 0x204
	v_cmp_gt_f64_e32 vcc_lo, s[20:21], v[14:15]
	v_cndmask_b32_e64 v8, 0, 1, vcc_lo
	s_delay_alu instid0(VALU_DEP_1) | instskip(SKIP_1) | instid1(VALU_DEP_2)
	v_ldexp_f64 v[14:15], v[14:15], v8
	v_frexp_exp_i32_f64_e32 v8, v[38:39]
	v_add_f64_e32 v[36:37], 1.0, v[14:15]
	v_add_f64_e32 v[44:45], -1.0, v[14:15]
	s_delay_alu instid0(VALU_DEP_3) | instskip(NEXT) | instid1(VALU_DEP_3)
	v_subrev_co_ci_u32_e64 v8, null, 0, v8, vcc_lo
	v_rcp_f64_e32 v[40:41], v[36:37]
	v_add_f64_e32 v[46:47], -1.0, v[36:37]
	s_delay_alu instid0(VALU_DEP_1) | instskip(NEXT) | instid1(TRANS32_DEP_1)
	v_add_f64_e64 v[14:15], v[14:15], -v[46:47]
	v_fma_f64 v[42:43], -v[36:37], v[40:41], 1.0
	s_delay_alu instid0(VALU_DEP_1) | instskip(NEXT) | instid1(VALU_DEP_1)
	v_fmac_f64_e32 v[40:41], v[42:43], v[40:41]
	v_fma_f64 v[42:43], -v[36:37], v[40:41], 1.0
	s_delay_alu instid0(VALU_DEP_1) | instskip(NEXT) | instid1(VALU_DEP_1)
	v_fmac_f64_e32 v[40:41], v[42:43], v[40:41]
	v_mul_f64_e32 v[42:43], v[44:45], v[40:41]
	s_delay_alu instid0(VALU_DEP_1) | instskip(NEXT) | instid1(VALU_DEP_1)
	v_mul_f64_e32 v[48:49], v[36:37], v[42:43]
	v_fma_f64 v[36:37], v[42:43], v[36:37], -v[48:49]
	s_delay_alu instid0(VALU_DEP_1) | instskip(NEXT) | instid1(VALU_DEP_1)
	v_fmac_f64_e32 v[36:37], v[42:43], v[14:15]
	v_add_f64_e32 v[14:15], v[48:49], v[36:37]
	s_delay_alu instid0(VALU_DEP_1) | instskip(SKIP_1) | instid1(VALU_DEP_2)
	v_add_f64_e64 v[46:47], v[44:45], -v[14:15]
	v_add_f64_e64 v[48:49], v[14:15], -v[48:49]
	;; [unrolled: 1-line block ×3, first 2 shown]
	s_delay_alu instid0(VALU_DEP_2) | instskip(NEXT) | instid1(VALU_DEP_2)
	v_add_f64_e64 v[36:37], v[48:49], -v[36:37]
	v_add_f64_e64 v[14:15], v[44:45], -v[14:15]
	v_max_num_f64_e64 v[44:45], |v[2:3]|, |v[2:3]|
	s_delay_alu instid0(VALU_DEP_2) | instskip(SKIP_1) | instid1(VALU_DEP_2)
	v_add_f64_e32 v[14:15], v[36:37], v[14:15]
	v_max_num_f64_e64 v[36:37], |v[4:5]|, |v[4:5]|
	v_add_f64_e32 v[14:15], v[46:47], v[14:15]
	s_delay_alu instid0(VALU_DEP_1) | instskip(NEXT) | instid1(VALU_DEP_3)
	v_mul_f64_e32 v[14:15], v[40:41], v[14:15]
	v_max_num_f64_e32 v[40:41], v[44:45], v[36:37]
	v_min_num_f64_e32 v[36:37], v[44:45], v[36:37]
	s_delay_alu instid0(VALU_DEP_3) | instskip(NEXT) | instid1(VALU_DEP_2)
	v_add_f64_e32 v[44:45], v[42:43], v[14:15]
	v_div_scale_f64 v[46:47], null, v[40:41], v[40:41], v[36:37]
	s_delay_alu instid0(VALU_DEP_2) | instskip(NEXT) | instid1(VALU_DEP_2)
	v_mul_f64_e32 v[48:49], v[44:45], v[44:45]
	v_rcp_f64_e32 v[50:51], v[46:47]
	s_delay_alu instid0(VALU_DEP_1) | instskip(SKIP_1) | instid1(VALU_DEP_2)
	v_fmamk_f64 v[52:53], v[48:49], 0x3fc3ab76bf559e2b, v[22:23]
	v_mul_f64_e32 v[54:55], v[44:45], v[48:49]
	v_fmaak_f64 v[52:53], v[48:49], v[52:53], 0x3fc7474dd7f4df2e
	s_delay_alu instid0(TRANS32_DEP_1) | instskip(NEXT) | instid1(VALU_DEP_2)
	v_fma_f64 v[56:57], -v[46:47], v[50:51], 1.0
	v_fmaak_f64 v[52:53], v[48:49], v[52:53], 0x3fcc71c016291751
	s_delay_alu instid0(VALU_DEP_1) | instskip(NEXT) | instid1(VALU_DEP_1)
	v_fmaak_f64 v[52:53], v[48:49], v[52:53], 0x3fd249249b27acf1
	v_fmaak_f64 v[52:53], v[48:49], v[52:53], 0x3fd99999998ef7b6
	s_delay_alu instid0(VALU_DEP_1) | instskip(SKIP_2) | instid1(VALU_DEP_3)
	v_fmaak_f64 v[48:49], v[48:49], v[52:53], 0x3fe5555555555780
	v_ldexp_f64 v[52:53], v[44:45], 1
	v_fmac_f64_e32 v[50:51], v[50:51], v[56:57]
	v_mul_f64_e32 v[48:49], v[54:55], v[48:49]
	v_cvt_f64_i32_e32 v[54:55], v8
	v_ashrrev_i32_e32 v8, 31, v3
	v_add_f64_e64 v[42:43], v[44:45], -v[42:43]
	s_delay_alu instid0(VALU_DEP_2)
	v_and_b32_e32 v16, 0x54442d18, v8
	v_and_b32_e32 v8, 0x400921fb, v8
	v_fma_f64 v[56:57], -v[46:47], v[50:51], 1.0
	v_add_f64_e32 v[44:45], v[52:53], v[48:49]
	v_mul_f64_e32 v[58:59], 0x3fe62e42fefa39ef, v[54:55]
	v_add_f64_e64 v[14:15], v[14:15], -v[42:43]
	s_delay_alu instid0(VALU_DEP_4) | instskip(NEXT) | instid1(VALU_DEP_4)
	v_fmac_f64_e32 v[50:51], v[50:51], v[56:57]
	v_add_f64_e64 v[42:43], v[44:45], -v[52:53]
	v_div_scale_f64 v[52:53], vcc_lo, v[36:37], v[40:41], v[36:37]
	v_fma_f64 v[56:57], v[54:55], s[22:23], -v[58:59]
	v_ldexp_f64 v[14:15], v[14:15], 1
	s_delay_alu instid0(VALU_DEP_4) | instskip(NEXT) | instid1(VALU_DEP_4)
	v_add_f64_e64 v[42:43], v[48:49], -v[42:43]
	v_mul_f64_e32 v[48:49], v[52:53], v[50:51]
	s_delay_alu instid0(VALU_DEP_4) | instskip(NEXT) | instid1(VALU_DEP_3)
	v_fmac_f64_e32 v[56:57], 0x3c7abc9e3b39803f, v[54:55]
	v_add_f64_e32 v[14:15], v[14:15], v[42:43]
	s_delay_alu instid0(VALU_DEP_3) | instskip(NEXT) | instid1(VALU_DEP_3)
	v_fma_f64 v[42:43], -v[46:47], v[48:49], v[52:53]
	v_add_f64_e32 v[46:47], v[58:59], v[56:57]
	s_delay_alu instid0(VALU_DEP_3) | instskip(NEXT) | instid1(VALU_DEP_3)
	v_add_f64_e32 v[52:53], v[44:45], v[14:15]
	v_div_fmas_f64 v[42:43], v[42:43], v[50:51], v[48:49]
	v_cmp_gt_i32_e32 vcc_lo, 0, v3
	s_delay_alu instid0(VALU_DEP_4)
	v_add_f64_e64 v[50:51], v[46:47], -v[58:59]
	v_cndmask_b32_e32 v12, 0x54442d18, v60, vcc_lo
	v_add_f64_e32 v[48:49], v[46:47], v[52:53]
	v_div_fixup_f64 v[36:37], v[42:43], v[40:41], v[36:37]
	v_add_f64_e64 v[44:45], v[52:53], -v[44:45]
	v_add_f64_e64 v[50:51], v[56:57], -v[50:51]
	s_delay_alu instid0(VALU_DEP_4) | instskip(NEXT) | instid1(VALU_DEP_4)
	v_add_f64_e64 v[40:41], v[48:49], -v[46:47]
	v_mul_f64_e32 v[42:43], v[36:37], v[36:37]
	s_delay_alu instid0(VALU_DEP_4) | instskip(NEXT) | instid1(VALU_DEP_3)
	v_add_f64_e64 v[14:15], v[14:15], -v[44:45]
	v_add_f64_e64 v[54:55], v[48:49], -v[40:41]
	s_delay_alu instid0(VALU_DEP_3) | instskip(SKIP_1) | instid1(VALU_DEP_4)
	v_fmamk_f64 v[58:59], v[42:43], 0x3eeba404b5e68a13, v[24:25]
	v_add_f64_e64 v[40:41], v[52:53], -v[40:41]
	v_add_f64_e32 v[52:53], v[50:51], v[14:15]
	s_delay_alu instid0(VALU_DEP_3) | instskip(NEXT) | instid1(VALU_DEP_1)
	v_fmaak_f64 v[58:59], v[42:43], v[58:59], 0x3f4b2bb069efb384
	v_fmaak_f64 v[58:59], v[42:43], v[58:59], 0xbf67952daf56de9b
	v_add_f64_e64 v[44:45], v[46:47], -v[54:55]
	s_delay_alu instid0(VALU_DEP_2) | instskip(NEXT) | instid1(VALU_DEP_1)
	v_fmaak_f64 v[46:47], v[42:43], v[58:59], 0x3f7d6d43a595c56f
	v_fmaak_f64 v[46:47], v[42:43], v[46:47], 0xbf8c6ea4a57d9582
	s_delay_alu instid0(VALU_DEP_1) | instskip(NEXT) | instid1(VALU_DEP_1)
	v_fmaak_f64 v[46:47], v[42:43], v[46:47], 0x3f967e295f08b19f
	v_fmaak_f64 v[46:47], v[42:43], v[46:47], 0xbf9e9ae6fc27006a
	s_delay_alu instid0(VALU_DEP_1) | instskip(SKIP_1) | instid1(VALU_DEP_2)
	v_fmaak_f64 v[46:47], v[42:43], v[46:47], 0x3fa2c15b5711927a
	v_add_f64_e32 v[40:41], v[40:41], v[44:45]
	v_fmaak_f64 v[44:45], v[42:43], v[46:47], 0xbfa59976e82d3ff0
	v_add_f64_e64 v[46:47], v[52:53], -v[50:51]
	s_delay_alu instid0(VALU_DEP_2) | instskip(NEXT) | instid1(VALU_DEP_1)
	v_fmaak_f64 v[44:45], v[42:43], v[44:45], 0x3fa82d5d6ef28734
	v_fmaak_f64 v[44:45], v[42:43], v[44:45], 0xbfaae5ce6a214619
	s_delay_alu instid0(VALU_DEP_1) | instskip(NEXT) | instid1(VALU_DEP_1)
	v_fmaak_f64 v[44:45], v[42:43], v[44:45], 0x3fae1bb48427b883
	v_fmaak_f64 v[44:45], v[42:43], v[44:45], 0xbfb110e48b207f05
	v_add_f64_e32 v[40:41], v[52:53], v[40:41]
	v_add_f64_e64 v[52:53], v[52:53], -v[46:47]
	v_add_f64_e64 v[14:15], v[14:15], -v[46:47]
	s_delay_alu instid0(VALU_DEP_4) | instskip(NEXT) | instid1(VALU_DEP_1)
	v_fmaak_f64 v[44:45], v[42:43], v[44:45], 0x3fb3b13657b87036
	v_fmaak_f64 v[44:45], v[42:43], v[44:45], 0xbfb745d119378e4f
	s_delay_alu instid0(VALU_DEP_1) | instskip(NEXT) | instid1(VALU_DEP_1)
	v_fmaak_f64 v[44:45], v[42:43], v[44:45], 0x3fbc71c717e1913c
	v_fmaak_f64 v[44:45], v[42:43], v[44:45], 0xbfc2492492376b7d
	v_add_f64_e32 v[54:55], v[48:49], v[40:41]
	s_delay_alu instid0(VALU_DEP_2) | instskip(NEXT) | instid1(VALU_DEP_1)
	v_fmaak_f64 v[44:45], v[42:43], v[44:45], 0x3fc99999999952cc
	v_fmaak_f64 v[44:45], v[42:43], v[44:45], 0xbfd5555555555523
	s_delay_alu instid0(VALU_DEP_1) | instskip(SKIP_2) | instid1(VALU_DEP_3)
	v_mul_f64_e32 v[42:43], v[42:43], v[44:45]
	v_add_f64_e64 v[44:45], v[50:51], -v[52:53]
	v_add_f64_e64 v[46:47], v[54:55], -v[48:49]
	v_fmac_f64_e32 v[36:37], v[36:37], v[42:43]
	s_delay_alu instid0(VALU_DEP_3) | instskip(NEXT) | instid1(VALU_DEP_3)
	v_add_f64_e32 v[14:15], v[14:15], v[44:45]
	v_add_f64_e64 v[40:41], v[40:41], -v[46:47]
	s_delay_alu instid0(VALU_DEP_3) | instskip(NEXT) | instid1(VALU_DEP_1)
	v_add_f64_e64 v[42:43], -v[36:37], s[24:25]
	v_dual_add_f64 v[14:15], v[14:15], v[40:41] :: v_dual_cndmask_b32 v37, v37, v43, s0
	s_delay_alu instid0(VALU_DEP_2) | instskip(NEXT) | instid1(VALU_DEP_1)
	v_cndmask_b32_e64 v36, v36, v42, s0
                                        ; implicit-def: $vgpr42_vgpr43
	v_add_f64_e64 v[40:41], -v[36:37], s[26:27]
	s_delay_alu instid0(VALU_DEP_1) | instskip(NEXT) | instid1(VALU_DEP_1)
	v_dual_add_f64 v[14:15], v[54:55], v[14:15] :: v_dual_cndmask_b32 v21, v36, v40, vcc_lo
	v_dual_mul_f64 v[2:3], 0.5, v[14:15] :: v_dual_cndmask_b32 v16, v21, v16, s1
	v_cndmask_b32_e32 v14, 0x3fe921fb, v61, vcc_lo
	s_delay_alu instid0(VALU_DEP_4) | instskip(SKIP_1) | instid1(VALU_DEP_3)
	v_cndmask_b32_e32 v15, v37, v41, vcc_lo
	s_and_b32 vcc_lo, s5, s4
                                        ; implicit-def: $vgpr40_vgpr41
	v_cndmask_b32_e32 v36, v16, v12, vcc_lo
	s_delay_alu instid0(VALU_DEP_3) | instskip(NEXT) | instid1(VALU_DEP_3)
	v_bfi_b32 v14, 0x7fffffff, v14, v5
	v_cndmask_b32_e64 v8, v15, v8, s1
	s_delay_alu instid0(VALU_DEP_1)
	v_cndmask_b32_e32 v37, v8, v14, vcc_lo
	v_cndmask_b32_e64 v15, 0xfff00000, v3, s2
	v_cndmask_b32_e64 v14, 0, v2, s2
.LBB197_273:                            ;   in Loop: Header=BB197_162 Depth=1
	s_and_not1_saveexec_b32 s42, s3
	s_cbranch_execz .LBB197_277
; %bb.274:                              ;   in Loop: Header=BB197_162 Depth=1
	v_and_b32_e32 v21, 0x7ffffff8, v43
	v_and_b32_e32 v37, 0x7ffffff8, v41
	v_mov_b32_e32 v36, v20
	s_mov_b32 s43, 0
	s_delay_alu instid0(VALU_DEP_3) | instskip(SKIP_1) | instid1(VALU_DEP_3)
	v_dual_add_f64 v[14:15], v[42:43], -v[20:21] :: v_dual_mov_b32 v44, v20
	v_mov_b32_e32 v42, v20
	v_add_f64_e64 v[38:39], v[40:41], -v[36:37]
	v_add_f64_e32 v[54:55], v[36:37], v[36:37]
	s_delay_alu instid0(VALU_DEP_4) | instskip(NEXT) | instid1(VALU_DEP_3)
	v_dual_mul_f64 v[40:41], v[36:37], v[36:37] :: v_dual_bitop2_b32 v43, -8, v15 bitop3:0x40
	v_dual_add_f64 v[46:47], v[20:21], v[20:21] :: v_dual_bitop2_b32 v45, -8, v39 bitop3:0x40
	s_delay_alu instid0(VALU_DEP_2) | instskip(SKIP_1) | instid1(VALU_DEP_3)
	v_add_f64_e64 v[56:57], v[14:15], -v[42:43]
	v_add_f64_e32 v[62:63], v[42:43], v[42:43]
	v_add_f64_e64 v[58:59], v[38:39], -v[44:45]
	v_add_f64_e32 v[64:65], v[44:45], v[44:45]
	v_mul_f64_e32 v[14:15], v[20:21], v[20:21]
	v_mul_f64_e32 v[38:39], v[54:55], v[44:45]
	;; [unrolled: 1-line block ×11, first 2 shown]
.LBB197_275:                            ;   Parent Loop BB197_162 Depth=1
                                        ; =>  This Inner Loop Header: Depth=2
	v_cmp_nlt_f64_e32 vcc_lo, v[14:15], v[40:41]
	v_dual_cndmask_b32 v59, v15, v41 :: v_dual_cndmask_b32 v58, v14, v40
	v_dual_cndmask_b32 v15, v41, v15 :: v_dual_cndmask_b32 v14, v40, v14
	s_delay_alu instid0(VALU_DEP_2) | instskip(NEXT) | instid1(VALU_DEP_1)
	v_cmp_nlt_f64_e64 s1, v[58:59], v[52:53]
	v_dual_cndmask_b32 v63, v59, v53, s1 :: v_dual_cndmask_b32 v62, v58, v52, s1
	v_dual_cndmask_b32 v41, v53, v59, s1 :: v_dual_cndmask_b32 v40, v52, v58, s1
	s_and_b32 s1, vcc_lo, s1
	s_delay_alu instid0(VALU_DEP_2) | instskip(NEXT) | instid1(VALU_DEP_1)
	v_cmp_nlt_f64_e64 s2, v[62:63], v[38:39]
	v_dual_cndmask_b32 v65, v63, v39, s2 :: v_dual_cndmask_b32 v64, v62, v38, s2
	v_dual_cndmask_b32 v53, v39, v63, s2 :: v_dual_cndmask_b32 v52, v38, v62, s2
	s_delay_alu instid0(VALU_DEP_2) | instskip(NEXT) | instid1(VALU_DEP_1)
	v_cmp_nlt_f64_e64 s3, v[64:65], v[50:51]
	v_dual_cndmask_b32 v67, v65, v51, s3 :: v_dual_cndmask_b32 v66, v64, v50, s3
	v_dual_cndmask_b32 v39, v51, v65, s3 :: v_dual_cndmask_b32 v38, v50, v64, s3
	s_and_b32 s2, s2, s3
	s_delay_alu instid0(VALU_DEP_2) | instskip(NEXT) | instid1(VALU_DEP_1)
	v_cmp_nlt_f64_e64 s4, v[66:67], v[36:37]
	v_dual_cndmask_b32 v69, v67, v37, s4 :: v_dual_cndmask_b32 v68, v66, v36, s4
	v_dual_cndmask_b32 v51, v37, v67, s4 :: v_dual_cndmask_b32 v50, v36, v66, s4
	s_delay_alu instid0(VALU_DEP_2) | instskip(NEXT) | instid1(VALU_DEP_1)
	v_cmp_nlt_f64_e64 s5, v[68:69], v[48:49]
	v_dual_cndmask_b32 v71, v69, v49, s5 :: v_dual_cndmask_b32 v70, v68, v48, s5
	s_and_b32 s3, s4, s5
	v_dual_cndmask_b32 v37, v49, v69, s5 :: v_dual_cndmask_b32 v36, v48, v68, s5
	s_delay_alu instid0(VALU_DEP_2) | instskip(NEXT) | instid1(VALU_DEP_1)
	v_cmp_nlt_f64_e64 s6, v[70:71], v[46:47]
	v_dual_cndmask_b32 v73, v71, v47, s6 :: v_dual_cndmask_b32 v72, v70, v46, s6
	s_and_b32 s3, s3, s6
	;; [unrolled: 5-line block ×6, first 2 shown]
	v_dual_cndmask_b32 v55, v57, v79, s10 :: v_dual_cndmask_b32 v54, v56, v78, s10
	s_and_b32 s2, s3, s2
	s_delay_alu instid0(VALU_DEP_2) | instskip(SKIP_1) | instid1(SALU_CYCLE_1)
	v_mov_b64_e32 v[56:57], v[58:59]
	s_and_b32 s1, s2, s1
	s_and_b32 s1, exec_lo, s1
	s_delay_alu instid0(SALU_CYCLE_1) | instskip(NEXT) | instid1(SALU_CYCLE_1)
	s_or_b32 s43, s1, s43
	s_and_not1_b32 exec_lo, exec_lo, s43
	s_cbranch_execnz .LBB197_275
; %bb.276:                              ;   in Loop: Header=BB197_162 Depth=1
	s_or_b32 exec_lo, exec_lo, s43
	v_add_f64_e32 v[14:15], -1.0, v[14:15]
	v_cmp_eq_f64_e64 s1, 0, v[4:5]
	v_cmp_class_f64_e64 s5, v[2:3], 0x204
	v_cmp_class_f64_e64 s4, v[4:5], 0x204
	s_delay_alu instid0(VALU_DEP_4) | instskip(NEXT) | instid1(VALU_DEP_1)
	v_add_f64_e32 v[14:15], v[14:15], v[40:41]
	v_add_f64_e32 v[14:15], v[14:15], v[52:53]
	s_delay_alu instid0(VALU_DEP_1) | instskip(NEXT) | instid1(VALU_DEP_1)
	v_add_f64_e32 v[14:15], v[14:15], v[38:39]
	v_add_f64_e32 v[14:15], v[14:15], v[50:51]
	s_delay_alu instid0(VALU_DEP_1) | instskip(NEXT) | instid1(VALU_DEP_1)
	;; [unrolled: 3-line block ×5, first 2 shown]
	v_add_f64_e32 v[38:39], v[58:59], v[14:15]
	v_add_f64_e32 v[14:15], 1.0, v[38:39]
	v_cmp_nge_f64_e64 s2, -1.0, v[38:39]
	v_cmp_neq_f64_e64 s3, 0x7ff00000, v[38:39]
	s_delay_alu instid0(VALU_DEP_3) | instskip(SKIP_2) | instid1(VALU_DEP_3)
	v_frexp_mant_f64_e32 v[36:37], v[14:15]
	v_frexp_exp_i32_f64_e32 v8, v[14:15]
	v_add_f64_e32 v[40:41], -1.0, v[14:15]
	v_cmp_gt_f64_e32 vcc_lo, s[20:21], v[36:37]
	s_delay_alu instid0(VALU_DEP_2) | instskip(SKIP_2) | instid1(VALU_DEP_3)
	v_add_f64_e64 v[36:37], v[40:41], -v[14:15]
	v_add_f64_e64 v[40:41], v[38:39], -v[40:41]
	v_subrev_co_ci_u32_e64 v8, null, 0, v8, vcc_lo
	v_add_f64_e32 v[36:37], 1.0, v[36:37]
	s_delay_alu instid0(VALU_DEP_2) | instskip(NEXT) | instid1(VALU_DEP_1)
	v_sub_nc_u32_e32 v12, 0, v8
	v_ldexp_f64 v[14:15], v[14:15], v12
	s_delay_alu instid0(VALU_DEP_3) | instskip(NEXT) | instid1(VALU_DEP_2)
	v_add_f64_e32 v[36:37], v[40:41], v[36:37]
	v_add_f64_e32 v[42:43], 1.0, v[14:15]
	v_add_f64_e32 v[48:49], -1.0, v[14:15]
	s_delay_alu instid0(VALU_DEP_3) | instskip(NEXT) | instid1(VALU_DEP_3)
	v_ldexp_f64 v[36:37], v[36:37], v12
	v_add_f64_e32 v[40:41], -1.0, v[42:43]
	s_delay_alu instid0(VALU_DEP_3) | instskip(NEXT) | instid1(VALU_DEP_2)
	v_add_f64_e32 v[50:51], 1.0, v[48:49]
	v_add_f64_e64 v[40:41], v[14:15], -v[40:41]
	s_delay_alu instid0(VALU_DEP_2) | instskip(NEXT) | instid1(VALU_DEP_2)
	v_add_f64_e64 v[14:15], v[14:15], -v[50:51]
	v_add_f64_e32 v[40:41], v[36:37], v[40:41]
	s_delay_alu instid0(VALU_DEP_2) | instskip(NEXT) | instid1(VALU_DEP_2)
	v_add_f64_e32 v[14:15], v[36:37], v[14:15]
	v_add_f64_e32 v[44:45], v[42:43], v[40:41]
	s_delay_alu instid0(VALU_DEP_2) | instskip(NEXT) | instid1(VALU_DEP_2)
	v_add_f64_e32 v[50:51], v[48:49], v[14:15]
	v_rcp_f64_e32 v[46:47], v[44:45]
	v_add_f64_e64 v[42:43], v[44:45], -v[42:43]
	s_delay_alu instid0(VALU_DEP_2) | instskip(NEXT) | instid1(VALU_DEP_2)
	v_add_f64_e64 v[48:49], v[50:51], -v[48:49]
	v_add_f64_e64 v[40:41], v[40:41], -v[42:43]
	s_delay_alu instid0(VALU_DEP_2) | instskip(NEXT) | instid1(TRANS32_DEP_1)
	v_add_f64_e64 v[14:15], v[14:15], -v[48:49]
	v_fma_f64 v[52:53], -v[44:45], v[46:47], 1.0
	s_delay_alu instid0(VALU_DEP_1) | instskip(NEXT) | instid1(VALU_DEP_1)
	v_fmac_f64_e32 v[46:47], v[52:53], v[46:47]
	v_fma_f64 v[36:37], -v[44:45], v[46:47], 1.0
	s_delay_alu instid0(VALU_DEP_1) | instskip(NEXT) | instid1(VALU_DEP_1)
	v_fmac_f64_e32 v[46:47], v[36:37], v[46:47]
	v_mul_f64_e32 v[36:37], v[50:51], v[46:47]
	s_delay_alu instid0(VALU_DEP_1) | instskip(NEXT) | instid1(VALU_DEP_1)
	v_mul_f64_e32 v[52:53], v[44:45], v[36:37]
	v_fma_f64 v[42:43], v[36:37], v[44:45], -v[52:53]
	s_delay_alu instid0(VALU_DEP_1) | instskip(NEXT) | instid1(VALU_DEP_1)
	v_fmac_f64_e32 v[42:43], v[36:37], v[40:41]
	v_add_f64_e32 v[54:55], v[52:53], v[42:43]
	s_delay_alu instid0(VALU_DEP_1) | instskip(SKIP_1) | instid1(VALU_DEP_2)
	v_add_f64_e64 v[56:57], v[50:51], -v[54:55]
	v_add_f64_e64 v[48:49], v[54:55], -v[52:53]
	;; [unrolled: 1-line block ×3, first 2 shown]
	s_delay_alu instid0(VALU_DEP_2) | instskip(NEXT) | instid1(VALU_DEP_2)
	v_add_f64_e64 v[42:43], v[48:49], -v[42:43]
	v_add_f64_e64 v[50:51], v[50:51], -v[54:55]
	s_delay_alu instid0(VALU_DEP_1) | instskip(NEXT) | instid1(VALU_DEP_1)
	v_add_f64_e32 v[14:15], v[14:15], v[50:51]
	v_add_f64_e32 v[14:15], v[42:43], v[14:15]
	s_delay_alu instid0(VALU_DEP_1) | instskip(NEXT) | instid1(VALU_DEP_1)
	v_add_f64_e32 v[42:43], v[56:57], v[14:15]
	v_mul_f64_e32 v[48:49], v[46:47], v[42:43]
	v_add_f64_e64 v[54:55], v[56:57], -v[42:43]
	s_delay_alu instid0(VALU_DEP_2) | instskip(NEXT) | instid1(VALU_DEP_2)
	v_mul_f64_e32 v[50:51], v[44:45], v[48:49]
	v_add_f64_e32 v[14:15], v[14:15], v[54:55]
	s_delay_alu instid0(VALU_DEP_2) | instskip(NEXT) | instid1(VALU_DEP_1)
	v_fma_f64 v[44:45], v[48:49], v[44:45], -v[50:51]
	v_fmac_f64_e32 v[44:45], v[48:49], v[40:41]
	s_delay_alu instid0(VALU_DEP_1) | instskip(NEXT) | instid1(VALU_DEP_1)
	v_add_f64_e32 v[40:41], v[50:51], v[44:45]
	v_add_f64_e64 v[52:53], v[42:43], -v[40:41]
	v_add_f64_e64 v[50:51], v[40:41], -v[50:51]
	s_delay_alu instid0(VALU_DEP_2) | instskip(NEXT) | instid1(VALU_DEP_1)
	v_add_f64_e64 v[42:43], v[42:43], -v[52:53]
	v_add_f64_e64 v[40:41], v[42:43], -v[40:41]
	s_delay_alu instid0(VALU_DEP_3) | instskip(SKIP_1) | instid1(VALU_DEP_3)
	v_add_f64_e64 v[42:43], v[50:51], -v[44:45]
	v_max_num_f64_e64 v[44:45], |v[2:3]|, |v[2:3]|
	v_add_f64_e32 v[14:15], v[14:15], v[40:41]
	v_add_f64_e32 v[40:41], v[36:37], v[48:49]
	s_delay_alu instid0(VALU_DEP_2) | instskip(NEXT) | instid1(VALU_DEP_2)
	v_add_f64_e32 v[14:15], v[42:43], v[14:15]
	v_add_f64_e64 v[36:37], v[40:41], -v[36:37]
	v_max_num_f64_e64 v[42:43], |v[4:5]|, |v[4:5]|
	s_delay_alu instid0(VALU_DEP_3) | instskip(NEXT) | instid1(VALU_DEP_3)
	v_add_f64_e32 v[14:15], v[52:53], v[14:15]
	v_add_f64_e64 v[36:37], v[48:49], -v[36:37]
	s_delay_alu instid0(VALU_DEP_2) | instskip(NEXT) | instid1(VALU_DEP_1)
	v_mul_f64_e32 v[14:15], v[46:47], v[14:15]
	v_add_f64_e32 v[14:15], v[36:37], v[14:15]
	v_max_num_f64_e32 v[36:37], v[44:45], v[42:43]
	v_min_num_f64_e32 v[42:43], v[44:45], v[42:43]
	s_delay_alu instid0(VALU_DEP_3) | instskip(NEXT) | instid1(VALU_DEP_2)
	v_add_f64_e32 v[44:45], v[40:41], v[14:15]
	v_div_scale_f64 v[46:47], null, v[36:37], v[36:37], v[42:43]
	s_delay_alu instid0(VALU_DEP_2) | instskip(SKIP_1) | instid1(VALU_DEP_3)
	v_mul_f64_e32 v[48:49], v[44:45], v[44:45]
	v_add_f64_e64 v[40:41], v[44:45], -v[40:41]
	v_rcp_f64_e32 v[50:51], v[46:47]
	s_delay_alu instid0(VALU_DEP_2) | instskip(SKIP_1) | instid1(VALU_DEP_3)
	v_fmamk_f64 v[52:53], v[48:49], 0x3fc3ab76bf559e2b, v[22:23]
	v_mul_f64_e32 v[54:55], v[44:45], v[48:49]
	v_add_f64_e64 v[14:15], v[14:15], -v[40:41]
	s_delay_alu instid0(VALU_DEP_3) | instskip(NEXT) | instid1(TRANS32_DEP_1)
	v_fmaak_f64 v[52:53], v[48:49], v[52:53], 0x3fc7474dd7f4df2e
	v_fma_f64 v[56:57], -v[46:47], v[50:51], 1.0
	s_delay_alu instid0(VALU_DEP_2) | instskip(NEXT) | instid1(VALU_DEP_1)
	v_fmaak_f64 v[52:53], v[48:49], v[52:53], 0x3fcc71c016291751
	v_fmaak_f64 v[52:53], v[48:49], v[52:53], 0x3fd249249b27acf1
	s_delay_alu instid0(VALU_DEP_1) | instskip(SKIP_1) | instid1(VALU_DEP_2)
	v_fmaak_f64 v[52:53], v[48:49], v[52:53], 0x3fd99999998ef7b6
	v_ldexp_f64 v[14:15], v[14:15], 1
	v_fmaak_f64 v[48:49], v[48:49], v[52:53], 0x3fe5555555555780
	v_ldexp_f64 v[52:53], v[44:45], 1
	v_fmac_f64_e32 v[50:51], v[50:51], v[56:57]
	s_delay_alu instid0(VALU_DEP_3) | instskip(SKIP_2) | instid1(VALU_DEP_1)
	v_mul_f64_e32 v[48:49], v[54:55], v[48:49]
	v_cvt_f64_i32_e32 v[54:55], v8
	v_ashrrev_i32_e32 v8, 31, v3
	v_and_b32_e32 v16, 0x54442d18, v8
	v_fma_f64 v[56:57], -v[46:47], v[50:51], 1.0
	v_add_f64_e32 v[44:45], v[52:53], v[48:49]
	v_mul_f64_e32 v[58:59], 0x3fe62e42fefa39ef, v[54:55]
	s_delay_alu instid0(VALU_DEP_3) | instskip(NEXT) | instid1(VALU_DEP_3)
	v_fmac_f64_e32 v[50:51], v[50:51], v[56:57]
	v_add_f64_e64 v[40:41], v[44:45], -v[52:53]
	v_div_scale_f64 v[52:53], vcc_lo, v[42:43], v[36:37], v[42:43]
	s_delay_alu instid0(VALU_DEP_4) | instskip(NEXT) | instid1(VALU_DEP_3)
	v_fma_f64 v[56:57], v[54:55], s[22:23], -v[58:59]
	v_add_f64_e64 v[40:41], v[48:49], -v[40:41]
	s_delay_alu instid0(VALU_DEP_3) | instskip(NEXT) | instid1(VALU_DEP_3)
	v_mul_f64_e32 v[48:49], v[52:53], v[50:51]
	v_fmac_f64_e32 v[56:57], 0x3c7abc9e3b39803f, v[54:55]
	s_delay_alu instid0(VALU_DEP_3) | instskip(NEXT) | instid1(VALU_DEP_3)
	v_add_f64_e32 v[14:15], v[14:15], v[40:41]
	v_fma_f64 v[40:41], -v[46:47], v[48:49], v[52:53]
	s_delay_alu instid0(VALU_DEP_3) | instskip(NEXT) | instid1(VALU_DEP_3)
	v_add_f64_e32 v[46:47], v[58:59], v[56:57]
	v_add_f64_e32 v[52:53], v[44:45], v[14:15]
	s_delay_alu instid0(VALU_DEP_3) | instskip(SKIP_1) | instid1(VALU_DEP_4)
	v_div_fmas_f64 v[40:41], v[40:41], v[50:51], v[48:49]
	v_cmp_gt_i32_e32 vcc_lo, 0, v3
	v_add_f64_e64 v[50:51], v[46:47], -v[58:59]
	v_and_b32_e32 v3, 0x400921fb, v8
	v_cndmask_b32_e32 v12, 0x54442d18, v60, vcc_lo
	v_cndmask_b32_e32 v2, 0x3fe921fb, v61, vcc_lo
	s_delay_alu instid0(VALU_DEP_1) | instskip(SKIP_4) | instid1(VALU_DEP_4)
	v_bfi_b32 v2, 0x7fffffff, v2, v5
	v_add_f64_e32 v[48:49], v[46:47], v[52:53]
	v_div_fixup_f64 v[36:37], v[40:41], v[36:37], v[42:43]
	v_add_f64_e64 v[44:45], v[52:53], -v[44:45]
	v_add_f64_e64 v[50:51], v[56:57], -v[50:51]
	;; [unrolled: 1-line block ×3, first 2 shown]
	s_delay_alu instid0(VALU_DEP_4) | instskip(NEXT) | instid1(VALU_DEP_4)
	v_mul_f64_e32 v[42:43], v[36:37], v[36:37]
	v_add_f64_e64 v[14:15], v[14:15], -v[44:45]
	s_delay_alu instid0(VALU_DEP_3) | instskip(NEXT) | instid1(VALU_DEP_3)
	v_add_f64_e64 v[54:55], v[48:49], -v[40:41]
	v_fmamk_f64 v[58:59], v[42:43], 0x3eeba404b5e68a13, v[24:25]
	v_add_f64_e64 v[40:41], v[52:53], -v[40:41]
	s_delay_alu instid0(VALU_DEP_4) | instskip(NEXT) | instid1(VALU_DEP_3)
	v_add_f64_e32 v[52:53], v[50:51], v[14:15]
	v_fmaak_f64 v[58:59], v[42:43], v[58:59], 0x3f4b2bb069efb384
	v_add_f64_e64 v[44:45], v[46:47], -v[54:55]
	s_delay_alu instid0(VALU_DEP_2) | instskip(NEXT) | instid1(VALU_DEP_1)
	v_fmaak_f64 v[46:47], v[42:43], v[58:59], 0xbf67952daf56de9b
	v_fmaak_f64 v[46:47], v[42:43], v[46:47], 0x3f7d6d43a595c56f
	s_delay_alu instid0(VALU_DEP_1) | instskip(NEXT) | instid1(VALU_DEP_1)
	v_fmaak_f64 v[46:47], v[42:43], v[46:47], 0xbf8c6ea4a57d9582
	v_fmaak_f64 v[46:47], v[42:43], v[46:47], 0x3f967e295f08b19f
	s_delay_alu instid0(VALU_DEP_1) | instskip(SKIP_1) | instid1(VALU_DEP_2)
	v_fmaak_f64 v[46:47], v[42:43], v[46:47], 0xbf9e9ae6fc27006a
	v_add_f64_e32 v[40:41], v[40:41], v[44:45]
	v_fmaak_f64 v[44:45], v[42:43], v[46:47], 0x3fa2c15b5711927a
	v_add_f64_e64 v[46:47], v[52:53], -v[50:51]
	s_delay_alu instid0(VALU_DEP_2) | instskip(NEXT) | instid1(VALU_DEP_1)
	v_fmaak_f64 v[44:45], v[42:43], v[44:45], 0xbfa59976e82d3ff0
	v_fmaak_f64 v[44:45], v[42:43], v[44:45], 0x3fa82d5d6ef28734
	s_delay_alu instid0(VALU_DEP_1) | instskip(NEXT) | instid1(VALU_DEP_1)
	v_fmaak_f64 v[44:45], v[42:43], v[44:45], 0xbfaae5ce6a214619
	v_fmaak_f64 v[44:45], v[42:43], v[44:45], 0x3fae1bb48427b883
	v_add_f64_e32 v[40:41], v[52:53], v[40:41]
	v_add_f64_e64 v[52:53], v[52:53], -v[46:47]
	v_add_f64_e64 v[14:15], v[14:15], -v[46:47]
	s_delay_alu instid0(VALU_DEP_4) | instskip(NEXT) | instid1(VALU_DEP_1)
	v_fmaak_f64 v[44:45], v[42:43], v[44:45], 0xbfb110e48b207f05
	v_fmaak_f64 v[44:45], v[42:43], v[44:45], 0x3fb3b13657b87036
	s_delay_alu instid0(VALU_DEP_1) | instskip(NEXT) | instid1(VALU_DEP_1)
	v_fmaak_f64 v[44:45], v[42:43], v[44:45], 0xbfb745d119378e4f
	v_fmaak_f64 v[44:45], v[42:43], v[44:45], 0x3fbc71c717e1913c
	v_add_f64_e32 v[54:55], v[48:49], v[40:41]
	s_delay_alu instid0(VALU_DEP_2) | instskip(NEXT) | instid1(VALU_DEP_1)
	v_fmaak_f64 v[44:45], v[42:43], v[44:45], 0xbfc2492492376b7d
	v_fmaak_f64 v[44:45], v[42:43], v[44:45], 0x3fc99999999952cc
	s_delay_alu instid0(VALU_DEP_1) | instskip(NEXT) | instid1(VALU_DEP_1)
	v_fmaak_f64 v[44:45], v[42:43], v[44:45], 0xbfd5555555555523
	v_mul_f64_e32 v[42:43], v[42:43], v[44:45]
	v_add_f64_e64 v[44:45], v[50:51], -v[52:53]
	v_add_f64_e64 v[46:47], v[54:55], -v[48:49]
	s_delay_alu instid0(VALU_DEP_3) | instskip(NEXT) | instid1(VALU_DEP_3)
	v_fmac_f64_e32 v[36:37], v[36:37], v[42:43]
	v_add_f64_e32 v[14:15], v[14:15], v[44:45]
	s_delay_alu instid0(VALU_DEP_3) | instskip(NEXT) | instid1(VALU_DEP_3)
	v_add_f64_e64 v[40:41], v[40:41], -v[46:47]
	v_add_f64_e64 v[42:43], -v[36:37], s[24:25]
	s_delay_alu instid0(VALU_DEP_1) | instskip(NEXT) | instid1(VALU_DEP_2)
	v_dual_add_f64 v[14:15], v[14:15], v[40:41] :: v_dual_cndmask_b32 v37, v37, v43, s0
	v_cndmask_b32_e64 v36, v36, v42, s0
	s_delay_alu instid0(VALU_DEP_1) | instskip(NEXT) | instid1(VALU_DEP_1)
	v_add_f64_e64 v[40:41], -v[36:37], s[26:27]
	v_dual_add_f64 v[14:15], v[54:55], v[14:15] :: v_dual_cndmask_b32 v21, v36, v40, vcc_lo
	s_delay_alu instid0(VALU_DEP_2) | instskip(SKIP_1) | instid1(VALU_DEP_3)
	v_cndmask_b32_e32 v8, v37, v41, vcc_lo
	v_cmp_ngt_f64_e32 vcc_lo, -1.0, v[38:39]
	v_dual_mul_f64 v[14:15], 0.5, v[14:15] :: v_dual_cndmask_b32 v16, v21, v16, s1
	s_delay_alu instid0(VALU_DEP_3)
	v_cndmask_b32_e64 v3, v8, v3, s1
	s_and_b32 s1, s2, s3
	s_delay_alu instid0(VALU_DEP_2) | instid1(SALU_CYCLE_1)
	v_cndmask_b32_e64 v14, 0, v14, s1
	v_cmp_neq_f64_e64 s1, -1.0, v[38:39]
	s_delay_alu instid0(VALU_DEP_4) | instskip(NEXT) | instid1(VALU_DEP_1)
	v_cndmask_b32_e64 v15, 0x7ff00000, v15, s3
	v_cndmask_b32_e32 v8, 0x7ff80000, v15, vcc_lo
	s_and_b32 vcc_lo, s5, s4
	v_dual_cndmask_b32 v37, v3, v2 :: v_dual_cndmask_b32 v36, v16, v12
	s_delay_alu instid0(VALU_DEP_2)
	v_cndmask_b32_e64 v15, 0xfff00000, v8, s1
.LBB197_277:                            ;   in Loop: Header=BB197_162 Depth=1
	s_or_b32 exec_lo, exec_lo, s42
.LBB197_278:                            ;   in Loop: Header=BB197_162 Depth=1
	s_delay_alu instid0(SALU_CYCLE_1)
	s_or_b32 exec_lo, exec_lo, s41
.LBB197_279:                            ;   in Loop: Header=BB197_162 Depth=1
	s_and_not1_saveexec_b32 s3, s40
	s_cbranch_execz .LBB197_281
; %bb.280:                              ;   in Loop: Header=BB197_162 Depth=1
	v_max_num_f64_e64 v[14:15], |v[4:5]|, |v[4:5]|
	v_max_num_f64_e64 v[36:37], |v[2:3]|, |v[2:3]|
	v_cmp_class_f64_e64 s4, v[2:3], 0x204
	v_cmp_class_f64_e64 s5, v[4:5], 0x204
	v_cmp_eq_f64_e64 s2, 0, v[4:5]
	s_delay_alu instid0(VALU_DEP_4) | instskip(SKIP_2) | instid1(VALU_DEP_2)
	v_max_num_f64_e32 v[38:39], v[36:37], v[14:15]
	v_min_num_f64_e32 v[14:15], v[36:37], v[14:15]
	s_or_b32 s1, s4, s5
	v_frexp_exp_i32_f64_e32 v8, v[38:39]
	s_delay_alu instid0(VALU_DEP_1) | instskip(NEXT) | instid1(VALU_DEP_1)
	v_sub_nc_u32_e32 v12, 0, v8
	v_ldexp_f64 v[40:41], |v[4:5]|, v12
	v_ldexp_f64 v[42:43], |v[2:3]|, v12
	s_delay_alu instid0(VALU_DEP_2) | instskip(NEXT) | instid1(VALU_DEP_1)
	v_mul_f64_e32 v[40:41], v[40:41], v[40:41]
	v_fmac_f64_e32 v[40:41], v[42:43], v[42:43]
	s_delay_alu instid0(VALU_DEP_1) | instskip(SKIP_1) | instid1(TRANS32_DEP_1)
	v_rsq_f64_e32 v[42:43], v[40:41]
	v_cmp_eq_f64_e32 vcc_lo, 0, v[40:41]
	v_mul_f64_e32 v[44:45], v[40:41], v[42:43]
	v_mul_f64_e32 v[42:43], 0.5, v[42:43]
	s_delay_alu instid0(VALU_DEP_1) | instskip(NEXT) | instid1(VALU_DEP_1)
	v_fma_f64 v[46:47], -v[42:43], v[44:45], 0.5
	v_fmac_f64_e32 v[44:45], v[44:45], v[46:47]
	v_fmac_f64_e32 v[42:43], v[42:43], v[46:47]
	s_delay_alu instid0(VALU_DEP_2) | instskip(NEXT) | instid1(VALU_DEP_1)
	v_fma_f64 v[46:47], -v[44:45], v[44:45], v[40:41]
	v_fmac_f64_e32 v[44:45], v[46:47], v[42:43]
	s_delay_alu instid0(VALU_DEP_1) | instskip(NEXT) | instid1(VALU_DEP_1)
	v_dual_cndmask_b32 v41, v45, v41 :: v_dual_cndmask_b32 v40, v44, v40
	v_ldexp_f64 v[40:41], v[40:41], v8
	v_ashrrev_i32_e32 v8, 31, v3
	s_delay_alu instid0(VALU_DEP_1) | instskip(SKIP_1) | instid1(VALU_DEP_4)
	v_and_b32_e32 v16, 0x54442d18, v8
	v_and_b32_e32 v8, 0x400921fb, v8
	v_cndmask_b32_e64 v41, v41, 0x7ff00000, s1
	v_cndmask_b32_e64 v40, v40, 0, s1
	s_delay_alu instid0(VALU_DEP_1) | instskip(SKIP_1) | instid1(VALU_DEP_2)
	v_frexp_mant_f64_e32 v[42:43], v[40:41]
	v_cmp_class_f64_e64 s1, v[40:41], 0x204
	v_cmp_gt_f64_e32 vcc_lo, s[20:21], v[42:43]
	v_cndmask_b32_e64 v2, 0, 1, vcc_lo
	s_delay_alu instid0(VALU_DEP_1) | instskip(SKIP_1) | instid1(VALU_DEP_2)
	v_ldexp_f64 v[42:43], v[42:43], v2
	v_frexp_exp_i32_f64_e32 v2, v[40:41]
	v_add_f64_e32 v[44:45], 1.0, v[42:43]
	v_add_f64_e32 v[50:51], -1.0, v[42:43]
	s_delay_alu instid0(VALU_DEP_3) | instskip(SKIP_1) | instid1(VALU_DEP_4)
	v_subrev_co_ci_u32_e64 v2, null, 0, v2, vcc_lo
	v_div_scale_f64 v[58:59], vcc_lo, v[14:15], v[38:39], v[14:15]
	v_rcp_f64_e32 v[46:47], v[44:45]
	v_add_f64_e32 v[52:53], -1.0, v[44:45]
	s_delay_alu instid0(VALU_DEP_1) | instskip(NEXT) | instid1(TRANS32_DEP_1)
	v_add_f64_e64 v[42:43], v[42:43], -v[52:53]
	v_fma_f64 v[48:49], -v[44:45], v[46:47], 1.0
	s_delay_alu instid0(VALU_DEP_1) | instskip(NEXT) | instid1(VALU_DEP_1)
	v_fmac_f64_e32 v[46:47], v[48:49], v[46:47]
	v_fma_f64 v[48:49], -v[44:45], v[46:47], 1.0
	s_delay_alu instid0(VALU_DEP_1) | instskip(NEXT) | instid1(VALU_DEP_1)
	v_fmac_f64_e32 v[46:47], v[48:49], v[46:47]
	v_mul_f64_e32 v[48:49], v[50:51], v[46:47]
	s_delay_alu instid0(VALU_DEP_1) | instskip(NEXT) | instid1(VALU_DEP_1)
	v_mul_f64_e32 v[54:55], v[44:45], v[48:49]
	v_fma_f64 v[44:45], v[48:49], v[44:45], -v[54:55]
	s_delay_alu instid0(VALU_DEP_1) | instskip(NEXT) | instid1(VALU_DEP_1)
	v_fmac_f64_e32 v[44:45], v[48:49], v[42:43]
	v_add_f64_e32 v[42:43], v[54:55], v[44:45]
	s_delay_alu instid0(VALU_DEP_1) | instskip(SKIP_1) | instid1(VALU_DEP_2)
	v_add_f64_e64 v[52:53], v[50:51], -v[42:43]
	v_add_f64_e64 v[54:55], v[42:43], -v[54:55]
	;; [unrolled: 1-line block ×3, first 2 shown]
	s_delay_alu instid0(VALU_DEP_2) | instskip(NEXT) | instid1(VALU_DEP_2)
	v_add_f64_e64 v[44:45], v[54:55], -v[44:45]
	v_add_f64_e64 v[42:43], v[50:51], -v[42:43]
	s_delay_alu instid0(VALU_DEP_1) | instskip(NEXT) | instid1(VALU_DEP_1)
	v_add_f64_e32 v[42:43], v[44:45], v[42:43]
	v_add_f64_e32 v[42:43], v[52:53], v[42:43]
	s_delay_alu instid0(VALU_DEP_1) | instskip(SKIP_1) | instid1(VALU_DEP_2)
	v_mul_f64_e32 v[36:37], v[46:47], v[42:43]
	v_div_scale_f64 v[42:43], null, v[38:39], v[38:39], v[14:15]
	v_add_f64_e32 v[44:45], v[48:49], v[36:37]
	s_delay_alu instid0(VALU_DEP_2) | instskip(NEXT) | instid1(VALU_DEP_1)
	v_rcp_f64_e32 v[46:47], v[42:43]
	v_mul_f64_e32 v[50:51], v[44:45], v[44:45]
	s_delay_alu instid0(TRANS32_DEP_1) | instskip(NEXT) | instid1(VALU_DEP_2)
	v_fma_f64 v[54:55], -v[42:43], v[46:47], 1.0
	v_fmamk_f64 v[52:53], v[50:51], 0x3fc3ab76bf559e2b, v[22:23]
	v_mul_f64_e32 v[56:57], v[44:45], v[50:51]
	s_delay_alu instid0(VALU_DEP_3) | instskip(NEXT) | instid1(VALU_DEP_3)
	v_fmac_f64_e32 v[46:47], v[46:47], v[54:55]
	v_fmaak_f64 v[52:53], v[50:51], v[52:53], 0x3fc7474dd7f4df2e
	s_delay_alu instid0(VALU_DEP_1) | instskip(NEXT) | instid1(VALU_DEP_1)
	v_fmaak_f64 v[52:53], v[50:51], v[52:53], 0x3fcc71c016291751
	v_fmaak_f64 v[52:53], v[50:51], v[52:53], 0x3fd249249b27acf1
	s_delay_alu instid0(VALU_DEP_1) | instskip(NEXT) | instid1(VALU_DEP_1)
	v_fmaak_f64 v[52:53], v[50:51], v[52:53], 0x3fd99999998ef7b6
	v_fmaak_f64 v[50:51], v[50:51], v[52:53], 0x3fe5555555555780
	v_ldexp_f64 v[52:53], v[44:45], 1
	v_add_f64_e64 v[44:45], v[44:45], -v[48:49]
	v_fma_f64 v[54:55], -v[42:43], v[46:47], 1.0
	s_delay_alu instid0(VALU_DEP_4) | instskip(SKIP_1) | instid1(VALU_DEP_4)
	v_mul_f64_e32 v[50:51], v[56:57], v[50:51]
	v_cvt_f64_i32_e32 v[56:57], v2
	v_add_f64_e64 v[36:37], v[36:37], -v[44:45]
	s_delay_alu instid0(VALU_DEP_4) | instskip(NEXT) | instid1(VALU_DEP_4)
	v_fmac_f64_e32 v[46:47], v[46:47], v[54:55]
	v_add_f64_e32 v[48:49], v[52:53], v[50:51]
	s_delay_alu instid0(VALU_DEP_4) | instskip(NEXT) | instid1(VALU_DEP_4)
	v_mul_f64_e32 v[54:55], 0x3fe62e42fefa39ef, v[56:57]
	v_ldexp_f64 v[36:37], v[36:37], 1
	s_delay_alu instid0(VALU_DEP_3) | instskip(SKIP_1) | instid1(VALU_DEP_4)
	v_add_f64_e64 v[44:45], v[48:49], -v[52:53]
	v_mul_f64_e32 v[52:53], v[58:59], v[46:47]
	v_fma_f64 v[62:63], v[56:57], s[22:23], -v[54:55]
	s_delay_alu instid0(VALU_DEP_3) | instskip(NEXT) | instid1(VALU_DEP_3)
	v_add_f64_e64 v[44:45], v[50:51], -v[44:45]
	v_fma_f64 v[42:43], -v[42:43], v[52:53], v[58:59]
	s_delay_alu instid0(VALU_DEP_3) | instskip(NEXT) | instid1(VALU_DEP_3)
	v_fmac_f64_e32 v[62:63], 0x3c7abc9e3b39803f, v[56:57]
	v_add_f64_e32 v[36:37], v[36:37], v[44:45]
	s_delay_alu instid0(VALU_DEP_3) | instskip(NEXT) | instid1(VALU_DEP_3)
	v_div_fmas_f64 v[42:43], v[42:43], v[46:47], v[52:53]
	v_add_f64_e32 v[44:45], v[54:55], v[62:63]
	v_cmp_gt_i32_e32 vcc_lo, 0, v3
	v_cndmask_b32_e32 v12, 0x54442d18, v60, vcc_lo
	v_cndmask_b32_e32 v21, 0x3fe921fb, v61, vcc_lo
	s_delay_alu instid0(VALU_DEP_1) | instskip(SKIP_3) | instid1(VALU_DEP_3)
	v_bfi_b32 v21, 0x7fffffff, v21, v5
	v_add_f64_e32 v[46:47], v[48:49], v[36:37]
	v_div_fixup_f64 v[14:15], v[42:43], v[38:39], v[14:15]
	v_add_f64_e64 v[54:55], v[44:45], -v[54:55]
	v_add_f64_e32 v[38:39], v[44:45], v[46:47]
	s_delay_alu instid0(VALU_DEP_3) | instskip(SKIP_1) | instid1(VALU_DEP_4)
	v_mul_f64_e32 v[42:43], v[14:15], v[14:15]
	v_add_f64_e64 v[48:49], v[46:47], -v[48:49]
	v_add_f64_e64 v[54:55], v[62:63], -v[54:55]
	s_delay_alu instid0(VALU_DEP_4) | instskip(NEXT) | instid1(VALU_DEP_4)
	v_add_f64_e64 v[50:51], v[38:39], -v[44:45]
	v_fmamk_f64 v[52:53], v[42:43], 0x3eeba404b5e68a13, v[24:25]
	s_delay_alu instid0(VALU_DEP_4) | instskip(NEXT) | instid1(VALU_DEP_2)
	v_add_f64_e64 v[36:37], v[36:37], -v[48:49]
	v_fmaak_f64 v[52:53], v[42:43], v[52:53], 0x3f4b2bb069efb384
	s_delay_alu instid0(VALU_DEP_1) | instskip(NEXT) | instid1(VALU_DEP_1)
	v_fmaak_f64 v[52:53], v[42:43], v[52:53], 0xbf67952daf56de9b
	v_fmaak_f64 v[52:53], v[42:43], v[52:53], 0x3f7d6d43a595c56f
	s_delay_alu instid0(VALU_DEP_1) | instskip(SKIP_3) | instid1(VALU_DEP_4)
	v_fmaak_f64 v[52:53], v[42:43], v[52:53], 0xbf8c6ea4a57d9582
	v_add_f64_e64 v[56:57], v[38:39], -v[50:51]
	v_add_f64_e64 v[46:47], v[46:47], -v[50:51]
	v_add_f64_e32 v[50:51], v[54:55], v[36:37]
	v_fmaak_f64 v[52:53], v[42:43], v[52:53], 0x3f967e295f08b19f
	s_delay_alu instid0(VALU_DEP_1) | instskip(NEXT) | instid1(VALU_DEP_1)
	v_fmaak_f64 v[48:49], v[42:43], v[52:53], 0xbf9e9ae6fc27006a
	v_fmaak_f64 v[48:49], v[42:43], v[48:49], 0x3fa2c15b5711927a
	s_delay_alu instid0(VALU_DEP_1) | instskip(NEXT) | instid1(VALU_DEP_1)
	v_fmaak_f64 v[48:49], v[42:43], v[48:49], 0xbfa59976e82d3ff0
	v_fmaak_f64 v[48:49], v[42:43], v[48:49], 0x3fa82d5d6ef28734
	v_add_f64_e64 v[44:45], v[44:45], -v[56:57]
	s_delay_alu instid0(VALU_DEP_2) | instskip(NEXT) | instid1(VALU_DEP_2)
	v_fmaak_f64 v[48:49], v[42:43], v[48:49], 0xbfaae5ce6a214619
	v_add_f64_e32 v[44:45], v[46:47], v[44:45]
	s_delay_alu instid0(VALU_DEP_2) | instskip(SKIP_1) | instid1(VALU_DEP_2)
	v_fmaak_f64 v[46:47], v[42:43], v[48:49], 0x3fae1bb48427b883
	v_add_f64_e64 v[48:49], v[50:51], -v[54:55]
	v_fmaak_f64 v[46:47], v[42:43], v[46:47], 0xbfb110e48b207f05
	s_delay_alu instid0(VALU_DEP_1) | instskip(NEXT) | instid1(VALU_DEP_1)
	v_fmaak_f64 v[46:47], v[42:43], v[46:47], 0x3fb3b13657b87036
	v_fmaak_f64 v[46:47], v[42:43], v[46:47], 0xbfb745d119378e4f
	s_delay_alu instid0(VALU_DEP_1) | instskip(SKIP_2) | instid1(VALU_DEP_3)
	v_fmaak_f64 v[46:47], v[42:43], v[46:47], 0x3fbc71c717e1913c
	v_add_f64_e32 v[44:45], v[50:51], v[44:45]
	v_add_f64_e64 v[36:37], v[36:37], -v[48:49]
	v_fmaak_f64 v[46:47], v[42:43], v[46:47], 0xbfc2492492376b7d
	s_delay_alu instid0(VALU_DEP_1) | instskip(NEXT) | instid1(VALU_DEP_1)
	v_fmaak_f64 v[46:47], v[42:43], v[46:47], 0x3fc99999999952cc
	v_fmaak_f64 v[46:47], v[42:43], v[46:47], 0xbfd5555555555523
	s_delay_alu instid0(VALU_DEP_1) | instskip(SKIP_2) | instid1(VALU_DEP_3)
	v_mul_f64_e32 v[42:43], v[42:43], v[46:47]
	v_add_f64_e64 v[46:47], v[50:51], -v[48:49]
	v_add_f64_e32 v[50:51], v[38:39], v[44:45]
	v_fmac_f64_e32 v[14:15], v[14:15], v[42:43]
	s_delay_alu instid0(VALU_DEP_3) | instskip(NEXT) | instid1(VALU_DEP_3)
	v_add_f64_e64 v[42:43], v[54:55], -v[46:47]
	v_add_f64_e64 v[38:39], v[50:51], -v[38:39]
	s_delay_alu instid0(VALU_DEP_3) | instskip(NEXT) | instid1(VALU_DEP_3)
	v_add_f64_e64 v[46:47], -v[14:15], s[24:25]
	v_add_f64_e32 v[36:37], v[36:37], v[42:43]
	s_delay_alu instid0(VALU_DEP_3) | instskip(NEXT) | instid1(VALU_DEP_3)
	v_add_f64_e64 v[38:39], v[44:45], -v[38:39]
	v_dual_cndmask_b32 v15, v15, v47, s0 :: v_dual_cndmask_b32 v14, v14, v46, s0
	s_delay_alu instid0(VALU_DEP_2) | instskip(NEXT) | instid1(VALU_DEP_2)
	v_add_f64_e32 v[36:37], v[36:37], v[38:39]
	v_add_f64_e64 v[38:39], -v[14:15], s[26:27]
	s_delay_alu instid0(VALU_DEP_2) | instskip(NEXT) | instid1(VALU_DEP_2)
	v_add_f64_e32 v[2:3], v[50:51], v[36:37]
	v_dual_cndmask_b32 v14, v14, v38 :: v_dual_cndmask_b32 v15, v15, v39
	v_cmp_ngt_f64_e32 vcc_lo, 0, v[40:41]
	s_delay_alu instid0(VALU_DEP_2) | instskip(NEXT) | instid1(VALU_DEP_3)
	v_cndmask_b32_e64 v16, v14, v16, s2
	v_cndmask_b32_e64 v8, v15, v8, s2
	v_dual_cndmask_b32 v2, v2, v40, s1 :: v_dual_cndmask_b32 v3, v3, v41, s1
	v_cmp_nge_f64_e64 s1, 0, v[40:41]
	s_delay_alu instid0(VALU_DEP_2) | instskip(SKIP_4) | instid1(VALU_DEP_1)
	v_cndmask_b32_e32 v3, 0x7ff80000, v3, vcc_lo
	s_and_b32 vcc_lo, s4, s5
	v_cndmask_b32_e32 v37, v8, v21, vcc_lo
	v_dual_cndmask_b32 v36, v16, v12, vcc_lo :: v_dual_cndmask_b32 v14, 0, v2, s1
	v_cmp_neq_f64_e64 s1, 0, v[40:41]
	v_cndmask_b32_e64 v15, 0xfff00000, v3, s1
.LBB197_281:                            ;   in Loop: Header=BB197_162 Depth=1
	s_or_b32 exec_lo, exec_lo, s3
                                        ; implicit-def: $vgpr40_vgpr41
.LBB197_282:                            ;   in Loop: Header=BB197_162 Depth=1
	s_and_not1_saveexec_b32 s3, s39
	s_cbranch_execz .LBB197_288
; %bb.283:                              ;   in Loop: Header=BB197_162 Depth=1
                                        ; implicit-def: $vgpr14_vgpr15
                                        ; implicit-def: $vgpr36_vgpr37
	s_mov_b32 s1, exec_lo
	v_cmpx_ngt_f64_e32 s[30:31], v[40:41]
	s_xor_b32 s4, exec_lo, s1
	s_cbranch_execz .LBB197_285
; %bb.284:                              ;   in Loop: Header=BB197_162 Depth=1
	v_mul_f64_e32 v[14:15], v[40:41], v[40:41]
	v_cmp_eq_f64_e64 s1, 0, v[4:5]
	v_cmp_class_f64_e64 s5, v[4:5], 0x204
	v_cmp_class_f64_e64 s6, v[2:3], 0x204
	s_delay_alu instid0(VALU_DEP_4) | instskip(NEXT) | instid1(VALU_DEP_1)
	v_add_f64_e32 v[36:37], 1.0, v[14:15]
	v_frexp_mant_f64_e32 v[38:39], v[36:37]
	v_frexp_exp_i32_f64_e32 v8, v[36:37]
	s_delay_alu instid0(VALU_DEP_2) | instskip(NEXT) | instid1(VALU_DEP_2)
	v_cmp_gt_f64_e32 vcc_lo, s[20:21], v[38:39]
	v_subrev_co_ci_u32_e64 v8, null, 0, v8, vcc_lo
	s_delay_alu instid0(VALU_DEP_1) | instskip(SKIP_1) | instid1(VALU_DEP_1)
	v_sub_nc_u32_e32 v12, 0, v8
	v_add_f64_e32 v[40:41], -1.0, v[36:37]
	v_add_f64_e64 v[38:39], v[40:41], -v[36:37]
	s_delay_alu instid0(VALU_DEP_3) | instskip(SKIP_1) | instid1(VALU_DEP_3)
	v_ldexp_f64 v[36:37], v[36:37], v12
	v_add_f64_e64 v[40:41], v[14:15], -v[40:41]
	v_add_f64_e32 v[38:39], 1.0, v[38:39]
	s_delay_alu instid0(VALU_DEP_3) | instskip(SKIP_1) | instid1(VALU_DEP_3)
	v_add_f64_e32 v[42:43], 1.0, v[36:37]
	v_add_f64_e32 v[48:49], -1.0, v[36:37]
	v_add_f64_e32 v[38:39], v[40:41], v[38:39]
	s_delay_alu instid0(VALU_DEP_3) | instskip(NEXT) | instid1(VALU_DEP_3)
	v_add_f64_e32 v[40:41], -1.0, v[42:43]
	v_add_f64_e32 v[50:51], 1.0, v[48:49]
	s_delay_alu instid0(VALU_DEP_3) | instskip(NEXT) | instid1(VALU_DEP_3)
	v_ldexp_f64 v[38:39], v[38:39], v12
	v_add_f64_e64 v[40:41], v[36:37], -v[40:41]
	s_delay_alu instid0(VALU_DEP_3) | instskip(NEXT) | instid1(VALU_DEP_2)
	v_add_f64_e64 v[36:37], v[36:37], -v[50:51]
	v_add_f64_e32 v[40:41], v[38:39], v[40:41]
	s_delay_alu instid0(VALU_DEP_2) | instskip(NEXT) | instid1(VALU_DEP_2)
	v_add_f64_e32 v[36:37], v[38:39], v[36:37]
	v_add_f64_e32 v[44:45], v[42:43], v[40:41]
	s_delay_alu instid0(VALU_DEP_2) | instskip(NEXT) | instid1(VALU_DEP_2)
	v_add_f64_e32 v[50:51], v[48:49], v[36:37]
	v_rcp_f64_e32 v[46:47], v[44:45]
	v_add_f64_e64 v[42:43], v[42:43], -v[44:45]
	s_delay_alu instid0(VALU_DEP_2) | instskip(NEXT) | instid1(VALU_DEP_2)
	v_add_f64_e64 v[48:49], v[48:49], -v[50:51]
	v_add_f64_e32 v[40:41], v[40:41], v[42:43]
	s_delay_alu instid0(VALU_DEP_2) | instskip(NEXT) | instid1(TRANS32_DEP_1)
	v_add_f64_e32 v[36:37], v[36:37], v[48:49]
	v_fma_f64 v[52:53], -v[44:45], v[46:47], 1.0
	s_delay_alu instid0(VALU_DEP_1) | instskip(NEXT) | instid1(VALU_DEP_1)
	v_fmac_f64_e32 v[46:47], v[52:53], v[46:47]
	v_fma_f64 v[38:39], -v[44:45], v[46:47], 1.0
	s_delay_alu instid0(VALU_DEP_1) | instskip(NEXT) | instid1(VALU_DEP_1)
	v_fmac_f64_e32 v[46:47], v[38:39], v[46:47]
	v_mul_f64_e32 v[38:39], v[50:51], v[46:47]
	s_delay_alu instid0(VALU_DEP_1) | instskip(NEXT) | instid1(VALU_DEP_1)
	v_mul_f64_e32 v[52:53], v[44:45], v[38:39]
	v_fma_f64 v[42:43], v[38:39], v[44:45], -v[52:53]
	s_delay_alu instid0(VALU_DEP_1) | instskip(NEXT) | instid1(VALU_DEP_1)
	v_fmac_f64_e32 v[42:43], v[38:39], v[40:41]
	v_add_f64_e32 v[54:55], v[52:53], v[42:43]
	s_delay_alu instid0(VALU_DEP_1) | instskip(SKIP_1) | instid1(VALU_DEP_2)
	v_add_f64_e64 v[56:57], v[50:51], -v[54:55]
	v_add_f64_e64 v[48:49], v[54:55], -v[52:53]
	;; [unrolled: 1-line block ×3, first 2 shown]
	s_delay_alu instid0(VALU_DEP_2) | instskip(NEXT) | instid1(VALU_DEP_2)
	v_add_f64_e64 v[42:43], v[48:49], -v[42:43]
	v_add_f64_e64 v[50:51], v[50:51], -v[54:55]
	s_delay_alu instid0(VALU_DEP_1) | instskip(NEXT) | instid1(VALU_DEP_1)
	v_add_f64_e32 v[36:37], v[36:37], v[50:51]
	v_add_f64_e32 v[36:37], v[42:43], v[36:37]
	s_delay_alu instid0(VALU_DEP_1) | instskip(NEXT) | instid1(VALU_DEP_1)
	v_add_f64_e32 v[42:43], v[56:57], v[36:37]
	v_mul_f64_e32 v[48:49], v[46:47], v[42:43]
	v_add_f64_e64 v[54:55], v[56:57], -v[42:43]
	s_delay_alu instid0(VALU_DEP_2) | instskip(NEXT) | instid1(VALU_DEP_2)
	v_mul_f64_e32 v[50:51], v[44:45], v[48:49]
	v_add_f64_e32 v[36:37], v[36:37], v[54:55]
	s_delay_alu instid0(VALU_DEP_2) | instskip(NEXT) | instid1(VALU_DEP_1)
	v_fma_f64 v[44:45], v[48:49], v[44:45], -v[50:51]
	v_fmac_f64_e32 v[44:45], v[48:49], v[40:41]
	s_delay_alu instid0(VALU_DEP_1) | instskip(NEXT) | instid1(VALU_DEP_1)
	v_add_f64_e32 v[40:41], v[50:51], v[44:45]
	v_add_f64_e64 v[52:53], v[42:43], -v[40:41]
	v_add_f64_e64 v[50:51], v[40:41], -v[50:51]
	s_delay_alu instid0(VALU_DEP_2) | instskip(NEXT) | instid1(VALU_DEP_1)
	v_add_f64_e64 v[42:43], v[42:43], -v[52:53]
	v_add_f64_e64 v[40:41], v[42:43], -v[40:41]
	s_delay_alu instid0(VALU_DEP_3) | instskip(SKIP_1) | instid1(VALU_DEP_3)
	v_add_f64_e64 v[42:43], v[50:51], -v[44:45]
	v_max_num_f64_e64 v[44:45], |v[2:3]|, |v[2:3]|
	v_add_f64_e32 v[36:37], v[36:37], v[40:41]
	v_add_f64_e32 v[40:41], v[38:39], v[48:49]
	s_delay_alu instid0(VALU_DEP_2) | instskip(NEXT) | instid1(VALU_DEP_2)
	v_add_f64_e32 v[36:37], v[42:43], v[36:37]
	v_add_f64_e64 v[38:39], v[40:41], -v[38:39]
	v_max_num_f64_e64 v[42:43], |v[4:5]|, |v[4:5]|
	s_delay_alu instid0(VALU_DEP_3) | instskip(NEXT) | instid1(VALU_DEP_3)
	v_add_f64_e32 v[36:37], v[52:53], v[36:37]
	v_add_f64_e64 v[38:39], v[48:49], -v[38:39]
	s_delay_alu instid0(VALU_DEP_2) | instskip(NEXT) | instid1(VALU_DEP_1)
	v_mul_f64_e32 v[36:37], v[46:47], v[36:37]
	v_add_f64_e32 v[36:37], v[38:39], v[36:37]
	v_max_num_f64_e32 v[38:39], v[44:45], v[42:43]
	v_min_num_f64_e32 v[42:43], v[44:45], v[42:43]
	s_delay_alu instid0(VALU_DEP_3) | instskip(NEXT) | instid1(VALU_DEP_2)
	v_add_f64_e32 v[44:45], v[40:41], v[36:37]
	v_div_scale_f64 v[46:47], null, v[38:39], v[38:39], v[42:43]
	s_delay_alu instid0(VALU_DEP_2) | instskip(SKIP_1) | instid1(VALU_DEP_3)
	v_mul_f64_e32 v[48:49], v[44:45], v[44:45]
	v_add_f64_e64 v[40:41], v[44:45], -v[40:41]
	v_rcp_f64_e32 v[50:51], v[46:47]
	s_delay_alu instid0(VALU_DEP_2) | instskip(SKIP_1) | instid1(VALU_DEP_3)
	v_fmamk_f64 v[52:53], v[48:49], 0x3fc3ab76bf559e2b, v[22:23]
	v_mul_f64_e32 v[54:55], v[44:45], v[48:49]
	v_add_f64_e64 v[36:37], v[36:37], -v[40:41]
	s_delay_alu instid0(VALU_DEP_3) | instskip(NEXT) | instid1(TRANS32_DEP_1)
	v_fmaak_f64 v[52:53], v[48:49], v[52:53], 0x3fc7474dd7f4df2e
	v_fma_f64 v[56:57], -v[46:47], v[50:51], 1.0
	s_delay_alu instid0(VALU_DEP_2) | instskip(NEXT) | instid1(VALU_DEP_1)
	v_fmaak_f64 v[52:53], v[48:49], v[52:53], 0x3fcc71c016291751
	v_fmaak_f64 v[52:53], v[48:49], v[52:53], 0x3fd249249b27acf1
	s_delay_alu instid0(VALU_DEP_1) | instskip(SKIP_1) | instid1(VALU_DEP_2)
	v_fmaak_f64 v[52:53], v[48:49], v[52:53], 0x3fd99999998ef7b6
	v_ldexp_f64 v[36:37], v[36:37], 1
	v_fmaak_f64 v[48:49], v[48:49], v[52:53], 0x3fe5555555555780
	v_ldexp_f64 v[52:53], v[44:45], 1
	v_fmac_f64_e32 v[50:51], v[50:51], v[56:57]
	s_delay_alu instid0(VALU_DEP_3) | instskip(SKIP_2) | instid1(VALU_DEP_1)
	v_mul_f64_e32 v[48:49], v[54:55], v[48:49]
	v_cvt_f64_i32_e32 v[54:55], v8
	v_ashrrev_i32_e32 v8, 31, v3
	v_and_b32_e32 v16, 0x54442d18, v8
	v_and_b32_e32 v8, 0x400921fb, v8
	v_fma_f64 v[56:57], -v[46:47], v[50:51], 1.0
	v_add_f64_e32 v[44:45], v[52:53], v[48:49]
	v_mul_f64_e32 v[58:59], 0x3fe62e42fefa39ef, v[54:55]
	s_delay_alu instid0(VALU_DEP_3) | instskip(NEXT) | instid1(VALU_DEP_3)
	v_fmac_f64_e32 v[50:51], v[50:51], v[56:57]
	v_add_f64_e64 v[40:41], v[44:45], -v[52:53]
	v_div_scale_f64 v[52:53], vcc_lo, v[42:43], v[38:39], v[42:43]
	s_delay_alu instid0(VALU_DEP_4) | instskip(NEXT) | instid1(VALU_DEP_3)
	v_fma_f64 v[56:57], v[54:55], s[22:23], -v[58:59]
	v_add_f64_e64 v[40:41], v[48:49], -v[40:41]
	s_delay_alu instid0(VALU_DEP_3) | instskip(NEXT) | instid1(VALU_DEP_3)
	v_mul_f64_e32 v[48:49], v[52:53], v[50:51]
	v_fmac_f64_e32 v[56:57], 0x3c7abc9e3b39803f, v[54:55]
	s_delay_alu instid0(VALU_DEP_3) | instskip(NEXT) | instid1(VALU_DEP_3)
	v_add_f64_e32 v[36:37], v[36:37], v[40:41]
	v_fma_f64 v[40:41], -v[46:47], v[48:49], v[52:53]
	s_delay_alu instid0(VALU_DEP_3) | instskip(NEXT) | instid1(VALU_DEP_3)
	v_add_f64_e32 v[46:47], v[58:59], v[56:57]
	v_add_f64_e32 v[52:53], v[44:45], v[36:37]
	s_delay_alu instid0(VALU_DEP_3) | instskip(SKIP_1) | instid1(VALU_DEP_4)
	v_div_fmas_f64 v[40:41], v[40:41], v[50:51], v[48:49]
	v_cmp_gt_i32_e32 vcc_lo, 0, v3
	v_add_f64_e64 v[50:51], v[46:47], -v[58:59]
	v_cndmask_b32_e32 v12, 0x54442d18, v60, vcc_lo
	v_add_f64_e32 v[48:49], v[46:47], v[52:53]
	v_div_fixup_f64 v[38:39], v[40:41], v[38:39], v[42:43]
	v_add_f64_e64 v[44:45], v[52:53], -v[44:45]
	v_add_f64_e64 v[50:51], v[56:57], -v[50:51]
	s_delay_alu instid0(VALU_DEP_4) | instskip(NEXT) | instid1(VALU_DEP_4)
	v_add_f64_e64 v[40:41], v[48:49], -v[46:47]
	v_mul_f64_e32 v[42:43], v[38:39], v[38:39]
	s_delay_alu instid0(VALU_DEP_4) | instskip(NEXT) | instid1(VALU_DEP_3)
	v_add_f64_e64 v[36:37], v[36:37], -v[44:45]
	v_add_f64_e64 v[54:55], v[48:49], -v[40:41]
	s_delay_alu instid0(VALU_DEP_3) | instskip(SKIP_1) | instid1(VALU_DEP_4)
	v_fmamk_f64 v[58:59], v[42:43], 0x3eeba404b5e68a13, v[24:25]
	v_add_f64_e64 v[40:41], v[52:53], -v[40:41]
	v_add_f64_e32 v[52:53], v[50:51], v[36:37]
	s_delay_alu instid0(VALU_DEP_3) | instskip(NEXT) | instid1(VALU_DEP_1)
	v_fmaak_f64 v[58:59], v[42:43], v[58:59], 0x3f4b2bb069efb384
	v_fmaak_f64 v[58:59], v[42:43], v[58:59], 0xbf67952daf56de9b
	v_add_f64_e64 v[44:45], v[46:47], -v[54:55]
	s_delay_alu instid0(VALU_DEP_2) | instskip(NEXT) | instid1(VALU_DEP_1)
	v_fmaak_f64 v[46:47], v[42:43], v[58:59], 0x3f7d6d43a595c56f
	v_fmaak_f64 v[46:47], v[42:43], v[46:47], 0xbf8c6ea4a57d9582
	s_delay_alu instid0(VALU_DEP_1) | instskip(NEXT) | instid1(VALU_DEP_1)
	v_fmaak_f64 v[46:47], v[42:43], v[46:47], 0x3f967e295f08b19f
	v_fmaak_f64 v[46:47], v[42:43], v[46:47], 0xbf9e9ae6fc27006a
	s_delay_alu instid0(VALU_DEP_1) | instskip(SKIP_1) | instid1(VALU_DEP_2)
	v_fmaak_f64 v[46:47], v[42:43], v[46:47], 0x3fa2c15b5711927a
	v_add_f64_e32 v[40:41], v[40:41], v[44:45]
	v_fmaak_f64 v[44:45], v[42:43], v[46:47], 0xbfa59976e82d3ff0
	v_add_f64_e64 v[46:47], v[52:53], -v[50:51]
	s_delay_alu instid0(VALU_DEP_2) | instskip(NEXT) | instid1(VALU_DEP_1)
	v_fmaak_f64 v[44:45], v[42:43], v[44:45], 0x3fa82d5d6ef28734
	v_fmaak_f64 v[44:45], v[42:43], v[44:45], 0xbfaae5ce6a214619
	s_delay_alu instid0(VALU_DEP_1) | instskip(NEXT) | instid1(VALU_DEP_1)
	v_fmaak_f64 v[44:45], v[42:43], v[44:45], 0x3fae1bb48427b883
	v_fmaak_f64 v[44:45], v[42:43], v[44:45], 0xbfb110e48b207f05
	v_add_f64_e32 v[40:41], v[52:53], v[40:41]
	v_add_f64_e64 v[52:53], v[52:53], -v[46:47]
	v_add_f64_e64 v[36:37], v[36:37], -v[46:47]
	s_delay_alu instid0(VALU_DEP_4) | instskip(NEXT) | instid1(VALU_DEP_1)
	v_fmaak_f64 v[44:45], v[42:43], v[44:45], 0x3fb3b13657b87036
	v_fmaak_f64 v[44:45], v[42:43], v[44:45], 0xbfb745d119378e4f
	s_delay_alu instid0(VALU_DEP_1) | instskip(NEXT) | instid1(VALU_DEP_1)
	v_fmaak_f64 v[44:45], v[42:43], v[44:45], 0x3fbc71c717e1913c
	v_fmaak_f64 v[44:45], v[42:43], v[44:45], 0xbfc2492492376b7d
	v_add_f64_e32 v[54:55], v[48:49], v[40:41]
	s_delay_alu instid0(VALU_DEP_2) | instskip(NEXT) | instid1(VALU_DEP_1)
	v_fmaak_f64 v[44:45], v[42:43], v[44:45], 0x3fc99999999952cc
	v_fmaak_f64 v[44:45], v[42:43], v[44:45], 0xbfd5555555555523
	s_delay_alu instid0(VALU_DEP_1) | instskip(SKIP_2) | instid1(VALU_DEP_3)
	v_mul_f64_e32 v[42:43], v[42:43], v[44:45]
	v_add_f64_e64 v[44:45], v[50:51], -v[52:53]
	v_add_f64_e64 v[46:47], v[54:55], -v[48:49]
	v_fmac_f64_e32 v[38:39], v[38:39], v[42:43]
	s_delay_alu instid0(VALU_DEP_3) | instskip(NEXT) | instid1(VALU_DEP_3)
	v_add_f64_e32 v[36:37], v[36:37], v[44:45]
	v_add_f64_e64 v[40:41], v[40:41], -v[46:47]
	s_delay_alu instid0(VALU_DEP_3) | instskip(NEXT) | instid1(VALU_DEP_1)
	v_add_f64_e64 v[42:43], -v[38:39], s[24:25]
	v_dual_add_f64 v[36:37], v[36:37], v[40:41] :: v_dual_cndmask_b32 v39, v39, v43, s0
	s_delay_alu instid0(VALU_DEP_2) | instskip(SKIP_2) | instid1(VALU_DEP_3)
	v_cndmask_b32_e64 v38, v38, v42, s0
	v_cmp_neq_f64_e64 s2, 0x7ff00000, v[14:15]
	v_cndmask_b32_e32 v14, 0x3fe921fb, v61, vcc_lo
	v_add_f64_e64 v[40:41], -v[38:39], s[26:27]
	s_delay_alu instid0(VALU_DEP_2) | instskip(SKIP_1) | instid1(VALU_DEP_3)
	v_bfi_b32 v14, 0x7fffffff, v14, v5
	v_add_f64_e32 v[36:37], v[54:55], v[36:37]
	v_dual_cndmask_b32 v21, v38, v40, vcc_lo :: v_dual_cndmask_b32 v15, v39, v41, vcc_lo
	s_and_b32 vcc_lo, s6, s5
                                        ; implicit-def: $vgpr40_vgpr41
	s_delay_alu instid0(VALU_DEP_1) | instskip(NEXT) | instid1(VALU_DEP_2)
	v_cndmask_b32_e64 v16, v21, v16, s1
	v_cndmask_b32_e64 v8, v15, v8, s1
	s_delay_alu instid0(VALU_DEP_1) | instskip(NEXT) | instid1(VALU_DEP_3)
	v_dual_mul_f64 v[2:3], 0.5, v[36:37] :: v_dual_cndmask_b32 v37, v8, v14, vcc_lo
	v_cndmask_b32_e32 v36, v16, v12, vcc_lo
	s_delay_alu instid0(VALU_DEP_2) | instskip(NEXT) | instid1(VALU_DEP_3)
	v_cndmask_b32_e64 v15, 0x7ff00000, v3, s2
	v_cndmask_b32_e64 v14, 0, v2, s2
.LBB197_285:                            ;   in Loop: Header=BB197_162 Depth=1
	s_and_not1_saveexec_b32 s2, s4
	s_cbranch_execz .LBB197_287
; %bb.286:                              ;   in Loop: Header=BB197_162 Depth=1
	v_max_num_f64_e64 v[14:15], |v[4:5]|, |v[4:5]|
	v_max_num_f64_e64 v[36:37], |v[2:3]|, |v[2:3]|
	v_ashrrev_i32_e32 v8, 31, v3
	v_cmp_eq_f64_e64 s1, 0, v[4:5]
	v_cmp_class_f64_e64 s4, v[4:5], 0x204
	v_cmp_class_f64_e64 s5, v[2:3], 0x204
	s_delay_alu instid0(VALU_DEP_4) | instskip(SKIP_2) | instid1(VALU_DEP_1)
	v_and_b32_e32 v16, 0x54442d18, v8
	v_max_num_f64_e32 v[38:39], v[36:37], v[14:15]
	v_min_num_f64_e32 v[14:15], v[36:37], v[14:15]
	v_div_scale_f64 v[36:37], null, v[38:39], v[38:39], v[14:15]
	v_div_scale_f64 v[46:47], vcc_lo, v[14:15], v[38:39], v[14:15]
	s_delay_alu instid0(VALU_DEP_2) | instskip(SKIP_1) | instid1(TRANS32_DEP_1)
	v_rcp_f64_e32 v[42:43], v[36:37]
	v_nop
	v_fma_f64 v[44:45], -v[36:37], v[42:43], 1.0
	s_delay_alu instid0(VALU_DEP_1) | instskip(NEXT) | instid1(VALU_DEP_1)
	v_fmac_f64_e32 v[42:43], v[42:43], v[44:45]
	v_fma_f64 v[44:45], -v[36:37], v[42:43], 1.0
	s_delay_alu instid0(VALU_DEP_1) | instskip(NEXT) | instid1(VALU_DEP_1)
	v_fmac_f64_e32 v[42:43], v[42:43], v[44:45]
	v_mul_f64_e32 v[44:45], v[46:47], v[42:43]
	s_delay_alu instid0(VALU_DEP_1) | instskip(NEXT) | instid1(VALU_DEP_1)
	v_fma_f64 v[36:37], -v[36:37], v[44:45], v[46:47]
	v_div_fmas_f64 v[36:37], v[36:37], v[42:43], v[44:45]
	v_cmp_gt_i32_e32 vcc_lo, 0, v3
	v_and_b32_e32 v3, 0x400921fb, v8
	v_cndmask_b32_e32 v12, 0x54442d18, v60, vcc_lo
	v_cndmask_b32_e32 v2, 0x3fe921fb, v61, vcc_lo
	s_delay_alu instid0(VALU_DEP_1) | instskip(SKIP_1) | instid1(VALU_DEP_1)
	v_bfi_b32 v2, 0x7fffffff, v2, v5
	v_div_fixup_f64 v[14:15], v[36:37], v[38:39], v[14:15]
	v_mul_f64_e32 v[36:37], v[14:15], v[14:15]
	s_delay_alu instid0(VALU_DEP_1) | instskip(NEXT) | instid1(VALU_DEP_1)
	v_fmamk_f64 v[38:39], v[36:37], 0x3eeba404b5e68a13, v[24:25]
	v_fmaak_f64 v[38:39], v[36:37], v[38:39], 0x3f4b2bb069efb384
	s_delay_alu instid0(VALU_DEP_1) | instskip(NEXT) | instid1(VALU_DEP_1)
	v_fmaak_f64 v[38:39], v[36:37], v[38:39], 0xbf67952daf56de9b
	v_fmaak_f64 v[38:39], v[36:37], v[38:39], 0x3f7d6d43a595c56f
	s_delay_alu instid0(VALU_DEP_1) | instskip(NEXT) | instid1(VALU_DEP_1)
	v_fmaak_f64 v[38:39], v[36:37], v[38:39], 0xbf8c6ea4a57d9582
	;; [unrolled: 3-line block ×9, first 2 shown]
	v_mul_f64_e32 v[36:37], v[36:37], v[38:39]
	s_delay_alu instid0(VALU_DEP_1) | instskip(NEXT) | instid1(VALU_DEP_1)
	v_fmac_f64_e32 v[14:15], v[14:15], v[36:37]
	v_add_f64_e64 v[36:37], -v[14:15], s[24:25]
	s_delay_alu instid0(VALU_DEP_1) | instskip(SKIP_1) | instid1(VALU_DEP_1)
	v_dual_cndmask_b32 v37, v15, v37, s0 :: v_dual_cndmask_b32 v36, v14, v36, s0
	v_mul_f64_e32 v[14:15], 0.5, v[40:41]
	v_mul_f64_e32 v[14:15], v[40:41], v[14:15]
	s_delay_alu instid0(VALU_DEP_3) | instskip(NEXT) | instid1(VALU_DEP_1)
	v_add_f64_e64 v[38:39], -v[36:37], s[26:27]
	v_cndmask_b32_e32 v21, v36, v38, vcc_lo
	s_delay_alu instid0(VALU_DEP_1) | instskip(NEXT) | instid1(VALU_DEP_3)
	v_cndmask_b32_e64 v16, v21, v16, s1
	v_cndmask_b32_e32 v8, v37, v39, vcc_lo
	s_and_b32 vcc_lo, s5, s4
	s_delay_alu instid0(VALU_DEP_2) | instskip(NEXT) | instid1(VALU_DEP_2)
	v_cndmask_b32_e32 v36, v16, v12, vcc_lo
	v_cndmask_b32_e64 v3, v8, v3, s1
	s_delay_alu instid0(VALU_DEP_1)
	v_cndmask_b32_e32 v37, v3, v2, vcc_lo
.LBB197_287:                            ;   in Loop: Header=BB197_162 Depth=1
	s_or_b32 exec_lo, exec_lo, s2
.LBB197_288:                            ;   in Loop: Header=BB197_162 Depth=1
	s_delay_alu instid0(SALU_CYCLE_1)
	s_or_b32 exec_lo, exec_lo, s3
.LBB197_289:                            ;   in Loop: Header=BB197_162 Depth=1
	s_and_not1_saveexec_b32 s2, s38
	s_cbranch_execz .LBB197_291
; %bb.290:                              ;   in Loop: Header=BB197_162 Depth=1
	v_div_scale_f64 v[14:15], null, s[34:35], s[34:35], v[2:3]
	v_div_scale_f64 v[36:37], null, s[34:35], s[34:35], v[4:5]
	v_div_scale_f64 v[46:47], vcc_lo, v[2:3], s[34:35], v[2:3]
	s_delay_alu instid0(VALU_DEP_3) | instskip(NEXT) | instid1(VALU_DEP_2)
	v_rcp_f64_e32 v[38:39], v[14:15]
	v_rcp_f64_e32 v[40:41], v[36:37]
	s_delay_alu instid0(TRANS32_DEP_2) | instskip(NEXT) | instid1(TRANS32_DEP_1)
	v_fma_f64 v[42:43], -v[14:15], v[38:39], 1.0
	v_fma_f64 v[44:45], -v[36:37], v[40:41], 1.0
	s_delay_alu instid0(VALU_DEP_2) | instskip(NEXT) | instid1(VALU_DEP_2)
	v_fmac_f64_e32 v[38:39], v[38:39], v[42:43]
	v_fmac_f64_e32 v[40:41], v[40:41], v[44:45]
	s_delay_alu instid0(VALU_DEP_2) | instskip(NEXT) | instid1(VALU_DEP_2)
	v_fma_f64 v[42:43], -v[14:15], v[38:39], 1.0
	v_fma_f64 v[44:45], -v[36:37], v[40:41], 1.0
	s_delay_alu instid0(VALU_DEP_2) | instskip(SKIP_1) | instid1(VALU_DEP_3)
	v_fmac_f64_e32 v[38:39], v[38:39], v[42:43]
	v_div_scale_f64 v[42:43], s1, v[4:5], s[34:35], v[4:5]
	v_fmac_f64_e32 v[40:41], v[40:41], v[44:45]
	s_delay_alu instid0(VALU_DEP_3) | instskip(NEXT) | instid1(VALU_DEP_2)
	v_mul_f64_e32 v[44:45], v[46:47], v[38:39]
	v_mul_f64_e32 v[48:49], v[42:43], v[40:41]
	s_delay_alu instid0(VALU_DEP_2) | instskip(NEXT) | instid1(VALU_DEP_2)
	v_fma_f64 v[14:15], -v[14:15], v[44:45], v[46:47]
	v_fma_f64 v[36:37], -v[36:37], v[48:49], v[42:43]
	s_delay_alu instid0(VALU_DEP_2) | instskip(SKIP_1) | instid1(VALU_DEP_2)
	v_div_fmas_f64 v[14:15], v[14:15], v[38:39], v[44:45]
	s_mov_b32 vcc_lo, s1
	v_div_fmas_f64 v[36:37], v[36:37], v[40:41], v[48:49]
	s_delay_alu instid0(VALU_DEP_2) | instskip(NEXT) | instid1(VALU_DEP_2)
	v_div_fixup_f64 v[14:15], v[14:15], s[34:35], v[2:3]
	v_div_fixup_f64 v[36:37], v[36:37], s[34:35], v[4:5]
	s_delay_alu instid0(VALU_DEP_2) | instskip(NEXT) | instid1(VALU_DEP_2)
	v_cmp_class_f64_e64 s1, v[14:15], 0x204
	v_max_num_f64_e64 v[38:39], |v[14:15]|, |v[36:37]|
	v_cmp_class_f64_e64 s3, v[36:37], 0x204
	s_delay_alu instid0(VALU_DEP_2) | instskip(SKIP_2) | instid1(VALU_DEP_2)
	v_frexp_exp_i32_f64_e32 v8, v[38:39]
	s_or_b32 s1, s1, s3
	v_cmp_class_f64_e64 s3, v[2:3], 0x204
	v_sub_nc_u32_e32 v12, 0, v8
	s_delay_alu instid0(VALU_DEP_1) | instskip(SKIP_1) | instid1(VALU_DEP_2)
	v_ldexp_f64 v[38:39], |v[36:37]|, v12
	v_ldexp_f64 v[40:41], |v[14:15]|, v12
	v_mul_f64_e32 v[38:39], v[38:39], v[38:39]
	s_delay_alu instid0(VALU_DEP_1) | instskip(NEXT) | instid1(VALU_DEP_1)
	v_fmac_f64_e32 v[38:39], v[40:41], v[40:41]
	v_rsq_f64_e32 v[40:41], v[38:39]
	v_cmp_eq_f64_e32 vcc_lo, 0, v[38:39]
	s_delay_alu instid0(TRANS32_DEP_1) | instskip(SKIP_1) | instid1(VALU_DEP_1)
	v_mul_f64_e32 v[42:43], v[38:39], v[40:41]
	v_mul_f64_e32 v[40:41], 0.5, v[40:41]
	v_fma_f64 v[44:45], -v[40:41], v[42:43], 0.5
	s_delay_alu instid0(VALU_DEP_1) | instskip(SKIP_1) | instid1(VALU_DEP_2)
	v_fmac_f64_e32 v[42:43], v[42:43], v[44:45]
	v_fmac_f64_e32 v[40:41], v[40:41], v[44:45]
	v_fma_f64 v[44:45], -v[42:43], v[42:43], v[38:39]
	s_delay_alu instid0(VALU_DEP_1) | instskip(NEXT) | instid1(VALU_DEP_1)
	v_fmac_f64_e32 v[42:43], v[44:45], v[40:41]
	v_dual_cndmask_b32 v39, v43, v39 :: v_dual_cndmask_b32 v38, v42, v38
	v_cmp_o_f64_e32 vcc_lo, v[14:15], v[36:37]
	s_delay_alu instid0(VALU_DEP_2) | instskip(NEXT) | instid1(VALU_DEP_1)
	v_ldexp_f64 v[38:39], v[38:39], v8
	v_cndmask_b32_e32 v8, 0, v38, vcc_lo
	s_delay_alu instid0(VALU_DEP_2) | instskip(NEXT) | instid1(VALU_DEP_2)
	v_cndmask_b32_e32 v12, 0x7ff80000, v39, vcc_lo
	v_cndmask_b32_e64 v38, v8, 0, s1
	s_delay_alu instid0(VALU_DEP_2) | instskip(SKIP_1) | instid1(VALU_DEP_2)
	v_cndmask_b32_e64 v39, v12, 0x7ff00000, s1
	v_cmp_class_f64_e64 s1, v[4:5], 0x204
	v_frexp_mant_f64_e32 v[14:15], v[38:39]
	s_delay_alu instid0(VALU_DEP_1) | instskip(SKIP_1) | instid1(VALU_DEP_1)
	v_cmp_gt_f64_e32 vcc_lo, s[20:21], v[14:15]
	v_cndmask_b32_e64 v8, 0, 1, vcc_lo
	v_ldexp_f64 v[14:15], v[14:15], v8
	v_frexp_exp_i32_f64_e32 v8, v[38:39]
	s_delay_alu instid0(VALU_DEP_2) | instskip(SKIP_1) | instid1(VALU_DEP_3)
	v_add_f64_e32 v[36:37], 1.0, v[14:15]
	v_add_f64_e32 v[44:45], -1.0, v[14:15]
	v_subrev_co_ci_u32_e64 v8, null, 0, v8, vcc_lo
	s_delay_alu instid0(VALU_DEP_3) | instskip(SKIP_1) | instid1(VALU_DEP_1)
	v_rcp_f64_e32 v[40:41], v[36:37]
	v_add_f64_e32 v[46:47], -1.0, v[36:37]
	v_add_f64_e64 v[14:15], v[14:15], -v[46:47]
	s_delay_alu instid0(TRANS32_DEP_1) | instskip(NEXT) | instid1(VALU_DEP_1)
	v_fma_f64 v[42:43], -v[36:37], v[40:41], 1.0
	v_fmac_f64_e32 v[40:41], v[42:43], v[40:41]
	s_delay_alu instid0(VALU_DEP_1) | instskip(NEXT) | instid1(VALU_DEP_1)
	v_fma_f64 v[42:43], -v[36:37], v[40:41], 1.0
	v_fmac_f64_e32 v[40:41], v[42:43], v[40:41]
	s_delay_alu instid0(VALU_DEP_1) | instskip(NEXT) | instid1(VALU_DEP_1)
	v_mul_f64_e32 v[42:43], v[44:45], v[40:41]
	v_mul_f64_e32 v[48:49], v[36:37], v[42:43]
	s_delay_alu instid0(VALU_DEP_1) | instskip(NEXT) | instid1(VALU_DEP_1)
	v_fma_f64 v[36:37], v[42:43], v[36:37], -v[48:49]
	v_fmac_f64_e32 v[36:37], v[42:43], v[14:15]
	s_delay_alu instid0(VALU_DEP_1) | instskip(NEXT) | instid1(VALU_DEP_1)
	v_add_f64_e32 v[14:15], v[48:49], v[36:37]
	v_add_f64_e64 v[46:47], v[44:45], -v[14:15]
	v_add_f64_e64 v[48:49], v[14:15], -v[48:49]
	s_delay_alu instid0(VALU_DEP_2) | instskip(NEXT) | instid1(VALU_DEP_2)
	v_add_f64_e64 v[44:45], v[44:45], -v[46:47]
	v_add_f64_e64 v[36:37], v[48:49], -v[36:37]
	s_delay_alu instid0(VALU_DEP_2) | instskip(SKIP_1) | instid1(VALU_DEP_2)
	v_add_f64_e64 v[14:15], v[44:45], -v[14:15]
	v_max_num_f64_e64 v[44:45], |v[2:3]|, |v[2:3]|
	v_add_f64_e32 v[14:15], v[36:37], v[14:15]
	v_max_num_f64_e64 v[36:37], |v[4:5]|, |v[4:5]|
	s_delay_alu instid0(VALU_DEP_2) | instskip(NEXT) | instid1(VALU_DEP_1)
	v_add_f64_e32 v[14:15], v[46:47], v[14:15]
	v_mul_f64_e32 v[14:15], v[40:41], v[14:15]
	s_delay_alu instid0(VALU_DEP_3) | instskip(SKIP_1) | instid1(VALU_DEP_3)
	v_max_num_f64_e32 v[40:41], v[44:45], v[36:37]
	v_min_num_f64_e32 v[36:37], v[44:45], v[36:37]
	v_add_f64_e32 v[44:45], v[42:43], v[14:15]
	s_delay_alu instid0(VALU_DEP_2) | instskip(NEXT) | instid1(VALU_DEP_2)
	v_div_scale_f64 v[46:47], null, v[40:41], v[40:41], v[36:37]
	v_mul_f64_e32 v[48:49], v[44:45], v[44:45]
	v_add_f64_e64 v[42:43], v[44:45], -v[42:43]
	s_delay_alu instid0(VALU_DEP_3) | instskip(NEXT) | instid1(VALU_DEP_2)
	v_rcp_f64_e32 v[50:51], v[46:47]
	v_fmamk_f64 v[52:53], v[48:49], 0x3fc3ab76bf559e2b, v[22:23]
	v_mul_f64_e32 v[54:55], v[44:45], v[48:49]
	s_delay_alu instid0(VALU_DEP_3) | instskip(NEXT) | instid1(VALU_DEP_3)
	v_add_f64_e64 v[14:15], v[14:15], -v[42:43]
	v_fmaak_f64 v[52:53], v[48:49], v[52:53], 0x3fc7474dd7f4df2e
	s_delay_alu instid0(TRANS32_DEP_1) | instskip(NEXT) | instid1(VALU_DEP_2)
	v_fma_f64 v[56:57], -v[46:47], v[50:51], 1.0
	v_fmaak_f64 v[52:53], v[48:49], v[52:53], 0x3fcc71c016291751
	s_delay_alu instid0(VALU_DEP_1) | instskip(NEXT) | instid1(VALU_DEP_1)
	v_fmaak_f64 v[52:53], v[48:49], v[52:53], 0x3fd249249b27acf1
	v_fmaak_f64 v[52:53], v[48:49], v[52:53], 0x3fd99999998ef7b6
	v_ldexp_f64 v[14:15], v[14:15], 1
	s_delay_alu instid0(VALU_DEP_2) | instskip(SKIP_2) | instid1(VALU_DEP_3)
	v_fmaak_f64 v[48:49], v[48:49], v[52:53], 0x3fe5555555555780
	v_ldexp_f64 v[52:53], v[44:45], 1
	v_fmac_f64_e32 v[50:51], v[50:51], v[56:57]
	v_mul_f64_e32 v[48:49], v[54:55], v[48:49]
	v_cvt_f64_i32_e32 v[54:55], v8
	v_ashrrev_i32_e32 v8, 31, v3
	s_delay_alu instid0(VALU_DEP_1) | instskip(SKIP_3) | instid1(VALU_DEP_3)
	v_and_b32_e32 v16, 0x54442d18, v8
	v_fma_f64 v[56:57], -v[46:47], v[50:51], 1.0
	v_add_f64_e32 v[44:45], v[52:53], v[48:49]
	v_mul_f64_e32 v[58:59], 0x3fe62e42fefa39ef, v[54:55]
	v_fmac_f64_e32 v[50:51], v[50:51], v[56:57]
	s_delay_alu instid0(VALU_DEP_3) | instskip(SKIP_1) | instid1(VALU_DEP_4)
	v_add_f64_e64 v[42:43], v[44:45], -v[52:53]
	v_div_scale_f64 v[52:53], vcc_lo, v[36:37], v[40:41], v[36:37]
	v_fma_f64 v[56:57], v[54:55], s[22:23], -v[58:59]
	s_delay_alu instid0(VALU_DEP_3) | instskip(NEXT) | instid1(VALU_DEP_3)
	v_add_f64_e64 v[42:43], v[48:49], -v[42:43]
	v_mul_f64_e32 v[48:49], v[52:53], v[50:51]
	s_delay_alu instid0(VALU_DEP_3) | instskip(NEXT) | instid1(VALU_DEP_3)
	v_fmac_f64_e32 v[56:57], 0x3c7abc9e3b39803f, v[54:55]
	v_add_f64_e32 v[14:15], v[14:15], v[42:43]
	s_delay_alu instid0(VALU_DEP_3) | instskip(NEXT) | instid1(VALU_DEP_3)
	v_fma_f64 v[42:43], -v[46:47], v[48:49], v[52:53]
	v_add_f64_e32 v[46:47], v[58:59], v[56:57]
	s_delay_alu instid0(VALU_DEP_3) | instskip(NEXT) | instid1(VALU_DEP_3)
	v_add_f64_e32 v[52:53], v[44:45], v[14:15]
	v_div_fmas_f64 v[42:43], v[42:43], v[50:51], v[48:49]
	v_cmp_class_f64_e64 vcc_lo, v[38:39], 0x204
	s_delay_alu instid0(VALU_DEP_4) | instskip(NEXT) | instid1(VALU_DEP_4)
	v_add_f64_e64 v[50:51], v[46:47], -v[58:59]
	v_add_f64_e32 v[48:49], v[46:47], v[52:53]
	s_delay_alu instid0(VALU_DEP_4) | instskip(SKIP_1) | instid1(VALU_DEP_4)
	v_div_fixup_f64 v[36:37], v[42:43], v[40:41], v[36:37]
	v_add_f64_e64 v[44:45], v[52:53], -v[44:45]
	v_add_f64_e64 v[50:51], v[56:57], -v[50:51]
	s_delay_alu instid0(VALU_DEP_4) | instskip(NEXT) | instid1(VALU_DEP_4)
	v_add_f64_e64 v[40:41], v[48:49], -v[46:47]
	v_mul_f64_e32 v[42:43], v[36:37], v[36:37]
	s_delay_alu instid0(VALU_DEP_4) | instskip(NEXT) | instid1(VALU_DEP_3)
	v_add_f64_e64 v[14:15], v[14:15], -v[44:45]
	v_add_f64_e64 v[54:55], v[48:49], -v[40:41]
	s_delay_alu instid0(VALU_DEP_3) | instskip(SKIP_1) | instid1(VALU_DEP_4)
	v_fmamk_f64 v[58:59], v[42:43], 0x3eeba404b5e68a13, v[24:25]
	v_add_f64_e64 v[40:41], v[52:53], -v[40:41]
	v_add_f64_e32 v[52:53], v[50:51], v[14:15]
	s_delay_alu instid0(VALU_DEP_3) | instskip(SKIP_1) | instid1(VALU_DEP_2)
	v_fmaak_f64 v[58:59], v[42:43], v[58:59], 0x3f4b2bb069efb384
	v_add_f64_e64 v[44:45], v[46:47], -v[54:55]
	v_fmaak_f64 v[46:47], v[42:43], v[58:59], 0xbf67952daf56de9b
	s_delay_alu instid0(VALU_DEP_1) | instskip(NEXT) | instid1(VALU_DEP_1)
	v_fmaak_f64 v[46:47], v[42:43], v[46:47], 0x3f7d6d43a595c56f
	v_fmaak_f64 v[46:47], v[42:43], v[46:47], 0xbf8c6ea4a57d9582
	s_delay_alu instid0(VALU_DEP_1) | instskip(SKIP_1) | instid1(VALU_DEP_2)
	v_fmaak_f64 v[46:47], v[42:43], v[46:47], 0x3f967e295f08b19f
	v_add_f64_e32 v[40:41], v[40:41], v[44:45]
	v_fmaak_f64 v[44:45], v[42:43], v[46:47], 0xbf9e9ae6fc27006a
	v_add_f64_e64 v[46:47], v[52:53], -v[50:51]
	s_delay_alu instid0(VALU_DEP_2) | instskip(NEXT) | instid1(VALU_DEP_1)
	v_fmaak_f64 v[44:45], v[42:43], v[44:45], 0x3fa2c15b5711927a
	v_fmaak_f64 v[44:45], v[42:43], v[44:45], 0xbfa59976e82d3ff0
	s_delay_alu instid0(VALU_DEP_1) | instskip(NEXT) | instid1(VALU_DEP_1)
	v_fmaak_f64 v[44:45], v[42:43], v[44:45], 0x3fa82d5d6ef28734
	v_fmaak_f64 v[44:45], v[42:43], v[44:45], 0xbfaae5ce6a214619
	v_add_f64_e32 v[40:41], v[52:53], v[40:41]
	v_add_f64_e64 v[52:53], v[52:53], -v[46:47]
	v_add_f64_e64 v[14:15], v[14:15], -v[46:47]
	s_delay_alu instid0(VALU_DEP_4) | instskip(NEXT) | instid1(VALU_DEP_1)
	v_fmaak_f64 v[44:45], v[42:43], v[44:45], 0x3fae1bb48427b883
	v_fmaak_f64 v[44:45], v[42:43], v[44:45], 0xbfb110e48b207f05
	s_delay_alu instid0(VALU_DEP_1) | instskip(NEXT) | instid1(VALU_DEP_1)
	v_fmaak_f64 v[44:45], v[42:43], v[44:45], 0x3fb3b13657b87036
	v_fmaak_f64 v[44:45], v[42:43], v[44:45], 0xbfb745d119378e4f
	s_delay_alu instid0(VALU_DEP_1) | instskip(SKIP_1) | instid1(VALU_DEP_2)
	v_fmaak_f64 v[44:45], v[42:43], v[44:45], 0x3fbc71c717e1913c
	v_add_f64_e32 v[54:55], v[48:49], v[40:41]
	v_fmaak_f64 v[44:45], v[42:43], v[44:45], 0xbfc2492492376b7d
	s_delay_alu instid0(VALU_DEP_1) | instskip(NEXT) | instid1(VALU_DEP_1)
	v_fmaak_f64 v[44:45], v[42:43], v[44:45], 0x3fc99999999952cc
	v_fmaak_f64 v[44:45], v[42:43], v[44:45], 0xbfd5555555555523
	s_delay_alu instid0(VALU_DEP_1) | instskip(SKIP_2) | instid1(VALU_DEP_3)
	v_mul_f64_e32 v[42:43], v[42:43], v[44:45]
	v_add_f64_e64 v[44:45], v[50:51], -v[52:53]
	v_add_f64_e64 v[46:47], v[54:55], -v[48:49]
	v_fmac_f64_e32 v[36:37], v[36:37], v[42:43]
	s_delay_alu instid0(VALU_DEP_3) | instskip(NEXT) | instid1(VALU_DEP_3)
	v_add_f64_e32 v[14:15], v[14:15], v[44:45]
	v_add_f64_e64 v[40:41], v[40:41], -v[46:47]
	s_delay_alu instid0(VALU_DEP_3) | instskip(NEXT) | instid1(VALU_DEP_1)
	v_add_f64_e64 v[42:43], -v[36:37], s[24:25]
	v_dual_add_f64 v[14:15], v[14:15], v[40:41] :: v_dual_cndmask_b32 v37, v37, v43, s0
	s_delay_alu instid0(VALU_DEP_2) | instskip(SKIP_2) | instid1(VALU_DEP_4)
	v_cndmask_b32_e64 v36, v36, v42, s0
	v_cmp_gt_i32_e64 s0, 0, v3
	v_and_b32_e32 v3, 0x400921fb, v8
	v_add_f64_e32 v[14:15], v[54:55], v[14:15]
	s_delay_alu instid0(VALU_DEP_4) | instskip(NEXT) | instid1(VALU_DEP_4)
	v_add_f64_e64 v[40:41], -v[36:37], s[26:27]
	v_cndmask_b32_e64 v12, 0x54442d18, v60, s0
	v_cndmask_b32_e64 v2, 0x3fe921fb, v61, s0
	s_delay_alu instid0(VALU_DEP_1) | instskip(SKIP_4) | instid1(VALU_DEP_2)
	v_bfi_b32 v2, 0x7fffffff, v2, v5
	v_dual_cndmask_b32 v15, v15, v39 :: v_dual_cndmask_b32 v14, v14, v38
	v_cmp_eq_f64_e32 vcc_lo, 0, v[4:5]
	v_dual_cndmask_b32 v21, v36, v40, s0 :: v_dual_cndmask_b32 v8, v37, v41, s0
	v_cmp_nge_f64_e64 s0, 0, v[38:39]
	v_dual_add_f64 v[14:15], 1.0, v[14:15] :: v_dual_cndmask_b32 v16, v21, v16, vcc_lo
	s_delay_alu instid0(VALU_DEP_3) | instskip(SKIP_1) | instid1(VALU_DEP_3)
	v_cndmask_b32_e32 v3, v8, v3, vcc_lo
	v_cmp_ngt_f64_e32 vcc_lo, 0, v[38:39]
	v_cndmask_b32_e64 v14, 0, v14, s0
	v_cmp_neq_f64_e64 s0, 0, v[38:39]
	v_cndmask_b32_e32 v8, 0x7ff80000, v15, vcc_lo
	s_and_b32 vcc_lo, s3, s1
	v_dual_cndmask_b32 v37, v3, v2 :: v_dual_cndmask_b32 v36, v16, v12
	s_delay_alu instid0(VALU_DEP_2)
	v_cndmask_b32_e64 v15, 0xfff00000, v8, s0
.LBB197_291:                            ;   in Loop: Header=BB197_162 Depth=1
	s_or_b32 exec_lo, exec_lo, s2
.LBB197_292:                            ;   in Loop: Header=BB197_162 Depth=1
	s_and_not1_saveexec_b32 s0, s33
	s_cbranch_execz .LBB197_161
; %bb.293:                              ;   in Loop: Header=BB197_162 Depth=1
	v_cmp_ngt_f64_e64 s1, 0x20000000, |v[2:3]|
	v_cmp_ngt_f64_e64 s2, 0x20000000, |v[4:5]|
                                        ; implicit-def: $vgpr38_vgpr39
	s_or_b32 s1, s1, s2
	s_delay_alu instid0(SALU_CYCLE_1) | instskip(NEXT) | instid1(SALU_CYCLE_1)
	s_and_saveexec_b32 s2, s1
	s_xor_b32 s1, exec_lo, s2
	s_cbranch_execz .LBB197_295
; %bb.294:                              ;   in Loop: Header=BB197_162 Depth=1
	v_mul_f64_e32 v[38:39], v[4:5], v[4:5]
	s_delay_alu instid0(VALU_DEP_1)
	v_fmac_f64_e32 v[38:39], v[2:3], v[2:3]
.LBB197_295:                            ;   in Loop: Header=BB197_162 Depth=1
	s_and_not1_saveexec_b32 s1, s1
	s_cbranch_execz .LBB197_160
; %bb.296:                              ;   in Loop: Header=BB197_162 Depth=1
	v_mul_f64_e32 v[14:15], 4.0, v[4:5]
	v_mul_f64_e32 v[2:3], 4.0, v[2:3]
	s_delay_alu instid0(VALU_DEP_2) | instskip(NEXT) | instid1(VALU_DEP_1)
	v_mul_f64_e32 v[14:15], v[14:15], v[14:15]
	v_fmac_f64_e32 v[14:15], v[2:3], v[2:3]
	s_delay_alu instid0(VALU_DEP_1)
	v_ldexp_f64 v[38:39], v[14:15], -4
	s_branch .LBB197_160
.LBB197_297:
	s_sendmsg sendmsg(MSG_DEALLOC_VGPRS)
	s_endpgm
	.section	.rodata,"a",@progbits
	.p2align	6, 0x0
	.amdhsa_kernel _ZN2at6native12_GLOBAL__N_125multi_tensor_apply_kernelINS1_18TensorListMetadataILi1EEENS1_14UnaryOpFunctorIN3c107complexIdEELi1ELi1ELi0EEEJNS0_4Log2IS8_EEEEEvT_T0_DpT1_
		.amdhsa_group_segment_fixed_size 0
		.amdhsa_private_segment_fixed_size 0
		.amdhsa_kernarg_size 3632
		.amdhsa_user_sgpr_count 2
		.amdhsa_user_sgpr_dispatch_ptr 0
		.amdhsa_user_sgpr_queue_ptr 0
		.amdhsa_user_sgpr_kernarg_segment_ptr 1
		.amdhsa_user_sgpr_dispatch_id 0
		.amdhsa_user_sgpr_kernarg_preload_length 0
		.amdhsa_user_sgpr_kernarg_preload_offset 0
		.amdhsa_user_sgpr_private_segment_size 0
		.amdhsa_wavefront_size32 1
		.amdhsa_uses_dynamic_stack 0
		.amdhsa_enable_private_segment 0
		.amdhsa_system_sgpr_workgroup_id_x 1
		.amdhsa_system_sgpr_workgroup_id_y 0
		.amdhsa_system_sgpr_workgroup_id_z 0
		.amdhsa_system_sgpr_workgroup_info 0
		.amdhsa_system_vgpr_workitem_id 0
		.amdhsa_next_free_vgpr 88
		.amdhsa_next_free_sgpr 59
		.amdhsa_named_barrier_count 0
		.amdhsa_reserve_vcc 1
		.amdhsa_float_round_mode_32 0
		.amdhsa_float_round_mode_16_64 0
		.amdhsa_float_denorm_mode_32 3
		.amdhsa_float_denorm_mode_16_64 3
		.amdhsa_fp16_overflow 0
		.amdhsa_memory_ordered 1
		.amdhsa_forward_progress 1
		.amdhsa_inst_pref_size 255
		.amdhsa_round_robin_scheduling 0
		.amdhsa_exception_fp_ieee_invalid_op 0
		.amdhsa_exception_fp_denorm_src 0
		.amdhsa_exception_fp_ieee_div_zero 0
		.amdhsa_exception_fp_ieee_overflow 0
		.amdhsa_exception_fp_ieee_underflow 0
		.amdhsa_exception_fp_ieee_inexact 0
		.amdhsa_exception_int_div_zero 0
	.end_amdhsa_kernel
	.section	.text._ZN2at6native12_GLOBAL__N_125multi_tensor_apply_kernelINS1_18TensorListMetadataILi1EEENS1_14UnaryOpFunctorIN3c107complexIdEELi1ELi1ELi0EEEJNS0_4Log2IS8_EEEEEvT_T0_DpT1_,"axG",@progbits,_ZN2at6native12_GLOBAL__N_125multi_tensor_apply_kernelINS1_18TensorListMetadataILi1EEENS1_14UnaryOpFunctorIN3c107complexIdEELi1ELi1ELi0EEEJNS0_4Log2IS8_EEEEEvT_T0_DpT1_,comdat
.Lfunc_end197:
	.size	_ZN2at6native12_GLOBAL__N_125multi_tensor_apply_kernelINS1_18TensorListMetadataILi1EEENS1_14UnaryOpFunctorIN3c107complexIdEELi1ELi1ELi0EEEJNS0_4Log2IS8_EEEEEvT_T0_DpT1_, .Lfunc_end197-_ZN2at6native12_GLOBAL__N_125multi_tensor_apply_kernelINS1_18TensorListMetadataILi1EEENS1_14UnaryOpFunctorIN3c107complexIdEELi1ELi1ELi0EEEJNS0_4Log2IS8_EEEEEvT_T0_DpT1_
                                        ; -- End function
	.set _ZN2at6native12_GLOBAL__N_125multi_tensor_apply_kernelINS1_18TensorListMetadataILi1EEENS1_14UnaryOpFunctorIN3c107complexIdEELi1ELi1ELi0EEEJNS0_4Log2IS8_EEEEEvT_T0_DpT1_.num_vgpr, 88
	.set _ZN2at6native12_GLOBAL__N_125multi_tensor_apply_kernelINS1_18TensorListMetadataILi1EEENS1_14UnaryOpFunctorIN3c107complexIdEELi1ELi1ELi0EEEJNS0_4Log2IS8_EEEEEvT_T0_DpT1_.num_agpr, 0
	.set _ZN2at6native12_GLOBAL__N_125multi_tensor_apply_kernelINS1_18TensorListMetadataILi1EEENS1_14UnaryOpFunctorIN3c107complexIdEELi1ELi1ELi0EEEJNS0_4Log2IS8_EEEEEvT_T0_DpT1_.numbered_sgpr, 59
	.set _ZN2at6native12_GLOBAL__N_125multi_tensor_apply_kernelINS1_18TensorListMetadataILi1EEENS1_14UnaryOpFunctorIN3c107complexIdEELi1ELi1ELi0EEEJNS0_4Log2IS8_EEEEEvT_T0_DpT1_.num_named_barrier, 0
	.set _ZN2at6native12_GLOBAL__N_125multi_tensor_apply_kernelINS1_18TensorListMetadataILi1EEENS1_14UnaryOpFunctorIN3c107complexIdEELi1ELi1ELi0EEEJNS0_4Log2IS8_EEEEEvT_T0_DpT1_.private_seg_size, 0
	.set _ZN2at6native12_GLOBAL__N_125multi_tensor_apply_kernelINS1_18TensorListMetadataILi1EEENS1_14UnaryOpFunctorIN3c107complexIdEELi1ELi1ELi0EEEJNS0_4Log2IS8_EEEEEvT_T0_DpT1_.uses_vcc, 1
	.set _ZN2at6native12_GLOBAL__N_125multi_tensor_apply_kernelINS1_18TensorListMetadataILi1EEENS1_14UnaryOpFunctorIN3c107complexIdEELi1ELi1ELi0EEEJNS0_4Log2IS8_EEEEEvT_T0_DpT1_.uses_flat_scratch, 0
	.set _ZN2at6native12_GLOBAL__N_125multi_tensor_apply_kernelINS1_18TensorListMetadataILi1EEENS1_14UnaryOpFunctorIN3c107complexIdEELi1ELi1ELi0EEEJNS0_4Log2IS8_EEEEEvT_T0_DpT1_.has_dyn_sized_stack, 0
	.set _ZN2at6native12_GLOBAL__N_125multi_tensor_apply_kernelINS1_18TensorListMetadataILi1EEENS1_14UnaryOpFunctorIN3c107complexIdEELi1ELi1ELi0EEEJNS0_4Log2IS8_EEEEEvT_T0_DpT1_.has_recursion, 0
	.set _ZN2at6native12_GLOBAL__N_125multi_tensor_apply_kernelINS1_18TensorListMetadataILi1EEENS1_14UnaryOpFunctorIN3c107complexIdEELi1ELi1ELi0EEEJNS0_4Log2IS8_EEEEEvT_T0_DpT1_.has_indirect_call, 0
	.section	.AMDGPU.csdata,"",@progbits
; Kernel info:
; codeLenInByte = 90556
; TotalNumSgprs: 61
; NumVgprs: 88
; ScratchSize: 0
; MemoryBound: 1
; FloatMode: 240
; IeeeMode: 1
; LDSByteSize: 0 bytes/workgroup (compile time only)
; SGPRBlocks: 0
; VGPRBlocks: 5
; NumSGPRsForWavesPerEU: 61
; NumVGPRsForWavesPerEU: 88
; NamedBarCnt: 0
; Occupancy: 10
; WaveLimiterHint : 0
; COMPUTE_PGM_RSRC2:SCRATCH_EN: 0
; COMPUTE_PGM_RSRC2:USER_SGPR: 2
; COMPUTE_PGM_RSRC2:TRAP_HANDLER: 0
; COMPUTE_PGM_RSRC2:TGID_X_EN: 1
; COMPUTE_PGM_RSRC2:TGID_Y_EN: 0
; COMPUTE_PGM_RSRC2:TGID_Z_EN: 0
; COMPUTE_PGM_RSRC2:TIDIG_COMP_CNT: 0
	.section	.text._ZN2at6native12_GLOBAL__N_125multi_tensor_apply_kernelINS1_18TensorListMetadataILi1EEENS1_14UnaryOpFunctorIN3c107complexIfEELi1ELi1ELi0EEEJNS0_4Log2IS8_EEEEEvT_T0_DpT1_,"axG",@progbits,_ZN2at6native12_GLOBAL__N_125multi_tensor_apply_kernelINS1_18TensorListMetadataILi1EEENS1_14UnaryOpFunctorIN3c107complexIfEELi1ELi1ELi0EEEJNS0_4Log2IS8_EEEEEvT_T0_DpT1_,comdat
	.globl	_ZN2at6native12_GLOBAL__N_125multi_tensor_apply_kernelINS1_18TensorListMetadataILi1EEENS1_14UnaryOpFunctorIN3c107complexIfEELi1ELi1ELi0EEEJNS0_4Log2IS8_EEEEEvT_T0_DpT1_ ; -- Begin function _ZN2at6native12_GLOBAL__N_125multi_tensor_apply_kernelINS1_18TensorListMetadataILi1EEENS1_14UnaryOpFunctorIN3c107complexIfEELi1ELi1ELi0EEEJNS0_4Log2IS8_EEEEEvT_T0_DpT1_
	.p2align	8
	.type	_ZN2at6native12_GLOBAL__N_125multi_tensor_apply_kernelINS1_18TensorListMetadataILi1EEENS1_14UnaryOpFunctorIN3c107complexIfEELi1ELi1ELi0EEEJNS0_4Log2IS8_EEEEEvT_T0_DpT1_,@function
_ZN2at6native12_GLOBAL__N_125multi_tensor_apply_kernelINS1_18TensorListMetadataILi1EEENS1_14UnaryOpFunctorIN3c107complexIfEELi1ELi1ELi0EEEJNS0_4Log2IS8_EEEEEvT_T0_DpT1_: ; @_ZN2at6native12_GLOBAL__N_125multi_tensor_apply_kernelINS1_18TensorListMetadataILi1EEENS1_14UnaryOpFunctorIN3c107complexIfEELi1ELi1ELi0EEEJNS0_4Log2IS8_EEEEEvT_T0_DpT1_
; %bb.0:
	s_bfe_u32 s2, ttmp6, 0x4000c
	s_and_b32 s3, ttmp6, 15
	s_add_co_i32 s2, s2, 1
	s_getreg_b32 s4, hwreg(HW_REG_IB_STS2, 6, 4)
	s_mul_i32 s2, ttmp9, s2
	s_delay_alu instid0(SALU_CYCLE_1)
	s_add_co_i32 s3, s3, s2
	s_cmp_eq_u32 s4, 0
	s_cselect_b32 s2, ttmp9, s3
	s_mov_b32 s3, 0
	s_load_u8 s12, s[0:1], s2 offset:0x6e0
	s_add_nc_u64 s[4:5], s[0:1], s[2:3]
	s_mul_u64 s[6:7], s[2:3], 3
	s_delay_alu instid0(SALU_CYCLE_1)
	s_add_nc_u64 s[4:5], s[4:5], s[6:7]
	s_load_b32 s6, s[4:5], 0x820
	s_wait_kmcnt 0x0
	s_clause 0x1
	s_load_b64 s[8:9], s[0:1], s12 offset:0x0 scale_offset
	s_load_b64 s[10:11], s[0:1], s12 offset:0x370 scale_offset
	s_ashr_i32 s7, s6, 31
	s_delay_alu instid0(SALU_CYCLE_1) | instskip(SKIP_3) | instid1(SALU_CYCLE_1)
	s_lshl_b64 s[4:5], s[6:7], 19
	s_wait_kmcnt 0x0
	s_and_b32 s2, s10, 3
	s_add_nc_u64 s[14:15], s[8:9], s[4:5]
	s_and_b64 s[4:5], s[14:15], 31
	s_delay_alu instid0(SALU_CYCLE_1)
	s_or_b64 s[2:3], s[4:5], s[2:3]
	s_lshl_b64 s[4:5], s[6:7], 16
	s_cmp_eq_u64 s[2:3], 0
	s_sub_nc_u64 s[16:17], s[10:11], s[4:5]
	s_cbranch_scc1 .LBB198_157
; %bb.1:
	v_cmp_lt_i64_e64 s2, s[16:17], 1
	s_and_b32 vcc_lo, exec_lo, s2
	s_cbranch_vccnz .LBB198_156
; %bb.2:
	v_min_i64 v[2:3], 0x10000, s[16:17]
	v_min_u64 v[4:5], 0x10000, s[16:17]
	s_load_b32 s2, s[0:1], 0xd3c
	v_mov_b64_e32 v[6:7], 0x3f800000bf800000
	v_dual_mov_b32 v1, 0 :: v_dual_mov_b32 v8, 0x3f317218
	v_mov_b32_e32 v38, 0x4016cbe4
	s_mov_b32 s19, 0
	s_mov_b64 s[26:27], 0
	s_mov_b32 s21, s19
	s_mov_b32 s23, s19
	;; [unrolled: 1-line block ×6, first 2 shown]
	s_wait_kmcnt 0x0
	s_and_b32 s18, s2, 0xffff
	s_delay_alu instid0(SALU_CYCLE_1)
	s_lshl_b32 s20, s18, 1
	s_mul_i32 s22, s18, 3
	s_lshl_b32 s24, s18, 2
	s_branch .LBB198_4
.LBB198_3:                              ;   in Loop: Header=BB198_4 Depth=1
	s_wait_xcnt 0x0
	s_or_b32 exec_lo, exec_lo, s2
	s_add_nc_u64 s[26:27], s[26:27], s[24:25]
	s_delay_alu instid0(SALU_CYCLE_1)
	v_cmp_ge_i64_e32 vcc_lo, s[26:27], v[2:3]
	s_cbranch_vccnz .LBB198_156
.LBB198_4:                              ; =>This Loop Header: Depth=1
                                        ;     Child Loop BB198_23 Depth 2
                                        ;     Child Loop BB198_57 Depth 2
	;; [unrolled: 1-line block ×4, first 2 shown]
	v_add_nc_u64_e32 v[12:13], s[26:27], v[0:1]
	v_dual_mov_b32 v24, 0 :: v_dual_mov_b32 v25, 0
	s_delay_alu instid0(VALU_DEP_2)
	v_cmp_lt_u64_e64 s5, v[12:13], v[4:5]
	v_lshl_add_u64 v[18:19], v[12:13], 3, s[14:15]
	s_and_saveexec_b32 s2, s5
	s_cbranch_execz .LBB198_6
; %bb.5:                                ;   in Loop: Header=BB198_4 Depth=1
	global_load_b64 v[24:25], v[18:19], off
.LBB198_6:                              ;   in Loop: Header=BB198_4 Depth=1
	s_wait_xcnt 0x0
	s_or_b32 exec_lo, exec_lo, s2
	v_add_nc_u64_e32 v[14:15], s[18:19], v[12:13]
	v_dual_mov_b32 v10, 0 :: v_dual_mov_b32 v22, 0
	v_mov_b32_e32 v23, 0
	s_delay_alu instid0(VALU_DEP_3)
	v_cmp_lt_u64_e64 s4, v[14:15], v[4:5]
	v_lshl_add_u64 v[16:17], v[14:15], 3, s[14:15]
	s_and_saveexec_b32 s2, s4
	s_cbranch_execz .LBB198_8
; %bb.7:                                ;   in Loop: Header=BB198_4 Depth=1
	global_load_b64 v[22:23], v[16:17], off
.LBB198_8:                              ;   in Loop: Header=BB198_4 Depth=1
	s_wait_xcnt 0x0
	s_or_b32 exec_lo, exec_lo, s2
	v_add_nc_u64_e32 v[14:15], s[20:21], v[12:13]
	v_mov_b32_e32 v11, 0
	s_delay_alu instid0(VALU_DEP_2)
	v_cmp_lt_u64_e64 s2, v[14:15], v[4:5]
	v_lshl_add_u64 v[14:15], v[14:15], 3, s[14:15]
	s_and_saveexec_b32 s3, s2
	s_cbranch_execz .LBB198_10
; %bb.9:                                ;   in Loop: Header=BB198_4 Depth=1
	global_load_b64 v[10:11], v[14:15], off
.LBB198_10:                             ;   in Loop: Header=BB198_4 Depth=1
	s_wait_xcnt 0x0
	s_or_b32 exec_lo, exec_lo, s3
	v_add_nc_u64_e32 v[12:13], s[22:23], v[12:13]
	v_mov_b32_e32 v20, 0
	s_delay_alu instid0(VALU_DEP_1) | instskip(NEXT) | instid1(VALU_DEP_3)
	v_mov_b32_e32 v21, v20
	v_cmp_lt_u64_e64 s3, v[12:13], v[4:5]
	v_lshl_add_u64 v[12:13], v[12:13], 3, s[14:15]
	s_and_saveexec_b32 s6, s3
	s_cbranch_execz .LBB198_12
; %bb.11:                               ;   in Loop: Header=BB198_4 Depth=1
	global_load_b64 v[20:21], v[12:13], off
.LBB198_12:                             ;   in Loop: Header=BB198_4 Depth=1
	s_wait_xcnt 0x0
	s_or_b32 exec_lo, exec_lo, s6
                                        ; implicit-def: $vgpr27
                                        ; implicit-def: $vgpr26
	s_delay_alu instid0(SALU_CYCLE_1)
	s_mov_b32 s6, exec_lo
	s_wait_loadcnt 0x0
	v_cmpx_o_f32_e32 v25, v24
	s_xor_b32 s31, exec_lo, s6
	s_cbranch_execz .LBB198_40
; %bb.13:                               ;   in Loop: Header=BB198_4 Depth=1
	v_cmp_lt_f32_e64 s6, |v24|, |v25|
                                        ; implicit-def: $vgpr27
                                        ; implicit-def: $vgpr26
	s_mov_b32 s8, exec_lo
	v_cndmask_b32_e64 v9, v25, v24, s6
	s_delay_alu instid0(VALU_DEP_1)
	v_cmpx_nlt_f32_e64 0x77f684df, |v9|
	s_xor_b32 s33, exec_lo, s8
	s_cbranch_execz .LBB198_37
; %bb.14:                               ;   in Loop: Header=BB198_4 Depth=1
	v_cndmask_b32_e64 v26, v24, v25, s6
	v_and_b32_e32 v28, 0x7fffffff, v9
                                        ; implicit-def: $vgpr27
	s_mov_b32 s7, exec_lo
	s_delay_alu instid0(VALU_DEP_2) | instskip(NEXT) | instid1(VALU_DEP_1)
	v_and_b32_e32 v29, 0x7fffffff, v26
                                        ; implicit-def: $vgpr26
	v_cmpx_neq_f32_e32 1.0, v29
	s_xor_b32 s34, exec_lo, s7
	s_cbranch_execz .LBB198_30
; %bb.15:                               ;   in Loop: Header=BB198_4 Depth=1
	v_dual_max_num_f32 v9, v28, v28 :: v_dual_max_num_f32 v26, v29, v29
	s_delay_alu instid0(VALU_DEP_1) | instskip(NEXT) | instid1(VALU_DEP_1)
	v_dual_min_num_f32 v27, v26, v9 :: v_dual_max_num_f32 v9, v26, v9
                                        ; implicit-def: $vgpr26
	v_cmp_ngt_f32_e32 vcc_lo, 0x358637bd, v27
	s_delay_alu instid0(VALU_DEP_2) | instskip(SKIP_1) | instid1(SALU_CYCLE_1)
	v_cmp_nlt_f32_e64 s7, 0x49742400, v9
                                        ; implicit-def: $vgpr27
	s_and_b32 s7, s7, vcc_lo
	s_and_saveexec_b32 s8, s7
	s_delay_alu instid0(SALU_CYCLE_1)
	s_xor_b32 s35, exec_lo, s8
	s_cbranch_execz .LBB198_27
; %bb.16:                               ;   in Loop: Header=BB198_4 Depth=1
                                        ; implicit-def: $vgpr27
                                        ; implicit-def: $vgpr26
	s_mov_b32 s7, exec_lo
	v_cmpx_le_f32_e32 1.0, v29
	s_xor_b32 s8, exec_lo, s7
	s_cbranch_execz .LBB198_18
; %bb.17:                               ;   in Loop: Header=BB198_4 Depth=1
	v_pk_add_f32 v[26:27], v[28:29], v[6:7] op_sel:[1,0]
	v_mov_b32_e32 v30, v28
	v_cmp_class_f32_e64 s9, v24, 0x204
	s_delay_alu instid0(VALU_DEP_3) | instskip(SKIP_1) | instid1(VALU_DEP_1)
	v_dual_mov_b32 v29, v26 :: v_dual_mov_b32 v31, v27
	v_mul_f32_e32 v26, v26, v27
	v_pk_fma_f32 v[26:27], v[28:29], v[30:31], v[26:27] op_sel_hi:[1,1,0]
	s_delay_alu instid0(VALU_DEP_1) | instskip(SKIP_1) | instid1(VALU_DEP_2)
	v_add_f32_e32 v29, 1.0, v26
	v_cmp_neq_f32_e64 s7, -1.0, v26
	v_frexp_mant_f32_e32 v28, v29
	v_add_f32_e32 v27, -1.0, v29
	s_delay_alu instid0(VALU_DEP_2) | instskip(NEXT) | instid1(VALU_DEP_2)
	v_cmp_gt_f32_e32 vcc_lo, 0x3f2aaaab, v28
	v_mov_b32_e32 v28, v27
	v_cvt_f64_f32_e32 v[30:31], v29
	s_delay_alu instid0(VALU_DEP_1) | instskip(NEXT) | instid1(VALU_DEP_3)
	v_frexp_exp_i32_f64_e32 v9, v[30:31]
	v_pk_add_f32 v[30:31], v[26:27], v[28:29] neg_lo:[0,1] neg_hi:[0,1]
	s_delay_alu instid0(VALU_DEP_1) | instskip(NEXT) | instid1(VALU_DEP_3)
	v_add_f32_e32 v28, 1.0, v31
	v_subrev_co_ci_u32_e64 v9, null, 0, v9, vcc_lo
	v_cmp_neq_f32_e32 vcc_lo, 0x7f800000, v26
	s_delay_alu instid0(VALU_DEP_2) | instskip(NEXT) | instid1(VALU_DEP_1)
	v_sub_nc_u32_e32 v32, 0, v9
	v_ldexp_f32 v27, v29, v32
	s_delay_alu instid0(VALU_DEP_1) | instskip(NEXT) | instid1(VALU_DEP_1)
	v_dual_add_f32 v31, 1.0, v27 :: v_dual_add_f32 v28, v30, v28
	v_add_f32_e32 v29, -1.0, v31
	v_add_f32_e32 v33, -1.0, v27
	s_delay_alu instid0(VALU_DEP_3) | instskip(NEXT) | instid1(VALU_DEP_3)
	v_ldexp_f32 v28, v28, v32
	v_sub_f32_e32 v29, v27, v29
	s_delay_alu instid0(VALU_DEP_1) | instskip(NEXT) | instid1(VALU_DEP_1)
	v_add_f32_e32 v32, v28, v29
	v_dual_add_f32 v30, 1.0, v33 :: v_dual_add_f32 v34, v31, v32
	s_delay_alu instid0(VALU_DEP_1) | instskip(NEXT) | instid1(VALU_DEP_2)
	v_sub_f32_e32 v27, v27, v30
	v_rcp_f32_e32 v35, v34
	s_delay_alu instid0(VALU_DEP_1) | instskip(SKIP_1) | instid1(VALU_DEP_1)
	v_add_f32_e32 v27, v28, v27
	v_sub_f32_e32 v28, v34, v31
	v_dual_add_f32 v29, v33, v27 :: v_dual_sub_f32 v37, v32, v28
	s_delay_alu instid0(TRANS32_DEP_1) | instid1(VALU_DEP_1)
	v_mul_f32_e32 v36, v29, v35
	s_delay_alu instid0(VALU_DEP_1) | instskip(NEXT) | instid1(VALU_DEP_1)
	v_mul_f32_e32 v30, v34, v36
	v_fma_f32 v32, v36, v34, -v30
	s_delay_alu instid0(VALU_DEP_1) | instskip(NEXT) | instid1(VALU_DEP_1)
	v_fmac_f32_e32 v32, v36, v37
	v_dual_add_f32 v28, v30, v32 :: v_dual_sub_f32 v39, v29, v33
	s_delay_alu instid0(VALU_DEP_1) | instskip(NEXT) | instid1(VALU_DEP_2)
	v_dual_mov_b32 v33, v28 :: v_dual_sub_f32 v31, v29, v28
	v_sub_f32_e32 v27, v27, v39
	s_delay_alu instid0(VALU_DEP_2) | instskip(NEXT) | instid1(VALU_DEP_1)
	v_pk_add_f32 v[28:29], v[28:29], v[30:31] neg_lo:[0,1] neg_hi:[0,1]
	v_pk_add_f32 v[28:29], v[28:29], v[32:33] neg_lo:[0,1] neg_hi:[0,1]
	s_delay_alu instid0(VALU_DEP_1) | instskip(NEXT) | instid1(VALU_DEP_1)
	v_add_f32_e32 v27, v27, v29
	v_add_f32_e32 v27, v28, v27
	s_delay_alu instid0(VALU_DEP_1) | instskip(NEXT) | instid1(VALU_DEP_1)
	v_add_f32_e32 v29, v31, v27
	v_mul_f32_e32 v39, v35, v29
	s_delay_alu instid0(VALU_DEP_1) | instskip(NEXT) | instid1(VALU_DEP_1)
	v_mul_f32_e32 v32, v34, v39
	v_fma_f32 v30, v39, v34, -v32
	v_sub_f32_e32 v34, v31, v29
	s_delay_alu instid0(VALU_DEP_2) | instskip(NEXT) | instid1(VALU_DEP_2)
	v_fmac_f32_e32 v30, v39, v37
	v_dual_add_f32 v27, v27, v34 :: v_dual_add_f32 v34, v36, v39
	s_delay_alu instid0(VALU_DEP_2) | instskip(NEXT) | instid1(VALU_DEP_1)
	v_add_f32_e32 v28, v32, v30
	v_dual_mov_b32 v31, v28 :: v_dual_sub_f32 v33, v29, v28
	s_delay_alu instid0(VALU_DEP_1) | instskip(NEXT) | instid1(VALU_DEP_1)
	v_pk_add_f32 v[28:29], v[28:29], v[32:33] neg_lo:[0,1] neg_hi:[0,1]
	v_pk_add_f32 v[28:29], v[28:29], v[30:31] neg_lo:[0,1] neg_hi:[0,1]
	s_delay_alu instid0(VALU_DEP_1) | instskip(NEXT) | instid1(VALU_DEP_1)
	v_add_f32_e32 v27, v27, v29
	v_dual_add_f32 v27, v28, v27 :: v_dual_sub_f32 v28, v34, v36
	s_delay_alu instid0(VALU_DEP_1) | instskip(NEXT) | instid1(VALU_DEP_1)
	v_dual_add_f32 v27, v33, v27 :: v_dual_sub_f32 v28, v39, v28
	v_mul_f32_e32 v27, v35, v27
	s_delay_alu instid0(VALU_DEP_1) | instskip(SKIP_1) | instid1(VALU_DEP_2)
	v_add_f32_e32 v27, v28, v27
	v_cvt_f32_i32_e32 v28, v9
	v_add_f32_e32 v35, v34, v27
	s_delay_alu instid0(VALU_DEP_1) | instskip(NEXT) | instid1(VALU_DEP_1)
	v_mul_f32_e32 v30, v35, v35
	v_fmaak_f32 v31, s29, v30, 0x3ecc95a3
	v_mul_f32_e32 v29, v35, v30
	s_delay_alu instid0(VALU_DEP_2) | instskip(NEXT) | instid1(VALU_DEP_1)
	v_fmaak_f32 v9, v30, v31, 0x3f2aaada
	v_pk_mul_f32 v[30:31], v[28:29], v[8:9]
	v_sub_f32_e32 v9, v35, v34
	s_delay_alu instid0(VALU_DEP_2) | instskip(NEXT) | instid1(VALU_DEP_2)
	v_fma_f32 v32, 0x3f317218, v28, -v30
	v_sub_f32_e32 v9, v27, v9
	v_ldexp_f32 v33, v35, 1
	v_mov_b32_e32 v34, v30
	s_delay_alu instid0(VALU_DEP_4) | instskip(NEXT) | instid1(VALU_DEP_4)
	v_fmac_f32_e32 v32, 0xb102e308, v28
	v_ldexp_f32 v9, v9, 1
	s_delay_alu instid0(VALU_DEP_2) | instskip(NEXT) | instid1(VALU_DEP_1)
	v_pk_add_f32 v[28:29], v[30:31], v[32:33]
	v_dual_sub_f32 v27, v29, v33 :: v_dual_mov_b32 v33, v28
	s_delay_alu instid0(VALU_DEP_1) | instskip(SKIP_1) | instid1(VALU_DEP_2)
	v_dual_mov_b32 v44, v29 :: v_dual_sub_f32 v27, v31, v27
	v_pk_add_f32 v[30:31], v[28:29], v[30:31] neg_lo:[0,1] neg_hi:[0,1]
	v_add_f32_e32 v35, v9, v27
	v_max_num_f32_e64 v9, |v25|, |v25|
	v_max_num_f32_e64 v27, |v24|, |v24|
	s_delay_alu instid0(VALU_DEP_1) | instskip(NEXT) | instid1(VALU_DEP_4)
	v_max_num_f32_e32 v39, v27, v9
	v_pk_add_f32 v[36:37], v[28:29], v[34:35]
	v_min_num_f32_e32 v9, v27, v9
	s_delay_alu instid0(VALU_DEP_3) | instskip(NEXT) | instid1(VALU_DEP_3)
	v_frexp_exp_i32_f32_e32 v27, v39
	v_mov_b32_e32 v31, v37
	v_frexp_mant_f32_e32 v39, v39
	s_delay_alu instid0(VALU_DEP_4) | instskip(NEXT) | instid1(VALU_DEP_3)
	v_frexp_mant_f32_e32 v46, v9
	v_pk_add_f32 v[40:41], v[32:33], v[30:31]
	v_frexp_exp_i32_f32_e32 v40, v9
	s_delay_alu instid0(VALU_DEP_4) | instskip(SKIP_1) | instid1(VALU_DEP_2)
	v_rcp_f32_e32 v39, v39
	v_pk_add_f32 v[30:31], v[32:33], v[30:31] neg_lo:[0,1] neg_hi:[0,1]
	v_dual_mov_b32 v34, v41 :: v_dual_sub_nc_u32 v27, v40, v27
	s_delay_alu instid0(TRANS32_DEP_1) | instskip(NEXT) | instid1(VALU_DEP_2)
	v_mul_f32_e32 v31, v46, v39
	v_pk_add_f32 v[42:43], v[34:35], v[28:29] neg_lo:[0,1] neg_hi:[0,1]
	v_dual_mov_b32 v40, v37 :: v_dual_mov_b32 v29, v28
	s_delay_alu instid0(VALU_DEP_2) | instskip(SKIP_1) | instid1(VALU_DEP_2)
	v_dual_mov_b32 v28, v35 :: v_dual_mov_b32 v45, v42
	v_mov_b32_e32 v9, v42
	v_pk_add_f32 v[32:33], v[40:41], v[44:45] neg_lo:[0,1] neg_hi:[0,1]
	s_delay_alu instid0(VALU_DEP_2) | instskip(SKIP_2) | instid1(VALU_DEP_4)
	v_pk_add_f32 v[36:37], v[36:37], v[8:9] neg_lo:[0,1] neg_hi:[0,1]
	v_mov_b32_e32 v36, v30
	v_ldexp_f32 v9, v31, v27
	v_pk_add_f32 v[28:29], v[28:29], v[32:33] neg_lo:[0,1] neg_hi:[0,1]
	s_delay_alu instid0(VALU_DEP_2) | instskip(NEXT) | instid1(VALU_DEP_2)
	v_mul_f32_e32 v27, v9, v9
	v_pk_add_f32 v[32:33], v[36:37], v[28:29]
	s_delay_alu instid0(VALU_DEP_1) | instskip(NEXT) | instid1(VALU_DEP_1)
	v_dual_fmaak_f32 v29, s30, v27, 0xbc7a590c :: v_dual_mov_b32 v36, v33
	v_pk_add_f32 v[36:37], v[32:33], v[36:37]
	s_delay_alu instid0(VALU_DEP_1) | instskip(NEXT) | instid1(VALU_DEP_1)
	v_pk_add_f32 v[34:35], v[34:35], v[36:37]
	v_dual_mov_b32 v31, v41 :: v_dual_mov_b32 v33, v34
	s_delay_alu instid0(VALU_DEP_1) | instskip(NEXT) | instid1(VALU_DEP_1)
	v_pk_add_f32 v[40:41], v[32:33], v[30:31] neg_lo:[0,1] neg_hi:[0,1]
	v_dual_fmaak_f32 v29, v27, v29, 0x3d29fb3f :: v_dual_sub_f32 v32, v32, v40
	s_delay_alu instid0(VALU_DEP_1) | instskip(NEXT) | instid1(VALU_DEP_1)
	v_dual_fmaak_f32 v29, v27, v29, 0xbd97d4d7 :: v_dual_sub_f32 v30, v30, v32
	v_fmaak_f32 v29, v27, v29, 0x3dd931b2
	s_delay_alu instid0(VALU_DEP_1) | instskip(SKIP_1) | instid1(VALU_DEP_1)
	v_fmaak_f32 v31, v27, v29, 0xbe1160e6
	v_mov_b32_e32 v29, v36
	v_pk_add_f32 v[28:29], v[28:29], v[40:41] neg_lo:[0,1] neg_hi:[0,1]
	s_delay_alu instid0(VALU_DEP_1) | instskip(NEXT) | instid1(VALU_DEP_1)
	v_add_f32_e32 v28, v28, v30
	v_dual_add_f32 v28, v28, v29 :: v_dual_fmaak_f32 v31, v27, v31, 0x3e4cb8bf
	s_delay_alu instid0(VALU_DEP_1) | instskip(NEXT) | instid1(VALU_DEP_1)
	v_fmaak_f32 v31, v27, v31, 0xbeaaaa62
	v_mul_f32_e32 v27, v27, v31
	s_delay_alu instid0(VALU_DEP_1) | instskip(NEXT) | instid1(VALU_DEP_1)
	v_dual_fmac_f32 v9, v9, v27 :: v_dual_add_f32 v27, v34, v28
	v_sub_f32_e32 v28, 0x3fc90fdb, v9
	s_delay_alu instid0(VALU_DEP_2) | instskip(SKIP_1) | instid1(VALU_DEP_3)
	v_cndmask_b32_e32 v27, 0x7f800000, v27, vcc_lo
	v_cmp_gt_i32_e32 vcc_lo, 0, v24
	v_cndmask_b32_e64 v9, v9, v28, s6
	v_cndmask_b32_e64 v28, 0, 0x40490fdb, vcc_lo
	v_cmp_ngt_f32_e32 vcc_lo, -1.0, v26
	s_delay_alu instid0(VALU_DEP_3) | instskip(SKIP_2) | instid1(VALU_DEP_2)
	v_sub_f32_e32 v29, 0x40490fdb, v9
	v_cndmask_b32_e32 v27, 0x7fc00000, v27, vcc_lo
	v_cmp_gt_f32_e32 vcc_lo, 0, v24
	v_cndmask_b32_e64 v24, 0xff800000, v27, s7
	s_delay_alu instid0(VALU_DEP_4)
	v_cndmask_b32_e32 v9, v9, v29, vcc_lo
	v_cndmask_b32_e32 v29, 0x3f490fdb, v38, vcc_lo
	v_cmp_gt_f32_e64 vcc_lo, 0x33800000, |v26|
	v_cmp_class_f32_e64 s7, v25, 0x204
	v_cndmask_b32_e32 v24, v24, v26, vcc_lo
	v_cmp_eq_f32_e32 vcc_lo, 0, v25
	s_delay_alu instid0(VALU_DEP_2) | instskip(SKIP_2) | instid1(VALU_DEP_1)
	v_mul_f32_e32 v27, 0.5, v24
	v_cndmask_b32_e32 v9, v9, v28, vcc_lo
	s_and_b32 vcc_lo, s7, s9
	v_cndmask_b32_e32 v26, v9, v29, vcc_lo
                                        ; implicit-def: $vgpr28_vgpr29
.LBB198_18:                             ;   in Loop: Header=BB198_4 Depth=1
	s_and_not1_saveexec_b32 s36, s8
	s_cbranch_execz .LBB198_26
; %bb.19:                               ;   in Loop: Header=BB198_4 Depth=1
	v_pk_mul_f32 v[26:27], v[28:29], v[28:29]
	s_mov_b32 s7, exec_lo
	s_delay_alu instid0(VALU_DEP_1) | instskip(NEXT) | instid1(VALU_DEP_1)
	v_add_f32_e32 v9, v27, v26
                                        ; implicit-def: $vgpr27
                                        ; implicit-def: $vgpr26
	v_cmpx_ge_f32_e32 0x3f333333, v9
	s_xor_b32 s8, exec_lo, s7
	s_cbranch_execz .LBB198_21
; %bb.20:                               ;   in Loop: Header=BB198_4 Depth=1
	v_max_num_f32_e64 v26, |v25|, |v25|
	v_max_num_f32_e64 v27, |v24|, |v24|
	v_cmp_gt_f32_e32 vcc_lo, 0x800000, v9
	v_cmp_gt_i32_e64 s7, 0, v24
	v_cmp_class_f32_e64 s9, v24, 0x204
	v_cmp_class_f32_e64 s10, v25, 0x204
	v_dual_max_num_f32 v28, v27, v26 :: v_dual_min_num_f32 v26, v27, v26
	v_cndmask_b32_e64 v30, 0, 0x41b17218, vcc_lo
	s_delay_alu instid0(VALU_DEP_2) | instskip(SKIP_1) | instid1(VALU_DEP_2)
	v_frexp_mant_f32_e32 v29, v28
	v_frexp_exp_i32_f32_e32 v27, v28
	v_rcp_f32_e32 v28, v29
	v_nop
	v_frexp_exp_i32_f32_e32 v29, v26
	v_frexp_mant_f32_e32 v26, v26
	s_delay_alu instid0(TRANS32_DEP_1) | instid1(VALU_DEP_1)
	v_dual_mul_f32 v26, v26, v28 :: v_dual_sub_nc_u32 v27, v29, v27
	v_cndmask_b32_e64 v29, 0, 32, vcc_lo
	s_delay_alu instid0(VALU_DEP_2) | instskip(NEXT) | instid1(VALU_DEP_2)
	v_ldexp_f32 v26, v26, v27
	v_ldexp_f32 v9, v9, v29
	s_delay_alu instid0(VALU_DEP_1) | instskip(NEXT) | instid1(VALU_DEP_2)
	v_log_f32_e32 v9, v9
	v_mul_f32_e32 v27, v26, v26
	s_delay_alu instid0(VALU_DEP_1) | instskip(NEXT) | instid1(TRANS32_DEP_1)
	v_fmaak_f32 v28, s30, v27, 0xbc7a590c
	v_cmp_gt_f32_e64 vcc_lo, 0x7f800000, |v9|
	s_delay_alu instid0(VALU_DEP_2) | instskip(NEXT) | instid1(VALU_DEP_1)
	v_fmaak_f32 v28, v27, v28, 0x3d29fb3f
	v_fmaak_f32 v28, v27, v28, 0xbd97d4d7
	s_delay_alu instid0(VALU_DEP_1) | instskip(NEXT) | instid1(VALU_DEP_1)
	v_fmaak_f32 v28, v27, v28, 0x3dd931b2
	v_fmaak_f32 v28, v27, v28, 0xbe1160e6
	s_delay_alu instid0(VALU_DEP_1) | instskip(NEXT) | instid1(VALU_DEP_1)
	;; [unrolled: 3-line block ×3, first 2 shown]
	v_dual_mul_f32 v27, v27, v28 :: v_dual_mul_f32 v28, 0x3f317217, v9
	v_fmac_f32_e32 v26, v26, v27
	s_delay_alu instid0(VALU_DEP_2) | instskip(NEXT) | instid1(VALU_DEP_1)
	v_fma_f32 v27, 0x3f317217, v9, -v28
	v_fmac_f32_e32 v27, 0x3377d1cf, v9
	s_delay_alu instid0(VALU_DEP_3) | instskip(NEXT) | instid1(VALU_DEP_2)
	v_sub_f32_e32 v28, 0x3fc90fdb, v26
	v_fmac_f32_e32 v27, 0x3f317217, v9
	s_delay_alu instid0(VALU_DEP_2) | instskip(SKIP_2) | instid1(VALU_DEP_4)
	v_cndmask_b32_e64 v26, v26, v28, s6
	v_cndmask_b32_e64 v28, 0, 0x40490fdb, s7
	v_cmp_eq_f32_e64 s7, 0, v25
	v_cndmask_b32_e32 v9, v9, v27, vcc_lo
	s_delay_alu instid0(VALU_DEP_4) | instskip(SKIP_1) | instid1(VALU_DEP_2)
	v_sub_f32_e32 v29, 0x40490fdb, v26
	v_cmp_gt_f32_e32 vcc_lo, 0, v24
	v_dual_sub_f32 v9, v9, v30 :: v_dual_cndmask_b32 v26, v26, v29
	s_delay_alu instid0(VALU_DEP_1) | instskip(SKIP_2) | instid1(VALU_DEP_1)
	v_dual_mul_f32 v27, 0.5, v9 :: v_dual_cndmask_b32 v24, v26, v28, s7
	v_cndmask_b32_e32 v26, 0x3f490fdb, v38, vcc_lo
	s_and_b32 vcc_lo, s10, s9
                                        ; implicit-def: $vgpr28
	v_cndmask_b32_e32 v26, v24, v26, vcc_lo
.LBB198_21:                             ;   in Loop: Header=BB198_4 Depth=1
	s_and_not1_saveexec_b32 s37, s8
	s_cbranch_execz .LBB198_25
; %bb.22:                               ;   in Loop: Header=BB198_4 Depth=1
	v_and_b32_e32 v27, 0x7fff0000, v28
	v_and_b32_e32 v26, 0x7fff0000, v29
	s_mov_b32 s38, 0
	s_delay_alu instid0(VALU_DEP_1) | instskip(SKIP_2) | instid1(VALU_DEP_2)
	v_dual_add_f32 v35, v27, v27 :: v_dual_add_f32 v32, v26, v26
	v_pk_add_f32 v[28:29], v[28:29], v[26:27] op_sel:[1,0] op_sel_hi:[0,1] neg_lo:[0,1] neg_hi:[0,1]
	v_pk_mul_f32 v[26:27], v[26:27], v[26:27]
	v_and_b32_e32 v31, 0xffff0000, v29
	s_delay_alu instid0(VALU_DEP_3) | instskip(NEXT) | instid1(VALU_DEP_1)
	v_and_b32_e32 v30, 0xffff0000, v28
	v_dual_add_f32 v39, v31, v31 :: v_dual_add_f32 v37, v30, v30
	v_pk_add_f32 v[28:29], v[28:29], v[30:31] neg_lo:[0,1] neg_hi:[0,1]
	v_dual_mul_f32 v9, v32, v30 :: v_dual_mul_f32 v34, v35, v31
	v_pk_mul_f32 v[30:31], v[30:31], v[30:31]
	s_delay_alu instid0(VALU_DEP_3)
	v_dual_mul_f32 v33, v32, v28 :: v_dual_mul_f32 v36, v35, v29
	v_dual_mul_f32 v32, v37, v28 :: v_dual_mul_f32 v35, v39, v29
	v_pk_mul_f32 v[28:29], v[28:29], v[28:29]
.LBB198_23:                             ;   Parent Loop BB198_4 Depth=1
                                        ; =>  This Inner Loop Header: Depth=2
	v_cmp_nlt_f32_e32 vcc_lo, v26, v27
	v_dual_cndmask_b32 v37, v26, v27 :: v_dual_cndmask_b32 v26, v27, v26
	s_delay_alu instid0(VALU_DEP_1) | instskip(NEXT) | instid1(VALU_DEP_1)
	v_cmp_nlt_f32_e64 s7, v37, v9
	v_cndmask_b32_e64 v39, v37, v9, s7
	v_cndmask_b32_e64 v27, v9, v37, s7
	s_and_b32 s7, vcc_lo, s7
	s_delay_alu instid0(VALU_DEP_2) | instskip(NEXT) | instid1(VALU_DEP_1)
	v_cmp_nlt_f32_e64 s8, v39, v34
	v_cndmask_b32_e64 v40, v39, v34, s8
	s_delay_alu instid0(VALU_DEP_1) | instskip(NEXT) | instid1(VALU_DEP_1)
	v_cmp_nlt_f32_e64 s9, v40, v30
	v_dual_cndmask_b32 v37, v40, v30, s9 :: v_dual_cndmask_b32 v9, v34, v39, s8
	s_and_b32 s39, s8, s9
	v_cndmask_b32_e64 v34, v30, v40, s9
	s_delay_alu instid0(VALU_DEP_2) | instskip(NEXT) | instid1(VALU_DEP_1)
	v_cmp_nlt_f32_e64 s10, v37, v31
	v_dual_cndmask_b32 v39, v37, v31, s10 :: v_dual_cndmask_b32 v30, v31, v37, s10
	s_delay_alu instid0(VALU_DEP_1) | instskip(NEXT) | instid1(VALU_DEP_1)
	v_cmp_nlt_f32_e64 s11, v39, v33
	v_cndmask_b32_e64 v41, v39, v33, s11
	s_and_b32 s10, s10, s11
	v_cndmask_b32_e64 v31, v33, v39, s11
	s_delay_alu instid0(VALU_DEP_2) | instskip(NEXT) | instid1(VALU_DEP_1)
	v_cmp_nlt_f32_e64 s12, v41, v36
	v_cndmask_b32_e64 v42, v41, v36, s12
	s_and_b32 s10, s10, s12
	s_delay_alu instid0(VALU_DEP_1) | instskip(NEXT) | instid1(VALU_DEP_1)
	v_cmp_nlt_f32_e64 s13, v42, v32
	v_cndmask_b32_e64 v40, v42, v32, s13
	s_and_b32 s11, s10, s13
	s_delay_alu instid0(VALU_DEP_1) | instskip(NEXT) | instid1(VALU_DEP_1)
	v_cmp_nlt_f32_e64 s8, v40, v35
	v_cndmask_b32_e64 v37, v40, v35, s8
	v_cndmask_b32_e64 v33, v36, v41, s12
	v_dual_cndmask_b32 v36, v32, v42, s13 :: v_dual_cndmask_b32 v32, v35, v40, s8
	s_and_b32 s8, s11, s8
	s_delay_alu instid0(VALU_DEP_3) | instskip(NEXT) | instid1(VALU_DEP_1)
	v_cmp_nlt_f32_e64 s9, v37, v28
	v_cndmask_b32_e64 v39, v37, v28, s9
	s_and_b32 s8, s8, s9
	v_cndmask_b32_e64 v35, v28, v37, s9
	s_delay_alu instid0(VALU_DEP_2)
	v_cmp_nlt_f32_e64 s10, v39, v29
	s_and_b32 s8, s8, s10
	v_cndmask_b32_e64 v28, v29, v39, s10
	s_and_b32 s8, s8, s39
	v_cndmask_b32_e64 v29, v39, v29, s10
	s_and_b32 s7, s8, s7
	s_delay_alu instid0(SALU_CYCLE_1) | instskip(NEXT) | instid1(SALU_CYCLE_1)
	s_and_b32 s7, exec_lo, s7
	s_or_b32 s38, s7, s38
	s_delay_alu instid0(SALU_CYCLE_1)
	s_and_not1_b32 exec_lo, exec_lo, s38
	s_cbranch_execnz .LBB198_23
; %bb.24:                               ;   in Loop: Header=BB198_4 Depth=1
	s_or_b32 exec_lo, exec_lo, s38
	v_add_f32_e32 v26, -1.0, v26
	v_cmp_class_f32_e64 s8, v24, 0x204
	s_delay_alu instid0(VALU_DEP_2) | instskip(NEXT) | instid1(VALU_DEP_1)
	v_add_f32_e32 v26, v26, v27
	v_add_f32_e32 v9, v26, v9
	s_delay_alu instid0(VALU_DEP_1) | instskip(NEXT) | instid1(VALU_DEP_1)
	v_add_f32_e32 v9, v9, v34
	v_add_f32_e32 v9, v9, v30
	s_delay_alu instid0(VALU_DEP_1) | instskip(NEXT) | instid1(VALU_DEP_1)
	v_add_f32_e32 v9, v9, v31
	v_add_f32_e32 v9, v9, v33
	s_delay_alu instid0(VALU_DEP_1) | instskip(NEXT) | instid1(VALU_DEP_1)
	v_add_f32_e32 v9, v9, v36
	v_add_f32_e32 v9, v9, v32
	s_delay_alu instid0(VALU_DEP_1) | instskip(NEXT) | instid1(VALU_DEP_1)
	v_add_f32_e32 v9, v9, v35
	v_add_f32_e32 v9, v9, v28
	s_delay_alu instid0(VALU_DEP_1) | instskip(NEXT) | instid1(VALU_DEP_1)
	v_add_f32_e32 v26, v29, v9
	v_add_f32_e32 v29, 1.0, v26
	s_delay_alu instid0(VALU_DEP_1) | instskip(SKIP_2) | instid1(VALU_DEP_2)
	v_cvt_f64_f32_e32 v[30:31], v29
	v_frexp_mant_f32_e32 v28, v29
	v_add_f32_e32 v27, -1.0, v29
	v_cmp_gt_f32_e32 vcc_lo, 0x3f2aaaab, v28
	s_delay_alu instid0(VALU_DEP_2) | instskip(SKIP_1) | instid1(VALU_DEP_1)
	v_mov_b32_e32 v28, v27
	v_frexp_exp_i32_f64_e32 v9, v[30:31]
	v_subrev_co_ci_u32_e64 v9, null, 0, v9, vcc_lo
	s_delay_alu instid0(VALU_DEP_1) | instskip(NEXT) | instid1(VALU_DEP_4)
	v_sub_nc_u32_e32 v32, 0, v9
	v_pk_add_f32 v[30:31], v[26:27], v[28:29] neg_lo:[0,1] neg_hi:[0,1]
	v_cmp_neq_f32_e32 vcc_lo, 0x7f800000, v26
	v_cmp_neq_f32_e64 s7, -1.0, v26
	s_delay_alu instid0(VALU_DEP_4) | instskip(NEXT) | instid1(VALU_DEP_4)
	v_ldexp_f32 v27, v29, v32
	v_add_f32_e32 v28, 1.0, v31
	s_delay_alu instid0(VALU_DEP_1) | instskip(NEXT) | instid1(VALU_DEP_1)
	v_dual_add_f32 v31, 1.0, v27 :: v_dual_add_f32 v28, v30, v28
	v_add_f32_e32 v29, -1.0, v31
	v_add_f32_e32 v33, -1.0, v27
	s_delay_alu instid0(VALU_DEP_3) | instskip(NEXT) | instid1(VALU_DEP_3)
	v_ldexp_f32 v28, v28, v32
	v_sub_f32_e32 v29, v27, v29
	s_delay_alu instid0(VALU_DEP_1) | instskip(NEXT) | instid1(VALU_DEP_1)
	v_add_f32_e32 v32, v28, v29
	v_dual_add_f32 v30, 1.0, v33 :: v_dual_add_f32 v34, v31, v32
	s_delay_alu instid0(VALU_DEP_1) | instskip(NEXT) | instid1(VALU_DEP_2)
	v_sub_f32_e32 v27, v27, v30
	v_rcp_f32_e32 v35, v34
	s_delay_alu instid0(VALU_DEP_1) | instskip(SKIP_1) | instid1(VALU_DEP_1)
	v_add_f32_e32 v27, v28, v27
	v_sub_f32_e32 v28, v34, v31
	v_dual_add_f32 v29, v33, v27 :: v_dual_sub_f32 v37, v32, v28
	s_delay_alu instid0(TRANS32_DEP_1) | instid1(VALU_DEP_1)
	v_mul_f32_e32 v36, v29, v35
	s_delay_alu instid0(VALU_DEP_1) | instskip(NEXT) | instid1(VALU_DEP_1)
	v_mul_f32_e32 v30, v34, v36
	v_fma_f32 v32, v36, v34, -v30
	s_delay_alu instid0(VALU_DEP_1) | instskip(NEXT) | instid1(VALU_DEP_1)
	v_fmac_f32_e32 v32, v36, v37
	v_dual_add_f32 v28, v30, v32 :: v_dual_sub_f32 v39, v29, v33
	s_delay_alu instid0(VALU_DEP_1) | instskip(NEXT) | instid1(VALU_DEP_2)
	v_dual_mov_b32 v33, v28 :: v_dual_sub_f32 v31, v29, v28
	v_sub_f32_e32 v27, v27, v39
	s_delay_alu instid0(VALU_DEP_2) | instskip(NEXT) | instid1(VALU_DEP_1)
	v_pk_add_f32 v[28:29], v[28:29], v[30:31] neg_lo:[0,1] neg_hi:[0,1]
	v_pk_add_f32 v[28:29], v[28:29], v[32:33] neg_lo:[0,1] neg_hi:[0,1]
	s_delay_alu instid0(VALU_DEP_1) | instskip(NEXT) | instid1(VALU_DEP_1)
	v_add_f32_e32 v27, v27, v29
	v_add_f32_e32 v27, v28, v27
	s_delay_alu instid0(VALU_DEP_1) | instskip(NEXT) | instid1(VALU_DEP_1)
	v_add_f32_e32 v29, v31, v27
	v_mul_f32_e32 v39, v35, v29
	s_delay_alu instid0(VALU_DEP_1) | instskip(NEXT) | instid1(VALU_DEP_1)
	v_mul_f32_e32 v32, v34, v39
	v_fma_f32 v30, v39, v34, -v32
	v_sub_f32_e32 v34, v31, v29
	s_delay_alu instid0(VALU_DEP_2) | instskip(NEXT) | instid1(VALU_DEP_2)
	v_fmac_f32_e32 v30, v39, v37
	v_dual_add_f32 v27, v27, v34 :: v_dual_add_f32 v34, v36, v39
	s_delay_alu instid0(VALU_DEP_2) | instskip(NEXT) | instid1(VALU_DEP_1)
	v_add_f32_e32 v28, v32, v30
	v_dual_mov_b32 v31, v28 :: v_dual_sub_f32 v33, v29, v28
	s_delay_alu instid0(VALU_DEP_1) | instskip(NEXT) | instid1(VALU_DEP_1)
	v_pk_add_f32 v[28:29], v[28:29], v[32:33] neg_lo:[0,1] neg_hi:[0,1]
	v_pk_add_f32 v[28:29], v[28:29], v[30:31] neg_lo:[0,1] neg_hi:[0,1]
	s_delay_alu instid0(VALU_DEP_1) | instskip(NEXT) | instid1(VALU_DEP_1)
	v_add_f32_e32 v27, v27, v29
	v_dual_add_f32 v27, v28, v27 :: v_dual_sub_f32 v28, v34, v36
	s_delay_alu instid0(VALU_DEP_1) | instskip(NEXT) | instid1(VALU_DEP_1)
	v_dual_add_f32 v27, v33, v27 :: v_dual_sub_f32 v28, v39, v28
	v_mul_f32_e32 v27, v35, v27
	s_delay_alu instid0(VALU_DEP_1) | instskip(SKIP_1) | instid1(VALU_DEP_2)
	v_add_f32_e32 v27, v28, v27
	v_cvt_f32_i32_e32 v28, v9
	v_add_f32_e32 v35, v34, v27
	s_delay_alu instid0(VALU_DEP_1) | instskip(NEXT) | instid1(VALU_DEP_1)
	v_mul_f32_e32 v30, v35, v35
	v_fmaak_f32 v31, s29, v30, 0x3ecc95a3
	v_mul_f32_e32 v29, v35, v30
	s_delay_alu instid0(VALU_DEP_2) | instskip(NEXT) | instid1(VALU_DEP_1)
	v_fmaak_f32 v9, v30, v31, 0x3f2aaada
	v_pk_mul_f32 v[30:31], v[28:29], v[8:9]
	v_sub_f32_e32 v9, v35, v34
	s_delay_alu instid0(VALU_DEP_2) | instskip(NEXT) | instid1(VALU_DEP_2)
	v_fma_f32 v32, 0x3f317218, v28, -v30
	v_sub_f32_e32 v9, v27, v9
	v_ldexp_f32 v33, v35, 1
	v_mov_b32_e32 v34, v30
	s_delay_alu instid0(VALU_DEP_4) | instskip(NEXT) | instid1(VALU_DEP_4)
	v_fmac_f32_e32 v32, 0xb102e308, v28
	v_ldexp_f32 v9, v9, 1
	s_delay_alu instid0(VALU_DEP_2) | instskip(NEXT) | instid1(VALU_DEP_1)
	v_pk_add_f32 v[28:29], v[30:31], v[32:33]
	v_dual_sub_f32 v27, v29, v33 :: v_dual_mov_b32 v33, v28
	s_delay_alu instid0(VALU_DEP_1) | instskip(SKIP_1) | instid1(VALU_DEP_2)
	v_dual_mov_b32 v44, v29 :: v_dual_sub_f32 v27, v31, v27
	v_pk_add_f32 v[30:31], v[28:29], v[30:31] neg_lo:[0,1] neg_hi:[0,1]
	v_add_f32_e32 v35, v9, v27
	v_max_num_f32_e64 v9, |v25|, |v25|
	v_max_num_f32_e64 v27, |v24|, |v24|
	s_delay_alu instid0(VALU_DEP_1) | instskip(NEXT) | instid1(VALU_DEP_4)
	v_max_num_f32_e32 v39, v27, v9
	v_pk_add_f32 v[36:37], v[28:29], v[34:35]
	v_min_num_f32_e32 v9, v27, v9
	s_delay_alu instid0(VALU_DEP_3) | instskip(NEXT) | instid1(VALU_DEP_3)
	v_frexp_exp_i32_f32_e32 v27, v39
	v_mov_b32_e32 v31, v37
	v_frexp_mant_f32_e32 v39, v39
	s_delay_alu instid0(VALU_DEP_4) | instskip(NEXT) | instid1(VALU_DEP_3)
	v_frexp_mant_f32_e32 v46, v9
	v_pk_add_f32 v[40:41], v[32:33], v[30:31]
	v_frexp_exp_i32_f32_e32 v40, v9
	s_delay_alu instid0(VALU_DEP_4) | instskip(SKIP_1) | instid1(VALU_DEP_2)
	v_rcp_f32_e32 v39, v39
	v_pk_add_f32 v[30:31], v[32:33], v[30:31] neg_lo:[0,1] neg_hi:[0,1]
	v_dual_mov_b32 v34, v41 :: v_dual_sub_nc_u32 v27, v40, v27
	s_delay_alu instid0(TRANS32_DEP_1) | instskip(NEXT) | instid1(VALU_DEP_2)
	v_mul_f32_e32 v31, v46, v39
	v_pk_add_f32 v[42:43], v[34:35], v[28:29] neg_lo:[0,1] neg_hi:[0,1]
	v_dual_mov_b32 v40, v37 :: v_dual_mov_b32 v29, v28
	s_delay_alu instid0(VALU_DEP_2) | instskip(SKIP_1) | instid1(VALU_DEP_2)
	v_dual_mov_b32 v28, v35 :: v_dual_mov_b32 v45, v42
	v_mov_b32_e32 v9, v42
	v_pk_add_f32 v[32:33], v[40:41], v[44:45] neg_lo:[0,1] neg_hi:[0,1]
	s_delay_alu instid0(VALU_DEP_2) | instskip(SKIP_2) | instid1(VALU_DEP_4)
	v_pk_add_f32 v[36:37], v[36:37], v[8:9] neg_lo:[0,1] neg_hi:[0,1]
	v_mov_b32_e32 v36, v30
	v_ldexp_f32 v9, v31, v27
	v_pk_add_f32 v[28:29], v[28:29], v[32:33] neg_lo:[0,1] neg_hi:[0,1]
	s_delay_alu instid0(VALU_DEP_2) | instskip(NEXT) | instid1(VALU_DEP_2)
	v_mul_f32_e32 v27, v9, v9
	v_pk_add_f32 v[32:33], v[36:37], v[28:29]
	s_delay_alu instid0(VALU_DEP_1) | instskip(NEXT) | instid1(VALU_DEP_1)
	v_dual_fmaak_f32 v29, s30, v27, 0xbc7a590c :: v_dual_mov_b32 v36, v33
	v_pk_add_f32 v[36:37], v[32:33], v[36:37]
	s_delay_alu instid0(VALU_DEP_1) | instskip(NEXT) | instid1(VALU_DEP_1)
	v_pk_add_f32 v[34:35], v[34:35], v[36:37]
	v_dual_mov_b32 v31, v41 :: v_dual_mov_b32 v33, v34
	s_delay_alu instid0(VALU_DEP_1) | instskip(NEXT) | instid1(VALU_DEP_1)
	v_pk_add_f32 v[40:41], v[32:33], v[30:31] neg_lo:[0,1] neg_hi:[0,1]
	v_dual_fmaak_f32 v29, v27, v29, 0x3d29fb3f :: v_dual_sub_f32 v32, v32, v40
	s_delay_alu instid0(VALU_DEP_1) | instskip(NEXT) | instid1(VALU_DEP_1)
	v_dual_fmaak_f32 v29, v27, v29, 0xbd97d4d7 :: v_dual_sub_f32 v30, v30, v32
	v_fmaak_f32 v29, v27, v29, 0x3dd931b2
	s_delay_alu instid0(VALU_DEP_1) | instskip(SKIP_1) | instid1(VALU_DEP_1)
	v_fmaak_f32 v31, v27, v29, 0xbe1160e6
	v_mov_b32_e32 v29, v36
	v_pk_add_f32 v[28:29], v[28:29], v[40:41] neg_lo:[0,1] neg_hi:[0,1]
	s_delay_alu instid0(VALU_DEP_1) | instskip(NEXT) | instid1(VALU_DEP_1)
	v_add_f32_e32 v28, v28, v30
	v_dual_add_f32 v28, v28, v29 :: v_dual_fmaak_f32 v31, v27, v31, 0x3e4cb8bf
	s_delay_alu instid0(VALU_DEP_1) | instskip(NEXT) | instid1(VALU_DEP_1)
	v_fmaak_f32 v31, v27, v31, 0xbeaaaa62
	v_mul_f32_e32 v27, v27, v31
	s_delay_alu instid0(VALU_DEP_1) | instskip(NEXT) | instid1(VALU_DEP_1)
	v_dual_fmac_f32 v9, v9, v27 :: v_dual_add_f32 v27, v34, v28
	v_sub_f32_e32 v28, 0x3fc90fdb, v9
	s_delay_alu instid0(VALU_DEP_2) | instskip(SKIP_1) | instid1(VALU_DEP_3)
	v_cndmask_b32_e32 v27, 0x7f800000, v27, vcc_lo
	v_cmp_gt_i32_e32 vcc_lo, 0, v24
	v_cndmask_b32_e64 v9, v9, v28, s6
	v_cndmask_b32_e64 v28, 0, 0x40490fdb, vcc_lo
	v_cmp_ngt_f32_e32 vcc_lo, -1.0, v26
	s_delay_alu instid0(VALU_DEP_3) | instskip(SKIP_2) | instid1(VALU_DEP_2)
	v_sub_f32_e32 v29, 0x40490fdb, v9
	v_cndmask_b32_e32 v27, 0x7fc00000, v27, vcc_lo
	v_cmp_gt_f32_e32 vcc_lo, 0, v24
	v_cndmask_b32_e64 v24, 0xff800000, v27, s7
	s_delay_alu instid0(VALU_DEP_4)
	v_cndmask_b32_e32 v9, v9, v29, vcc_lo
	v_cndmask_b32_e32 v29, 0x3f490fdb, v38, vcc_lo
	v_cmp_gt_f32_e64 vcc_lo, 0x33800000, |v26|
	v_cmp_class_f32_e64 s7, v25, 0x204
	v_cndmask_b32_e32 v24, v24, v26, vcc_lo
	v_cmp_eq_f32_e32 vcc_lo, 0, v25
	s_delay_alu instid0(VALU_DEP_2) | instskip(SKIP_2) | instid1(VALU_DEP_1)
	v_mul_f32_e32 v27, 0.5, v24
	v_cndmask_b32_e32 v9, v9, v28, vcc_lo
	s_and_b32 vcc_lo, s7, s8
	v_cndmask_b32_e32 v26, v9, v29, vcc_lo
.LBB198_25:                             ;   in Loop: Header=BB198_4 Depth=1
	s_or_b32 exec_lo, exec_lo, s37
.LBB198_26:                             ;   in Loop: Header=BB198_4 Depth=1
	s_delay_alu instid0(SALU_CYCLE_1)
	s_or_b32 exec_lo, exec_lo, s36
.LBB198_27:                             ;   in Loop: Header=BB198_4 Depth=1
	s_and_not1_saveexec_b32 s8, s35
	s_cbranch_execz .LBB198_29
; %bb.28:                               ;   in Loop: Header=BB198_4 Depth=1
	v_max_num_f32_e64 v9, |v25|, |v25|
	v_max_num_f32_e64 v28, |v24|, |v24|
	v_cmp_gt_i32_e64 s7, 0, v24
	v_cmp_class_f32_e64 s9, v24, 0x204
	v_cmp_class_f32_e64 s10, v25, 0x204
	s_delay_alu instid0(VALU_DEP_4) | instskip(NEXT) | instid1(VALU_DEP_1)
	v_dual_max_num_f32 v29, v28, v9 :: v_dual_min_num_f32 v9, v28, v9
	v_cvt_f64_f32_e32 v[26:27], v29
	v_frexp_exp_i32_f32_e32 v28, v29
	s_delay_alu instid0(VALU_DEP_3) | instskip(SKIP_4) | instid1(VALU_DEP_1)
	v_frexp_exp_i32_f32_e32 v30, v9
	v_frexp_mant_f32_e32 v9, v9
	v_cmp_neq_f32_e32 vcc_lo, 0x7f800000, v29
	v_frexp_exp_i32_f64_e32 v26, v[26:27]
	v_frexp_mant_f32_e32 v27, v29
	v_rcp_f32_e32 v27, v27
	v_nop
	s_delay_alu instid0(TRANS32_DEP_1) | instskip(NEXT) | instid1(VALU_DEP_1)
	v_dual_mul_f32 v9, v9, v27 :: v_dual_sub_nc_u32 v28, v30, v28
	v_ldexp_f32 v9, v9, v28
	s_delay_alu instid0(VALU_DEP_1) | instskip(NEXT) | instid1(VALU_DEP_1)
	v_dual_mul_f32 v28, v9, v9 :: v_dual_sub_nc_u32 v27, 0, v26
	v_ldexp_f32 v30, |v25|, v27
	s_delay_alu instid0(VALU_DEP_2) | instskip(SKIP_1) | instid1(VALU_DEP_2)
	v_fmaak_f32 v31, s30, v28, 0xbc7a590c
	v_ldexp_f32 v27, |v24|, v27
	v_dual_mul_f32 v30, v30, v30 :: v_dual_fmaak_f32 v31, v28, v31, 0x3d29fb3f
	s_delay_alu instid0(VALU_DEP_1) | instskip(NEXT) | instid1(VALU_DEP_2)
	v_fmac_f32_e32 v30, v27, v27
	v_fmaak_f32 v27, v28, v31, 0xbd97d4d7
	s_delay_alu instid0(VALU_DEP_1) | instskip(NEXT) | instid1(VALU_DEP_3)
	v_fmaak_f32 v27, v28, v27, 0x3dd931b2
	v_sqrt_f32_e32 v30, v30
	s_delay_alu instid0(VALU_DEP_1) | instskip(NEXT) | instid1(TRANS32_DEP_1)
	v_fmaak_f32 v27, v28, v27, 0xbe1160e6
	v_ldexp_f32 v26, v30, v26
	s_delay_alu instid0(VALU_DEP_2) | instskip(NEXT) | instid1(VALU_DEP_1)
	v_fmaak_f32 v27, v28, v27, 0x3e4cb8bf
	v_fmaak_f32 v27, v28, v27, 0xbeaaaa62
	s_delay_alu instid0(VALU_DEP_1) | instskip(NEXT) | instid1(VALU_DEP_1)
	v_dual_cndmask_b32 v26, 0x7f800000, v26 :: v_dual_mul_f32 v27, v28, v27
	v_cmp_gt_f32_e32 vcc_lo, 0x800000, v26
	v_cndmask_b32_e64 v29, 0, 32, vcc_lo
	s_delay_alu instid0(VALU_DEP_1) | instskip(NEXT) | instid1(VALU_DEP_1)
	v_ldexp_f32 v26, v26, v29
	v_log_f32_e32 v26, v26
	v_fmac_f32_e32 v9, v9, v27
	s_delay_alu instid0(VALU_DEP_1) | instskip(NEXT) | instid1(TRANS32_DEP_1)
	v_sub_f32_e32 v28, 0x3fc90fdb, v9
	v_mul_f32_e32 v27, 0x3f317217, v26
	s_delay_alu instid0(VALU_DEP_2) | instskip(NEXT) | instid1(VALU_DEP_2)
	v_cndmask_b32_e64 v9, v9, v28, s6
	v_fma_f32 v27, 0x3f317217, v26, -v27
	v_cndmask_b32_e64 v28, 0, 0x40490fdb, s7
	v_cmp_gt_f32_e64 s7, 0, v24
	s_delay_alu instid0(VALU_DEP_4) | instskip(NEXT) | instid1(VALU_DEP_4)
	v_sub_f32_e32 v29, 0x40490fdb, v9
	v_fmac_f32_e32 v27, 0x3377d1cf, v26
	s_delay_alu instid0(VALU_DEP_3) | instskip(NEXT) | instid1(VALU_DEP_3)
	v_cndmask_b32_e64 v24, 0x3f490fdb, v38, s7
	v_cndmask_b32_e64 v9, v9, v29, s7
	s_delay_alu instid0(VALU_DEP_3) | instskip(SKIP_2) | instid1(VALU_DEP_3)
	v_fmac_f32_e32 v27, 0x3f317217, v26
	v_cndmask_b32_e64 v29, 0, 0x41b17218, vcc_lo
	v_cmp_gt_f32_e64 vcc_lo, 0x7f800000, |v26|
	v_cndmask_b32_e32 v26, v26, v27, vcc_lo
	v_cmp_eq_f32_e32 vcc_lo, 0, v25
	s_delay_alu instid0(VALU_DEP_2) | instskip(SKIP_1) | instid1(VALU_DEP_1)
	v_dual_sub_f32 v27, v26, v29 :: v_dual_cndmask_b32 v9, v9, v28, vcc_lo
	s_and_b32 vcc_lo, s10, s9
	v_cndmask_b32_e32 v26, v9, v24, vcc_lo
.LBB198_29:                             ;   in Loop: Header=BB198_4 Depth=1
	s_or_b32 exec_lo, exec_lo, s8
                                        ; implicit-def: $vgpr28
.LBB198_30:                             ;   in Loop: Header=BB198_4 Depth=1
	s_and_not1_saveexec_b32 s8, s34
	s_cbranch_execz .LBB198_36
; %bb.31:                               ;   in Loop: Header=BB198_4 Depth=1
                                        ; implicit-def: $vgpr27
                                        ; implicit-def: $vgpr26
	s_mov_b32 s7, exec_lo
	v_cmpx_ngt_f32_e32 0x1fec1e4a, v28
	s_xor_b32 s9, exec_lo, s7
	s_cbranch_execz .LBB198_33
; %bb.32:                               ;   in Loop: Header=BB198_4 Depth=1
	v_pk_mul_f32 v[26:27], v[28:29], v[28:29]
	v_max_num_f32_e64 v40, |v24|, |v24|
	v_cmp_class_f32_e64 s10, v24, 0x204
	s_delay_alu instid0(VALU_DEP_3) | instskip(SKIP_1) | instid1(VALU_DEP_2)
	v_add_f32_e32 v29, 1.0, v26
	v_cmp_neq_f32_e64 s7, 0x7f800000, v26
	v_frexp_mant_f32_e32 v28, v29
	v_add_f32_e32 v27, -1.0, v29
	s_delay_alu instid0(VALU_DEP_2) | instskip(NEXT) | instid1(VALU_DEP_2)
	v_cmp_gt_f32_e32 vcc_lo, 0x3f2aaaab, v28
	v_mov_b32_e32 v28, v27
	v_cvt_f64_f32_e32 v[30:31], v29
	s_delay_alu instid0(VALU_DEP_1) | instskip(NEXT) | instid1(VALU_DEP_3)
	v_frexp_exp_i32_f64_e32 v9, v[30:31]
	v_pk_add_f32 v[30:31], v[26:27], v[28:29] neg_lo:[0,1] neg_hi:[0,1]
	s_delay_alu instid0(VALU_DEP_1) | instskip(NEXT) | instid1(VALU_DEP_3)
	v_add_f32_e32 v28, 1.0, v31
	v_subrev_co_ci_u32_e64 v9, null, 0, v9, vcc_lo
	v_cmp_gt_i32_e32 vcc_lo, 0, v24
	s_delay_alu instid0(VALU_DEP_2) | instskip(NEXT) | instid1(VALU_DEP_1)
	v_sub_nc_u32_e32 v32, 0, v9
	v_ldexp_f32 v27, v29, v32
	s_delay_alu instid0(VALU_DEP_1) | instskip(NEXT) | instid1(VALU_DEP_1)
	v_dual_add_f32 v31, 1.0, v27 :: v_dual_add_f32 v28, v30, v28
	v_add_f32_e32 v29, -1.0, v31
	v_add_f32_e32 v33, -1.0, v27
	s_delay_alu instid0(VALU_DEP_3) | instskip(NEXT) | instid1(VALU_DEP_3)
	v_ldexp_f32 v28, v28, v32
	v_sub_f32_e32 v29, v27, v29
	s_delay_alu instid0(VALU_DEP_1) | instskip(NEXT) | instid1(VALU_DEP_1)
	v_add_f32_e32 v32, v28, v29
	v_dual_add_f32 v30, 1.0, v33 :: v_dual_add_f32 v34, v31, v32
	s_delay_alu instid0(VALU_DEP_1) | instskip(NEXT) | instid1(VALU_DEP_2)
	v_sub_f32_e32 v27, v27, v30
	v_rcp_f32_e32 v35, v34
	s_delay_alu instid0(VALU_DEP_1) | instskip(NEXT) | instid1(VALU_DEP_1)
	v_dual_add_f32 v27, v28, v27 :: v_dual_sub_f32 v28, v31, v34
	v_dual_add_f32 v29, v33, v27 :: v_dual_add_f32 v37, v32, v28
	s_delay_alu instid0(TRANS32_DEP_1) | instid1(VALU_DEP_1)
	v_mul_f32_e32 v36, v29, v35
	s_delay_alu instid0(VALU_DEP_1) | instskip(NEXT) | instid1(VALU_DEP_1)
	v_dual_mul_f32 v30, v34, v36 :: v_dual_sub_f32 v39, v33, v29
	v_dual_fma_f32 v32, v36, v34, -v30 :: v_dual_add_f32 v27, v27, v39
	s_delay_alu instid0(VALU_DEP_1) | instskip(NEXT) | instid1(VALU_DEP_1)
	v_fmac_f32_e32 v32, v36, v37
	v_add_f32_e32 v28, v30, v32
	s_delay_alu instid0(VALU_DEP_1) | instskip(NEXT) | instid1(VALU_DEP_1)
	v_dual_sub_f32 v31, v29, v28 :: v_dual_mov_b32 v33, v28
	v_pk_add_f32 v[28:29], v[28:29], v[30:31] neg_lo:[0,1] neg_hi:[0,1]
	s_delay_alu instid0(VALU_DEP_1) | instskip(NEXT) | instid1(VALU_DEP_1)
	v_pk_add_f32 v[28:29], v[28:29], v[32:33] neg_lo:[0,1] neg_hi:[0,1]
	v_add_f32_e32 v27, v27, v29
	s_delay_alu instid0(VALU_DEP_1) | instskip(NEXT) | instid1(VALU_DEP_1)
	v_add_f32_e32 v27, v28, v27
	v_add_f32_e32 v29, v31, v27
	s_delay_alu instid0(VALU_DEP_1) | instskip(NEXT) | instid1(VALU_DEP_1)
	v_mul_f32_e32 v39, v35, v29
	v_mul_f32_e32 v32, v34, v39
	s_delay_alu instid0(VALU_DEP_1) | instskip(NEXT) | instid1(VALU_DEP_1)
	v_fma_f32 v30, v39, v34, -v32
	v_fmac_f32_e32 v30, v39, v37
	s_delay_alu instid0(VALU_DEP_1) | instskip(NEXT) | instid1(VALU_DEP_1)
	v_dual_add_f32 v28, v32, v30 :: v_dual_sub_f32 v34, v31, v29
	v_dual_mov_b32 v31, v28 :: v_dual_sub_f32 v33, v29, v28
	s_delay_alu instid0(VALU_DEP_2) | instskip(NEXT) | instid1(VALU_DEP_2)
	v_dual_add_f32 v27, v27, v34 :: v_dual_add_f32 v34, v36, v39
	v_pk_add_f32 v[28:29], v[28:29], v[32:33] neg_lo:[0,1] neg_hi:[0,1]
	s_delay_alu instid0(VALU_DEP_1) | instskip(NEXT) | instid1(VALU_DEP_1)
	v_pk_add_f32 v[28:29], v[28:29], v[30:31] neg_lo:[0,1] neg_hi:[0,1]
	v_add_f32_e32 v27, v27, v29
	s_delay_alu instid0(VALU_DEP_1) | instskip(NEXT) | instid1(VALU_DEP_1)
	v_dual_add_f32 v27, v28, v27 :: v_dual_sub_f32 v28, v34, v36
	v_dual_sub_f32 v28, v39, v28 :: v_dual_add_f32 v27, v33, v27
	v_max_num_f32_e64 v39, |v25|, |v25|
	s_delay_alu instid0(VALU_DEP_2) | instskip(NEXT) | instid1(VALU_DEP_1)
	v_mul_f32_e32 v27, v35, v27
	v_add_f32_e32 v27, v28, v27
	v_cvt_f32_i32_e32 v28, v9
	s_delay_alu instid0(VALU_DEP_2) | instskip(NEXT) | instid1(VALU_DEP_1)
	v_add_f32_e32 v35, v34, v27
	v_mul_f32_e32 v30, v35, v35
	s_delay_alu instid0(VALU_DEP_1) | instskip(SKIP_1) | instid1(VALU_DEP_2)
	v_fmaak_f32 v31, s29, v30, 0x3ecc95a3
	v_mul_f32_e32 v29, v35, v30
	v_fmaak_f32 v9, v30, v31, 0x3f2aaada
	s_delay_alu instid0(VALU_DEP_1) | instskip(SKIP_1) | instid1(VALU_DEP_2)
	v_pk_mul_f32 v[30:31], v[28:29], v[8:9]
	v_sub_f32_e32 v9, v35, v34
	v_fma_f32 v32, 0x3f317218, v28, -v30
	s_delay_alu instid0(VALU_DEP_2) | instskip(SKIP_2) | instid1(VALU_DEP_4)
	v_sub_f32_e32 v9, v27, v9
	v_ldexp_f32 v33, v35, 1
	v_mov_b32_e32 v34, v30
	v_fmac_f32_e32 v32, 0xb102e308, v28
	s_delay_alu instid0(VALU_DEP_4) | instskip(NEXT) | instid1(VALU_DEP_2)
	v_ldexp_f32 v9, v9, 1
	v_pk_add_f32 v[28:29], v[30:31], v[32:33]
	s_delay_alu instid0(VALU_DEP_1) | instskip(NEXT) | instid1(VALU_DEP_1)
	v_dual_sub_f32 v27, v29, v33 :: v_dual_mov_b32 v33, v28
	v_dual_mov_b32 v44, v29 :: v_dual_sub_f32 v27, v31, v27
	v_pk_add_f32 v[30:31], v[28:29], v[30:31] neg_lo:[0,1] neg_hi:[0,1]
	s_delay_alu instid0(VALU_DEP_2) | instskip(NEXT) | instid1(VALU_DEP_1)
	v_add_f32_e32 v35, v9, v27
	v_pk_add_f32 v[36:37], v[28:29], v[34:35]
	v_dual_max_num_f32 v9, v40, v39 :: v_dual_min_num_f32 v34, v40, v39
	s_delay_alu instid0(VALU_DEP_2) | instskip(NEXT) | instid1(VALU_DEP_2)
	v_mov_b32_e32 v31, v37
	v_frexp_mant_f32_e32 v27, v9
	v_frexp_exp_i32_f32_e32 v9, v9
	s_delay_alu instid0(VALU_DEP_4) | instskip(NEXT) | instid1(VALU_DEP_4)
	v_frexp_exp_i32_f32_e32 v39, v34
	v_pk_add_f32 v[40:41], v[32:33], v[30:31]
	v_frexp_mant_f32_e32 v40, v34
	v_rcp_f32_e32 v27, v27
	s_delay_alu instid0(VALU_DEP_3) | instskip(SKIP_1) | instid1(TRANS32_DEP_1)
	v_sub_nc_u32_e32 v9, v39, v9
	v_pk_add_f32 v[30:31], v[32:33], v[30:31] neg_lo:[0,1] neg_hi:[0,1]
	v_dual_mov_b32 v34, v41 :: v_dual_mul_f32 v27, v40, v27
	v_mov_b32_e32 v40, v37
	s_delay_alu instid0(VALU_DEP_2) | instskip(SKIP_1) | instid1(VALU_DEP_4)
	v_pk_add_f32 v[42:43], v[34:35], v[28:29] neg_lo:[0,1] neg_hi:[0,1]
	v_dual_mov_b32 v29, v28 :: v_dual_mov_b32 v28, v35
	v_ldexp_f32 v27, v27, v9
	s_delay_alu instid0(VALU_DEP_3) | instskip(NEXT) | instid1(VALU_DEP_2)
	v_dual_mov_b32 v45, v42 :: v_dual_mov_b32 v9, v42
	v_mul_f32_e32 v39, v27, v27
	s_delay_alu instid0(VALU_DEP_2) | instskip(NEXT) | instid1(VALU_DEP_3)
	v_pk_add_f32 v[32:33], v[40:41], v[44:45] neg_lo:[0,1] neg_hi:[0,1]
	v_pk_add_f32 v[36:37], v[36:37], v[8:9] neg_lo:[0,1] neg_hi:[0,1]
	v_mov_b32_e32 v36, v30
	s_delay_alu instid0(VALU_DEP_3) | instskip(NEXT) | instid1(VALU_DEP_1)
	v_pk_add_f32 v[28:29], v[28:29], v[32:33] neg_lo:[0,1] neg_hi:[0,1]
	v_pk_add_f32 v[32:33], v[36:37], v[28:29]
	s_delay_alu instid0(VALU_DEP_1) | instskip(NEXT) | instid1(VALU_DEP_1)
	v_dual_fmaak_f32 v9, s30, v39, 0xbc7a590c :: v_dual_mov_b32 v36, v33
	v_pk_add_f32 v[36:37], v[32:33], v[36:37]
	s_delay_alu instid0(VALU_DEP_1) | instskip(NEXT) | instid1(VALU_DEP_1)
	v_pk_add_f32 v[34:35], v[34:35], v[36:37]
	v_dual_mov_b32 v31, v41 :: v_dual_mov_b32 v33, v34
	s_delay_alu instid0(VALU_DEP_1) | instskip(NEXT) | instid1(VALU_DEP_1)
	v_pk_add_f32 v[40:41], v[32:33], v[30:31] neg_lo:[0,1] neg_hi:[0,1]
	v_sub_f32_e32 v31, v32, v40
	s_delay_alu instid0(VALU_DEP_1) | instskip(NEXT) | instid1(VALU_DEP_1)
	v_dual_fmaak_f32 v9, v39, v9, 0x3d29fb3f :: v_dual_sub_f32 v30, v30, v31
	v_fmaak_f32 v9, v39, v9, 0xbd97d4d7
	s_delay_alu instid0(VALU_DEP_1) | instskip(NEXT) | instid1(VALU_DEP_1)
	v_fmaak_f32 v9, v39, v9, 0x3dd931b2
	v_fmaak_f32 v9, v39, v9, 0xbe1160e6
	s_delay_alu instid0(VALU_DEP_1) | instskip(NEXT) | instid1(VALU_DEP_1)
	v_fmaak_f32 v9, v39, v9, 0x3e4cb8bf
	v_fmaak_f32 v9, v39, v9, 0xbeaaaa62
	s_delay_alu instid0(VALU_DEP_1) | instskip(NEXT) | instid1(VALU_DEP_1)
	v_dual_mov_b32 v29, v36 :: v_dual_mul_f32 v9, v39, v9
	v_pk_add_f32 v[28:29], v[28:29], v[40:41] neg_lo:[0,1] neg_hi:[0,1]
	s_delay_alu instid0(VALU_DEP_1) | instskip(NEXT) | instid1(VALU_DEP_1)
	v_dual_fmac_f32 v27, v27, v9 :: v_dual_add_f32 v9, v28, v30
	v_dual_sub_f32 v28, 0x3fc90fdb, v27 :: v_dual_add_f32 v9, v9, v29
	s_delay_alu instid0(VALU_DEP_1) | instskip(SKIP_1) | instid1(VALU_DEP_3)
	v_cndmask_b32_e64 v27, v27, v28, s6
	v_cndmask_b32_e64 v28, 0, 0x40490fdb, vcc_lo
	v_add_f32_e32 v9, v34, v9
	v_cmp_gt_f32_e32 vcc_lo, 0, v24
	s_delay_alu instid0(VALU_DEP_4) | instskip(NEXT) | instid1(VALU_DEP_3)
	v_sub_f32_e32 v29, 0x40490fdb, v27
	v_cndmask_b32_e64 v9, 0x7f800000, v9, s7
	v_cmp_class_f32_e64 s7, v25, 0x204
	s_delay_alu instid0(VALU_DEP_3) | instskip(SKIP_4) | instid1(VALU_DEP_2)
	v_cndmask_b32_e32 v24, v27, v29, vcc_lo
	v_cndmask_b32_e32 v29, 0x3f490fdb, v38, vcc_lo
	v_cmp_gt_f32_e64 vcc_lo, 0x33800000, |v26|
	v_cndmask_b32_e32 v9, v9, v26, vcc_lo
	v_cmp_eq_f32_e32 vcc_lo, 0, v25
	v_dual_mul_f32 v27, 0.5, v9 :: v_dual_cndmask_b32 v24, v24, v28
	s_and_b32 vcc_lo, s7, s10
                                        ; implicit-def: $vgpr28
	s_delay_alu instid0(VALU_DEP_1)
	v_cndmask_b32_e32 v26, v24, v29, vcc_lo
.LBB198_33:                             ;   in Loop: Header=BB198_4 Depth=1
	s_and_not1_saveexec_b32 s9, s9
	s_cbranch_execz .LBB198_35
; %bb.34:                               ;   in Loop: Header=BB198_4 Depth=1
	v_max_num_f32_e64 v9, |v25|, |v25|
	v_max_num_f32_e64 v26, |v24|, |v24|
	v_cmp_eq_f32_e64 s7, 0, v25
	v_cmp_gt_i32_e32 vcc_lo, 0, v24
	v_cmp_class_f32_e64 s10, v24, 0x204
	v_cmp_class_f32_e64 s11, v25, 0x204
	v_dual_max_num_f32 v27, v26, v9 :: v_dual_min_num_f32 v9, v26, v9
	s_delay_alu instid0(VALU_DEP_1) | instskip(SKIP_1) | instid1(VALU_DEP_2)
	v_frexp_mant_f32_e32 v29, v27
	v_frexp_exp_i32_f32_e32 v26, v27
	v_rcp_f32_e32 v27, v29
	v_nop
	v_frexp_exp_i32_f32_e32 v29, v9
	v_frexp_mant_f32_e32 v9, v9
	s_delay_alu instid0(VALU_DEP_2)
	v_sub_nc_u32_e32 v26, v29, v26
	s_delay_alu instid0(TRANS32_DEP_1) | instid1(VALU_DEP_2)
	v_mul_f32_e32 v9, v9, v27
	s_delay_alu instid0(VALU_DEP_1) | instskip(NEXT) | instid1(VALU_DEP_1)
	v_ldexp_f32 v9, v9, v26
	v_mul_f32_e32 v26, v9, v9
	s_delay_alu instid0(VALU_DEP_1) | instskip(NEXT) | instid1(VALU_DEP_1)
	v_fmaak_f32 v27, s30, v26, 0xbc7a590c
	v_fmaak_f32 v27, v26, v27, 0x3d29fb3f
	s_delay_alu instid0(VALU_DEP_1) | instskip(NEXT) | instid1(VALU_DEP_1)
	v_fmaak_f32 v27, v26, v27, 0xbd97d4d7
	v_fmaak_f32 v27, v26, v27, 0x3dd931b2
	;; [unrolled: 3-line block ×3, first 2 shown]
	s_delay_alu instid0(VALU_DEP_1) | instskip(NEXT) | instid1(VALU_DEP_1)
	v_fmaak_f32 v27, v26, v27, 0xbeaaaa62
	v_mul_f32_e32 v26, v26, v27
	v_cndmask_b32_e64 v27, 0, 0x40490fdb, vcc_lo
	v_cmp_gt_f32_e32 vcc_lo, 0, v24
	s_delay_alu instid0(VALU_DEP_3) | instskip(SKIP_1) | instid1(VALU_DEP_2)
	v_fmac_f32_e32 v9, v9, v26
	v_cndmask_b32_e32 v24, 0x3f490fdb, v38, vcc_lo
	v_sub_f32_e32 v26, 0x3fc90fdb, v9
	s_delay_alu instid0(VALU_DEP_1) | instskip(NEXT) | instid1(VALU_DEP_1)
	v_cndmask_b32_e64 v9, v9, v26, s6
	v_sub_f32_e32 v26, 0x40490fdb, v9
	s_delay_alu instid0(VALU_DEP_1) | instskip(SKIP_1) | instid1(VALU_DEP_1)
	v_dual_cndmask_b32 v9, v9, v26 :: v_dual_mul_f32 v26, 0.5, v28
	s_and_b32 vcc_lo, s11, s10
	v_dual_cndmask_b32 v9, v9, v27, s7 :: v_dual_mul_f32 v27, v28, v26
	s_delay_alu instid0(VALU_DEP_1)
	v_cndmask_b32_e32 v26, v9, v24, vcc_lo
.LBB198_35:                             ;   in Loop: Header=BB198_4 Depth=1
	s_or_b32 exec_lo, exec_lo, s9
.LBB198_36:                             ;   in Loop: Header=BB198_4 Depth=1
	s_delay_alu instid0(SALU_CYCLE_1)
	s_or_b32 exec_lo, exec_lo, s8
.LBB198_37:                             ;   in Loop: Header=BB198_4 Depth=1
	s_and_not1_saveexec_b32 s8, s33
	s_cbranch_execz .LBB198_39
; %bb.38:                               ;   in Loop: Header=BB198_4 Depth=1
	v_div_scale_f32 v9, null, 0x402df854, 0x402df854, v24
	v_div_scale_f32 v26, null, 0x402df854, 0x402df854, v25
	v_div_scale_f32 v31, vcc_lo, v24, 0x402df854, v24
	s_delay_alu instid0(VALU_DEP_3) | instskip(NEXT) | instid1(VALU_DEP_2)
	v_rcp_f32_e32 v27, v9
	v_rcp_f32_e32 v28, v26
	v_cmp_class_f32_e64 s9, v25, 0x204
	s_delay_alu instid0(TRANS32_DEP_2) | instskip(NEXT) | instid1(TRANS32_DEP_1)
	v_fma_f32 v29, -v9, v27, 1.0
	v_fma_f32 v30, -v26, v28, 1.0
	s_delay_alu instid0(VALU_DEP_1) | instskip(SKIP_1) | instid1(VALU_DEP_1)
	v_dual_fmac_f32 v27, v29, v27 :: v_dual_fmac_f32 v28, v30, v28
	v_div_scale_f32 v29, s7, v25, 0x402df854, v25
	v_dual_mul_f32 v30, v31, v27 :: v_dual_mul_f32 v32, v29, v28
	s_delay_alu instid0(VALU_DEP_1) | instskip(NEXT) | instid1(VALU_DEP_1)
	v_dual_fma_f32 v33, -v9, v30, v31 :: v_dual_fma_f32 v34, -v26, v32, v29
	v_dual_fmac_f32 v30, v33, v27 :: v_dual_fmac_f32 v32, v34, v28
	s_delay_alu instid0(VALU_DEP_1) | instskip(NEXT) | instid1(VALU_DEP_1)
	v_dual_fma_f32 v9, -v9, v30, v31 :: v_dual_fma_f32 v26, -v26, v32, v29
	v_div_fmas_f32 v9, v9, v27, v30
	s_mov_b32 vcc_lo, s7
	v_max_num_f32_e64 v30, |v24|, |v24|
	s_delay_alu instid0(VALU_DEP_3) | instskip(SKIP_2) | instid1(VALU_DEP_3)
	v_div_fmas_f32 v26, v26, v28, v32
	v_cmp_class_f32_e64 s7, v24, 0x204
	v_div_fixup_f32 v9, v9, 0x402df854, v24
	v_div_fixup_f32 v28, v26, 0x402df854, v25
	s_delay_alu instid0(VALU_DEP_1) | instskip(NEXT) | instid1(VALU_DEP_1)
	v_max_num_f32_e64 v29, |v9|, |v28|
	v_cvt_f64_f32_e32 v[26:27], v29
	v_cmp_neq_f32_e32 vcc_lo, 0x7f800000, v29
	s_delay_alu instid0(VALU_DEP_2) | instskip(SKIP_1) | instid1(VALU_DEP_1)
	v_frexp_exp_i32_f64_e32 v26, v[26:27]
	v_max_num_f32_e64 v27, |v25|, |v25|
	v_dual_max_num_f32 v31, v30, v27 :: v_dual_min_num_f32 v27, v30, v27
	s_delay_alu instid0(VALU_DEP_1) | instskip(SKIP_1) | instid1(VALU_DEP_2)
	v_frexp_mant_f32_e32 v32, v31
	v_frexp_exp_i32_f32_e32 v30, v31
	v_rcp_f32_e32 v31, v32
	v_nop
	v_frexp_exp_i32_f32_e32 v32, v27
	v_frexp_mant_f32_e32 v27, v27
	s_delay_alu instid0(TRANS32_DEP_1) | instid1(VALU_DEP_1)
	v_dual_mul_f32 v27, v27, v31 :: v_dual_sub_nc_u32 v30, v32, v30
	s_delay_alu instid0(VALU_DEP_1) | instskip(NEXT) | instid1(VALU_DEP_1)
	v_ldexp_f32 v27, v27, v30
	v_dual_mul_f32 v30, v27, v27 :: v_dual_sub_nc_u32 v31, 0, v26
	s_delay_alu instid0(VALU_DEP_1) | instskip(SKIP_1) | instid1(VALU_DEP_2)
	v_ldexp_f32 v28, |v28|, v31
	v_ldexp_f32 v9, |v9|, v31
	v_dual_fmaak_f32 v31, s30, v30, 0xbc7a590c :: v_dual_mul_f32 v28, v28, v28
	s_delay_alu instid0(VALU_DEP_1) | instskip(NEXT) | instid1(VALU_DEP_1)
	v_dual_fmac_f32 v28, v9, v9 :: v_dual_fmaak_f32 v9, v30, v31, 0x3d29fb3f
	v_sqrt_f32_e32 v28, v28
	s_delay_alu instid0(VALU_DEP_1) | instskip(NEXT) | instid1(VALU_DEP_1)
	v_fmaak_f32 v9, v30, v9, 0xbd97d4d7
	v_fmaak_f32 v9, v30, v9, 0x3dd931b2
	s_delay_alu instid0(TRANS32_DEP_1) | instskip(NEXT) | instid1(VALU_DEP_2)
	v_ldexp_f32 v26, v28, v26
	v_fmaak_f32 v9, v30, v9, 0xbe1160e6
	s_delay_alu instid0(VALU_DEP_1) | instskip(NEXT) | instid1(VALU_DEP_1)
	v_fmaak_f32 v9, v30, v9, 0x3e4cb8bf
	v_fmaak_f32 v9, v30, v9, 0xbeaaaa62
	s_delay_alu instid0(VALU_DEP_1) | instskip(NEXT) | instid1(VALU_DEP_1)
	v_dual_cndmask_b32 v26, 0x7f800000, v26 :: v_dual_mul_f32 v9, v30, v9
	v_cmp_gt_f32_e32 vcc_lo, 0x800000, v26
	s_delay_alu instid0(VALU_DEP_2) | instskip(SKIP_2) | instid1(VALU_DEP_2)
	v_fmac_f32_e32 v27, v27, v9
	v_cndmask_b32_e64 v28, 0, 32, vcc_lo
	v_cndmask_b32_e64 v30, 0, 0x41b17218, vcc_lo
	v_ldexp_f32 v26, v26, v28
	s_delay_alu instid0(VALU_DEP_1) | instskip(SKIP_1) | instid1(TRANS32_DEP_1)
	v_log_f32_e32 v26, v26
	v_nop
	v_mul_f32_e32 v28, 0x3f317217, v26
	v_cmp_gt_f32_e64 vcc_lo, 0x7f800000, |v26|
	s_delay_alu instid0(VALU_DEP_2) | instskip(NEXT) | instid1(VALU_DEP_1)
	v_fma_f32 v9, 0x3f317217, v26, -v28
	v_fmac_f32_e32 v9, 0x3377d1cf, v26
	s_delay_alu instid0(VALU_DEP_1) | instskip(NEXT) | instid1(VALU_DEP_1)
	v_fmac_f32_e32 v9, 0x3f317217, v26
	v_dual_sub_f32 v28, 0x3fc90fdb, v27 :: v_dual_cndmask_b32 v9, v26, v9
	s_delay_alu instid0(VALU_DEP_1) | instskip(SKIP_2) | instid1(VALU_DEP_4)
	v_cndmask_b32_e64 v27, v27, v28, s6
	v_cmp_gt_i32_e64 s6, 0, v24
	v_cmp_eq_f32_e32 vcc_lo, 0, v25
	v_sub_f32_e32 v9, v9, v30
	s_delay_alu instid0(VALU_DEP_4) | instskip(NEXT) | instid1(VALU_DEP_4)
	v_sub_f32_e32 v29, 0x40490fdb, v27
	v_cndmask_b32_e64 v28, 0, 0x40490fdb, s6
	v_cmp_gt_f32_e64 s6, 0, v24
	s_delay_alu instid0(VALU_DEP_1) | instskip(SKIP_1) | instid1(VALU_DEP_2)
	v_cndmask_b32_e64 v24, v27, v29, s6
	v_cndmask_b32_e64 v26, 0x3f490fdb, v38, s6
	v_dual_add_f32 v27, 1.0, v9 :: v_dual_cndmask_b32 v24, v24, v28
	s_and_b32 vcc_lo, s9, s7
	s_delay_alu instid0(VALU_DEP_1)
	v_cndmask_b32_e32 v26, v24, v26, vcc_lo
.LBB198_39:                             ;   in Loop: Header=BB198_4 Depth=1
	s_or_b32 exec_lo, exec_lo, s8
.LBB198_40:                             ;   in Loop: Header=BB198_4 Depth=1
	s_and_not1_saveexec_b32 s6, s31
	s_cbranch_execz .LBB198_46
; %bb.41:                               ;   in Loop: Header=BB198_4 Depth=1
	v_cmp_ngt_f32_e64 s7, 0x20000000, |v24|
	v_cmp_ngt_f32_e64 s8, 0x20000000, |v25|
                                        ; implicit-def: $vgpr9
	s_or_b32 s7, s8, s7
	s_delay_alu instid0(SALU_CYCLE_1) | instskip(NEXT) | instid1(SALU_CYCLE_1)
	s_and_saveexec_b32 s8, s7
	s_xor_b32 s7, exec_lo, s8
; %bb.42:                               ;   in Loop: Header=BB198_4 Depth=1
	v_pk_mul_f32 v[26:27], v[24:25], v[24:25]
	s_delay_alu instid0(VALU_DEP_1)
	v_add_f32_e32 v9, v27, v26
; %bb.43:                               ;   in Loop: Header=BB198_4 Depth=1
	s_and_not1_saveexec_b32 s7, s7
; %bb.44:                               ;   in Loop: Header=BB198_4 Depth=1
	v_pk_mul_f32 v[26:27], v[24:25], 4.0 op_sel_hi:[1,0]
	s_delay_alu instid0(VALU_DEP_1) | instskip(NEXT) | instid1(VALU_DEP_1)
	v_pk_mul_f32 v[26:27], v[26:27], v[26:27]
	v_add_f32_e32 v9, v27, v26
	s_delay_alu instid0(VALU_DEP_1)
	v_mul_f32_e32 v9, 0x3d800000, v9
; %bb.45:                               ;   in Loop: Header=BB198_4 Depth=1
	s_or_b32 exec_lo, exec_lo, s7
	s_delay_alu instid0(VALU_DEP_1) | instskip(SKIP_2) | instid1(VALU_DEP_2)
	v_cmp_gt_f32_e32 vcc_lo, 0x800000, v9
	v_cndmask_b32_e64 v24, 0, 32, vcc_lo
	v_cndmask_b32_e64 v26, 0, 0x41b17218, vcc_lo
	v_ldexp_f32 v9, v9, v24
	s_delay_alu instid0(VALU_DEP_1) | instskip(SKIP_1) | instid1(TRANS32_DEP_1)
	v_log_f32_e32 v9, v9
	v_nop
	v_mul_f32_e32 v24, 0x3f317217, v9
	v_cmp_gt_f32_e64 vcc_lo, 0x7f800000, |v9|
	s_delay_alu instid0(VALU_DEP_2) | instskip(NEXT) | instid1(VALU_DEP_1)
	v_fma_f32 v24, 0x3f317217, v9, -v24
	v_fmac_f32_e32 v24, 0x3377d1cf, v9
	s_delay_alu instid0(VALU_DEP_1) | instskip(NEXT) | instid1(VALU_DEP_1)
	v_fmac_f32_e32 v24, 0x3f317217, v9
	v_cndmask_b32_e32 v9, v9, v24, vcc_lo
	s_delay_alu instid0(VALU_DEP_1)
	v_dual_sub_f32 v27, v9, v26 :: v_dual_mov_b32 v26, 0x7fc00000
.LBB198_46:                             ;   in Loop: Header=BB198_4 Depth=1
	s_or_b32 exec_lo, exec_lo, s6
                                        ; implicit-def: $vgpr29
                                        ; implicit-def: $vgpr24
	s_delay_alu instid0(SALU_CYCLE_1)
	s_mov_b32 s6, exec_lo
	v_cmpx_o_f32_e32 v23, v22
	s_xor_b32 s31, exec_lo, s6
	s_cbranch_execz .LBB198_74
; %bb.47:                               ;   in Loop: Header=BB198_4 Depth=1
	v_cmp_lt_f32_e64 s6, |v22|, |v23|
                                        ; implicit-def: $vgpr29
                                        ; implicit-def: $vgpr24
	s_mov_b32 s8, exec_lo
	v_cndmask_b32_e64 v9, v23, v22, s6
	s_delay_alu instid0(VALU_DEP_1)
	v_cmpx_nlt_f32_e64 0x77f684df, |v9|
	s_xor_b32 s33, exec_lo, s8
	s_cbranch_execz .LBB198_71
; %bb.48:                               ;   in Loop: Header=BB198_4 Depth=1
	v_cndmask_b32_e64 v24, v22, v23, s6
	v_and_b32_e32 v30, 0x7fffffff, v9
                                        ; implicit-def: $vgpr29
	s_mov_b32 s7, exec_lo
	s_delay_alu instid0(VALU_DEP_2) | instskip(NEXT) | instid1(VALU_DEP_1)
	v_and_b32_e32 v31, 0x7fffffff, v24
                                        ; implicit-def: $vgpr24
	v_cmpx_neq_f32_e32 1.0, v31
	s_xor_b32 s34, exec_lo, s7
	s_cbranch_execz .LBB198_64
; %bb.49:                               ;   in Loop: Header=BB198_4 Depth=1
	v_dual_max_num_f32 v9, v30, v30 :: v_dual_max_num_f32 v24, v31, v31
                                        ; implicit-def: $vgpr29
	s_delay_alu instid0(VALU_DEP_1) | instskip(NEXT) | instid1(VALU_DEP_1)
	v_dual_min_num_f32 v28, v24, v9 :: v_dual_max_num_f32 v9, v24, v9
                                        ; implicit-def: $vgpr24
	v_cmp_ngt_f32_e32 vcc_lo, 0x358637bd, v28
	s_delay_alu instid0(VALU_DEP_2) | instskip(SKIP_1) | instid1(SALU_CYCLE_1)
	v_cmp_nlt_f32_e64 s7, 0x49742400, v9
	s_and_b32 s7, s7, vcc_lo
	s_and_saveexec_b32 s8, s7
	s_delay_alu instid0(SALU_CYCLE_1)
	s_xor_b32 s35, exec_lo, s8
	s_cbranch_execz .LBB198_61
; %bb.50:                               ;   in Loop: Header=BB198_4 Depth=1
                                        ; implicit-def: $vgpr29
                                        ; implicit-def: $vgpr24
	s_mov_b32 s7, exec_lo
	v_cmpx_le_f32_e32 1.0, v31
	s_xor_b32 s8, exec_lo, s7
	s_cbranch_execz .LBB198_52
; %bb.51:                               ;   in Loop: Header=BB198_4 Depth=1
	v_pk_add_f32 v[28:29], v[30:31], v[6:7] op_sel:[1,0]
	v_mov_b32_e32 v32, v30
	v_cmp_class_f32_e64 s9, v22, 0x204
	s_delay_alu instid0(VALU_DEP_3) | instskip(SKIP_1) | instid1(VALU_DEP_1)
	v_dual_mov_b32 v31, v28 :: v_dual_mov_b32 v33, v29
	v_mul_f32_e32 v24, v28, v29
	v_pk_fma_f32 v[28:29], v[30:31], v[32:33], v[24:25] op_sel_hi:[1,1,0]
	s_delay_alu instid0(VALU_DEP_1) | instskip(SKIP_1) | instid1(VALU_DEP_2)
	v_add_f32_e32 v31, 1.0, v28
	v_cmp_neq_f32_e64 s7, -1.0, v28
	v_add_f32_e32 v29, -1.0, v31
	s_delay_alu instid0(VALU_DEP_1) | instskip(SKIP_2) | instid1(VALU_DEP_1)
	v_mov_b32_e32 v30, v29
	v_cvt_f64_f32_e32 v[32:33], v31
	v_frexp_mant_f32_e32 v24, v31
	v_cmp_gt_f32_e32 vcc_lo, 0x3f2aaaab, v24
	s_delay_alu instid0(VALU_DEP_3) | instskip(NEXT) | instid1(VALU_DEP_1)
	v_frexp_exp_i32_f64_e32 v9, v[32:33]
	v_subrev_co_ci_u32_e64 v9, null, 0, v9, vcc_lo
	v_cmp_neq_f32_e32 vcc_lo, 0x7f800000, v28
	s_delay_alu instid0(VALU_DEP_2) | instskip(SKIP_1) | instid1(VALU_DEP_2)
	v_sub_nc_u32_e32 v24, 0, v9
	v_pk_add_f32 v[32:33], v[28:29], v[30:31] neg_lo:[0,1] neg_hi:[0,1]
	v_ldexp_f32 v29, v31, v24
	s_delay_alu instid0(VALU_DEP_2) | instskip(NEXT) | instid1(VALU_DEP_2)
	v_add_f32_e32 v30, 1.0, v33
	v_add_f32_e32 v33, 1.0, v29
	s_delay_alu instid0(VALU_DEP_1) | instskip(SKIP_1) | instid1(VALU_DEP_2)
	v_dual_add_f32 v31, -1.0, v33 :: v_dual_add_f32 v30, v32, v30
	v_add_f32_e32 v35, -1.0, v29
	v_ldexp_f32 v24, v30, v24
	s_delay_alu instid0(VALU_DEP_3) | instskip(NEXT) | instid1(VALU_DEP_1)
	v_sub_f32_e32 v30, v29, v31
	v_dual_add_f32 v31, 1.0, v35 :: v_dual_add_f32 v30, v24, v30
	s_delay_alu instid0(VALU_DEP_1) | instskip(NEXT) | instid1(VALU_DEP_1)
	v_sub_f32_e32 v29, v29, v31
	v_dual_add_f32 v36, v33, v30 :: v_dual_add_f32 v24, v24, v29
	s_delay_alu instid0(VALU_DEP_1) | instskip(NEXT) | instid1(VALU_DEP_1)
	v_rcp_f32_e32 v29, v36
	v_add_f32_e32 v31, v35, v24
	s_delay_alu instid0(TRANS32_DEP_1) | instid1(VALU_DEP_1)
	v_mul_f32_e32 v37, v31, v29
	s_delay_alu instid0(VALU_DEP_1) | instskip(NEXT) | instid1(VALU_DEP_1)
	v_mul_f32_e32 v32, v36, v37
	v_dual_sub_f32 v33, v36, v33 :: v_dual_fma_f32 v34, v37, v36, -v32
	s_delay_alu instid0(VALU_DEP_1) | instskip(NEXT) | instid1(VALU_DEP_1)
	v_sub_f32_e32 v39, v30, v33
	v_fmac_f32_e32 v34, v37, v39
	s_delay_alu instid0(VALU_DEP_1) | instskip(NEXT) | instid1(VALU_DEP_1)
	v_dual_add_f32 v30, v32, v34 :: v_dual_sub_f32 v40, v31, v35
	v_dual_mov_b32 v35, v30 :: v_dual_sub_f32 v33, v31, v30
	s_delay_alu instid0(VALU_DEP_2) | instskip(NEXT) | instid1(VALU_DEP_2)
	v_sub_f32_e32 v24, v24, v40
	v_pk_add_f32 v[30:31], v[30:31], v[32:33] neg_lo:[0,1] neg_hi:[0,1]
	s_delay_alu instid0(VALU_DEP_1) | instskip(NEXT) | instid1(VALU_DEP_1)
	v_pk_add_f32 v[30:31], v[30:31], v[34:35] neg_lo:[0,1] neg_hi:[0,1]
	v_add_f32_e32 v24, v24, v31
	s_delay_alu instid0(VALU_DEP_1) | instskip(NEXT) | instid1(VALU_DEP_1)
	v_add_f32_e32 v24, v30, v24
	v_add_f32_e32 v31, v33, v24
	s_delay_alu instid0(VALU_DEP_1) | instskip(NEXT) | instid1(VALU_DEP_1)
	v_mul_f32_e32 v40, v29, v31
	v_mul_f32_e32 v34, v36, v40
	s_delay_alu instid0(VALU_DEP_1) | instskip(NEXT) | instid1(VALU_DEP_1)
	v_dual_fma_f32 v32, v40, v36, -v34 :: v_dual_sub_f32 v36, v33, v31
	v_fmac_f32_e32 v32, v40, v39
	s_delay_alu instid0(VALU_DEP_2) | instskip(SKIP_1) | instid1(VALU_DEP_3)
	v_add_f32_e32 v24, v24, v36
	v_add_f32_e32 v36, v37, v40
	;; [unrolled: 1-line block ×3, first 2 shown]
	s_delay_alu instid0(VALU_DEP_1) | instskip(NEXT) | instid1(VALU_DEP_1)
	v_dual_mov_b32 v33, v30 :: v_dual_sub_f32 v35, v31, v30
	v_pk_add_f32 v[30:31], v[30:31], v[34:35] neg_lo:[0,1] neg_hi:[0,1]
	s_delay_alu instid0(VALU_DEP_1) | instskip(NEXT) | instid1(VALU_DEP_1)
	v_pk_add_f32 v[30:31], v[30:31], v[32:33] neg_lo:[0,1] neg_hi:[0,1]
	v_add_f32_e32 v24, v24, v31
	s_delay_alu instid0(VALU_DEP_1) | instskip(NEXT) | instid1(VALU_DEP_1)
	v_dual_add_f32 v24, v30, v24 :: v_dual_sub_f32 v30, v36, v37
	v_dual_add_f32 v24, v35, v24 :: v_dual_sub_f32 v30, v40, v30
	s_delay_alu instid0(VALU_DEP_1) | instskip(NEXT) | instid1(VALU_DEP_1)
	v_mul_f32_e32 v24, v29, v24
	v_add_f32_e32 v24, v30, v24
	v_cvt_f32_i32_e32 v30, v9
	s_delay_alu instid0(VALU_DEP_2) | instskip(NEXT) | instid1(VALU_DEP_1)
	v_add_f32_e32 v29, v36, v24
	v_mul_f32_e32 v32, v29, v29
	s_delay_alu instid0(VALU_DEP_1) | instskip(SKIP_1) | instid1(VALU_DEP_2)
	v_fmaak_f32 v33, s29, v32, 0x3ecc95a3
	v_mul_f32_e32 v31, v29, v32
	v_fmaak_f32 v9, v32, v33, 0x3f2aaada
	s_delay_alu instid0(VALU_DEP_1) | instskip(NEXT) | instid1(VALU_DEP_1)
	v_pk_mul_f32 v[32:33], v[30:31], v[8:9]
	v_fma_f32 v34, 0x3f317218, v30, -v32
	s_delay_alu instid0(VALU_DEP_1) | instskip(SKIP_1) | instid1(VALU_DEP_1)
	v_fmac_f32_e32 v34, 0xb102e308, v30
	v_ldexp_f32 v35, v29, 1
	v_pk_add_f32 v[30:31], v[32:33], v[34:35]
	v_dual_sub_f32 v9, v29, v36 :: v_dual_mov_b32 v36, v32
	s_delay_alu instid0(VALU_DEP_1) | instskip(NEXT) | instid1(VALU_DEP_3)
	v_dual_mov_b32 v46, v31 :: v_dual_sub_f32 v9, v24, v9
	v_dual_sub_f32 v24, v31, v35 :: v_dual_mov_b32 v35, v30
	s_delay_alu instid0(VALU_DEP_2) | instskip(NEXT) | instid1(VALU_DEP_2)
	v_ldexp_f32 v9, v9, 1
	v_sub_f32_e32 v24, v33, v24
	v_pk_add_f32 v[32:33], v[30:31], v[32:33] neg_lo:[0,1] neg_hi:[0,1]
	s_delay_alu instid0(VALU_DEP_2) | instskip(SKIP_2) | instid1(VALU_DEP_1)
	v_add_f32_e32 v37, v9, v24
	v_max_num_f32_e64 v9, |v23|, |v23|
	v_max_num_f32_e64 v24, |v22|, |v22|
	v_max_num_f32_e32 v29, v24, v9
	s_delay_alu instid0(VALU_DEP_4) | instskip(SKIP_1) | instid1(VALU_DEP_3)
	v_pk_add_f32 v[40:41], v[30:31], v[36:37]
	v_min_num_f32_e32 v9, v24, v9
	v_frexp_exp_i32_f32_e32 v36, v29
	s_delay_alu instid0(VALU_DEP_3) | instskip(NEXT) | instid1(VALU_DEP_3)
	v_mov_b32_e32 v33, v41
	v_frexp_exp_i32_f32_e32 v39, v9
	v_frexp_mant_f32_e32 v48, v9
	v_frexp_mant_f32_e32 v29, v29
	s_delay_alu instid0(VALU_DEP_4) | instskip(SKIP_2) | instid1(VALU_DEP_4)
	v_pk_add_f32 v[42:43], v[34:35], v[32:33]
	v_mov_b32_e32 v42, v41
	v_pk_add_f32 v[32:33], v[34:35], v[32:33] neg_lo:[0,1] neg_hi:[0,1]
	v_rcp_f32_e32 v29, v29
	s_delay_alu instid0(VALU_DEP_3) | instskip(NEXT) | instid1(VALU_DEP_1)
	v_dual_mov_b32 v24, v43 :: v_dual_mov_b32 v33, v43
	v_pk_add_f32 v[44:45], v[24:25], v[30:31] neg_lo:[0,1] neg_hi:[0,1]
	v_dual_sub_nc_u32 v39, v39, v36 :: v_dual_mov_b32 v31, v30
	s_delay_alu instid0(VALU_DEP_2) | instskip(SKIP_1) | instid1(VALU_DEP_2)
	v_dual_mov_b32 v30, v37 :: v_dual_mov_b32 v47, v44
	v_mov_b32_e32 v9, v44
	v_pk_add_f32 v[34:35], v[42:43], v[46:47] neg_lo:[0,1] neg_hi:[0,1]
	s_delay_alu instid0(VALU_DEP_2) | instskip(SKIP_1) | instid1(VALU_DEP_3)
	v_pk_add_f32 v[36:37], v[40:41], v[8:9] neg_lo:[0,1] neg_hi:[0,1]
	v_mov_b32_e32 v36, v32
	v_pk_add_f32 v[30:31], v[30:31], v[34:35] neg_lo:[0,1] neg_hi:[0,1]
	s_delay_alu instid0(VALU_DEP_1) | instskip(NEXT) | instid1(VALU_DEP_1)
	v_pk_add_f32 v[34:35], v[36:37], v[30:31]
	v_dual_mul_f32 v29, v48, v29 :: v_dual_mov_b32 v36, v35
	s_delay_alu instid0(VALU_DEP_1) | instskip(NEXT) | instid1(VALU_DEP_2)
	v_ldexp_f32 v9, v29, v39
	v_pk_add_f32 v[36:37], v[34:35], v[36:37]
	s_delay_alu instid0(VALU_DEP_2) | instskip(NEXT) | instid1(VALU_DEP_2)
	v_mul_f32_e32 v29, v9, v9
	v_pk_add_f32 v[40:41], v[24:25], v[36:37]
	s_delay_alu instid0(VALU_DEP_1) | instskip(NEXT) | instid1(VALU_DEP_1)
	v_mov_b32_e32 v35, v40
	v_pk_add_f32 v[42:43], v[34:35], v[32:33] neg_lo:[0,1] neg_hi:[0,1]
	s_delay_alu instid0(VALU_DEP_1) | instskip(NEXT) | instid1(VALU_DEP_1)
	v_sub_f32_e32 v33, v34, v42
	v_sub_f32_e32 v32, v32, v33
	v_fmaak_f32 v31, s30, v29, 0xbc7a590c
	s_delay_alu instid0(VALU_DEP_1) | instskip(NEXT) | instid1(VALU_DEP_1)
	v_fmaak_f32 v31, v29, v31, 0x3d29fb3f
	v_dual_fmaak_f32 v24, v29, v31, 0xbd97d4d7 :: v_dual_mov_b32 v31, v36
	s_delay_alu instid0(VALU_DEP_1) | instskip(NEXT) | instid1(VALU_DEP_2)
	v_fmaak_f32 v24, v29, v24, 0x3dd931b2
	v_pk_add_f32 v[30:31], v[30:31], v[42:43] neg_lo:[0,1] neg_hi:[0,1]
	s_delay_alu instid0(VALU_DEP_1) | instskip(NEXT) | instid1(VALU_DEP_3)
	v_add_f32_e32 v30, v30, v32
	v_fmaak_f32 v24, v29, v24, 0xbe1160e6
	s_delay_alu instid0(VALU_DEP_1) | instskip(NEXT) | instid1(VALU_DEP_1)
	v_fmaak_f32 v24, v29, v24, 0x3e4cb8bf
	v_fmaak_f32 v24, v29, v24, 0xbeaaaa62
	s_delay_alu instid0(VALU_DEP_1) | instskip(NEXT) | instid1(VALU_DEP_1)
	v_dual_mul_f32 v24, v29, v24 :: v_dual_add_f32 v29, v30, v31
	v_dual_fmac_f32 v9, v9, v24 :: v_dual_add_f32 v24, v40, v29
	s_delay_alu instid0(VALU_DEP_1) | instskip(NEXT) | instid1(VALU_DEP_1)
	v_sub_f32_e32 v29, 0x3fc90fdb, v9
	v_cndmask_b32_e64 v9, v9, v29, s6
	s_delay_alu instid0(VALU_DEP_3) | instskip(SKIP_1) | instid1(VALU_DEP_3)
	v_cndmask_b32_e32 v24, 0x7f800000, v24, vcc_lo
	v_cmp_gt_i32_e32 vcc_lo, 0, v22
	v_sub_f32_e32 v30, 0x40490fdb, v9
	v_cndmask_b32_e64 v29, 0, 0x40490fdb, vcc_lo
	v_cmp_ngt_f32_e32 vcc_lo, -1.0, v28
	v_cndmask_b32_e32 v24, 0x7fc00000, v24, vcc_lo
	v_cmp_gt_f32_e32 vcc_lo, 0, v22
	s_delay_alu instid0(VALU_DEP_2)
	v_cndmask_b32_e64 v22, 0xff800000, v24, s7
	v_cndmask_b32_e32 v9, v9, v30, vcc_lo
	v_cndmask_b32_e32 v24, 0x3f490fdb, v38, vcc_lo
	v_cmp_gt_f32_e64 vcc_lo, 0x33800000, |v28|
	v_cmp_class_f32_e64 s7, v23, 0x204
                                        ; implicit-def: $vgpr30_vgpr31
	v_cndmask_b32_e32 v22, v22, v28, vcc_lo
	v_cmp_eq_f32_e32 vcc_lo, 0, v23
	v_cndmask_b32_e32 v9, v9, v29, vcc_lo
	s_and_b32 vcc_lo, s7, s9
	s_delay_alu instid0(VALU_DEP_1)
	v_dual_mul_f32 v29, 0.5, v22 :: v_dual_cndmask_b32 v24, v9, v24
.LBB198_52:                             ;   in Loop: Header=BB198_4 Depth=1
	s_and_not1_saveexec_b32 s36, s8
	s_cbranch_execz .LBB198_60
; %bb.53:                               ;   in Loop: Header=BB198_4 Depth=1
	v_pk_mul_f32 v[28:29], v[30:31], v[30:31]
                                        ; implicit-def: $vgpr24
	s_mov_b32 s7, exec_lo
	s_delay_alu instid0(VALU_DEP_1) | instskip(NEXT) | instid1(VALU_DEP_1)
	v_add_f32_e32 v9, v29, v28
                                        ; implicit-def: $vgpr29
	v_cmpx_ge_f32_e32 0x3f333333, v9
	s_xor_b32 s8, exec_lo, s7
	s_cbranch_execz .LBB198_55
; %bb.54:                               ;   in Loop: Header=BB198_4 Depth=1
	v_max_num_f32_e64 v24, |v23|, |v23|
	v_max_num_f32_e64 v28, |v22|, |v22|
	v_cmp_gt_f32_e32 vcc_lo, 0x800000, v9
	v_cmp_gt_i32_e64 s7, 0, v22
	v_cmp_class_f32_e64 s9, v22, 0x204
	v_cmp_class_f32_e64 s10, v23, 0x204
	v_dual_max_num_f32 v29, v28, v24 :: v_dual_min_num_f32 v24, v28, v24
	v_cndmask_b32_e64 v31, 0, 0x41b17218, vcc_lo
	s_delay_alu instid0(VALU_DEP_2) | instskip(SKIP_1) | instid1(VALU_DEP_2)
	v_frexp_mant_f32_e32 v30, v29
	v_frexp_exp_i32_f32_e32 v28, v29
	v_rcp_f32_e32 v29, v30
	v_nop
	v_frexp_exp_i32_f32_e32 v30, v24
	v_frexp_mant_f32_e32 v24, v24
	s_delay_alu instid0(TRANS32_DEP_1) | instid1(VALU_DEP_1)
	v_dual_sub_nc_u32 v28, v30, v28 :: v_dual_mul_f32 v24, v24, v29
	v_cndmask_b32_e64 v30, 0, 32, vcc_lo
	s_delay_alu instid0(VALU_DEP_2) | instskip(NEXT) | instid1(VALU_DEP_2)
	v_ldexp_f32 v24, v24, v28
	v_ldexp_f32 v9, v9, v30
	s_delay_alu instid0(VALU_DEP_1) | instskip(NEXT) | instid1(VALU_DEP_2)
	v_log_f32_e32 v9, v9
	v_mul_f32_e32 v28, v24, v24
	s_delay_alu instid0(VALU_DEP_1) | instskip(NEXT) | instid1(TRANS32_DEP_1)
	v_fmaak_f32 v29, s30, v28, 0xbc7a590c
	v_cmp_gt_f32_e64 vcc_lo, 0x7f800000, |v9|
	s_delay_alu instid0(VALU_DEP_2) | instskip(NEXT) | instid1(VALU_DEP_1)
	v_fmaak_f32 v29, v28, v29, 0x3d29fb3f
	v_fmaak_f32 v29, v28, v29, 0xbd97d4d7
	s_delay_alu instid0(VALU_DEP_1) | instskip(NEXT) | instid1(VALU_DEP_1)
	v_fmaak_f32 v29, v28, v29, 0x3dd931b2
	v_fmaak_f32 v29, v28, v29, 0xbe1160e6
	s_delay_alu instid0(VALU_DEP_1) | instskip(NEXT) | instid1(VALU_DEP_1)
	v_fmaak_f32 v29, v28, v29, 0x3e4cb8bf
	v_fmaak_f32 v29, v28, v29, 0xbeaaaa62
	s_delay_alu instid0(VALU_DEP_1) | instskip(NEXT) | instid1(VALU_DEP_1)
	v_mul_f32_e32 v28, v28, v29
	v_dual_mul_f32 v29, 0x3f317217, v9 :: v_dual_fmac_f32 v24, v24, v28
	s_delay_alu instid0(VALU_DEP_1) | instskip(NEXT) | instid1(VALU_DEP_2)
	v_fma_f32 v28, 0x3f317217, v9, -v29
	v_sub_f32_e32 v29, 0x3fc90fdb, v24
	s_delay_alu instid0(VALU_DEP_2) | instskip(NEXT) | instid1(VALU_DEP_1)
	v_fmac_f32_e32 v28, 0x3377d1cf, v9
	v_fmac_f32_e32 v28, 0x3f317217, v9
	s_delay_alu instid0(VALU_DEP_3) | instskip(SKIP_2) | instid1(VALU_DEP_4)
	v_cndmask_b32_e64 v24, v24, v29, s6
	v_cndmask_b32_e64 v29, 0, 0x40490fdb, s7
	v_cmp_eq_f32_e64 s7, 0, v23
	v_cndmask_b32_e32 v9, v9, v28, vcc_lo
	s_delay_alu instid0(VALU_DEP_4) | instskip(SKIP_1) | instid1(VALU_DEP_2)
	v_sub_f32_e32 v30, 0x40490fdb, v24
	v_cmp_gt_f32_e32 vcc_lo, 0, v22
	v_dual_sub_f32 v9, v9, v31 :: v_dual_cndmask_b32 v24, v24, v30
                                        ; implicit-def: $vgpr30
	s_delay_alu instid0(VALU_DEP_1) | instskip(SKIP_2) | instid1(VALU_DEP_1)
	v_cndmask_b32_e64 v22, v24, v29, s7
	v_cndmask_b32_e32 v24, 0x3f490fdb, v38, vcc_lo
	s_and_b32 vcc_lo, s10, s9
	v_dual_mul_f32 v29, 0.5, v9 :: v_dual_cndmask_b32 v24, v22, v24
.LBB198_55:                             ;   in Loop: Header=BB198_4 Depth=1
	s_and_not1_saveexec_b32 s37, s8
	s_cbranch_execz .LBB198_59
; %bb.56:                               ;   in Loop: Header=BB198_4 Depth=1
	v_and_b32_e32 v29, 0x7fff0000, v30
	v_and_b32_e32 v28, 0x7fff0000, v31
	s_mov_b32 s38, 0
	s_delay_alu instid0(VALU_DEP_1) | instskip(SKIP_2) | instid1(VALU_DEP_2)
	v_dual_add_f32 v36, v29, v29 :: v_dual_add_f32 v24, v28, v28
	v_pk_add_f32 v[30:31], v[30:31], v[28:29] op_sel:[1,0] op_sel_hi:[0,1] neg_lo:[0,1] neg_hi:[0,1]
	v_pk_mul_f32 v[28:29], v[28:29], v[28:29]
	v_and_b32_e32 v33, 0xffff0000, v31
	s_delay_alu instid0(VALU_DEP_3) | instskip(NEXT) | instid1(VALU_DEP_1)
	v_and_b32_e32 v32, 0xffff0000, v30
	v_dual_add_f32 v40, v33, v33 :: v_dual_mul_f32 v9, v24, v32
	v_pk_add_f32 v[30:31], v[30:31], v[32:33] neg_lo:[0,1] neg_hi:[0,1]
	v_add_f32_e32 v39, v32, v32
	v_mul_f32_e32 v35, v36, v33
	v_pk_mul_f32 v[32:33], v[32:33], v[32:33]
	s_delay_alu instid0(VALU_DEP_3)
	v_dual_mul_f32 v34, v24, v30 :: v_dual_mul_f32 v24, v39, v30
	v_mul_f32_e32 v37, v36, v31
	v_mul_f32_e32 v36, v40, v31
	v_pk_mul_f32 v[30:31], v[30:31], v[30:31]
.LBB198_57:                             ;   Parent Loop BB198_4 Depth=1
                                        ; =>  This Inner Loop Header: Depth=2
	v_cmp_nlt_f32_e32 vcc_lo, v28, v29
	v_dual_cndmask_b32 v39, v28, v29 :: v_dual_cndmask_b32 v28, v29, v28
	s_delay_alu instid0(VALU_DEP_1) | instskip(NEXT) | instid1(VALU_DEP_1)
	v_cmp_nlt_f32_e64 s7, v39, v9
	v_dual_cndmask_b32 v40, v39, v9, s7 :: v_dual_cndmask_b32 v29, v9, v39, s7
	s_and_b32 s7, vcc_lo, s7
	s_delay_alu instid0(VALU_DEP_1) | instskip(NEXT) | instid1(VALU_DEP_1)
	v_cmp_nlt_f32_e64 s8, v40, v35
	v_dual_cndmask_b32 v41, v40, v35, s8 :: v_dual_cndmask_b32 v9, v35, v40, s8
	s_delay_alu instid0(VALU_DEP_1) | instskip(NEXT) | instid1(VALU_DEP_1)
	v_cmp_nlt_f32_e64 s9, v41, v32
	v_cndmask_b32_e64 v39, v41, v32, s9
	s_and_b32 s39, s8, s9
	s_delay_alu instid0(VALU_DEP_1) | instskip(NEXT) | instid1(VALU_DEP_1)
	v_cmp_nlt_f32_e64 s10, v39, v33
	v_cndmask_b32_e64 v40, v39, v33, s10
	s_delay_alu instid0(VALU_DEP_1) | instskip(NEXT) | instid1(VALU_DEP_1)
	v_cmp_nlt_f32_e64 s11, v40, v34
	v_cndmask_b32_e64 v42, v40, v34, s11
	;; [unrolled: 3-line block ×3, first 2 shown]
	s_delay_alu instid0(VALU_DEP_1) | instskip(SKIP_2) | instid1(VALU_DEP_3)
	v_cmp_nlt_f32_e64 s13, v43, v24
	v_dual_cndmask_b32 v35, v32, v41, s9 :: v_dual_cndmask_b32 v32, v33, v39, s10
	v_dual_cndmask_b32 v33, v34, v40, s11 :: v_dual_cndmask_b32 v34, v37, v42, s12
	v_cndmask_b32_e64 v41, v43, v24, s13
	s_and_b32 s10, s10, s11
	s_delay_alu instid0(SALU_CYCLE_1) | instskip(NEXT) | instid1(SALU_CYCLE_1)
	s_and_b32 s10, s10, s12
	s_and_b32 s11, s10, s13
	s_delay_alu instid0(VALU_DEP_1) | instskip(NEXT) | instid1(VALU_DEP_1)
	v_cmp_nlt_f32_e64 s8, v41, v36
	v_dual_cndmask_b32 v39, v41, v36, s8 :: v_dual_cndmask_b32 v37, v24, v43, s13
	s_delay_alu instid0(VALU_DEP_1)
	v_cmp_nlt_f32_e64 s9, v39, v30
	v_cndmask_b32_e64 v24, v36, v41, s8
	s_and_b32 s8, s11, s8
	v_cndmask_b32_e64 v40, v39, v30, s9
	s_and_b32 s8, s8, s9
	v_cndmask_b32_e64 v36, v30, v39, s9
	s_delay_alu instid0(VALU_DEP_2) | instskip(SKIP_3) | instid1(SALU_CYCLE_1)
	v_cmp_nlt_f32_e64 s10, v40, v31
	s_and_b32 s8, s8, s10
	v_dual_cndmask_b32 v30, v31, v40, s10 :: v_dual_cndmask_b32 v31, v40, v31, s10
	s_and_b32 s8, s8, s39
	s_and_b32 s7, s8, s7
	s_delay_alu instid0(SALU_CYCLE_1) | instskip(NEXT) | instid1(SALU_CYCLE_1)
	s_and_b32 s7, exec_lo, s7
	s_or_b32 s38, s7, s38
	s_delay_alu instid0(SALU_CYCLE_1)
	s_and_not1_b32 exec_lo, exec_lo, s38
	s_cbranch_execnz .LBB198_57
; %bb.58:                               ;   in Loop: Header=BB198_4 Depth=1
	s_or_b32 exec_lo, exec_lo, s38
	v_add_f32_e32 v28, -1.0, v28
	v_cmp_class_f32_e64 s8, v22, 0x204
	s_delay_alu instid0(VALU_DEP_2) | instskip(NEXT) | instid1(VALU_DEP_1)
	v_add_f32_e32 v28, v28, v29
	v_add_f32_e32 v9, v28, v9
	s_delay_alu instid0(VALU_DEP_1) | instskip(NEXT) | instid1(VALU_DEP_1)
	v_add_f32_e32 v9, v9, v35
	v_add_f32_e32 v9, v9, v32
	s_delay_alu instid0(VALU_DEP_1) | instskip(NEXT) | instid1(VALU_DEP_1)
	;; [unrolled: 3-line block ×5, first 2 shown]
	v_add_f32_e32 v28, v31, v9
	v_add_f32_e32 v31, 1.0, v28
	s_delay_alu instid0(VALU_DEP_1) | instskip(SKIP_2) | instid1(VALU_DEP_2)
	v_cvt_f64_f32_e32 v[32:33], v31
	v_frexp_mant_f32_e32 v24, v31
	v_add_f32_e32 v29, -1.0, v31
	v_cmp_gt_f32_e32 vcc_lo, 0x3f2aaaab, v24
	s_delay_alu instid0(VALU_DEP_2) | instskip(SKIP_2) | instid1(VALU_DEP_3)
	v_mov_b32_e32 v30, v29
	v_cmp_neq_f32_e64 s7, -1.0, v28
	v_frexp_exp_i32_f64_e32 v9, v[32:33]
	v_pk_add_f32 v[32:33], v[28:29], v[30:31] neg_lo:[0,1] neg_hi:[0,1]
	s_delay_alu instid0(VALU_DEP_1) | instskip(NEXT) | instid1(VALU_DEP_1)
	v_add_f32_e32 v30, 1.0, v33
	v_add_f32_e32 v30, v32, v30
	s_delay_alu instid0(VALU_DEP_4) | instskip(SKIP_1) | instid1(VALU_DEP_2)
	v_subrev_co_ci_u32_e64 v9, null, 0, v9, vcc_lo
	v_cmp_neq_f32_e32 vcc_lo, 0x7f800000, v28
	v_sub_nc_u32_e32 v24, 0, v9
	s_delay_alu instid0(VALU_DEP_1) | instskip(SKIP_1) | instid1(VALU_DEP_2)
	v_ldexp_f32 v29, v31, v24
	v_ldexp_f32 v24, v30, v24
	v_dual_add_f32 v33, 1.0, v29 :: v_dual_add_f32 v35, -1.0, v29
	s_delay_alu instid0(VALU_DEP_1) | instskip(NEXT) | instid1(VALU_DEP_1)
	v_add_f32_e32 v31, -1.0, v33
	v_sub_f32_e32 v30, v29, v31
	s_delay_alu instid0(VALU_DEP_1) | instskip(NEXT) | instid1(VALU_DEP_1)
	v_dual_add_f32 v31, 1.0, v35 :: v_dual_add_f32 v30, v24, v30
	v_sub_f32_e32 v29, v29, v31
	s_delay_alu instid0(VALU_DEP_1) | instskip(NEXT) | instid1(VALU_DEP_1)
	v_dual_add_f32 v36, v33, v30 :: v_dual_add_f32 v24, v24, v29
	v_rcp_f32_e32 v29, v36
	s_delay_alu instid0(VALU_DEP_1)
	v_add_f32_e32 v31, v35, v24
	s_delay_alu instid0(TRANS32_DEP_1) | instid1(VALU_DEP_1)
	v_mul_f32_e32 v37, v31, v29
	s_delay_alu instid0(VALU_DEP_1) | instskip(NEXT) | instid1(VALU_DEP_1)
	v_mul_f32_e32 v32, v36, v37
	v_dual_sub_f32 v33, v36, v33 :: v_dual_fma_f32 v34, v37, v36, -v32
	s_delay_alu instid0(VALU_DEP_1) | instskip(NEXT) | instid1(VALU_DEP_1)
	v_sub_f32_e32 v39, v30, v33
	v_fmac_f32_e32 v34, v37, v39
	s_delay_alu instid0(VALU_DEP_1) | instskip(NEXT) | instid1(VALU_DEP_1)
	v_dual_add_f32 v30, v32, v34 :: v_dual_sub_f32 v40, v31, v35
	v_dual_mov_b32 v35, v30 :: v_dual_sub_f32 v33, v31, v30
	s_delay_alu instid0(VALU_DEP_2) | instskip(NEXT) | instid1(VALU_DEP_2)
	v_sub_f32_e32 v24, v24, v40
	v_pk_add_f32 v[30:31], v[30:31], v[32:33] neg_lo:[0,1] neg_hi:[0,1]
	s_delay_alu instid0(VALU_DEP_1) | instskip(NEXT) | instid1(VALU_DEP_1)
	v_pk_add_f32 v[30:31], v[30:31], v[34:35] neg_lo:[0,1] neg_hi:[0,1]
	v_add_f32_e32 v24, v24, v31
	s_delay_alu instid0(VALU_DEP_1) | instskip(NEXT) | instid1(VALU_DEP_1)
	v_add_f32_e32 v24, v30, v24
	v_add_f32_e32 v31, v33, v24
	s_delay_alu instid0(VALU_DEP_1) | instskip(NEXT) | instid1(VALU_DEP_1)
	v_mul_f32_e32 v40, v29, v31
	v_mul_f32_e32 v34, v36, v40
	s_delay_alu instid0(VALU_DEP_1) | instskip(NEXT) | instid1(VALU_DEP_1)
	v_dual_fma_f32 v32, v40, v36, -v34 :: v_dual_sub_f32 v36, v33, v31
	v_fmac_f32_e32 v32, v40, v39
	s_delay_alu instid0(VALU_DEP_2) | instskip(SKIP_1) | instid1(VALU_DEP_3)
	v_add_f32_e32 v24, v24, v36
	v_add_f32_e32 v36, v37, v40
	;; [unrolled: 1-line block ×3, first 2 shown]
	s_delay_alu instid0(VALU_DEP_1) | instskip(NEXT) | instid1(VALU_DEP_1)
	v_dual_mov_b32 v33, v30 :: v_dual_sub_f32 v35, v31, v30
	v_pk_add_f32 v[30:31], v[30:31], v[34:35] neg_lo:[0,1] neg_hi:[0,1]
	s_delay_alu instid0(VALU_DEP_1) | instskip(NEXT) | instid1(VALU_DEP_1)
	v_pk_add_f32 v[30:31], v[30:31], v[32:33] neg_lo:[0,1] neg_hi:[0,1]
	v_add_f32_e32 v24, v24, v31
	s_delay_alu instid0(VALU_DEP_1) | instskip(NEXT) | instid1(VALU_DEP_1)
	v_dual_add_f32 v24, v30, v24 :: v_dual_sub_f32 v30, v36, v37
	v_dual_add_f32 v24, v35, v24 :: v_dual_sub_f32 v30, v40, v30
	s_delay_alu instid0(VALU_DEP_1) | instskip(NEXT) | instid1(VALU_DEP_1)
	v_mul_f32_e32 v24, v29, v24
	v_add_f32_e32 v24, v30, v24
	v_cvt_f32_i32_e32 v30, v9
	s_delay_alu instid0(VALU_DEP_2) | instskip(NEXT) | instid1(VALU_DEP_1)
	v_add_f32_e32 v29, v36, v24
	v_mul_f32_e32 v32, v29, v29
	s_delay_alu instid0(VALU_DEP_1) | instskip(SKIP_1) | instid1(VALU_DEP_2)
	v_fmaak_f32 v33, s29, v32, 0x3ecc95a3
	v_mul_f32_e32 v31, v29, v32
	v_fmaak_f32 v9, v32, v33, 0x3f2aaada
	s_delay_alu instid0(VALU_DEP_1) | instskip(NEXT) | instid1(VALU_DEP_1)
	v_pk_mul_f32 v[32:33], v[30:31], v[8:9]
	v_fma_f32 v34, 0x3f317218, v30, -v32
	s_delay_alu instid0(VALU_DEP_1) | instskip(SKIP_1) | instid1(VALU_DEP_1)
	v_fmac_f32_e32 v34, 0xb102e308, v30
	v_ldexp_f32 v35, v29, 1
	v_pk_add_f32 v[30:31], v[32:33], v[34:35]
	v_dual_sub_f32 v9, v29, v36 :: v_dual_mov_b32 v36, v32
	s_delay_alu instid0(VALU_DEP_1) | instskip(NEXT) | instid1(VALU_DEP_3)
	v_dual_mov_b32 v46, v31 :: v_dual_sub_f32 v9, v24, v9
	v_dual_sub_f32 v24, v31, v35 :: v_dual_mov_b32 v35, v30
	s_delay_alu instid0(VALU_DEP_2) | instskip(NEXT) | instid1(VALU_DEP_2)
	v_ldexp_f32 v9, v9, 1
	v_sub_f32_e32 v24, v33, v24
	v_pk_add_f32 v[32:33], v[30:31], v[32:33] neg_lo:[0,1] neg_hi:[0,1]
	s_delay_alu instid0(VALU_DEP_2) | instskip(SKIP_2) | instid1(VALU_DEP_1)
	v_add_f32_e32 v37, v9, v24
	v_max_num_f32_e64 v9, |v23|, |v23|
	v_max_num_f32_e64 v24, |v22|, |v22|
	v_max_num_f32_e32 v29, v24, v9
	s_delay_alu instid0(VALU_DEP_4) | instskip(SKIP_1) | instid1(VALU_DEP_3)
	v_pk_add_f32 v[40:41], v[30:31], v[36:37]
	v_min_num_f32_e32 v9, v24, v9
	v_frexp_exp_i32_f32_e32 v36, v29
	s_delay_alu instid0(VALU_DEP_3) | instskip(NEXT) | instid1(VALU_DEP_3)
	v_mov_b32_e32 v33, v41
	v_frexp_exp_i32_f32_e32 v39, v9
	v_frexp_mant_f32_e32 v48, v9
	v_frexp_mant_f32_e32 v29, v29
	s_delay_alu instid0(VALU_DEP_4) | instskip(SKIP_2) | instid1(VALU_DEP_4)
	v_pk_add_f32 v[42:43], v[34:35], v[32:33]
	v_mov_b32_e32 v42, v41
	v_pk_add_f32 v[32:33], v[34:35], v[32:33] neg_lo:[0,1] neg_hi:[0,1]
	v_rcp_f32_e32 v29, v29
	s_delay_alu instid0(VALU_DEP_3) | instskip(NEXT) | instid1(VALU_DEP_1)
	v_dual_mov_b32 v24, v43 :: v_dual_mov_b32 v33, v43
	v_pk_add_f32 v[44:45], v[24:25], v[30:31] neg_lo:[0,1] neg_hi:[0,1]
	v_dual_sub_nc_u32 v39, v39, v36 :: v_dual_mov_b32 v31, v30
	s_delay_alu instid0(VALU_DEP_2) | instskip(SKIP_1) | instid1(VALU_DEP_2)
	v_dual_mov_b32 v30, v37 :: v_dual_mov_b32 v47, v44
	v_mov_b32_e32 v9, v44
	v_pk_add_f32 v[34:35], v[42:43], v[46:47] neg_lo:[0,1] neg_hi:[0,1]
	s_delay_alu instid0(VALU_DEP_2) | instskip(SKIP_1) | instid1(VALU_DEP_3)
	v_pk_add_f32 v[36:37], v[40:41], v[8:9] neg_lo:[0,1] neg_hi:[0,1]
	v_mov_b32_e32 v36, v32
	v_pk_add_f32 v[30:31], v[30:31], v[34:35] neg_lo:[0,1] neg_hi:[0,1]
	s_delay_alu instid0(VALU_DEP_1) | instskip(NEXT) | instid1(VALU_DEP_1)
	v_pk_add_f32 v[34:35], v[36:37], v[30:31]
	v_dual_mul_f32 v29, v48, v29 :: v_dual_mov_b32 v36, v35
	s_delay_alu instid0(VALU_DEP_1) | instskip(NEXT) | instid1(VALU_DEP_2)
	v_ldexp_f32 v9, v29, v39
	v_pk_add_f32 v[36:37], v[34:35], v[36:37]
	s_delay_alu instid0(VALU_DEP_2) | instskip(NEXT) | instid1(VALU_DEP_2)
	v_mul_f32_e32 v29, v9, v9
	v_pk_add_f32 v[40:41], v[24:25], v[36:37]
	s_delay_alu instid0(VALU_DEP_1) | instskip(NEXT) | instid1(VALU_DEP_1)
	v_mov_b32_e32 v35, v40
	v_pk_add_f32 v[42:43], v[34:35], v[32:33] neg_lo:[0,1] neg_hi:[0,1]
	s_delay_alu instid0(VALU_DEP_1) | instskip(NEXT) | instid1(VALU_DEP_1)
	v_sub_f32_e32 v33, v34, v42
	v_sub_f32_e32 v32, v32, v33
	v_fmaak_f32 v31, s30, v29, 0xbc7a590c
	s_delay_alu instid0(VALU_DEP_1) | instskip(NEXT) | instid1(VALU_DEP_1)
	v_fmaak_f32 v31, v29, v31, 0x3d29fb3f
	v_dual_fmaak_f32 v24, v29, v31, 0xbd97d4d7 :: v_dual_mov_b32 v31, v36
	s_delay_alu instid0(VALU_DEP_1) | instskip(NEXT) | instid1(VALU_DEP_2)
	v_fmaak_f32 v24, v29, v24, 0x3dd931b2
	v_pk_add_f32 v[30:31], v[30:31], v[42:43] neg_lo:[0,1] neg_hi:[0,1]
	s_delay_alu instid0(VALU_DEP_1) | instskip(NEXT) | instid1(VALU_DEP_3)
	v_add_f32_e32 v30, v30, v32
	v_fmaak_f32 v24, v29, v24, 0xbe1160e6
	s_delay_alu instid0(VALU_DEP_1) | instskip(NEXT) | instid1(VALU_DEP_1)
	v_fmaak_f32 v24, v29, v24, 0x3e4cb8bf
	v_fmaak_f32 v24, v29, v24, 0xbeaaaa62
	s_delay_alu instid0(VALU_DEP_1) | instskip(NEXT) | instid1(VALU_DEP_1)
	v_dual_mul_f32 v24, v29, v24 :: v_dual_add_f32 v29, v30, v31
	v_dual_fmac_f32 v9, v9, v24 :: v_dual_add_f32 v24, v40, v29
	s_delay_alu instid0(VALU_DEP_1) | instskip(NEXT) | instid1(VALU_DEP_1)
	v_sub_f32_e32 v29, 0x3fc90fdb, v9
	v_cndmask_b32_e64 v9, v9, v29, s6
	s_delay_alu instid0(VALU_DEP_3) | instskip(SKIP_1) | instid1(VALU_DEP_3)
	v_cndmask_b32_e32 v24, 0x7f800000, v24, vcc_lo
	v_cmp_gt_i32_e32 vcc_lo, 0, v22
	v_sub_f32_e32 v30, 0x40490fdb, v9
	v_cndmask_b32_e64 v29, 0, 0x40490fdb, vcc_lo
	v_cmp_ngt_f32_e32 vcc_lo, -1.0, v28
	v_cndmask_b32_e32 v24, 0x7fc00000, v24, vcc_lo
	v_cmp_gt_f32_e32 vcc_lo, 0, v22
	s_delay_alu instid0(VALU_DEP_2)
	v_cndmask_b32_e64 v22, 0xff800000, v24, s7
	v_cndmask_b32_e32 v9, v9, v30, vcc_lo
	v_cndmask_b32_e32 v24, 0x3f490fdb, v38, vcc_lo
	v_cmp_gt_f32_e64 vcc_lo, 0x33800000, |v28|
	v_cmp_class_f32_e64 s7, v23, 0x204
	v_cndmask_b32_e32 v22, v22, v28, vcc_lo
	v_cmp_eq_f32_e32 vcc_lo, 0, v23
	v_cndmask_b32_e32 v9, v9, v29, vcc_lo
	s_and_b32 vcc_lo, s7, s8
	s_delay_alu instid0(VALU_DEP_1)
	v_dual_mul_f32 v29, 0.5, v22 :: v_dual_cndmask_b32 v24, v9, v24
.LBB198_59:                             ;   in Loop: Header=BB198_4 Depth=1
	s_or_b32 exec_lo, exec_lo, s37
.LBB198_60:                             ;   in Loop: Header=BB198_4 Depth=1
	s_delay_alu instid0(SALU_CYCLE_1)
	s_or_b32 exec_lo, exec_lo, s36
.LBB198_61:                             ;   in Loop: Header=BB198_4 Depth=1
	s_and_not1_saveexec_b32 s8, s35
	s_cbranch_execz .LBB198_63
; %bb.62:                               ;   in Loop: Header=BB198_4 Depth=1
	v_max_num_f32_e64 v9, |v23|, |v23|
	v_max_num_f32_e64 v24, |v22|, |v22|
	v_cmp_gt_i32_e64 s7, 0, v22
	v_cmp_class_f32_e64 s9, v22, 0x204
	v_cmp_class_f32_e64 s10, v23, 0x204
	s_delay_alu instid0(VALU_DEP_4) | instskip(NEXT) | instid1(VALU_DEP_1)
	v_dual_max_num_f32 v30, v24, v9 :: v_dual_min_num_f32 v9, v24, v9
	v_cvt_f64_f32_e32 v[28:29], v30
	v_frexp_exp_i32_f32_e32 v24, v30
	s_delay_alu instid0(VALU_DEP_3) | instskip(SKIP_4) | instid1(VALU_DEP_1)
	v_frexp_exp_i32_f32_e32 v31, v9
	v_frexp_mant_f32_e32 v9, v9
	v_cmp_neq_f32_e32 vcc_lo, 0x7f800000, v30
	v_frexp_exp_i32_f64_e32 v28, v[28:29]
	v_frexp_mant_f32_e32 v29, v30
	v_rcp_f32_e32 v29, v29
	v_nop
	s_delay_alu instid0(TRANS32_DEP_1) | instskip(NEXT) | instid1(VALU_DEP_1)
	v_dual_mul_f32 v9, v9, v29 :: v_dual_sub_nc_u32 v24, v31, v24
	v_ldexp_f32 v9, v9, v24
	s_delay_alu instid0(VALU_DEP_1) | instskip(NEXT) | instid1(VALU_DEP_1)
	v_dual_mul_f32 v29, v9, v9 :: v_dual_sub_nc_u32 v24, 0, v28
	v_ldexp_f32 v31, |v23|, v24
	s_delay_alu instid0(VALU_DEP_2) | instskip(SKIP_1) | instid1(VALU_DEP_2)
	v_fmaak_f32 v32, s30, v29, 0xbc7a590c
	v_ldexp_f32 v24, |v22|, v24
	v_dual_mul_f32 v31, v31, v31 :: v_dual_fmaak_f32 v32, v29, v32, 0x3d29fb3f
	s_delay_alu instid0(VALU_DEP_1) | instskip(NEXT) | instid1(VALU_DEP_2)
	v_fmac_f32_e32 v31, v24, v24
	v_fmaak_f32 v24, v29, v32, 0xbd97d4d7
	s_delay_alu instid0(VALU_DEP_1) | instskip(NEXT) | instid1(VALU_DEP_3)
	v_fmaak_f32 v24, v29, v24, 0x3dd931b2
	v_sqrt_f32_e32 v31, v31
	s_delay_alu instid0(VALU_DEP_1) | instskip(NEXT) | instid1(TRANS32_DEP_1)
	v_fmaak_f32 v24, v29, v24, 0xbe1160e6
	v_ldexp_f32 v28, v31, v28
	s_delay_alu instid0(VALU_DEP_2) | instskip(NEXT) | instid1(VALU_DEP_2)
	v_fmaak_f32 v24, v29, v24, 0x3e4cb8bf
	v_cndmask_b32_e32 v28, 0x7f800000, v28, vcc_lo
	s_delay_alu instid0(VALU_DEP_2) | instskip(NEXT) | instid1(VALU_DEP_2)
	v_fmaak_f32 v24, v29, v24, 0xbeaaaa62
	v_cmp_gt_f32_e32 vcc_lo, 0x800000, v28
	s_delay_alu instid0(VALU_DEP_2) | instskip(SKIP_1) | instid1(VALU_DEP_1)
	v_mul_f32_e32 v24, v29, v24
	v_cndmask_b32_e64 v30, 0, 32, vcc_lo
	v_ldexp_f32 v28, v28, v30
	s_delay_alu instid0(VALU_DEP_1) | instskip(NEXT) | instid1(VALU_DEP_3)
	v_log_f32_e32 v28, v28
	v_fmac_f32_e32 v9, v9, v24
	s_delay_alu instid0(VALU_DEP_1) | instskip(NEXT) | instid1(VALU_DEP_1)
	v_sub_f32_e32 v29, 0x3fc90fdb, v9
	v_cndmask_b32_e64 v9, v9, v29, s6
	v_cndmask_b32_e64 v29, 0, 0x40490fdb, s7
	v_cmp_gt_f32_e64 s7, 0, v22
	s_delay_alu instid0(VALU_DEP_3) | instskip(NEXT) | instid1(VALU_DEP_2)
	v_sub_f32_e32 v30, 0x40490fdb, v9
	v_cndmask_b32_e64 v22, 0x3f490fdb, v38, s7
	s_delay_alu instid0(VALU_DEP_2) | instskip(SKIP_3) | instid1(VALU_DEP_3)
	v_cndmask_b32_e64 v9, v9, v30, s7
	v_mul_f32_e32 v24, 0x3f317217, v28
	v_cndmask_b32_e64 v30, 0, 0x41b17218, vcc_lo
	v_cmp_gt_f32_e64 vcc_lo, 0x7f800000, |v28|
	v_fma_f32 v24, 0x3f317217, v28, -v24
	s_delay_alu instid0(VALU_DEP_1) | instskip(NEXT) | instid1(VALU_DEP_1)
	v_fmac_f32_e32 v24, 0x3377d1cf, v28
	v_fmac_f32_e32 v24, 0x3f317217, v28
	s_delay_alu instid0(VALU_DEP_1) | instskip(SKIP_3) | instid1(VALU_DEP_3)
	v_cndmask_b32_e32 v24, v28, v24, vcc_lo
	v_cmp_eq_f32_e32 vcc_lo, 0, v23
	v_cndmask_b32_e32 v9, v9, v29, vcc_lo
	s_and_b32 vcc_lo, s10, s9
	v_sub_f32_e32 v29, v24, v30
	s_delay_alu instid0(VALU_DEP_2)
	v_cndmask_b32_e32 v24, v9, v22, vcc_lo
.LBB198_63:                             ;   in Loop: Header=BB198_4 Depth=1
	s_or_b32 exec_lo, exec_lo, s8
                                        ; implicit-def: $vgpr30
.LBB198_64:                             ;   in Loop: Header=BB198_4 Depth=1
	s_and_not1_saveexec_b32 s8, s34
	s_cbranch_execz .LBB198_70
; %bb.65:                               ;   in Loop: Header=BB198_4 Depth=1
                                        ; implicit-def: $vgpr29
                                        ; implicit-def: $vgpr24
	s_mov_b32 s7, exec_lo
	v_cmpx_ngt_f32_e32 0x1fec1e4a, v30
	s_xor_b32 s9, exec_lo, s7
	s_cbranch_execz .LBB198_67
; %bb.66:                               ;   in Loop: Header=BB198_4 Depth=1
	v_pk_mul_f32 v[28:29], v[30:31], v[30:31]
	v_cmp_class_f32_e64 s10, v22, 0x204
	s_delay_alu instid0(VALU_DEP_2) | instskip(SKIP_1) | instid1(VALU_DEP_2)
	v_add_f32_e32 v31, 1.0, v28
	v_cmp_neq_f32_e64 s7, 0x7f800000, v28
	v_add_f32_e32 v29, -1.0, v31
	s_delay_alu instid0(VALU_DEP_1) | instskip(SKIP_2) | instid1(VALU_DEP_1)
	v_mov_b32_e32 v30, v29
	v_cvt_f64_f32_e32 v[32:33], v31
	v_frexp_mant_f32_e32 v24, v31
	v_cmp_gt_f32_e32 vcc_lo, 0x3f2aaaab, v24
	s_delay_alu instid0(VALU_DEP_3) | instskip(NEXT) | instid1(VALU_DEP_1)
	v_frexp_exp_i32_f64_e32 v9, v[32:33]
	v_subrev_co_ci_u32_e64 v9, null, 0, v9, vcc_lo
	v_cmp_gt_i32_e32 vcc_lo, 0, v22
	s_delay_alu instid0(VALU_DEP_2) | instskip(SKIP_1) | instid1(VALU_DEP_2)
	v_sub_nc_u32_e32 v24, 0, v9
	v_pk_add_f32 v[32:33], v[28:29], v[30:31] neg_lo:[0,1] neg_hi:[0,1]
	v_ldexp_f32 v29, v31, v24
	s_delay_alu instid0(VALU_DEP_2) | instskip(NEXT) | instid1(VALU_DEP_2)
	v_add_f32_e32 v30, 1.0, v33
	v_add_f32_e32 v33, 1.0, v29
	s_delay_alu instid0(VALU_DEP_1) | instskip(SKIP_1) | instid1(VALU_DEP_2)
	v_dual_add_f32 v31, -1.0, v33 :: v_dual_add_f32 v30, v32, v30
	v_add_f32_e32 v35, -1.0, v29
	v_ldexp_f32 v24, v30, v24
	s_delay_alu instid0(VALU_DEP_3) | instskip(NEXT) | instid1(VALU_DEP_1)
	v_sub_f32_e32 v30, v29, v31
	v_dual_add_f32 v31, 1.0, v35 :: v_dual_add_f32 v30, v24, v30
	s_delay_alu instid0(VALU_DEP_1) | instskip(NEXT) | instid1(VALU_DEP_1)
	v_sub_f32_e32 v29, v29, v31
	v_dual_add_f32 v36, v33, v30 :: v_dual_add_f32 v24, v24, v29
	s_delay_alu instid0(VALU_DEP_1) | instskip(NEXT) | instid1(VALU_DEP_1)
	v_rcp_f32_e32 v29, v36
	v_add_f32_e32 v31, v35, v24
	s_delay_alu instid0(VALU_DEP_1) | instskip(NEXT) | instid1(TRANS32_DEP_1)
	v_dual_sub_f32 v33, v33, v36 :: v_dual_sub_f32 v40, v35, v31
	v_mul_f32_e32 v37, v31, v29
	s_delay_alu instid0(VALU_DEP_2) | instskip(NEXT) | instid1(VALU_DEP_2)
	v_dual_add_f32 v39, v30, v33 :: v_dual_add_f32 v24, v24, v40
	v_mul_f32_e32 v32, v36, v37
	s_delay_alu instid0(VALU_DEP_1) | instskip(NEXT) | instid1(VALU_DEP_1)
	v_fma_f32 v34, v37, v36, -v32
	v_fmac_f32_e32 v34, v37, v39
	s_delay_alu instid0(VALU_DEP_1) | instskip(NEXT) | instid1(VALU_DEP_1)
	v_add_f32_e32 v30, v32, v34
	v_dual_sub_f32 v33, v31, v30 :: v_dual_mov_b32 v35, v30
	s_delay_alu instid0(VALU_DEP_1) | instskip(NEXT) | instid1(VALU_DEP_1)
	v_pk_add_f32 v[30:31], v[30:31], v[32:33] neg_lo:[0,1] neg_hi:[0,1]
	v_pk_add_f32 v[30:31], v[30:31], v[34:35] neg_lo:[0,1] neg_hi:[0,1]
	s_delay_alu instid0(VALU_DEP_1) | instskip(NEXT) | instid1(VALU_DEP_1)
	v_add_f32_e32 v24, v24, v31
	v_add_f32_e32 v24, v30, v24
	s_delay_alu instid0(VALU_DEP_1) | instskip(NEXT) | instid1(VALU_DEP_1)
	v_add_f32_e32 v31, v33, v24
	v_mul_f32_e32 v40, v29, v31
	s_delay_alu instid0(VALU_DEP_1) | instskip(NEXT) | instid1(VALU_DEP_1)
	v_mul_f32_e32 v34, v36, v40
	v_dual_fma_f32 v32, v40, v36, -v34 :: v_dual_sub_f32 v36, v33, v31
	s_delay_alu instid0(VALU_DEP_1) | instskip(NEXT) | instid1(VALU_DEP_2)
	v_fmac_f32_e32 v32, v40, v39
	v_add_f32_e32 v24, v24, v36
	v_max_num_f32_e64 v39, |v22|, |v22|
	v_add_f32_e32 v36, v37, v40
	s_delay_alu instid0(VALU_DEP_4) | instskip(NEXT) | instid1(VALU_DEP_1)
	v_add_f32_e32 v30, v34, v32
	v_dual_mov_b32 v33, v30 :: v_dual_sub_f32 v35, v31, v30
	s_delay_alu instid0(VALU_DEP_1) | instskip(NEXT) | instid1(VALU_DEP_1)
	v_pk_add_f32 v[30:31], v[30:31], v[34:35] neg_lo:[0,1] neg_hi:[0,1]
	v_pk_add_f32 v[30:31], v[30:31], v[32:33] neg_lo:[0,1] neg_hi:[0,1]
	s_delay_alu instid0(VALU_DEP_1) | instskip(NEXT) | instid1(VALU_DEP_1)
	v_add_f32_e32 v24, v24, v31
	v_dual_add_f32 v24, v30, v24 :: v_dual_sub_f32 v30, v36, v37
	s_delay_alu instid0(VALU_DEP_1) | instskip(NEXT) | instid1(VALU_DEP_1)
	v_dual_add_f32 v24, v35, v24 :: v_dual_sub_f32 v30, v40, v30
	v_mul_f32_e32 v24, v29, v24
	s_delay_alu instid0(VALU_DEP_1) | instskip(SKIP_1) | instid1(VALU_DEP_2)
	v_add_f32_e32 v24, v30, v24
	v_cvt_f32_i32_e32 v30, v9
	v_add_f32_e32 v29, v36, v24
	s_delay_alu instid0(VALU_DEP_1) | instskip(NEXT) | instid1(VALU_DEP_1)
	v_mul_f32_e32 v32, v29, v29
	v_fmaak_f32 v33, s29, v32, 0x3ecc95a3
	v_mul_f32_e32 v31, v29, v32
	s_delay_alu instid0(VALU_DEP_2) | instskip(NEXT) | instid1(VALU_DEP_1)
	v_fmaak_f32 v9, v32, v33, 0x3f2aaada
	v_pk_mul_f32 v[32:33], v[30:31], v[8:9]
	s_delay_alu instid0(VALU_DEP_1) | instskip(NEXT) | instid1(VALU_DEP_1)
	v_fma_f32 v34, 0x3f317218, v30, -v32
	v_fmac_f32_e32 v34, 0xb102e308, v30
	v_ldexp_f32 v35, v29, 1
	s_delay_alu instid0(VALU_DEP_1) | instskip(SKIP_2) | instid1(VALU_DEP_2)
	v_pk_add_f32 v[30:31], v[32:33], v[34:35]
	v_dual_sub_f32 v9, v29, v36 :: v_dual_mov_b32 v36, v32
	v_max_num_f32_e64 v29, |v23|, |v23|
	v_dual_sub_f32 v9, v24, v9 :: v_dual_sub_f32 v24, v31, v35
	s_delay_alu instid0(VALU_DEP_4) | instskip(NEXT) | instid1(VALU_DEP_2)
	v_mov_b32_e32 v35, v30
	v_ldexp_f32 v9, v9, 1
	s_delay_alu instid0(VALU_DEP_3) | instskip(SKIP_1) | instid1(VALU_DEP_2)
	v_sub_f32_e32 v24, v33, v24
	v_pk_add_f32 v[32:33], v[30:31], v[32:33] neg_lo:[0,1] neg_hi:[0,1]
	v_dual_add_f32 v37, v9, v24 :: v_dual_max_num_f32 v9, v39, v29
	v_min_num_f32_e32 v29, v39, v29
	s_delay_alu instid0(VALU_DEP_2) | instskip(NEXT) | instid1(VALU_DEP_3)
	v_pk_add_f32 v[40:41], v[30:31], v[36:37]
	v_frexp_mant_f32_e32 v24, v9
	v_frexp_exp_i32_f32_e32 v9, v9
	s_delay_alu instid0(VALU_DEP_4)
	v_frexp_exp_i32_f32_e32 v39, v29
	v_frexp_mant_f32_e32 v29, v29
	v_mov_b32_e32 v33, v41
	v_rcp_f32_e32 v36, v24
	v_mov_b32_e32 v46, v31
	v_sub_nc_u32_e32 v9, v39, v9
	s_delay_alu instid0(VALU_DEP_3)
	v_pk_add_f32 v[42:43], v[34:35], v[32:33]
	v_mov_b32_e32 v42, v41
	s_delay_alu instid0(TRANS32_DEP_1) | instid1(VALU_DEP_2)
	v_dual_mul_f32 v29, v29, v36 :: v_dual_mov_b32 v24, v43
	v_pk_add_f32 v[32:33], v[34:35], v[32:33] neg_lo:[0,1] neg_hi:[0,1]
	s_delay_alu instid0(VALU_DEP_2) | instskip(NEXT) | instid1(VALU_DEP_3)
	v_ldexp_f32 v29, v29, v9
	v_pk_add_f32 v[44:45], v[24:25], v[30:31] neg_lo:[0,1] neg_hi:[0,1]
	v_dual_mov_b32 v31, v30 :: v_dual_mov_b32 v30, v37
	s_delay_alu instid0(VALU_DEP_2) | instskip(SKIP_1) | instid1(VALU_DEP_2)
	v_dual_mul_f32 v39, v29, v29 :: v_dual_mov_b32 v47, v44
	v_mov_b32_e32 v9, v44
	v_pk_add_f32 v[34:35], v[42:43], v[46:47] neg_lo:[0,1] neg_hi:[0,1]
	s_delay_alu instid0(VALU_DEP_2) | instskip(SKIP_1) | instid1(VALU_DEP_3)
	v_pk_add_f32 v[36:37], v[40:41], v[8:9] neg_lo:[0,1] neg_hi:[0,1]
	v_mov_b32_e32 v36, v32
	v_pk_add_f32 v[30:31], v[30:31], v[34:35] neg_lo:[0,1] neg_hi:[0,1]
	s_delay_alu instid0(VALU_DEP_1) | instskip(NEXT) | instid1(VALU_DEP_1)
	v_pk_add_f32 v[34:35], v[36:37], v[30:31]
	v_dual_fmaak_f32 v9, s30, v39, 0xbc7a590c :: v_dual_mov_b32 v36, v35
	s_delay_alu instid0(VALU_DEP_1) | instskip(NEXT) | instid1(VALU_DEP_1)
	v_pk_add_f32 v[36:37], v[34:35], v[36:37]
	v_pk_add_f32 v[40:41], v[24:25], v[36:37]
	s_delay_alu instid0(VALU_DEP_1) | instskip(NEXT) | instid1(VALU_DEP_1)
	v_dual_mov_b32 v33, v43 :: v_dual_mov_b32 v35, v40
	v_pk_add_f32 v[42:43], v[34:35], v[32:33] neg_lo:[0,1] neg_hi:[0,1]
	s_delay_alu instid0(VALU_DEP_1) | instskip(NEXT) | instid1(VALU_DEP_1)
	v_dual_fmaak_f32 v9, v39, v9, 0x3d29fb3f :: v_dual_sub_f32 v24, v34, v42
	v_dual_fmaak_f32 v9, v39, v9, 0xbd97d4d7 :: v_dual_sub_f32 v24, v32, v24
	s_delay_alu instid0(VALU_DEP_1) | instskip(NEXT) | instid1(VALU_DEP_1)
	v_fmaak_f32 v9, v39, v9, 0x3dd931b2
	v_fmaak_f32 v9, v39, v9, 0xbe1160e6
	s_delay_alu instid0(VALU_DEP_1) | instskip(NEXT) | instid1(VALU_DEP_1)
	v_fmaak_f32 v9, v39, v9, 0x3e4cb8bf
	v_fmaak_f32 v9, v39, v9, 0xbeaaaa62
	s_delay_alu instid0(VALU_DEP_1) | instskip(NEXT) | instid1(VALU_DEP_1)
	v_dual_mov_b32 v31, v36 :: v_dual_mul_f32 v9, v39, v9
	v_pk_add_f32 v[30:31], v[30:31], v[42:43] neg_lo:[0,1] neg_hi:[0,1]
	s_delay_alu instid0(VALU_DEP_1) | instskip(NEXT) | instid1(VALU_DEP_1)
	v_dual_fmac_f32 v29, v29, v9 :: v_dual_add_f32 v9, v30, v24
	v_dual_sub_f32 v24, 0x3fc90fdb, v29 :: v_dual_add_f32 v9, v9, v31
	s_delay_alu instid0(VALU_DEP_1) | instskip(SKIP_2) | instid1(VALU_DEP_3)
	v_dual_cndmask_b32 v24, v29, v24, s6 :: v_dual_add_f32 v9, v40, v9
	v_cndmask_b32_e64 v29, 0, 0x40490fdb, vcc_lo
	v_cmp_gt_f32_e32 vcc_lo, 0, v22
	v_sub_f32_e32 v30, 0x40490fdb, v24
	s_delay_alu instid0(VALU_DEP_4) | instskip(SKIP_1) | instid1(VALU_DEP_3)
	v_cndmask_b32_e64 v9, 0x7f800000, v9, s7
	v_cmp_class_f32_e64 s7, v23, 0x204
	v_cndmask_b32_e32 v22, v24, v30, vcc_lo
	v_cndmask_b32_e32 v24, 0x3f490fdb, v38, vcc_lo
	v_cmp_gt_f32_e64 vcc_lo, 0x33800000, |v28|
                                        ; implicit-def: $vgpr30
	v_cndmask_b32_e32 v9, v9, v28, vcc_lo
	v_cmp_eq_f32_e32 vcc_lo, 0, v23
	v_cndmask_b32_e32 v22, v22, v29, vcc_lo
	s_and_b32 vcc_lo, s7, s10
	s_delay_alu instid0(VALU_DEP_1)
	v_dual_mul_f32 v29, 0.5, v9 :: v_dual_cndmask_b32 v24, v22, v24
.LBB198_67:                             ;   in Loop: Header=BB198_4 Depth=1
	s_and_not1_saveexec_b32 s9, s9
	s_cbranch_execz .LBB198_69
; %bb.68:                               ;   in Loop: Header=BB198_4 Depth=1
	v_max_num_f32_e64 v9, |v23|, |v23|
	v_max_num_f32_e64 v24, |v22|, |v22|
	v_cmp_eq_f32_e64 s7, 0, v23
	v_cmp_gt_i32_e32 vcc_lo, 0, v22
	v_cmp_class_f32_e64 s10, v22, 0x204
	v_cmp_class_f32_e64 s11, v23, 0x204
	v_dual_max_num_f32 v28, v24, v9 :: v_dual_min_num_f32 v9, v24, v9
	s_delay_alu instid0(VALU_DEP_1) | instskip(SKIP_1) | instid1(VALU_DEP_2)
	v_frexp_mant_f32_e32 v29, v28
	v_frexp_exp_i32_f32_e32 v24, v28
	v_rcp_f32_e32 v28, v29
	v_nop
	v_frexp_exp_i32_f32_e32 v29, v9
	v_frexp_mant_f32_e32 v9, v9
	s_delay_alu instid0(VALU_DEP_2)
	v_sub_nc_u32_e32 v24, v29, v24
	s_delay_alu instid0(TRANS32_DEP_1) | instid1(VALU_DEP_2)
	v_mul_f32_e32 v9, v9, v28
	s_delay_alu instid0(VALU_DEP_1) | instskip(NEXT) | instid1(VALU_DEP_1)
	v_ldexp_f32 v9, v9, v24
	v_mul_f32_e32 v24, v9, v9
	s_delay_alu instid0(VALU_DEP_1) | instskip(NEXT) | instid1(VALU_DEP_1)
	v_fmaak_f32 v28, s30, v24, 0xbc7a590c
	v_fmaak_f32 v28, v24, v28, 0x3d29fb3f
	s_delay_alu instid0(VALU_DEP_1) | instskip(NEXT) | instid1(VALU_DEP_1)
	v_fmaak_f32 v28, v24, v28, 0xbd97d4d7
	v_fmaak_f32 v28, v24, v28, 0x3dd931b2
	;; [unrolled: 3-line block ×3, first 2 shown]
	s_delay_alu instid0(VALU_DEP_1) | instskip(NEXT) | instid1(VALU_DEP_1)
	v_fmaak_f32 v28, v24, v28, 0xbeaaaa62
	v_mul_f32_e32 v24, v24, v28
	v_cndmask_b32_e64 v28, 0, 0x40490fdb, vcc_lo
	v_cmp_gt_f32_e32 vcc_lo, 0, v22
	s_delay_alu instid0(VALU_DEP_3) | instskip(NEXT) | instid1(VALU_DEP_1)
	v_dual_fmac_f32 v9, v9, v24 :: v_dual_cndmask_b32 v22, 0x3f490fdb, v38
	v_sub_f32_e32 v24, 0x3fc90fdb, v9
	s_delay_alu instid0(VALU_DEP_1) | instskip(NEXT) | instid1(VALU_DEP_1)
	v_cndmask_b32_e64 v9, v9, v24, s6
	v_sub_f32_e32 v24, 0x40490fdb, v9
	s_delay_alu instid0(VALU_DEP_1) | instskip(SKIP_1) | instid1(VALU_DEP_1)
	v_dual_cndmask_b32 v9, v9, v24 :: v_dual_mul_f32 v24, 0.5, v30
	s_and_b32 vcc_lo, s11, s10
	v_mul_f32_e32 v29, v30, v24
	s_delay_alu instid0(VALU_DEP_2) | instskip(NEXT) | instid1(VALU_DEP_1)
	v_cndmask_b32_e64 v9, v9, v28, s7
	v_cndmask_b32_e32 v24, v9, v22, vcc_lo
.LBB198_69:                             ;   in Loop: Header=BB198_4 Depth=1
	s_or_b32 exec_lo, exec_lo, s9
.LBB198_70:                             ;   in Loop: Header=BB198_4 Depth=1
	s_delay_alu instid0(SALU_CYCLE_1)
	s_or_b32 exec_lo, exec_lo, s8
.LBB198_71:                             ;   in Loop: Header=BB198_4 Depth=1
	s_and_not1_saveexec_b32 s8, s33
	s_cbranch_execz .LBB198_73
; %bb.72:                               ;   in Loop: Header=BB198_4 Depth=1
	v_div_scale_f32 v9, null, 0x402df854, 0x402df854, v22
	v_div_scale_f32 v24, null, 0x402df854, 0x402df854, v23
	v_div_scale_f32 v32, vcc_lo, v22, 0x402df854, v22
	s_delay_alu instid0(VALU_DEP_3) | instskip(NEXT) | instid1(VALU_DEP_2)
	v_rcp_f32_e32 v28, v9
	v_rcp_f32_e32 v29, v24
	v_cmp_class_f32_e64 s9, v23, 0x204
	s_delay_alu instid0(TRANS32_DEP_2) | instskip(NEXT) | instid1(TRANS32_DEP_1)
	v_fma_f32 v30, -v9, v28, 1.0
	v_fma_f32 v31, -v24, v29, 1.0
	s_delay_alu instid0(VALU_DEP_1) | instskip(SKIP_1) | instid1(VALU_DEP_1)
	v_dual_fmac_f32 v28, v30, v28 :: v_dual_fmac_f32 v29, v31, v29
	v_div_scale_f32 v30, s7, v23, 0x402df854, v23
	v_dual_mul_f32 v31, v32, v28 :: v_dual_mul_f32 v33, v30, v29
	s_delay_alu instid0(VALU_DEP_1) | instskip(NEXT) | instid1(VALU_DEP_1)
	v_dual_fma_f32 v34, -v9, v31, v32 :: v_dual_fma_f32 v35, -v24, v33, v30
	v_dual_fmac_f32 v31, v34, v28 :: v_dual_fmac_f32 v33, v35, v29
	s_delay_alu instid0(VALU_DEP_1) | instskip(NEXT) | instid1(VALU_DEP_1)
	v_dual_fma_f32 v9, -v9, v31, v32 :: v_dual_fma_f32 v24, -v24, v33, v30
	v_div_fmas_f32 v9, v9, v28, v31
	s_mov_b32 vcc_lo, s7
	v_max_num_f32_e64 v31, |v22|, |v22|
	s_delay_alu instid0(VALU_DEP_3) | instskip(SKIP_2) | instid1(VALU_DEP_3)
	v_div_fmas_f32 v24, v24, v29, v33
	v_cmp_class_f32_e64 s7, v22, 0x204
	v_div_fixup_f32 v9, v9, 0x402df854, v22
	v_div_fixup_f32 v24, v24, 0x402df854, v23
	s_delay_alu instid0(VALU_DEP_1) | instskip(NEXT) | instid1(VALU_DEP_1)
	v_max_num_f32_e64 v30, |v9|, |v24|
	v_cvt_f64_f32_e32 v[28:29], v30
	v_cmp_neq_f32_e32 vcc_lo, 0x7f800000, v30
	s_delay_alu instid0(VALU_DEP_2) | instskip(SKIP_1) | instid1(VALU_DEP_1)
	v_frexp_exp_i32_f64_e32 v28, v[28:29]
	v_max_num_f32_e64 v29, |v23|, |v23|
	v_dual_max_num_f32 v32, v31, v29 :: v_dual_min_num_f32 v29, v31, v29
	s_delay_alu instid0(VALU_DEP_1) | instskip(SKIP_1) | instid1(VALU_DEP_2)
	v_frexp_mant_f32_e32 v33, v32
	v_frexp_exp_i32_f32_e32 v31, v32
	v_rcp_f32_e32 v32, v33
	v_nop
	v_frexp_exp_i32_f32_e32 v33, v29
	v_frexp_mant_f32_e32 v29, v29
	s_delay_alu instid0(VALU_DEP_2)
	v_sub_nc_u32_e32 v31, v33, v31
	s_delay_alu instid0(TRANS32_DEP_1) | instid1(VALU_DEP_2)
	v_mul_f32_e32 v29, v29, v32
	v_sub_nc_u32_e32 v32, 0, v28
	s_delay_alu instid0(VALU_DEP_2) | instskip(NEXT) | instid1(VALU_DEP_2)
	v_ldexp_f32 v29, v29, v31
	v_ldexp_f32 v24, |v24|, v32
	s_delay_alu instid0(VALU_DEP_2) | instskip(SKIP_1) | instid1(VALU_DEP_3)
	v_mul_f32_e32 v31, v29, v29
	v_ldexp_f32 v9, |v9|, v32
	v_mul_f32_e32 v24, v24, v24
	s_delay_alu instid0(VALU_DEP_3) | instskip(NEXT) | instid1(VALU_DEP_1)
	v_fmaak_f32 v32, s30, v31, 0xbc7a590c
	v_dual_fmac_f32 v24, v9, v9 :: v_dual_fmaak_f32 v9, v31, v32, 0x3d29fb3f
	s_delay_alu instid0(VALU_DEP_1) | instskip(NEXT) | instid1(VALU_DEP_1)
	v_sqrt_f32_e32 v24, v24
	v_fmaak_f32 v9, v31, v9, 0xbd97d4d7
	s_delay_alu instid0(VALU_DEP_1) | instskip(NEXT) | instid1(TRANS32_DEP_1)
	v_fmaak_f32 v9, v31, v9, 0x3dd931b2
	v_ldexp_f32 v24, v24, v28
	s_delay_alu instid0(VALU_DEP_2) | instskip(NEXT) | instid1(VALU_DEP_1)
	v_fmaak_f32 v9, v31, v9, 0xbe1160e6
	v_fmaak_f32 v9, v31, v9, 0x3e4cb8bf
	s_delay_alu instid0(VALU_DEP_1) | instskip(NEXT) | instid1(VALU_DEP_1)
	v_fmaak_f32 v9, v31, v9, 0xbeaaaa62
	v_dual_cndmask_b32 v24, 0x7f800000, v24 :: v_dual_mul_f32 v9, v31, v9
	s_delay_alu instid0(VALU_DEP_1) | instskip(NEXT) | instid1(VALU_DEP_2)
	v_cmp_gt_f32_e32 vcc_lo, 0x800000, v24
	v_fmac_f32_e32 v29, v29, v9
	v_cndmask_b32_e64 v28, 0, 32, vcc_lo
	v_cndmask_b32_e64 v31, 0, 0x41b17218, vcc_lo
	s_delay_alu instid0(VALU_DEP_2) | instskip(NEXT) | instid1(VALU_DEP_1)
	v_ldexp_f32 v24, v24, v28
	v_log_f32_e32 v24, v24
	v_nop
	s_delay_alu instid0(TRANS32_DEP_1) | instskip(SKIP_1) | instid1(VALU_DEP_2)
	v_mul_f32_e32 v28, 0x3f317217, v24
	v_cmp_gt_f32_e64 vcc_lo, 0x7f800000, |v24|
	v_fma_f32 v9, 0x3f317217, v24, -v28
	s_delay_alu instid0(VALU_DEP_1) | instskip(NEXT) | instid1(VALU_DEP_1)
	v_fmac_f32_e32 v9, 0x3377d1cf, v24
	v_fmac_f32_e32 v9, 0x3f317217, v24
	s_delay_alu instid0(VALU_DEP_1) | instskip(SKIP_2) | instid1(VALU_DEP_3)
	v_cndmask_b32_e32 v9, v24, v9, vcc_lo
	v_sub_f32_e32 v28, 0x3fc90fdb, v29
	v_cmp_eq_f32_e32 vcc_lo, 0, v23
	v_sub_f32_e32 v9, v9, v31
	s_delay_alu instid0(VALU_DEP_3) | instskip(SKIP_1) | instid1(VALU_DEP_2)
	v_cndmask_b32_e64 v28, v29, v28, s6
	v_cmp_gt_i32_e64 s6, 0, v22
	v_sub_f32_e32 v30, 0x40490fdb, v28
	s_delay_alu instid0(VALU_DEP_2) | instskip(SKIP_1) | instid1(VALU_DEP_1)
	v_cndmask_b32_e64 v29, 0, 0x40490fdb, s6
	v_cmp_gt_f32_e64 s6, 0, v22
	v_cndmask_b32_e64 v22, v28, v30, s6
	v_cndmask_b32_e64 v24, 0x3f490fdb, v38, s6
	s_delay_alu instid0(VALU_DEP_2) | instskip(SKIP_1) | instid1(VALU_DEP_1)
	v_cndmask_b32_e32 v22, v22, v29, vcc_lo
	s_and_b32 vcc_lo, s9, s7
	v_dual_add_f32 v29, 1.0, v9 :: v_dual_cndmask_b32 v24, v22, v24
.LBB198_73:                             ;   in Loop: Header=BB198_4 Depth=1
	s_or_b32 exec_lo, exec_lo, s8
.LBB198_74:                             ;   in Loop: Header=BB198_4 Depth=1
	s_and_not1_saveexec_b32 s6, s31
	s_cbranch_execz .LBB198_80
; %bb.75:                               ;   in Loop: Header=BB198_4 Depth=1
	v_cmp_ngt_f32_e64 s7, 0x20000000, |v22|
	v_cmp_ngt_f32_e64 s8, 0x20000000, |v23|
                                        ; implicit-def: $vgpr9
	s_or_b32 s7, s8, s7
	s_delay_alu instid0(SALU_CYCLE_1) | instskip(NEXT) | instid1(SALU_CYCLE_1)
	s_and_saveexec_b32 s8, s7
	s_xor_b32 s7, exec_lo, s8
; %bb.76:                               ;   in Loop: Header=BB198_4 Depth=1
	v_pk_mul_f32 v[28:29], v[22:23], v[22:23]
	s_delay_alu instid0(VALU_DEP_1)
	v_add_f32_e32 v9, v29, v28
; %bb.77:                               ;   in Loop: Header=BB198_4 Depth=1
	s_and_not1_saveexec_b32 s7, s7
; %bb.78:                               ;   in Loop: Header=BB198_4 Depth=1
	v_pk_mul_f32 v[28:29], v[22:23], 4.0 op_sel_hi:[1,0]
	s_delay_alu instid0(VALU_DEP_1) | instskip(NEXT) | instid1(VALU_DEP_1)
	v_pk_mul_f32 v[28:29], v[28:29], v[28:29]
	v_add_f32_e32 v9, v29, v28
	s_delay_alu instid0(VALU_DEP_1)
	v_mul_f32_e32 v9, 0x3d800000, v9
; %bb.79:                               ;   in Loop: Header=BB198_4 Depth=1
	s_or_b32 exec_lo, exec_lo, s7
	s_delay_alu instid0(VALU_DEP_1) | instskip(SKIP_2) | instid1(VALU_DEP_2)
	v_cmp_gt_f32_e32 vcc_lo, 0x800000, v9
	v_cndmask_b32_e64 v22, 0, 32, vcc_lo
	v_cndmask_b32_e64 v24, 0, 0x41b17218, vcc_lo
	v_ldexp_f32 v9, v9, v22
	s_delay_alu instid0(VALU_DEP_1) | instskip(SKIP_1) | instid1(TRANS32_DEP_1)
	v_log_f32_e32 v9, v9
	v_nop
	v_mul_f32_e32 v22, 0x3f317217, v9
	v_cmp_gt_f32_e64 vcc_lo, 0x7f800000, |v9|
	s_delay_alu instid0(VALU_DEP_2) | instskip(NEXT) | instid1(VALU_DEP_1)
	v_fma_f32 v22, 0x3f317217, v9, -v22
	v_fmac_f32_e32 v22, 0x3377d1cf, v9
	s_delay_alu instid0(VALU_DEP_1) | instskip(NEXT) | instid1(VALU_DEP_1)
	v_fmac_f32_e32 v22, 0x3f317217, v9
	v_cndmask_b32_e32 v9, v9, v22, vcc_lo
	s_delay_alu instid0(VALU_DEP_1)
	v_dual_sub_f32 v29, v9, v24 :: v_dual_mov_b32 v24, 0x7fc00000
.LBB198_80:                             ;   in Loop: Header=BB198_4 Depth=1
	s_or_b32 exec_lo, exec_lo, s6
                                        ; implicit-def: $vgpr31
                                        ; implicit-def: $vgpr22
	s_delay_alu instid0(SALU_CYCLE_1)
	s_mov_b32 s6, exec_lo
	v_cmpx_o_f32_e32 v11, v10
	s_xor_b32 s31, exec_lo, s6
	s_cbranch_execz .LBB198_108
; %bb.81:                               ;   in Loop: Header=BB198_4 Depth=1
	v_cmp_lt_f32_e64 s6, |v10|, |v11|
                                        ; implicit-def: $vgpr31
                                        ; implicit-def: $vgpr22
	s_mov_b32 s8, exec_lo
	v_cndmask_b32_e64 v9, v11, v10, s6
	s_delay_alu instid0(VALU_DEP_1)
	v_cmpx_nlt_f32_e64 0x77f684df, |v9|
	s_xor_b32 s33, exec_lo, s8
	s_cbranch_execz .LBB198_105
; %bb.82:                               ;   in Loop: Header=BB198_4 Depth=1
	v_cndmask_b32_e64 v22, v10, v11, s6
	v_and_b32_e32 v32, 0x7fffffff, v9
                                        ; implicit-def: $vgpr31
	s_mov_b32 s7, exec_lo
	s_delay_alu instid0(VALU_DEP_2) | instskip(NEXT) | instid1(VALU_DEP_1)
	v_and_b32_e32 v33, 0x7fffffff, v22
                                        ; implicit-def: $vgpr22
	v_cmpx_neq_f32_e32 1.0, v33
	s_xor_b32 s34, exec_lo, s7
	s_cbranch_execz .LBB198_98
; %bb.83:                               ;   in Loop: Header=BB198_4 Depth=1
	v_dual_max_num_f32 v9, v32, v32 :: v_dual_max_num_f32 v22, v33, v33
                                        ; implicit-def: $vgpr31
	s_delay_alu instid0(VALU_DEP_1) | instskip(NEXT) | instid1(VALU_DEP_1)
	v_dual_min_num_f32 v28, v22, v9 :: v_dual_max_num_f32 v9, v22, v9
                                        ; implicit-def: $vgpr22
	v_cmp_ngt_f32_e32 vcc_lo, 0x358637bd, v28
	s_delay_alu instid0(VALU_DEP_2) | instskip(SKIP_1) | instid1(SALU_CYCLE_1)
	v_cmp_nlt_f32_e64 s7, 0x49742400, v9
	s_and_b32 s7, s7, vcc_lo
	s_and_saveexec_b32 s8, s7
	s_delay_alu instid0(SALU_CYCLE_1)
	s_xor_b32 s35, exec_lo, s8
	s_cbranch_execz .LBB198_95
; %bb.84:                               ;   in Loop: Header=BB198_4 Depth=1
                                        ; implicit-def: $vgpr31
                                        ; implicit-def: $vgpr22
	s_mov_b32 s7, exec_lo
	v_cmpx_le_f32_e32 1.0, v33
	s_xor_b32 s8, exec_lo, s7
	s_cbranch_execz .LBB198_86
; %bb.85:                               ;   in Loop: Header=BB198_4 Depth=1
	v_pk_add_f32 v[30:31], v[32:33], v[6:7] op_sel:[1,0]
	v_mov_b32_e32 v34, v32
	v_cmp_class_f32_e64 s9, v10, 0x204
	s_delay_alu instid0(VALU_DEP_3) | instskip(SKIP_1) | instid1(VALU_DEP_1)
	v_dual_mov_b32 v33, v30 :: v_dual_mov_b32 v35, v31
	v_mul_f32_e32 v22, v30, v31
	v_pk_fma_f32 v[30:31], v[32:33], v[34:35], v[22:23] op_sel_hi:[1,1,0]
	s_delay_alu instid0(VALU_DEP_1) | instskip(SKIP_1) | instid1(VALU_DEP_2)
	v_add_f32_e32 v33, 1.0, v30
	v_cmp_neq_f32_e64 s7, -1.0, v30
	v_add_f32_e32 v31, -1.0, v33
	s_delay_alu instid0(VALU_DEP_1) | instskip(SKIP_2) | instid1(VALU_DEP_1)
	v_mov_b32_e32 v32, v31
	v_cvt_f64_f32_e32 v[34:35], v33
	v_frexp_mant_f32_e32 v22, v33
	v_cmp_gt_f32_e32 vcc_lo, 0x3f2aaaab, v22
	s_delay_alu instid0(VALU_DEP_3) | instskip(SKIP_1) | instid1(VALU_DEP_1)
	v_frexp_exp_i32_f64_e32 v9, v[34:35]
	v_pk_add_f32 v[34:35], v[30:31], v[32:33] neg_lo:[0,1] neg_hi:[0,1]
	v_add_f32_e32 v31, 1.0, v35
	s_delay_alu instid0(VALU_DEP_3) | instskip(SKIP_1) | instid1(VALU_DEP_2)
	v_subrev_co_ci_u32_e64 v9, null, 0, v9, vcc_lo
	v_cmp_neq_f32_e32 vcc_lo, 0x7f800000, v30
	v_sub_nc_u32_e32 v22, 0, v9
	s_delay_alu instid0(VALU_DEP_1) | instskip(NEXT) | instid1(VALU_DEP_1)
	v_ldexp_f32 v28, v33, v22
	v_dual_add_f32 v32, 1.0, v28 :: v_dual_add_f32 v31, v34, v31
	s_delay_alu instid0(VALU_DEP_1) | instskip(SKIP_1) | instid1(VALU_DEP_3)
	v_add_f32_e32 v33, -1.0, v32
	v_add_f32_e32 v37, -1.0, v28
	v_ldexp_f32 v22, v31, v22
	s_delay_alu instid0(VALU_DEP_3) | instskip(NEXT) | instid1(VALU_DEP_1)
	v_sub_f32_e32 v31, v28, v33
	v_dual_add_f32 v33, 1.0, v37 :: v_dual_add_f32 v31, v22, v31
	s_delay_alu instid0(VALU_DEP_1) | instskip(NEXT) | instid1(VALU_DEP_1)
	v_sub_f32_e32 v28, v28, v33
	v_dual_add_f32 v39, v32, v31 :: v_dual_add_f32 v22, v22, v28
	s_delay_alu instid0(VALU_DEP_1) | instskip(NEXT) | instid1(VALU_DEP_1)
	v_rcp_f32_e32 v28, v39
	v_add_f32_e32 v33, v37, v22
	s_delay_alu instid0(TRANS32_DEP_1) | instid1(VALU_DEP_1)
	v_dual_sub_f32 v41, v33, v37 :: v_dual_mul_f32 v40, v33, v28
	s_delay_alu instid0(VALU_DEP_1) | instskip(NEXT) | instid1(VALU_DEP_1)
	v_dual_sub_f32 v22, v22, v41 :: v_dual_mul_f32 v34, v39, v40
	v_dual_sub_f32 v32, v39, v32 :: v_dual_fma_f32 v36, v40, v39, -v34
	s_delay_alu instid0(VALU_DEP_1) | instskip(NEXT) | instid1(VALU_DEP_1)
	v_sub_f32_e32 v31, v31, v32
	v_fmac_f32_e32 v36, v40, v31
	s_delay_alu instid0(VALU_DEP_1) | instskip(NEXT) | instid1(VALU_DEP_1)
	v_add_f32_e32 v32, v34, v36
	v_dual_sub_f32 v35, v33, v32 :: v_dual_mov_b32 v37, v32
	s_delay_alu instid0(VALU_DEP_1) | instskip(NEXT) | instid1(VALU_DEP_1)
	v_pk_add_f32 v[32:33], v[32:33], v[34:35] neg_lo:[0,1] neg_hi:[0,1]
	v_pk_add_f32 v[32:33], v[32:33], v[36:37] neg_lo:[0,1] neg_hi:[0,1]
	s_delay_alu instid0(VALU_DEP_1) | instskip(NEXT) | instid1(VALU_DEP_1)
	v_add_f32_e32 v22, v22, v33
	v_add_f32_e32 v22, v32, v22
	s_delay_alu instid0(VALU_DEP_1) | instskip(NEXT) | instid1(VALU_DEP_1)
	v_add_f32_e32 v33, v35, v22
	v_mul_f32_e32 v41, v28, v33
	s_delay_alu instid0(VALU_DEP_1) | instskip(NEXT) | instid1(VALU_DEP_1)
	v_mul_f32_e32 v36, v39, v41
	v_fma_f32 v34, v41, v39, -v36
	s_delay_alu instid0(VALU_DEP_1) | instskip(NEXT) | instid1(VALU_DEP_1)
	v_dual_fmac_f32 v34, v41, v31 :: v_dual_sub_f32 v31, v35, v33
	v_dual_add_f32 v32, v36, v34 :: v_dual_add_f32 v22, v22, v31
	s_delay_alu instid0(VALU_DEP_1) | instskip(NEXT) | instid1(VALU_DEP_1)
	v_dual_sub_f32 v37, v33, v32 :: v_dual_mov_b32 v35, v32
	v_pk_add_f32 v[32:33], v[32:33], v[36:37] neg_lo:[0,1] neg_hi:[0,1]
	s_delay_alu instid0(VALU_DEP_1) | instskip(NEXT) | instid1(VALU_DEP_1)
	v_pk_add_f32 v[32:33], v[32:33], v[34:35] neg_lo:[0,1] neg_hi:[0,1]
	v_add_f32_e32 v22, v22, v33
	s_delay_alu instid0(VALU_DEP_1) | instskip(NEXT) | instid1(VALU_DEP_1)
	v_add_f32_e32 v22, v32, v22
	v_dual_add_f32 v31, v40, v41 :: v_dual_add_f32 v22, v37, v22
	s_delay_alu instid0(VALU_DEP_1) | instskip(NEXT) | instid1(VALU_DEP_1)
	v_dual_sub_f32 v32, v31, v40 :: v_dual_mul_f32 v22, v28, v22
	v_sub_f32_e32 v32, v41, v32
	s_delay_alu instid0(VALU_DEP_1) | instskip(SKIP_1) | instid1(VALU_DEP_2)
	v_add_f32_e32 v22, v32, v22
	v_cvt_f32_i32_e32 v32, v9
	v_add_f32_e32 v28, v31, v22
	s_delay_alu instid0(VALU_DEP_1) | instskip(NEXT) | instid1(VALU_DEP_1)
	v_mul_f32_e32 v34, v28, v28
	v_fmaak_f32 v35, s29, v34, 0x3ecc95a3
	v_mul_f32_e32 v33, v28, v34
	s_delay_alu instid0(VALU_DEP_2) | instskip(NEXT) | instid1(VALU_DEP_1)
	v_fmaak_f32 v9, v34, v35, 0x3f2aaada
	v_pk_mul_f32 v[34:35], v[32:33], v[8:9]
	v_sub_f32_e32 v9, v28, v31
	s_delay_alu instid0(VALU_DEP_2) | instskip(NEXT) | instid1(VALU_DEP_2)
	v_fma_f32 v36, 0x3f317218, v32, -v34
	v_sub_f32_e32 v9, v22, v9
	v_ldexp_f32 v37, v28, 1
	v_mov_b32_e32 v40, v34
	s_delay_alu instid0(VALU_DEP_4) | instskip(NEXT) | instid1(VALU_DEP_4)
	v_fmac_f32_e32 v36, 0xb102e308, v32
	v_ldexp_f32 v9, v9, 1
	s_delay_alu instid0(VALU_DEP_2) | instskip(NEXT) | instid1(VALU_DEP_1)
	v_pk_add_f32 v[32:33], v[34:35], v[36:37]
	v_dual_sub_f32 v22, v33, v37 :: v_dual_mov_b32 v37, v32
	s_delay_alu instid0(VALU_DEP_1) | instskip(SKIP_1) | instid1(VALU_DEP_2)
	v_dual_mov_b32 v48, v33 :: v_dual_sub_f32 v22, v35, v22
	v_pk_add_f32 v[34:35], v[32:33], v[34:35] neg_lo:[0,1] neg_hi:[0,1]
	v_add_f32_e32 v41, v9, v22
	v_max_num_f32_e64 v9, |v11|, |v11|
	v_max_num_f32_e64 v22, |v10|, |v10|
	s_delay_alu instid0(VALU_DEP_3) | instskip(NEXT) | instid1(VALU_DEP_1)
	v_pk_add_f32 v[42:43], v[32:33], v[40:41]
	v_dual_max_num_f32 v28, v22, v9 :: v_dual_mov_b32 v35, v43
	s_delay_alu instid0(VALU_DEP_1) | instskip(SKIP_1) | instid1(VALU_DEP_3)
	v_frexp_exp_i32_f32_e32 v31, v28
	v_frexp_mant_f32_e32 v28, v28
	v_pk_add_f32 v[44:45], v[36:37], v[34:35]
	v_min_num_f32_e32 v9, v22, v9
	v_pk_add_f32 v[34:35], v[36:37], v[34:35] neg_lo:[0,1] neg_hi:[0,1]
	s_delay_alu instid0(VALU_DEP_4) | instskip(NEXT) | instid1(VALU_DEP_3)
	v_rcp_f32_e32 v28, v28
	v_mov_b32_e32 v22, v45
	s_delay_alu instid0(VALU_DEP_3) | instskip(SKIP_2) | instid1(VALU_DEP_4)
	v_frexp_exp_i32_f32_e32 v39, v9
	v_frexp_mant_f32_e32 v40, v9
	v_mov_b32_e32 v35, v45
	v_pk_add_f32 v[46:47], v[22:23], v[32:33] neg_lo:[0,1] neg_hi:[0,1]
	s_delay_alu instid0(VALU_DEP_4) | instskip(SKIP_1) | instid1(VALU_DEP_3)
	v_sub_nc_u32_e32 v31, v39, v31
	v_dual_mov_b32 v44, v43 :: v_dual_mov_b32 v33, v32
	v_dual_mov_b32 v32, v41 :: v_dual_mov_b32 v49, v46
	v_dual_mov_b32 v9, v46 :: v_dual_mul_f32 v28, v40, v28
	s_delay_alu instid0(VALU_DEP_2) | instskip(NEXT) | instid1(VALU_DEP_2)
	v_pk_add_f32 v[36:37], v[44:45], v[48:49] neg_lo:[0,1] neg_hi:[0,1]
	v_pk_add_f32 v[40:41], v[42:43], v[8:9] neg_lo:[0,1] neg_hi:[0,1]
	s_delay_alu instid0(VALU_DEP_3) | instskip(SKIP_1) | instid1(VALU_DEP_4)
	v_ldexp_f32 v9, v28, v31
	v_mov_b32_e32 v40, v34
	v_pk_add_f32 v[32:33], v[32:33], v[36:37] neg_lo:[0,1] neg_hi:[0,1]
	s_delay_alu instid0(VALU_DEP_3) | instskip(NEXT) | instid1(VALU_DEP_2)
	v_mul_f32_e32 v31, v9, v9
	v_pk_add_f32 v[36:37], v[40:41], v[32:33]
	s_delay_alu instid0(VALU_DEP_1) | instskip(NEXT) | instid1(VALU_DEP_1)
	v_dual_fmaak_f32 v33, s30, v31, 0xbc7a590c :: v_dual_mov_b32 v28, v37
	v_pk_add_f32 v[40:41], v[36:37], v[28:29]
	s_delay_alu instid0(VALU_DEP_2) | instskip(NEXT) | instid1(VALU_DEP_2)
	v_fmaak_f32 v28, v31, v33, 0x3d29fb3f
	v_pk_add_f32 v[42:43], v[22:23], v[40:41]
	s_delay_alu instid0(VALU_DEP_2) | instskip(NEXT) | instid1(VALU_DEP_1)
	v_dual_fmaak_f32 v22, v31, v28, 0xbd97d4d7 :: v_dual_mov_b32 v33, v40
	v_dual_mov_b32 v37, v42 :: v_dual_fmaak_f32 v22, v31, v22, 0x3dd931b2
	s_delay_alu instid0(VALU_DEP_1) | instskip(NEXT) | instid1(VALU_DEP_2)
	v_pk_add_f32 v[44:45], v[36:37], v[34:35] neg_lo:[0,1] neg_hi:[0,1]
	v_fmaak_f32 v22, v31, v22, 0xbe1160e6
	s_delay_alu instid0(VALU_DEP_2) | instskip(NEXT) | instid1(VALU_DEP_2)
	v_pk_add_f32 v[32:33], v[32:33], v[44:45] neg_lo:[0,1] neg_hi:[0,1]
	v_fmaak_f32 v22, v31, v22, 0x3e4cb8bf
	s_delay_alu instid0(VALU_DEP_1) | instskip(NEXT) | instid1(VALU_DEP_1)
	v_fmaak_f32 v22, v31, v22, 0xbeaaaa62
	v_dual_sub_f32 v28, v36, v44 :: v_dual_mul_f32 v22, v31, v22
	s_delay_alu instid0(VALU_DEP_1) | instskip(NEXT) | instid1(VALU_DEP_1)
	v_dual_sub_f32 v28, v34, v28 :: v_dual_fmac_f32 v9, v9, v22
	v_add_f32_e32 v28, v32, v28
	s_delay_alu instid0(VALU_DEP_1) | instskip(NEXT) | instid1(VALU_DEP_1)
	v_add_f32_e32 v28, v28, v33
                                        ; implicit-def: $vgpr32_vgpr33
	v_add_f32_e32 v22, v42, v28
	s_delay_alu instid0(VALU_DEP_4) | instskip(NEXT) | instid1(VALU_DEP_1)
	v_sub_f32_e32 v28, 0x3fc90fdb, v9
	v_cndmask_b32_e64 v9, v9, v28, s6
	s_delay_alu instid0(VALU_DEP_3) | instskip(SKIP_1) | instid1(VALU_DEP_3)
	v_cndmask_b32_e32 v22, 0x7f800000, v22, vcc_lo
	v_cmp_gt_i32_e32 vcc_lo, 0, v10
	v_sub_f32_e32 v31, 0x40490fdb, v9
	v_cndmask_b32_e64 v28, 0, 0x40490fdb, vcc_lo
	v_cmp_ngt_f32_e32 vcc_lo, -1.0, v30
	v_cndmask_b32_e32 v22, 0x7fc00000, v22, vcc_lo
	v_cmp_gt_f32_e32 vcc_lo, 0, v10
	s_delay_alu instid0(VALU_DEP_2)
	v_cndmask_b32_e64 v10, 0xff800000, v22, s7
	v_cndmask_b32_e32 v9, v9, v31, vcc_lo
	v_cndmask_b32_e32 v22, 0x3f490fdb, v38, vcc_lo
	v_cmp_gt_f32_e64 vcc_lo, 0x33800000, |v30|
	v_cmp_class_f32_e64 s7, v11, 0x204
	v_cndmask_b32_e32 v10, v10, v30, vcc_lo
	v_cmp_eq_f32_e32 vcc_lo, 0, v11
	s_delay_alu instid0(VALU_DEP_2) | instskip(SKIP_1) | instid1(VALU_DEP_1)
	v_dual_mul_f32 v31, 0.5, v10 :: v_dual_cndmask_b32 v9, v9, v28, vcc_lo
	s_and_b32 vcc_lo, s7, s9
	v_cndmask_b32_e32 v22, v9, v22, vcc_lo
.LBB198_86:                             ;   in Loop: Header=BB198_4 Depth=1
	s_and_not1_saveexec_b32 s36, s8
	s_cbranch_execz .LBB198_94
; %bb.87:                               ;   in Loop: Header=BB198_4 Depth=1
	v_pk_mul_f32 v[30:31], v[32:33], v[32:33]
                                        ; implicit-def: $vgpr22
	s_mov_b32 s7, exec_lo
	s_delay_alu instid0(VALU_DEP_1) | instskip(NEXT) | instid1(VALU_DEP_1)
	v_add_f32_e32 v9, v31, v30
                                        ; implicit-def: $vgpr31
	v_cmpx_ge_f32_e32 0x3f333333, v9
	s_xor_b32 s8, exec_lo, s7
	s_cbranch_execz .LBB198_89
; %bb.88:                               ;   in Loop: Header=BB198_4 Depth=1
	v_max_num_f32_e64 v22, |v11|, |v11|
	v_max_num_f32_e64 v28, |v10|, |v10|
	v_cmp_gt_f32_e32 vcc_lo, 0x800000, v9
	v_cmp_gt_i32_e64 s7, 0, v10
	v_cmp_class_f32_e64 s9, v10, 0x204
	v_cmp_class_f32_e64 s10, v11, 0x204
	v_dual_max_num_f32 v30, v28, v22 :: v_dual_min_num_f32 v22, v28, v22
	v_cndmask_b32_e64 v32, 0, 0x41b17218, vcc_lo
	s_delay_alu instid0(VALU_DEP_2) | instskip(SKIP_1) | instid1(VALU_DEP_2)
	v_frexp_mant_f32_e32 v31, v30
	v_frexp_exp_i32_f32_e32 v28, v30
	v_rcp_f32_e32 v30, v31
	v_nop
	v_frexp_exp_i32_f32_e32 v31, v22
	v_frexp_mant_f32_e32 v22, v22
	s_delay_alu instid0(TRANS32_DEP_1) | instid1(VALU_DEP_1)
	v_dual_sub_nc_u32 v28, v31, v28 :: v_dual_mul_f32 v22, v22, v30
	v_cndmask_b32_e64 v31, 0, 32, vcc_lo
	s_delay_alu instid0(VALU_DEP_2) | instskip(NEXT) | instid1(VALU_DEP_2)
	v_ldexp_f32 v22, v22, v28
	v_ldexp_f32 v9, v9, v31
	s_delay_alu instid0(VALU_DEP_2) | instskip(NEXT) | instid1(VALU_DEP_2)
	v_mul_f32_e32 v28, v22, v22
	v_log_f32_e32 v9, v9
	s_delay_alu instid0(VALU_DEP_1) | instskip(NEXT) | instid1(TRANS32_DEP_1)
	v_fmaak_f32 v30, s30, v28, 0xbc7a590c
	v_cmp_gt_f32_e64 vcc_lo, 0x7f800000, |v9|
	s_delay_alu instid0(VALU_DEP_2) | instskip(NEXT) | instid1(VALU_DEP_1)
	v_fmaak_f32 v30, v28, v30, 0x3d29fb3f
	v_fmaak_f32 v30, v28, v30, 0xbd97d4d7
	s_delay_alu instid0(VALU_DEP_1) | instskip(NEXT) | instid1(VALU_DEP_1)
	v_fmaak_f32 v30, v28, v30, 0x3dd931b2
	v_fmaak_f32 v30, v28, v30, 0xbe1160e6
	s_delay_alu instid0(VALU_DEP_1) | instskip(NEXT) | instid1(VALU_DEP_1)
	v_fmaak_f32 v30, v28, v30, 0x3e4cb8bf
	v_fmaak_f32 v30, v28, v30, 0xbeaaaa62
	s_delay_alu instid0(VALU_DEP_1) | instskip(SKIP_1) | instid1(VALU_DEP_2)
	v_mul_f32_e32 v28, v28, v30
	v_mul_f32_e32 v30, 0x3f317217, v9
	v_fmac_f32_e32 v22, v22, v28
	s_delay_alu instid0(VALU_DEP_2) | instskip(NEXT) | instid1(VALU_DEP_2)
	v_fma_f32 v28, 0x3f317217, v9, -v30
	v_sub_f32_e32 v30, 0x3fc90fdb, v22
	s_delay_alu instid0(VALU_DEP_2) | instskip(NEXT) | instid1(VALU_DEP_2)
	v_fmac_f32_e32 v28, 0x3377d1cf, v9
	v_cndmask_b32_e64 v22, v22, v30, s6
	s_delay_alu instid0(VALU_DEP_2) | instskip(SKIP_2) | instid1(VALU_DEP_4)
	v_fmac_f32_e32 v28, 0x3f317217, v9
	v_cndmask_b32_e64 v30, 0, 0x40490fdb, s7
	v_cmp_eq_f32_e64 s7, 0, v11
	v_sub_f32_e32 v31, 0x40490fdb, v22
	s_delay_alu instid0(VALU_DEP_4) | instskip(SKIP_1) | instid1(VALU_DEP_2)
	v_cndmask_b32_e32 v9, v9, v28, vcc_lo
	v_cmp_gt_f32_e32 vcc_lo, 0, v10
	v_dual_sub_f32 v9, v9, v32 :: v_dual_cndmask_b32 v22, v22, v31
                                        ; implicit-def: $vgpr32
	s_delay_alu instid0(VALU_DEP_1) | instskip(SKIP_2) | instid1(VALU_DEP_1)
	v_dual_mul_f32 v31, 0.5, v9 :: v_dual_cndmask_b32 v10, v22, v30, s7
	v_cndmask_b32_e32 v22, 0x3f490fdb, v38, vcc_lo
	s_and_b32 vcc_lo, s10, s9
	v_cndmask_b32_e32 v22, v10, v22, vcc_lo
.LBB198_89:                             ;   in Loop: Header=BB198_4 Depth=1
	s_and_not1_saveexec_b32 s37, s8
	s_cbranch_execz .LBB198_93
; %bb.90:                               ;   in Loop: Header=BB198_4 Depth=1
	v_and_b32_e32 v31, 0x7fff0000, v32
	v_and_b32_e32 v30, 0x7fff0000, v33
	s_mov_b32 s38, 0
	s_delay_alu instid0(VALU_DEP_1) | instskip(SKIP_2) | instid1(VALU_DEP_2)
	v_dual_add_f32 v37, v31, v31 :: v_dual_add_f32 v22, v30, v30
	v_pk_add_f32 v[32:33], v[32:33], v[30:31] op_sel:[1,0] op_sel_hi:[0,1] neg_lo:[0,1] neg_hi:[0,1]
	v_pk_mul_f32 v[30:31], v[30:31], v[30:31]
	v_and_b32_e32 v35, 0xffff0000, v33
	s_delay_alu instid0(VALU_DEP_3) | instskip(NEXT) | instid1(VALU_DEP_1)
	v_and_b32_e32 v34, 0xffff0000, v32
	v_dual_add_f32 v41, v35, v35 :: v_dual_add_f32 v40, v34, v34
	v_pk_add_f32 v[32:33], v[32:33], v[34:35] neg_lo:[0,1] neg_hi:[0,1]
	v_dual_mul_f32 v9, v22, v34 :: v_dual_mul_f32 v36, v37, v35
	v_pk_mul_f32 v[34:35], v[34:35], v[34:35]
	s_delay_alu instid0(VALU_DEP_3)
	v_dual_mul_f32 v28, v22, v32 :: v_dual_mul_f32 v39, v37, v33
	v_dual_mul_f32 v22, v40, v32 :: v_dual_mul_f32 v37, v41, v33
	v_pk_mul_f32 v[32:33], v[32:33], v[32:33]
.LBB198_91:                             ;   Parent Loop BB198_4 Depth=1
                                        ; =>  This Inner Loop Header: Depth=2
	v_cmp_nlt_f32_e32 vcc_lo, v30, v31
	v_dual_cndmask_b32 v40, v30, v31, vcc_lo :: v_dual_cndmask_b32 v30, v31, v30, vcc_lo
	s_delay_alu instid0(VALU_DEP_1) | instskip(NEXT) | instid1(VALU_DEP_1)
	v_cmp_nlt_f32_e64 s7, v40, v9
	v_dual_cndmask_b32 v41, v40, v9, s7 :: v_dual_cndmask_b32 v31, v9, v40, s7
	s_and_b32 s7, vcc_lo, s7
	s_delay_alu instid0(VALU_DEP_1) | instskip(NEXT) | instid1(VALU_DEP_1)
	v_cmp_nlt_f32_e64 s8, v41, v36
	v_dual_cndmask_b32 v42, v41, v36, s8 :: v_dual_cndmask_b32 v9, v36, v41, s8
	s_delay_alu instid0(VALU_DEP_1) | instskip(NEXT) | instid1(VALU_DEP_1)
	v_cmp_nlt_f32_e64 s9, v42, v34
	v_cndmask_b32_e64 v40, v42, v34, s9
	s_and_b32 s39, s8, s9
	v_cndmask_b32_e64 v36, v34, v42, s9
	s_delay_alu instid0(VALU_DEP_2) | instskip(NEXT) | instid1(VALU_DEP_1)
	v_cmp_nlt_f32_e64 s10, v40, v35
	v_cndmask_b32_e64 v41, v40, v35, s10
	s_delay_alu instid0(VALU_DEP_1) | instskip(NEXT) | instid1(VALU_DEP_1)
	v_cmp_nlt_f32_e64 s11, v41, v28
	v_cndmask_b32_e64 v43, v41, v28, s11
	v_cndmask_b32_e64 v34, v35, v40, s10
	s_and_b32 s10, s10, s11
	s_delay_alu instid0(VALU_DEP_2) | instskip(NEXT) | instid1(VALU_DEP_1)
	v_cmp_nlt_f32_e64 s12, v43, v39
	v_dual_cndmask_b32 v35, v28, v41, s11 :: v_dual_cndmask_b32 v28, v39, v43, s12
	v_cndmask_b32_e64 v44, v43, v39, s12
	s_and_b32 s10, s10, s12
	s_delay_alu instid0(VALU_DEP_1) | instskip(NEXT) | instid1(VALU_DEP_1)
	v_cmp_nlt_f32_e64 s13, v44, v22
	v_cndmask_b32_e64 v42, v44, v22, s13
	s_and_b32 s11, s10, s13
	s_delay_alu instid0(VALU_DEP_1) | instskip(NEXT) | instid1(VALU_DEP_1)
	v_cmp_nlt_f32_e64 s8, v42, v37
	v_cndmask_b32_e64 v40, v42, v37, s8
	s_delay_alu instid0(VALU_DEP_1) | instskip(NEXT) | instid1(VALU_DEP_1)
	v_cmp_nlt_f32_e64 s9, v40, v32
	v_cndmask_b32_e64 v41, v40, v32, s9
	v_dual_cndmask_b32 v39, v22, v44, s13 :: v_dual_cndmask_b32 v22, v37, v42, s8
	s_and_b32 s8, s11, s8
	s_delay_alu instid0(VALU_DEP_2)
	v_cmp_nlt_f32_e64 s10, v41, v33
	s_and_b32 s8, s8, s9
	v_cndmask_b32_e64 v37, v32, v40, s9
	s_and_b32 s8, s8, s10
	v_cndmask_b32_e64 v32, v33, v41, s10
	;; [unrolled: 2-line block ×3, first 2 shown]
	s_and_b32 s7, s8, s7
	s_delay_alu instid0(SALU_CYCLE_1) | instskip(NEXT) | instid1(SALU_CYCLE_1)
	s_and_b32 s7, exec_lo, s7
	s_or_b32 s38, s7, s38
	s_delay_alu instid0(SALU_CYCLE_1)
	s_and_not1_b32 exec_lo, exec_lo, s38
	s_cbranch_execnz .LBB198_91
; %bb.92:                               ;   in Loop: Header=BB198_4 Depth=1
	s_or_b32 exec_lo, exec_lo, s38
	v_add_f32_e32 v30, -1.0, v30
	v_cmp_class_f32_e64 s8, v10, 0x204
	s_delay_alu instid0(VALU_DEP_2) | instskip(NEXT) | instid1(VALU_DEP_1)
	v_add_f32_e32 v30, v30, v31
	v_add_f32_e32 v9, v30, v9
	s_delay_alu instid0(VALU_DEP_1) | instskip(NEXT) | instid1(VALU_DEP_1)
	v_add_f32_e32 v9, v9, v36
	v_add_f32_e32 v9, v9, v34
	s_delay_alu instid0(VALU_DEP_1) | instskip(NEXT) | instid1(VALU_DEP_1)
	;; [unrolled: 3-line block ×5, first 2 shown]
	v_add_f32_e32 v30, v33, v9
	v_add_f32_e32 v33, 1.0, v30
	s_delay_alu instid0(VALU_DEP_1) | instskip(SKIP_2) | instid1(VALU_DEP_2)
	v_cvt_f64_f32_e32 v[34:35], v33
	v_frexp_mant_f32_e32 v22, v33
	v_add_f32_e32 v31, -1.0, v33
	v_cmp_gt_f32_e32 vcc_lo, 0x3f2aaaab, v22
	s_delay_alu instid0(VALU_DEP_2) | instskip(SKIP_1) | instid1(VALU_DEP_1)
	v_mov_b32_e32 v32, v31
	v_frexp_exp_i32_f64_e32 v9, v[34:35]
	v_subrev_co_ci_u32_e64 v9, null, 0, v9, vcc_lo
	s_delay_alu instid0(VALU_DEP_1) | instskip(NEXT) | instid1(VALU_DEP_4)
	v_sub_nc_u32_e32 v22, 0, v9
	v_pk_add_f32 v[34:35], v[30:31], v[32:33] neg_lo:[0,1] neg_hi:[0,1]
	v_cmp_neq_f32_e32 vcc_lo, 0x7f800000, v30
	v_cmp_neq_f32_e64 s7, -1.0, v30
	s_delay_alu instid0(VALU_DEP_4) | instskip(NEXT) | instid1(VALU_DEP_1)
	v_ldexp_f32 v28, v33, v22
	v_dual_add_f32 v31, 1.0, v35 :: v_dual_add_f32 v32, 1.0, v28
	s_delay_alu instid0(VALU_DEP_1) | instskip(SKIP_1) | instid1(VALU_DEP_2)
	v_dual_add_f32 v31, v34, v31 :: v_dual_add_f32 v33, -1.0, v32
	v_add_f32_e32 v37, -1.0, v28
	v_ldexp_f32 v22, v31, v22
	s_delay_alu instid0(VALU_DEP_3) | instskip(NEXT) | instid1(VALU_DEP_1)
	v_sub_f32_e32 v31, v28, v33
	v_dual_add_f32 v33, 1.0, v37 :: v_dual_add_f32 v31, v22, v31
	s_delay_alu instid0(VALU_DEP_1) | instskip(NEXT) | instid1(VALU_DEP_1)
	v_sub_f32_e32 v28, v28, v33
	v_dual_add_f32 v39, v32, v31 :: v_dual_add_f32 v22, v22, v28
	s_delay_alu instid0(VALU_DEP_1) | instskip(NEXT) | instid1(VALU_DEP_1)
	v_rcp_f32_e32 v28, v39
	v_add_f32_e32 v33, v37, v22
	s_delay_alu instid0(TRANS32_DEP_1) | instid1(VALU_DEP_1)
	v_dual_sub_f32 v41, v33, v37 :: v_dual_mul_f32 v40, v33, v28
	s_delay_alu instid0(VALU_DEP_1) | instskip(NEXT) | instid1(VALU_DEP_1)
	v_dual_sub_f32 v22, v22, v41 :: v_dual_mul_f32 v34, v39, v40
	v_dual_sub_f32 v32, v39, v32 :: v_dual_fma_f32 v36, v40, v39, -v34
	s_delay_alu instid0(VALU_DEP_1) | instskip(NEXT) | instid1(VALU_DEP_1)
	v_sub_f32_e32 v31, v31, v32
	v_fmac_f32_e32 v36, v40, v31
	s_delay_alu instid0(VALU_DEP_1) | instskip(NEXT) | instid1(VALU_DEP_1)
	v_add_f32_e32 v32, v34, v36
	v_dual_sub_f32 v35, v33, v32 :: v_dual_mov_b32 v37, v32
	s_delay_alu instid0(VALU_DEP_1) | instskip(NEXT) | instid1(VALU_DEP_1)
	v_pk_add_f32 v[32:33], v[32:33], v[34:35] neg_lo:[0,1] neg_hi:[0,1]
	v_pk_add_f32 v[32:33], v[32:33], v[36:37] neg_lo:[0,1] neg_hi:[0,1]
	s_delay_alu instid0(VALU_DEP_1) | instskip(NEXT) | instid1(VALU_DEP_1)
	v_add_f32_e32 v22, v22, v33
	v_add_f32_e32 v22, v32, v22
	s_delay_alu instid0(VALU_DEP_1) | instskip(NEXT) | instid1(VALU_DEP_1)
	v_add_f32_e32 v33, v35, v22
	v_mul_f32_e32 v41, v28, v33
	s_delay_alu instid0(VALU_DEP_1) | instskip(NEXT) | instid1(VALU_DEP_1)
	v_mul_f32_e32 v36, v39, v41
	v_fma_f32 v34, v41, v39, -v36
	s_delay_alu instid0(VALU_DEP_1) | instskip(NEXT) | instid1(VALU_DEP_1)
	v_dual_fmac_f32 v34, v41, v31 :: v_dual_sub_f32 v31, v35, v33
	v_dual_add_f32 v32, v36, v34 :: v_dual_add_f32 v22, v22, v31
	s_delay_alu instid0(VALU_DEP_1) | instskip(NEXT) | instid1(VALU_DEP_1)
	v_dual_sub_f32 v37, v33, v32 :: v_dual_mov_b32 v35, v32
	v_pk_add_f32 v[32:33], v[32:33], v[36:37] neg_lo:[0,1] neg_hi:[0,1]
	s_delay_alu instid0(VALU_DEP_1) | instskip(NEXT) | instid1(VALU_DEP_1)
	v_pk_add_f32 v[32:33], v[32:33], v[34:35] neg_lo:[0,1] neg_hi:[0,1]
	v_add_f32_e32 v22, v22, v33
	s_delay_alu instid0(VALU_DEP_1) | instskip(NEXT) | instid1(VALU_DEP_1)
	v_add_f32_e32 v22, v32, v22
	v_dual_add_f32 v31, v40, v41 :: v_dual_add_f32 v22, v37, v22
	s_delay_alu instid0(VALU_DEP_1) | instskip(NEXT) | instid1(VALU_DEP_1)
	v_dual_sub_f32 v32, v31, v40 :: v_dual_mul_f32 v22, v28, v22
	v_sub_f32_e32 v32, v41, v32
	s_delay_alu instid0(VALU_DEP_1) | instskip(SKIP_1) | instid1(VALU_DEP_2)
	v_add_f32_e32 v22, v32, v22
	v_cvt_f32_i32_e32 v32, v9
	v_add_f32_e32 v28, v31, v22
	s_delay_alu instid0(VALU_DEP_1) | instskip(NEXT) | instid1(VALU_DEP_1)
	v_mul_f32_e32 v34, v28, v28
	v_fmaak_f32 v35, s29, v34, 0x3ecc95a3
	v_mul_f32_e32 v33, v28, v34
	s_delay_alu instid0(VALU_DEP_2) | instskip(NEXT) | instid1(VALU_DEP_1)
	v_fmaak_f32 v9, v34, v35, 0x3f2aaada
	v_pk_mul_f32 v[34:35], v[32:33], v[8:9]
	v_sub_f32_e32 v9, v28, v31
	s_delay_alu instid0(VALU_DEP_2) | instskip(NEXT) | instid1(VALU_DEP_2)
	v_fma_f32 v36, 0x3f317218, v32, -v34
	v_sub_f32_e32 v9, v22, v9
	v_ldexp_f32 v37, v28, 1
	v_mov_b32_e32 v40, v34
	s_delay_alu instid0(VALU_DEP_4) | instskip(NEXT) | instid1(VALU_DEP_4)
	v_fmac_f32_e32 v36, 0xb102e308, v32
	v_ldexp_f32 v9, v9, 1
	s_delay_alu instid0(VALU_DEP_2) | instskip(NEXT) | instid1(VALU_DEP_1)
	v_pk_add_f32 v[32:33], v[34:35], v[36:37]
	v_dual_sub_f32 v22, v33, v37 :: v_dual_mov_b32 v37, v32
	s_delay_alu instid0(VALU_DEP_1) | instskip(SKIP_1) | instid1(VALU_DEP_2)
	v_dual_mov_b32 v48, v33 :: v_dual_sub_f32 v22, v35, v22
	v_pk_add_f32 v[34:35], v[32:33], v[34:35] neg_lo:[0,1] neg_hi:[0,1]
	v_add_f32_e32 v41, v9, v22
	v_max_num_f32_e64 v9, |v11|, |v11|
	v_max_num_f32_e64 v22, |v10|, |v10|
	s_delay_alu instid0(VALU_DEP_3) | instskip(NEXT) | instid1(VALU_DEP_1)
	v_pk_add_f32 v[42:43], v[32:33], v[40:41]
	v_dual_max_num_f32 v28, v22, v9 :: v_dual_mov_b32 v35, v43
	s_delay_alu instid0(VALU_DEP_1) | instskip(SKIP_1) | instid1(VALU_DEP_3)
	v_frexp_exp_i32_f32_e32 v31, v28
	v_frexp_mant_f32_e32 v28, v28
	v_pk_add_f32 v[44:45], v[36:37], v[34:35]
	v_min_num_f32_e32 v9, v22, v9
	v_pk_add_f32 v[34:35], v[36:37], v[34:35] neg_lo:[0,1] neg_hi:[0,1]
	s_delay_alu instid0(VALU_DEP_4) | instskip(NEXT) | instid1(VALU_DEP_3)
	v_rcp_f32_e32 v28, v28
	v_mov_b32_e32 v22, v45
	s_delay_alu instid0(VALU_DEP_3) | instskip(SKIP_2) | instid1(VALU_DEP_4)
	v_frexp_exp_i32_f32_e32 v39, v9
	v_frexp_mant_f32_e32 v40, v9
	v_mov_b32_e32 v35, v45
	v_pk_add_f32 v[46:47], v[22:23], v[32:33] neg_lo:[0,1] neg_hi:[0,1]
	s_delay_alu instid0(VALU_DEP_4) | instskip(SKIP_1) | instid1(VALU_DEP_3)
	v_sub_nc_u32_e32 v31, v39, v31
	v_dual_mov_b32 v44, v43 :: v_dual_mov_b32 v33, v32
	v_dual_mov_b32 v32, v41 :: v_dual_mov_b32 v49, v46
	v_dual_mov_b32 v9, v46 :: v_dual_mul_f32 v28, v40, v28
	s_delay_alu instid0(VALU_DEP_2) | instskip(NEXT) | instid1(VALU_DEP_2)
	v_pk_add_f32 v[36:37], v[44:45], v[48:49] neg_lo:[0,1] neg_hi:[0,1]
	v_pk_add_f32 v[40:41], v[42:43], v[8:9] neg_lo:[0,1] neg_hi:[0,1]
	s_delay_alu instid0(VALU_DEP_3) | instskip(SKIP_1) | instid1(VALU_DEP_4)
	v_ldexp_f32 v9, v28, v31
	v_mov_b32_e32 v40, v34
	v_pk_add_f32 v[32:33], v[32:33], v[36:37] neg_lo:[0,1] neg_hi:[0,1]
	s_delay_alu instid0(VALU_DEP_3) | instskip(NEXT) | instid1(VALU_DEP_2)
	v_mul_f32_e32 v31, v9, v9
	v_pk_add_f32 v[36:37], v[40:41], v[32:33]
	s_delay_alu instid0(VALU_DEP_1) | instskip(NEXT) | instid1(VALU_DEP_1)
	v_dual_fmaak_f32 v33, s30, v31, 0xbc7a590c :: v_dual_mov_b32 v28, v37
	v_pk_add_f32 v[40:41], v[36:37], v[28:29]
	s_delay_alu instid0(VALU_DEP_2) | instskip(NEXT) | instid1(VALU_DEP_2)
	v_fmaak_f32 v28, v31, v33, 0x3d29fb3f
	v_pk_add_f32 v[42:43], v[22:23], v[40:41]
	s_delay_alu instid0(VALU_DEP_2) | instskip(NEXT) | instid1(VALU_DEP_1)
	v_dual_fmaak_f32 v22, v31, v28, 0xbd97d4d7 :: v_dual_mov_b32 v33, v40
	v_dual_mov_b32 v37, v42 :: v_dual_fmaak_f32 v22, v31, v22, 0x3dd931b2
	s_delay_alu instid0(VALU_DEP_1) | instskip(NEXT) | instid1(VALU_DEP_2)
	v_pk_add_f32 v[44:45], v[36:37], v[34:35] neg_lo:[0,1] neg_hi:[0,1]
	v_fmaak_f32 v22, v31, v22, 0xbe1160e6
	s_delay_alu instid0(VALU_DEP_2) | instskip(NEXT) | instid1(VALU_DEP_2)
	v_pk_add_f32 v[32:33], v[32:33], v[44:45] neg_lo:[0,1] neg_hi:[0,1]
	v_fmaak_f32 v22, v31, v22, 0x3e4cb8bf
	s_delay_alu instid0(VALU_DEP_1) | instskip(NEXT) | instid1(VALU_DEP_1)
	v_fmaak_f32 v22, v31, v22, 0xbeaaaa62
	v_dual_sub_f32 v28, v36, v44 :: v_dual_mul_f32 v22, v31, v22
	s_delay_alu instid0(VALU_DEP_1) | instskip(NEXT) | instid1(VALU_DEP_1)
	v_dual_sub_f32 v28, v34, v28 :: v_dual_fmac_f32 v9, v9, v22
	v_add_f32_e32 v28, v32, v28
	s_delay_alu instid0(VALU_DEP_1) | instskip(NEXT) | instid1(VALU_DEP_1)
	v_add_f32_e32 v28, v28, v33
	v_add_f32_e32 v22, v42, v28
	s_delay_alu instid0(VALU_DEP_4) | instskip(NEXT) | instid1(VALU_DEP_1)
	v_sub_f32_e32 v28, 0x3fc90fdb, v9
	v_cndmask_b32_e64 v9, v9, v28, s6
	s_delay_alu instid0(VALU_DEP_3) | instskip(SKIP_1) | instid1(VALU_DEP_3)
	v_cndmask_b32_e32 v22, 0x7f800000, v22, vcc_lo
	v_cmp_gt_i32_e32 vcc_lo, 0, v10
	v_sub_f32_e32 v31, 0x40490fdb, v9
	v_cndmask_b32_e64 v28, 0, 0x40490fdb, vcc_lo
	v_cmp_ngt_f32_e32 vcc_lo, -1.0, v30
	v_cndmask_b32_e32 v22, 0x7fc00000, v22, vcc_lo
	v_cmp_gt_f32_e32 vcc_lo, 0, v10
	s_delay_alu instid0(VALU_DEP_2)
	v_cndmask_b32_e64 v10, 0xff800000, v22, s7
	v_cndmask_b32_e32 v9, v9, v31, vcc_lo
	v_cndmask_b32_e32 v22, 0x3f490fdb, v38, vcc_lo
	v_cmp_gt_f32_e64 vcc_lo, 0x33800000, |v30|
	v_cmp_class_f32_e64 s7, v11, 0x204
	v_cndmask_b32_e32 v10, v10, v30, vcc_lo
	v_cmp_eq_f32_e32 vcc_lo, 0, v11
	s_delay_alu instid0(VALU_DEP_2) | instskip(SKIP_1) | instid1(VALU_DEP_1)
	v_dual_mul_f32 v31, 0.5, v10 :: v_dual_cndmask_b32 v9, v9, v28, vcc_lo
	s_and_b32 vcc_lo, s7, s8
	v_cndmask_b32_e32 v22, v9, v22, vcc_lo
.LBB198_93:                             ;   in Loop: Header=BB198_4 Depth=1
	s_or_b32 exec_lo, exec_lo, s37
.LBB198_94:                             ;   in Loop: Header=BB198_4 Depth=1
	s_delay_alu instid0(SALU_CYCLE_1)
	s_or_b32 exec_lo, exec_lo, s36
.LBB198_95:                             ;   in Loop: Header=BB198_4 Depth=1
	s_and_not1_saveexec_b32 s8, s35
	s_cbranch_execz .LBB198_97
; %bb.96:                               ;   in Loop: Header=BB198_4 Depth=1
	v_max_num_f32_e64 v9, |v11|, |v11|
	v_max_num_f32_e64 v22, |v10|, |v10|
	v_cmp_gt_i32_e64 s7, 0, v10
	v_cmp_class_f32_e64 s9, v10, 0x204
	v_cmp_class_f32_e64 s10, v11, 0x204
	s_delay_alu instid0(VALU_DEP_4) | instskip(NEXT) | instid1(VALU_DEP_1)
	v_dual_max_num_f32 v28, v22, v9 :: v_dual_min_num_f32 v9, v22, v9
	v_cvt_f64_f32_e32 v[30:31], v28
	v_frexp_exp_i32_f32_e32 v22, v28
	s_delay_alu instid0(VALU_DEP_3) | instskip(SKIP_4) | instid1(VALU_DEP_1)
	v_frexp_exp_i32_f32_e32 v32, v9
	v_frexp_mant_f32_e32 v9, v9
	v_cmp_neq_f32_e32 vcc_lo, 0x7f800000, v28
	v_frexp_exp_i32_f64_e32 v30, v[30:31]
	v_frexp_mant_f32_e32 v31, v28
	v_rcp_f32_e32 v31, v31
	v_nop
	s_delay_alu instid0(TRANS32_DEP_1) | instskip(NEXT) | instid1(VALU_DEP_1)
	v_dual_mul_f32 v9, v9, v31 :: v_dual_sub_nc_u32 v22, v32, v22
	v_ldexp_f32 v9, v9, v22
	s_delay_alu instid0(VALU_DEP_1) | instskip(NEXT) | instid1(VALU_DEP_1)
	v_dual_mul_f32 v31, v9, v9 :: v_dual_sub_nc_u32 v22, 0, v30
	v_ldexp_f32 v32, |v11|, v22
	s_delay_alu instid0(VALU_DEP_2) | instskip(SKIP_1) | instid1(VALU_DEP_2)
	v_fmaak_f32 v33, s30, v31, 0xbc7a590c
	v_ldexp_f32 v22, |v10|, v22
	v_dual_mul_f32 v32, v32, v32 :: v_dual_fmaak_f32 v33, v31, v33, 0x3d29fb3f
	s_delay_alu instid0(VALU_DEP_1) | instskip(NEXT) | instid1(VALU_DEP_2)
	v_fmac_f32_e32 v32, v22, v22
	v_fmaak_f32 v22, v31, v33, 0xbd97d4d7
	s_delay_alu instid0(VALU_DEP_2) | instskip(NEXT) | instid1(VALU_DEP_1)
	v_sqrt_f32_e32 v32, v32
	v_fmaak_f32 v22, v31, v22, 0x3dd931b2
	s_delay_alu instid0(VALU_DEP_1) | instskip(NEXT) | instid1(TRANS32_DEP_1)
	v_fmaak_f32 v22, v31, v22, 0xbe1160e6
	v_ldexp_f32 v30, v32, v30
	s_delay_alu instid0(VALU_DEP_2) | instskip(NEXT) | instid1(VALU_DEP_2)
	v_fmaak_f32 v22, v31, v22, 0x3e4cb8bf
	v_cndmask_b32_e32 v28, 0x7f800000, v30, vcc_lo
	s_delay_alu instid0(VALU_DEP_2) | instskip(NEXT) | instid1(VALU_DEP_2)
	v_fmaak_f32 v22, v31, v22, 0xbeaaaa62
	v_cmp_gt_f32_e32 vcc_lo, 0x800000, v28
	s_delay_alu instid0(VALU_DEP_2) | instskip(SKIP_1) | instid1(VALU_DEP_1)
	v_mul_f32_e32 v22, v31, v22
	v_cndmask_b32_e64 v30, 0, 32, vcc_lo
	v_ldexp_f32 v28, v28, v30
	s_delay_alu instid0(VALU_DEP_1) | instskip(SKIP_1) | instid1(TRANS32_DEP_1)
	v_log_f32_e32 v28, v28
	v_nop
	v_dual_fmac_f32 v9, v9, v22 :: v_dual_mul_f32 v22, 0x3f317217, v28
	s_delay_alu instid0(VALU_DEP_1) | instskip(NEXT) | instid1(VALU_DEP_2)
	v_sub_f32_e32 v30, 0x3fc90fdb, v9
	v_fma_f32 v22, 0x3f317217, v28, -v22
	s_delay_alu instid0(VALU_DEP_2) | instskip(SKIP_2) | instid1(VALU_DEP_4)
	v_cndmask_b32_e64 v9, v9, v30, s6
	v_cndmask_b32_e64 v30, 0, 0x40490fdb, s7
	v_cmp_gt_f32_e64 s7, 0, v10
	v_fmac_f32_e32 v22, 0x3377d1cf, v28
	s_delay_alu instid0(VALU_DEP_4) | instskip(NEXT) | instid1(VALU_DEP_3)
	v_sub_f32_e32 v31, 0x40490fdb, v9
	v_cndmask_b32_e64 v10, 0x3f490fdb, v38, s7
	s_delay_alu instid0(VALU_DEP_3) | instskip(NEXT) | instid1(VALU_DEP_3)
	v_fmac_f32_e32 v22, 0x3f317217, v28
	v_cndmask_b32_e64 v9, v9, v31, s7
	v_cndmask_b32_e64 v31, 0, 0x41b17218, vcc_lo
	v_cmp_gt_f32_e64 vcc_lo, 0x7f800000, |v28|
	s_delay_alu instid0(VALU_DEP_4) | instskip(SKIP_1) | instid1(VALU_DEP_2)
	v_cndmask_b32_e32 v22, v28, v22, vcc_lo
	v_cmp_eq_f32_e32 vcc_lo, 0, v11
	v_dual_sub_f32 v31, v22, v31 :: v_dual_cndmask_b32 v9, v9, v30, vcc_lo
	s_and_b32 vcc_lo, s10, s9
	s_delay_alu instid0(VALU_DEP_1)
	v_cndmask_b32_e32 v22, v9, v10, vcc_lo
.LBB198_97:                             ;   in Loop: Header=BB198_4 Depth=1
	s_or_b32 exec_lo, exec_lo, s8
                                        ; implicit-def: $vgpr32
.LBB198_98:                             ;   in Loop: Header=BB198_4 Depth=1
	s_and_not1_saveexec_b32 s8, s34
	s_cbranch_execz .LBB198_104
; %bb.99:                               ;   in Loop: Header=BB198_4 Depth=1
                                        ; implicit-def: $vgpr31
                                        ; implicit-def: $vgpr22
	s_mov_b32 s7, exec_lo
	v_cmpx_ngt_f32_e32 0x1fec1e4a, v32
	s_xor_b32 s9, exec_lo, s7
	s_cbranch_execz .LBB198_101
; %bb.100:                              ;   in Loop: Header=BB198_4 Depth=1
	v_pk_mul_f32 v[30:31], v[32:33], v[32:33]
	v_cmp_class_f32_e64 s10, v10, 0x204
	s_delay_alu instid0(VALU_DEP_2) | instskip(SKIP_1) | instid1(VALU_DEP_2)
	v_add_f32_e32 v33, 1.0, v30
	v_cmp_neq_f32_e64 s7, 0x7f800000, v30
	v_add_f32_e32 v31, -1.0, v33
	s_delay_alu instid0(VALU_DEP_1) | instskip(SKIP_2) | instid1(VALU_DEP_1)
	v_mov_b32_e32 v32, v31
	v_cvt_f64_f32_e32 v[34:35], v33
	v_frexp_mant_f32_e32 v22, v33
	v_cmp_gt_f32_e32 vcc_lo, 0x3f2aaaab, v22
	s_delay_alu instid0(VALU_DEP_3) | instskip(SKIP_1) | instid1(VALU_DEP_1)
	v_frexp_exp_i32_f64_e32 v9, v[34:35]
	v_pk_add_f32 v[34:35], v[30:31], v[32:33] neg_lo:[0,1] neg_hi:[0,1]
	v_add_f32_e32 v31, 1.0, v35
	s_delay_alu instid0(VALU_DEP_3) | instskip(SKIP_1) | instid1(VALU_DEP_2)
	v_subrev_co_ci_u32_e64 v9, null, 0, v9, vcc_lo
	v_cmp_gt_i32_e32 vcc_lo, 0, v10
	v_sub_nc_u32_e32 v22, 0, v9
	s_delay_alu instid0(VALU_DEP_1) | instskip(NEXT) | instid1(VALU_DEP_1)
	v_ldexp_f32 v28, v33, v22
	v_dual_add_f32 v32, 1.0, v28 :: v_dual_add_f32 v31, v34, v31
	s_delay_alu instid0(VALU_DEP_1) | instskip(SKIP_1) | instid1(VALU_DEP_3)
	v_add_f32_e32 v33, -1.0, v32
	v_add_f32_e32 v37, -1.0, v28
	v_ldexp_f32 v22, v31, v22
	s_delay_alu instid0(VALU_DEP_3) | instskip(NEXT) | instid1(VALU_DEP_1)
	v_sub_f32_e32 v31, v28, v33
	v_dual_add_f32 v33, 1.0, v37 :: v_dual_add_f32 v31, v22, v31
	s_delay_alu instid0(VALU_DEP_1) | instskip(NEXT) | instid1(VALU_DEP_1)
	v_sub_f32_e32 v28, v28, v33
	v_dual_add_f32 v39, v32, v31 :: v_dual_add_f32 v22, v22, v28
	s_delay_alu instid0(VALU_DEP_1) | instskip(NEXT) | instid1(VALU_DEP_1)
	v_rcp_f32_e32 v28, v39
	v_dual_add_f32 v33, v37, v22 :: v_dual_sub_f32 v32, v32, v39
	s_delay_alu instid0(VALU_DEP_1) | instskip(NEXT) | instid1(TRANS32_DEP_1)
	v_sub_f32_e32 v41, v37, v33
	v_mul_f32_e32 v40, v33, v28
	s_delay_alu instid0(VALU_DEP_2) | instskip(NEXT) | instid1(VALU_DEP_2)
	v_dual_add_f32 v31, v31, v32 :: v_dual_add_f32 v22, v22, v41
	v_mul_f32_e32 v34, v39, v40
	s_delay_alu instid0(VALU_DEP_1) | instskip(NEXT) | instid1(VALU_DEP_1)
	v_fma_f32 v36, v40, v39, -v34
	v_fmac_f32_e32 v36, v40, v31
	s_delay_alu instid0(VALU_DEP_1) | instskip(NEXT) | instid1(VALU_DEP_1)
	v_add_f32_e32 v32, v34, v36
	v_dual_sub_f32 v35, v33, v32 :: v_dual_mov_b32 v37, v32
	s_delay_alu instid0(VALU_DEP_1) | instskip(NEXT) | instid1(VALU_DEP_1)
	v_pk_add_f32 v[32:33], v[32:33], v[34:35] neg_lo:[0,1] neg_hi:[0,1]
	v_pk_add_f32 v[32:33], v[32:33], v[36:37] neg_lo:[0,1] neg_hi:[0,1]
	s_delay_alu instid0(VALU_DEP_1) | instskip(NEXT) | instid1(VALU_DEP_1)
	v_add_f32_e32 v22, v22, v33
	v_add_f32_e32 v22, v32, v22
	s_delay_alu instid0(VALU_DEP_1) | instskip(NEXT) | instid1(VALU_DEP_1)
	v_add_f32_e32 v33, v35, v22
	v_mul_f32_e32 v41, v28, v33
	s_delay_alu instid0(VALU_DEP_1) | instskip(NEXT) | instid1(VALU_DEP_1)
	v_mul_f32_e32 v36, v39, v41
	v_fma_f32 v34, v41, v39, -v36
	s_delay_alu instid0(VALU_DEP_1) | instskip(NEXT) | instid1(VALU_DEP_1)
	v_dual_fmac_f32 v34, v41, v31 :: v_dual_sub_f32 v31, v35, v33
	v_dual_add_f32 v32, v36, v34 :: v_dual_add_f32 v22, v22, v31
	s_delay_alu instid0(VALU_DEP_1) | instskip(SKIP_1) | instid1(VALU_DEP_2)
	v_dual_add_f32 v31, v40, v41 :: v_dual_sub_f32 v37, v33, v32
	v_mov_b32_e32 v35, v32
	v_pk_add_f32 v[32:33], v[32:33], v[36:37] neg_lo:[0,1] neg_hi:[0,1]
	s_delay_alu instid0(VALU_DEP_1) | instskip(NEXT) | instid1(VALU_DEP_1)
	v_pk_add_f32 v[32:33], v[32:33], v[34:35] neg_lo:[0,1] neg_hi:[0,1]
	v_add_f32_e32 v22, v22, v33
	s_delay_alu instid0(VALU_DEP_1) | instskip(NEXT) | instid1(VALU_DEP_1)
	v_dual_add_f32 v22, v32, v22 :: v_dual_sub_f32 v32, v31, v40
	v_sub_f32_e32 v32, v41, v32
	s_delay_alu instid0(VALU_DEP_2) | instskip(NEXT) | instid1(VALU_DEP_1)
	v_add_f32_e32 v22, v37, v22
	v_mul_f32_e32 v22, v28, v22
	s_delay_alu instid0(VALU_DEP_1) | instskip(SKIP_1) | instid1(VALU_DEP_2)
	v_add_f32_e32 v22, v32, v22
	v_cvt_f32_i32_e32 v32, v9
	v_add_f32_e32 v28, v31, v22
	s_delay_alu instid0(VALU_DEP_1) | instskip(NEXT) | instid1(VALU_DEP_1)
	v_mul_f32_e32 v34, v28, v28
	v_fmaak_f32 v35, s29, v34, 0x3ecc95a3
	v_mul_f32_e32 v33, v28, v34
	s_delay_alu instid0(VALU_DEP_2) | instskip(NEXT) | instid1(VALU_DEP_1)
	v_fmaak_f32 v9, v34, v35, 0x3f2aaada
	v_pk_mul_f32 v[34:35], v[32:33], v[8:9]
	v_sub_f32_e32 v9, v28, v31
	v_max_num_f32_e64 v31, |v10|, |v10|
	s_delay_alu instid0(VALU_DEP_3) | instskip(SKIP_1) | instid1(VALU_DEP_4)
	v_fma_f32 v36, 0x3f317218, v32, -v34
	v_mov_b32_e32 v40, v34
	v_sub_f32_e32 v9, v22, v9
	v_ldexp_f32 v37, v28, 1
	v_max_num_f32_e64 v28, |v11|, |v11|
	v_fmac_f32_e32 v36, 0xb102e308, v32
	s_delay_alu instid0(VALU_DEP_4) | instskip(NEXT) | instid1(VALU_DEP_2)
	v_ldexp_f32 v9, v9, 1
	v_pk_add_f32 v[32:33], v[34:35], v[36:37]
	s_delay_alu instid0(VALU_DEP_1) | instskip(NEXT) | instid1(VALU_DEP_1)
	v_sub_f32_e32 v22, v33, v37
	v_sub_f32_e32 v22, v35, v22
	s_delay_alu instid0(VALU_DEP_3) | instskip(NEXT) | instid1(VALU_DEP_2)
	v_pk_add_f32 v[34:35], v[32:33], v[34:35] neg_lo:[0,1] neg_hi:[0,1]
	v_dual_add_f32 v41, v9, v22 :: v_dual_max_num_f32 v9, v31, v28
	s_delay_alu instid0(VALU_DEP_1) | instskip(SKIP_1) | instid1(VALU_DEP_3)
	v_pk_add_f32 v[42:43], v[32:33], v[40:41]
	v_mov_b32_e32 v37, v32
	v_frexp_mant_f32_e32 v22, v9
	v_frexp_exp_i32_f32_e32 v9, v9
	s_delay_alu instid0(VALU_DEP_4) | instskip(NEXT) | instid1(VALU_DEP_1)
	v_dual_mov_b32 v48, v33 :: v_dual_mov_b32 v35, v43
	v_pk_add_f32 v[44:45], v[36:37], v[34:35]
	v_min_num_f32_e32 v28, v31, v28
	v_rcp_f32_e32 v31, v22
	v_mov_b32_e32 v44, v43
	v_pk_add_f32 v[34:35], v[36:37], v[34:35] neg_lo:[0,1] neg_hi:[0,1]
	v_mov_b32_e32 v22, v45
	v_frexp_exp_i32_f32_e32 v39, v28
	v_frexp_mant_f32_e32 v28, v28
	s_delay_alu instid0(VALU_DEP_3) | instskip(NEXT) | instid1(VALU_DEP_2)
	v_pk_add_f32 v[46:47], v[22:23], v[32:33] neg_lo:[0,1] neg_hi:[0,1]
	v_dual_mul_f32 v28, v28, v31 :: v_dual_sub_nc_u32 v9, v39, v9
	v_dual_mov_b32 v33, v32 :: v_dual_mov_b32 v32, v41
	s_delay_alu instid0(VALU_DEP_3) | instskip(NEXT) | instid1(VALU_DEP_3)
	v_mov_b32_e32 v49, v46
	v_ldexp_f32 v31, v28, v9
	v_mov_b32_e32 v9, v46
	s_delay_alu instid0(VALU_DEP_3) | instskip(NEXT) | instid1(VALU_DEP_3)
	v_pk_add_f32 v[36:37], v[44:45], v[48:49] neg_lo:[0,1] neg_hi:[0,1]
	v_mul_f32_e32 v39, v31, v31
	s_delay_alu instid0(VALU_DEP_3) | instskip(SKIP_1) | instid1(VALU_DEP_4)
	v_pk_add_f32 v[40:41], v[42:43], v[8:9] neg_lo:[0,1] neg_hi:[0,1]
	v_mov_b32_e32 v40, v34
	v_pk_add_f32 v[32:33], v[32:33], v[36:37] neg_lo:[0,1] neg_hi:[0,1]
	s_delay_alu instid0(VALU_DEP_1) | instskip(NEXT) | instid1(VALU_DEP_1)
	v_pk_add_f32 v[36:37], v[40:41], v[32:33]
	v_dual_fmaak_f32 v9, s30, v39, 0xbc7a590c :: v_dual_mov_b32 v28, v37
	s_delay_alu instid0(VALU_DEP_1) | instskip(SKIP_2) | instid1(VALU_DEP_3)
	v_pk_add_f32 v[40:41], v[36:37], v[28:29]
	v_cndmask_b32_e64 v28, 0, 0x40490fdb, vcc_lo
	v_cmp_gt_f32_e32 vcc_lo, 0, v10
	v_pk_add_f32 v[42:43], v[22:23], v[40:41]
	s_delay_alu instid0(VALU_DEP_1) | instskip(NEXT) | instid1(VALU_DEP_1)
	v_dual_mov_b32 v35, v45 :: v_dual_mov_b32 v37, v42
	v_pk_add_f32 v[44:45], v[36:37], v[34:35] neg_lo:[0,1] neg_hi:[0,1]
	s_delay_alu instid0(VALU_DEP_1) | instskip(NEXT) | instid1(VALU_DEP_1)
	v_dual_fmaak_f32 v9, v39, v9, 0x3d29fb3f :: v_dual_sub_f32 v22, v36, v44
	v_dual_fmaak_f32 v9, v39, v9, 0xbd97d4d7 :: v_dual_sub_f32 v22, v34, v22
	s_delay_alu instid0(VALU_DEP_1) | instskip(NEXT) | instid1(VALU_DEP_1)
	v_fmaak_f32 v9, v39, v9, 0x3dd931b2
	v_fmaak_f32 v9, v39, v9, 0xbe1160e6
	s_delay_alu instid0(VALU_DEP_1) | instskip(NEXT) | instid1(VALU_DEP_1)
	v_fmaak_f32 v9, v39, v9, 0x3e4cb8bf
	v_fmaak_f32 v9, v39, v9, 0xbeaaaa62
	s_delay_alu instid0(VALU_DEP_1) | instskip(NEXT) | instid1(VALU_DEP_1)
	v_dual_mov_b32 v33, v40 :: v_dual_mul_f32 v9, v39, v9
	v_pk_add_f32 v[32:33], v[32:33], v[44:45] neg_lo:[0,1] neg_hi:[0,1]
	s_delay_alu instid0(VALU_DEP_1) | instskip(NEXT) | instid1(VALU_DEP_1)
	v_dual_fmac_f32 v31, v31, v9 :: v_dual_add_f32 v9, v32, v22
                                        ; implicit-def: $vgpr32
	v_dual_sub_f32 v22, 0x3fc90fdb, v31 :: v_dual_add_f32 v9, v9, v33
	s_delay_alu instid0(VALU_DEP_1) | instskip(NEXT) | instid1(VALU_DEP_1)
	v_dual_cndmask_b32 v22, v31, v22, s6 :: v_dual_add_f32 v9, v42, v9
	v_sub_f32_e32 v31, 0x40490fdb, v22
	s_delay_alu instid0(VALU_DEP_2) | instskip(SKIP_1) | instid1(VALU_DEP_3)
	v_cndmask_b32_e64 v9, 0x7f800000, v9, s7
	v_cmp_class_f32_e64 s7, v11, 0x204
	v_cndmask_b32_e32 v10, v22, v31, vcc_lo
	v_cndmask_b32_e32 v22, 0x3f490fdb, v38, vcc_lo
	v_cmp_gt_f32_e64 vcc_lo, 0x33800000, |v30|
	v_cndmask_b32_e32 v9, v9, v30, vcc_lo
	v_cmp_eq_f32_e32 vcc_lo, 0, v11
	s_delay_alu instid0(VALU_DEP_2) | instskip(SKIP_1) | instid1(VALU_DEP_1)
	v_dual_mul_f32 v31, 0.5, v9 :: v_dual_cndmask_b32 v10, v10, v28
	s_and_b32 vcc_lo, s7, s10
	v_cndmask_b32_e32 v22, v10, v22, vcc_lo
.LBB198_101:                            ;   in Loop: Header=BB198_4 Depth=1
	s_and_not1_saveexec_b32 s9, s9
	s_cbranch_execz .LBB198_103
; %bb.102:                              ;   in Loop: Header=BB198_4 Depth=1
	v_max_num_f32_e64 v9, |v11|, |v11|
	v_max_num_f32_e64 v22, |v10|, |v10|
	v_cmp_eq_f32_e64 s7, 0, v11
	v_cmp_gt_i32_e32 vcc_lo, 0, v10
	v_cmp_class_f32_e64 s10, v10, 0x204
	v_cmp_class_f32_e64 s11, v11, 0x204
	v_dual_max_num_f32 v28, v22, v9 :: v_dual_min_num_f32 v9, v22, v9
	s_delay_alu instid0(VALU_DEP_1) | instskip(SKIP_1) | instid1(VALU_DEP_2)
	v_frexp_mant_f32_e32 v30, v28
	v_frexp_exp_i32_f32_e32 v22, v28
	v_rcp_f32_e32 v28, v30
	v_nop
	v_frexp_exp_i32_f32_e32 v30, v9
	v_frexp_mant_f32_e32 v9, v9
	s_delay_alu instid0(TRANS32_DEP_1) | instid1(VALU_DEP_1)
	v_dual_mul_f32 v9, v9, v28 :: v_dual_sub_nc_u32 v22, v30, v22
	s_delay_alu instid0(VALU_DEP_1) | instskip(NEXT) | instid1(VALU_DEP_1)
	v_ldexp_f32 v9, v9, v22
	v_mul_f32_e32 v22, v9, v9
	s_delay_alu instid0(VALU_DEP_1) | instskip(NEXT) | instid1(VALU_DEP_1)
	v_fmaak_f32 v28, s30, v22, 0xbc7a590c
	v_fmaak_f32 v28, v22, v28, 0x3d29fb3f
	s_delay_alu instid0(VALU_DEP_1) | instskip(NEXT) | instid1(VALU_DEP_1)
	v_fmaak_f32 v28, v22, v28, 0xbd97d4d7
	v_fmaak_f32 v28, v22, v28, 0x3dd931b2
	;; [unrolled: 3-line block ×3, first 2 shown]
	s_delay_alu instid0(VALU_DEP_1) | instskip(NEXT) | instid1(VALU_DEP_1)
	v_fmaak_f32 v28, v22, v28, 0xbeaaaa62
	v_mul_f32_e32 v22, v22, v28
	v_cndmask_b32_e64 v28, 0, 0x40490fdb, vcc_lo
	v_cmp_gt_f32_e32 vcc_lo, 0, v10
	s_delay_alu instid0(VALU_DEP_3) | instskip(SKIP_1) | instid1(VALU_DEP_2)
	v_fmac_f32_e32 v9, v9, v22
	v_cndmask_b32_e32 v10, 0x3f490fdb, v38, vcc_lo
	v_sub_f32_e32 v22, 0x3fc90fdb, v9
	s_delay_alu instid0(VALU_DEP_1) | instskip(NEXT) | instid1(VALU_DEP_1)
	v_cndmask_b32_e64 v9, v9, v22, s6
	v_sub_f32_e32 v22, 0x40490fdb, v9
	s_delay_alu instid0(VALU_DEP_1) | instskip(SKIP_1) | instid1(VALU_DEP_1)
	v_dual_cndmask_b32 v9, v9, v22 :: v_dual_mul_f32 v22, 0.5, v32
	s_and_b32 vcc_lo, s11, s10
	v_dual_cndmask_b32 v9, v9, v28, s7 :: v_dual_mul_f32 v31, v32, v22
	s_delay_alu instid0(VALU_DEP_1)
	v_cndmask_b32_e32 v22, v9, v10, vcc_lo
.LBB198_103:                            ;   in Loop: Header=BB198_4 Depth=1
	s_or_b32 exec_lo, exec_lo, s9
.LBB198_104:                            ;   in Loop: Header=BB198_4 Depth=1
	s_delay_alu instid0(SALU_CYCLE_1)
	s_or_b32 exec_lo, exec_lo, s8
.LBB198_105:                            ;   in Loop: Header=BB198_4 Depth=1
	s_and_not1_saveexec_b32 s8, s33
	s_cbranch_execz .LBB198_107
; %bb.106:                              ;   in Loop: Header=BB198_4 Depth=1
	v_div_scale_f32 v9, null, 0x402df854, 0x402df854, v10
	v_div_scale_f32 v22, null, 0x402df854, 0x402df854, v11
	v_div_scale_f32 v33, vcc_lo, v10, 0x402df854, v10
	s_delay_alu instid0(VALU_DEP_3) | instskip(NEXT) | instid1(VALU_DEP_2)
	v_rcp_f32_e32 v28, v9
	v_rcp_f32_e32 v30, v22
	v_cmp_class_f32_e64 s9, v11, 0x204
	s_delay_alu instid0(TRANS32_DEP_2) | instskip(NEXT) | instid1(TRANS32_DEP_1)
	v_fma_f32 v31, -v9, v28, 1.0
	v_fma_f32 v32, -v22, v30, 1.0
	s_delay_alu instid0(VALU_DEP_1) | instskip(SKIP_1) | instid1(VALU_DEP_1)
	v_dual_fmac_f32 v28, v31, v28 :: v_dual_fmac_f32 v30, v32, v30
	v_div_scale_f32 v31, s7, v11, 0x402df854, v11
	v_dual_mul_f32 v32, v33, v28 :: v_dual_mul_f32 v34, v31, v30
	s_delay_alu instid0(VALU_DEP_1) | instskip(NEXT) | instid1(VALU_DEP_1)
	v_dual_fma_f32 v35, -v9, v32, v33 :: v_dual_fma_f32 v36, -v22, v34, v31
	v_dual_fmac_f32 v32, v35, v28 :: v_dual_fmac_f32 v34, v36, v30
	s_delay_alu instid0(VALU_DEP_1) | instskip(NEXT) | instid1(VALU_DEP_1)
	v_dual_fma_f32 v9, -v9, v32, v33 :: v_dual_fma_f32 v22, -v22, v34, v31
	v_div_fmas_f32 v9, v9, v28, v32
	s_mov_b32 vcc_lo, s7
	v_max_num_f32_e64 v32, |v10|, |v10|
	s_delay_alu instid0(VALU_DEP_3) | instskip(SKIP_2) | instid1(VALU_DEP_3)
	v_div_fmas_f32 v22, v22, v30, v34
	v_cmp_class_f32_e64 s7, v10, 0x204
	v_div_fixup_f32 v9, v9, 0x402df854, v10
	v_div_fixup_f32 v22, v22, 0x402df854, v11
	s_delay_alu instid0(VALU_DEP_1) | instskip(NEXT) | instid1(VALU_DEP_1)
	v_max_num_f32_e64 v28, |v9|, |v22|
	v_cvt_f64_f32_e32 v[30:31], v28
	v_cmp_neq_f32_e32 vcc_lo, 0x7f800000, v28
	s_delay_alu instid0(VALU_DEP_2) | instskip(SKIP_1) | instid1(VALU_DEP_1)
	v_frexp_exp_i32_f64_e32 v30, v[30:31]
	v_max_num_f32_e64 v31, |v11|, |v11|
	v_dual_max_num_f32 v33, v32, v31 :: v_dual_min_num_f32 v31, v32, v31
	s_delay_alu instid0(VALU_DEP_1) | instskip(SKIP_1) | instid1(VALU_DEP_2)
	v_frexp_mant_f32_e32 v34, v33
	v_frexp_exp_i32_f32_e32 v32, v33
	v_rcp_f32_e32 v33, v34
	v_nop
	v_frexp_exp_i32_f32_e32 v34, v31
	v_frexp_mant_f32_e32 v31, v31
	s_delay_alu instid0(TRANS32_DEP_1) | instid1(VALU_DEP_1)
	v_dual_mul_f32 v31, v31, v33 :: v_dual_sub_nc_u32 v32, v34, v32
	s_delay_alu instid0(VALU_DEP_1) | instskip(NEXT) | instid1(VALU_DEP_1)
	v_ldexp_f32 v31, v31, v32
	v_dual_mul_f32 v32, v31, v31 :: v_dual_sub_nc_u32 v33, 0, v30
	s_delay_alu instid0(VALU_DEP_1) | instskip(SKIP_1) | instid1(VALU_DEP_2)
	v_ldexp_f32 v22, |v22|, v33
	v_ldexp_f32 v9, |v9|, v33
	v_dual_fmaak_f32 v33, s30, v32, 0xbc7a590c :: v_dual_mul_f32 v22, v22, v22
	s_delay_alu instid0(VALU_DEP_1) | instskip(NEXT) | instid1(VALU_DEP_2)
	v_fmac_f32_e32 v22, v9, v9
	v_fmaak_f32 v9, v32, v33, 0x3d29fb3f
	s_delay_alu instid0(VALU_DEP_1) | instskip(NEXT) | instid1(VALU_DEP_3)
	v_fmaak_f32 v9, v32, v9, 0xbd97d4d7
	v_sqrt_f32_e32 v22, v22
	s_delay_alu instid0(VALU_DEP_1) | instskip(NEXT) | instid1(TRANS32_DEP_1)
	v_fmaak_f32 v9, v32, v9, 0x3dd931b2
	v_ldexp_f32 v22, v22, v30
	s_delay_alu instid0(VALU_DEP_2) | instskip(NEXT) | instid1(VALU_DEP_1)
	v_fmaak_f32 v9, v32, v9, 0xbe1160e6
	v_fmaak_f32 v9, v32, v9, 0x3e4cb8bf
	s_delay_alu instid0(VALU_DEP_1) | instskip(NEXT) | instid1(VALU_DEP_1)
	v_fmaak_f32 v9, v32, v9, 0xbeaaaa62
	v_dual_cndmask_b32 v22, 0x7f800000, v22 :: v_dual_mul_f32 v9, v32, v9
	s_delay_alu instid0(VALU_DEP_1) | instskip(NEXT) | instid1(VALU_DEP_2)
	v_cmp_gt_f32_e32 vcc_lo, 0x800000, v22
	v_fmac_f32_e32 v31, v31, v9
	v_cndmask_b32_e64 v28, 0, 32, vcc_lo
	v_cndmask_b32_e64 v32, 0, 0x41b17218, vcc_lo
	s_delay_alu instid0(VALU_DEP_2) | instskip(NEXT) | instid1(VALU_DEP_1)
	v_ldexp_f32 v22, v22, v28
	v_log_f32_e32 v22, v22
	v_nop
	s_delay_alu instid0(TRANS32_DEP_1) | instskip(SKIP_1) | instid1(VALU_DEP_2)
	v_mul_f32_e32 v28, 0x3f317217, v22
	v_cmp_gt_f32_e64 vcc_lo, 0x7f800000, |v22|
	v_fma_f32 v9, 0x3f317217, v22, -v28
	s_delay_alu instid0(VALU_DEP_1) | instskip(NEXT) | instid1(VALU_DEP_1)
	v_fmac_f32_e32 v9, 0x3377d1cf, v22
	v_fmac_f32_e32 v9, 0x3f317217, v22
	s_delay_alu instid0(VALU_DEP_1) | instskip(SKIP_1) | instid1(VALU_DEP_2)
	v_dual_sub_f32 v28, 0x3fc90fdb, v31 :: v_dual_cndmask_b32 v9, v22, v9
	v_cmp_eq_f32_e32 vcc_lo, 0, v11
	v_sub_f32_e32 v9, v9, v32
	s_delay_alu instid0(VALU_DEP_3) | instskip(SKIP_1) | instid1(VALU_DEP_2)
	v_cndmask_b32_e64 v28, v31, v28, s6
	v_cmp_gt_i32_e64 s6, 0, v10
	v_sub_f32_e32 v31, 0x40490fdb, v28
	s_delay_alu instid0(VALU_DEP_2) | instskip(SKIP_1) | instid1(VALU_DEP_1)
	v_cndmask_b32_e64 v30, 0, 0x40490fdb, s6
	v_cmp_gt_f32_e64 s6, 0, v10
	v_cndmask_b32_e64 v10, v28, v31, s6
	v_cndmask_b32_e64 v22, 0x3f490fdb, v38, s6
	s_delay_alu instid0(VALU_DEP_2) | instskip(SKIP_1) | instid1(VALU_DEP_1)
	v_dual_add_f32 v31, 1.0, v9 :: v_dual_cndmask_b32 v10, v10, v30
	s_and_b32 vcc_lo, s9, s7
	v_cndmask_b32_e32 v22, v10, v22, vcc_lo
.LBB198_107:                            ;   in Loop: Header=BB198_4 Depth=1
	s_or_b32 exec_lo, exec_lo, s8
.LBB198_108:                            ;   in Loop: Header=BB198_4 Depth=1
	s_and_not1_saveexec_b32 s6, s31
	s_cbranch_execz .LBB198_114
; %bb.109:                              ;   in Loop: Header=BB198_4 Depth=1
	v_cmp_ngt_f32_e64 s7, 0x20000000, |v10|
	v_cmp_ngt_f32_e64 s8, 0x20000000, |v11|
                                        ; implicit-def: $vgpr9
	s_or_b32 s7, s8, s7
	s_delay_alu instid0(SALU_CYCLE_1) | instskip(NEXT) | instid1(SALU_CYCLE_1)
	s_and_saveexec_b32 s8, s7
	s_xor_b32 s7, exec_lo, s8
; %bb.110:                              ;   in Loop: Header=BB198_4 Depth=1
	v_pk_mul_f32 v[30:31], v[10:11], v[10:11]
	s_delay_alu instid0(VALU_DEP_1)
	v_add_f32_e32 v9, v31, v30
; %bb.111:                              ;   in Loop: Header=BB198_4 Depth=1
	s_and_not1_saveexec_b32 s7, s7
; %bb.112:                              ;   in Loop: Header=BB198_4 Depth=1
	v_pk_mul_f32 v[30:31], v[10:11], 4.0 op_sel_hi:[1,0]
	s_delay_alu instid0(VALU_DEP_1) | instskip(NEXT) | instid1(VALU_DEP_1)
	v_pk_mul_f32 v[30:31], v[30:31], v[30:31]
	v_add_f32_e32 v9, v31, v30
	s_delay_alu instid0(VALU_DEP_1)
	v_mul_f32_e32 v9, 0x3d800000, v9
; %bb.113:                              ;   in Loop: Header=BB198_4 Depth=1
	s_or_b32 exec_lo, exec_lo, s7
	s_delay_alu instid0(VALU_DEP_1) | instskip(SKIP_2) | instid1(VALU_DEP_2)
	v_cmp_gt_f32_e32 vcc_lo, 0x800000, v9
	v_cndmask_b32_e64 v10, 0, 32, vcc_lo
	v_cndmask_b32_e64 v22, 0, 0x41b17218, vcc_lo
	v_ldexp_f32 v9, v9, v10
	s_delay_alu instid0(VALU_DEP_1) | instskip(SKIP_1) | instid1(TRANS32_DEP_1)
	v_log_f32_e32 v9, v9
	v_nop
	v_mul_f32_e32 v10, 0x3f317217, v9
	v_cmp_gt_f32_e64 vcc_lo, 0x7f800000, |v9|
	s_delay_alu instid0(VALU_DEP_2) | instskip(NEXT) | instid1(VALU_DEP_1)
	v_fma_f32 v10, 0x3f317217, v9, -v10
	v_fmac_f32_e32 v10, 0x3377d1cf, v9
	s_delay_alu instid0(VALU_DEP_1) | instskip(NEXT) | instid1(VALU_DEP_1)
	v_fmac_f32_e32 v10, 0x3f317217, v9
	v_cndmask_b32_e32 v9, v9, v10, vcc_lo
	s_delay_alu instid0(VALU_DEP_1)
	v_dual_sub_f32 v31, v9, v22 :: v_dual_mov_b32 v22, 0x7fc00000
.LBB198_114:                            ;   in Loop: Header=BB198_4 Depth=1
	s_or_b32 exec_lo, exec_lo, s6
                                        ; implicit-def: $vgpr33
                                        ; implicit-def: $vgpr9
	s_delay_alu instid0(SALU_CYCLE_1)
	s_mov_b32 s6, exec_lo
	v_cmpx_o_f32_e32 v21, v20
	s_xor_b32 s31, exec_lo, s6
	s_cbranch_execnz .LBB198_120
; %bb.115:                              ;   in Loop: Header=BB198_4 Depth=1
	s_and_not1_saveexec_b32 s6, s31
	s_cbranch_execnz .LBB198_147
.LBB198_116:                            ;   in Loop: Header=BB198_4 Depth=1
	s_or_b32 exec_lo, exec_lo, s6
	s_and_saveexec_b32 s6, s5
	s_delay_alu instid0(SALU_CYCLE_1)
	s_xor_b32 s5, exec_lo, s6
	s_cbranch_execnz .LBB198_152
.LBB198_117:                            ;   in Loop: Header=BB198_4 Depth=1
	s_or_b32 exec_lo, exec_lo, s5
	s_and_saveexec_b32 s5, s4
	s_cbranch_execnz .LBB198_153
.LBB198_118:                            ;   in Loop: Header=BB198_4 Depth=1
	s_or_b32 exec_lo, exec_lo, s5
	s_and_saveexec_b32 s4, s2
	s_cbranch_execnz .LBB198_154
.LBB198_119:                            ;   in Loop: Header=BB198_4 Depth=1
	s_or_b32 exec_lo, exec_lo, s4
	s_and_saveexec_b32 s2, s3
	s_cbranch_execz .LBB198_3
	s_branch .LBB198_155
.LBB198_120:                            ;   in Loop: Header=BB198_4 Depth=1
	v_cmp_lt_f32_e64 s6, |v20|, |v21|
                                        ; implicit-def: $vgpr33
                                        ; implicit-def: $vgpr9
	s_mov_b32 s8, exec_lo
	v_cndmask_b32_e64 v10, v21, v20, s6
	s_delay_alu instid0(VALU_DEP_1)
	v_cmpx_nlt_f32_e64 0x77f684df, |v10|
	s_xor_b32 s33, exec_lo, s8
	s_cbranch_execz .LBB198_144
; %bb.121:                              ;   in Loop: Header=BB198_4 Depth=1
	v_cndmask_b32_e64 v9, v20, v21, s6
	v_and_b32_e32 v34, 0x7fffffff, v10
                                        ; implicit-def: $vgpr33
	s_mov_b32 s7, exec_lo
	s_delay_alu instid0(VALU_DEP_2) | instskip(NEXT) | instid1(VALU_DEP_1)
	v_and_b32_e32 v35, 0x7fffffff, v9
                                        ; implicit-def: $vgpr9
	v_cmpx_neq_f32_e32 1.0, v35
	s_xor_b32 s34, exec_lo, s7
	s_cbranch_execz .LBB198_137
; %bb.122:                              ;   in Loop: Header=BB198_4 Depth=1
	v_dual_max_num_f32 v9, v34, v34 :: v_dual_max_num_f32 v10, v35, v35
                                        ; implicit-def: $vgpr33
	s_delay_alu instid0(VALU_DEP_1) | instskip(NEXT) | instid1(VALU_DEP_1)
	v_dual_min_num_f32 v28, v10, v9 :: v_dual_max_num_f32 v9, v10, v9
	v_cmp_ngt_f32_e32 vcc_lo, 0x358637bd, v28
	s_delay_alu instid0(VALU_DEP_2) | instskip(SKIP_1) | instid1(SALU_CYCLE_1)
	v_cmp_nlt_f32_e64 s7, 0x49742400, v9
                                        ; implicit-def: $vgpr9
	s_and_b32 s7, s7, vcc_lo
	s_and_saveexec_b32 s8, s7
	s_delay_alu instid0(SALU_CYCLE_1)
	s_xor_b32 s35, exec_lo, s8
	s_cbranch_execz .LBB198_134
; %bb.123:                              ;   in Loop: Header=BB198_4 Depth=1
                                        ; implicit-def: $vgpr33
                                        ; implicit-def: $vgpr9
	s_mov_b32 s7, exec_lo
	v_cmpx_le_f32_e32 1.0, v35
	s_xor_b32 s8, exec_lo, s7
	s_cbranch_execz .LBB198_125
; %bb.124:                              ;   in Loop: Header=BB198_4 Depth=1
	v_pk_add_f32 v[32:33], v[34:35], v[6:7] op_sel:[1,0]
	v_mov_b32_e32 v36, v34
	v_cmp_class_f32_e64 s9, v20, 0x204
	s_delay_alu instid0(VALU_DEP_3) | instskip(SKIP_1) | instid1(VALU_DEP_1)
	v_dual_mov_b32 v35, v32 :: v_dual_mov_b32 v37, v33
	v_mul_f32_e32 v10, v32, v33
	v_pk_fma_f32 v[32:33], v[34:35], v[36:37], v[10:11] op_sel_hi:[1,1,0]
	s_delay_alu instid0(VALU_DEP_1) | instskip(SKIP_1) | instid1(VALU_DEP_2)
	v_add_f32_e32 v35, 1.0, v32
	v_cmp_neq_f32_e64 s7, -1.0, v32
	v_add_f32_e32 v33, -1.0, v35
	s_delay_alu instid0(VALU_DEP_1) | instskip(SKIP_2) | instid1(VALU_DEP_1)
	v_mov_b32_e32 v34, v33
	v_cvt_f64_f32_e32 v[36:37], v35
	v_frexp_mant_f32_e32 v10, v35
	v_cmp_gt_f32_e32 vcc_lo, 0x3f2aaaab, v10
	s_delay_alu instid0(VALU_DEP_3) | instskip(NEXT) | instid1(VALU_DEP_1)
	v_frexp_exp_i32_f64_e32 v9, v[36:37]
	v_subrev_co_ci_u32_e64 v9, null, 0, v9, vcc_lo
	v_cmp_neq_f32_e32 vcc_lo, 0x7f800000, v32
	s_delay_alu instid0(VALU_DEP_2) | instskip(SKIP_1) | instid1(VALU_DEP_2)
	v_sub_nc_u32_e32 v10, 0, v9
	v_pk_add_f32 v[36:37], v[32:33], v[34:35] neg_lo:[0,1] neg_hi:[0,1]
	v_ldexp_f32 v28, v35, v10
	s_delay_alu instid0(VALU_DEP_1) | instskip(NEXT) | instid1(VALU_DEP_1)
	v_dual_add_f32 v30, 1.0, v37 :: v_dual_add_f32 v33, 1.0, v28
	v_dual_add_f32 v30, v36, v30 :: v_dual_add_f32 v34, -1.0, v33
	v_add_f32_e32 v39, -1.0, v28
	s_delay_alu instid0(VALU_DEP_2) | instskip(NEXT) | instid1(VALU_DEP_2)
	v_ldexp_f32 v10, v30, v10
	v_dual_sub_f32 v30, v28, v34 :: v_dual_add_f32 v34, 1.0, v39
	s_delay_alu instid0(VALU_DEP_1) | instskip(NEXT) | instid1(VALU_DEP_1)
	v_add_f32_e32 v30, v10, v30
	v_add_f32_e32 v42, v33, v30
	s_delay_alu instid0(VALU_DEP_1) | instskip(NEXT) | instid1(VALU_DEP_1)
	v_dual_sub_f32 v28, v28, v34 :: v_dual_sub_f32 v33, v42, v33
	v_add_f32_e32 v10, v10, v28
	v_rcp_f32_e32 v28, v42
	s_delay_alu instid0(VALU_DEP_1)
	v_dual_sub_f32 v30, v30, v33 :: v_dual_add_f32 v35, v39, v10
	s_delay_alu instid0(TRANS32_DEP_1) | instid1(VALU_DEP_1)
	v_mul_f32_e32 v43, v35, v28
	s_delay_alu instid0(VALU_DEP_1) | instskip(SKIP_1) | instid1(VALU_DEP_1)
	v_mul_f32_e32 v36, v42, v43
	v_sub_f32_e32 v33, v35, v39
	v_dual_fma_f32 v40, v43, v42, -v36 :: v_dual_sub_f32 v10, v10, v33
	s_delay_alu instid0(VALU_DEP_1) | instskip(NEXT) | instid1(VALU_DEP_1)
	v_fmac_f32_e32 v40, v43, v30
	v_add_f32_e32 v34, v36, v40
	s_delay_alu instid0(VALU_DEP_1) | instskip(NEXT) | instid1(VALU_DEP_1)
	v_dual_sub_f32 v37, v35, v34 :: v_dual_mov_b32 v41, v34
	v_pk_add_f32 v[34:35], v[34:35], v[36:37] neg_lo:[0,1] neg_hi:[0,1]
	s_delay_alu instid0(VALU_DEP_1) | instskip(NEXT) | instid1(VALU_DEP_1)
	v_pk_add_f32 v[34:35], v[34:35], v[40:41] neg_lo:[0,1] neg_hi:[0,1]
	v_add_f32_e32 v10, v10, v35
	s_delay_alu instid0(VALU_DEP_1) | instskip(NEXT) | instid1(VALU_DEP_1)
	v_add_f32_e32 v10, v34, v10
	v_add_f32_e32 v35, v37, v10
	s_delay_alu instid0(VALU_DEP_1) | instskip(NEXT) | instid1(VALU_DEP_1)
	v_mul_f32_e32 v33, v28, v35
	v_mul_f32_e32 v40, v42, v33
	s_delay_alu instid0(VALU_DEP_1) | instskip(NEXT) | instid1(VALU_DEP_1)
	v_fma_f32 v36, v33, v42, -v40
	v_fmac_f32_e32 v36, v33, v30
	v_sub_f32_e32 v30, v37, v35
	s_delay_alu instid0(VALU_DEP_1) | instskip(SKIP_1) | instid1(VALU_DEP_2)
	v_dual_add_f32 v10, v10, v30 :: v_dual_add_f32 v34, v40, v36
	v_add_f32_e32 v30, v43, v33
	v_dual_sub_f32 v41, v35, v34 :: v_dual_mov_b32 v37, v34
	s_delay_alu instid0(VALU_DEP_1) | instskip(NEXT) | instid1(VALU_DEP_1)
	v_pk_add_f32 v[34:35], v[34:35], v[40:41] neg_lo:[0,1] neg_hi:[0,1]
	v_pk_add_f32 v[34:35], v[34:35], v[36:37] neg_lo:[0,1] neg_hi:[0,1]
	s_delay_alu instid0(VALU_DEP_1) | instskip(NEXT) | instid1(VALU_DEP_1)
	v_add_f32_e32 v10, v10, v35
	v_add_f32_e32 v10, v34, v10
	s_delay_alu instid0(VALU_DEP_1) | instskip(NEXT) | instid1(VALU_DEP_1)
	v_dual_sub_f32 v34, v30, v43 :: v_dual_add_f32 v10, v41, v10
	v_sub_f32_e32 v33, v33, v34
	v_cvt_f32_i32_e32 v34, v9
	s_delay_alu instid0(VALU_DEP_3) | instskip(NEXT) | instid1(VALU_DEP_1)
	v_mul_f32_e32 v10, v28, v10
	v_add_f32_e32 v10, v33, v10
	s_delay_alu instid0(VALU_DEP_1) | instskip(NEXT) | instid1(VALU_DEP_1)
	v_add_f32_e32 v28, v30, v10
	v_mul_f32_e32 v33, v28, v28
	s_delay_alu instid0(VALU_DEP_1) | instskip(NEXT) | instid1(VALU_DEP_1)
	v_fmaak_f32 v36, s29, v33, 0x3ecc95a3
	v_fmaak_f32 v9, v33, v36, 0x3f2aaada
	v_mul_f32_e32 v35, v28, v33
	v_ldexp_f32 v41, v28, 1
	s_delay_alu instid0(VALU_DEP_2) | instskip(SKIP_1) | instid1(VALU_DEP_2)
	v_pk_mul_f32 v[36:37], v[34:35], v[8:9]
	v_sub_f32_e32 v9, v28, v30
	v_fma_f32 v40, 0x3f317218, v34, -v36
	s_delay_alu instid0(VALU_DEP_2) | instskip(NEXT) | instid1(VALU_DEP_2)
	v_dual_sub_f32 v9, v10, v9 :: v_dual_mov_b32 v42, v36
	v_fmac_f32_e32 v40, 0xb102e308, v34
	s_delay_alu instid0(VALU_DEP_1) | instskip(NEXT) | instid1(VALU_DEP_1)
	v_pk_add_f32 v[34:35], v[36:37], v[40:41]
	v_dual_sub_f32 v10, v35, v41 :: v_dual_mov_b32 v41, v34
	s_delay_alu instid0(VALU_DEP_1) | instskip(SKIP_2) | instid1(VALU_DEP_2)
	v_dual_mov_b32 v50, v35 :: v_dual_sub_f32 v10, v37, v10
	v_ldexp_f32 v9, v9, 1
	v_pk_add_f32 v[36:37], v[34:35], v[36:37] neg_lo:[0,1] neg_hi:[0,1]
	v_add_f32_e32 v43, v9, v10
	v_max_num_f32_e64 v9, |v21|, |v21|
	v_max_num_f32_e64 v10, |v20|, |v20|
	s_delay_alu instid0(VALU_DEP_3) | instskip(NEXT) | instid1(VALU_DEP_1)
	v_pk_add_f32 v[44:45], v[34:35], v[42:43]
	v_dual_max_num_f32 v28, v10, v9 :: v_dual_mov_b32 v37, v45
	s_delay_alu instid0(VALU_DEP_1) | instskip(SKIP_1) | instid1(VALU_DEP_3)
	v_frexp_exp_i32_f32_e32 v30, v28
	v_frexp_mant_f32_e32 v28, v28
	v_pk_add_f32 v[46:47], v[40:41], v[36:37]
	v_min_num_f32_e32 v9, v10, v9
	v_pk_add_f32 v[36:37], v[40:41], v[36:37] neg_lo:[0,1] neg_hi:[0,1]
	s_delay_alu instid0(VALU_DEP_4) | instskip(NEXT) | instid1(VALU_DEP_3)
	v_rcp_f32_e32 v28, v28
	v_mov_b32_e32 v10, v47
	s_delay_alu instid0(VALU_DEP_3) | instskip(SKIP_2) | instid1(VALU_DEP_4)
	v_frexp_exp_i32_f32_e32 v33, v9
	v_frexp_mant_f32_e32 v39, v9
	v_mov_b32_e32 v37, v47
	v_pk_add_f32 v[48:49], v[10:11], v[34:35] neg_lo:[0,1] neg_hi:[0,1]
	s_delay_alu instid0(VALU_DEP_4) | instskip(SKIP_1) | instid1(VALU_DEP_3)
	v_sub_nc_u32_e32 v30, v33, v30
	v_dual_mov_b32 v46, v45 :: v_dual_mov_b32 v35, v34
	v_dual_mov_b32 v34, v43 :: v_dual_mov_b32 v51, v48
	v_dual_mov_b32 v9, v48 :: v_dual_mul_f32 v28, v39, v28
	s_delay_alu instid0(VALU_DEP_2) | instskip(NEXT) | instid1(VALU_DEP_2)
	v_pk_add_f32 v[40:41], v[46:47], v[50:51] neg_lo:[0,1] neg_hi:[0,1]
	v_pk_add_f32 v[42:43], v[44:45], v[8:9] neg_lo:[0,1] neg_hi:[0,1]
	s_delay_alu instid0(VALU_DEP_3) | instskip(SKIP_1) | instid1(VALU_DEP_4)
	v_ldexp_f32 v9, v28, v30
	v_mov_b32_e32 v42, v36
	v_pk_add_f32 v[34:35], v[34:35], v[40:41] neg_lo:[0,1] neg_hi:[0,1]
	s_delay_alu instid0(VALU_DEP_3) | instskip(NEXT) | instid1(VALU_DEP_2)
	v_mul_f32_e32 v30, v9, v9
	v_pk_add_f32 v[40:41], v[42:43], v[34:35]
	s_delay_alu instid0(VALU_DEP_1) | instskip(NEXT) | instid1(VALU_DEP_1)
	v_dual_fmaak_f32 v33, s30, v30, 0xbc7a590c :: v_dual_mov_b32 v28, v41
	v_pk_add_f32 v[42:43], v[40:41], v[28:29]
	s_delay_alu instid0(VALU_DEP_2) | instskip(NEXT) | instid1(VALU_DEP_2)
	v_fmaak_f32 v28, v30, v33, 0x3d29fb3f
	v_pk_add_f32 v[44:45], v[10:11], v[42:43]
	s_delay_alu instid0(VALU_DEP_1) | instskip(NEXT) | instid1(VALU_DEP_1)
	v_dual_fmaak_f32 v10, v30, v28, 0xbd97d4d7 :: v_dual_mov_b32 v41, v44
	v_fmaak_f32 v10, v30, v10, 0x3dd931b2
	s_delay_alu instid0(VALU_DEP_2) | instskip(NEXT) | instid1(VALU_DEP_2)
	v_pk_add_f32 v[46:47], v[40:41], v[36:37] neg_lo:[0,1] neg_hi:[0,1]
	v_fmaak_f32 v10, v30, v10, 0xbe1160e6
	s_delay_alu instid0(VALU_DEP_2) | instskip(NEXT) | instid1(VALU_DEP_2)
	v_dual_mov_b32 v35, v42 :: v_dual_sub_f32 v28, v40, v46
	v_fmaak_f32 v10, v30, v10, 0x3e4cb8bf
	s_delay_alu instid0(VALU_DEP_2) | instskip(NEXT) | instid1(VALU_DEP_2)
	v_pk_add_f32 v[34:35], v[34:35], v[46:47] neg_lo:[0,1] neg_hi:[0,1]
	v_fmaak_f32 v10, v30, v10, 0xbeaaaa62
	s_delay_alu instid0(VALU_DEP_1) | instskip(NEXT) | instid1(VALU_DEP_1)
	v_dual_sub_f32 v28, v36, v28 :: v_dual_mul_f32 v10, v30, v10
	v_dual_add_f32 v28, v34, v28 :: v_dual_fmac_f32 v9, v9, v10
	s_delay_alu instid0(VALU_DEP_1) | instskip(NEXT) | instid1(VALU_DEP_1)
	v_add_f32_e32 v28, v28, v35
                                        ; implicit-def: $vgpr34_vgpr35
	v_add_f32_e32 v10, v44, v28
	s_delay_alu instid0(VALU_DEP_3) | instskip(NEXT) | instid1(VALU_DEP_1)
	v_sub_f32_e32 v28, 0x3fc90fdb, v9
	v_cndmask_b32_e64 v9, v9, v28, s6
	s_delay_alu instid0(VALU_DEP_3) | instskip(SKIP_1) | instid1(VALU_DEP_3)
	v_cndmask_b32_e32 v10, 0x7f800000, v10, vcc_lo
	v_cmp_gt_i32_e32 vcc_lo, 0, v20
	v_sub_f32_e32 v30, 0x40490fdb, v9
	v_cndmask_b32_e64 v28, 0, 0x40490fdb, vcc_lo
	v_cmp_ngt_f32_e32 vcc_lo, -1.0, v32
	v_cndmask_b32_e32 v10, 0x7fc00000, v10, vcc_lo
	v_cmp_gt_f32_e32 vcc_lo, 0, v20
	s_delay_alu instid0(VALU_DEP_2)
	v_cndmask_b32_e64 v10, 0xff800000, v10, s7
	v_cndmask_b32_e32 v9, v9, v30, vcc_lo
	v_cndmask_b32_e32 v20, 0x3f490fdb, v38, vcc_lo
	v_cmp_gt_f32_e64 vcc_lo, 0x33800000, |v32|
	v_cmp_class_f32_e64 s7, v21, 0x204
	v_cndmask_b32_e32 v10, v10, v32, vcc_lo
	v_cmp_eq_f32_e32 vcc_lo, 0, v21
	s_delay_alu instid0(VALU_DEP_2) | instskip(SKIP_1) | instid1(VALU_DEP_1)
	v_dual_mul_f32 v33, 0.5, v10 :: v_dual_cndmask_b32 v9, v9, v28, vcc_lo
	s_and_b32 vcc_lo, s7, s9
	v_cndmask_b32_e32 v9, v9, v20, vcc_lo
.LBB198_125:                            ;   in Loop: Header=BB198_4 Depth=1
	s_and_not1_saveexec_b32 s36, s8
	s_cbranch_execz .LBB198_133
; %bb.126:                              ;   in Loop: Header=BB198_4 Depth=1
	v_pk_mul_f32 v[32:33], v[34:35], v[34:35]
                                        ; implicit-def: $vgpr9
	s_mov_b32 s7, exec_lo
	s_delay_alu instid0(VALU_DEP_1) | instskip(NEXT) | instid1(VALU_DEP_1)
	v_add_f32_e32 v10, v33, v32
                                        ; implicit-def: $vgpr33
	v_cmpx_ge_f32_e32 0x3f333333, v10
	s_xor_b32 s8, exec_lo, s7
	s_cbranch_execz .LBB198_128
; %bb.127:                              ;   in Loop: Header=BB198_4 Depth=1
	v_max_num_f32_e64 v9, |v21|, |v21|
	v_max_num_f32_e64 v28, |v20|, |v20|
	v_cmp_gt_f32_e32 vcc_lo, 0x800000, v10
	v_cmp_gt_i32_e64 s7, 0, v20
	v_cmp_class_f32_e64 s9, v20, 0x204
	v_cmp_class_f32_e64 s10, v21, 0x204
	v_dual_max_num_f32 v30, v28, v9 :: v_dual_min_num_f32 v9, v28, v9
	v_cndmask_b32_e64 v33, 0, 0x41b17218, vcc_lo
                                        ; implicit-def: $vgpr34
	s_delay_alu instid0(VALU_DEP_2) | instskip(SKIP_1) | instid1(VALU_DEP_2)
	v_frexp_mant_f32_e32 v32, v30
	v_frexp_exp_i32_f32_e32 v28, v30
	v_rcp_f32_e32 v30, v32
	v_nop
	v_frexp_exp_i32_f32_e32 v32, v9
	v_frexp_mant_f32_e32 v9, v9
	s_delay_alu instid0(TRANS32_DEP_1) | instid1(VALU_DEP_1)
	v_dual_mul_f32 v9, v9, v30 :: v_dual_sub_nc_u32 v28, v32, v28
	v_cndmask_b32_e64 v32, 0, 32, vcc_lo
	s_delay_alu instid0(VALU_DEP_2) | instskip(NEXT) | instid1(VALU_DEP_2)
	v_ldexp_f32 v9, v9, v28
	v_ldexp_f32 v10, v10, v32
	s_delay_alu instid0(VALU_DEP_2) | instskip(NEXT) | instid1(VALU_DEP_2)
	v_mul_f32_e32 v28, v9, v9
	v_log_f32_e32 v10, v10
	s_delay_alu instid0(VALU_DEP_1) | instskip(NEXT) | instid1(TRANS32_DEP_1)
	v_fmaak_f32 v30, s30, v28, 0xbc7a590c
	v_cmp_gt_f32_e64 vcc_lo, 0x7f800000, |v10|
	s_delay_alu instid0(VALU_DEP_2) | instskip(NEXT) | instid1(VALU_DEP_1)
	v_fmaak_f32 v30, v28, v30, 0x3d29fb3f
	v_fmaak_f32 v30, v28, v30, 0xbd97d4d7
	s_delay_alu instid0(VALU_DEP_1) | instskip(NEXT) | instid1(VALU_DEP_1)
	v_fmaak_f32 v30, v28, v30, 0x3dd931b2
	v_fmaak_f32 v30, v28, v30, 0xbe1160e6
	s_delay_alu instid0(VALU_DEP_1) | instskip(NEXT) | instid1(VALU_DEP_1)
	;; [unrolled: 3-line block ×3, first 2 shown]
	v_mul_f32_e32 v28, v28, v30
	v_dual_mul_f32 v30, 0x3f317217, v10 :: v_dual_fmac_f32 v9, v9, v28
	s_delay_alu instid0(VALU_DEP_1) | instskip(NEXT) | instid1(VALU_DEP_2)
	v_fma_f32 v28, 0x3f317217, v10, -v30
	v_sub_f32_e32 v30, 0x3fc90fdb, v9
	s_delay_alu instid0(VALU_DEP_2) | instskip(NEXT) | instid1(VALU_DEP_2)
	v_fmac_f32_e32 v28, 0x3377d1cf, v10
	v_cndmask_b32_e64 v9, v9, v30, s6
	s_delay_alu instid0(VALU_DEP_2) | instskip(SKIP_2) | instid1(VALU_DEP_4)
	v_fmac_f32_e32 v28, 0x3f317217, v10
	v_cndmask_b32_e64 v30, 0, 0x40490fdb, s7
	v_cmp_eq_f32_e64 s7, 0, v21
	v_sub_f32_e32 v32, 0x40490fdb, v9
	s_delay_alu instid0(VALU_DEP_4) | instskip(SKIP_1) | instid1(VALU_DEP_3)
	v_cndmask_b32_e32 v10, v10, v28, vcc_lo
	v_cmp_gt_f32_e32 vcc_lo, 0, v20
	v_cndmask_b32_e32 v9, v9, v32, vcc_lo
	v_cndmask_b32_e32 v20, 0x3f490fdb, v38, vcc_lo
	s_and_b32 vcc_lo, s10, s9
	s_delay_alu instid0(VALU_DEP_2) | instskip(NEXT) | instid1(VALU_DEP_1)
	v_dual_cndmask_b32 v9, v9, v30, s7 :: v_dual_sub_f32 v10, v10, v33
	v_dual_cndmask_b32 v9, v9, v20, vcc_lo :: v_dual_mul_f32 v33, 0.5, v10
.LBB198_128:                            ;   in Loop: Header=BB198_4 Depth=1
	s_and_not1_saveexec_b32 s37, s8
	s_cbranch_execz .LBB198_132
; %bb.129:                              ;   in Loop: Header=BB198_4 Depth=1
	v_and_b32_e32 v33, 0x7fff0000, v34
	v_and_b32_e32 v32, 0x7fff0000, v35
	s_mov_b32 s38, 0
	s_delay_alu instid0(VALU_DEP_1) | instskip(SKIP_2) | instid1(VALU_DEP_2)
	v_dual_add_f32 v39, v33, v33 :: v_dual_add_f32 v10, v32, v32
	v_pk_add_f32 v[34:35], v[34:35], v[32:33] op_sel:[1,0] op_sel_hi:[0,1] neg_lo:[0,1] neg_hi:[0,1]
	v_pk_mul_f32 v[32:33], v[32:33], v[32:33]
	v_and_b32_e32 v37, 0xffff0000, v35
	s_delay_alu instid0(VALU_DEP_3) | instskip(NEXT) | instid1(VALU_DEP_1)
	v_and_b32_e32 v36, 0xffff0000, v34
	v_dual_add_f32 v42, v37, v37 :: v_dual_add_f32 v41, v36, v36
	v_pk_add_f32 v[34:35], v[34:35], v[36:37] neg_lo:[0,1] neg_hi:[0,1]
	v_dual_mul_f32 v9, v10, v36 :: v_dual_mul_f32 v30, v39, v37
	v_pk_mul_f32 v[36:37], v[36:37], v[36:37]
	s_delay_alu instid0(VALU_DEP_3)
	v_dual_mul_f32 v28, v10, v34 :: v_dual_mul_f32 v40, v39, v35
	v_dual_mul_f32 v10, v41, v34 :: v_dual_mul_f32 v39, v42, v35
	v_pk_mul_f32 v[34:35], v[34:35], v[34:35]
.LBB198_130:                            ;   Parent Loop BB198_4 Depth=1
                                        ; =>  This Inner Loop Header: Depth=2
	v_cmp_nlt_f32_e32 vcc_lo, v32, v33
	v_dual_cndmask_b32 v41, v32, v33 :: v_dual_cndmask_b32 v32, v33, v32
	s_delay_alu instid0(VALU_DEP_1) | instskip(NEXT) | instid1(VALU_DEP_1)
	v_cmp_nlt_f32_e64 s7, v41, v9
	v_cndmask_b32_e64 v42, v41, v9, s7
	v_cndmask_b32_e64 v33, v9, v41, s7
	s_and_b32 s7, vcc_lo, s7
	s_delay_alu instid0(VALU_DEP_2) | instskip(NEXT) | instid1(VALU_DEP_1)
	v_cmp_nlt_f32_e64 s8, v42, v30
	v_cndmask_b32_e64 v43, v42, v30, s8
	s_delay_alu instid0(VALU_DEP_1) | instskip(NEXT) | instid1(VALU_DEP_1)
	v_cmp_nlt_f32_e64 s9, v43, v36
	v_cndmask_b32_e64 v41, v43, v36, s9
	s_and_b32 s39, s8, s9
	s_delay_alu instid0(VALU_DEP_1) | instskip(SKIP_1) | instid1(VALU_DEP_2)
	v_cmp_nlt_f32_e64 s10, v41, v37
	v_dual_cndmask_b32 v9, v30, v42, s8 :: v_dual_cndmask_b32 v30, v36, v43, s9
	v_cndmask_b32_e64 v42, v41, v37, s10
	v_cndmask_b32_e64 v36, v37, v41, s10
	s_delay_alu instid0(VALU_DEP_2) | instskip(NEXT) | instid1(VALU_DEP_1)
	v_cmp_nlt_f32_e64 s11, v42, v28
	v_cndmask_b32_e64 v44, v42, v28, s11
	s_and_b32 s10, s10, s11
	s_delay_alu instid0(VALU_DEP_1) | instskip(NEXT) | instid1(VALU_DEP_1)
	v_cmp_nlt_f32_e64 s12, v44, v40
	v_cndmask_b32_e64 v45, v44, v40, s12
	s_and_b32 s10, s10, s12
	s_delay_alu instid0(VALU_DEP_1) | instskip(NEXT) | instid1(VALU_DEP_1)
	v_cmp_nlt_f32_e64 s13, v45, v10
	v_cndmask_b32_e64 v43, v45, v10, s13
	v_cndmask_b32_e64 v37, v28, v42, s11
	;; [unrolled: 1-line block ×3, first 2 shown]
	s_and_b32 s11, s10, s13
	v_cndmask_b32_e64 v40, v10, v45, s13
	v_cmp_nlt_f32_e64 s8, v43, v39
	s_delay_alu instid0(VALU_DEP_1) | instskip(SKIP_2) | instid1(VALU_DEP_2)
	v_cndmask_b32_e64 v41, v43, v39, s8
	v_cndmask_b32_e64 v10, v39, v43, s8
	s_and_b32 s8, s11, s8
	v_cmp_nlt_f32_e64 s9, v41, v34
	s_delay_alu instid0(VALU_DEP_1) | instskip(SKIP_1) | instid1(VALU_DEP_1)
	v_dual_cndmask_b32 v42, v41, v34, s9 :: v_dual_cndmask_b32 v39, v34, v41, s9
	s_and_b32 s8, s8, s9
	v_cmp_nlt_f32_e64 s10, v42, v35
	s_and_b32 s8, s8, s10
	v_dual_cndmask_b32 v34, v35, v42, s10 :: v_dual_cndmask_b32 v35, v42, v35, s10
	s_and_b32 s8, s8, s39
	s_delay_alu instid0(SALU_CYCLE_1) | instskip(NEXT) | instid1(SALU_CYCLE_1)
	s_and_b32 s7, s8, s7
	s_and_b32 s7, exec_lo, s7
	s_delay_alu instid0(SALU_CYCLE_1) | instskip(NEXT) | instid1(SALU_CYCLE_1)
	s_or_b32 s38, s7, s38
	s_and_not1_b32 exec_lo, exec_lo, s38
	s_cbranch_execnz .LBB198_130
; %bb.131:                              ;   in Loop: Header=BB198_4 Depth=1
	s_or_b32 exec_lo, exec_lo, s38
	v_add_f32_e32 v32, -1.0, v32
	v_cmp_class_f32_e64 s8, v20, 0x204
	s_delay_alu instid0(VALU_DEP_2) | instskip(NEXT) | instid1(VALU_DEP_1)
	v_add_f32_e32 v32, v32, v33
	v_add_f32_e32 v9, v32, v9
	s_delay_alu instid0(VALU_DEP_1) | instskip(NEXT) | instid1(VALU_DEP_1)
	v_add_f32_e32 v9, v9, v30
	v_add_f32_e32 v9, v9, v36
	s_delay_alu instid0(VALU_DEP_1) | instskip(NEXT) | instid1(VALU_DEP_1)
	;; [unrolled: 3-line block ×5, first 2 shown]
	v_add_f32_e32 v32, v35, v9
	v_add_f32_e32 v35, 1.0, v32
	s_delay_alu instid0(VALU_DEP_1) | instskip(SKIP_2) | instid1(VALU_DEP_2)
	v_cvt_f64_f32_e32 v[36:37], v35
	v_frexp_mant_f32_e32 v10, v35
	v_add_f32_e32 v33, -1.0, v35
	v_cmp_gt_f32_e32 vcc_lo, 0x3f2aaaab, v10
	s_delay_alu instid0(VALU_DEP_2) | instskip(SKIP_2) | instid1(VALU_DEP_3)
	v_mov_b32_e32 v34, v33
	v_cmp_neq_f32_e64 s7, -1.0, v32
	v_frexp_exp_i32_f64_e32 v9, v[36:37]
	v_pk_add_f32 v[36:37], v[32:33], v[34:35] neg_lo:[0,1] neg_hi:[0,1]
	s_delay_alu instid0(VALU_DEP_1) | instskip(NEXT) | instid1(VALU_DEP_1)
	v_add_f32_e32 v30, 1.0, v37
	v_add_f32_e32 v30, v36, v30
	s_delay_alu instid0(VALU_DEP_4) | instskip(SKIP_1) | instid1(VALU_DEP_2)
	v_subrev_co_ci_u32_e64 v9, null, 0, v9, vcc_lo
	v_cmp_neq_f32_e32 vcc_lo, 0x7f800000, v32
	v_sub_nc_u32_e32 v10, 0, v9
	s_delay_alu instid0(VALU_DEP_1) | instskip(SKIP_1) | instid1(VALU_DEP_2)
	v_ldexp_f32 v28, v35, v10
	v_ldexp_f32 v10, v30, v10
	v_dual_add_f32 v33, 1.0, v28 :: v_dual_add_f32 v39, -1.0, v28
	s_delay_alu instid0(VALU_DEP_1) | instskip(NEXT) | instid1(VALU_DEP_1)
	v_add_f32_e32 v34, -1.0, v33
	v_dual_sub_f32 v30, v28, v34 :: v_dual_add_f32 v34, 1.0, v39
	s_delay_alu instid0(VALU_DEP_1) | instskip(NEXT) | instid1(VALU_DEP_1)
	v_add_f32_e32 v30, v10, v30
	v_add_f32_e32 v42, v33, v30
	s_delay_alu instid0(VALU_DEP_1) | instskip(NEXT) | instid1(VALU_DEP_1)
	v_dual_sub_f32 v28, v28, v34 :: v_dual_sub_f32 v33, v42, v33
	v_add_f32_e32 v10, v10, v28
	v_rcp_f32_e32 v28, v42
	s_delay_alu instid0(VALU_DEP_1)
	v_dual_sub_f32 v30, v30, v33 :: v_dual_add_f32 v35, v39, v10
	s_delay_alu instid0(TRANS32_DEP_1) | instid1(VALU_DEP_1)
	v_mul_f32_e32 v43, v35, v28
	s_delay_alu instid0(VALU_DEP_1) | instskip(SKIP_1) | instid1(VALU_DEP_1)
	v_mul_f32_e32 v36, v42, v43
	v_sub_f32_e32 v33, v35, v39
	v_dual_fma_f32 v40, v43, v42, -v36 :: v_dual_sub_f32 v10, v10, v33
	s_delay_alu instid0(VALU_DEP_1) | instskip(NEXT) | instid1(VALU_DEP_1)
	v_fmac_f32_e32 v40, v43, v30
	v_add_f32_e32 v34, v36, v40
	s_delay_alu instid0(VALU_DEP_1) | instskip(NEXT) | instid1(VALU_DEP_1)
	v_dual_sub_f32 v37, v35, v34 :: v_dual_mov_b32 v41, v34
	v_pk_add_f32 v[34:35], v[34:35], v[36:37] neg_lo:[0,1] neg_hi:[0,1]
	s_delay_alu instid0(VALU_DEP_1) | instskip(NEXT) | instid1(VALU_DEP_1)
	v_pk_add_f32 v[34:35], v[34:35], v[40:41] neg_lo:[0,1] neg_hi:[0,1]
	v_add_f32_e32 v10, v10, v35
	s_delay_alu instid0(VALU_DEP_1) | instskip(NEXT) | instid1(VALU_DEP_1)
	v_add_f32_e32 v10, v34, v10
	v_add_f32_e32 v35, v37, v10
	s_delay_alu instid0(VALU_DEP_1) | instskip(NEXT) | instid1(VALU_DEP_1)
	v_mul_f32_e32 v33, v28, v35
	v_mul_f32_e32 v40, v42, v33
	s_delay_alu instid0(VALU_DEP_1) | instskip(NEXT) | instid1(VALU_DEP_1)
	v_fma_f32 v36, v33, v42, -v40
	v_fmac_f32_e32 v36, v33, v30
	v_sub_f32_e32 v30, v37, v35
	s_delay_alu instid0(VALU_DEP_1) | instskip(SKIP_1) | instid1(VALU_DEP_2)
	v_dual_add_f32 v10, v10, v30 :: v_dual_add_f32 v34, v40, v36
	v_add_f32_e32 v30, v43, v33
	v_dual_sub_f32 v41, v35, v34 :: v_dual_mov_b32 v37, v34
	s_delay_alu instid0(VALU_DEP_1) | instskip(NEXT) | instid1(VALU_DEP_1)
	v_pk_add_f32 v[34:35], v[34:35], v[40:41] neg_lo:[0,1] neg_hi:[0,1]
	v_pk_add_f32 v[34:35], v[34:35], v[36:37] neg_lo:[0,1] neg_hi:[0,1]
	s_delay_alu instid0(VALU_DEP_1) | instskip(NEXT) | instid1(VALU_DEP_1)
	v_add_f32_e32 v10, v10, v35
	v_add_f32_e32 v10, v34, v10
	s_delay_alu instid0(VALU_DEP_1) | instskip(NEXT) | instid1(VALU_DEP_1)
	v_dual_sub_f32 v34, v30, v43 :: v_dual_add_f32 v10, v41, v10
	v_sub_f32_e32 v33, v33, v34
	v_cvt_f32_i32_e32 v34, v9
	s_delay_alu instid0(VALU_DEP_3) | instskip(NEXT) | instid1(VALU_DEP_1)
	v_mul_f32_e32 v10, v28, v10
	v_add_f32_e32 v10, v33, v10
	s_delay_alu instid0(VALU_DEP_1) | instskip(NEXT) | instid1(VALU_DEP_1)
	v_add_f32_e32 v28, v30, v10
	v_mul_f32_e32 v33, v28, v28
	s_delay_alu instid0(VALU_DEP_1) | instskip(NEXT) | instid1(VALU_DEP_1)
	v_fmaak_f32 v36, s29, v33, 0x3ecc95a3
	v_fmaak_f32 v9, v33, v36, 0x3f2aaada
	v_mul_f32_e32 v35, v28, v33
	v_ldexp_f32 v41, v28, 1
	s_delay_alu instid0(VALU_DEP_2) | instskip(SKIP_1) | instid1(VALU_DEP_2)
	v_pk_mul_f32 v[36:37], v[34:35], v[8:9]
	v_sub_f32_e32 v9, v28, v30
	v_fma_f32 v40, 0x3f317218, v34, -v36
	s_delay_alu instid0(VALU_DEP_2) | instskip(NEXT) | instid1(VALU_DEP_2)
	v_dual_sub_f32 v9, v10, v9 :: v_dual_mov_b32 v42, v36
	v_fmac_f32_e32 v40, 0xb102e308, v34
	s_delay_alu instid0(VALU_DEP_1) | instskip(NEXT) | instid1(VALU_DEP_1)
	v_pk_add_f32 v[34:35], v[36:37], v[40:41]
	v_dual_sub_f32 v10, v35, v41 :: v_dual_mov_b32 v41, v34
	s_delay_alu instid0(VALU_DEP_1) | instskip(SKIP_2) | instid1(VALU_DEP_2)
	v_dual_mov_b32 v50, v35 :: v_dual_sub_f32 v10, v37, v10
	v_ldexp_f32 v9, v9, 1
	v_pk_add_f32 v[36:37], v[34:35], v[36:37] neg_lo:[0,1] neg_hi:[0,1]
	v_add_f32_e32 v43, v9, v10
	v_max_num_f32_e64 v9, |v21|, |v21|
	v_max_num_f32_e64 v10, |v20|, |v20|
	s_delay_alu instid0(VALU_DEP_3) | instskip(NEXT) | instid1(VALU_DEP_1)
	v_pk_add_f32 v[44:45], v[34:35], v[42:43]
	v_dual_max_num_f32 v28, v10, v9 :: v_dual_mov_b32 v37, v45
	s_delay_alu instid0(VALU_DEP_1) | instskip(SKIP_1) | instid1(VALU_DEP_3)
	v_frexp_exp_i32_f32_e32 v30, v28
	v_frexp_mant_f32_e32 v28, v28
	v_pk_add_f32 v[46:47], v[40:41], v[36:37]
	v_min_num_f32_e32 v9, v10, v9
	v_pk_add_f32 v[36:37], v[40:41], v[36:37] neg_lo:[0,1] neg_hi:[0,1]
	s_delay_alu instid0(VALU_DEP_4) | instskip(NEXT) | instid1(VALU_DEP_3)
	v_rcp_f32_e32 v28, v28
	v_mov_b32_e32 v10, v47
	s_delay_alu instid0(VALU_DEP_3) | instskip(SKIP_2) | instid1(VALU_DEP_4)
	v_frexp_exp_i32_f32_e32 v33, v9
	v_frexp_mant_f32_e32 v39, v9
	v_mov_b32_e32 v37, v47
	v_pk_add_f32 v[48:49], v[10:11], v[34:35] neg_lo:[0,1] neg_hi:[0,1]
	s_delay_alu instid0(VALU_DEP_4) | instskip(SKIP_1) | instid1(VALU_DEP_3)
	v_sub_nc_u32_e32 v30, v33, v30
	v_dual_mov_b32 v46, v45 :: v_dual_mov_b32 v35, v34
	v_dual_mov_b32 v34, v43 :: v_dual_mov_b32 v51, v48
	v_dual_mov_b32 v9, v48 :: v_dual_mul_f32 v28, v39, v28
	s_delay_alu instid0(VALU_DEP_2) | instskip(NEXT) | instid1(VALU_DEP_2)
	v_pk_add_f32 v[40:41], v[46:47], v[50:51] neg_lo:[0,1] neg_hi:[0,1]
	v_pk_add_f32 v[42:43], v[44:45], v[8:9] neg_lo:[0,1] neg_hi:[0,1]
	s_delay_alu instid0(VALU_DEP_3) | instskip(SKIP_1) | instid1(VALU_DEP_4)
	v_ldexp_f32 v9, v28, v30
	v_mov_b32_e32 v42, v36
	v_pk_add_f32 v[34:35], v[34:35], v[40:41] neg_lo:[0,1] neg_hi:[0,1]
	s_delay_alu instid0(VALU_DEP_3) | instskip(NEXT) | instid1(VALU_DEP_2)
	v_mul_f32_e32 v30, v9, v9
	v_pk_add_f32 v[40:41], v[42:43], v[34:35]
	s_delay_alu instid0(VALU_DEP_1) | instskip(NEXT) | instid1(VALU_DEP_1)
	v_dual_fmaak_f32 v33, s30, v30, 0xbc7a590c :: v_dual_mov_b32 v28, v41
	v_pk_add_f32 v[42:43], v[40:41], v[28:29]
	s_delay_alu instid0(VALU_DEP_2) | instskip(NEXT) | instid1(VALU_DEP_2)
	v_fmaak_f32 v28, v30, v33, 0x3d29fb3f
	v_pk_add_f32 v[44:45], v[10:11], v[42:43]
	s_delay_alu instid0(VALU_DEP_1) | instskip(NEXT) | instid1(VALU_DEP_1)
	v_dual_fmaak_f32 v10, v30, v28, 0xbd97d4d7 :: v_dual_mov_b32 v41, v44
	v_fmaak_f32 v10, v30, v10, 0x3dd931b2
	s_delay_alu instid0(VALU_DEP_2) | instskip(NEXT) | instid1(VALU_DEP_2)
	v_pk_add_f32 v[46:47], v[40:41], v[36:37] neg_lo:[0,1] neg_hi:[0,1]
	v_fmaak_f32 v10, v30, v10, 0xbe1160e6
	s_delay_alu instid0(VALU_DEP_2) | instskip(NEXT) | instid1(VALU_DEP_2)
	v_dual_mov_b32 v35, v42 :: v_dual_sub_f32 v28, v40, v46
	v_fmaak_f32 v10, v30, v10, 0x3e4cb8bf
	s_delay_alu instid0(VALU_DEP_2) | instskip(NEXT) | instid1(VALU_DEP_2)
	v_pk_add_f32 v[34:35], v[34:35], v[46:47] neg_lo:[0,1] neg_hi:[0,1]
	v_fmaak_f32 v10, v30, v10, 0xbeaaaa62
	s_delay_alu instid0(VALU_DEP_1) | instskip(NEXT) | instid1(VALU_DEP_1)
	v_dual_sub_f32 v28, v36, v28 :: v_dual_mul_f32 v10, v30, v10
	v_dual_add_f32 v28, v34, v28 :: v_dual_fmac_f32 v9, v9, v10
	s_delay_alu instid0(VALU_DEP_1) | instskip(NEXT) | instid1(VALU_DEP_1)
	v_add_f32_e32 v28, v28, v35
	v_add_f32_e32 v10, v44, v28
	s_delay_alu instid0(VALU_DEP_3) | instskip(NEXT) | instid1(VALU_DEP_1)
	v_sub_f32_e32 v28, 0x3fc90fdb, v9
	v_cndmask_b32_e64 v9, v9, v28, s6
	s_delay_alu instid0(VALU_DEP_3) | instskip(SKIP_1) | instid1(VALU_DEP_3)
	v_cndmask_b32_e32 v10, 0x7f800000, v10, vcc_lo
	v_cmp_gt_i32_e32 vcc_lo, 0, v20
	v_sub_f32_e32 v30, 0x40490fdb, v9
	v_cndmask_b32_e64 v28, 0, 0x40490fdb, vcc_lo
	v_cmp_ngt_f32_e32 vcc_lo, -1.0, v32
	v_cndmask_b32_e32 v10, 0x7fc00000, v10, vcc_lo
	v_cmp_gt_f32_e32 vcc_lo, 0, v20
	s_delay_alu instid0(VALU_DEP_2)
	v_cndmask_b32_e64 v10, 0xff800000, v10, s7
	v_cndmask_b32_e32 v9, v9, v30, vcc_lo
	v_cndmask_b32_e32 v20, 0x3f490fdb, v38, vcc_lo
	v_cmp_gt_f32_e64 vcc_lo, 0x33800000, |v32|
	v_cmp_class_f32_e64 s7, v21, 0x204
	v_cndmask_b32_e32 v10, v10, v32, vcc_lo
	v_cmp_eq_f32_e32 vcc_lo, 0, v21
	s_delay_alu instid0(VALU_DEP_2) | instskip(SKIP_1) | instid1(VALU_DEP_1)
	v_dual_mul_f32 v33, 0.5, v10 :: v_dual_cndmask_b32 v9, v9, v28, vcc_lo
	s_and_b32 vcc_lo, s7, s8
	v_cndmask_b32_e32 v9, v9, v20, vcc_lo
.LBB198_132:                            ;   in Loop: Header=BB198_4 Depth=1
	s_or_b32 exec_lo, exec_lo, s37
.LBB198_133:                            ;   in Loop: Header=BB198_4 Depth=1
	s_delay_alu instid0(SALU_CYCLE_1)
	s_or_b32 exec_lo, exec_lo, s36
.LBB198_134:                            ;   in Loop: Header=BB198_4 Depth=1
	s_and_not1_saveexec_b32 s8, s35
	s_cbranch_execz .LBB198_136
; %bb.135:                              ;   in Loop: Header=BB198_4 Depth=1
	v_max_num_f32_e64 v9, |v21|, |v21|
	v_max_num_f32_e64 v10, |v20|, |v20|
	v_cmp_gt_i32_e64 s7, 0, v20
	v_cmp_class_f32_e64 s9, v20, 0x204
	v_cmp_class_f32_e64 s10, v21, 0x204
	s_delay_alu instid0(VALU_DEP_4) | instskip(NEXT) | instid1(VALU_DEP_1)
	v_dual_max_num_f32 v28, v10, v9 :: v_dual_min_num_f32 v9, v10, v9
	v_cvt_f64_f32_e32 v[32:33], v28
	v_frexp_exp_i32_f32_e32 v10, v28
	v_cmp_neq_f32_e32 vcc_lo, 0x7f800000, v28
	s_delay_alu instid0(VALU_DEP_3) | instskip(SKIP_3) | instid1(VALU_DEP_3)
	v_frexp_exp_i32_f64_e32 v30, v[32:33]
	v_frexp_mant_f32_e32 v32, v28
	v_frexp_exp_i32_f32_e32 v33, v9
	v_frexp_mant_f32_e32 v9, v9
	v_rcp_f32_e32 v32, v32
	s_delay_alu instid0(VALU_DEP_2) | instskip(NEXT) | instid1(TRANS32_DEP_1)
	v_sub_nc_u32_e32 v10, v33, v10
	v_mul_f32_e32 v9, v9, v32
	s_delay_alu instid0(VALU_DEP_1) | instskip(SKIP_1) | instid1(VALU_DEP_1)
	v_ldexp_f32 v9, v9, v10
	v_sub_nc_u32_e32 v10, 0, v30
	v_ldexp_f32 v33, |v21|, v10
	v_ldexp_f32 v10, |v20|, v10
	s_delay_alu instid0(VALU_DEP_2) | instskip(NEXT) | instid1(VALU_DEP_1)
	v_mul_f32_e32 v33, v33, v33
	v_dual_mul_f32 v32, v9, v9 :: v_dual_fmac_f32 v33, v10, v10
	s_delay_alu instid0(VALU_DEP_1) | instskip(NEXT) | instid1(VALU_DEP_2)
	v_fmaak_f32 v34, s30, v32, 0xbc7a590c
	v_sqrt_f32_e32 v33, v33
	s_delay_alu instid0(VALU_DEP_1) | instskip(NEXT) | instid1(VALU_DEP_1)
	v_fmaak_f32 v34, v32, v34, 0x3d29fb3f
	v_fmaak_f32 v10, v32, v34, 0xbd97d4d7
	s_delay_alu instid0(TRANS32_DEP_1) | instskip(NEXT) | instid1(VALU_DEP_2)
	v_ldexp_f32 v30, v33, v30
	v_fmaak_f32 v10, v32, v10, 0x3dd931b2
	s_delay_alu instid0(VALU_DEP_2) | instskip(NEXT) | instid1(VALU_DEP_2)
	v_cndmask_b32_e32 v28, 0x7f800000, v30, vcc_lo
	v_fmaak_f32 v10, v32, v10, 0xbe1160e6
	s_delay_alu instid0(VALU_DEP_2) | instskip(NEXT) | instid1(VALU_DEP_2)
	v_cmp_gt_f32_e32 vcc_lo, 0x800000, v28
	v_fmaak_f32 v10, v32, v10, 0x3e4cb8bf
	v_cndmask_b32_e64 v30, 0, 32, vcc_lo
	s_delay_alu instid0(VALU_DEP_2) | instskip(NEXT) | instid1(VALU_DEP_2)
	v_fmaak_f32 v10, v32, v10, 0xbeaaaa62
	v_ldexp_f32 v28, v28, v30
	s_delay_alu instid0(VALU_DEP_2) | instskip(NEXT) | instid1(VALU_DEP_2)
	v_mul_f32_e32 v10, v32, v10
	v_log_f32_e32 v28, v28
	s_delay_alu instid0(VALU_DEP_1) | instskip(NEXT) | instid1(VALU_DEP_1)
	v_fmac_f32_e32 v9, v9, v10
	v_sub_f32_e32 v30, 0x3fc90fdb, v9
	s_delay_alu instid0(VALU_DEP_1) | instskip(SKIP_2) | instid1(VALU_DEP_3)
	v_cndmask_b32_e64 v9, v9, v30, s6
	v_cndmask_b32_e64 v30, 0, 0x40490fdb, s7
	v_cmp_gt_f32_e64 s7, 0, v20
	v_sub_f32_e32 v32, 0x40490fdb, v9
	s_delay_alu instid0(VALU_DEP_2) | instskip(NEXT) | instid1(VALU_DEP_2)
	v_cndmask_b32_e64 v20, 0x3f490fdb, v38, s7
	v_cndmask_b32_e64 v9, v9, v32, s7
	v_mul_f32_e32 v10, 0x3f317217, v28
	v_cndmask_b32_e64 v32, 0, 0x41b17218, vcc_lo
	v_cmp_gt_f32_e64 vcc_lo, 0x7f800000, |v28|
	s_delay_alu instid0(VALU_DEP_3) | instskip(NEXT) | instid1(VALU_DEP_1)
	v_fma_f32 v10, 0x3f317217, v28, -v10
	v_fmac_f32_e32 v10, 0x3377d1cf, v28
	s_delay_alu instid0(VALU_DEP_1) | instskip(NEXT) | instid1(VALU_DEP_1)
	v_fmac_f32_e32 v10, 0x3f317217, v28
	v_cndmask_b32_e32 v10, v28, v10, vcc_lo
	v_cmp_eq_f32_e32 vcc_lo, 0, v21
	s_delay_alu instid0(VALU_DEP_2) | instskip(SKIP_1) | instid1(VALU_DEP_1)
	v_dual_sub_f32 v33, v10, v32 :: v_dual_cndmask_b32 v9, v9, v30, vcc_lo
	s_and_b32 vcc_lo, s10, s9
	v_cndmask_b32_e32 v9, v9, v20, vcc_lo
.LBB198_136:                            ;   in Loop: Header=BB198_4 Depth=1
	s_or_b32 exec_lo, exec_lo, s8
                                        ; implicit-def: $vgpr34
.LBB198_137:                            ;   in Loop: Header=BB198_4 Depth=1
	s_and_not1_saveexec_b32 s8, s34
	s_cbranch_execz .LBB198_143
; %bb.138:                              ;   in Loop: Header=BB198_4 Depth=1
                                        ; implicit-def: $vgpr33
                                        ; implicit-def: $vgpr9
	s_mov_b32 s7, exec_lo
	v_cmpx_ngt_f32_e32 0x1fec1e4a, v34
	s_xor_b32 s9, exec_lo, s7
	s_cbranch_execz .LBB198_140
; %bb.139:                              ;   in Loop: Header=BB198_4 Depth=1
	v_pk_mul_f32 v[32:33], v[34:35], v[34:35]
	v_cmp_class_f32_e64 s10, v20, 0x204
	s_delay_alu instid0(VALU_DEP_2) | instskip(SKIP_1) | instid1(VALU_DEP_2)
	v_add_f32_e32 v35, 1.0, v32
	v_cmp_neq_f32_e64 s7, 0x7f800000, v32
	v_add_f32_e32 v33, -1.0, v35
	s_delay_alu instid0(VALU_DEP_1) | instskip(SKIP_2) | instid1(VALU_DEP_1)
	v_mov_b32_e32 v34, v33
	v_cvt_f64_f32_e32 v[36:37], v35
	v_frexp_mant_f32_e32 v10, v35
	v_cmp_gt_f32_e32 vcc_lo, 0x3f2aaaab, v10
	s_delay_alu instid0(VALU_DEP_3) | instskip(NEXT) | instid1(VALU_DEP_1)
	v_frexp_exp_i32_f64_e32 v9, v[36:37]
	v_subrev_co_ci_u32_e64 v9, null, 0, v9, vcc_lo
	v_cmp_gt_i32_e32 vcc_lo, 0, v20
	s_delay_alu instid0(VALU_DEP_2) | instskip(SKIP_1) | instid1(VALU_DEP_2)
	v_sub_nc_u32_e32 v10, 0, v9
	v_pk_add_f32 v[36:37], v[32:33], v[34:35] neg_lo:[0,1] neg_hi:[0,1]
	v_ldexp_f32 v28, v35, v10
	s_delay_alu instid0(VALU_DEP_1) | instskip(NEXT) | instid1(VALU_DEP_1)
	v_dual_add_f32 v30, 1.0, v37 :: v_dual_add_f32 v33, 1.0, v28
	v_dual_add_f32 v30, v36, v30 :: v_dual_add_f32 v34, -1.0, v33
	v_add_f32_e32 v39, -1.0, v28
	s_delay_alu instid0(VALU_DEP_2) | instskip(NEXT) | instid1(VALU_DEP_2)
	v_ldexp_f32 v10, v30, v10
	v_dual_sub_f32 v30, v28, v34 :: v_dual_add_f32 v34, 1.0, v39
	s_delay_alu instid0(VALU_DEP_1) | instskip(NEXT) | instid1(VALU_DEP_1)
	v_add_f32_e32 v30, v10, v30
	v_add_f32_e32 v42, v33, v30
	s_delay_alu instid0(VALU_DEP_3) | instskip(NEXT) | instid1(VALU_DEP_1)
	v_sub_f32_e32 v28, v28, v34
	v_add_f32_e32 v10, v10, v28
	s_delay_alu instid0(VALU_DEP_3) | instskip(SKIP_1) | instid1(VALU_DEP_1)
	v_rcp_f32_e32 v28, v42
	v_sub_f32_e32 v33, v33, v42
	v_dual_add_f32 v35, v39, v10 :: v_dual_add_f32 v30, v30, v33
	s_delay_alu instid0(TRANS32_DEP_1) | instid1(VALU_DEP_1)
	v_mul_f32_e32 v43, v35, v28
	v_sub_f32_e32 v33, v39, v35
	s_delay_alu instid0(VALU_DEP_2) | instskip(NEXT) | instid1(VALU_DEP_1)
	v_mul_f32_e32 v36, v42, v43
	v_dual_add_f32 v10, v10, v33 :: v_dual_fma_f32 v40, v43, v42, -v36
	s_delay_alu instid0(VALU_DEP_1) | instskip(NEXT) | instid1(VALU_DEP_1)
	v_fmac_f32_e32 v40, v43, v30
	v_add_f32_e32 v34, v36, v40
	s_delay_alu instid0(VALU_DEP_1) | instskip(NEXT) | instid1(VALU_DEP_1)
	v_dual_sub_f32 v37, v35, v34 :: v_dual_mov_b32 v41, v34
	v_pk_add_f32 v[34:35], v[34:35], v[36:37] neg_lo:[0,1] neg_hi:[0,1]
	s_delay_alu instid0(VALU_DEP_1) | instskip(NEXT) | instid1(VALU_DEP_1)
	v_pk_add_f32 v[34:35], v[34:35], v[40:41] neg_lo:[0,1] neg_hi:[0,1]
	v_add_f32_e32 v10, v10, v35
	s_delay_alu instid0(VALU_DEP_1) | instskip(NEXT) | instid1(VALU_DEP_1)
	v_add_f32_e32 v10, v34, v10
	v_add_f32_e32 v35, v37, v10
	s_delay_alu instid0(VALU_DEP_1) | instskip(NEXT) | instid1(VALU_DEP_1)
	v_mul_f32_e32 v33, v28, v35
	v_mul_f32_e32 v40, v42, v33
	s_delay_alu instid0(VALU_DEP_1) | instskip(NEXT) | instid1(VALU_DEP_1)
	v_fma_f32 v36, v33, v42, -v40
	v_fmac_f32_e32 v36, v33, v30
	s_delay_alu instid0(VALU_DEP_1) | instskip(NEXT) | instid1(VALU_DEP_1)
	v_dual_sub_f32 v30, v37, v35 :: v_dual_add_f32 v34, v40, v36
	v_dual_add_f32 v10, v10, v30 :: v_dual_add_f32 v30, v43, v33
	s_delay_alu instid0(VALU_DEP_2) | instskip(NEXT) | instid1(VALU_DEP_1)
	v_dual_sub_f32 v41, v35, v34 :: v_dual_mov_b32 v37, v34
	v_pk_add_f32 v[34:35], v[34:35], v[40:41] neg_lo:[0,1] neg_hi:[0,1]
	s_delay_alu instid0(VALU_DEP_1) | instskip(NEXT) | instid1(VALU_DEP_1)
	v_pk_add_f32 v[34:35], v[34:35], v[36:37] neg_lo:[0,1] neg_hi:[0,1]
	v_add_f32_e32 v10, v10, v35
	s_delay_alu instid0(VALU_DEP_1) | instskip(NEXT) | instid1(VALU_DEP_1)
	v_add_f32_e32 v10, v34, v10
	v_dual_sub_f32 v34, v30, v43 :: v_dual_add_f32 v10, v41, v10
	s_delay_alu instid0(VALU_DEP_1) | instskip(SKIP_1) | instid1(VALU_DEP_3)
	v_sub_f32_e32 v33, v33, v34
	v_cvt_f32_i32_e32 v34, v9
	v_mul_f32_e32 v10, v28, v10
	s_delay_alu instid0(VALU_DEP_1) | instskip(NEXT) | instid1(VALU_DEP_1)
	v_add_f32_e32 v10, v33, v10
	v_add_f32_e32 v28, v30, v10
	s_delay_alu instid0(VALU_DEP_1) | instskip(SKIP_1) | instid1(VALU_DEP_2)
	v_mul_f32_e32 v33, v28, v28
	v_ldexp_f32 v41, v28, 1
	v_dual_fmaak_f32 v36, s29, v33, 0x3ecc95a3 :: v_dual_mul_f32 v35, v28, v33
	s_delay_alu instid0(VALU_DEP_1) | instskip(NEXT) | instid1(VALU_DEP_1)
	v_fmaak_f32 v9, v33, v36, 0x3f2aaada
	v_pk_mul_f32 v[36:37], v[34:35], v[8:9]
	v_sub_f32_e32 v9, v28, v30
	v_max_num_f32_e64 v28, |v21|, |v21|
	v_max_num_f32_e64 v30, |v20|, |v20|
	s_delay_alu instid0(VALU_DEP_4) | instskip(NEXT) | instid1(VALU_DEP_4)
	v_fma_f32 v40, 0x3f317218, v34, -v36
	v_dual_sub_f32 v9, v10, v9 :: v_dual_mov_b32 v42, v36
	s_delay_alu instid0(VALU_DEP_2) | instskip(NEXT) | instid1(VALU_DEP_2)
	v_fmac_f32_e32 v40, 0xb102e308, v34
	v_ldexp_f32 v9, v9, 1
	s_delay_alu instid0(VALU_DEP_2) | instskip(NEXT) | instid1(VALU_DEP_1)
	v_pk_add_f32 v[34:35], v[36:37], v[40:41]
	v_sub_f32_e32 v10, v35, v41
	s_delay_alu instid0(VALU_DEP_1) | instskip(NEXT) | instid1(VALU_DEP_3)
	v_sub_f32_e32 v10, v37, v10
	v_pk_add_f32 v[36:37], v[34:35], v[36:37] neg_lo:[0,1] neg_hi:[0,1]
	s_delay_alu instid0(VALU_DEP_2) | instskip(NEXT) | instid1(VALU_DEP_1)
	v_dual_add_f32 v43, v9, v10 :: v_dual_max_num_f32 v9, v30, v28
	v_pk_add_f32 v[44:45], v[34:35], v[42:43]
	v_mov_b32_e32 v41, v34
	s_delay_alu instid0(VALU_DEP_3) | instskip(SKIP_1) | instid1(VALU_DEP_4)
	v_frexp_mant_f32_e32 v10, v9
	v_frexp_exp_i32_f32_e32 v9, v9
	v_dual_mov_b32 v50, v35 :: v_dual_mov_b32 v37, v45
	s_delay_alu instid0(VALU_DEP_1)
	v_pk_add_f32 v[46:47], v[40:41], v[36:37]
	v_min_num_f32_e32 v28, v30, v28
	v_rcp_f32_e32 v30, v10
	v_mov_b32_e32 v46, v45
	v_pk_add_f32 v[36:37], v[40:41], v[36:37] neg_lo:[0,1] neg_hi:[0,1]
	v_mov_b32_e32 v10, v47
	v_frexp_exp_i32_f32_e32 v33, v28
	v_frexp_mant_f32_e32 v28, v28
	s_delay_alu instid0(VALU_DEP_3) | instskip(NEXT) | instid1(VALU_DEP_2)
	v_pk_add_f32 v[48:49], v[10:11], v[34:35] neg_lo:[0,1] neg_hi:[0,1]
	v_dual_mul_f32 v28, v28, v30 :: v_dual_sub_nc_u32 v9, v33, v9
	v_dual_mov_b32 v35, v34 :: v_dual_mov_b32 v34, v43
	s_delay_alu instid0(VALU_DEP_3) | instskip(NEXT) | instid1(VALU_DEP_3)
	v_mov_b32_e32 v51, v48
	v_ldexp_f32 v30, v28, v9
	v_mov_b32_e32 v9, v48
	s_delay_alu instid0(VALU_DEP_3) | instskip(NEXT) | instid1(VALU_DEP_3)
	v_pk_add_f32 v[40:41], v[46:47], v[50:51] neg_lo:[0,1] neg_hi:[0,1]
	v_mul_f32_e32 v33, v30, v30
	s_delay_alu instid0(VALU_DEP_3) | instskip(SKIP_1) | instid1(VALU_DEP_4)
	v_pk_add_f32 v[42:43], v[44:45], v[8:9] neg_lo:[0,1] neg_hi:[0,1]
	v_mov_b32_e32 v42, v36
	v_pk_add_f32 v[34:35], v[34:35], v[40:41] neg_lo:[0,1] neg_hi:[0,1]
	s_delay_alu instid0(VALU_DEP_1) | instskip(NEXT) | instid1(VALU_DEP_1)
	v_pk_add_f32 v[40:41], v[42:43], v[34:35]
	v_dual_fmaak_f32 v9, s30, v33, 0xbc7a590c :: v_dual_mov_b32 v28, v41
	s_delay_alu instid0(VALU_DEP_1) | instskip(SKIP_2) | instid1(VALU_DEP_3)
	v_pk_add_f32 v[42:43], v[40:41], v[28:29]
	v_cndmask_b32_e64 v28, 0, 0x40490fdb, vcc_lo
	v_cmp_gt_f32_e32 vcc_lo, 0, v20
	v_pk_add_f32 v[44:45], v[10:11], v[42:43]
	v_dual_mov_b32 v37, v47 :: v_dual_cndmask_b32 v20, 0x3f490fdb, v38
	s_delay_alu instid0(VALU_DEP_2) | instskip(NEXT) | instid1(VALU_DEP_1)
	v_mov_b32_e32 v41, v44
	v_pk_add_f32 v[46:47], v[40:41], v[36:37] neg_lo:[0,1] neg_hi:[0,1]
	s_delay_alu instid0(VALU_DEP_1) | instskip(NEXT) | instid1(VALU_DEP_1)
	v_dual_fmaak_f32 v9, v33, v9, 0x3d29fb3f :: v_dual_sub_f32 v10, v40, v46
	v_dual_fmaak_f32 v9, v33, v9, 0xbd97d4d7 :: v_dual_sub_f32 v10, v36, v10
	s_delay_alu instid0(VALU_DEP_1) | instskip(NEXT) | instid1(VALU_DEP_1)
	v_fmaak_f32 v9, v33, v9, 0x3dd931b2
	v_fmaak_f32 v9, v33, v9, 0xbe1160e6
	s_delay_alu instid0(VALU_DEP_1) | instskip(NEXT) | instid1(VALU_DEP_1)
	v_fmaak_f32 v9, v33, v9, 0x3e4cb8bf
	v_fmaak_f32 v9, v33, v9, 0xbeaaaa62
	s_delay_alu instid0(VALU_DEP_1) | instskip(NEXT) | instid1(VALU_DEP_1)
	v_dual_mov_b32 v35, v42 :: v_dual_mul_f32 v9, v33, v9
	v_pk_add_f32 v[34:35], v[34:35], v[46:47] neg_lo:[0,1] neg_hi:[0,1]
	s_delay_alu instid0(VALU_DEP_2) | instskip(NEXT) | instid1(VALU_DEP_2)
	v_fmac_f32_e32 v30, v30, v9
	v_add_f32_e32 v9, v34, v10
                                        ; implicit-def: $vgpr34
	s_delay_alu instid0(VALU_DEP_1) | instskip(NEXT) | instid1(VALU_DEP_1)
	v_dual_add_f32 v9, v9, v35 :: v_dual_sub_f32 v10, 0x3fc90fdb, v30
	v_add_f32_e32 v9, v44, v9
	s_delay_alu instid0(VALU_DEP_1) | instskip(NEXT) | instid1(VALU_DEP_3)
	v_cndmask_b32_e64 v9, 0x7f800000, v9, s7
	v_cndmask_b32_e64 v10, v30, v10, s6
	v_cmp_class_f32_e64 s7, v21, 0x204
	s_delay_alu instid0(VALU_DEP_2) | instskip(NEXT) | instid1(VALU_DEP_1)
	v_sub_f32_e32 v30, 0x40490fdb, v10
	v_cndmask_b32_e32 v10, v10, v30, vcc_lo
	v_cmp_gt_f32_e64 vcc_lo, 0x33800000, |v32|
	v_cndmask_b32_e32 v9, v9, v32, vcc_lo
	v_cmp_eq_f32_e32 vcc_lo, 0, v21
	s_delay_alu instid0(VALU_DEP_2) | instskip(SKIP_1) | instid1(VALU_DEP_1)
	v_dual_mul_f32 v33, 0.5, v9 :: v_dual_cndmask_b32 v10, v10, v28
	s_and_b32 vcc_lo, s7, s10
	v_cndmask_b32_e32 v9, v10, v20, vcc_lo
.LBB198_140:                            ;   in Loop: Header=BB198_4 Depth=1
	s_and_not1_saveexec_b32 s9, s9
	s_cbranch_execz .LBB198_142
; %bb.141:                              ;   in Loop: Header=BB198_4 Depth=1
	v_max_num_f32_e64 v9, |v21|, |v21|
	v_max_num_f32_e64 v10, |v20|, |v20|
	v_cmp_eq_f32_e64 s7, 0, v21
	v_cmp_gt_i32_e32 vcc_lo, 0, v20
	v_cmp_class_f32_e64 s10, v20, 0x204
	v_cmp_class_f32_e64 s11, v21, 0x204
	v_dual_max_num_f32 v28, v10, v9 :: v_dual_min_num_f32 v9, v10, v9
	s_delay_alu instid0(VALU_DEP_1) | instskip(SKIP_1) | instid1(VALU_DEP_2)
	v_frexp_mant_f32_e32 v30, v28
	v_frexp_exp_i32_f32_e32 v10, v28
	v_rcp_f32_e32 v28, v30
	v_nop
	v_frexp_exp_i32_f32_e32 v30, v9
	v_frexp_mant_f32_e32 v9, v9
	s_delay_alu instid0(TRANS32_DEP_1) | instid1(VALU_DEP_1)
	v_dual_mul_f32 v9, v9, v28 :: v_dual_sub_nc_u32 v10, v30, v10
	s_delay_alu instid0(VALU_DEP_1) | instskip(NEXT) | instid1(VALU_DEP_1)
	v_ldexp_f32 v9, v9, v10
	v_mul_f32_e32 v10, v9, v9
	s_delay_alu instid0(VALU_DEP_1) | instskip(NEXT) | instid1(VALU_DEP_1)
	v_fmaak_f32 v28, s30, v10, 0xbc7a590c
	v_fmaak_f32 v28, v10, v28, 0x3d29fb3f
	s_delay_alu instid0(VALU_DEP_1) | instskip(NEXT) | instid1(VALU_DEP_1)
	v_fmaak_f32 v28, v10, v28, 0xbd97d4d7
	v_fmaak_f32 v28, v10, v28, 0x3dd931b2
	;; [unrolled: 3-line block ×3, first 2 shown]
	s_delay_alu instid0(VALU_DEP_1) | instskip(NEXT) | instid1(VALU_DEP_1)
	v_fmaak_f32 v28, v10, v28, 0xbeaaaa62
	v_mul_f32_e32 v10, v10, v28
	v_cndmask_b32_e64 v28, 0, 0x40490fdb, vcc_lo
	v_cmp_gt_f32_e32 vcc_lo, 0, v20
	s_delay_alu instid0(VALU_DEP_3) | instskip(SKIP_1) | instid1(VALU_DEP_2)
	v_fmac_f32_e32 v9, v9, v10
	v_cndmask_b32_e32 v20, 0x3f490fdb, v38, vcc_lo
	v_sub_f32_e32 v10, 0x3fc90fdb, v9
	s_delay_alu instid0(VALU_DEP_1) | instskip(NEXT) | instid1(VALU_DEP_1)
	v_cndmask_b32_e64 v9, v9, v10, s6
	v_sub_f32_e32 v10, 0x40490fdb, v9
	s_delay_alu instid0(VALU_DEP_1) | instskip(SKIP_2) | instid1(VALU_DEP_1)
	v_cndmask_b32_e32 v9, v9, v10, vcc_lo
	v_mul_f32_e32 v10, 0.5, v34
	s_and_b32 vcc_lo, s11, s10
	v_dual_cndmask_b32 v9, v9, v28, s7 :: v_dual_mul_f32 v33, v34, v10
	s_delay_alu instid0(VALU_DEP_1)
	v_cndmask_b32_e32 v9, v9, v20, vcc_lo
.LBB198_142:                            ;   in Loop: Header=BB198_4 Depth=1
	s_or_b32 exec_lo, exec_lo, s9
.LBB198_143:                            ;   in Loop: Header=BB198_4 Depth=1
	s_delay_alu instid0(SALU_CYCLE_1)
	s_or_b32 exec_lo, exec_lo, s8
.LBB198_144:                            ;   in Loop: Header=BB198_4 Depth=1
	s_and_not1_saveexec_b32 s8, s33
	s_cbranch_execz .LBB198_146
; %bb.145:                              ;   in Loop: Header=BB198_4 Depth=1
	v_div_scale_f32 v9, null, 0x402df854, 0x402df854, v20
	v_div_scale_f32 v10, null, 0x402df854, 0x402df854, v21
	v_div_scale_f32 v34, vcc_lo, v20, 0x402df854, v20
	s_delay_alu instid0(VALU_DEP_3) | instskip(NEXT) | instid1(VALU_DEP_2)
	v_rcp_f32_e32 v28, v9
	v_rcp_f32_e32 v30, v10
	v_cmp_class_f32_e64 s9, v21, 0x204
	s_delay_alu instid0(TRANS32_DEP_2) | instskip(NEXT) | instid1(TRANS32_DEP_1)
	v_fma_f32 v32, -v9, v28, 1.0
	v_fma_f32 v33, -v10, v30, 1.0
	s_delay_alu instid0(VALU_DEP_1) | instskip(SKIP_1) | instid1(VALU_DEP_1)
	v_dual_fmac_f32 v28, v32, v28 :: v_dual_fmac_f32 v30, v33, v30
	v_div_scale_f32 v32, s7, v21, 0x402df854, v21
	v_dual_mul_f32 v33, v34, v28 :: v_dual_mul_f32 v35, v32, v30
	s_delay_alu instid0(VALU_DEP_1) | instskip(NEXT) | instid1(VALU_DEP_1)
	v_dual_fma_f32 v36, -v9, v33, v34 :: v_dual_fma_f32 v37, -v10, v35, v32
	v_dual_fmac_f32 v33, v36, v28 :: v_dual_fmac_f32 v35, v37, v30
	s_delay_alu instid0(VALU_DEP_1) | instskip(NEXT) | instid1(VALU_DEP_1)
	v_dual_fma_f32 v9, -v9, v33, v34 :: v_dual_fma_f32 v10, -v10, v35, v32
	v_div_fmas_f32 v9, v9, v28, v33
	s_mov_b32 vcc_lo, s7
	v_cmp_class_f32_e64 s7, v20, 0x204
	s_delay_alu instid0(VALU_DEP_3) | instskip(NEXT) | instid1(VALU_DEP_3)
	v_div_fmas_f32 v10, v10, v30, v35
	v_div_fixup_f32 v9, v9, 0x402df854, v20
	s_delay_alu instid0(VALU_DEP_2) | instskip(NEXT) | instid1(VALU_DEP_1)
	v_div_fixup_f32 v10, v10, 0x402df854, v21
	v_max_num_f32_e64 v28, |v9|, |v10|
	s_delay_alu instid0(VALU_DEP_1) | instskip(SKIP_1) | instid1(VALU_DEP_2)
	v_cvt_f64_f32_e32 v[32:33], v28
	v_cmp_neq_f32_e32 vcc_lo, 0x7f800000, v28
	v_frexp_exp_i32_f64_e32 v30, v[32:33]
	v_max_num_f32_e64 v32, |v21|, |v21|
	v_max_num_f32_e64 v33, |v20|, |v20|
	s_delay_alu instid0(VALU_DEP_1) | instskip(NEXT) | instid1(VALU_DEP_1)
	v_dual_max_num_f32 v34, v33, v32 :: v_dual_min_num_f32 v32, v33, v32
	v_frexp_mant_f32_e32 v35, v34
	v_frexp_exp_i32_f32_e32 v33, v34
	s_delay_alu instid0(VALU_DEP_2)
	v_rcp_f32_e32 v34, v35
	v_nop
	v_frexp_exp_i32_f32_e32 v35, v32
	v_frexp_mant_f32_e32 v32, v32
	s_delay_alu instid0(TRANS32_DEP_1) | instid1(VALU_DEP_1)
	v_dual_mul_f32 v32, v32, v34 :: v_dual_sub_nc_u32 v33, v35, v33
	s_delay_alu instid0(VALU_DEP_1) | instskip(NEXT) | instid1(VALU_DEP_1)
	v_ldexp_f32 v32, v32, v33
	v_dual_mul_f32 v33, v32, v32 :: v_dual_sub_nc_u32 v34, 0, v30
	s_delay_alu instid0(VALU_DEP_1) | instskip(SKIP_1) | instid1(VALU_DEP_3)
	v_ldexp_f32 v10, |v10|, v34
	v_ldexp_f32 v9, |v9|, v34
	v_fmaak_f32 v34, s30, v33, 0xbc7a590c
	s_delay_alu instid0(VALU_DEP_3) | instskip(NEXT) | instid1(VALU_DEP_1)
	v_mul_f32_e32 v10, v10, v10
	v_fmac_f32_e32 v10, v9, v9
	s_delay_alu instid0(VALU_DEP_3) | instskip(NEXT) | instid1(VALU_DEP_1)
	v_fmaak_f32 v9, v33, v34, 0x3d29fb3f
	v_fmaak_f32 v9, v33, v9, 0xbd97d4d7
	s_delay_alu instid0(VALU_DEP_1) | instskip(NEXT) | instid1(VALU_DEP_1)
	v_fmaak_f32 v9, v33, v9, 0x3dd931b2
	v_fmaak_f32 v9, v33, v9, 0xbe1160e6
	s_delay_alu instid0(VALU_DEP_1) | instskip(NEXT) | instid1(VALU_DEP_1)
	;; [unrolled: 3-line block ×3, first 2 shown]
	v_mul_f32_e32 v9, v33, v9
	v_fmac_f32_e32 v32, v32, v9
	v_sqrt_f32_e32 v10, v10
	v_nop
	s_delay_alu instid0(TRANS32_DEP_1) | instskip(NEXT) | instid1(VALU_DEP_1)
	v_ldexp_f32 v10, v10, v30
	v_cndmask_b32_e32 v10, 0x7f800000, v10, vcc_lo
	s_delay_alu instid0(VALU_DEP_1) | instskip(SKIP_2) | instid1(VALU_DEP_2)
	v_cmp_gt_f32_e32 vcc_lo, 0x800000, v10
	v_cndmask_b32_e64 v28, 0, 32, vcc_lo
	v_cndmask_b32_e64 v33, 0, 0x41b17218, vcc_lo
	v_ldexp_f32 v10, v10, v28
	s_delay_alu instid0(VALU_DEP_1) | instskip(SKIP_1) | instid1(TRANS32_DEP_1)
	v_log_f32_e32 v10, v10
	v_nop
	v_mul_f32_e32 v28, 0x3f317217, v10
	v_cmp_gt_f32_e64 vcc_lo, 0x7f800000, |v10|
	s_delay_alu instid0(VALU_DEP_2) | instskip(NEXT) | instid1(VALU_DEP_1)
	v_fma_f32 v9, 0x3f317217, v10, -v28
	v_fmac_f32_e32 v9, 0x3377d1cf, v10
	s_delay_alu instid0(VALU_DEP_1) | instskip(NEXT) | instid1(VALU_DEP_1)
	v_fmac_f32_e32 v9, 0x3f317217, v10
	v_dual_sub_f32 v28, 0x3fc90fdb, v32 :: v_dual_cndmask_b32 v9, v10, v9
	s_delay_alu instid0(VALU_DEP_1) | instskip(SKIP_2) | instid1(VALU_DEP_3)
	v_cndmask_b32_e64 v28, v32, v28, s6
	v_cmp_gt_i32_e64 s6, 0, v20
	v_cmp_eq_f32_e32 vcc_lo, 0, v21
	v_dual_sub_f32 v9, v9, v33 :: v_dual_sub_f32 v32, 0x40490fdb, v28
	s_delay_alu instid0(VALU_DEP_3) | instskip(SKIP_1) | instid1(VALU_DEP_1)
	v_cndmask_b32_e64 v30, 0, 0x40490fdb, s6
	v_cmp_gt_f32_e64 s6, 0, v20
	v_dual_add_f32 v33, 1.0, v9 :: v_dual_cndmask_b32 v10, v28, v32, s6
	v_cndmask_b32_e64 v20, 0x3f490fdb, v38, s6
	s_delay_alu instid0(VALU_DEP_2) | instskip(SKIP_1) | instid1(VALU_DEP_1)
	v_cndmask_b32_e32 v10, v10, v30, vcc_lo
	s_and_b32 vcc_lo, s9, s7
	v_cndmask_b32_e32 v9, v10, v20, vcc_lo
.LBB198_146:                            ;   in Loop: Header=BB198_4 Depth=1
	s_or_b32 exec_lo, exec_lo, s8
	s_and_not1_saveexec_b32 s6, s31
	s_cbranch_execz .LBB198_116
.LBB198_147:                            ;   in Loop: Header=BB198_4 Depth=1
	v_cmp_ngt_f32_e64 s7, 0x20000000, |v20|
	v_cmp_ngt_f32_e64 s8, 0x20000000, |v21|
                                        ; implicit-def: $vgpr9
	s_or_b32 s7, s8, s7
	s_delay_alu instid0(SALU_CYCLE_1) | instskip(NEXT) | instid1(SALU_CYCLE_1)
	s_and_saveexec_b32 s8, s7
	s_xor_b32 s7, exec_lo, s8
; %bb.148:                              ;   in Loop: Header=BB198_4 Depth=1
	v_pk_mul_f32 v[32:33], v[20:21], v[20:21]
	s_delay_alu instid0(VALU_DEP_1)
	v_add_f32_e32 v9, v33, v32
; %bb.149:                              ;   in Loop: Header=BB198_4 Depth=1
	s_and_not1_saveexec_b32 s7, s7
; %bb.150:                              ;   in Loop: Header=BB198_4 Depth=1
	v_pk_mul_f32 v[32:33], v[20:21], 4.0 op_sel_hi:[1,0]
	s_delay_alu instid0(VALU_DEP_1) | instskip(NEXT) | instid1(VALU_DEP_1)
	v_pk_mul_f32 v[32:33], v[32:33], v[32:33]
	v_add_f32_e32 v9, v33, v32
	s_delay_alu instid0(VALU_DEP_1)
	v_mul_f32_e32 v9, 0x3d800000, v9
; %bb.151:                              ;   in Loop: Header=BB198_4 Depth=1
	s_or_b32 exec_lo, exec_lo, s7
	s_delay_alu instid0(VALU_DEP_1) | instskip(SKIP_2) | instid1(VALU_DEP_2)
	v_cmp_gt_f32_e32 vcc_lo, 0x800000, v9
	v_cndmask_b32_e64 v10, 0, 32, vcc_lo
	v_cndmask_b32_e64 v20, 0, 0x41b17218, vcc_lo
	v_ldexp_f32 v9, v9, v10
	s_delay_alu instid0(VALU_DEP_1) | instskip(SKIP_1) | instid1(TRANS32_DEP_1)
	v_log_f32_e32 v9, v9
	v_nop
	v_mul_f32_e32 v10, 0x3f317217, v9
	v_cmp_gt_f32_e64 vcc_lo, 0x7f800000, |v9|
	s_delay_alu instid0(VALU_DEP_2) | instskip(NEXT) | instid1(VALU_DEP_1)
	v_fma_f32 v10, 0x3f317217, v9, -v10
	v_fmac_f32_e32 v10, 0x3377d1cf, v9
	s_delay_alu instid0(VALU_DEP_1) | instskip(NEXT) | instid1(VALU_DEP_1)
	v_fmac_f32_e32 v10, 0x3f317217, v9
	v_cndmask_b32_e32 v9, v9, v10, vcc_lo
	s_delay_alu instid0(VALU_DEP_1) | instskip(SKIP_3) | instid1(SALU_CYCLE_1)
	v_sub_f32_e32 v33, v9, v20
	v_mov_b32_e32 v9, 0x7fc00000
	s_or_b32 exec_lo, exec_lo, s6
	s_and_saveexec_b32 s6, s5
	s_xor_b32 s5, exec_lo, s6
	s_cbranch_execz .LBB198_117
.LBB198_152:                            ;   in Loop: Header=BB198_4 Depth=1
	v_bfi_b32 v26, 0x7fffffff, v26, v25
	s_delay_alu instid0(VALU_DEP_1) | instskip(NEXT) | instid1(VALU_DEP_1)
	v_dual_mov_b32 v34, v27 :: v_dual_mov_b32 v35, v26
	v_pk_fma_f32 v[36:37], v[26:27], 0, v[34:35] op_sel_hi:[1,0,1] neg_lo:[1,0,0] neg_hi:[1,0,0]
	v_pk_fma_f32 v[26:27], v[26:27], 0, v[34:35] op_sel_hi:[1,0,1]
	s_delay_alu instid0(VALU_DEP_2) | instskip(NEXT) | instid1(VALU_DEP_1)
	v_mov_b32_e32 v27, v37
	v_pk_mul_f32 v[26:27], v[26:27], s[28:29] op_sel_hi:[1,0]
	global_store_b64 v[18:19], v[26:27], off
	s_wait_xcnt 0x0
	s_or_b32 exec_lo, exec_lo, s5
	s_and_saveexec_b32 s5, s4
	s_cbranch_execz .LBB198_118
.LBB198_153:                            ;   in Loop: Header=BB198_4 Depth=1
	v_bfi_b32 v28, 0x7fffffff, v24, v23
	s_delay_alu instid0(VALU_DEP_1) | instskip(NEXT) | instid1(VALU_DEP_1)
	v_dual_mov_b32 v18, v29 :: v_dual_mov_b32 v19, v28
	v_pk_fma_f32 v[24:25], v[28:29], 0, v[18:19] op_sel_hi:[1,0,1] neg_lo:[1,0,0] neg_hi:[1,0,0]
	v_pk_fma_f32 v[18:19], v[28:29], 0, v[18:19] op_sel_hi:[1,0,1]
	s_delay_alu instid0(VALU_DEP_2) | instskip(NEXT) | instid1(VALU_DEP_1)
	v_mov_b32_e32 v19, v25
	v_pk_mul_f32 v[18:19], v[18:19], s[28:29] op_sel_hi:[1,0]
	global_store_b64 v[16:17], v[18:19], off
	s_wait_xcnt 0x0
	s_or_b32 exec_lo, exec_lo, s5
	s_and_saveexec_b32 s4, s2
	s_cbranch_execz .LBB198_119
.LBB198_154:                            ;   in Loop: Header=BB198_4 Depth=1
	v_bfi_b32 v30, 0x7fffffff, v22, v11
	s_delay_alu instid0(VALU_DEP_1) | instskip(NEXT) | instid1(VALU_DEP_1)
	v_dual_mov_b32 v10, v31 :: v_dual_mov_b32 v11, v30
	v_pk_fma_f32 v[16:17], v[30:31], 0, v[10:11] op_sel_hi:[1,0,1] neg_lo:[1,0,0] neg_hi:[1,0,0]
	v_pk_fma_f32 v[10:11], v[30:31], 0, v[10:11] op_sel_hi:[1,0,1]
	s_delay_alu instid0(VALU_DEP_2) | instskip(NEXT) | instid1(VALU_DEP_1)
	v_mov_b32_e32 v11, v17
	v_pk_mul_f32 v[10:11], v[10:11], s[28:29] op_sel_hi:[1,0]
	global_store_b64 v[14:15], v[10:11], off
	s_wait_xcnt 0x0
	s_or_b32 exec_lo, exec_lo, s4
	s_and_saveexec_b32 s2, s3
	s_cbranch_execz .LBB198_3
.LBB198_155:                            ;   in Loop: Header=BB198_4 Depth=1
	v_bfi_b32 v32, 0x7fffffff, v9, v21
	s_delay_alu instid0(VALU_DEP_1) | instskip(NEXT) | instid1(VALU_DEP_1)
	v_dual_mov_b32 v10, v33 :: v_dual_mov_b32 v11, v32
	v_pk_fma_f32 v[14:15], v[32:33], 0, v[10:11] op_sel_hi:[1,0,1] neg_lo:[1,0,0] neg_hi:[1,0,0]
	v_pk_fma_f32 v[10:11], v[32:33], 0, v[10:11] op_sel_hi:[1,0,1]
	s_delay_alu instid0(VALU_DEP_2) | instskip(NEXT) | instid1(VALU_DEP_1)
	v_mov_b32_e32 v11, v15
	v_pk_mul_f32 v[10:11], v[10:11], s[28:29] op_sel_hi:[1,0]
	global_store_b64 v[12:13], v[10:11], off
	s_branch .LBB198_3
.LBB198_156:
	s_cbranch_execz .LBB198_158
	s_branch .LBB198_297
.LBB198_157:
.LBB198_158:
	v_min_i64 v[10:11], 0x10000, s[16:17]
	v_dual_mov_b32 v3, 0 :: v_dual_lshlrev_b32 v2, 2, v0
	s_mov_b32 s2, exec_lo
	s_delay_alu instid0(VALU_DEP_1)
	v_cmpx_lt_i64_e64 v[2:3], v[10:11]
	s_cbranch_execz .LBB198_297
; %bb.159:
	s_load_b32 s0, s[0:1], 0xd3c
	v_mov_b64_e32 v[12:13], 0x3f800000bf800000
	v_dual_mov_b32 v1, v3 :: v_dual_mov_b32 v14, 0x3f317218
	v_mov_b32_e32 v30, 0x4016cbe4
	s_mov_b32 s9, 0
	s_mov_b32 s11, 0x3e9b6dac
	;; [unrolled: 1-line block ×5, first 2 shown]
	s_wait_kmcnt 0x0
	s_and_b32 s8, s0, 0xffff
	s_branch .LBB198_162
.LBB198_160:                            ;   in Loop: Header=BB198_162 Depth=1
	s_or_b32 exec_lo, exec_lo, s1
	s_delay_alu instid0(VALU_DEP_1) | instskip(SKIP_2) | instid1(VALU_DEP_2)
	v_cmp_gt_f32_e32 vcc_lo, 0x800000, v2
	v_cndmask_b32_e64 v4, 0, 32, vcc_lo
	v_cndmask_b32_e64 v15, 0, 0x41b17218, vcc_lo
	v_ldexp_f32 v2, v2, v4
	s_delay_alu instid0(VALU_DEP_1) | instskip(SKIP_1) | instid1(TRANS32_DEP_1)
	v_log_f32_e32 v2, v2
	v_nop
	v_mul_f32_e32 v4, 0x3f317217, v2
	v_cmp_gt_f32_e64 vcc_lo, 0x7f800000, |v2|
	s_delay_alu instid0(VALU_DEP_2) | instskip(NEXT) | instid1(VALU_DEP_1)
	v_fma_f32 v4, 0x3f317217, v2, -v4
	v_fmac_f32_e32 v4, 0x3377d1cf, v2
	s_delay_alu instid0(VALU_DEP_1) | instskip(NEXT) | instid1(VALU_DEP_1)
	v_fmac_f32_e32 v4, 0x3f317217, v2
	v_cndmask_b32_e32 v2, v2, v4, vcc_lo
	s_delay_alu instid0(VALU_DEP_1)
	v_dual_sub_f32 v25, v2, v15 :: v_dual_mov_b32 v2, 0x7fc00000
.LBB198_161:                            ;   in Loop: Header=BB198_162 Depth=1
	s_or_b32 exec_lo, exec_lo, s0
	v_bfi_b32 v22, 0x7fffffff, v8, v3
	v_dual_mov_b32 v8, v23 :: v_dual_mov_b32 v4, v21
	v_bfi_b32 v20, 0x7fffffff, v6, v9
	v_bfi_b32 v18, 0x7fffffff, v18, v7
	s_delay_alu instid0(VALU_DEP_4) | instskip(SKIP_3) | instid1(VALU_DEP_4)
	v_dual_mov_b32 v9, v22 :: v_dual_mov_b32 v6, v19
	v_bfi_b32 v24, 0x7fffffff, v2, v5
	v_add_nc_u64_e32 v[0:1], s[8:9], v[0:1]
	v_dual_mov_b32 v2, v25 :: v_dual_mov_b32 v5, v20
	v_pk_fma_f32 v[26:27], v[22:23], 0, v[8:9] op_sel_hi:[1,0,1] neg_lo:[1,0,0] neg_hi:[1,0,0]
	s_delay_alu instid0(VALU_DEP_4) | instskip(SKIP_1) | instid1(VALU_DEP_4)
	v_dual_mov_b32 v7, v18 :: v_dual_mov_b32 v3, v24
	v_pk_fma_f32 v[8:9], v[22:23], 0, v[8:9] op_sel_hi:[1,0,1]
	v_pk_fma_f32 v[22:23], v[20:21], 0, v[4:5] op_sel_hi:[1,0,1] neg_lo:[1,0,0] neg_hi:[1,0,0]
	s_delay_alu instid0(VALU_DEP_4)
	v_mov_b32_e32 v9, v27
	v_lshlrev_b64_e32 v[26:27], 2, v[0:1]
	v_pk_fma_f32 v[4:5], v[20:21], 0, v[4:5] op_sel_hi:[1,0,1]
	v_pk_fma_f32 v[20:21], v[18:19], 0, v[6:7] op_sel_hi:[1,0,1] neg_lo:[1,0,0] neg_hi:[1,0,0]
	v_pk_fma_f32 v[28:29], v[24:25], 0, v[2:3] op_sel_hi:[1,0,1] neg_lo:[1,0,0] neg_hi:[1,0,0]
	v_pk_fma_f32 v[6:7], v[18:19], 0, v[6:7] op_sel_hi:[1,0,1]
	v_mov_b32_e32 v5, v23
	v_pk_fma_f32 v[18:19], v[24:25], 0, v[2:3] op_sel_hi:[1,0,1]
	s_delay_alu instid0(VALU_DEP_4) | instskip(SKIP_3) | instid1(VALU_DEP_4)
	v_dual_mov_b32 v7, v21 :: v_dual_mov_b32 v19, v29
	v_cmp_ge_i64_e32 vcc_lo, v[26:27], v[10:11]
	v_pk_mul_f32 v[2:3], v[8:9], s[10:11] op_sel_hi:[1,0]
	v_pk_mul_f32 v[8:9], v[4:5], s[10:11] op_sel_hi:[1,0]
	;; [unrolled: 1-line block ×4, first 2 shown]
	s_clause 0x1
	global_store_b128 v[16:17], v[6:9], off
	global_store_b128 v[16:17], v[2:5], off offset:16
	s_or_b32 s13, vcc_lo, s13
	s_wait_xcnt 0x0
	s_and_not1_b32 exec_lo, exec_lo, s13
	s_cbranch_execz .LBB198_297
.LBB198_162:                            ; =>This Loop Header: Depth=1
                                        ;     Child Loop BB198_173 Depth 2
                                        ;     Child Loop BB198_207 Depth 2
	;; [unrolled: 1-line block ×4, first 2 shown]
	v_lshlrev_b64_e32 v[2:3], 5, v[0:1]
                                        ; implicit-def: $vgpr19
                                        ; implicit-def: $vgpr18
	s_mov_b32 s0, exec_lo
	s_delay_alu instid0(VALU_DEP_1)
	v_add_nc_u64_e32 v[16:17], s[14:15], v[2:3]
	s_clause 0x1
	global_load_b128 v[6:9], v[16:17], off
	global_load_b128 v[2:5], v[16:17], off offset:16
	s_wait_loadcnt 0x1
	s_wait_xcnt 0x0
	v_cmpx_o_f32_e32 v7, v6
	s_xor_b32 s16, exec_lo, s0
	s_cbranch_execz .LBB198_190
; %bb.163:                              ;   in Loop: Header=BB198_162 Depth=1
	v_cmp_lt_f32_e64 s0, |v6|, |v7|
                                        ; implicit-def: $vgpr19
                                        ; implicit-def: $vgpr18
	s_mov_b32 s2, exec_lo
	v_cndmask_b32_e64 v15, v7, v6, s0
	s_delay_alu instid0(VALU_DEP_1)
	v_cmpx_nlt_f32_e64 0x77f684df, |v15|
	s_xor_b32 s17, exec_lo, s2
	s_cbranch_execz .LBB198_187
; %bb.164:                              ;   in Loop: Header=BB198_162 Depth=1
	v_cndmask_b32_e64 v18, v6, v7, s0
	v_and_b32_e32 v20, 0x7fffffff, v15
                                        ; implicit-def: $vgpr19
	s_mov_b32 s1, exec_lo
	s_delay_alu instid0(VALU_DEP_2) | instskip(NEXT) | instid1(VALU_DEP_1)
	v_and_b32_e32 v21, 0x7fffffff, v18
                                        ; implicit-def: $vgpr18
	v_cmpx_neq_f32_e32 1.0, v21
	s_xor_b32 s18, exec_lo, s1
	s_cbranch_execz .LBB198_180
; %bb.165:                              ;   in Loop: Header=BB198_162 Depth=1
	v_dual_max_num_f32 v15, v20, v20 :: v_dual_max_num_f32 v18, v21, v21
	s_delay_alu instid0(VALU_DEP_1) | instskip(NEXT) | instid1(VALU_DEP_1)
	v_dual_min_num_f32 v19, v18, v15 :: v_dual_max_num_f32 v15, v18, v15
                                        ; implicit-def: $vgpr18
	v_cmp_ngt_f32_e32 vcc_lo, 0x358637bd, v19
	s_delay_alu instid0(VALU_DEP_2) | instskip(SKIP_1) | instid1(SALU_CYCLE_1)
	v_cmp_nlt_f32_e64 s1, 0x49742400, v15
                                        ; implicit-def: $vgpr19
	s_and_b32 s1, s1, vcc_lo
	s_and_saveexec_b32 s2, s1
	s_delay_alu instid0(SALU_CYCLE_1)
	s_xor_b32 s19, exec_lo, s2
	s_cbranch_execz .LBB198_177
; %bb.166:                              ;   in Loop: Header=BB198_162 Depth=1
                                        ; implicit-def: $vgpr19
                                        ; implicit-def: $vgpr18
	s_mov_b32 s1, exec_lo
	v_cmpx_le_f32_e32 1.0, v21
	s_xor_b32 s2, exec_lo, s1
	s_cbranch_execz .LBB198_168
; %bb.167:                              ;   in Loop: Header=BB198_162 Depth=1
	v_pk_add_f32 v[18:19], v[20:21], v[12:13] op_sel:[1,0]
	v_mov_b32_e32 v22, v20
	v_cmp_class_f32_e64 s3, v6, 0x204
	s_delay_alu instid0(VALU_DEP_3) | instskip(SKIP_1) | instid1(VALU_DEP_1)
	v_dual_mov_b32 v21, v18 :: v_dual_mov_b32 v23, v19
	v_mul_f32_e32 v18, v18, v19
	v_pk_fma_f32 v[18:19], v[20:21], v[22:23], v[18:19] op_sel_hi:[1,1,0]
	s_delay_alu instid0(VALU_DEP_1) | instskip(SKIP_1) | instid1(VALU_DEP_2)
	v_add_f32_e32 v21, 1.0, v18
	v_cmp_neq_f32_e64 s1, -1.0, v18
	v_frexp_mant_f32_e32 v20, v21
	v_add_f32_e32 v19, -1.0, v21
	s_delay_alu instid0(VALU_DEP_2) | instskip(NEXT) | instid1(VALU_DEP_2)
	v_cmp_gt_f32_e32 vcc_lo, 0x3f2aaaab, v20
	v_mov_b32_e32 v20, v19
	v_cvt_f64_f32_e32 v[22:23], v21
	s_delay_alu instid0(VALU_DEP_1) | instskip(NEXT) | instid1(VALU_DEP_1)
	v_frexp_exp_i32_f64_e32 v15, v[22:23]
	v_subrev_co_ci_u32_e64 v15, null, 0, v15, vcc_lo
	v_cmp_neq_f32_e32 vcc_lo, 0x7f800000, v18
	s_delay_alu instid0(VALU_DEP_2) | instskip(SKIP_1) | instid1(VALU_DEP_2)
	v_sub_nc_u32_e32 v24, 0, v15
	v_pk_add_f32 v[22:23], v[18:19], v[20:21] neg_lo:[0,1] neg_hi:[0,1]
	v_ldexp_f32 v19, v21, v24
	s_delay_alu instid0(VALU_DEP_2) | instskip(NEXT) | instid1(VALU_DEP_2)
	v_add_f32_e32 v20, 1.0, v23
	v_add_f32_e32 v23, 1.0, v19
	s_delay_alu instid0(VALU_DEP_1) | instskip(NEXT) | instid1(VALU_DEP_1)
	v_dual_add_f32 v21, -1.0, v23 :: v_dual_add_f32 v20, v22, v20
	v_dual_add_f32 v25, -1.0, v19 :: v_dual_sub_f32 v21, v19, v21
	s_delay_alu instid0(VALU_DEP_2) | instskip(NEXT) | instid1(VALU_DEP_1)
	v_ldexp_f32 v20, v20, v24
	v_add_f32_e32 v24, v20, v21
	s_delay_alu instid0(VALU_DEP_1) | instskip(NEXT) | instid1(VALU_DEP_1)
	v_dual_add_f32 v22, 1.0, v25 :: v_dual_add_f32 v26, v23, v24
	v_sub_f32_e32 v19, v19, v22
	s_delay_alu instid0(VALU_DEP_2) | instskip(NEXT) | instid1(VALU_DEP_1)
	v_rcp_f32_e32 v27, v26
	v_add_f32_e32 v19, v20, v19
	v_sub_f32_e32 v20, v26, v23
	s_delay_alu instid0(VALU_DEP_1)
	v_dual_add_f32 v21, v25, v19 :: v_dual_sub_f32 v29, v24, v20
	s_delay_alu instid0(TRANS32_DEP_1) | instid1(VALU_DEP_1)
	v_mul_f32_e32 v28, v21, v27
	s_delay_alu instid0(VALU_DEP_1) | instskip(NEXT) | instid1(VALU_DEP_1)
	v_mul_f32_e32 v22, v26, v28
	v_fma_f32 v24, v28, v26, -v22
	s_delay_alu instid0(VALU_DEP_1) | instskip(NEXT) | instid1(VALU_DEP_1)
	v_fmac_f32_e32 v24, v28, v29
	v_dual_add_f32 v20, v22, v24 :: v_dual_sub_f32 v31, v21, v25
	s_delay_alu instid0(VALU_DEP_1) | instskip(NEXT) | instid1(VALU_DEP_2)
	v_dual_mov_b32 v25, v20 :: v_dual_sub_f32 v23, v21, v20
	v_sub_f32_e32 v19, v19, v31
	s_delay_alu instid0(VALU_DEP_2) | instskip(NEXT) | instid1(VALU_DEP_1)
	v_pk_add_f32 v[20:21], v[20:21], v[22:23] neg_lo:[0,1] neg_hi:[0,1]
	v_pk_add_f32 v[20:21], v[20:21], v[24:25] neg_lo:[0,1] neg_hi:[0,1]
	s_delay_alu instid0(VALU_DEP_1) | instskip(NEXT) | instid1(VALU_DEP_1)
	v_add_f32_e32 v19, v19, v21
	v_add_f32_e32 v19, v20, v19
	s_delay_alu instid0(VALU_DEP_1) | instskip(NEXT) | instid1(VALU_DEP_1)
	v_add_f32_e32 v21, v23, v19
	v_mul_f32_e32 v31, v27, v21
	s_delay_alu instid0(VALU_DEP_1) | instskip(NEXT) | instid1(VALU_DEP_1)
	v_mul_f32_e32 v24, v26, v31
	v_fma_f32 v22, v31, v26, -v24
	v_sub_f32_e32 v26, v23, v21
	s_delay_alu instid0(VALU_DEP_2) | instskip(NEXT) | instid1(VALU_DEP_2)
	v_fmac_f32_e32 v22, v31, v29
	v_dual_add_f32 v19, v19, v26 :: v_dual_add_f32 v26, v28, v31
	s_delay_alu instid0(VALU_DEP_2) | instskip(NEXT) | instid1(VALU_DEP_1)
	v_add_f32_e32 v20, v24, v22
	v_dual_mov_b32 v23, v20 :: v_dual_sub_f32 v25, v21, v20
	s_delay_alu instid0(VALU_DEP_1) | instskip(NEXT) | instid1(VALU_DEP_1)
	v_pk_add_f32 v[20:21], v[20:21], v[24:25] neg_lo:[0,1] neg_hi:[0,1]
	v_pk_add_f32 v[20:21], v[20:21], v[22:23] neg_lo:[0,1] neg_hi:[0,1]
	s_delay_alu instid0(VALU_DEP_1) | instskip(NEXT) | instid1(VALU_DEP_1)
	v_add_f32_e32 v19, v19, v21
	v_dual_add_f32 v19, v20, v19 :: v_dual_sub_f32 v20, v26, v28
	s_delay_alu instid0(VALU_DEP_1) | instskip(NEXT) | instid1(VALU_DEP_1)
	v_dual_add_f32 v19, v25, v19 :: v_dual_sub_f32 v20, v31, v20
	v_mul_f32_e32 v19, v27, v19
	s_delay_alu instid0(VALU_DEP_1) | instskip(SKIP_1) | instid1(VALU_DEP_2)
	v_add_f32_e32 v19, v20, v19
	v_cvt_f32_i32_e32 v20, v15
	v_add_f32_e32 v27, v26, v19
	s_delay_alu instid0(VALU_DEP_1) | instskip(SKIP_1) | instid1(VALU_DEP_2)
	v_mul_f32_e32 v22, v27, v27
	v_ldexp_f32 v25, v27, 1
	v_fmaak_f32 v23, s11, v22, 0x3ecc95a3
	v_mul_f32_e32 v21, v27, v22
	s_delay_alu instid0(VALU_DEP_2) | instskip(NEXT) | instid1(VALU_DEP_1)
	v_fmaak_f32 v15, v22, v23, 0x3f2aaada
	v_pk_mul_f32 v[22:23], v[20:21], v[14:15]
	v_sub_f32_e32 v15, v27, v26
	s_delay_alu instid0(VALU_DEP_2) | instskip(NEXT) | instid1(VALU_DEP_2)
	v_fma_f32 v24, 0x3f317218, v20, -v22
	v_dual_sub_f32 v15, v19, v15 :: v_dual_mov_b32 v26, v22
	s_delay_alu instid0(VALU_DEP_2) | instskip(NEXT) | instid1(VALU_DEP_2)
	v_fmac_f32_e32 v24, 0xb102e308, v20
	v_ldexp_f32 v15, v15, 1
	s_delay_alu instid0(VALU_DEP_2) | instskip(NEXT) | instid1(VALU_DEP_1)
	v_pk_add_f32 v[20:21], v[22:23], v[24:25]
	v_dual_sub_f32 v19, v21, v25 :: v_dual_mov_b32 v36, v21
	s_delay_alu instid0(VALU_DEP_1) | instskip(SKIP_1) | instid1(VALU_DEP_2)
	v_dual_mov_b32 v25, v20 :: v_dual_sub_f32 v19, v23, v19
	v_pk_add_f32 v[22:23], v[20:21], v[22:23] neg_lo:[0,1] neg_hi:[0,1]
	v_add_f32_e32 v27, v15, v19
	v_max_num_f32_e64 v15, |v7|, |v7|
	v_max_num_f32_e64 v19, |v6|, |v6|
	s_delay_alu instid0(VALU_DEP_3) | instskip(NEXT) | instid1(VALU_DEP_2)
	v_pk_add_f32 v[28:29], v[20:21], v[26:27]
	v_dual_max_num_f32 v31, v19, v15 :: v_dual_min_num_f32 v15, v19, v15
	s_delay_alu instid0(VALU_DEP_2) | instskip(NEXT) | instid1(VALU_DEP_2)
	v_mov_b32_e32 v23, v29
	v_frexp_exp_i32_f32_e32 v19, v31
	s_delay_alu instid0(VALU_DEP_3) | instskip(SKIP_1) | instid1(VALU_DEP_4)
	v_frexp_mant_f32_e32 v38, v15
	v_frexp_mant_f32_e32 v31, v31
	v_pk_add_f32 v[32:33], v[24:25], v[22:23]
	v_frexp_exp_i32_f32_e32 v32, v15
	v_pk_add_f32 v[22:23], v[24:25], v[22:23] neg_lo:[0,1] neg_hi:[0,1]
	s_delay_alu instid0(VALU_DEP_4) | instskip(NEXT) | instid1(VALU_DEP_2)
	v_rcp_f32_e32 v31, v31
	v_dual_mov_b32 v26, v33 :: v_dual_sub_nc_u32 v19, v32, v19
	s_delay_alu instid0(VALU_DEP_1) | instskip(SKIP_1) | instid1(VALU_DEP_2)
	v_pk_add_f32 v[34:35], v[26:27], v[20:21] neg_lo:[0,1] neg_hi:[0,1]
	v_dual_mov_b32 v32, v29 :: v_dual_mov_b32 v21, v20
	v_dual_mov_b32 v20, v27 :: v_dual_mov_b32 v37, v34
	v_mov_b32_e32 v15, v34
	s_delay_alu instid0(VALU_DEP_2) | instskip(NEXT) | instid1(VALU_DEP_2)
	v_pk_add_f32 v[24:25], v[32:33], v[36:37] neg_lo:[0,1] neg_hi:[0,1]
	v_pk_add_f32 v[28:29], v[28:29], v[14:15] neg_lo:[0,1] neg_hi:[0,1]
	v_mov_b32_e32 v28, v22
	s_delay_alu instid0(VALU_DEP_3) | instskip(NEXT) | instid1(VALU_DEP_1)
	v_pk_add_f32 v[20:21], v[20:21], v[24:25] neg_lo:[0,1] neg_hi:[0,1]
	v_pk_add_f32 v[24:25], v[28:29], v[20:21]
	s_delay_alu instid0(VALU_DEP_1) | instskip(NEXT) | instid1(VALU_DEP_1)
	v_dual_mul_f32 v23, v38, v31 :: v_dual_mov_b32 v28, v25
	v_ldexp_f32 v15, v23, v19
	v_mov_b32_e32 v23, v33
	s_delay_alu instid0(VALU_DEP_3) | instskip(NEXT) | instid1(VALU_DEP_3)
	v_pk_add_f32 v[28:29], v[24:25], v[28:29]
	v_mul_f32_e32 v19, v15, v15
	s_delay_alu instid0(VALU_DEP_2) | instskip(NEXT) | instid1(VALU_DEP_1)
	v_pk_add_f32 v[26:27], v[26:27], v[28:29]
	v_mov_b32_e32 v25, v26
	s_delay_alu instid0(VALU_DEP_1) | instskip(NEXT) | instid1(VALU_DEP_1)
	v_pk_add_f32 v[32:33], v[24:25], v[22:23] neg_lo:[0,1] neg_hi:[0,1]
	v_dual_fmaak_f32 v21, s12, v19, 0xbc7a590c :: v_dual_sub_f32 v24, v24, v32
	s_delay_alu instid0(VALU_DEP_1) | instskip(NEXT) | instid1(VALU_DEP_1)
	v_dual_fmaak_f32 v21, v19, v21, 0x3d29fb3f :: v_dual_sub_f32 v22, v22, v24
	v_fmaak_f32 v21, v19, v21, 0xbd97d4d7
	s_delay_alu instid0(VALU_DEP_1) | instskip(NEXT) | instid1(VALU_DEP_1)
	v_fmaak_f32 v21, v19, v21, 0x3dd931b2
	v_fmaak_f32 v23, v19, v21, 0xbe1160e6
	v_mov_b32_e32 v21, v28
	s_delay_alu instid0(VALU_DEP_1) | instskip(NEXT) | instid1(VALU_DEP_1)
	v_pk_add_f32 v[20:21], v[20:21], v[32:33] neg_lo:[0,1] neg_hi:[0,1]
	v_add_f32_e32 v20, v20, v22
	s_delay_alu instid0(VALU_DEP_1) | instskip(NEXT) | instid1(VALU_DEP_1)
	v_dual_add_f32 v20, v20, v21 :: v_dual_fmaak_f32 v23, v19, v23, 0x3e4cb8bf
	v_fmaak_f32 v23, v19, v23, 0xbeaaaa62
	s_delay_alu instid0(VALU_DEP_1) | instskip(NEXT) | instid1(VALU_DEP_1)
	v_mul_f32_e32 v19, v19, v23
	v_dual_fmac_f32 v15, v15, v19 :: v_dual_add_f32 v19, v26, v20
	s_delay_alu instid0(VALU_DEP_1) | instskip(NEXT) | instid1(VALU_DEP_2)
	v_sub_f32_e32 v20, 0x3fc90fdb, v15
	v_cndmask_b32_e32 v19, 0x7f800000, v19, vcc_lo
	v_cmp_gt_i32_e32 vcc_lo, 0, v6
	s_delay_alu instid0(VALU_DEP_3) | instskip(SKIP_2) | instid1(VALU_DEP_3)
	v_cndmask_b32_e64 v15, v15, v20, s0
	v_cndmask_b32_e64 v20, 0, 0x40490fdb, vcc_lo
	v_cmp_ngt_f32_e32 vcc_lo, -1.0, v18
	v_sub_f32_e32 v21, 0x40490fdb, v15
	v_cndmask_b32_e32 v19, 0x7fc00000, v19, vcc_lo
	v_cmp_gt_f32_e32 vcc_lo, 0, v6
	s_delay_alu instid0(VALU_DEP_2) | instskip(NEXT) | instid1(VALU_DEP_4)
	v_cndmask_b32_e64 v19, 0xff800000, v19, s1
	v_cndmask_b32_e32 v15, v15, v21, vcc_lo
	v_cndmask_b32_e32 v21, 0x3f490fdb, v30, vcc_lo
	v_cmp_gt_f32_e64 vcc_lo, 0x33800000, |v18|
	v_cmp_class_f32_e64 s1, v7, 0x204
	v_cndmask_b32_e32 v18, v19, v18, vcc_lo
	v_cmp_eq_f32_e32 vcc_lo, 0, v7
	s_delay_alu instid0(VALU_DEP_2) | instskip(SKIP_1) | instid1(VALU_DEP_1)
	v_dual_mul_f32 v19, 0.5, v18 :: v_dual_cndmask_b32 v15, v15, v20, vcc_lo
	s_and_b32 vcc_lo, s3, s1
	v_cndmask_b32_e32 v18, v15, v21, vcc_lo
                                        ; implicit-def: $vgpr20_vgpr21
.LBB198_168:                            ;   in Loop: Header=BB198_162 Depth=1
	s_and_not1_saveexec_b32 s20, s2
	s_cbranch_execz .LBB198_176
; %bb.169:                              ;   in Loop: Header=BB198_162 Depth=1
	v_pk_mul_f32 v[18:19], v[20:21], v[20:21]
	s_mov_b32 s1, exec_lo
	s_delay_alu instid0(VALU_DEP_1) | instskip(NEXT) | instid1(VALU_DEP_1)
	v_add_f32_e32 v15, v19, v18
                                        ; implicit-def: $vgpr19
                                        ; implicit-def: $vgpr18
	v_cmpx_ge_f32_e32 0x3f333333, v15
	s_xor_b32 s2, exec_lo, s1
	s_cbranch_execz .LBB198_171
; %bb.170:                              ;   in Loop: Header=BB198_162 Depth=1
	v_max_num_f32_e64 v18, |v7|, |v7|
	v_max_num_f32_e64 v19, |v6|, |v6|
	v_cmp_gt_f32_e32 vcc_lo, 0x800000, v15
	v_cmp_gt_i32_e64 s1, 0, v6
	v_cmp_class_f32_e64 s3, v6, 0x204
	v_cmp_class_f32_e64 s4, v7, 0x204
	v_dual_max_num_f32 v20, v19, v18 :: v_dual_min_num_f32 v18, v19, v18
	v_cndmask_b32_e64 v22, 0, 0x41b17218, vcc_lo
	s_delay_alu instid0(VALU_DEP_2) | instskip(SKIP_1) | instid1(VALU_DEP_2)
	v_frexp_mant_f32_e32 v21, v20
	v_frexp_exp_i32_f32_e32 v19, v20
	v_rcp_f32_e32 v20, v21
	v_nop
	v_frexp_exp_i32_f32_e32 v21, v18
	v_frexp_mant_f32_e32 v18, v18
	s_delay_alu instid0(TRANS32_DEP_1) | instid1(VALU_DEP_1)
	v_dual_mul_f32 v18, v18, v20 :: v_dual_sub_nc_u32 v19, v21, v19
	v_cndmask_b32_e64 v21, 0, 32, vcc_lo
	s_delay_alu instid0(VALU_DEP_2) | instskip(NEXT) | instid1(VALU_DEP_2)
	v_ldexp_f32 v18, v18, v19
	v_ldexp_f32 v15, v15, v21
	s_delay_alu instid0(VALU_DEP_1) | instskip(NEXT) | instid1(VALU_DEP_2)
	v_log_f32_e32 v15, v15
	v_mul_f32_e32 v19, v18, v18
	s_delay_alu instid0(VALU_DEP_1) | instskip(NEXT) | instid1(TRANS32_DEP_1)
	v_fmaak_f32 v20, s12, v19, 0xbc7a590c
	v_cmp_gt_f32_e64 vcc_lo, 0x7f800000, |v15|
	s_delay_alu instid0(VALU_DEP_2) | instskip(NEXT) | instid1(VALU_DEP_1)
	v_fmaak_f32 v20, v19, v20, 0x3d29fb3f
	v_fmaak_f32 v20, v19, v20, 0xbd97d4d7
	s_delay_alu instid0(VALU_DEP_1) | instskip(NEXT) | instid1(VALU_DEP_1)
	v_fmaak_f32 v20, v19, v20, 0x3dd931b2
	v_fmaak_f32 v20, v19, v20, 0xbe1160e6
	s_delay_alu instid0(VALU_DEP_1) | instskip(NEXT) | instid1(VALU_DEP_1)
	;; [unrolled: 3-line block ×3, first 2 shown]
	v_dual_mul_f32 v19, v19, v20 :: v_dual_mul_f32 v20, 0x3f317217, v15
	v_fmac_f32_e32 v18, v18, v19
	s_delay_alu instid0(VALU_DEP_2) | instskip(NEXT) | instid1(VALU_DEP_1)
	v_fma_f32 v19, 0x3f317217, v15, -v20
	v_fmac_f32_e32 v19, 0x3377d1cf, v15
	s_delay_alu instid0(VALU_DEP_1) | instskip(NEXT) | instid1(VALU_DEP_1)
	v_fmac_f32_e32 v19, 0x3f317217, v15
	v_dual_cndmask_b32 v15, v15, v19 :: v_dual_sub_f32 v20, 0x3fc90fdb, v18
	v_cmp_gt_f32_e32 vcc_lo, 0, v6
	s_delay_alu instid0(VALU_DEP_2) | instskip(SKIP_2) | instid1(VALU_DEP_3)
	v_dual_sub_f32 v15, v15, v22 :: v_dual_cndmask_b32 v18, v18, v20, s0
	v_cndmask_b32_e64 v20, 0, 0x40490fdb, s1
	v_cmp_eq_f32_e64 s1, 0, v7
	v_mul_f32_e32 v19, 0.5, v15
	s_delay_alu instid0(VALU_DEP_4) | instskip(NEXT) | instid1(VALU_DEP_1)
	v_sub_f32_e32 v21, 0x40490fdb, v18
	v_cndmask_b32_e32 v18, v18, v21, vcc_lo
	s_delay_alu instid0(VALU_DEP_1) | instskip(SKIP_2) | instid1(VALU_DEP_1)
	v_cndmask_b32_e64 v18, v18, v20, s1
	v_cndmask_b32_e32 v20, 0x3f490fdb, v30, vcc_lo
	s_and_b32 vcc_lo, s3, s4
	v_cndmask_b32_e32 v18, v18, v20, vcc_lo
                                        ; implicit-def: $vgpr20
.LBB198_171:                            ;   in Loop: Header=BB198_162 Depth=1
	s_and_not1_saveexec_b32 s21, s2
	s_cbranch_execz .LBB198_175
; %bb.172:                              ;   in Loop: Header=BB198_162 Depth=1
	v_and_b32_e32 v19, 0x7fff0000, v20
	v_and_b32_e32 v18, 0x7fff0000, v21
	s_mov_b32 s22, 0
	s_delay_alu instid0(VALU_DEP_1) | instskip(SKIP_2) | instid1(VALU_DEP_2)
	v_dual_add_f32 v27, v19, v19 :: v_dual_add_f32 v24, v18, v18
	v_pk_add_f32 v[20:21], v[20:21], v[18:19] op_sel:[1,0] op_sel_hi:[0,1] neg_lo:[0,1] neg_hi:[0,1]
	v_pk_mul_f32 v[18:19], v[18:19], v[18:19]
	v_and_b32_e32 v23, 0xffff0000, v21
	s_delay_alu instid0(VALU_DEP_3) | instskip(NEXT) | instid1(VALU_DEP_1)
	v_and_b32_e32 v22, 0xffff0000, v20
	v_dual_add_f32 v31, v23, v23 :: v_dual_add_f32 v29, v22, v22
	v_pk_add_f32 v[20:21], v[20:21], v[22:23] neg_lo:[0,1] neg_hi:[0,1]
	v_dual_mul_f32 v15, v24, v22 :: v_dual_mul_f32 v26, v27, v23
	v_pk_mul_f32 v[22:23], v[22:23], v[22:23]
	s_delay_alu instid0(VALU_DEP_3)
	v_dual_mul_f32 v25, v24, v20 :: v_dual_mul_f32 v28, v27, v21
	v_dual_mul_f32 v24, v29, v20 :: v_dual_mul_f32 v27, v31, v21
	v_pk_mul_f32 v[20:21], v[20:21], v[20:21]
.LBB198_173:                            ;   Parent Loop BB198_162 Depth=1
                                        ; =>  This Inner Loop Header: Depth=2
	v_cmp_nlt_f32_e32 vcc_lo, v18, v19
	v_dual_cndmask_b32 v29, v18, v19 :: v_dual_cndmask_b32 v18, v19, v18
	s_delay_alu instid0(VALU_DEP_1) | instskip(NEXT) | instid1(VALU_DEP_1)
	v_cmp_nlt_f32_e64 s1, v29, v15
	v_dual_cndmask_b32 v31, v29, v15, s1 :: v_dual_cndmask_b32 v19, v15, v29, s1
	s_and_b32 s1, vcc_lo, s1
	s_delay_alu instid0(VALU_DEP_1) | instskip(NEXT) | instid1(VALU_DEP_1)
	v_cmp_nlt_f32_e64 s2, v31, v26
	v_dual_cndmask_b32 v32, v31, v26, s2 :: v_dual_cndmask_b32 v15, v26, v31, s2
	s_delay_alu instid0(VALU_DEP_1) | instskip(NEXT) | instid1(VALU_DEP_1)
	v_cmp_nlt_f32_e64 s3, v32, v22
	v_cndmask_b32_e64 v29, v32, v22, s3
	s_and_b32 s23, s2, s3
	v_cndmask_b32_e64 v26, v22, v32, s3
	s_delay_alu instid0(VALU_DEP_2) | instskip(NEXT) | instid1(VALU_DEP_1)
	v_cmp_nlt_f32_e64 s4, v29, v23
	v_cndmask_b32_e64 v31, v29, v23, s4
	s_delay_alu instid0(VALU_DEP_1) | instskip(NEXT) | instid1(VALU_DEP_1)
	v_cmp_nlt_f32_e64 s5, v31, v25
	v_cndmask_b32_e64 v33, v31, v25, s5
	v_cndmask_b32_e64 v22, v23, v29, s4
	s_and_b32 s4, s4, s5
	v_cndmask_b32_e64 v23, v25, v31, s5
	s_delay_alu instid0(VALU_DEP_3) | instskip(NEXT) | instid1(VALU_DEP_1)
	v_cmp_nlt_f32_e64 s6, v33, v28
	v_cndmask_b32_e64 v34, v33, v28, s6
	s_and_b32 s4, s4, s6
	s_delay_alu instid0(VALU_DEP_1) | instskip(NEXT) | instid1(VALU_DEP_1)
	v_cmp_nlt_f32_e64 s7, v34, v24
	v_cndmask_b32_e64 v32, v34, v24, s7
	s_and_b32 s5, s4, s7
	s_delay_alu instid0(VALU_DEP_1) | instskip(NEXT) | instid1(VALU_DEP_1)
	v_cmp_nlt_f32_e64 s2, v32, v27
	v_cndmask_b32_e64 v29, v32, v27, s2
	v_cndmask_b32_e64 v25, v28, v33, s6
	v_dual_cndmask_b32 v28, v24, v34, s7 :: v_dual_cndmask_b32 v24, v27, v32, s2
	s_and_b32 s2, s5, s2
	s_delay_alu instid0(VALU_DEP_3) | instskip(NEXT) | instid1(VALU_DEP_1)
	v_cmp_nlt_f32_e64 s3, v29, v20
	v_cndmask_b32_e64 v31, v29, v20, s3
	s_and_b32 s2, s2, s3
	v_cndmask_b32_e64 v27, v20, v29, s3
	s_delay_alu instid0(VALU_DEP_2)
	v_cmp_nlt_f32_e64 s4, v31, v21
	s_and_b32 s2, s2, s4
	v_cndmask_b32_e64 v20, v21, v31, s4
	s_and_b32 s2, s2, s23
	v_cndmask_b32_e64 v21, v31, v21, s4
	s_and_b32 s1, s2, s1
	s_delay_alu instid0(SALU_CYCLE_1) | instskip(NEXT) | instid1(SALU_CYCLE_1)
	s_and_b32 s1, exec_lo, s1
	s_or_b32 s22, s1, s22
	s_delay_alu instid0(SALU_CYCLE_1)
	s_and_not1_b32 exec_lo, exec_lo, s22
	s_cbranch_execnz .LBB198_173
; %bb.174:                              ;   in Loop: Header=BB198_162 Depth=1
	s_or_b32 exec_lo, exec_lo, s22
	v_add_f32_e32 v18, -1.0, v18
	v_cmp_class_f32_e64 s2, v6, 0x204
	s_delay_alu instid0(VALU_DEP_2) | instskip(NEXT) | instid1(VALU_DEP_1)
	v_add_f32_e32 v18, v18, v19
	v_add_f32_e32 v15, v18, v15
	s_delay_alu instid0(VALU_DEP_1) | instskip(NEXT) | instid1(VALU_DEP_1)
	v_add_f32_e32 v15, v15, v26
	v_add_f32_e32 v15, v15, v22
	s_delay_alu instid0(VALU_DEP_1) | instskip(NEXT) | instid1(VALU_DEP_1)
	v_add_f32_e32 v15, v15, v23
	v_add_f32_e32 v15, v15, v25
	s_delay_alu instid0(VALU_DEP_1) | instskip(NEXT) | instid1(VALU_DEP_1)
	v_add_f32_e32 v15, v15, v28
	v_add_f32_e32 v15, v15, v24
	s_delay_alu instid0(VALU_DEP_1) | instskip(NEXT) | instid1(VALU_DEP_1)
	v_add_f32_e32 v15, v15, v27
	v_add_f32_e32 v15, v15, v20
	s_delay_alu instid0(VALU_DEP_1) | instskip(NEXT) | instid1(VALU_DEP_1)
	v_add_f32_e32 v18, v21, v15
	v_add_f32_e32 v21, 1.0, v18
	s_delay_alu instid0(VALU_DEP_1) | instskip(SKIP_2) | instid1(VALU_DEP_2)
	v_cvt_f64_f32_e32 v[22:23], v21
	v_frexp_mant_f32_e32 v20, v21
	v_add_f32_e32 v19, -1.0, v21
	v_cmp_gt_f32_e32 vcc_lo, 0x3f2aaaab, v20
	s_delay_alu instid0(VALU_DEP_2) | instskip(SKIP_2) | instid1(VALU_DEP_3)
	v_mov_b32_e32 v20, v19
	v_cmp_neq_f32_e64 s1, -1.0, v18
	v_frexp_exp_i32_f64_e32 v15, v[22:23]
	v_pk_add_f32 v[22:23], v[18:19], v[20:21] neg_lo:[0,1] neg_hi:[0,1]
	s_delay_alu instid0(VALU_DEP_1) | instskip(NEXT) | instid1(VALU_DEP_1)
	v_add_f32_e32 v20, 1.0, v23
	v_add_f32_e32 v20, v22, v20
	s_delay_alu instid0(VALU_DEP_4) | instskip(SKIP_1) | instid1(VALU_DEP_2)
	v_subrev_co_ci_u32_e64 v15, null, 0, v15, vcc_lo
	v_cmp_neq_f32_e32 vcc_lo, 0x7f800000, v18
	v_sub_nc_u32_e32 v24, 0, v15
	s_delay_alu instid0(VALU_DEP_1) | instskip(NEXT) | instid1(VALU_DEP_1)
	v_ldexp_f32 v19, v21, v24
	v_dual_add_f32 v23, 1.0, v19 :: v_dual_add_f32 v25, -1.0, v19
	s_delay_alu instid0(VALU_DEP_1) | instskip(NEXT) | instid1(VALU_DEP_1)
	v_add_f32_e32 v21, -1.0, v23
	v_sub_f32_e32 v21, v19, v21
	v_ldexp_f32 v20, v20, v24
	s_delay_alu instid0(VALU_DEP_1) | instskip(NEXT) | instid1(VALU_DEP_1)
	v_add_f32_e32 v24, v20, v21
	v_dual_add_f32 v22, 1.0, v25 :: v_dual_add_f32 v26, v23, v24
	s_delay_alu instid0(VALU_DEP_1) | instskip(NEXT) | instid1(VALU_DEP_2)
	v_sub_f32_e32 v19, v19, v22
	v_rcp_f32_e32 v27, v26
	s_delay_alu instid0(VALU_DEP_1) | instskip(SKIP_1) | instid1(VALU_DEP_1)
	v_add_f32_e32 v19, v20, v19
	v_sub_f32_e32 v20, v26, v23
	v_dual_add_f32 v21, v25, v19 :: v_dual_sub_f32 v29, v24, v20
	s_delay_alu instid0(TRANS32_DEP_1) | instid1(VALU_DEP_1)
	v_mul_f32_e32 v28, v21, v27
	s_delay_alu instid0(VALU_DEP_1) | instskip(NEXT) | instid1(VALU_DEP_1)
	v_mul_f32_e32 v22, v26, v28
	v_fma_f32 v24, v28, v26, -v22
	s_delay_alu instid0(VALU_DEP_1) | instskip(NEXT) | instid1(VALU_DEP_1)
	v_fmac_f32_e32 v24, v28, v29
	v_dual_add_f32 v20, v22, v24 :: v_dual_sub_f32 v31, v21, v25
	s_delay_alu instid0(VALU_DEP_1) | instskip(NEXT) | instid1(VALU_DEP_2)
	v_dual_mov_b32 v25, v20 :: v_dual_sub_f32 v23, v21, v20
	v_sub_f32_e32 v19, v19, v31
	s_delay_alu instid0(VALU_DEP_2) | instskip(NEXT) | instid1(VALU_DEP_1)
	v_pk_add_f32 v[20:21], v[20:21], v[22:23] neg_lo:[0,1] neg_hi:[0,1]
	v_pk_add_f32 v[20:21], v[20:21], v[24:25] neg_lo:[0,1] neg_hi:[0,1]
	s_delay_alu instid0(VALU_DEP_1) | instskip(NEXT) | instid1(VALU_DEP_1)
	v_add_f32_e32 v19, v19, v21
	v_add_f32_e32 v19, v20, v19
	s_delay_alu instid0(VALU_DEP_1) | instskip(NEXT) | instid1(VALU_DEP_1)
	v_add_f32_e32 v21, v23, v19
	v_mul_f32_e32 v31, v27, v21
	s_delay_alu instid0(VALU_DEP_1) | instskip(NEXT) | instid1(VALU_DEP_1)
	v_mul_f32_e32 v24, v26, v31
	v_fma_f32 v22, v31, v26, -v24
	v_sub_f32_e32 v26, v23, v21
	s_delay_alu instid0(VALU_DEP_2) | instskip(NEXT) | instid1(VALU_DEP_2)
	v_fmac_f32_e32 v22, v31, v29
	v_dual_add_f32 v19, v19, v26 :: v_dual_add_f32 v26, v28, v31
	s_delay_alu instid0(VALU_DEP_2) | instskip(NEXT) | instid1(VALU_DEP_1)
	v_add_f32_e32 v20, v24, v22
	v_dual_mov_b32 v23, v20 :: v_dual_sub_f32 v25, v21, v20
	s_delay_alu instid0(VALU_DEP_1) | instskip(NEXT) | instid1(VALU_DEP_1)
	v_pk_add_f32 v[20:21], v[20:21], v[24:25] neg_lo:[0,1] neg_hi:[0,1]
	v_pk_add_f32 v[20:21], v[20:21], v[22:23] neg_lo:[0,1] neg_hi:[0,1]
	s_delay_alu instid0(VALU_DEP_1) | instskip(NEXT) | instid1(VALU_DEP_1)
	v_add_f32_e32 v19, v19, v21
	v_dual_add_f32 v19, v20, v19 :: v_dual_sub_f32 v20, v26, v28
	s_delay_alu instid0(VALU_DEP_1) | instskip(NEXT) | instid1(VALU_DEP_1)
	v_dual_add_f32 v19, v25, v19 :: v_dual_sub_f32 v20, v31, v20
	v_mul_f32_e32 v19, v27, v19
	s_delay_alu instid0(VALU_DEP_1) | instskip(SKIP_1) | instid1(VALU_DEP_2)
	v_add_f32_e32 v19, v20, v19
	v_cvt_f32_i32_e32 v20, v15
	v_add_f32_e32 v27, v26, v19
	s_delay_alu instid0(VALU_DEP_1) | instskip(SKIP_1) | instid1(VALU_DEP_2)
	v_mul_f32_e32 v22, v27, v27
	v_ldexp_f32 v25, v27, 1
	v_fmaak_f32 v23, s11, v22, 0x3ecc95a3
	v_mul_f32_e32 v21, v27, v22
	s_delay_alu instid0(VALU_DEP_2) | instskip(NEXT) | instid1(VALU_DEP_1)
	v_fmaak_f32 v15, v22, v23, 0x3f2aaada
	v_pk_mul_f32 v[22:23], v[20:21], v[14:15]
	v_sub_f32_e32 v15, v27, v26
	s_delay_alu instid0(VALU_DEP_2) | instskip(NEXT) | instid1(VALU_DEP_2)
	v_fma_f32 v24, 0x3f317218, v20, -v22
	v_dual_sub_f32 v15, v19, v15 :: v_dual_mov_b32 v26, v22
	s_delay_alu instid0(VALU_DEP_2) | instskip(NEXT) | instid1(VALU_DEP_2)
	v_fmac_f32_e32 v24, 0xb102e308, v20
	v_ldexp_f32 v15, v15, 1
	s_delay_alu instid0(VALU_DEP_2) | instskip(NEXT) | instid1(VALU_DEP_1)
	v_pk_add_f32 v[20:21], v[22:23], v[24:25]
	v_dual_sub_f32 v19, v21, v25 :: v_dual_mov_b32 v36, v21
	s_delay_alu instid0(VALU_DEP_1) | instskip(SKIP_1) | instid1(VALU_DEP_2)
	v_dual_mov_b32 v25, v20 :: v_dual_sub_f32 v19, v23, v19
	v_pk_add_f32 v[22:23], v[20:21], v[22:23] neg_lo:[0,1] neg_hi:[0,1]
	v_add_f32_e32 v27, v15, v19
	v_max_num_f32_e64 v15, |v7|, |v7|
	v_max_num_f32_e64 v19, |v6|, |v6|
	s_delay_alu instid0(VALU_DEP_3) | instskip(NEXT) | instid1(VALU_DEP_2)
	v_pk_add_f32 v[28:29], v[20:21], v[26:27]
	v_dual_max_num_f32 v31, v19, v15 :: v_dual_min_num_f32 v15, v19, v15
	s_delay_alu instid0(VALU_DEP_2) | instskip(NEXT) | instid1(VALU_DEP_2)
	v_mov_b32_e32 v23, v29
	v_frexp_exp_i32_f32_e32 v19, v31
	s_delay_alu instid0(VALU_DEP_3) | instskip(SKIP_1) | instid1(VALU_DEP_4)
	v_frexp_mant_f32_e32 v38, v15
	v_frexp_mant_f32_e32 v31, v31
	v_pk_add_f32 v[32:33], v[24:25], v[22:23]
	v_frexp_exp_i32_f32_e32 v32, v15
	v_pk_add_f32 v[22:23], v[24:25], v[22:23] neg_lo:[0,1] neg_hi:[0,1]
	s_delay_alu instid0(VALU_DEP_4) | instskip(NEXT) | instid1(VALU_DEP_2)
	v_rcp_f32_e32 v31, v31
	v_dual_mov_b32 v26, v33 :: v_dual_sub_nc_u32 v19, v32, v19
	s_delay_alu instid0(VALU_DEP_1) | instskip(SKIP_1) | instid1(VALU_DEP_2)
	v_pk_add_f32 v[34:35], v[26:27], v[20:21] neg_lo:[0,1] neg_hi:[0,1]
	v_dual_mov_b32 v32, v29 :: v_dual_mov_b32 v21, v20
	v_dual_mov_b32 v20, v27 :: v_dual_mov_b32 v37, v34
	v_mov_b32_e32 v15, v34
	s_delay_alu instid0(VALU_DEP_2) | instskip(NEXT) | instid1(VALU_DEP_2)
	v_pk_add_f32 v[24:25], v[32:33], v[36:37] neg_lo:[0,1] neg_hi:[0,1]
	v_pk_add_f32 v[28:29], v[28:29], v[14:15] neg_lo:[0,1] neg_hi:[0,1]
	v_mov_b32_e32 v28, v22
	s_delay_alu instid0(VALU_DEP_3) | instskip(NEXT) | instid1(VALU_DEP_1)
	v_pk_add_f32 v[20:21], v[20:21], v[24:25] neg_lo:[0,1] neg_hi:[0,1]
	v_pk_add_f32 v[24:25], v[28:29], v[20:21]
	s_delay_alu instid0(VALU_DEP_1) | instskip(NEXT) | instid1(VALU_DEP_1)
	v_dual_mul_f32 v23, v38, v31 :: v_dual_mov_b32 v28, v25
	v_ldexp_f32 v15, v23, v19
	v_mov_b32_e32 v23, v33
	s_delay_alu instid0(VALU_DEP_3) | instskip(NEXT) | instid1(VALU_DEP_3)
	v_pk_add_f32 v[28:29], v[24:25], v[28:29]
	v_mul_f32_e32 v19, v15, v15
	s_delay_alu instid0(VALU_DEP_2) | instskip(NEXT) | instid1(VALU_DEP_1)
	v_pk_add_f32 v[26:27], v[26:27], v[28:29]
	v_mov_b32_e32 v25, v26
	s_delay_alu instid0(VALU_DEP_1) | instskip(NEXT) | instid1(VALU_DEP_1)
	v_pk_add_f32 v[32:33], v[24:25], v[22:23] neg_lo:[0,1] neg_hi:[0,1]
	v_dual_fmaak_f32 v21, s12, v19, 0xbc7a590c :: v_dual_sub_f32 v24, v24, v32
	s_delay_alu instid0(VALU_DEP_1) | instskip(NEXT) | instid1(VALU_DEP_1)
	v_dual_fmaak_f32 v21, v19, v21, 0x3d29fb3f :: v_dual_sub_f32 v22, v22, v24
	v_fmaak_f32 v21, v19, v21, 0xbd97d4d7
	s_delay_alu instid0(VALU_DEP_1) | instskip(NEXT) | instid1(VALU_DEP_1)
	v_fmaak_f32 v21, v19, v21, 0x3dd931b2
	v_fmaak_f32 v23, v19, v21, 0xbe1160e6
	v_mov_b32_e32 v21, v28
	s_delay_alu instid0(VALU_DEP_1) | instskip(NEXT) | instid1(VALU_DEP_1)
	v_pk_add_f32 v[20:21], v[20:21], v[32:33] neg_lo:[0,1] neg_hi:[0,1]
	v_add_f32_e32 v20, v20, v22
	s_delay_alu instid0(VALU_DEP_1) | instskip(NEXT) | instid1(VALU_DEP_1)
	v_dual_add_f32 v20, v20, v21 :: v_dual_fmaak_f32 v23, v19, v23, 0x3e4cb8bf
	v_fmaak_f32 v23, v19, v23, 0xbeaaaa62
	s_delay_alu instid0(VALU_DEP_1) | instskip(NEXT) | instid1(VALU_DEP_1)
	v_mul_f32_e32 v19, v19, v23
	v_dual_fmac_f32 v15, v15, v19 :: v_dual_add_f32 v19, v26, v20
	s_delay_alu instid0(VALU_DEP_1) | instskip(NEXT) | instid1(VALU_DEP_2)
	v_sub_f32_e32 v20, 0x3fc90fdb, v15
	v_cndmask_b32_e32 v19, 0x7f800000, v19, vcc_lo
	v_cmp_gt_i32_e32 vcc_lo, 0, v6
	s_delay_alu instid0(VALU_DEP_3) | instskip(SKIP_2) | instid1(VALU_DEP_3)
	v_cndmask_b32_e64 v15, v15, v20, s0
	v_cndmask_b32_e64 v20, 0, 0x40490fdb, vcc_lo
	v_cmp_ngt_f32_e32 vcc_lo, -1.0, v18
	v_sub_f32_e32 v21, 0x40490fdb, v15
	v_cndmask_b32_e32 v19, 0x7fc00000, v19, vcc_lo
	v_cmp_gt_f32_e32 vcc_lo, 0, v6
	s_delay_alu instid0(VALU_DEP_2) | instskip(NEXT) | instid1(VALU_DEP_4)
	v_cndmask_b32_e64 v19, 0xff800000, v19, s1
	v_cndmask_b32_e32 v15, v15, v21, vcc_lo
	v_cndmask_b32_e32 v21, 0x3f490fdb, v30, vcc_lo
	v_cmp_gt_f32_e64 vcc_lo, 0x33800000, |v18|
	v_cmp_class_f32_e64 s1, v7, 0x204
	v_cndmask_b32_e32 v18, v19, v18, vcc_lo
	v_cmp_eq_f32_e32 vcc_lo, 0, v7
	s_delay_alu instid0(VALU_DEP_2) | instskip(SKIP_1) | instid1(VALU_DEP_1)
	v_dual_mul_f32 v19, 0.5, v18 :: v_dual_cndmask_b32 v15, v15, v20, vcc_lo
	s_and_b32 vcc_lo, s2, s1
	v_cndmask_b32_e32 v18, v15, v21, vcc_lo
.LBB198_175:                            ;   in Loop: Header=BB198_162 Depth=1
	s_or_b32 exec_lo, exec_lo, s21
.LBB198_176:                            ;   in Loop: Header=BB198_162 Depth=1
	s_delay_alu instid0(SALU_CYCLE_1)
	s_or_b32 exec_lo, exec_lo, s20
.LBB198_177:                            ;   in Loop: Header=BB198_162 Depth=1
	s_and_not1_saveexec_b32 s2, s19
	s_cbranch_execz .LBB198_179
; %bb.178:                              ;   in Loop: Header=BB198_162 Depth=1
	v_max_num_f32_e64 v15, |v7|, |v7|
	v_max_num_f32_e64 v20, |v6|, |v6|
	v_cmp_gt_i32_e64 s1, 0, v6
	v_cmp_class_f32_e64 s3, v6, 0x204
	v_cmp_class_f32_e64 s4, v7, 0x204
	s_delay_alu instid0(VALU_DEP_4) | instskip(NEXT) | instid1(VALU_DEP_1)
	v_dual_max_num_f32 v21, v20, v15 :: v_dual_min_num_f32 v15, v20, v15
	v_cvt_f64_f32_e32 v[18:19], v21
	v_frexp_exp_i32_f32_e32 v20, v21
	s_delay_alu instid0(VALU_DEP_3) | instskip(SKIP_4) | instid1(VALU_DEP_1)
	v_frexp_exp_i32_f32_e32 v22, v15
	v_frexp_mant_f32_e32 v15, v15
	v_cmp_neq_f32_e32 vcc_lo, 0x7f800000, v21
	v_frexp_exp_i32_f64_e32 v18, v[18:19]
	v_frexp_mant_f32_e32 v19, v21
	v_rcp_f32_e32 v19, v19
	v_nop
	s_delay_alu instid0(TRANS32_DEP_1) | instskip(NEXT) | instid1(VALU_DEP_1)
	v_dual_mul_f32 v15, v15, v19 :: v_dual_sub_nc_u32 v20, v22, v20
	v_ldexp_f32 v15, v15, v20
	s_delay_alu instid0(VALU_DEP_1) | instskip(NEXT) | instid1(VALU_DEP_1)
	v_dual_mul_f32 v20, v15, v15 :: v_dual_sub_nc_u32 v19, 0, v18
	v_ldexp_f32 v22, |v7|, v19
	s_delay_alu instid0(VALU_DEP_2) | instskip(SKIP_1) | instid1(VALU_DEP_2)
	v_fmaak_f32 v23, s12, v20, 0xbc7a590c
	v_ldexp_f32 v19, |v6|, v19
	v_dual_mul_f32 v22, v22, v22 :: v_dual_fmaak_f32 v23, v20, v23, 0x3d29fb3f
	s_delay_alu instid0(VALU_DEP_1) | instskip(NEXT) | instid1(VALU_DEP_2)
	v_fmac_f32_e32 v22, v19, v19
	v_fmaak_f32 v19, v20, v23, 0xbd97d4d7
	s_delay_alu instid0(VALU_DEP_1) | instskip(NEXT) | instid1(VALU_DEP_3)
	v_fmaak_f32 v19, v20, v19, 0x3dd931b2
	v_sqrt_f32_e32 v22, v22
	s_delay_alu instid0(VALU_DEP_1) | instskip(NEXT) | instid1(TRANS32_DEP_1)
	v_fmaak_f32 v19, v20, v19, 0xbe1160e6
	v_ldexp_f32 v18, v22, v18
	s_delay_alu instid0(VALU_DEP_2) | instskip(NEXT) | instid1(VALU_DEP_1)
	v_fmaak_f32 v19, v20, v19, 0x3e4cb8bf
	v_fmaak_f32 v19, v20, v19, 0xbeaaaa62
	s_delay_alu instid0(VALU_DEP_1) | instskip(NEXT) | instid1(VALU_DEP_1)
	v_dual_cndmask_b32 v18, 0x7f800000, v18 :: v_dual_mul_f32 v19, v20, v19
	v_cmp_gt_f32_e32 vcc_lo, 0x800000, v18
	v_cndmask_b32_e64 v21, 0, 32, vcc_lo
	v_cndmask_b32_e64 v22, 0, 0x41b17218, vcc_lo
	s_delay_alu instid0(VALU_DEP_2) | instskip(NEXT) | instid1(VALU_DEP_1)
	v_ldexp_f32 v18, v18, v21
	v_log_f32_e32 v18, v18
	v_nop
	s_delay_alu instid0(TRANS32_DEP_1) | instskip(SKIP_2) | instid1(VALU_DEP_1)
	v_cmp_gt_f32_e64 vcc_lo, 0x7f800000, |v18|
	v_fmac_f32_e32 v15, v15, v19
	v_mul_f32_e32 v19, 0x3f317217, v18
	v_fma_f32 v19, 0x3f317217, v18, -v19
	s_delay_alu instid0(VALU_DEP_1) | instskip(NEXT) | instid1(VALU_DEP_1)
	v_fmac_f32_e32 v19, 0x3377d1cf, v18
	v_fmac_f32_e32 v19, 0x3f317217, v18
	s_delay_alu instid0(VALU_DEP_1) | instskip(SKIP_2) | instid1(VALU_DEP_2)
	v_cndmask_b32_e32 v18, v18, v19, vcc_lo
	v_sub_f32_e32 v20, 0x3fc90fdb, v15
	v_cmp_eq_f32_e32 vcc_lo, 0, v7
	v_dual_sub_f32 v19, v18, v22 :: v_dual_cndmask_b32 v15, v15, v20, s0
	v_cndmask_b32_e64 v20, 0, 0x40490fdb, s1
	v_cmp_gt_f32_e64 s1, 0, v6
	s_delay_alu instid0(VALU_DEP_3) | instskip(NEXT) | instid1(VALU_DEP_1)
	v_sub_f32_e32 v21, 0x40490fdb, v15
	v_cndmask_b32_e64 v15, v15, v21, s1
	v_cndmask_b32_e64 v21, 0x3f490fdb, v30, s1
	s_delay_alu instid0(VALU_DEP_2) | instskip(SKIP_1) | instid1(VALU_DEP_1)
	v_cndmask_b32_e32 v15, v15, v20, vcc_lo
	s_and_b32 vcc_lo, s3, s4
	v_cndmask_b32_e32 v18, v15, v21, vcc_lo
.LBB198_179:                            ;   in Loop: Header=BB198_162 Depth=1
	s_or_b32 exec_lo, exec_lo, s2
                                        ; implicit-def: $vgpr20
.LBB198_180:                            ;   in Loop: Header=BB198_162 Depth=1
	s_and_not1_saveexec_b32 s2, s18
	s_cbranch_execz .LBB198_186
; %bb.181:                              ;   in Loop: Header=BB198_162 Depth=1
                                        ; implicit-def: $vgpr19
                                        ; implicit-def: $vgpr18
	s_mov_b32 s1, exec_lo
	v_cmpx_ngt_f32_e32 0x1fec1e4a, v20
	s_xor_b32 s3, exec_lo, s1
	s_cbranch_execz .LBB198_183
; %bb.182:                              ;   in Loop: Header=BB198_162 Depth=1
	v_pk_mul_f32 v[18:19], v[20:21], v[20:21]
	v_max_num_f32_e64 v32, |v6|, |v6|
	v_cmp_class_f32_e64 s4, v6, 0x204
	s_delay_alu instid0(VALU_DEP_3) | instskip(SKIP_1) | instid1(VALU_DEP_2)
	v_add_f32_e32 v21, 1.0, v18
	v_cmp_neq_f32_e64 s1, 0x7f800000, v18
	v_frexp_mant_f32_e32 v20, v21
	v_add_f32_e32 v19, -1.0, v21
	s_delay_alu instid0(VALU_DEP_2) | instskip(NEXT) | instid1(VALU_DEP_2)
	v_cmp_gt_f32_e32 vcc_lo, 0x3f2aaaab, v20
	v_mov_b32_e32 v20, v19
	v_cvt_f64_f32_e32 v[22:23], v21
	s_delay_alu instid0(VALU_DEP_1) | instskip(NEXT) | instid1(VALU_DEP_1)
	v_frexp_exp_i32_f64_e32 v15, v[22:23]
	v_subrev_co_ci_u32_e64 v15, null, 0, v15, vcc_lo
	v_cmp_gt_i32_e32 vcc_lo, 0, v6
	s_delay_alu instid0(VALU_DEP_2) | instskip(SKIP_1) | instid1(VALU_DEP_2)
	v_sub_nc_u32_e32 v24, 0, v15
	v_pk_add_f32 v[22:23], v[18:19], v[20:21] neg_lo:[0,1] neg_hi:[0,1]
	v_ldexp_f32 v19, v21, v24
	s_delay_alu instid0(VALU_DEP_2) | instskip(NEXT) | instid1(VALU_DEP_2)
	v_add_f32_e32 v20, 1.0, v23
	v_add_f32_e32 v23, 1.0, v19
	s_delay_alu instid0(VALU_DEP_1) | instskip(NEXT) | instid1(VALU_DEP_1)
	v_dual_add_f32 v21, -1.0, v23 :: v_dual_add_f32 v20, v22, v20
	v_dual_add_f32 v25, -1.0, v19 :: v_dual_sub_f32 v21, v19, v21
	s_delay_alu instid0(VALU_DEP_2) | instskip(NEXT) | instid1(VALU_DEP_1)
	v_ldexp_f32 v20, v20, v24
	v_add_f32_e32 v24, v20, v21
	s_delay_alu instid0(VALU_DEP_1) | instskip(NEXT) | instid1(VALU_DEP_1)
	v_dual_add_f32 v22, 1.0, v25 :: v_dual_add_f32 v26, v23, v24
	v_sub_f32_e32 v19, v19, v22
	s_delay_alu instid0(VALU_DEP_2) | instskip(NEXT) | instid1(VALU_DEP_1)
	v_rcp_f32_e32 v27, v26
	v_dual_add_f32 v19, v20, v19 :: v_dual_sub_f32 v20, v23, v26
	s_delay_alu instid0(VALU_DEP_1)
	v_dual_add_f32 v21, v25, v19 :: v_dual_add_f32 v29, v24, v20
	s_delay_alu instid0(TRANS32_DEP_1) | instid1(VALU_DEP_1)
	v_mul_f32_e32 v28, v21, v27
	s_delay_alu instid0(VALU_DEP_1) | instskip(NEXT) | instid1(VALU_DEP_1)
	v_dual_mul_f32 v22, v26, v28 :: v_dual_sub_f32 v31, v25, v21
	v_dual_fma_f32 v24, v28, v26, -v22 :: v_dual_add_f32 v19, v19, v31
	s_delay_alu instid0(VALU_DEP_1) | instskip(NEXT) | instid1(VALU_DEP_1)
	v_fmac_f32_e32 v24, v28, v29
	v_add_f32_e32 v20, v22, v24
	s_delay_alu instid0(VALU_DEP_1) | instskip(NEXT) | instid1(VALU_DEP_1)
	v_dual_sub_f32 v23, v21, v20 :: v_dual_mov_b32 v25, v20
	v_pk_add_f32 v[20:21], v[20:21], v[22:23] neg_lo:[0,1] neg_hi:[0,1]
	s_delay_alu instid0(VALU_DEP_1) | instskip(NEXT) | instid1(VALU_DEP_1)
	v_pk_add_f32 v[20:21], v[20:21], v[24:25] neg_lo:[0,1] neg_hi:[0,1]
	v_add_f32_e32 v19, v19, v21
	s_delay_alu instid0(VALU_DEP_1) | instskip(NEXT) | instid1(VALU_DEP_1)
	v_add_f32_e32 v19, v20, v19
	v_add_f32_e32 v21, v23, v19
	s_delay_alu instid0(VALU_DEP_1) | instskip(NEXT) | instid1(VALU_DEP_1)
	v_mul_f32_e32 v31, v27, v21
	v_mul_f32_e32 v24, v26, v31
	s_delay_alu instid0(VALU_DEP_1) | instskip(NEXT) | instid1(VALU_DEP_1)
	v_fma_f32 v22, v31, v26, -v24
	v_fmac_f32_e32 v22, v31, v29
	s_delay_alu instid0(VALU_DEP_1) | instskip(NEXT) | instid1(VALU_DEP_1)
	v_dual_add_f32 v20, v24, v22 :: v_dual_sub_f32 v26, v23, v21
	v_dual_mov_b32 v23, v20 :: v_dual_sub_f32 v25, v21, v20
	s_delay_alu instid0(VALU_DEP_2) | instskip(NEXT) | instid1(VALU_DEP_2)
	v_dual_add_f32 v19, v19, v26 :: v_dual_add_f32 v26, v28, v31
	v_pk_add_f32 v[20:21], v[20:21], v[24:25] neg_lo:[0,1] neg_hi:[0,1]
	s_delay_alu instid0(VALU_DEP_1) | instskip(NEXT) | instid1(VALU_DEP_1)
	v_pk_add_f32 v[20:21], v[20:21], v[22:23] neg_lo:[0,1] neg_hi:[0,1]
	v_add_f32_e32 v19, v19, v21
	s_delay_alu instid0(VALU_DEP_1) | instskip(NEXT) | instid1(VALU_DEP_1)
	v_dual_add_f32 v19, v20, v19 :: v_dual_sub_f32 v20, v26, v28
	v_dual_sub_f32 v20, v31, v20 :: v_dual_add_f32 v19, v25, v19
	v_max_num_f32_e64 v31, |v7|, |v7|
	s_delay_alu instid0(VALU_DEP_2) | instskip(NEXT) | instid1(VALU_DEP_1)
	v_mul_f32_e32 v19, v27, v19
	v_add_f32_e32 v19, v20, v19
	v_cvt_f32_i32_e32 v20, v15
	s_delay_alu instid0(VALU_DEP_2) | instskip(NEXT) | instid1(VALU_DEP_1)
	v_add_f32_e32 v27, v26, v19
	v_mul_f32_e32 v22, v27, v27
	v_ldexp_f32 v25, v27, 1
	s_delay_alu instid0(VALU_DEP_2) | instskip(SKIP_1) | instid1(VALU_DEP_2)
	v_fmaak_f32 v23, s11, v22, 0x3ecc95a3
	v_mul_f32_e32 v21, v27, v22
	v_fmaak_f32 v15, v22, v23, 0x3f2aaada
	s_delay_alu instid0(VALU_DEP_1) | instskip(SKIP_1) | instid1(VALU_DEP_2)
	v_pk_mul_f32 v[22:23], v[20:21], v[14:15]
	v_sub_f32_e32 v15, v27, v26
	v_fma_f32 v24, 0x3f317218, v20, -v22
	s_delay_alu instid0(VALU_DEP_2) | instskip(NEXT) | instid1(VALU_DEP_2)
	v_dual_sub_f32 v15, v19, v15 :: v_dual_mov_b32 v26, v22
	v_fmac_f32_e32 v24, 0xb102e308, v20
	s_delay_alu instid0(VALU_DEP_2) | instskip(NEXT) | instid1(VALU_DEP_2)
	v_ldexp_f32 v15, v15, 1
	v_pk_add_f32 v[20:21], v[22:23], v[24:25]
	s_delay_alu instid0(VALU_DEP_1) | instskip(NEXT) | instid1(VALU_DEP_1)
	v_dual_sub_f32 v19, v21, v25 :: v_dual_mov_b32 v36, v21
	v_dual_mov_b32 v25, v20 :: v_dual_sub_f32 v19, v23, v19
	v_pk_add_f32 v[22:23], v[20:21], v[22:23] neg_lo:[0,1] neg_hi:[0,1]
	s_delay_alu instid0(VALU_DEP_2) | instskip(SKIP_1) | instid1(VALU_DEP_2)
	v_add_f32_e32 v27, v15, v19
	v_max_num_f32_e32 v15, v32, v31
	v_pk_add_f32 v[28:29], v[20:21], v[26:27]
	v_min_num_f32_e32 v26, v32, v31
	s_delay_alu instid0(VALU_DEP_3) | instskip(SKIP_1) | instid1(VALU_DEP_4)
	v_frexp_mant_f32_e32 v19, v15
	v_frexp_exp_i32_f32_e32 v15, v15
	v_mov_b32_e32 v23, v29
	s_delay_alu instid0(VALU_DEP_4) | instskip(NEXT) | instid1(VALU_DEP_4)
	v_frexp_exp_i32_f32_e32 v31, v26
	v_rcp_f32_e32 v19, v19
	s_delay_alu instid0(VALU_DEP_2) | instskip(SKIP_1) | instid1(VALU_DEP_3)
	v_pk_add_f32 v[32:33], v[24:25], v[22:23]
	v_frexp_mant_f32_e32 v32, v26
	v_sub_nc_u32_e32 v15, v31, v15
	v_pk_add_f32 v[22:23], v[24:25], v[22:23] neg_lo:[0,1] neg_hi:[0,1]
	s_delay_alu instid0(TRANS32_DEP_1) | instid1(VALU_DEP_3)
	v_dual_mov_b32 v26, v33 :: v_dual_mul_f32 v19, v32, v19
	v_mov_b32_e32 v32, v29
	s_delay_alu instid0(VALU_DEP_2) | instskip(NEXT) | instid1(VALU_DEP_3)
	v_pk_add_f32 v[34:35], v[26:27], v[20:21] neg_lo:[0,1] neg_hi:[0,1]
	v_ldexp_f32 v19, v19, v15
	v_dual_mov_b32 v21, v20 :: v_dual_mov_b32 v20, v27
	s_delay_alu instid0(VALU_DEP_3) | instskip(NEXT) | instid1(VALU_DEP_3)
	v_dual_mov_b32 v15, v34 :: v_dual_mov_b32 v37, v34
	v_mul_f32_e32 v31, v19, v19
	s_delay_alu instid0(VALU_DEP_2) | instskip(NEXT) | instid1(VALU_DEP_3)
	v_pk_add_f32 v[28:29], v[28:29], v[14:15] neg_lo:[0,1] neg_hi:[0,1]
	v_pk_add_f32 v[24:25], v[32:33], v[36:37] neg_lo:[0,1] neg_hi:[0,1]
	v_mov_b32_e32 v28, v22
	s_delay_alu instid0(VALU_DEP_2) | instskip(NEXT) | instid1(VALU_DEP_1)
	v_pk_add_f32 v[20:21], v[20:21], v[24:25] neg_lo:[0,1] neg_hi:[0,1]
	v_pk_add_f32 v[24:25], v[28:29], v[20:21]
	s_delay_alu instid0(VALU_DEP_1) | instskip(NEXT) | instid1(VALU_DEP_1)
	v_dual_fmaak_f32 v15, s12, v31, 0xbc7a590c :: v_dual_mov_b32 v28, v25
	v_fmaak_f32 v15, v31, v15, 0x3d29fb3f
	s_delay_alu instid0(VALU_DEP_2) | instskip(NEXT) | instid1(VALU_DEP_2)
	v_pk_add_f32 v[28:29], v[24:25], v[28:29]
	v_fmaak_f32 v15, v31, v15, 0xbd97d4d7
	s_delay_alu instid0(VALU_DEP_2) | instskip(NEXT) | instid1(VALU_DEP_2)
	v_pk_add_f32 v[26:27], v[26:27], v[28:29]
	v_fmaak_f32 v15, v31, v15, 0x3dd931b2
	s_delay_alu instid0(VALU_DEP_2) | instskip(NEXT) | instid1(VALU_DEP_2)
	v_dual_mov_b32 v23, v33 :: v_dual_mov_b32 v25, v26
	v_fmaak_f32 v15, v31, v15, 0xbe1160e6
	s_delay_alu instid0(VALU_DEP_2) | instskip(NEXT) | instid1(VALU_DEP_2)
	v_pk_add_f32 v[32:33], v[24:25], v[22:23] neg_lo:[0,1] neg_hi:[0,1]
	v_fmaak_f32 v15, v31, v15, 0x3e4cb8bf
	s_delay_alu instid0(VALU_DEP_1) | instskip(NEXT) | instid1(VALU_DEP_1)
	v_fmaak_f32 v15, v31, v15, 0xbeaaaa62
	v_dual_mov_b32 v21, v28 :: v_dual_mul_f32 v15, v31, v15
	s_delay_alu instid0(VALU_DEP_4) | instskip(NEXT) | instid1(VALU_DEP_2)
	v_sub_f32_e32 v23, v24, v32
	v_pk_add_f32 v[20:21], v[20:21], v[32:33] neg_lo:[0,1] neg_hi:[0,1]
	s_delay_alu instid0(VALU_DEP_3) | instskip(NEXT) | instid1(VALU_DEP_3)
	v_fmac_f32_e32 v19, v19, v15
	v_sub_f32_e32 v22, v22, v23
	s_delay_alu instid0(VALU_DEP_1) | instskip(NEXT) | instid1(VALU_DEP_1)
	v_dual_add_f32 v15, v20, v22 :: v_dual_sub_f32 v20, 0x3fc90fdb, v19
	v_add_f32_e32 v15, v15, v21
	s_delay_alu instid0(VALU_DEP_2) | instskip(SKIP_2) | instid1(VALU_DEP_4)
	v_cndmask_b32_e64 v19, v19, v20, s0
	v_cndmask_b32_e64 v20, 0, 0x40490fdb, vcc_lo
	v_cmp_gt_f32_e32 vcc_lo, 0, v6
	v_add_f32_e32 v15, v26, v15
	s_delay_alu instid0(VALU_DEP_4) | instskip(NEXT) | instid1(VALU_DEP_2)
	v_sub_f32_e32 v21, 0x40490fdb, v19
	v_cndmask_b32_e64 v15, 0x7f800000, v15, s1
	s_delay_alu instid0(VALU_DEP_2)
	v_cndmask_b32_e32 v19, v19, v21, vcc_lo
	v_cndmask_b32_e32 v21, 0x3f490fdb, v30, vcc_lo
	v_cmp_gt_f32_e64 vcc_lo, 0x33800000, |v18|
	v_cmp_class_f32_e64 s1, v7, 0x204
	v_cndmask_b32_e32 v15, v15, v18, vcc_lo
	v_cmp_eq_f32_e32 vcc_lo, 0, v7
	v_cndmask_b32_e32 v18, v19, v20, vcc_lo
	s_and_b32 vcc_lo, s4, s1
	s_delay_alu instid0(VALU_DEP_3) | instskip(NEXT) | instid1(VALU_DEP_2)
	v_mul_f32_e32 v19, 0.5, v15
                                        ; implicit-def: $vgpr20
	v_cndmask_b32_e32 v18, v18, v21, vcc_lo
.LBB198_183:                            ;   in Loop: Header=BB198_162 Depth=1
	s_and_not1_saveexec_b32 s3, s3
	s_cbranch_execz .LBB198_185
; %bb.184:                              ;   in Loop: Header=BB198_162 Depth=1
	v_max_num_f32_e64 v15, |v7|, |v7|
	v_max_num_f32_e64 v18, |v6|, |v6|
	v_cmp_eq_f32_e64 s1, 0, v7
	v_cmp_gt_i32_e32 vcc_lo, 0, v6
	v_cmp_class_f32_e64 s4, v6, 0x204
	v_cmp_class_f32_e64 s5, v7, 0x204
	v_dual_max_num_f32 v19, v18, v15 :: v_dual_min_num_f32 v15, v18, v15
	s_delay_alu instid0(VALU_DEP_1) | instskip(SKIP_1) | instid1(VALU_DEP_2)
	v_frexp_mant_f32_e32 v21, v19
	v_frexp_exp_i32_f32_e32 v18, v19
	v_rcp_f32_e32 v19, v21
	v_nop
	v_frexp_exp_i32_f32_e32 v21, v15
	v_frexp_mant_f32_e32 v15, v15
	s_delay_alu instid0(TRANS32_DEP_1) | instid1(VALU_DEP_1)
	v_dual_mul_f32 v15, v15, v19 :: v_dual_sub_nc_u32 v18, v21, v18
	s_delay_alu instid0(VALU_DEP_1) | instskip(NEXT) | instid1(VALU_DEP_1)
	v_ldexp_f32 v15, v15, v18
	v_mul_f32_e32 v18, v15, v15
	s_delay_alu instid0(VALU_DEP_1) | instskip(NEXT) | instid1(VALU_DEP_1)
	v_fmaak_f32 v19, s12, v18, 0xbc7a590c
	v_fmaak_f32 v19, v18, v19, 0x3d29fb3f
	s_delay_alu instid0(VALU_DEP_1) | instskip(NEXT) | instid1(VALU_DEP_1)
	v_fmaak_f32 v19, v18, v19, 0xbd97d4d7
	v_fmaak_f32 v19, v18, v19, 0x3dd931b2
	;; [unrolled: 3-line block ×3, first 2 shown]
	s_delay_alu instid0(VALU_DEP_1) | instskip(NEXT) | instid1(VALU_DEP_1)
	v_fmaak_f32 v19, v18, v19, 0xbeaaaa62
	v_mul_f32_e32 v18, v18, v19
	v_cndmask_b32_e64 v19, 0, 0x40490fdb, vcc_lo
	v_cmp_gt_f32_e32 vcc_lo, 0, v6
	s_delay_alu instid0(VALU_DEP_3) | instskip(SKIP_1) | instid1(VALU_DEP_2)
	v_fmac_f32_e32 v15, v15, v18
	v_cndmask_b32_e32 v21, 0x3f490fdb, v30, vcc_lo
	v_sub_f32_e32 v18, 0x3fc90fdb, v15
	s_delay_alu instid0(VALU_DEP_1) | instskip(NEXT) | instid1(VALU_DEP_1)
	v_cndmask_b32_e64 v15, v15, v18, s0
	v_sub_f32_e32 v18, 0x40490fdb, v15
	s_delay_alu instid0(VALU_DEP_1) | instskip(SKIP_1) | instid1(VALU_DEP_1)
	v_dual_cndmask_b32 v15, v15, v18 :: v_dual_mul_f32 v18, 0.5, v20
	s_and_b32 vcc_lo, s4, s5
	v_dual_cndmask_b32 v15, v15, v19, s1 :: v_dual_mul_f32 v19, v20, v18
	s_delay_alu instid0(VALU_DEP_1)
	v_cndmask_b32_e32 v18, v15, v21, vcc_lo
.LBB198_185:                            ;   in Loop: Header=BB198_162 Depth=1
	s_or_b32 exec_lo, exec_lo, s3
.LBB198_186:                            ;   in Loop: Header=BB198_162 Depth=1
	s_delay_alu instid0(SALU_CYCLE_1)
	s_or_b32 exec_lo, exec_lo, s2
.LBB198_187:                            ;   in Loop: Header=BB198_162 Depth=1
	s_and_not1_saveexec_b32 s2, s17
	s_cbranch_execz .LBB198_189
; %bb.188:                              ;   in Loop: Header=BB198_162 Depth=1
	v_div_scale_f32 v15, null, 0x402df854, 0x402df854, v6
	v_div_scale_f32 v18, null, 0x402df854, 0x402df854, v7
	v_div_scale_f32 v23, vcc_lo, v6, 0x402df854, v6
	s_delay_alu instid0(VALU_DEP_3) | instskip(NEXT) | instid1(VALU_DEP_2)
	v_rcp_f32_e32 v19, v15
	v_rcp_f32_e32 v20, v18
	v_cmp_class_f32_e64 s3, v7, 0x204
	s_delay_alu instid0(TRANS32_DEP_2) | instskip(NEXT) | instid1(TRANS32_DEP_1)
	v_fma_f32 v21, -v15, v19, 1.0
	v_fma_f32 v22, -v18, v20, 1.0
	s_delay_alu instid0(VALU_DEP_1) | instskip(SKIP_1) | instid1(VALU_DEP_1)
	v_dual_fmac_f32 v19, v21, v19 :: v_dual_fmac_f32 v20, v22, v20
	v_div_scale_f32 v21, s1, v7, 0x402df854, v7
	v_dual_mul_f32 v22, v23, v19 :: v_dual_mul_f32 v24, v21, v20
	s_delay_alu instid0(VALU_DEP_1) | instskip(NEXT) | instid1(VALU_DEP_1)
	v_dual_fma_f32 v25, -v15, v22, v23 :: v_dual_fma_f32 v26, -v18, v24, v21
	v_dual_fmac_f32 v22, v25, v19 :: v_dual_fmac_f32 v24, v26, v20
	s_delay_alu instid0(VALU_DEP_1) | instskip(NEXT) | instid1(VALU_DEP_1)
	v_dual_fma_f32 v15, -v15, v22, v23 :: v_dual_fma_f32 v18, -v18, v24, v21
	v_div_fmas_f32 v15, v15, v19, v22
	s_mov_b32 vcc_lo, s1
	v_max_num_f32_e64 v22, |v6|, |v6|
	s_delay_alu instid0(VALU_DEP_3) | instskip(SKIP_2) | instid1(VALU_DEP_3)
	v_div_fmas_f32 v18, v18, v20, v24
	v_cmp_class_f32_e64 s1, v6, 0x204
	v_div_fixup_f32 v15, v15, 0x402df854, v6
	v_div_fixup_f32 v20, v18, 0x402df854, v7
	s_delay_alu instid0(VALU_DEP_1) | instskip(NEXT) | instid1(VALU_DEP_1)
	v_max_num_f32_e64 v21, |v15|, |v20|
	v_cvt_f64_f32_e32 v[18:19], v21
	v_cmp_neq_f32_e32 vcc_lo, 0x7f800000, v21
	s_delay_alu instid0(VALU_DEP_2) | instskip(SKIP_1) | instid1(VALU_DEP_1)
	v_frexp_exp_i32_f64_e32 v18, v[18:19]
	v_max_num_f32_e64 v19, |v7|, |v7|
	v_dual_max_num_f32 v23, v22, v19 :: v_dual_min_num_f32 v19, v22, v19
	s_delay_alu instid0(VALU_DEP_1) | instskip(SKIP_1) | instid1(VALU_DEP_2)
	v_frexp_mant_f32_e32 v24, v23
	v_frexp_exp_i32_f32_e32 v22, v23
	v_rcp_f32_e32 v23, v24
	v_nop
	v_frexp_exp_i32_f32_e32 v24, v19
	v_frexp_mant_f32_e32 v19, v19
	s_delay_alu instid0(TRANS32_DEP_1) | instid1(VALU_DEP_1)
	v_dual_mul_f32 v19, v19, v23 :: v_dual_sub_nc_u32 v22, v24, v22
	s_delay_alu instid0(VALU_DEP_1) | instskip(NEXT) | instid1(VALU_DEP_1)
	v_ldexp_f32 v19, v19, v22
	v_dual_mul_f32 v22, v19, v19 :: v_dual_sub_nc_u32 v23, 0, v18
	s_delay_alu instid0(VALU_DEP_1) | instskip(SKIP_1) | instid1(VALU_DEP_2)
	v_ldexp_f32 v20, |v20|, v23
	v_ldexp_f32 v15, |v15|, v23
	v_dual_fmaak_f32 v23, s12, v22, 0xbc7a590c :: v_dual_mul_f32 v20, v20, v20
	s_delay_alu instid0(VALU_DEP_1) | instskip(NEXT) | instid1(VALU_DEP_2)
	v_fmac_f32_e32 v20, v15, v15
	v_fmaak_f32 v15, v22, v23, 0x3d29fb3f
	s_delay_alu instid0(VALU_DEP_1) | instskip(NEXT) | instid1(VALU_DEP_3)
	v_fmaak_f32 v15, v22, v15, 0xbd97d4d7
	v_sqrt_f32_e32 v20, v20
	s_delay_alu instid0(VALU_DEP_1) | instskip(NEXT) | instid1(TRANS32_DEP_1)
	v_fmaak_f32 v15, v22, v15, 0x3dd931b2
	v_ldexp_f32 v18, v20, v18
	s_delay_alu instid0(VALU_DEP_2) | instskip(NEXT) | instid1(VALU_DEP_1)
	v_fmaak_f32 v15, v22, v15, 0xbe1160e6
	v_fmaak_f32 v15, v22, v15, 0x3e4cb8bf
	s_delay_alu instid0(VALU_DEP_1) | instskip(NEXT) | instid1(VALU_DEP_1)
	v_fmaak_f32 v15, v22, v15, 0xbeaaaa62
	v_dual_cndmask_b32 v18, 0x7f800000, v18 :: v_dual_mul_f32 v15, v22, v15
	s_delay_alu instid0(VALU_DEP_1) | instskip(NEXT) | instid1(VALU_DEP_2)
	v_cmp_gt_f32_e32 vcc_lo, 0x800000, v18
	v_fmac_f32_e32 v19, v19, v15
	v_cndmask_b32_e64 v20, 0, 32, vcc_lo
	v_cndmask_b32_e64 v22, 0, 0x41b17218, vcc_lo
	s_delay_alu instid0(VALU_DEP_2) | instskip(NEXT) | instid1(VALU_DEP_1)
	v_ldexp_f32 v18, v18, v20
	v_log_f32_e32 v18, v18
	v_nop
	s_delay_alu instid0(TRANS32_DEP_1) | instskip(SKIP_1) | instid1(VALU_DEP_2)
	v_mul_f32_e32 v20, 0x3f317217, v18
	v_cmp_gt_f32_e64 vcc_lo, 0x7f800000, |v18|
	v_fma_f32 v15, 0x3f317217, v18, -v20
	s_delay_alu instid0(VALU_DEP_1) | instskip(NEXT) | instid1(VALU_DEP_1)
	v_fmac_f32_e32 v15, 0x3377d1cf, v18
	v_fmac_f32_e32 v15, 0x3f317217, v18
	s_delay_alu instid0(VALU_DEP_1) | instskip(SKIP_2) | instid1(VALU_DEP_3)
	v_cndmask_b32_e32 v15, v18, v15, vcc_lo
	v_sub_f32_e32 v20, 0x3fc90fdb, v19
	v_cmp_eq_f32_e32 vcc_lo, 0, v7
	v_sub_f32_e32 v15, v15, v22
	s_delay_alu instid0(VALU_DEP_3) | instskip(SKIP_1) | instid1(VALU_DEP_2)
	v_cndmask_b32_e64 v19, v19, v20, s0
	v_cmp_gt_i32_e64 s0, 0, v6
	v_sub_f32_e32 v21, 0x40490fdb, v19
	s_delay_alu instid0(VALU_DEP_2) | instskip(SKIP_1) | instid1(VALU_DEP_1)
	v_cndmask_b32_e64 v20, 0, 0x40490fdb, s0
	v_cmp_gt_f32_e64 s0, 0, v6
	v_cndmask_b32_e64 v18, v19, v21, s0
	v_cndmask_b32_e64 v21, 0x3f490fdb, v30, s0
	s_delay_alu instid0(VALU_DEP_2) | instskip(SKIP_1) | instid1(VALU_DEP_1)
	v_dual_add_f32 v19, 1.0, v15 :: v_dual_cndmask_b32 v18, v18, v20
	s_and_b32 vcc_lo, s1, s3
	v_cndmask_b32_e32 v18, v18, v21, vcc_lo
.LBB198_189:                            ;   in Loop: Header=BB198_162 Depth=1
	s_or_b32 exec_lo, exec_lo, s2
.LBB198_190:                            ;   in Loop: Header=BB198_162 Depth=1
	s_and_not1_saveexec_b32 s0, s16
	s_cbranch_execz .LBB198_196
; %bb.191:                              ;   in Loop: Header=BB198_162 Depth=1
	v_cmp_ngt_f32_e64 s1, 0x20000000, |v6|
	v_cmp_ngt_f32_e64 s2, 0x20000000, |v7|
                                        ; implicit-def: $vgpr15
	s_or_b32 s1, s1, s2
	s_delay_alu instid0(SALU_CYCLE_1) | instskip(NEXT) | instid1(SALU_CYCLE_1)
	s_and_saveexec_b32 s2, s1
	s_xor_b32 s1, exec_lo, s2
; %bb.192:                              ;   in Loop: Header=BB198_162 Depth=1
	v_pk_mul_f32 v[18:19], v[6:7], v[6:7]
	s_delay_alu instid0(VALU_DEP_1)
	v_add_f32_e32 v15, v18, v19
; %bb.193:                              ;   in Loop: Header=BB198_162 Depth=1
	s_and_not1_saveexec_b32 s1, s1
; %bb.194:                              ;   in Loop: Header=BB198_162 Depth=1
	v_pk_mul_f32 v[18:19], v[6:7], 4.0 op_sel_hi:[1,0]
	s_delay_alu instid0(VALU_DEP_1) | instskip(NEXT) | instid1(VALU_DEP_1)
	v_pk_mul_f32 v[18:19], v[18:19], v[18:19]
	v_add_f32_e32 v6, v18, v19
	s_delay_alu instid0(VALU_DEP_1)
	v_mul_f32_e32 v15, 0x3d800000, v6
; %bb.195:                              ;   in Loop: Header=BB198_162 Depth=1
	s_or_b32 exec_lo, exec_lo, s1
	s_delay_alu instid0(VALU_DEP_1) | instskip(SKIP_2) | instid1(VALU_DEP_2)
	v_cmp_gt_f32_e32 vcc_lo, 0x800000, v15
	v_cndmask_b32_e64 v6, 0, 32, vcc_lo
	v_cndmask_b32_e64 v18, 0, 0x41b17218, vcc_lo
	v_ldexp_f32 v6, v15, v6
	s_delay_alu instid0(VALU_DEP_1) | instskip(SKIP_1) | instid1(TRANS32_DEP_1)
	v_log_f32_e32 v6, v6
	v_nop
	v_mul_f32_e32 v15, 0x3f317217, v6
	v_cmp_gt_f32_e64 vcc_lo, 0x7f800000, |v6|
	s_delay_alu instid0(VALU_DEP_2) | instskip(NEXT) | instid1(VALU_DEP_1)
	v_fma_f32 v15, 0x3f317217, v6, -v15
	v_fmac_f32_e32 v15, 0x3377d1cf, v6
	s_delay_alu instid0(VALU_DEP_1) | instskip(NEXT) | instid1(VALU_DEP_1)
	v_fmac_f32_e32 v15, 0x3f317217, v6
	v_cndmask_b32_e32 v6, v6, v15, vcc_lo
	s_delay_alu instid0(VALU_DEP_1)
	v_dual_sub_f32 v19, v6, v18 :: v_dual_mov_b32 v18, 0x7fc00000
.LBB198_196:                            ;   in Loop: Header=BB198_162 Depth=1
	s_or_b32 exec_lo, exec_lo, s0
                                        ; implicit-def: $vgpr21
                                        ; implicit-def: $vgpr6
	s_delay_alu instid0(SALU_CYCLE_1)
	s_mov_b32 s0, exec_lo
	v_cmpx_o_f32_e32 v9, v8
	s_xor_b32 s16, exec_lo, s0
	s_cbranch_execz .LBB198_224
; %bb.197:                              ;   in Loop: Header=BB198_162 Depth=1
	v_cmp_lt_f32_e64 s0, |v8|, |v9|
                                        ; implicit-def: $vgpr21
                                        ; implicit-def: $vgpr6
	s_mov_b32 s2, exec_lo
	v_cndmask_b32_e64 v15, v9, v8, s0
	s_delay_alu instid0(VALU_DEP_1)
	v_cmpx_nlt_f32_e64 0x77f684df, |v15|
	s_xor_b32 s17, exec_lo, s2
	s_cbranch_execz .LBB198_221
; %bb.198:                              ;   in Loop: Header=BB198_162 Depth=1
	v_cndmask_b32_e64 v6, v8, v9, s0
	v_and_b32_e32 v22, 0x7fffffff, v15
                                        ; implicit-def: $vgpr21
	s_mov_b32 s1, exec_lo
	s_delay_alu instid0(VALU_DEP_2) | instskip(NEXT) | instid1(VALU_DEP_1)
	v_and_b32_e32 v23, 0x7fffffff, v6
                                        ; implicit-def: $vgpr6
	v_cmpx_neq_f32_e32 1.0, v23
	s_xor_b32 s18, exec_lo, s1
	s_cbranch_execz .LBB198_214
; %bb.199:                              ;   in Loop: Header=BB198_162 Depth=1
	v_dual_max_num_f32 v6, v22, v22 :: v_dual_max_num_f32 v15, v23, v23
                                        ; implicit-def: $vgpr21
	s_delay_alu instid0(VALU_DEP_1) | instskip(NEXT) | instid1(VALU_DEP_1)
	v_dual_min_num_f32 v20, v15, v6 :: v_dual_max_num_f32 v6, v15, v6
	v_cmp_ngt_f32_e32 vcc_lo, 0x358637bd, v20
	s_delay_alu instid0(VALU_DEP_2) | instskip(SKIP_1) | instid1(SALU_CYCLE_1)
	v_cmp_nlt_f32_e64 s1, 0x49742400, v6
                                        ; implicit-def: $vgpr6
	s_and_b32 s1, s1, vcc_lo
	s_and_saveexec_b32 s2, s1
	s_delay_alu instid0(SALU_CYCLE_1)
	s_xor_b32 s19, exec_lo, s2
	s_cbranch_execz .LBB198_211
; %bb.200:                              ;   in Loop: Header=BB198_162 Depth=1
                                        ; implicit-def: $vgpr21
                                        ; implicit-def: $vgpr6
	s_mov_b32 s1, exec_lo
	v_cmpx_le_f32_e32 1.0, v23
	s_xor_b32 s2, exec_lo, s1
	s_cbranch_execz .LBB198_202
; %bb.201:                              ;   in Loop: Header=BB198_162 Depth=1
	v_pk_add_f32 v[20:21], v[22:23], v[12:13] op_sel:[1,0]
	v_mov_b32_e32 v24, v22
	v_cmp_class_f32_e64 s3, v8, 0x204
	s_delay_alu instid0(VALU_DEP_3) | instskip(SKIP_1) | instid1(VALU_DEP_1)
	v_dual_mov_b32 v23, v20 :: v_dual_mov_b32 v25, v21
	v_mul_f32_e32 v6, v20, v21
	v_pk_fma_f32 v[20:21], v[22:23], v[24:25], v[6:7] op_sel_hi:[1,1,0]
	s_delay_alu instid0(VALU_DEP_1) | instskip(SKIP_1) | instid1(VALU_DEP_2)
	v_add_f32_e32 v23, 1.0, v20
	v_cmp_neq_f32_e64 s1, -1.0, v20
	v_add_f32_e32 v21, -1.0, v23
	s_delay_alu instid0(VALU_DEP_1) | instskip(SKIP_2) | instid1(VALU_DEP_1)
	v_mov_b32_e32 v22, v21
	v_cvt_f64_f32_e32 v[24:25], v23
	v_frexp_mant_f32_e32 v15, v23
	v_cmp_gt_f32_e32 vcc_lo, 0x3f2aaaab, v15
	s_delay_alu instid0(VALU_DEP_3) | instskip(NEXT) | instid1(VALU_DEP_1)
	v_frexp_exp_i32_f64_e32 v6, v[24:25]
	v_subrev_co_ci_u32_e64 v6, null, 0, v6, vcc_lo
	v_cmp_neq_f32_e32 vcc_lo, 0x7f800000, v20
	s_delay_alu instid0(VALU_DEP_2) | instskip(SKIP_1) | instid1(VALU_DEP_2)
	v_sub_nc_u32_e32 v15, 0, v6
	v_pk_add_f32 v[24:25], v[20:21], v[22:23] neg_lo:[0,1] neg_hi:[0,1]
	v_ldexp_f32 v21, v23, v15
	s_delay_alu instid0(VALU_DEP_2) | instskip(NEXT) | instid1(VALU_DEP_2)
	v_add_f32_e32 v22, 1.0, v25
	v_add_f32_e32 v25, 1.0, v21
	s_delay_alu instid0(VALU_DEP_1) | instskip(SKIP_1) | instid1(VALU_DEP_2)
	v_dual_add_f32 v23, -1.0, v25 :: v_dual_add_f32 v22, v24, v22
	v_add_f32_e32 v27, -1.0, v21
	v_ldexp_f32 v15, v22, v15
	s_delay_alu instid0(VALU_DEP_3) | instskip(NEXT) | instid1(VALU_DEP_1)
	v_sub_f32_e32 v22, v21, v23
	v_dual_add_f32 v23, 1.0, v27 :: v_dual_add_f32 v22, v15, v22
	s_delay_alu instid0(VALU_DEP_1) | instskip(NEXT) | instid1(VALU_DEP_1)
	v_add_f32_e32 v28, v25, v22
	v_dual_sub_f32 v21, v21, v23 :: v_dual_sub_f32 v25, v28, v25
	s_delay_alu instid0(VALU_DEP_1) | instskip(SKIP_1) | instid1(VALU_DEP_1)
	v_add_f32_e32 v15, v15, v21
	v_rcp_f32_e32 v21, v28
	v_add_f32_e32 v23, v27, v15
	s_delay_alu instid0(TRANS32_DEP_1) | instid1(VALU_DEP_1)
	v_mul_f32_e32 v29, v23, v21
	s_delay_alu instid0(VALU_DEP_1) | instskip(NEXT) | instid1(VALU_DEP_1)
	v_mul_f32_e32 v24, v28, v29
	v_dual_sub_f32 v31, v22, v25 :: v_dual_fma_f32 v26, v29, v28, -v24
	s_delay_alu instid0(VALU_DEP_1) | instskip(NEXT) | instid1(VALU_DEP_1)
	v_fmac_f32_e32 v26, v29, v31
	v_dual_add_f32 v22, v24, v26 :: v_dual_sub_f32 v32, v23, v27
	s_delay_alu instid0(VALU_DEP_1) | instskip(NEXT) | instid1(VALU_DEP_2)
	v_dual_mov_b32 v27, v22 :: v_dual_sub_f32 v25, v23, v22
	v_sub_f32_e32 v15, v15, v32
	s_delay_alu instid0(VALU_DEP_2) | instskip(NEXT) | instid1(VALU_DEP_1)
	v_pk_add_f32 v[22:23], v[22:23], v[24:25] neg_lo:[0,1] neg_hi:[0,1]
	v_pk_add_f32 v[22:23], v[22:23], v[26:27] neg_lo:[0,1] neg_hi:[0,1]
	s_delay_alu instid0(VALU_DEP_1) | instskip(NEXT) | instid1(VALU_DEP_1)
	v_add_f32_e32 v15, v15, v23
	v_add_f32_e32 v15, v22, v15
	s_delay_alu instid0(VALU_DEP_1) | instskip(NEXT) | instid1(VALU_DEP_1)
	v_add_f32_e32 v23, v25, v15
	v_mul_f32_e32 v32, v21, v23
	s_delay_alu instid0(VALU_DEP_1) | instskip(NEXT) | instid1(VALU_DEP_1)
	v_mul_f32_e32 v26, v28, v32
	v_fma_f32 v24, v32, v28, -v26
	s_delay_alu instid0(VALU_DEP_1) | instskip(NEXT) | instid1(VALU_DEP_1)
	v_fmac_f32_e32 v24, v32, v31
	v_dual_add_f32 v22, v26, v24 :: v_dual_sub_f32 v28, v25, v23
	s_delay_alu instid0(VALU_DEP_1) | instskip(NEXT) | instid1(VALU_DEP_2)
	v_dual_mov_b32 v25, v22 :: v_dual_sub_f32 v27, v23, v22
	v_add_f32_e32 v15, v15, v28
	v_add_f32_e32 v28, v29, v32
	s_delay_alu instid0(VALU_DEP_3) | instskip(NEXT) | instid1(VALU_DEP_1)
	v_pk_add_f32 v[22:23], v[22:23], v[26:27] neg_lo:[0,1] neg_hi:[0,1]
	v_pk_add_f32 v[22:23], v[22:23], v[24:25] neg_lo:[0,1] neg_hi:[0,1]
	s_delay_alu instid0(VALU_DEP_1) | instskip(NEXT) | instid1(VALU_DEP_1)
	v_add_f32_e32 v15, v15, v23
	v_dual_add_f32 v15, v22, v15 :: v_dual_sub_f32 v22, v28, v29
	s_delay_alu instid0(VALU_DEP_1) | instskip(NEXT) | instid1(VALU_DEP_1)
	v_dual_sub_f32 v22, v32, v22 :: v_dual_add_f32 v15, v27, v15
	v_mul_f32_e32 v15, v21, v15
	s_delay_alu instid0(VALU_DEP_1) | instskip(SKIP_1) | instid1(VALU_DEP_2)
	v_add_f32_e32 v21, v22, v15
	v_cvt_f32_i32_e32 v22, v6
	v_add_f32_e32 v29, v28, v21
	s_delay_alu instid0(VALU_DEP_1) | instskip(SKIP_2) | instid1(VALU_DEP_3)
	v_mul_f32_e32 v15, v29, v29
	v_ldexp_f32 v27, v29, 1
	v_sub_f32_e32 v6, v29, v28
	v_dual_fmaak_f32 v24, s11, v15, 0x3ecc95a3 :: v_dual_mul_f32 v23, v29, v15
	s_delay_alu instid0(VALU_DEP_1) | instskip(NEXT) | instid1(VALU_DEP_1)
	v_dual_sub_f32 v6, v21, v6 :: v_dual_fmaak_f32 v15, v15, v24, 0x3f2aaada
	v_ldexp_f32 v6, v6, 1
	s_delay_alu instid0(VALU_DEP_2) | instskip(NEXT) | instid1(VALU_DEP_1)
	v_pk_mul_f32 v[24:25], v[22:23], v[14:15]
	v_fma_f32 v26, 0x3f317218, v22, -v24
	v_mov_b32_e32 v28, v24
	s_delay_alu instid0(VALU_DEP_2) | instskip(NEXT) | instid1(VALU_DEP_1)
	v_fmac_f32_e32 v26, 0xb102e308, v22
	v_pk_add_f32 v[22:23], v[24:25], v[26:27]
	s_delay_alu instid0(VALU_DEP_1) | instskip(NEXT) | instid1(VALU_DEP_1)
	v_dual_sub_f32 v15, v23, v27 :: v_dual_mov_b32 v38, v23
	v_sub_f32_e32 v15, v25, v15
	s_delay_alu instid0(VALU_DEP_3) | instskip(NEXT) | instid1(VALU_DEP_2)
	v_pk_add_f32 v[24:25], v[22:23], v[24:25] neg_lo:[0,1] neg_hi:[0,1]
	v_add_f32_e32 v29, v6, v15
	v_max_num_f32_e64 v6, |v9|, |v9|
	v_max_num_f32_e64 v15, |v8|, |v8|
	v_mov_b32_e32 v27, v22
	s_delay_alu instid0(VALU_DEP_4) | instskip(NEXT) | instid1(VALU_DEP_3)
	v_pk_add_f32 v[32:33], v[22:23], v[28:29]
	v_dual_max_num_f32 v21, v15, v6 :: v_dual_min_num_f32 v15, v15, v6
	s_delay_alu instid0(VALU_DEP_2) | instskip(NEXT) | instid1(VALU_DEP_2)
	v_mov_b32_e32 v25, v33
	v_frexp_exp_i32_f32_e32 v28, v21
	v_frexp_mant_f32_e32 v21, v21
	s_delay_alu instid0(VALU_DEP_3)
	v_pk_add_f32 v[34:35], v[26:27], v[24:25]
	v_mov_b32_e32 v34, v33
	v_frexp_exp_i32_f32_e32 v31, v15
	v_frexp_mant_f32_e32 v40, v15
	v_pk_add_f32 v[24:25], v[26:27], v[24:25] neg_lo:[0,1] neg_hi:[0,1]
	v_mov_b32_e32 v6, v35
	v_rcp_f32_e32 v21, v21
	s_delay_alu instid0(VALU_DEP_1) | instskip(SKIP_1) | instid1(VALU_DEP_2)
	v_pk_add_f32 v[36:37], v[6:7], v[22:23] neg_lo:[0,1] neg_hi:[0,1]
	v_dual_sub_nc_u32 v31, v31, v28 :: v_dual_mov_b32 v23, v22
	v_dual_mov_b32 v22, v29 :: v_dual_mov_b32 v39, v36
	v_mov_b32_e32 v15, v36
	s_delay_alu instid0(VALU_DEP_2) | instskip(NEXT) | instid1(VALU_DEP_2)
	v_pk_add_f32 v[26:27], v[34:35], v[38:39] neg_lo:[0,1] neg_hi:[0,1]
	v_pk_add_f32 v[28:29], v[32:33], v[14:15] neg_lo:[0,1] neg_hi:[0,1]
	v_mov_b32_e32 v28, v24
	s_delay_alu instid0(VALU_DEP_3) | instskip(NEXT) | instid1(VALU_DEP_1)
	v_pk_add_f32 v[22:23], v[22:23], v[26:27] neg_lo:[0,1] neg_hi:[0,1]
	v_pk_add_f32 v[26:27], v[28:29], v[22:23]
	s_delay_alu instid0(VALU_DEP_1) | instskip(NEXT) | instid1(VALU_DEP_1)
	v_dual_mul_f32 v21, v40, v21 :: v_dual_mov_b32 v28, v27
	v_ldexp_f32 v15, v21, v31
	s_delay_alu instid0(VALU_DEP_2) | instskip(NEXT) | instid1(VALU_DEP_1)
	v_pk_add_f32 v[28:29], v[26:27], v[28:29]
	v_pk_add_f32 v[32:33], v[6:7], v[28:29]
	s_delay_alu instid0(VALU_DEP_1) | instskip(SKIP_1) | instid1(VALU_DEP_1)
	v_dual_mul_f32 v21, v15, v15 :: v_dual_mov_b32 v27, v32
	v_mov_b32_e32 v25, v35
	v_pk_add_f32 v[34:35], v[26:27], v[24:25] neg_lo:[0,1] neg_hi:[0,1]
	s_delay_alu instid0(VALU_DEP_1) | instskip(NEXT) | instid1(VALU_DEP_1)
	v_sub_f32_e32 v25, v26, v34
	v_sub_f32_e32 v24, v24, v25
	v_fmaak_f32 v23, s12, v21, 0xbc7a590c
	s_delay_alu instid0(VALU_DEP_1) | instskip(NEXT) | instid1(VALU_DEP_1)
	v_fmaak_f32 v23, v21, v23, 0x3d29fb3f
	v_dual_fmaak_f32 v6, v21, v23, 0xbd97d4d7 :: v_dual_mov_b32 v23, v28
	s_delay_alu instid0(VALU_DEP_1) | instskip(NEXT) | instid1(VALU_DEP_2)
	v_fmaak_f32 v6, v21, v6, 0x3dd931b2
	v_pk_add_f32 v[22:23], v[22:23], v[34:35] neg_lo:[0,1] neg_hi:[0,1]
	s_delay_alu instid0(VALU_DEP_1) | instskip(NEXT) | instid1(VALU_DEP_3)
	v_add_f32_e32 v22, v22, v24
	v_fmaak_f32 v6, v21, v6, 0xbe1160e6
	s_delay_alu instid0(VALU_DEP_1) | instskip(NEXT) | instid1(VALU_DEP_1)
	v_fmaak_f32 v6, v21, v6, 0x3e4cb8bf
	v_fmaak_f32 v6, v21, v6, 0xbeaaaa62
	s_delay_alu instid0(VALU_DEP_1) | instskip(NEXT) | instid1(VALU_DEP_1)
	v_dual_mul_f32 v6, v21, v6 :: v_dual_add_f32 v21, v22, v23
	v_dual_fmac_f32 v15, v15, v6 :: v_dual_add_f32 v6, v32, v21
	s_delay_alu instid0(VALU_DEP_1) | instskip(NEXT) | instid1(VALU_DEP_2)
	v_sub_f32_e32 v21, 0x3fc90fdb, v15
	v_cndmask_b32_e32 v6, 0x7f800000, v6, vcc_lo
	v_cmp_gt_i32_e32 vcc_lo, 0, v8
	s_delay_alu instid0(VALU_DEP_3) | instskip(SKIP_2) | instid1(VALU_DEP_3)
	v_cndmask_b32_e64 v15, v15, v21, s0
	v_cndmask_b32_e64 v21, 0, 0x40490fdb, vcc_lo
	v_cmp_ngt_f32_e32 vcc_lo, -1.0, v20
	v_sub_f32_e32 v22, 0x40490fdb, v15
	v_cndmask_b32_e32 v6, 0x7fc00000, v6, vcc_lo
	v_cmp_gt_f32_e32 vcc_lo, 0, v8
	s_delay_alu instid0(VALU_DEP_2) | instskip(NEXT) | instid1(VALU_DEP_4)
	v_cndmask_b32_e64 v6, 0xff800000, v6, s1
	v_cndmask_b32_e32 v15, v15, v22, vcc_lo
	v_cndmask_b32_e32 v22, 0x3f490fdb, v30, vcc_lo
	v_cmp_gt_f32_e64 vcc_lo, 0x33800000, |v20|
	v_cmp_class_f32_e64 s1, v9, 0x204
	v_cndmask_b32_e32 v6, v6, v20, vcc_lo
	v_cmp_eq_f32_e32 vcc_lo, 0, v9
	v_cndmask_b32_e32 v15, v15, v21, vcc_lo
	s_and_b32 vcc_lo, s3, s1
	s_delay_alu instid0(VALU_DEP_3) | instskip(NEXT) | instid1(VALU_DEP_2)
	v_mul_f32_e32 v21, 0.5, v6
	v_cndmask_b32_e32 v6, v15, v22, vcc_lo
                                        ; implicit-def: $vgpr22_vgpr23
.LBB198_202:                            ;   in Loop: Header=BB198_162 Depth=1
	s_and_not1_saveexec_b32 s20, s2
	s_cbranch_execz .LBB198_210
; %bb.203:                              ;   in Loop: Header=BB198_162 Depth=1
	v_pk_mul_f32 v[20:21], v[22:23], v[22:23]
                                        ; implicit-def: $vgpr6
	s_mov_b32 s1, exec_lo
	s_delay_alu instid0(VALU_DEP_1) | instskip(NEXT) | instid1(VALU_DEP_1)
	v_add_f32_e32 v15, v21, v20
                                        ; implicit-def: $vgpr21
	v_cmpx_ge_f32_e32 0x3f333333, v15
	s_xor_b32 s2, exec_lo, s1
	s_cbranch_execz .LBB198_205
; %bb.204:                              ;   in Loop: Header=BB198_162 Depth=1
	v_max_num_f32_e64 v6, |v9|, |v9|
	v_max_num_f32_e64 v20, |v8|, |v8|
	v_cmp_gt_f32_e32 vcc_lo, 0x800000, v15
	v_cmp_gt_i32_e64 s1, 0, v8
	v_cmp_class_f32_e64 s3, v8, 0x204
	v_cmp_class_f32_e64 s4, v9, 0x204
	v_dual_max_num_f32 v21, v20, v6 :: v_dual_min_num_f32 v6, v20, v6
	v_cndmask_b32_e64 v23, 0, 0x41b17218, vcc_lo
	s_delay_alu instid0(VALU_DEP_2) | instskip(SKIP_1) | instid1(VALU_DEP_2)
	v_frexp_mant_f32_e32 v22, v21
	v_frexp_exp_i32_f32_e32 v20, v21
	v_rcp_f32_e32 v21, v22
	v_nop
	v_frexp_exp_i32_f32_e32 v22, v6
	v_frexp_mant_f32_e32 v6, v6
	s_delay_alu instid0(VALU_DEP_2)
	v_sub_nc_u32_e32 v20, v22, v20
	s_delay_alu instid0(TRANS32_DEP_1) | instid1(VALU_DEP_2)
	v_mul_f32_e32 v6, v6, v21
	v_cndmask_b32_e64 v22, 0, 32, vcc_lo
	s_delay_alu instid0(VALU_DEP_2) | instskip(NEXT) | instid1(VALU_DEP_2)
	v_ldexp_f32 v6, v6, v20
	v_ldexp_f32 v15, v15, v22
	s_delay_alu instid0(VALU_DEP_2) | instskip(NEXT) | instid1(VALU_DEP_2)
	v_mul_f32_e32 v20, v6, v6
	v_log_f32_e32 v15, v15
	s_delay_alu instid0(VALU_DEP_1) | instskip(NEXT) | instid1(TRANS32_DEP_1)
	v_fmaak_f32 v21, s12, v20, 0xbc7a590c
	v_cmp_gt_f32_e64 vcc_lo, 0x7f800000, |v15|
	s_delay_alu instid0(VALU_DEP_2) | instskip(NEXT) | instid1(VALU_DEP_1)
	v_fmaak_f32 v21, v20, v21, 0x3d29fb3f
	v_fmaak_f32 v21, v20, v21, 0xbd97d4d7
	s_delay_alu instid0(VALU_DEP_1) | instskip(NEXT) | instid1(VALU_DEP_1)
	v_fmaak_f32 v21, v20, v21, 0x3dd931b2
	v_fmaak_f32 v21, v20, v21, 0xbe1160e6
	s_delay_alu instid0(VALU_DEP_1) | instskip(NEXT) | instid1(VALU_DEP_1)
	;; [unrolled: 3-line block ×3, first 2 shown]
	v_dual_mul_f32 v20, v20, v21 :: v_dual_mul_f32 v21, 0x3f317217, v15
	v_fmac_f32_e32 v6, v6, v20
	s_delay_alu instid0(VALU_DEP_2) | instskip(NEXT) | instid1(VALU_DEP_2)
	v_fma_f32 v20, 0x3f317217, v15, -v21
	v_sub_f32_e32 v21, 0x3fc90fdb, v6
	s_delay_alu instid0(VALU_DEP_2) | instskip(NEXT) | instid1(VALU_DEP_2)
	v_fmac_f32_e32 v20, 0x3377d1cf, v15
	v_cndmask_b32_e64 v6, v6, v21, s0
	s_delay_alu instid0(VALU_DEP_2) | instskip(SKIP_2) | instid1(VALU_DEP_3)
	v_fmac_f32_e32 v20, 0x3f317217, v15
	v_cndmask_b32_e64 v21, 0, 0x40490fdb, s1
	v_cmp_eq_f32_e64 s1, 0, v9
	v_dual_sub_f32 v22, 0x40490fdb, v6 :: v_dual_cndmask_b32 v15, v15, v20
	v_cmp_gt_f32_e32 vcc_lo, 0, v8
	s_delay_alu instid0(VALU_DEP_2) | instskip(SKIP_2) | instid1(VALU_DEP_2)
	v_dual_cndmask_b32 v6, v6, v22 :: v_dual_sub_f32 v15, v15, v23
	v_cndmask_b32_e32 v20, 0x3f490fdb, v30, vcc_lo
	s_and_b32 vcc_lo, s3, s4
                                        ; implicit-def: $vgpr22
	v_dual_cndmask_b32 v6, v6, v21, s1 :: v_dual_mul_f32 v21, 0.5, v15
	s_delay_alu instid0(VALU_DEP_1)
	v_cndmask_b32_e32 v6, v6, v20, vcc_lo
.LBB198_205:                            ;   in Loop: Header=BB198_162 Depth=1
	s_and_not1_saveexec_b32 s21, s2
	s_cbranch_execz .LBB198_209
; %bb.206:                              ;   in Loop: Header=BB198_162 Depth=1
	v_and_b32_e32 v21, 0x7fff0000, v22
	v_and_b32_e32 v20, 0x7fff0000, v23
	s_mov_b32 s22, 0
	s_delay_alu instid0(VALU_DEP_1) | instskip(SKIP_2) | instid1(VALU_DEP_2)
	v_dual_add_f32 v28, v21, v21 :: v_dual_add_f32 v15, v20, v20
	v_pk_add_f32 v[22:23], v[22:23], v[20:21] op_sel:[1,0] op_sel_hi:[0,1] neg_lo:[0,1] neg_hi:[0,1]
	v_pk_mul_f32 v[20:21], v[20:21], v[20:21]
	v_and_b32_e32 v25, 0xffff0000, v23
	s_delay_alu instid0(VALU_DEP_3) | instskip(NEXT) | instid1(VALU_DEP_1)
	v_and_b32_e32 v24, 0xffff0000, v22
	v_dual_add_f32 v32, v25, v25 :: v_dual_add_f32 v31, v24, v24
	v_pk_add_f32 v[22:23], v[22:23], v[24:25] neg_lo:[0,1] neg_hi:[0,1]
	v_dual_mul_f32 v6, v15, v24 :: v_dual_mul_f32 v27, v28, v25
	v_pk_mul_f32 v[24:25], v[24:25], v[24:25]
	s_delay_alu instid0(VALU_DEP_3)
	v_dual_mul_f32 v26, v15, v22 :: v_dual_mul_f32 v29, v28, v23
	v_dual_mul_f32 v15, v31, v22 :: v_dual_mul_f32 v28, v32, v23
	v_pk_mul_f32 v[22:23], v[22:23], v[22:23]
.LBB198_207:                            ;   Parent Loop BB198_162 Depth=1
                                        ; =>  This Inner Loop Header: Depth=2
	v_cmp_nlt_f32_e32 vcc_lo, v20, v21
	v_dual_cndmask_b32 v31, v20, v21 :: v_dual_cndmask_b32 v20, v21, v20
	s_delay_alu instid0(VALU_DEP_1) | instskip(NEXT) | instid1(VALU_DEP_1)
	v_cmp_nlt_f32_e64 s1, v31, v6
	v_dual_cndmask_b32 v32, v31, v6, s1 :: v_dual_cndmask_b32 v21, v6, v31, s1
	s_and_b32 s1, vcc_lo, s1
	s_delay_alu instid0(VALU_DEP_1) | instskip(NEXT) | instid1(VALU_DEP_1)
	v_cmp_nlt_f32_e64 s2, v32, v27
	v_dual_cndmask_b32 v33, v32, v27, s2 :: v_dual_cndmask_b32 v6, v27, v32, s2
	s_delay_alu instid0(VALU_DEP_1) | instskip(NEXT) | instid1(VALU_DEP_1)
	v_cmp_nlt_f32_e64 s3, v33, v24
	v_cndmask_b32_e64 v31, v33, v24, s3
	s_and_b32 s23, s2, s3
	s_delay_alu instid0(VALU_DEP_1) | instskip(NEXT) | instid1(VALU_DEP_1)
	v_cmp_nlt_f32_e64 s4, v31, v25
	v_cndmask_b32_e64 v32, v31, v25, s4
	s_delay_alu instid0(VALU_DEP_1) | instskip(NEXT) | instid1(VALU_DEP_1)
	v_cmp_nlt_f32_e64 s5, v32, v26
	v_cndmask_b32_e64 v34, v32, v26, s5
	;; [unrolled: 3-line block ×3, first 2 shown]
	s_delay_alu instid0(VALU_DEP_1) | instskip(SKIP_2) | instid1(VALU_DEP_3)
	v_cmp_nlt_f32_e64 s7, v35, v15
	v_dual_cndmask_b32 v27, v24, v33, s3 :: v_dual_cndmask_b32 v24, v25, v31, s4
	v_dual_cndmask_b32 v25, v26, v32, s5 :: v_dual_cndmask_b32 v26, v29, v34, s6
	v_cndmask_b32_e64 v33, v35, v15, s7
	s_and_b32 s4, s4, s5
	s_delay_alu instid0(SALU_CYCLE_1) | instskip(NEXT) | instid1(SALU_CYCLE_1)
	s_and_b32 s4, s4, s6
	s_and_b32 s5, s4, s7
	s_delay_alu instid0(VALU_DEP_1) | instskip(NEXT) | instid1(VALU_DEP_1)
	v_cmp_nlt_f32_e64 s2, v33, v28
	v_dual_cndmask_b32 v31, v33, v28, s2 :: v_dual_cndmask_b32 v29, v15, v35, s7
	v_cndmask_b32_e64 v15, v28, v33, s2
	s_and_b32 s2, s5, s2
	s_delay_alu instid0(VALU_DEP_2) | instskip(NEXT) | instid1(VALU_DEP_1)
	v_cmp_nlt_f32_e64 s3, v31, v22
	v_cndmask_b32_e64 v32, v31, v22, s3
	s_and_b32 s2, s2, s3
	s_delay_alu instid0(VALU_DEP_1) | instskip(NEXT) | instid1(VALU_DEP_1)
	v_cmp_nlt_f32_e64 s4, v32, v23
	v_dual_cndmask_b32 v28, v22, v31, s3 :: v_dual_cndmask_b32 v22, v23, v32, s4
	s_and_b32 s2, s2, s4
	v_cndmask_b32_e64 v23, v32, v23, s4
	s_and_b32 s2, s2, s23
	s_delay_alu instid0(SALU_CYCLE_1) | instskip(NEXT) | instid1(SALU_CYCLE_1)
	s_and_b32 s1, s2, s1
	s_and_b32 s1, exec_lo, s1
	s_delay_alu instid0(SALU_CYCLE_1) | instskip(NEXT) | instid1(SALU_CYCLE_1)
	s_or_b32 s22, s1, s22
	s_and_not1_b32 exec_lo, exec_lo, s22
	s_cbranch_execnz .LBB198_207
; %bb.208:                              ;   in Loop: Header=BB198_162 Depth=1
	s_or_b32 exec_lo, exec_lo, s22
	v_add_f32_e32 v20, -1.0, v20
	v_cmp_class_f32_e64 s2, v8, 0x204
	s_delay_alu instid0(VALU_DEP_2) | instskip(NEXT) | instid1(VALU_DEP_1)
	v_add_f32_e32 v20, v20, v21
	v_add_f32_e32 v6, v20, v6
	s_delay_alu instid0(VALU_DEP_1) | instskip(NEXT) | instid1(VALU_DEP_1)
	v_add_f32_e32 v6, v6, v27
	v_add_f32_e32 v6, v6, v24
	s_delay_alu instid0(VALU_DEP_1) | instskip(NEXT) | instid1(VALU_DEP_1)
	;; [unrolled: 3-line block ×5, first 2 shown]
	v_add_f32_e32 v20, v23, v6
	v_add_f32_e32 v23, 1.0, v20
	s_delay_alu instid0(VALU_DEP_1) | instskip(SKIP_2) | instid1(VALU_DEP_2)
	v_cvt_f64_f32_e32 v[24:25], v23
	v_frexp_mant_f32_e32 v15, v23
	v_add_f32_e32 v21, -1.0, v23
	v_cmp_gt_f32_e32 vcc_lo, 0x3f2aaaab, v15
	s_delay_alu instid0(VALU_DEP_2) | instskip(SKIP_1) | instid1(VALU_DEP_1)
	v_mov_b32_e32 v22, v21
	v_frexp_exp_i32_f64_e32 v6, v[24:25]
	v_subrev_co_ci_u32_e64 v6, null, 0, v6, vcc_lo
	s_delay_alu instid0(VALU_DEP_1) | instskip(NEXT) | instid1(VALU_DEP_4)
	v_sub_nc_u32_e32 v15, 0, v6
	v_pk_add_f32 v[24:25], v[20:21], v[22:23] neg_lo:[0,1] neg_hi:[0,1]
	v_cmp_neq_f32_e32 vcc_lo, 0x7f800000, v20
	v_cmp_neq_f32_e64 s1, -1.0, v20
	s_delay_alu instid0(VALU_DEP_4) | instskip(NEXT) | instid1(VALU_DEP_4)
	v_ldexp_f32 v21, v23, v15
	v_add_f32_e32 v22, 1.0, v25
	s_delay_alu instid0(VALU_DEP_1) | instskip(NEXT) | instid1(VALU_DEP_1)
	v_dual_add_f32 v25, 1.0, v21 :: v_dual_add_f32 v22, v24, v22
	v_add_f32_e32 v23, -1.0, v25
	v_add_f32_e32 v27, -1.0, v21
	s_delay_alu instid0(VALU_DEP_3) | instskip(NEXT) | instid1(VALU_DEP_3)
	v_ldexp_f32 v15, v22, v15
	v_sub_f32_e32 v22, v21, v23
	s_delay_alu instid0(VALU_DEP_1) | instskip(NEXT) | instid1(VALU_DEP_1)
	v_dual_add_f32 v23, 1.0, v27 :: v_dual_add_f32 v22, v15, v22
	v_add_f32_e32 v28, v25, v22
	s_delay_alu instid0(VALU_DEP_1) | instskip(NEXT) | instid1(VALU_DEP_1)
	v_dual_sub_f32 v21, v21, v23 :: v_dual_sub_f32 v25, v28, v25
	v_add_f32_e32 v15, v15, v21
	v_rcp_f32_e32 v21, v28
	s_delay_alu instid0(VALU_DEP_1)
	v_add_f32_e32 v23, v27, v15
	s_delay_alu instid0(TRANS32_DEP_1) | instid1(VALU_DEP_1)
	v_mul_f32_e32 v29, v23, v21
	s_delay_alu instid0(VALU_DEP_1) | instskip(NEXT) | instid1(VALU_DEP_1)
	v_mul_f32_e32 v24, v28, v29
	v_dual_sub_f32 v31, v22, v25 :: v_dual_fma_f32 v26, v29, v28, -v24
	s_delay_alu instid0(VALU_DEP_1) | instskip(NEXT) | instid1(VALU_DEP_1)
	v_fmac_f32_e32 v26, v29, v31
	v_dual_add_f32 v22, v24, v26 :: v_dual_sub_f32 v32, v23, v27
	s_delay_alu instid0(VALU_DEP_1) | instskip(NEXT) | instid1(VALU_DEP_2)
	v_dual_mov_b32 v27, v22 :: v_dual_sub_f32 v25, v23, v22
	v_sub_f32_e32 v15, v15, v32
	s_delay_alu instid0(VALU_DEP_2) | instskip(NEXT) | instid1(VALU_DEP_1)
	v_pk_add_f32 v[22:23], v[22:23], v[24:25] neg_lo:[0,1] neg_hi:[0,1]
	v_pk_add_f32 v[22:23], v[22:23], v[26:27] neg_lo:[0,1] neg_hi:[0,1]
	s_delay_alu instid0(VALU_DEP_1) | instskip(NEXT) | instid1(VALU_DEP_1)
	v_add_f32_e32 v15, v15, v23
	v_add_f32_e32 v15, v22, v15
	s_delay_alu instid0(VALU_DEP_1) | instskip(NEXT) | instid1(VALU_DEP_1)
	v_add_f32_e32 v23, v25, v15
	v_mul_f32_e32 v32, v21, v23
	s_delay_alu instid0(VALU_DEP_1) | instskip(NEXT) | instid1(VALU_DEP_1)
	v_mul_f32_e32 v26, v28, v32
	v_fma_f32 v24, v32, v28, -v26
	s_delay_alu instid0(VALU_DEP_1) | instskip(NEXT) | instid1(VALU_DEP_1)
	v_fmac_f32_e32 v24, v32, v31
	v_dual_add_f32 v22, v26, v24 :: v_dual_sub_f32 v28, v25, v23
	s_delay_alu instid0(VALU_DEP_1) | instskip(NEXT) | instid1(VALU_DEP_2)
	v_dual_mov_b32 v25, v22 :: v_dual_sub_f32 v27, v23, v22
	v_add_f32_e32 v15, v15, v28
	v_add_f32_e32 v28, v29, v32
	s_delay_alu instid0(VALU_DEP_3) | instskip(NEXT) | instid1(VALU_DEP_1)
	v_pk_add_f32 v[22:23], v[22:23], v[26:27] neg_lo:[0,1] neg_hi:[0,1]
	v_pk_add_f32 v[22:23], v[22:23], v[24:25] neg_lo:[0,1] neg_hi:[0,1]
	s_delay_alu instid0(VALU_DEP_1) | instskip(NEXT) | instid1(VALU_DEP_1)
	v_add_f32_e32 v15, v15, v23
	v_dual_add_f32 v15, v22, v15 :: v_dual_sub_f32 v22, v28, v29
	s_delay_alu instid0(VALU_DEP_1) | instskip(NEXT) | instid1(VALU_DEP_1)
	v_dual_sub_f32 v22, v32, v22 :: v_dual_add_f32 v15, v27, v15
	v_mul_f32_e32 v15, v21, v15
	s_delay_alu instid0(VALU_DEP_1) | instskip(SKIP_1) | instid1(VALU_DEP_2)
	v_add_f32_e32 v21, v22, v15
	v_cvt_f32_i32_e32 v22, v6
	v_add_f32_e32 v29, v28, v21
	s_delay_alu instid0(VALU_DEP_1) | instskip(SKIP_2) | instid1(VALU_DEP_3)
	v_mul_f32_e32 v15, v29, v29
	v_ldexp_f32 v27, v29, 1
	v_sub_f32_e32 v6, v29, v28
	v_dual_fmaak_f32 v24, s11, v15, 0x3ecc95a3 :: v_dual_mul_f32 v23, v29, v15
	s_delay_alu instid0(VALU_DEP_1) | instskip(NEXT) | instid1(VALU_DEP_1)
	v_dual_sub_f32 v6, v21, v6 :: v_dual_fmaak_f32 v15, v15, v24, 0x3f2aaada
	v_ldexp_f32 v6, v6, 1
	s_delay_alu instid0(VALU_DEP_2) | instskip(NEXT) | instid1(VALU_DEP_1)
	v_pk_mul_f32 v[24:25], v[22:23], v[14:15]
	v_fma_f32 v26, 0x3f317218, v22, -v24
	v_mov_b32_e32 v28, v24
	s_delay_alu instid0(VALU_DEP_2) | instskip(NEXT) | instid1(VALU_DEP_1)
	v_fmac_f32_e32 v26, 0xb102e308, v22
	v_pk_add_f32 v[22:23], v[24:25], v[26:27]
	s_delay_alu instid0(VALU_DEP_1) | instskip(NEXT) | instid1(VALU_DEP_1)
	v_dual_sub_f32 v15, v23, v27 :: v_dual_mov_b32 v38, v23
	v_sub_f32_e32 v15, v25, v15
	s_delay_alu instid0(VALU_DEP_3) | instskip(NEXT) | instid1(VALU_DEP_2)
	v_pk_add_f32 v[24:25], v[22:23], v[24:25] neg_lo:[0,1] neg_hi:[0,1]
	v_add_f32_e32 v29, v6, v15
	v_max_num_f32_e64 v6, |v9|, |v9|
	v_max_num_f32_e64 v15, |v8|, |v8|
	v_mov_b32_e32 v27, v22
	s_delay_alu instid0(VALU_DEP_4) | instskip(NEXT) | instid1(VALU_DEP_3)
	v_pk_add_f32 v[32:33], v[22:23], v[28:29]
	v_dual_max_num_f32 v21, v15, v6 :: v_dual_min_num_f32 v15, v15, v6
	s_delay_alu instid0(VALU_DEP_2) | instskip(NEXT) | instid1(VALU_DEP_2)
	v_mov_b32_e32 v25, v33
	v_frexp_exp_i32_f32_e32 v28, v21
	v_frexp_mant_f32_e32 v21, v21
	s_delay_alu instid0(VALU_DEP_3)
	v_pk_add_f32 v[34:35], v[26:27], v[24:25]
	v_mov_b32_e32 v34, v33
	v_frexp_exp_i32_f32_e32 v31, v15
	v_frexp_mant_f32_e32 v40, v15
	v_pk_add_f32 v[24:25], v[26:27], v[24:25] neg_lo:[0,1] neg_hi:[0,1]
	v_mov_b32_e32 v6, v35
	v_rcp_f32_e32 v21, v21
	s_delay_alu instid0(VALU_DEP_1) | instskip(SKIP_1) | instid1(VALU_DEP_2)
	v_pk_add_f32 v[36:37], v[6:7], v[22:23] neg_lo:[0,1] neg_hi:[0,1]
	v_dual_sub_nc_u32 v31, v31, v28 :: v_dual_mov_b32 v23, v22
	v_dual_mov_b32 v22, v29 :: v_dual_mov_b32 v39, v36
	v_mov_b32_e32 v15, v36
	s_delay_alu instid0(VALU_DEP_2) | instskip(NEXT) | instid1(VALU_DEP_2)
	v_pk_add_f32 v[26:27], v[34:35], v[38:39] neg_lo:[0,1] neg_hi:[0,1]
	v_pk_add_f32 v[28:29], v[32:33], v[14:15] neg_lo:[0,1] neg_hi:[0,1]
	v_mov_b32_e32 v28, v24
	s_delay_alu instid0(VALU_DEP_3) | instskip(NEXT) | instid1(VALU_DEP_1)
	v_pk_add_f32 v[22:23], v[22:23], v[26:27] neg_lo:[0,1] neg_hi:[0,1]
	v_pk_add_f32 v[26:27], v[28:29], v[22:23]
	s_delay_alu instid0(VALU_DEP_1) | instskip(NEXT) | instid1(VALU_DEP_1)
	v_dual_mul_f32 v21, v40, v21 :: v_dual_mov_b32 v28, v27
	v_ldexp_f32 v15, v21, v31
	s_delay_alu instid0(VALU_DEP_2) | instskip(NEXT) | instid1(VALU_DEP_1)
	v_pk_add_f32 v[28:29], v[26:27], v[28:29]
	v_pk_add_f32 v[32:33], v[6:7], v[28:29]
	s_delay_alu instid0(VALU_DEP_1) | instskip(SKIP_1) | instid1(VALU_DEP_1)
	v_dual_mul_f32 v21, v15, v15 :: v_dual_mov_b32 v27, v32
	v_mov_b32_e32 v25, v35
	v_pk_add_f32 v[34:35], v[26:27], v[24:25] neg_lo:[0,1] neg_hi:[0,1]
	s_delay_alu instid0(VALU_DEP_1) | instskip(NEXT) | instid1(VALU_DEP_1)
	v_sub_f32_e32 v25, v26, v34
	v_sub_f32_e32 v24, v24, v25
	v_fmaak_f32 v23, s12, v21, 0xbc7a590c
	s_delay_alu instid0(VALU_DEP_1) | instskip(NEXT) | instid1(VALU_DEP_1)
	v_fmaak_f32 v23, v21, v23, 0x3d29fb3f
	v_dual_fmaak_f32 v6, v21, v23, 0xbd97d4d7 :: v_dual_mov_b32 v23, v28
	s_delay_alu instid0(VALU_DEP_1) | instskip(NEXT) | instid1(VALU_DEP_2)
	v_fmaak_f32 v6, v21, v6, 0x3dd931b2
	v_pk_add_f32 v[22:23], v[22:23], v[34:35] neg_lo:[0,1] neg_hi:[0,1]
	s_delay_alu instid0(VALU_DEP_1) | instskip(NEXT) | instid1(VALU_DEP_3)
	v_add_f32_e32 v22, v22, v24
	v_fmaak_f32 v6, v21, v6, 0xbe1160e6
	s_delay_alu instid0(VALU_DEP_1) | instskip(NEXT) | instid1(VALU_DEP_1)
	v_fmaak_f32 v6, v21, v6, 0x3e4cb8bf
	v_fmaak_f32 v6, v21, v6, 0xbeaaaa62
	s_delay_alu instid0(VALU_DEP_1) | instskip(NEXT) | instid1(VALU_DEP_1)
	v_dual_mul_f32 v6, v21, v6 :: v_dual_add_f32 v21, v22, v23
	v_dual_fmac_f32 v15, v15, v6 :: v_dual_add_f32 v6, v32, v21
	s_delay_alu instid0(VALU_DEP_1) | instskip(NEXT) | instid1(VALU_DEP_2)
	v_sub_f32_e32 v21, 0x3fc90fdb, v15
	v_cndmask_b32_e32 v6, 0x7f800000, v6, vcc_lo
	v_cmp_gt_i32_e32 vcc_lo, 0, v8
	s_delay_alu instid0(VALU_DEP_3) | instskip(SKIP_2) | instid1(VALU_DEP_3)
	v_cndmask_b32_e64 v15, v15, v21, s0
	v_cndmask_b32_e64 v21, 0, 0x40490fdb, vcc_lo
	v_cmp_ngt_f32_e32 vcc_lo, -1.0, v20
	v_sub_f32_e32 v22, 0x40490fdb, v15
	v_cndmask_b32_e32 v6, 0x7fc00000, v6, vcc_lo
	v_cmp_gt_f32_e32 vcc_lo, 0, v8
	s_delay_alu instid0(VALU_DEP_2) | instskip(NEXT) | instid1(VALU_DEP_4)
	v_cndmask_b32_e64 v6, 0xff800000, v6, s1
	v_cndmask_b32_e32 v15, v15, v22, vcc_lo
	v_cndmask_b32_e32 v22, 0x3f490fdb, v30, vcc_lo
	v_cmp_gt_f32_e64 vcc_lo, 0x33800000, |v20|
	v_cmp_class_f32_e64 s1, v9, 0x204
	v_cndmask_b32_e32 v6, v6, v20, vcc_lo
	v_cmp_eq_f32_e32 vcc_lo, 0, v9
	v_cndmask_b32_e32 v15, v15, v21, vcc_lo
	s_and_b32 vcc_lo, s2, s1
	s_delay_alu instid0(VALU_DEP_3) | instskip(NEXT) | instid1(VALU_DEP_2)
	v_mul_f32_e32 v21, 0.5, v6
	v_cndmask_b32_e32 v6, v15, v22, vcc_lo
.LBB198_209:                            ;   in Loop: Header=BB198_162 Depth=1
	s_or_b32 exec_lo, exec_lo, s21
.LBB198_210:                            ;   in Loop: Header=BB198_162 Depth=1
	s_delay_alu instid0(SALU_CYCLE_1)
	s_or_b32 exec_lo, exec_lo, s20
.LBB198_211:                            ;   in Loop: Header=BB198_162 Depth=1
	s_and_not1_saveexec_b32 s2, s19
	s_cbranch_execz .LBB198_213
; %bb.212:                              ;   in Loop: Header=BB198_162 Depth=1
	v_max_num_f32_e64 v6, |v9|, |v9|
	v_max_num_f32_e64 v15, |v8|, |v8|
	v_cmp_gt_i32_e64 s1, 0, v8
	v_cmp_class_f32_e64 s3, v8, 0x204
	v_cmp_class_f32_e64 s4, v9, 0x204
	s_delay_alu instid0(VALU_DEP_4) | instskip(NEXT) | instid1(VALU_DEP_1)
	v_dual_max_num_f32 v22, v15, v6 :: v_dual_min_num_f32 v6, v15, v6
	v_cvt_f64_f32_e32 v[20:21], v22
	v_frexp_exp_i32_f32_e32 v15, v22
	s_delay_alu instid0(VALU_DEP_3) | instskip(SKIP_4) | instid1(VALU_DEP_1)
	v_frexp_exp_i32_f32_e32 v23, v6
	v_frexp_mant_f32_e32 v6, v6
	v_cmp_neq_f32_e32 vcc_lo, 0x7f800000, v22
	v_frexp_exp_i32_f64_e32 v20, v[20:21]
	v_frexp_mant_f32_e32 v21, v22
	v_rcp_f32_e32 v21, v21
	v_nop
	s_delay_alu instid0(TRANS32_DEP_1) | instskip(NEXT) | instid1(VALU_DEP_1)
	v_dual_mul_f32 v6, v6, v21 :: v_dual_sub_nc_u32 v15, v23, v15
	v_ldexp_f32 v6, v6, v15
	s_delay_alu instid0(VALU_DEP_1) | instskip(NEXT) | instid1(VALU_DEP_1)
	v_dual_mul_f32 v21, v6, v6 :: v_dual_sub_nc_u32 v15, 0, v20
	v_ldexp_f32 v23, |v9|, v15
	s_delay_alu instid0(VALU_DEP_2) | instskip(SKIP_1) | instid1(VALU_DEP_2)
	v_fmaak_f32 v24, s12, v21, 0xbc7a590c
	v_ldexp_f32 v15, |v8|, v15
	v_dual_mul_f32 v23, v23, v23 :: v_dual_fmaak_f32 v24, v21, v24, 0x3d29fb3f
	s_delay_alu instid0(VALU_DEP_1) | instskip(NEXT) | instid1(VALU_DEP_2)
	v_fmac_f32_e32 v23, v15, v15
	v_fmaak_f32 v15, v21, v24, 0xbd97d4d7
	s_delay_alu instid0(VALU_DEP_2) | instskip(NEXT) | instid1(VALU_DEP_1)
	v_sqrt_f32_e32 v23, v23
	v_fmaak_f32 v15, v21, v15, 0x3dd931b2
	s_delay_alu instid0(VALU_DEP_1) | instskip(NEXT) | instid1(TRANS32_DEP_1)
	v_fmaak_f32 v15, v21, v15, 0xbe1160e6
	v_ldexp_f32 v20, v23, v20
	s_delay_alu instid0(VALU_DEP_2) | instskip(NEXT) | instid1(VALU_DEP_1)
	v_fmaak_f32 v15, v21, v15, 0x3e4cb8bf
	v_fmaak_f32 v15, v21, v15, 0xbeaaaa62
	s_delay_alu instid0(VALU_DEP_1) | instskip(NEXT) | instid1(VALU_DEP_1)
	v_dual_cndmask_b32 v20, 0x7f800000, v20 :: v_dual_mul_f32 v15, v21, v15
	v_cmp_gt_f32_e32 vcc_lo, 0x800000, v20
	v_cndmask_b32_e64 v22, 0, 32, vcc_lo
	v_cndmask_b32_e64 v23, 0, 0x41b17218, vcc_lo
	s_delay_alu instid0(VALU_DEP_2) | instskip(NEXT) | instid1(VALU_DEP_1)
	v_ldexp_f32 v20, v20, v22
	v_log_f32_e32 v20, v20
	v_nop
	s_delay_alu instid0(TRANS32_DEP_1) | instskip(NEXT) | instid1(VALU_DEP_1)
	v_dual_fmac_f32 v6, v6, v15 :: v_dual_mul_f32 v15, 0x3f317217, v20
	v_sub_f32_e32 v21, 0x3fc90fdb, v6
	v_cmp_gt_f32_e64 vcc_lo, 0x7f800000, |v20|
	s_delay_alu instid0(VALU_DEP_3) | instskip(NEXT) | instid1(VALU_DEP_1)
	v_fma_f32 v15, 0x3f317217, v20, -v15
	v_fmac_f32_e32 v15, 0x3377d1cf, v20
	s_delay_alu instid0(VALU_DEP_1) | instskip(SKIP_3) | instid1(VALU_DEP_3)
	v_fmac_f32_e32 v15, 0x3f317217, v20
	v_cndmask_b32_e64 v6, v6, v21, s0
	v_cndmask_b32_e64 v21, 0, 0x40490fdb, s1
	v_cmp_gt_f32_e64 s1, 0, v8
	v_dual_cndmask_b32 v15, v20, v15 :: v_dual_sub_f32 v22, 0x40490fdb, v6
	v_cmp_eq_f32_e32 vcc_lo, 0, v9
	s_delay_alu instid0(VALU_DEP_2) | instskip(SKIP_1) | instid1(VALU_DEP_2)
	v_cndmask_b32_e64 v6, v6, v22, s1
	v_cndmask_b32_e64 v22, 0x3f490fdb, v30, s1
	v_cndmask_b32_e32 v6, v6, v21, vcc_lo
	s_and_b32 vcc_lo, s3, s4
	s_delay_alu instid0(VALU_DEP_1)
	v_dual_sub_f32 v21, v15, v23 :: v_dual_cndmask_b32 v6, v6, v22
.LBB198_213:                            ;   in Loop: Header=BB198_162 Depth=1
	s_or_b32 exec_lo, exec_lo, s2
                                        ; implicit-def: $vgpr22
.LBB198_214:                            ;   in Loop: Header=BB198_162 Depth=1
	s_and_not1_saveexec_b32 s2, s18
	s_cbranch_execz .LBB198_220
; %bb.215:                              ;   in Loop: Header=BB198_162 Depth=1
                                        ; implicit-def: $vgpr21
                                        ; implicit-def: $vgpr6
	s_mov_b32 s1, exec_lo
	v_cmpx_ngt_f32_e32 0x1fec1e4a, v22
	s_xor_b32 s3, exec_lo, s1
	s_cbranch_execz .LBB198_217
; %bb.216:                              ;   in Loop: Header=BB198_162 Depth=1
	v_pk_mul_f32 v[20:21], v[22:23], v[22:23]
	v_cmp_class_f32_e64 s4, v8, 0x204
	s_delay_alu instid0(VALU_DEP_2) | instskip(SKIP_1) | instid1(VALU_DEP_2)
	v_add_f32_e32 v23, 1.0, v20
	v_cmp_neq_f32_e64 s1, 0x7f800000, v20
	v_add_f32_e32 v21, -1.0, v23
	s_delay_alu instid0(VALU_DEP_1) | instskip(SKIP_2) | instid1(VALU_DEP_1)
	v_mov_b32_e32 v22, v21
	v_cvt_f64_f32_e32 v[24:25], v23
	v_frexp_mant_f32_e32 v15, v23
	v_cmp_gt_f32_e32 vcc_lo, 0x3f2aaaab, v15
	s_delay_alu instid0(VALU_DEP_3) | instskip(NEXT) | instid1(VALU_DEP_1)
	v_frexp_exp_i32_f64_e32 v6, v[24:25]
	v_subrev_co_ci_u32_e64 v6, null, 0, v6, vcc_lo
	v_cmp_gt_i32_e32 vcc_lo, 0, v8
	s_delay_alu instid0(VALU_DEP_2) | instskip(SKIP_1) | instid1(VALU_DEP_2)
	v_sub_nc_u32_e32 v15, 0, v6
	v_pk_add_f32 v[24:25], v[20:21], v[22:23] neg_lo:[0,1] neg_hi:[0,1]
	v_ldexp_f32 v21, v23, v15
	s_delay_alu instid0(VALU_DEP_2) | instskip(NEXT) | instid1(VALU_DEP_2)
	v_add_f32_e32 v22, 1.0, v25
	v_add_f32_e32 v25, 1.0, v21
	s_delay_alu instid0(VALU_DEP_1) | instskip(SKIP_1) | instid1(VALU_DEP_2)
	v_dual_add_f32 v23, -1.0, v25 :: v_dual_add_f32 v22, v24, v22
	v_add_f32_e32 v27, -1.0, v21
	v_ldexp_f32 v15, v22, v15
	s_delay_alu instid0(VALU_DEP_3) | instskip(NEXT) | instid1(VALU_DEP_1)
	v_sub_f32_e32 v22, v21, v23
	v_dual_add_f32 v23, 1.0, v27 :: v_dual_add_f32 v22, v15, v22
	s_delay_alu instid0(VALU_DEP_1) | instskip(NEXT) | instid1(VALU_DEP_2)
	v_add_f32_e32 v28, v25, v22
	v_sub_f32_e32 v21, v21, v23
	s_delay_alu instid0(VALU_DEP_1) | instskip(NEXT) | instid1(VALU_DEP_3)
	v_add_f32_e32 v15, v15, v21
	v_rcp_f32_e32 v21, v28
	s_delay_alu instid0(VALU_DEP_1)
	v_dual_sub_f32 v25, v25, v28 :: v_dual_add_f32 v23, v27, v15
	s_delay_alu instid0(TRANS32_DEP_1) | instid1(VALU_DEP_1)
	v_mul_f32_e32 v29, v23, v21
	s_delay_alu instid0(VALU_DEP_1) | instskip(NEXT) | instid1(VALU_DEP_1)
	v_mul_f32_e32 v24, v28, v29
	v_dual_add_f32 v31, v22, v25 :: v_dual_fma_f32 v26, v29, v28, -v24
	s_delay_alu instid0(VALU_DEP_1) | instskip(NEXT) | instid1(VALU_DEP_1)
	v_fmac_f32_e32 v26, v29, v31
	v_dual_add_f32 v22, v24, v26 :: v_dual_sub_f32 v32, v27, v23
	s_delay_alu instid0(VALU_DEP_1) | instskip(NEXT) | instid1(VALU_DEP_2)
	v_dual_mov_b32 v27, v22 :: v_dual_sub_f32 v25, v23, v22
	v_add_f32_e32 v15, v15, v32
	s_delay_alu instid0(VALU_DEP_2) | instskip(NEXT) | instid1(VALU_DEP_1)
	v_pk_add_f32 v[22:23], v[22:23], v[24:25] neg_lo:[0,1] neg_hi:[0,1]
	v_pk_add_f32 v[22:23], v[22:23], v[26:27] neg_lo:[0,1] neg_hi:[0,1]
	s_delay_alu instid0(VALU_DEP_1) | instskip(NEXT) | instid1(VALU_DEP_1)
	v_add_f32_e32 v15, v15, v23
	v_add_f32_e32 v15, v22, v15
	s_delay_alu instid0(VALU_DEP_1) | instskip(NEXT) | instid1(VALU_DEP_1)
	v_add_f32_e32 v23, v25, v15
	v_mul_f32_e32 v32, v21, v23
	s_delay_alu instid0(VALU_DEP_1) | instskip(NEXT) | instid1(VALU_DEP_1)
	v_mul_f32_e32 v26, v28, v32
	v_fma_f32 v24, v32, v28, -v26
	s_delay_alu instid0(VALU_DEP_1) | instskip(SKIP_1) | instid1(VALU_DEP_2)
	v_fmac_f32_e32 v24, v32, v31
	v_max_num_f32_e64 v31, |v8|, |v8|
	v_dual_add_f32 v22, v26, v24 :: v_dual_sub_f32 v28, v25, v23
	s_delay_alu instid0(VALU_DEP_1) | instskip(NEXT) | instid1(VALU_DEP_2)
	v_dual_mov_b32 v25, v22 :: v_dual_sub_f32 v27, v23, v22
	v_add_f32_e32 v15, v15, v28
	v_add_f32_e32 v28, v29, v32
	s_delay_alu instid0(VALU_DEP_3) | instskip(NEXT) | instid1(VALU_DEP_1)
	v_pk_add_f32 v[22:23], v[22:23], v[26:27] neg_lo:[0,1] neg_hi:[0,1]
	v_pk_add_f32 v[22:23], v[22:23], v[24:25] neg_lo:[0,1] neg_hi:[0,1]
	s_delay_alu instid0(VALU_DEP_1) | instskip(NEXT) | instid1(VALU_DEP_1)
	v_add_f32_e32 v15, v15, v23
	v_dual_add_f32 v15, v22, v15 :: v_dual_sub_f32 v22, v28, v29
	s_delay_alu instid0(VALU_DEP_1) | instskip(NEXT) | instid1(VALU_DEP_1)
	v_dual_sub_f32 v22, v32, v22 :: v_dual_add_f32 v15, v27, v15
	v_mul_f32_e32 v15, v21, v15
	s_delay_alu instid0(VALU_DEP_1) | instskip(SKIP_1) | instid1(VALU_DEP_2)
	v_add_f32_e32 v21, v22, v15
	v_cvt_f32_i32_e32 v22, v6
	v_add_f32_e32 v29, v28, v21
	s_delay_alu instid0(VALU_DEP_1) | instskip(SKIP_2) | instid1(VALU_DEP_3)
	v_mul_f32_e32 v15, v29, v29
	v_ldexp_f32 v27, v29, 1
	v_sub_f32_e32 v6, v29, v28
	v_dual_fmaak_f32 v24, s11, v15, 0x3ecc95a3 :: v_dual_mul_f32 v23, v29, v15
	s_delay_alu instid0(VALU_DEP_2) | instskip(SKIP_1) | instid1(VALU_DEP_3)
	v_sub_f32_e32 v6, v21, v6
	v_max_num_f32_e64 v21, |v9|, |v9|
	v_fmaak_f32 v15, v15, v24, 0x3f2aaada
	s_delay_alu instid0(VALU_DEP_3) | instskip(NEXT) | instid1(VALU_DEP_2)
	v_ldexp_f32 v6, v6, 1
	v_pk_mul_f32 v[24:25], v[22:23], v[14:15]
	s_delay_alu instid0(VALU_DEP_1) | instskip(SKIP_1) | instid1(VALU_DEP_2)
	v_fma_f32 v26, 0x3f317218, v22, -v24
	v_mov_b32_e32 v28, v24
	v_fmac_f32_e32 v26, 0xb102e308, v22
	s_delay_alu instid0(VALU_DEP_1) | instskip(NEXT) | instid1(VALU_DEP_1)
	v_pk_add_f32 v[22:23], v[24:25], v[26:27]
	v_sub_f32_e32 v15, v23, v27
	s_delay_alu instid0(VALU_DEP_1) | instskip(NEXT) | instid1(VALU_DEP_3)
	v_sub_f32_e32 v15, v25, v15
	v_pk_add_f32 v[24:25], v[22:23], v[24:25] neg_lo:[0,1] neg_hi:[0,1]
	s_delay_alu instid0(VALU_DEP_2) | instskip(NEXT) | instid1(VALU_DEP_1)
	v_dual_add_f32 v29, v6, v15 :: v_dual_max_num_f32 v6, v31, v21
	v_pk_add_f32 v[32:33], v[22:23], v[28:29]
	v_mov_b32_e32 v27, v22
	s_delay_alu instid0(VALU_DEP_3) | instskip(SKIP_3) | instid1(VALU_DEP_3)
	v_frexp_exp_i32_f32_e32 v28, v6
	v_min_num_f32_e32 v21, v31, v21
	v_frexp_mant_f32_e32 v15, v6
	v_dual_mov_b32 v25, v33 :: v_dual_mov_b32 v38, v23
	v_frexp_exp_i32_f32_e32 v31, v21
	s_delay_alu instid0(VALU_DEP_3) | instskip(NEXT) | instid1(VALU_DEP_2)
	v_rcp_f32_e32 v15, v15
	v_pk_add_f32 v[34:35], v[26:27], v[24:25]
	v_mov_b32_e32 v34, v33
	v_pk_add_f32 v[24:25], v[26:27], v[24:25] neg_lo:[0,1] neg_hi:[0,1]
	v_sub_nc_u32_e32 v28, v31, v28
	v_frexp_mant_f32_e32 v21, v21
	s_delay_alu instid0(TRANS32_DEP_1) | instid1(VALU_DEP_1)
	v_dual_mov_b32 v6, v35 :: v_dual_mul_f32 v15, v21, v15
	s_delay_alu instid0(VALU_DEP_1) | instskip(SKIP_1) | instid1(VALU_DEP_3)
	v_pk_add_f32 v[36:37], v[6:7], v[22:23] neg_lo:[0,1] neg_hi:[0,1]
	v_dual_mov_b32 v23, v22 :: v_dual_mov_b32 v22, v29
	v_ldexp_f32 v21, v15, v28
	s_delay_alu instid0(VALU_DEP_3) | instskip(NEXT) | instid1(VALU_DEP_2)
	v_dual_mov_b32 v39, v36 :: v_dual_mov_b32 v15, v36
	v_mul_f32_e32 v31, v21, v21
	s_delay_alu instid0(VALU_DEP_2) | instskip(NEXT) | instid1(VALU_DEP_3)
	v_pk_add_f32 v[26:27], v[34:35], v[38:39] neg_lo:[0,1] neg_hi:[0,1]
	v_pk_add_f32 v[28:29], v[32:33], v[14:15] neg_lo:[0,1] neg_hi:[0,1]
	v_mov_b32_e32 v28, v24
	s_delay_alu instid0(VALU_DEP_3) | instskip(NEXT) | instid1(VALU_DEP_1)
	v_pk_add_f32 v[22:23], v[22:23], v[26:27] neg_lo:[0,1] neg_hi:[0,1]
	v_pk_add_f32 v[26:27], v[28:29], v[22:23]
	s_delay_alu instid0(VALU_DEP_1) | instskip(NEXT) | instid1(VALU_DEP_1)
	v_dual_fmaak_f32 v15, s12, v31, 0xbc7a590c :: v_dual_mov_b32 v28, v27
	v_fmaak_f32 v15, v31, v15, 0x3d29fb3f
	s_delay_alu instid0(VALU_DEP_2) | instskip(NEXT) | instid1(VALU_DEP_1)
	v_pk_add_f32 v[28:29], v[26:27], v[28:29]
	v_dual_mov_b32 v25, v35 :: v_dual_mov_b32 v23, v28
	s_delay_alu instid0(VALU_DEP_2) | instskip(NEXT) | instid1(VALU_DEP_4)
	v_pk_add_f32 v[32:33], v[6:7], v[28:29]
	v_fmaak_f32 v15, v31, v15, 0xbd97d4d7
	s_delay_alu instid0(VALU_DEP_2) | instskip(NEXT) | instid1(VALU_DEP_2)
	v_mov_b32_e32 v27, v32
	v_fmaak_f32 v15, v31, v15, 0x3dd931b2
	s_delay_alu instid0(VALU_DEP_2) | instskip(NEXT) | instid1(VALU_DEP_1)
	v_pk_add_f32 v[34:35], v[26:27], v[24:25] neg_lo:[0,1] neg_hi:[0,1]
	v_dual_fmaak_f32 v6, v31, v15, 0xbe1160e6 :: v_dual_sub_f32 v15, v26, v34
	s_delay_alu instid0(VALU_DEP_1) | instskip(NEXT) | instid1(VALU_DEP_3)
	v_fmaak_f32 v6, v31, v6, 0x3e4cb8bf
	v_pk_add_f32 v[22:23], v[22:23], v[34:35] neg_lo:[0,1] neg_hi:[0,1]
	s_delay_alu instid0(VALU_DEP_2) | instskip(NEXT) | instid1(VALU_DEP_1)
	v_dual_sub_f32 v15, v24, v15 :: v_dual_fmaak_f32 v6, v31, v6, 0xbeaaaa62
	v_mul_f32_e32 v6, v31, v6
	s_delay_alu instid0(VALU_DEP_1) | instskip(NEXT) | instid1(VALU_DEP_1)
	v_dual_fmac_f32 v21, v21, v6 :: v_dual_add_f32 v6, v22, v15
	v_dual_sub_f32 v15, 0x3fc90fdb, v21 :: v_dual_add_f32 v6, v6, v23
	s_delay_alu instid0(VALU_DEP_1) | instskip(SKIP_1) | instid1(VALU_DEP_3)
	v_cndmask_b32_e64 v15, v21, v15, s0
	v_cndmask_b32_e64 v21, 0, 0x40490fdb, vcc_lo
	v_add_f32_e32 v6, v32, v6
	v_cmp_gt_f32_e32 vcc_lo, 0, v8
	s_delay_alu instid0(VALU_DEP_4) | instskip(NEXT) | instid1(VALU_DEP_3)
	v_sub_f32_e32 v22, 0x40490fdb, v15
	v_cndmask_b32_e64 v6, 0x7f800000, v6, s1
	v_cmp_class_f32_e64 s1, v9, 0x204
	s_delay_alu instid0(VALU_DEP_3)
	v_cndmask_b32_e32 v15, v15, v22, vcc_lo
	v_cndmask_b32_e32 v22, 0x3f490fdb, v30, vcc_lo
	v_cmp_gt_f32_e64 vcc_lo, 0x33800000, |v20|
	v_cndmask_b32_e32 v6, v6, v20, vcc_lo
	v_cmp_eq_f32_e32 vcc_lo, 0, v9
	v_cndmask_b32_e32 v15, v15, v21, vcc_lo
	s_and_b32 vcc_lo, s4, s1
	s_delay_alu instid0(VALU_DEP_3) | instskip(NEXT) | instid1(VALU_DEP_2)
	v_mul_f32_e32 v21, 0.5, v6
	v_cndmask_b32_e32 v6, v15, v22, vcc_lo
                                        ; implicit-def: $vgpr22
.LBB198_217:                            ;   in Loop: Header=BB198_162 Depth=1
	s_and_not1_saveexec_b32 s3, s3
	s_cbranch_execz .LBB198_219
; %bb.218:                              ;   in Loop: Header=BB198_162 Depth=1
	v_max_num_f32_e64 v6, |v9|, |v9|
	v_max_num_f32_e64 v15, |v8|, |v8|
	v_cmp_eq_f32_e64 s1, 0, v9
	v_cmp_gt_i32_e32 vcc_lo, 0, v8
	v_cmp_class_f32_e64 s4, v8, 0x204
	v_cmp_class_f32_e64 s5, v9, 0x204
	v_dual_max_num_f32 v20, v15, v6 :: v_dual_min_num_f32 v6, v15, v6
	s_delay_alu instid0(VALU_DEP_1) | instskip(SKIP_1) | instid1(VALU_DEP_2)
	v_frexp_mant_f32_e32 v21, v20
	v_frexp_exp_i32_f32_e32 v15, v20
	v_rcp_f32_e32 v20, v21
	v_nop
	v_frexp_exp_i32_f32_e32 v21, v6
	v_frexp_mant_f32_e32 v6, v6
	s_delay_alu instid0(TRANS32_DEP_1) | instid1(VALU_DEP_1)
	v_dual_mul_f32 v6, v6, v20 :: v_dual_sub_nc_u32 v15, v21, v15
	s_delay_alu instid0(VALU_DEP_1) | instskip(NEXT) | instid1(VALU_DEP_1)
	v_ldexp_f32 v6, v6, v15
	v_mul_f32_e32 v15, v6, v6
	s_delay_alu instid0(VALU_DEP_1) | instskip(NEXT) | instid1(VALU_DEP_1)
	v_fmaak_f32 v20, s12, v15, 0xbc7a590c
	v_fmaak_f32 v20, v15, v20, 0x3d29fb3f
	s_delay_alu instid0(VALU_DEP_1) | instskip(NEXT) | instid1(VALU_DEP_1)
	v_fmaak_f32 v20, v15, v20, 0xbd97d4d7
	v_fmaak_f32 v20, v15, v20, 0x3dd931b2
	;; [unrolled: 3-line block ×3, first 2 shown]
	s_delay_alu instid0(VALU_DEP_1) | instskip(NEXT) | instid1(VALU_DEP_1)
	v_fmaak_f32 v20, v15, v20, 0xbeaaaa62
	v_mul_f32_e32 v15, v15, v20
	v_cndmask_b32_e64 v20, 0, 0x40490fdb, vcc_lo
	v_cmp_gt_f32_e32 vcc_lo, 0, v8
	s_delay_alu instid0(VALU_DEP_3) | instskip(NEXT) | instid1(VALU_DEP_1)
	v_fmac_f32_e32 v6, v6, v15
	v_sub_f32_e32 v15, 0x3fc90fdb, v6
	s_delay_alu instid0(VALU_DEP_1) | instskip(NEXT) | instid1(VALU_DEP_1)
	v_cndmask_b32_e64 v6, v6, v15, s0
	v_sub_f32_e32 v15, 0x40490fdb, v6
	s_delay_alu instid0(VALU_DEP_1) | instskip(NEXT) | instid1(VALU_DEP_1)
	v_dual_cndmask_b32 v6, v6, v15 :: v_dual_mul_f32 v15, 0.5, v22
	v_cndmask_b32_e64 v6, v6, v20, s1
	v_cndmask_b32_e32 v20, 0x3f490fdb, v30, vcc_lo
	s_and_b32 vcc_lo, s4, s5
	s_delay_alu instid0(VALU_DEP_3) | instskip(NEXT) | instid1(VALU_DEP_2)
	v_mul_f32_e32 v21, v22, v15
	v_cndmask_b32_e32 v6, v6, v20, vcc_lo
.LBB198_219:                            ;   in Loop: Header=BB198_162 Depth=1
	s_or_b32 exec_lo, exec_lo, s3
.LBB198_220:                            ;   in Loop: Header=BB198_162 Depth=1
	s_delay_alu instid0(SALU_CYCLE_1)
	s_or_b32 exec_lo, exec_lo, s2
.LBB198_221:                            ;   in Loop: Header=BB198_162 Depth=1
	s_and_not1_saveexec_b32 s2, s17
	s_cbranch_execz .LBB198_223
; %bb.222:                              ;   in Loop: Header=BB198_162 Depth=1
	v_div_scale_f32 v6, null, 0x402df854, 0x402df854, v8
	v_div_scale_f32 v15, null, 0x402df854, 0x402df854, v9
	v_div_scale_f32 v24, vcc_lo, v8, 0x402df854, v8
	s_delay_alu instid0(VALU_DEP_3) | instskip(NEXT) | instid1(VALU_DEP_2)
	v_rcp_f32_e32 v20, v6
	v_rcp_f32_e32 v21, v15
	v_cmp_class_f32_e64 s3, v9, 0x204
	s_delay_alu instid0(TRANS32_DEP_2) | instskip(NEXT) | instid1(TRANS32_DEP_1)
	v_fma_f32 v22, -v6, v20, 1.0
	v_fma_f32 v23, -v15, v21, 1.0
	s_delay_alu instid0(VALU_DEP_1) | instskip(SKIP_1) | instid1(VALU_DEP_1)
	v_dual_fmac_f32 v20, v22, v20 :: v_dual_fmac_f32 v21, v23, v21
	v_div_scale_f32 v22, s1, v9, 0x402df854, v9
	v_dual_mul_f32 v23, v24, v20 :: v_dual_mul_f32 v25, v22, v21
	s_delay_alu instid0(VALU_DEP_1) | instskip(NEXT) | instid1(VALU_DEP_1)
	v_dual_fma_f32 v26, -v6, v23, v24 :: v_dual_fma_f32 v27, -v15, v25, v22
	v_dual_fmac_f32 v23, v26, v20 :: v_dual_fmac_f32 v25, v27, v21
	s_delay_alu instid0(VALU_DEP_1) | instskip(NEXT) | instid1(VALU_DEP_1)
	v_dual_fma_f32 v6, -v6, v23, v24 :: v_dual_fma_f32 v15, -v15, v25, v22
	v_div_fmas_f32 v6, v6, v20, v23
	s_mov_b32 vcc_lo, s1
	v_max_num_f32_e64 v23, |v8|, |v8|
	s_delay_alu instid0(VALU_DEP_3) | instskip(SKIP_2) | instid1(VALU_DEP_3)
	v_div_fmas_f32 v15, v15, v21, v25
	v_cmp_class_f32_e64 s1, v8, 0x204
	v_div_fixup_f32 v6, v6, 0x402df854, v8
	v_div_fixup_f32 v15, v15, 0x402df854, v9
	s_delay_alu instid0(VALU_DEP_1) | instskip(NEXT) | instid1(VALU_DEP_1)
	v_max_num_f32_e64 v22, |v6|, |v15|
	v_cvt_f64_f32_e32 v[20:21], v22
	v_cmp_neq_f32_e32 vcc_lo, 0x7f800000, v22
	s_delay_alu instid0(VALU_DEP_2) | instskip(SKIP_1) | instid1(VALU_DEP_1)
	v_frexp_exp_i32_f64_e32 v20, v[20:21]
	v_max_num_f32_e64 v21, |v9|, |v9|
	v_dual_max_num_f32 v24, v23, v21 :: v_dual_min_num_f32 v21, v23, v21
	s_delay_alu instid0(VALU_DEP_1) | instskip(SKIP_1) | instid1(VALU_DEP_2)
	v_frexp_mant_f32_e32 v25, v24
	v_frexp_exp_i32_f32_e32 v23, v24
	v_rcp_f32_e32 v24, v25
	v_nop
	v_frexp_exp_i32_f32_e32 v25, v21
	v_frexp_mant_f32_e32 v21, v21
	s_delay_alu instid0(VALU_DEP_2)
	v_sub_nc_u32_e32 v23, v25, v23
	s_delay_alu instid0(TRANS32_DEP_1) | instid1(VALU_DEP_2)
	v_mul_f32_e32 v21, v21, v24
	v_sub_nc_u32_e32 v24, 0, v20
	s_delay_alu instid0(VALU_DEP_1) | instskip(SKIP_1) | instid1(VALU_DEP_2)
	v_ldexp_f32 v15, |v15|, v24
	v_ldexp_f32 v6, |v6|, v24
	v_mul_f32_e32 v15, v15, v15
	v_ldexp_f32 v21, v21, v23
	s_delay_alu instid0(VALU_DEP_1) | instskip(NEXT) | instid1(VALU_DEP_1)
	v_dual_fmac_f32 v15, v6, v6 :: v_dual_mul_f32 v23, v21, v21
	v_sqrt_f32_e32 v15, v15
	s_delay_alu instid0(VALU_DEP_1) | instskip(NEXT) | instid1(VALU_DEP_1)
	v_fmaak_f32 v24, s12, v23, 0xbc7a590c
	v_fmaak_f32 v6, v23, v24, 0x3d29fb3f
	s_delay_alu instid0(TRANS32_DEP_1) | instskip(NEXT) | instid1(VALU_DEP_2)
	v_ldexp_f32 v15, v15, v20
	v_fmaak_f32 v6, v23, v6, 0xbd97d4d7
	s_delay_alu instid0(VALU_DEP_1) | instskip(NEXT) | instid1(VALU_DEP_1)
	v_fmaak_f32 v6, v23, v6, 0x3dd931b2
	v_fmaak_f32 v6, v23, v6, 0xbe1160e6
	s_delay_alu instid0(VALU_DEP_1) | instskip(NEXT) | instid1(VALU_DEP_1)
	v_fmaak_f32 v6, v23, v6, 0x3e4cb8bf
	v_fmaak_f32 v6, v23, v6, 0xbeaaaa62
	s_delay_alu instid0(VALU_DEP_1) | instskip(NEXT) | instid1(VALU_DEP_1)
	v_dual_cndmask_b32 v15, 0x7f800000, v15 :: v_dual_mul_f32 v6, v23, v6
	v_cmp_gt_f32_e32 vcc_lo, 0x800000, v15
	s_delay_alu instid0(VALU_DEP_2) | instskip(SKIP_2) | instid1(VALU_DEP_2)
	v_fmac_f32_e32 v21, v21, v6
	v_cndmask_b32_e64 v20, 0, 32, vcc_lo
	v_cndmask_b32_e64 v23, 0, 0x41b17218, vcc_lo
	v_ldexp_f32 v15, v15, v20
	s_delay_alu instid0(VALU_DEP_1) | instskip(SKIP_1) | instid1(TRANS32_DEP_1)
	v_log_f32_e32 v15, v15
	v_nop
	v_mul_f32_e32 v20, 0x3f317217, v15
	v_cmp_gt_f32_e64 vcc_lo, 0x7f800000, |v15|
	s_delay_alu instid0(VALU_DEP_2) | instskip(NEXT) | instid1(VALU_DEP_1)
	v_fma_f32 v6, 0x3f317217, v15, -v20
	v_fmac_f32_e32 v6, 0x3377d1cf, v15
	s_delay_alu instid0(VALU_DEP_1) | instskip(NEXT) | instid1(VALU_DEP_1)
	v_fmac_f32_e32 v6, 0x3f317217, v15
	v_cndmask_b32_e32 v6, v15, v6, vcc_lo
	v_cmp_eq_f32_e32 vcc_lo, 0, v9
	s_delay_alu instid0(VALU_DEP_2) | instskip(SKIP_1) | instid1(VALU_DEP_1)
	v_sub_f32_e32 v6, v6, v23
	v_sub_f32_e32 v20, 0x3fc90fdb, v21
	v_cndmask_b32_e64 v20, v21, v20, s0
	v_cmp_gt_i32_e64 s0, 0, v8
	s_delay_alu instid0(VALU_DEP_2) | instskip(NEXT) | instid1(VALU_DEP_2)
	v_sub_f32_e32 v22, 0x40490fdb, v20
	v_cndmask_b32_e64 v21, 0, 0x40490fdb, s0
	v_cmp_gt_f32_e64 s0, 0, v8
	s_delay_alu instid0(VALU_DEP_1) | instskip(SKIP_1) | instid1(VALU_DEP_2)
	v_cndmask_b32_e64 v15, v20, v22, s0
	v_cndmask_b32_e64 v20, 0x3f490fdb, v30, s0
	v_cndmask_b32_e32 v15, v15, v21, vcc_lo
	s_and_b32 vcc_lo, s1, s3
	s_delay_alu instid0(VALU_DEP_1)
	v_dual_add_f32 v21, 1.0, v6 :: v_dual_cndmask_b32 v6, v15, v20
.LBB198_223:                            ;   in Loop: Header=BB198_162 Depth=1
	s_or_b32 exec_lo, exec_lo, s2
.LBB198_224:                            ;   in Loop: Header=BB198_162 Depth=1
	s_and_not1_saveexec_b32 s0, s16
	s_cbranch_execz .LBB198_230
; %bb.225:                              ;   in Loop: Header=BB198_162 Depth=1
	v_cmp_ngt_f32_e64 s1, 0x20000000, |v8|
	v_cmp_ngt_f32_e64 s2, 0x20000000, |v9|
                                        ; implicit-def: $vgpr6
	s_or_b32 s1, s1, s2
	s_delay_alu instid0(SALU_CYCLE_1) | instskip(NEXT) | instid1(SALU_CYCLE_1)
	s_and_saveexec_b32 s2, s1
	s_xor_b32 s1, exec_lo, s2
; %bb.226:                              ;   in Loop: Header=BB198_162 Depth=1
	v_pk_mul_f32 v[20:21], v[8:9], v[8:9]
	s_delay_alu instid0(VALU_DEP_1)
	v_add_f32_e32 v6, v20, v21
; %bb.227:                              ;   in Loop: Header=BB198_162 Depth=1
	s_and_not1_saveexec_b32 s1, s1
; %bb.228:                              ;   in Loop: Header=BB198_162 Depth=1
	v_pk_mul_f32 v[20:21], v[8:9], 4.0 op_sel_hi:[1,0]
	s_delay_alu instid0(VALU_DEP_1) | instskip(NEXT) | instid1(VALU_DEP_1)
	v_pk_mul_f32 v[20:21], v[20:21], v[20:21]
	v_add_f32_e32 v6, v20, v21
	s_delay_alu instid0(VALU_DEP_1)
	v_mul_f32_e32 v6, 0x3d800000, v6
; %bb.229:                              ;   in Loop: Header=BB198_162 Depth=1
	s_or_b32 exec_lo, exec_lo, s1
	s_delay_alu instid0(VALU_DEP_1) | instskip(SKIP_2) | instid1(VALU_DEP_2)
	v_cmp_gt_f32_e32 vcc_lo, 0x800000, v6
	v_cndmask_b32_e64 v8, 0, 32, vcc_lo
	v_cndmask_b32_e64 v15, 0, 0x41b17218, vcc_lo
	v_ldexp_f32 v6, v6, v8
	s_delay_alu instid0(VALU_DEP_1) | instskip(SKIP_1) | instid1(TRANS32_DEP_1)
	v_log_f32_e32 v6, v6
	v_nop
	v_mul_f32_e32 v8, 0x3f317217, v6
	v_cmp_gt_f32_e64 vcc_lo, 0x7f800000, |v6|
	s_delay_alu instid0(VALU_DEP_2) | instskip(NEXT) | instid1(VALU_DEP_1)
	v_fma_f32 v8, 0x3f317217, v6, -v8
	v_fmac_f32_e32 v8, 0x3377d1cf, v6
	s_delay_alu instid0(VALU_DEP_1) | instskip(NEXT) | instid1(VALU_DEP_1)
	v_fmac_f32_e32 v8, 0x3f317217, v6
	v_cndmask_b32_e32 v6, v6, v8, vcc_lo
	s_delay_alu instid0(VALU_DEP_1)
	v_dual_sub_f32 v21, v6, v15 :: v_dual_mov_b32 v6, 0x7fc00000
.LBB198_230:                            ;   in Loop: Header=BB198_162 Depth=1
	s_or_b32 exec_lo, exec_lo, s0
                                        ; implicit-def: $vgpr23
                                        ; implicit-def: $vgpr8
	s_delay_alu instid0(SALU_CYCLE_1)
	s_mov_b32 s0, exec_lo
	s_wait_loadcnt 0x0
	v_cmpx_o_f32_e32 v3, v2
	s_xor_b32 s16, exec_lo, s0
	s_cbranch_execz .LBB198_258
; %bb.231:                              ;   in Loop: Header=BB198_162 Depth=1
	v_cmp_lt_f32_e64 s0, |v2|, |v3|
                                        ; implicit-def: $vgpr23
                                        ; implicit-def: $vgpr8
	s_mov_b32 s2, exec_lo
	v_cndmask_b32_e64 v15, v3, v2, s0
	s_delay_alu instid0(VALU_DEP_1)
	v_cmpx_nlt_f32_e64 0x77f684df, |v15|
	s_xor_b32 s17, exec_lo, s2
	s_cbranch_execz .LBB198_255
; %bb.232:                              ;   in Loop: Header=BB198_162 Depth=1
	v_cndmask_b32_e64 v8, v2, v3, s0
	v_and_b32_e32 v24, 0x7fffffff, v15
                                        ; implicit-def: $vgpr23
	s_mov_b32 s1, exec_lo
	s_delay_alu instid0(VALU_DEP_2) | instskip(NEXT) | instid1(VALU_DEP_1)
	v_and_b32_e32 v25, 0x7fffffff, v8
                                        ; implicit-def: $vgpr8
	v_cmpx_neq_f32_e32 1.0, v25
	s_xor_b32 s18, exec_lo, s1
	s_cbranch_execz .LBB198_248
; %bb.233:                              ;   in Loop: Header=BB198_162 Depth=1
	v_dual_max_num_f32 v8, v24, v24 :: v_dual_max_num_f32 v15, v25, v25
                                        ; implicit-def: $vgpr23
	s_delay_alu instid0(VALU_DEP_1) | instskip(NEXT) | instid1(VALU_DEP_1)
	v_dual_min_num_f32 v20, v15, v8 :: v_dual_max_num_f32 v8, v15, v8
	v_cmp_ngt_f32_e32 vcc_lo, 0x358637bd, v20
	s_delay_alu instid0(VALU_DEP_2) | instskip(SKIP_1) | instid1(SALU_CYCLE_1)
	v_cmp_nlt_f32_e64 s1, 0x49742400, v8
                                        ; implicit-def: $vgpr8
	s_and_b32 s1, s1, vcc_lo
	s_and_saveexec_b32 s2, s1
	s_delay_alu instid0(SALU_CYCLE_1)
	s_xor_b32 s19, exec_lo, s2
	s_cbranch_execz .LBB198_245
; %bb.234:                              ;   in Loop: Header=BB198_162 Depth=1
                                        ; implicit-def: $vgpr23
                                        ; implicit-def: $vgpr8
	s_mov_b32 s1, exec_lo
	v_cmpx_le_f32_e32 1.0, v25
	s_xor_b32 s2, exec_lo, s1
	s_cbranch_execz .LBB198_236
; %bb.235:                              ;   in Loop: Header=BB198_162 Depth=1
	v_pk_add_f32 v[22:23], v[24:25], v[12:13] op_sel:[1,0]
	v_mov_b32_e32 v26, v24
	v_cmp_class_f32_e64 s3, v2, 0x204
	s_delay_alu instid0(VALU_DEP_3) | instskip(SKIP_1) | instid1(VALU_DEP_1)
	v_dual_mov_b32 v25, v22 :: v_dual_mov_b32 v27, v23
	v_mul_f32_e32 v8, v22, v23
	v_pk_fma_f32 v[22:23], v[24:25], v[26:27], v[8:9] op_sel_hi:[1,1,0]
	s_delay_alu instid0(VALU_DEP_1) | instskip(SKIP_1) | instid1(VALU_DEP_2)
	v_add_f32_e32 v25, 1.0, v22
	v_cmp_neq_f32_e64 s1, -1.0, v22
	v_add_f32_e32 v23, -1.0, v25
	s_delay_alu instid0(VALU_DEP_1) | instskip(SKIP_2) | instid1(VALU_DEP_1)
	v_mov_b32_e32 v24, v23
	v_cvt_f64_f32_e32 v[26:27], v25
	v_frexp_mant_f32_e32 v15, v25
	v_cmp_gt_f32_e32 vcc_lo, 0x3f2aaaab, v15
	s_delay_alu instid0(VALU_DEP_3) | instskip(NEXT) | instid1(VALU_DEP_1)
	v_frexp_exp_i32_f64_e32 v8, v[26:27]
	v_subrev_co_ci_u32_e64 v8, null, 0, v8, vcc_lo
	v_cmp_neq_f32_e32 vcc_lo, 0x7f800000, v22
	s_delay_alu instid0(VALU_DEP_2) | instskip(SKIP_1) | instid1(VALU_DEP_2)
	v_sub_nc_u32_e32 v15, 0, v8
	v_pk_add_f32 v[26:27], v[22:23], v[24:25] neg_lo:[0,1] neg_hi:[0,1]
	v_ldexp_f32 v20, v25, v15
	s_delay_alu instid0(VALU_DEP_1) | instskip(NEXT) | instid1(VALU_DEP_1)
	v_dual_add_f32 v23, 1.0, v27 :: v_dual_add_f32 v24, 1.0, v20
	v_dual_add_f32 v23, v26, v23 :: v_dual_add_f32 v25, -1.0, v24
	v_add_f32_e32 v29, -1.0, v20
	s_delay_alu instid0(VALU_DEP_2) | instskip(NEXT) | instid1(VALU_DEP_3)
	v_ldexp_f32 v15, v23, v15
	v_sub_f32_e32 v23, v20, v25
	s_delay_alu instid0(VALU_DEP_1) | instskip(NEXT) | instid1(VALU_DEP_1)
	v_dual_add_f32 v25, 1.0, v29 :: v_dual_add_f32 v23, v15, v23
	v_sub_f32_e32 v20, v20, v25
	s_delay_alu instid0(VALU_DEP_1) | instskip(NEXT) | instid1(VALU_DEP_1)
	v_dual_add_f32 v31, v24, v23 :: v_dual_add_f32 v15, v15, v20
	v_rcp_f32_e32 v20, v31
	s_delay_alu instid0(VALU_DEP_1)
	v_add_f32_e32 v25, v29, v15
	s_delay_alu instid0(TRANS32_DEP_1) | instid1(VALU_DEP_1)
	v_dual_sub_f32 v33, v25, v29 :: v_dual_mul_f32 v32, v25, v20
	s_delay_alu instid0(VALU_DEP_1) | instskip(NEXT) | instid1(VALU_DEP_2)
	v_sub_f32_e32 v15, v15, v33
	v_mul_f32_e32 v26, v31, v32
	s_delay_alu instid0(VALU_DEP_1) | instskip(NEXT) | instid1(VALU_DEP_1)
	v_dual_sub_f32 v24, v31, v24 :: v_dual_fma_f32 v28, v32, v31, -v26
	v_sub_f32_e32 v23, v23, v24
	s_delay_alu instid0(VALU_DEP_1) | instskip(NEXT) | instid1(VALU_DEP_1)
	v_fmac_f32_e32 v28, v32, v23
	v_add_f32_e32 v24, v26, v28
	s_delay_alu instid0(VALU_DEP_1) | instskip(NEXT) | instid1(VALU_DEP_1)
	v_dual_sub_f32 v27, v25, v24 :: v_dual_mov_b32 v29, v24
	v_pk_add_f32 v[24:25], v[24:25], v[26:27] neg_lo:[0,1] neg_hi:[0,1]
	s_delay_alu instid0(VALU_DEP_1) | instskip(NEXT) | instid1(VALU_DEP_1)
	v_pk_add_f32 v[24:25], v[24:25], v[28:29] neg_lo:[0,1] neg_hi:[0,1]
	v_add_f32_e32 v15, v15, v25
	s_delay_alu instid0(VALU_DEP_1) | instskip(NEXT) | instid1(VALU_DEP_1)
	v_add_f32_e32 v15, v24, v15
	v_add_f32_e32 v25, v27, v15
	s_delay_alu instid0(VALU_DEP_1) | instskip(NEXT) | instid1(VALU_DEP_1)
	v_mul_f32_e32 v33, v20, v25
	v_mul_f32_e32 v28, v31, v33
	s_delay_alu instid0(VALU_DEP_1) | instskip(NEXT) | instid1(VALU_DEP_1)
	v_fma_f32 v26, v33, v31, -v28
	v_fmac_f32_e32 v26, v33, v23
	s_delay_alu instid0(VALU_DEP_1) | instskip(NEXT) | instid1(VALU_DEP_1)
	v_dual_add_f32 v24, v28, v26 :: v_dual_sub_f32 v23, v27, v25
	v_dual_sub_f32 v29, v25, v24 :: v_dual_mov_b32 v27, v24
	s_delay_alu instid0(VALU_DEP_2) | instskip(NEXT) | instid1(VALU_DEP_2)
	v_dual_add_f32 v15, v15, v23 :: v_dual_add_f32 v23, v32, v33
	v_pk_add_f32 v[24:25], v[24:25], v[28:29] neg_lo:[0,1] neg_hi:[0,1]
	s_delay_alu instid0(VALU_DEP_1) | instskip(NEXT) | instid1(VALU_DEP_1)
	v_pk_add_f32 v[24:25], v[24:25], v[26:27] neg_lo:[0,1] neg_hi:[0,1]
	v_add_f32_e32 v15, v15, v25
	s_delay_alu instid0(VALU_DEP_1) | instskip(NEXT) | instid1(VALU_DEP_1)
	v_dual_add_f32 v15, v24, v15 :: v_dual_sub_f32 v24, v23, v32
	v_add_f32_e32 v15, v29, v15
	s_delay_alu instid0(VALU_DEP_1) | instskip(NEXT) | instid1(VALU_DEP_1)
	v_dual_sub_f32 v24, v33, v24 :: v_dual_mul_f32 v15, v20, v15
	v_add_f32_e32 v20, v24, v15
	v_cvt_f32_i32_e32 v24, v8
	s_delay_alu instid0(VALU_DEP_2) | instskip(NEXT) | instid1(VALU_DEP_1)
	v_add_f32_e32 v31, v23, v20
	v_sub_f32_e32 v8, v31, v23
	v_mul_f32_e32 v15, v31, v31
	v_ldexp_f32 v29, v31, 1
	s_delay_alu instid0(VALU_DEP_2) | instskip(SKIP_1) | instid1(VALU_DEP_2)
	v_dual_mul_f32 v25, v31, v15 :: v_dual_sub_f32 v8, v20, v8
	v_fmaak_f32 v26, s11, v15, 0x3ecc95a3
	v_ldexp_f32 v8, v8, 1
	s_delay_alu instid0(VALU_DEP_2) | instskip(NEXT) | instid1(VALU_DEP_1)
	v_fmaak_f32 v15, v15, v26, 0x3f2aaada
	v_pk_mul_f32 v[26:27], v[24:25], v[14:15]
	s_delay_alu instid0(VALU_DEP_1) | instskip(SKIP_1) | instid1(VALU_DEP_2)
	v_fma_f32 v28, 0x3f317218, v24, -v26
	v_mov_b32_e32 v32, v26
	v_fmac_f32_e32 v28, 0xb102e308, v24
	s_delay_alu instid0(VALU_DEP_1) | instskip(NEXT) | instid1(VALU_DEP_1)
	v_pk_add_f32 v[24:25], v[26:27], v[28:29]
	v_dual_sub_f32 v15, v25, v29 :: v_dual_mov_b32 v29, v24
	s_delay_alu instid0(VALU_DEP_1) | instskip(SKIP_1) | instid1(VALU_DEP_2)
	v_dual_mov_b32 v40, v25 :: v_dual_sub_f32 v15, v27, v15
	v_pk_add_f32 v[26:27], v[24:25], v[26:27] neg_lo:[0,1] neg_hi:[0,1]
	v_add_f32_e32 v33, v8, v15
	v_max_num_f32_e64 v8, |v3|, |v3|
	v_max_num_f32_e64 v15, |v2|, |v2|
	s_delay_alu instid0(VALU_DEP_3) | instskip(NEXT) | instid1(VALU_DEP_2)
	v_pk_add_f32 v[34:35], v[24:25], v[32:33]
	v_dual_max_num_f32 v20, v15, v8 :: v_dual_min_num_f32 v15, v15, v8
	s_delay_alu instid0(VALU_DEP_2) | instskip(NEXT) | instid1(VALU_DEP_2)
	v_mov_b32_e32 v27, v35
	v_frexp_exp_i32_f32_e32 v23, v20
	v_frexp_mant_f32_e32 v20, v20
	s_delay_alu instid0(VALU_DEP_4) | instskip(NEXT) | instid1(VALU_DEP_4)
	v_frexp_exp_i32_f32_e32 v31, v15
	v_pk_add_f32 v[36:37], v[28:29], v[26:27]
	v_frexp_mant_f32_e32 v32, v15
	v_pk_add_f32 v[26:27], v[28:29], v[26:27] neg_lo:[0,1] neg_hi:[0,1]
	v_rcp_f32_e32 v20, v20
	s_delay_alu instid0(VALU_DEP_3) | instskip(SKIP_1) | instid1(VALU_DEP_2)
	v_dual_mov_b32 v8, v37 :: v_dual_sub_nc_u32 v23, v31, v23
	v_mov_b32_e32 v27, v37
	v_pk_add_f32 v[38:39], v[8:9], v[24:25] neg_lo:[0,1] neg_hi:[0,1]
	v_dual_mov_b32 v36, v35 :: v_dual_mov_b32 v25, v24
	s_delay_alu instid0(TRANS32_DEP_1) | instskip(NEXT) | instid1(VALU_DEP_3)
	v_dual_mov_b32 v24, v33 :: v_dual_mul_f32 v20, v32, v20
	v_dual_mov_b32 v15, v38 :: v_dual_mov_b32 v41, v38
	s_delay_alu instid0(VALU_DEP_1) | instskip(NEXT) | instid1(VALU_DEP_2)
	v_pk_add_f32 v[32:33], v[34:35], v[14:15] neg_lo:[0,1] neg_hi:[0,1]
	v_pk_add_f32 v[28:29], v[36:37], v[40:41] neg_lo:[0,1] neg_hi:[0,1]
	s_delay_alu instid0(VALU_DEP_4) | instskip(SKIP_1) | instid1(VALU_DEP_3)
	v_ldexp_f32 v15, v20, v23
	v_mov_b32_e32 v32, v26
	v_pk_add_f32 v[24:25], v[24:25], v[28:29] neg_lo:[0,1] neg_hi:[0,1]
	s_delay_alu instid0(VALU_DEP_3) | instskip(NEXT) | instid1(VALU_DEP_2)
	v_mul_f32_e32 v23, v15, v15
	v_pk_add_f32 v[28:29], v[32:33], v[24:25]
	s_delay_alu instid0(VALU_DEP_1) | instskip(NEXT) | instid1(VALU_DEP_1)
	v_dual_fmaak_f32 v25, s12, v23, 0xbc7a590c :: v_dual_mov_b32 v20, v29
	v_pk_add_f32 v[32:33], v[28:29], v[20:21]
	s_delay_alu instid0(VALU_DEP_2) | instskip(NEXT) | instid1(VALU_DEP_2)
	v_fmaak_f32 v20, v23, v25, 0x3d29fb3f
	v_pk_add_f32 v[34:35], v[8:9], v[32:33]
	s_delay_alu instid0(VALU_DEP_2) | instskip(NEXT) | instid1(VALU_DEP_1)
	v_dual_fmaak_f32 v8, v23, v20, 0xbd97d4d7 :: v_dual_mov_b32 v25, v32
	v_dual_mov_b32 v29, v34 :: v_dual_fmaak_f32 v8, v23, v8, 0x3dd931b2
	s_delay_alu instid0(VALU_DEP_1) | instskip(NEXT) | instid1(VALU_DEP_2)
	v_pk_add_f32 v[36:37], v[28:29], v[26:27] neg_lo:[0,1] neg_hi:[0,1]
	v_fmaak_f32 v8, v23, v8, 0xbe1160e6
	s_delay_alu instid0(VALU_DEP_2) | instskip(NEXT) | instid1(VALU_DEP_2)
	v_sub_f32_e32 v20, v28, v36
	v_fmaak_f32 v8, v23, v8, 0x3e4cb8bf
	s_delay_alu instid0(VALU_DEP_4) | instskip(NEXT) | instid1(VALU_DEP_3)
	v_pk_add_f32 v[24:25], v[24:25], v[36:37] neg_lo:[0,1] neg_hi:[0,1]
	v_sub_f32_e32 v20, v26, v20
	s_delay_alu instid0(VALU_DEP_3) | instskip(NEXT) | instid1(VALU_DEP_2)
	v_fmaak_f32 v8, v23, v8, 0xbeaaaa62
	v_add_f32_e32 v20, v24, v20
	s_delay_alu instid0(VALU_DEP_1) | instskip(NEXT) | instid1(VALU_DEP_1)
	v_dual_mul_f32 v8, v23, v8 :: v_dual_add_f32 v20, v20, v25
	v_fmac_f32_e32 v15, v15, v8
	s_delay_alu instid0(VALU_DEP_2) | instskip(NEXT) | instid1(VALU_DEP_1)
	v_add_f32_e32 v8, v34, v20
	v_cndmask_b32_e32 v8, 0x7f800000, v8, vcc_lo
	s_delay_alu instid0(VALU_DEP_3) | instskip(SKIP_1) | instid1(VALU_DEP_2)
	v_sub_f32_e32 v20, 0x3fc90fdb, v15
	v_cmp_gt_i32_e32 vcc_lo, 0, v2
	v_cndmask_b32_e64 v15, v15, v20, s0
	v_cndmask_b32_e64 v20, 0, 0x40490fdb, vcc_lo
	v_cmp_ngt_f32_e32 vcc_lo, -1.0, v22
	s_delay_alu instid0(VALU_DEP_3) | instskip(SKIP_2) | instid1(VALU_DEP_2)
	v_sub_f32_e32 v23, 0x40490fdb, v15
	v_cndmask_b32_e32 v8, 0x7fc00000, v8, vcc_lo
	v_cmp_gt_f32_e32 vcc_lo, 0, v2
	v_cndmask_b32_e64 v8, 0xff800000, v8, s1
	s_delay_alu instid0(VALU_DEP_4)
	v_cndmask_b32_e32 v15, v15, v23, vcc_lo
	v_cndmask_b32_e32 v24, 0x3f490fdb, v30, vcc_lo
	v_cmp_gt_f32_e64 vcc_lo, 0x33800000, |v22|
	v_cmp_class_f32_e64 s1, v3, 0x204
	v_cndmask_b32_e32 v8, v8, v22, vcc_lo
	v_cmp_eq_f32_e32 vcc_lo, 0, v3
	v_cndmask_b32_e32 v15, v15, v20, vcc_lo
	s_and_b32 vcc_lo, s3, s1
	s_delay_alu instid0(VALU_DEP_3) | instskip(NEXT) | instid1(VALU_DEP_2)
	v_mul_f32_e32 v23, 0.5, v8
	v_cndmask_b32_e32 v8, v15, v24, vcc_lo
                                        ; implicit-def: $vgpr24_vgpr25
.LBB198_236:                            ;   in Loop: Header=BB198_162 Depth=1
	s_and_not1_saveexec_b32 s20, s2
	s_cbranch_execz .LBB198_244
; %bb.237:                              ;   in Loop: Header=BB198_162 Depth=1
	v_pk_mul_f32 v[22:23], v[24:25], v[24:25]
                                        ; implicit-def: $vgpr8
	s_mov_b32 s1, exec_lo
	s_delay_alu instid0(VALU_DEP_1) | instskip(NEXT) | instid1(VALU_DEP_1)
	v_add_f32_e32 v15, v23, v22
                                        ; implicit-def: $vgpr23
	v_cmpx_ge_f32_e32 0x3f333333, v15
	s_xor_b32 s2, exec_lo, s1
	s_cbranch_execz .LBB198_239
; %bb.238:                              ;   in Loop: Header=BB198_162 Depth=1
	v_max_num_f32_e64 v8, |v3|, |v3|
	v_max_num_f32_e64 v20, |v2|, |v2|
	v_cmp_gt_f32_e32 vcc_lo, 0x800000, v15
	v_cmp_gt_i32_e64 s1, 0, v2
	v_cmp_class_f32_e64 s3, v2, 0x204
	v_cmp_class_f32_e64 s4, v3, 0x204
	v_dual_max_num_f32 v22, v20, v8 :: v_dual_min_num_f32 v8, v20, v8
	v_cndmask_b32_e64 v24, 0, 0x41b17218, vcc_lo
	s_delay_alu instid0(VALU_DEP_2) | instskip(SKIP_1) | instid1(VALU_DEP_2)
	v_frexp_mant_f32_e32 v23, v22
	v_frexp_exp_i32_f32_e32 v20, v22
	v_rcp_f32_e32 v22, v23
	v_nop
	v_frexp_exp_i32_f32_e32 v23, v8
	v_frexp_mant_f32_e32 v8, v8
	s_delay_alu instid0(TRANS32_DEP_1) | instid1(VALU_DEP_1)
	v_dual_sub_nc_u32 v20, v23, v20 :: v_dual_mul_f32 v8, v8, v22
	v_cndmask_b32_e64 v23, 0, 32, vcc_lo
	s_delay_alu instid0(VALU_DEP_2) | instskip(NEXT) | instid1(VALU_DEP_2)
	v_ldexp_f32 v8, v8, v20
	v_ldexp_f32 v15, v15, v23
	s_delay_alu instid0(VALU_DEP_2) | instskip(NEXT) | instid1(VALU_DEP_2)
	v_mul_f32_e32 v20, v8, v8
	v_log_f32_e32 v15, v15
	s_delay_alu instid0(VALU_DEP_1) | instskip(NEXT) | instid1(TRANS32_DEP_1)
	v_fmaak_f32 v22, s12, v20, 0xbc7a590c
	v_cmp_gt_f32_e64 vcc_lo, 0x7f800000, |v15|
	s_delay_alu instid0(VALU_DEP_2) | instskip(NEXT) | instid1(VALU_DEP_1)
	v_fmaak_f32 v22, v20, v22, 0x3d29fb3f
	v_fmaak_f32 v22, v20, v22, 0xbd97d4d7
	s_delay_alu instid0(VALU_DEP_1) | instskip(NEXT) | instid1(VALU_DEP_1)
	v_fmaak_f32 v22, v20, v22, 0x3dd931b2
	v_fmaak_f32 v22, v20, v22, 0xbe1160e6
	s_delay_alu instid0(VALU_DEP_1) | instskip(NEXT) | instid1(VALU_DEP_1)
	v_fmaak_f32 v22, v20, v22, 0x3e4cb8bf
	v_fmaak_f32 v22, v20, v22, 0xbeaaaa62
	s_delay_alu instid0(VALU_DEP_1) | instskip(SKIP_1) | instid1(VALU_DEP_2)
	v_mul_f32_e32 v20, v20, v22
	v_mul_f32_e32 v22, 0x3f317217, v15
	v_fmac_f32_e32 v8, v8, v20
	s_delay_alu instid0(VALU_DEP_2) | instskip(NEXT) | instid1(VALU_DEP_2)
	v_fma_f32 v20, 0x3f317217, v15, -v22
	v_sub_f32_e32 v22, 0x3fc90fdb, v8
	s_delay_alu instid0(VALU_DEP_2) | instskip(NEXT) | instid1(VALU_DEP_2)
	v_fmac_f32_e32 v20, 0x3377d1cf, v15
	v_cndmask_b32_e64 v8, v8, v22, s0
	s_delay_alu instid0(VALU_DEP_2) | instskip(SKIP_2) | instid1(VALU_DEP_4)
	v_fmac_f32_e32 v20, 0x3f317217, v15
	v_cndmask_b32_e64 v22, 0, 0x40490fdb, s1
	v_cmp_eq_f32_e64 s1, 0, v3
	v_sub_f32_e32 v23, 0x40490fdb, v8
	s_delay_alu instid0(VALU_DEP_4) | instskip(SKIP_1) | instid1(VALU_DEP_2)
	v_cndmask_b32_e32 v15, v15, v20, vcc_lo
	v_cmp_gt_f32_e32 vcc_lo, 0, v2
	v_dual_sub_f32 v15, v15, v24 :: v_dual_cndmask_b32 v8, v8, v23
	v_cndmask_b32_e32 v20, 0x3f490fdb, v30, vcc_lo
	s_and_b32 vcc_lo, s3, s4
                                        ; implicit-def: $vgpr24
	s_delay_alu instid0(VALU_DEP_2) | instskip(NEXT) | instid1(VALU_DEP_1)
	v_dual_mul_f32 v23, 0.5, v15 :: v_dual_cndmask_b32 v8, v8, v22, s1
	v_cndmask_b32_e32 v8, v8, v20, vcc_lo
.LBB198_239:                            ;   in Loop: Header=BB198_162 Depth=1
	s_and_not1_saveexec_b32 s21, s2
	s_cbranch_execz .LBB198_243
; %bb.240:                              ;   in Loop: Header=BB198_162 Depth=1
	v_and_b32_e32 v23, 0x7fff0000, v24
	v_and_b32_e32 v22, 0x7fff0000, v25
	s_mov_b32 s22, 0
	s_delay_alu instid0(VALU_DEP_1) | instskip(SKIP_2) | instid1(VALU_DEP_2)
	v_dual_add_f32 v29, v23, v23 :: v_dual_add_f32 v15, v22, v22
	v_pk_add_f32 v[24:25], v[24:25], v[22:23] op_sel:[1,0] op_sel_hi:[0,1] neg_lo:[0,1] neg_hi:[0,1]
	v_pk_mul_f32 v[22:23], v[22:23], v[22:23]
	v_and_b32_e32 v27, 0xffff0000, v25
	s_delay_alu instid0(VALU_DEP_3) | instskip(NEXT) | instid1(VALU_DEP_1)
	v_and_b32_e32 v26, 0xffff0000, v24
	v_dual_add_f32 v33, v27, v27 :: v_dual_add_f32 v32, v26, v26
	v_pk_add_f32 v[24:25], v[24:25], v[26:27] neg_lo:[0,1] neg_hi:[0,1]
	v_dual_mul_f32 v8, v15, v26 :: v_dual_mul_f32 v28, v29, v27
	v_pk_mul_f32 v[26:27], v[26:27], v[26:27]
	s_delay_alu instid0(VALU_DEP_3)
	v_dual_mul_f32 v20, v15, v24 :: v_dual_mul_f32 v31, v29, v25
	v_dual_mul_f32 v15, v32, v24 :: v_dual_mul_f32 v29, v33, v25
	v_pk_mul_f32 v[24:25], v[24:25], v[24:25]
.LBB198_241:                            ;   Parent Loop BB198_162 Depth=1
                                        ; =>  This Inner Loop Header: Depth=2
	v_cmp_nlt_f32_e32 vcc_lo, v22, v23
	v_dual_cndmask_b32 v32, v22, v23, vcc_lo :: v_dual_cndmask_b32 v22, v23, v22, vcc_lo
	s_delay_alu instid0(VALU_DEP_1) | instskip(NEXT) | instid1(VALU_DEP_1)
	v_cmp_nlt_f32_e64 s1, v32, v8
	v_cndmask_b32_e64 v33, v32, v8, s1
	v_cndmask_b32_e64 v23, v8, v32, s1
	s_and_b32 s1, vcc_lo, s1
	s_delay_alu instid0(VALU_DEP_2) | instskip(NEXT) | instid1(VALU_DEP_1)
	v_cmp_nlt_f32_e64 s2, v33, v28
	v_cndmask_b32_e64 v34, v33, v28, s2
	s_delay_alu instid0(VALU_DEP_1) | instskip(NEXT) | instid1(VALU_DEP_1)
	v_cmp_nlt_f32_e64 s3, v34, v26
	v_dual_cndmask_b32 v32, v34, v26, s3 :: v_dual_cndmask_b32 v8, v28, v33, s2
	s_and_b32 s23, s2, s3
	v_cndmask_b32_e64 v28, v26, v34, s3
	s_delay_alu instid0(VALU_DEP_2) | instskip(NEXT) | instid1(VALU_DEP_1)
	v_cmp_nlt_f32_e64 s4, v32, v27
	v_cndmask_b32_e64 v33, v32, v27, s4
	s_delay_alu instid0(VALU_DEP_1) | instskip(NEXT) | instid1(VALU_DEP_1)
	v_cmp_nlt_f32_e64 s5, v33, v20
	v_cndmask_b32_e64 v35, v33, v20, s5
	s_delay_alu instid0(VALU_DEP_1) | instskip(NEXT) | instid1(VALU_DEP_1)
	v_cmp_nlt_f32_e64 s6, v35, v31
	v_cndmask_b32_e64 v36, v35, v31, s6
	s_delay_alu instid0(VALU_DEP_1) | instskip(NEXT) | instid1(VALU_DEP_1)
	v_cmp_nlt_f32_e64 s7, v36, v15
	v_cndmask_b32_e64 v34, v36, v15, s7
	s_delay_alu instid0(VALU_DEP_1)
	v_cmp_nlt_f32_e64 s2, v34, v29
	v_dual_cndmask_b32 v26, v27, v32, s4 :: v_dual_cndmask_b32 v27, v20, v33, s5
	v_cndmask_b32_e64 v20, v31, v35, s6
	s_and_b32 s4, s4, s5
	v_cndmask_b32_e64 v32, v34, v29, s2
	s_and_b32 s4, s4, s6
	s_delay_alu instid0(SALU_CYCLE_1) | instskip(NEXT) | instid1(VALU_DEP_1)
	s_and_b32 s5, s4, s7
	v_cmp_nlt_f32_e64 s3, v32, v24
	s_delay_alu instid0(VALU_DEP_1) | instskip(SKIP_2) | instid1(SALU_CYCLE_1)
	v_cndmask_b32_e64 v33, v32, v24, s3
	v_dual_cndmask_b32 v31, v15, v36, s7 :: v_dual_cndmask_b32 v15, v29, v34, s2
	s_and_b32 s2, s5, s2
	s_and_b32 s2, s2, s3
	s_delay_alu instid0(VALU_DEP_2)
	v_cmp_nlt_f32_e64 s4, v33, v25
	v_cndmask_b32_e64 v29, v24, v32, s3
	s_and_b32 s2, s2, s4
	v_cndmask_b32_e64 v24, v25, v33, s4
	s_and_b32 s2, s2, s23
	;; [unrolled: 2-line block ×3, first 2 shown]
	s_delay_alu instid0(SALU_CYCLE_1) | instskip(NEXT) | instid1(SALU_CYCLE_1)
	s_and_b32 s1, exec_lo, s1
	s_or_b32 s22, s1, s22
	s_delay_alu instid0(SALU_CYCLE_1)
	s_and_not1_b32 exec_lo, exec_lo, s22
	s_cbranch_execnz .LBB198_241
; %bb.242:                              ;   in Loop: Header=BB198_162 Depth=1
	s_or_b32 exec_lo, exec_lo, s22
	v_add_f32_e32 v22, -1.0, v22
	v_cmp_class_f32_e64 s2, v2, 0x204
	s_delay_alu instid0(VALU_DEP_2) | instskip(NEXT) | instid1(VALU_DEP_1)
	v_add_f32_e32 v22, v22, v23
	v_add_f32_e32 v8, v22, v8
	s_delay_alu instid0(VALU_DEP_1) | instskip(NEXT) | instid1(VALU_DEP_1)
	v_add_f32_e32 v8, v8, v28
	v_add_f32_e32 v8, v8, v26
	s_delay_alu instid0(VALU_DEP_1) | instskip(NEXT) | instid1(VALU_DEP_1)
	;; [unrolled: 3-line block ×5, first 2 shown]
	v_add_f32_e32 v22, v25, v8
	v_add_f32_e32 v25, 1.0, v22
	s_delay_alu instid0(VALU_DEP_1) | instskip(SKIP_2) | instid1(VALU_DEP_2)
	v_cvt_f64_f32_e32 v[26:27], v25
	v_frexp_mant_f32_e32 v15, v25
	v_add_f32_e32 v23, -1.0, v25
	v_cmp_gt_f32_e32 vcc_lo, 0x3f2aaaab, v15
	s_delay_alu instid0(VALU_DEP_2) | instskip(SKIP_1) | instid1(VALU_DEP_1)
	v_mov_b32_e32 v24, v23
	v_frexp_exp_i32_f64_e32 v8, v[26:27]
	v_subrev_co_ci_u32_e64 v8, null, 0, v8, vcc_lo
	s_delay_alu instid0(VALU_DEP_1) | instskip(NEXT) | instid1(VALU_DEP_4)
	v_sub_nc_u32_e32 v15, 0, v8
	v_pk_add_f32 v[26:27], v[22:23], v[24:25] neg_lo:[0,1] neg_hi:[0,1]
	v_cmp_neq_f32_e32 vcc_lo, 0x7f800000, v22
	v_cmp_neq_f32_e64 s1, -1.0, v22
	s_delay_alu instid0(VALU_DEP_4) | instskip(NEXT) | instid1(VALU_DEP_1)
	v_ldexp_f32 v20, v25, v15
	v_dual_add_f32 v23, 1.0, v27 :: v_dual_add_f32 v24, 1.0, v20
	s_delay_alu instid0(VALU_DEP_1) | instskip(SKIP_1) | instid1(VALU_DEP_2)
	v_dual_add_f32 v23, v26, v23 :: v_dual_add_f32 v25, -1.0, v24
	v_add_f32_e32 v29, -1.0, v20
	v_ldexp_f32 v15, v23, v15
	s_delay_alu instid0(VALU_DEP_3) | instskip(NEXT) | instid1(VALU_DEP_1)
	v_sub_f32_e32 v23, v20, v25
	v_dual_add_f32 v25, 1.0, v29 :: v_dual_add_f32 v23, v15, v23
	s_delay_alu instid0(VALU_DEP_1) | instskip(NEXT) | instid1(VALU_DEP_1)
	v_sub_f32_e32 v20, v20, v25
	v_dual_add_f32 v31, v24, v23 :: v_dual_add_f32 v15, v15, v20
	s_delay_alu instid0(VALU_DEP_1) | instskip(NEXT) | instid1(VALU_DEP_1)
	v_rcp_f32_e32 v20, v31
	v_add_f32_e32 v25, v29, v15
	s_delay_alu instid0(TRANS32_DEP_1) | instid1(VALU_DEP_1)
	v_dual_sub_f32 v33, v25, v29 :: v_dual_mul_f32 v32, v25, v20
	s_delay_alu instid0(VALU_DEP_1) | instskip(NEXT) | instid1(VALU_DEP_2)
	v_sub_f32_e32 v15, v15, v33
	v_mul_f32_e32 v26, v31, v32
	s_delay_alu instid0(VALU_DEP_1) | instskip(NEXT) | instid1(VALU_DEP_1)
	v_dual_sub_f32 v24, v31, v24 :: v_dual_fma_f32 v28, v32, v31, -v26
	v_sub_f32_e32 v23, v23, v24
	s_delay_alu instid0(VALU_DEP_1) | instskip(NEXT) | instid1(VALU_DEP_1)
	v_fmac_f32_e32 v28, v32, v23
	v_add_f32_e32 v24, v26, v28
	s_delay_alu instid0(VALU_DEP_1) | instskip(NEXT) | instid1(VALU_DEP_1)
	v_dual_sub_f32 v27, v25, v24 :: v_dual_mov_b32 v29, v24
	v_pk_add_f32 v[24:25], v[24:25], v[26:27] neg_lo:[0,1] neg_hi:[0,1]
	s_delay_alu instid0(VALU_DEP_1) | instskip(NEXT) | instid1(VALU_DEP_1)
	v_pk_add_f32 v[24:25], v[24:25], v[28:29] neg_lo:[0,1] neg_hi:[0,1]
	v_add_f32_e32 v15, v15, v25
	s_delay_alu instid0(VALU_DEP_1) | instskip(NEXT) | instid1(VALU_DEP_1)
	v_add_f32_e32 v15, v24, v15
	v_add_f32_e32 v25, v27, v15
	s_delay_alu instid0(VALU_DEP_1) | instskip(NEXT) | instid1(VALU_DEP_1)
	v_mul_f32_e32 v33, v20, v25
	v_mul_f32_e32 v28, v31, v33
	s_delay_alu instid0(VALU_DEP_1) | instskip(NEXT) | instid1(VALU_DEP_1)
	v_fma_f32 v26, v33, v31, -v28
	v_fmac_f32_e32 v26, v33, v23
	s_delay_alu instid0(VALU_DEP_1) | instskip(NEXT) | instid1(VALU_DEP_1)
	v_dual_add_f32 v24, v28, v26 :: v_dual_sub_f32 v23, v27, v25
	v_dual_sub_f32 v29, v25, v24 :: v_dual_mov_b32 v27, v24
	s_delay_alu instid0(VALU_DEP_2) | instskip(NEXT) | instid1(VALU_DEP_2)
	v_dual_add_f32 v15, v15, v23 :: v_dual_add_f32 v23, v32, v33
	v_pk_add_f32 v[24:25], v[24:25], v[28:29] neg_lo:[0,1] neg_hi:[0,1]
	s_delay_alu instid0(VALU_DEP_1) | instskip(NEXT) | instid1(VALU_DEP_1)
	v_pk_add_f32 v[24:25], v[24:25], v[26:27] neg_lo:[0,1] neg_hi:[0,1]
	v_add_f32_e32 v15, v15, v25
	s_delay_alu instid0(VALU_DEP_1) | instskip(NEXT) | instid1(VALU_DEP_1)
	v_dual_add_f32 v15, v24, v15 :: v_dual_sub_f32 v24, v23, v32
	v_add_f32_e32 v15, v29, v15
	s_delay_alu instid0(VALU_DEP_1) | instskip(NEXT) | instid1(VALU_DEP_1)
	v_dual_sub_f32 v24, v33, v24 :: v_dual_mul_f32 v15, v20, v15
	v_add_f32_e32 v20, v24, v15
	v_cvt_f32_i32_e32 v24, v8
	s_delay_alu instid0(VALU_DEP_2) | instskip(NEXT) | instid1(VALU_DEP_1)
	v_add_f32_e32 v31, v23, v20
	v_sub_f32_e32 v8, v31, v23
	v_mul_f32_e32 v15, v31, v31
	v_ldexp_f32 v29, v31, 1
	s_delay_alu instid0(VALU_DEP_2) | instskip(SKIP_1) | instid1(VALU_DEP_2)
	v_dual_mul_f32 v25, v31, v15 :: v_dual_sub_f32 v8, v20, v8
	v_fmaak_f32 v26, s11, v15, 0x3ecc95a3
	v_ldexp_f32 v8, v8, 1
	s_delay_alu instid0(VALU_DEP_2) | instskip(NEXT) | instid1(VALU_DEP_1)
	v_fmaak_f32 v15, v15, v26, 0x3f2aaada
	v_pk_mul_f32 v[26:27], v[24:25], v[14:15]
	s_delay_alu instid0(VALU_DEP_1) | instskip(SKIP_1) | instid1(VALU_DEP_2)
	v_fma_f32 v28, 0x3f317218, v24, -v26
	v_mov_b32_e32 v32, v26
	v_fmac_f32_e32 v28, 0xb102e308, v24
	s_delay_alu instid0(VALU_DEP_1) | instskip(NEXT) | instid1(VALU_DEP_1)
	v_pk_add_f32 v[24:25], v[26:27], v[28:29]
	v_dual_sub_f32 v15, v25, v29 :: v_dual_mov_b32 v29, v24
	s_delay_alu instid0(VALU_DEP_1) | instskip(SKIP_1) | instid1(VALU_DEP_2)
	v_dual_mov_b32 v40, v25 :: v_dual_sub_f32 v15, v27, v15
	v_pk_add_f32 v[26:27], v[24:25], v[26:27] neg_lo:[0,1] neg_hi:[0,1]
	v_add_f32_e32 v33, v8, v15
	v_max_num_f32_e64 v8, |v3|, |v3|
	v_max_num_f32_e64 v15, |v2|, |v2|
	s_delay_alu instid0(VALU_DEP_3) | instskip(NEXT) | instid1(VALU_DEP_2)
	v_pk_add_f32 v[34:35], v[24:25], v[32:33]
	v_dual_max_num_f32 v20, v15, v8 :: v_dual_min_num_f32 v15, v15, v8
	s_delay_alu instid0(VALU_DEP_2) | instskip(NEXT) | instid1(VALU_DEP_2)
	v_mov_b32_e32 v27, v35
	v_frexp_exp_i32_f32_e32 v23, v20
	v_frexp_mant_f32_e32 v20, v20
	s_delay_alu instid0(VALU_DEP_4) | instskip(NEXT) | instid1(VALU_DEP_4)
	v_frexp_exp_i32_f32_e32 v31, v15
	v_pk_add_f32 v[36:37], v[28:29], v[26:27]
	v_frexp_mant_f32_e32 v32, v15
	v_pk_add_f32 v[26:27], v[28:29], v[26:27] neg_lo:[0,1] neg_hi:[0,1]
	v_rcp_f32_e32 v20, v20
	s_delay_alu instid0(VALU_DEP_3) | instskip(SKIP_1) | instid1(VALU_DEP_2)
	v_dual_mov_b32 v8, v37 :: v_dual_sub_nc_u32 v23, v31, v23
	v_mov_b32_e32 v27, v37
	v_pk_add_f32 v[38:39], v[8:9], v[24:25] neg_lo:[0,1] neg_hi:[0,1]
	v_dual_mov_b32 v36, v35 :: v_dual_mov_b32 v25, v24
	s_delay_alu instid0(TRANS32_DEP_1) | instskip(NEXT) | instid1(VALU_DEP_3)
	v_dual_mov_b32 v24, v33 :: v_dual_mul_f32 v20, v32, v20
	v_dual_mov_b32 v15, v38 :: v_dual_mov_b32 v41, v38
	s_delay_alu instid0(VALU_DEP_1) | instskip(NEXT) | instid1(VALU_DEP_2)
	v_pk_add_f32 v[32:33], v[34:35], v[14:15] neg_lo:[0,1] neg_hi:[0,1]
	v_pk_add_f32 v[28:29], v[36:37], v[40:41] neg_lo:[0,1] neg_hi:[0,1]
	s_delay_alu instid0(VALU_DEP_4) | instskip(SKIP_1) | instid1(VALU_DEP_3)
	v_ldexp_f32 v15, v20, v23
	v_mov_b32_e32 v32, v26
	v_pk_add_f32 v[24:25], v[24:25], v[28:29] neg_lo:[0,1] neg_hi:[0,1]
	s_delay_alu instid0(VALU_DEP_3) | instskip(NEXT) | instid1(VALU_DEP_2)
	v_mul_f32_e32 v23, v15, v15
	v_pk_add_f32 v[28:29], v[32:33], v[24:25]
	s_delay_alu instid0(VALU_DEP_1) | instskip(NEXT) | instid1(VALU_DEP_1)
	v_dual_fmaak_f32 v25, s12, v23, 0xbc7a590c :: v_dual_mov_b32 v20, v29
	v_pk_add_f32 v[32:33], v[28:29], v[20:21]
	s_delay_alu instid0(VALU_DEP_2) | instskip(NEXT) | instid1(VALU_DEP_2)
	v_fmaak_f32 v20, v23, v25, 0x3d29fb3f
	v_pk_add_f32 v[34:35], v[8:9], v[32:33]
	s_delay_alu instid0(VALU_DEP_2) | instskip(NEXT) | instid1(VALU_DEP_1)
	v_dual_fmaak_f32 v8, v23, v20, 0xbd97d4d7 :: v_dual_mov_b32 v25, v32
	v_dual_mov_b32 v29, v34 :: v_dual_fmaak_f32 v8, v23, v8, 0x3dd931b2
	s_delay_alu instid0(VALU_DEP_1) | instskip(NEXT) | instid1(VALU_DEP_2)
	v_pk_add_f32 v[36:37], v[28:29], v[26:27] neg_lo:[0,1] neg_hi:[0,1]
	v_fmaak_f32 v8, v23, v8, 0xbe1160e6
	s_delay_alu instid0(VALU_DEP_2) | instskip(NEXT) | instid1(VALU_DEP_2)
	v_sub_f32_e32 v20, v28, v36
	v_fmaak_f32 v8, v23, v8, 0x3e4cb8bf
	s_delay_alu instid0(VALU_DEP_4) | instskip(NEXT) | instid1(VALU_DEP_3)
	v_pk_add_f32 v[24:25], v[24:25], v[36:37] neg_lo:[0,1] neg_hi:[0,1]
	v_sub_f32_e32 v20, v26, v20
	s_delay_alu instid0(VALU_DEP_3) | instskip(NEXT) | instid1(VALU_DEP_2)
	v_fmaak_f32 v8, v23, v8, 0xbeaaaa62
	v_add_f32_e32 v20, v24, v20
	s_delay_alu instid0(VALU_DEP_1) | instskip(NEXT) | instid1(VALU_DEP_1)
	v_dual_mul_f32 v8, v23, v8 :: v_dual_add_f32 v20, v20, v25
	v_fmac_f32_e32 v15, v15, v8
	s_delay_alu instid0(VALU_DEP_2) | instskip(NEXT) | instid1(VALU_DEP_1)
	v_add_f32_e32 v8, v34, v20
	v_cndmask_b32_e32 v8, 0x7f800000, v8, vcc_lo
	s_delay_alu instid0(VALU_DEP_3) | instskip(SKIP_1) | instid1(VALU_DEP_2)
	v_sub_f32_e32 v20, 0x3fc90fdb, v15
	v_cmp_gt_i32_e32 vcc_lo, 0, v2
	v_cndmask_b32_e64 v15, v15, v20, s0
	v_cndmask_b32_e64 v20, 0, 0x40490fdb, vcc_lo
	v_cmp_ngt_f32_e32 vcc_lo, -1.0, v22
	s_delay_alu instid0(VALU_DEP_3) | instskip(SKIP_2) | instid1(VALU_DEP_2)
	v_sub_f32_e32 v23, 0x40490fdb, v15
	v_cndmask_b32_e32 v8, 0x7fc00000, v8, vcc_lo
	v_cmp_gt_f32_e32 vcc_lo, 0, v2
	v_cndmask_b32_e64 v8, 0xff800000, v8, s1
	s_delay_alu instid0(VALU_DEP_4)
	v_cndmask_b32_e32 v15, v15, v23, vcc_lo
	v_cndmask_b32_e32 v24, 0x3f490fdb, v30, vcc_lo
	v_cmp_gt_f32_e64 vcc_lo, 0x33800000, |v22|
	v_cmp_class_f32_e64 s1, v3, 0x204
	v_cndmask_b32_e32 v8, v8, v22, vcc_lo
	v_cmp_eq_f32_e32 vcc_lo, 0, v3
	v_cndmask_b32_e32 v15, v15, v20, vcc_lo
	s_and_b32 vcc_lo, s2, s1
	s_delay_alu instid0(VALU_DEP_3) | instskip(NEXT) | instid1(VALU_DEP_2)
	v_mul_f32_e32 v23, 0.5, v8
	v_cndmask_b32_e32 v8, v15, v24, vcc_lo
.LBB198_243:                            ;   in Loop: Header=BB198_162 Depth=1
	s_or_b32 exec_lo, exec_lo, s21
.LBB198_244:                            ;   in Loop: Header=BB198_162 Depth=1
	s_delay_alu instid0(SALU_CYCLE_1)
	s_or_b32 exec_lo, exec_lo, s20
.LBB198_245:                            ;   in Loop: Header=BB198_162 Depth=1
	s_and_not1_saveexec_b32 s2, s19
	s_cbranch_execz .LBB198_247
; %bb.246:                              ;   in Loop: Header=BB198_162 Depth=1
	v_max_num_f32_e64 v8, |v3|, |v3|
	v_max_num_f32_e64 v15, |v2|, |v2|
	v_cmp_gt_i32_e64 s1, 0, v2
	v_cmp_class_f32_e64 s3, v2, 0x204
	v_cmp_class_f32_e64 s4, v3, 0x204
	s_delay_alu instid0(VALU_DEP_4) | instskip(NEXT) | instid1(VALU_DEP_1)
	v_dual_max_num_f32 v20, v15, v8 :: v_dual_min_num_f32 v8, v15, v8
	v_cvt_f64_f32_e32 v[22:23], v20
	v_frexp_exp_i32_f32_e32 v15, v20
	s_delay_alu instid0(VALU_DEP_3) | instskip(SKIP_2) | instid1(VALU_DEP_3)
	v_frexp_exp_i32_f32_e32 v24, v8
	v_frexp_mant_f32_e32 v8, v8
	v_cmp_neq_f32_e32 vcc_lo, 0x7f800000, v20
	v_sub_nc_u32_e32 v15, v24, v15
	v_frexp_exp_i32_f64_e32 v22, v[22:23]
	v_frexp_mant_f32_e32 v23, v20
	s_delay_alu instid0(VALU_DEP_1) | instskip(SKIP_1) | instid1(TRANS32_DEP_1)
	v_rcp_f32_e32 v23, v23
	v_nop
	v_mul_f32_e32 v8, v8, v23
	s_delay_alu instid0(VALU_DEP_1) | instskip(SKIP_1) | instid1(VALU_DEP_1)
	v_ldexp_f32 v8, v8, v15
	v_sub_nc_u32_e32 v15, 0, v22
	v_ldexp_f32 v24, |v3|, v15
	v_ldexp_f32 v15, |v2|, v15
	s_delay_alu instid0(VALU_DEP_2) | instskip(NEXT) | instid1(VALU_DEP_1)
	v_mul_f32_e32 v24, v24, v24
	v_dual_mul_f32 v23, v8, v8 :: v_dual_fmac_f32 v24, v15, v15
	s_delay_alu instid0(VALU_DEP_1) | instskip(NEXT) | instid1(VALU_DEP_2)
	v_fmaak_f32 v25, s12, v23, 0xbc7a590c
	v_sqrt_f32_e32 v24, v24
	s_delay_alu instid0(VALU_DEP_1) | instskip(NEXT) | instid1(VALU_DEP_1)
	v_fmaak_f32 v25, v23, v25, 0x3d29fb3f
	v_fmaak_f32 v15, v23, v25, 0xbd97d4d7
	s_delay_alu instid0(TRANS32_DEP_1) | instskip(NEXT) | instid1(VALU_DEP_2)
	v_ldexp_f32 v22, v24, v22
	v_fmaak_f32 v15, v23, v15, 0x3dd931b2
	s_delay_alu instid0(VALU_DEP_1) | instskip(NEXT) | instid1(VALU_DEP_1)
	v_fmaak_f32 v15, v23, v15, 0xbe1160e6
	v_fmaak_f32 v15, v23, v15, 0x3e4cb8bf
	s_delay_alu instid0(VALU_DEP_1) | instskip(NEXT) | instid1(VALU_DEP_1)
	v_fmaak_f32 v15, v23, v15, 0xbeaaaa62
	v_dual_cndmask_b32 v20, 0x7f800000, v22 :: v_dual_mul_f32 v15, v23, v15
	s_delay_alu instid0(VALU_DEP_1) | instskip(NEXT) | instid1(VALU_DEP_2)
	v_cmp_gt_f32_e32 vcc_lo, 0x800000, v20
	v_fmac_f32_e32 v8, v8, v15
	v_cndmask_b32_e64 v22, 0, 32, vcc_lo
	s_delay_alu instid0(VALU_DEP_1) | instskip(NEXT) | instid1(VALU_DEP_1)
	v_ldexp_f32 v20, v20, v22
	v_log_f32_e32 v20, v20
	v_nop
	s_delay_alu instid0(TRANS32_DEP_1) | instskip(NEXT) | instid1(VALU_DEP_1)
	v_mul_f32_e32 v15, 0x3f317217, v20
	v_fma_f32 v15, 0x3f317217, v20, -v15
	s_delay_alu instid0(VALU_DEP_1) | instskip(NEXT) | instid1(VALU_DEP_1)
	v_fmac_f32_e32 v15, 0x3377d1cf, v20
	v_fmac_f32_e32 v15, 0x3f317217, v20
	v_sub_f32_e32 v22, 0x3fc90fdb, v8
	s_delay_alu instid0(VALU_DEP_1) | instskip(SKIP_2) | instid1(VALU_DEP_3)
	v_cndmask_b32_e64 v8, v8, v22, s0
	v_cndmask_b32_e64 v22, 0, 0x40490fdb, s1
	v_cmp_gt_f32_e64 s1, 0, v2
	v_sub_f32_e32 v23, 0x40490fdb, v8
	s_delay_alu instid0(VALU_DEP_2) | instskip(NEXT) | instid1(VALU_DEP_2)
	v_cndmask_b32_e64 v24, 0x3f490fdb, v30, s1
	v_cndmask_b32_e64 v8, v8, v23, s1
	v_cndmask_b32_e64 v23, 0, 0x41b17218, vcc_lo
	v_cmp_gt_f32_e64 vcc_lo, 0x7f800000, |v20|
	v_cndmask_b32_e32 v15, v20, v15, vcc_lo
	v_cmp_eq_f32_e32 vcc_lo, 0, v3
	s_delay_alu instid0(VALU_DEP_2) | instskip(SKIP_1) | instid1(VALU_DEP_1)
	v_dual_sub_f32 v23, v15, v23 :: v_dual_cndmask_b32 v8, v8, v22
	s_and_b32 vcc_lo, s3, s4
	v_cndmask_b32_e32 v8, v8, v24, vcc_lo
.LBB198_247:                            ;   in Loop: Header=BB198_162 Depth=1
	s_or_b32 exec_lo, exec_lo, s2
                                        ; implicit-def: $vgpr24
.LBB198_248:                            ;   in Loop: Header=BB198_162 Depth=1
	s_and_not1_saveexec_b32 s2, s18
	s_cbranch_execz .LBB198_254
; %bb.249:                              ;   in Loop: Header=BB198_162 Depth=1
                                        ; implicit-def: $vgpr23
                                        ; implicit-def: $vgpr8
	s_mov_b32 s1, exec_lo
	v_cmpx_ngt_f32_e32 0x1fec1e4a, v24
	s_xor_b32 s3, exec_lo, s1
	s_cbranch_execz .LBB198_251
; %bb.250:                              ;   in Loop: Header=BB198_162 Depth=1
	v_pk_mul_f32 v[22:23], v[24:25], v[24:25]
	v_cmp_class_f32_e64 s4, v2, 0x204
	s_delay_alu instid0(VALU_DEP_2) | instskip(SKIP_1) | instid1(VALU_DEP_2)
	v_add_f32_e32 v25, 1.0, v22
	v_cmp_neq_f32_e64 s1, 0x7f800000, v22
	v_add_f32_e32 v23, -1.0, v25
	s_delay_alu instid0(VALU_DEP_1) | instskip(SKIP_2) | instid1(VALU_DEP_1)
	v_mov_b32_e32 v24, v23
	v_cvt_f64_f32_e32 v[26:27], v25
	v_frexp_mant_f32_e32 v15, v25
	v_cmp_gt_f32_e32 vcc_lo, 0x3f2aaaab, v15
	s_delay_alu instid0(VALU_DEP_3) | instskip(NEXT) | instid1(VALU_DEP_1)
	v_frexp_exp_i32_f64_e32 v8, v[26:27]
	v_subrev_co_ci_u32_e64 v8, null, 0, v8, vcc_lo
	v_cmp_gt_i32_e32 vcc_lo, 0, v2
	s_delay_alu instid0(VALU_DEP_2) | instskip(SKIP_1) | instid1(VALU_DEP_2)
	v_sub_nc_u32_e32 v15, 0, v8
	v_pk_add_f32 v[26:27], v[22:23], v[24:25] neg_lo:[0,1] neg_hi:[0,1]
	v_ldexp_f32 v20, v25, v15
	s_delay_alu instid0(VALU_DEP_1) | instskip(NEXT) | instid1(VALU_DEP_1)
	v_dual_add_f32 v23, 1.0, v27 :: v_dual_add_f32 v24, 1.0, v20
	v_dual_add_f32 v23, v26, v23 :: v_dual_add_f32 v25, -1.0, v24
	v_add_f32_e32 v29, -1.0, v20
	s_delay_alu instid0(VALU_DEP_2) | instskip(NEXT) | instid1(VALU_DEP_3)
	v_ldexp_f32 v15, v23, v15
	v_sub_f32_e32 v23, v20, v25
	s_delay_alu instid0(VALU_DEP_1) | instskip(NEXT) | instid1(VALU_DEP_1)
	v_dual_add_f32 v25, 1.0, v29 :: v_dual_add_f32 v23, v15, v23
	v_sub_f32_e32 v20, v20, v25
	s_delay_alu instid0(VALU_DEP_1) | instskip(NEXT) | instid1(VALU_DEP_1)
	v_dual_add_f32 v31, v24, v23 :: v_dual_add_f32 v15, v15, v20
	v_rcp_f32_e32 v20, v31
	s_delay_alu instid0(VALU_DEP_1) | instskip(NEXT) | instid1(VALU_DEP_1)
	v_add_f32_e32 v25, v29, v15
	v_dual_sub_f32 v24, v24, v31 :: v_dual_sub_f32 v33, v29, v25
	s_delay_alu instid0(TRANS32_DEP_1) | instskip(NEXT) | instid1(VALU_DEP_2)
	v_mul_f32_e32 v32, v25, v20
	v_add_f32_e32 v23, v23, v24
	s_delay_alu instid0(VALU_DEP_3) | instskip(NEXT) | instid1(VALU_DEP_3)
	v_add_f32_e32 v15, v15, v33
	v_mul_f32_e32 v26, v31, v32
	s_delay_alu instid0(VALU_DEP_1) | instskip(NEXT) | instid1(VALU_DEP_1)
	v_fma_f32 v28, v32, v31, -v26
	v_fmac_f32_e32 v28, v32, v23
	s_delay_alu instid0(VALU_DEP_1) | instskip(NEXT) | instid1(VALU_DEP_1)
	v_add_f32_e32 v24, v26, v28
	v_dual_sub_f32 v27, v25, v24 :: v_dual_mov_b32 v29, v24
	s_delay_alu instid0(VALU_DEP_1) | instskip(NEXT) | instid1(VALU_DEP_1)
	v_pk_add_f32 v[24:25], v[24:25], v[26:27] neg_lo:[0,1] neg_hi:[0,1]
	v_pk_add_f32 v[24:25], v[24:25], v[28:29] neg_lo:[0,1] neg_hi:[0,1]
	s_delay_alu instid0(VALU_DEP_1) | instskip(NEXT) | instid1(VALU_DEP_1)
	v_add_f32_e32 v15, v15, v25
	v_add_f32_e32 v15, v24, v15
	s_delay_alu instid0(VALU_DEP_1) | instskip(NEXT) | instid1(VALU_DEP_1)
	v_add_f32_e32 v25, v27, v15
	v_mul_f32_e32 v33, v20, v25
	s_delay_alu instid0(VALU_DEP_1) | instskip(NEXT) | instid1(VALU_DEP_1)
	v_mul_f32_e32 v28, v31, v33
	v_fma_f32 v26, v33, v31, -v28
	s_delay_alu instid0(VALU_DEP_1) | instskip(NEXT) | instid1(VALU_DEP_1)
	v_fmac_f32_e32 v26, v33, v23
	v_dual_add_f32 v24, v28, v26 :: v_dual_sub_f32 v23, v27, v25
	s_delay_alu instid0(VALU_DEP_1) | instskip(NEXT) | instid1(VALU_DEP_2)
	v_dual_sub_f32 v29, v25, v24 :: v_dual_mov_b32 v27, v24
	v_dual_add_f32 v15, v15, v23 :: v_dual_add_f32 v23, v32, v33
	s_delay_alu instid0(VALU_DEP_2) | instskip(NEXT) | instid1(VALU_DEP_1)
	v_pk_add_f32 v[24:25], v[24:25], v[28:29] neg_lo:[0,1] neg_hi:[0,1]
	v_pk_add_f32 v[24:25], v[24:25], v[26:27] neg_lo:[0,1] neg_hi:[0,1]
	s_delay_alu instid0(VALU_DEP_1) | instskip(NEXT) | instid1(VALU_DEP_1)
	v_add_f32_e32 v15, v15, v25
	v_dual_add_f32 v15, v24, v15 :: v_dual_sub_f32 v24, v23, v32
	s_delay_alu instid0(VALU_DEP_1) | instskip(NEXT) | instid1(VALU_DEP_1)
	v_add_f32_e32 v15, v29, v15
	v_dual_sub_f32 v24, v33, v24 :: v_dual_mul_f32 v15, v20, v15
	s_delay_alu instid0(VALU_DEP_1) | instskip(SKIP_1) | instid1(VALU_DEP_2)
	v_add_f32_e32 v20, v24, v15
	v_cvt_f32_i32_e32 v24, v8
	v_add_f32_e32 v31, v23, v20
	s_delay_alu instid0(VALU_DEP_1) | instskip(SKIP_3) | instid1(VALU_DEP_3)
	v_sub_f32_e32 v8, v31, v23
	v_mul_f32_e32 v15, v31, v31
	v_ldexp_f32 v29, v31, 1
	v_max_num_f32_e64 v23, |v2|, |v2|
	v_dual_mul_f32 v25, v31, v15 :: v_dual_sub_f32 v8, v20, v8
	v_fmaak_f32 v26, s11, v15, 0x3ecc95a3
	v_max_num_f32_e64 v20, |v3|, |v3|
	s_delay_alu instid0(VALU_DEP_3) | instskip(NEXT) | instid1(VALU_DEP_3)
	v_ldexp_f32 v8, v8, 1
	v_fmaak_f32 v15, v15, v26, 0x3f2aaada
	s_delay_alu instid0(VALU_DEP_1) | instskip(NEXT) | instid1(VALU_DEP_1)
	v_pk_mul_f32 v[26:27], v[24:25], v[14:15]
	v_fma_f32 v28, 0x3f317218, v24, -v26
	v_mov_b32_e32 v32, v26
	s_delay_alu instid0(VALU_DEP_2) | instskip(NEXT) | instid1(VALU_DEP_1)
	v_fmac_f32_e32 v28, 0xb102e308, v24
	v_pk_add_f32 v[24:25], v[26:27], v[28:29]
	s_delay_alu instid0(VALU_DEP_1) | instskip(NEXT) | instid1(VALU_DEP_1)
	v_dual_sub_f32 v15, v25, v29 :: v_dual_mov_b32 v29, v24
	v_dual_mov_b32 v40, v25 :: v_dual_sub_f32 v15, v27, v15
	v_pk_add_f32 v[26:27], v[24:25], v[26:27] neg_lo:[0,1] neg_hi:[0,1]
	s_delay_alu instid0(VALU_DEP_2) | instskip(SKIP_1) | instid1(VALU_DEP_2)
	v_dual_add_f32 v33, v8, v15 :: v_dual_max_num_f32 v8, v23, v20
	v_min_num_f32_e32 v20, v23, v20
	v_pk_add_f32 v[34:35], v[24:25], v[32:33]
	s_delay_alu instid0(VALU_DEP_3) | instskip(NEXT) | instid1(VALU_DEP_3)
	v_frexp_mant_f32_e32 v15, v8
	v_frexp_exp_i32_f32_e32 v31, v20
	v_frexp_mant_f32_e32 v20, v20
	v_frexp_exp_i32_f32_e32 v23, v8
	s_delay_alu instid0(VALU_DEP_4) | instskip(SKIP_1) | instid1(TRANS32_DEP_1)
	v_rcp_f32_e32 v15, v15
	v_nop
	v_dual_mov_b32 v27, v35 :: v_dual_mul_f32 v15, v20, v15
	s_delay_alu instid0(VALU_DEP_1) | instskip(SKIP_2) | instid1(VALU_DEP_3)
	v_pk_add_f32 v[36:37], v[28:29], v[26:27]
	v_mov_b32_e32 v36, v35
	v_pk_add_f32 v[26:27], v[28:29], v[26:27] neg_lo:[0,1] neg_hi:[0,1]
	v_mov_b32_e32 v8, v37
	s_delay_alu instid0(VALU_DEP_1) | instskip(SKIP_1) | instid1(VALU_DEP_2)
	v_pk_add_f32 v[38:39], v[8:9], v[24:25] neg_lo:[0,1] neg_hi:[0,1]
	v_dual_sub_nc_u32 v23, v31, v23 :: v_dual_mov_b32 v25, v24
	v_dual_mov_b32 v24, v33 :: v_dual_mov_b32 v41, v38
	s_delay_alu instid0(VALU_DEP_2) | instskip(SKIP_1) | instid1(VALU_DEP_3)
	v_ldexp_f32 v23, v15, v23
	v_mov_b32_e32 v15, v38
	v_pk_add_f32 v[28:29], v[36:37], v[40:41] neg_lo:[0,1] neg_hi:[0,1]
	s_delay_alu instid0(VALU_DEP_3) | instskip(NEXT) | instid1(VALU_DEP_3)
	v_mul_f32_e32 v31, v23, v23
	v_pk_add_f32 v[32:33], v[34:35], v[14:15] neg_lo:[0,1] neg_hi:[0,1]
	v_mov_b32_e32 v32, v26
	s_delay_alu instid0(VALU_DEP_4) | instskip(NEXT) | instid1(VALU_DEP_1)
	v_pk_add_f32 v[24:25], v[24:25], v[28:29] neg_lo:[0,1] neg_hi:[0,1]
	v_pk_add_f32 v[28:29], v[32:33], v[24:25]
	s_delay_alu instid0(VALU_DEP_1) | instskip(NEXT) | instid1(VALU_DEP_1)
	v_dual_fmaak_f32 v15, s12, v31, 0xbc7a590c :: v_dual_mov_b32 v20, v29
	v_fmaak_f32 v15, v31, v15, 0x3d29fb3f
	s_delay_alu instid0(VALU_DEP_2) | instskip(SKIP_2) | instid1(VALU_DEP_3)
	v_pk_add_f32 v[32:33], v[28:29], v[20:21]
	v_cndmask_b32_e64 v20, 0, 0x40490fdb, vcc_lo
	v_cmp_gt_f32_e32 vcc_lo, 0, v2
	v_pk_add_f32 v[34:35], v[8:9], v[32:33]
	v_dual_mov_b32 v27, v37 :: v_dual_mov_b32 v25, v32
	s_delay_alu instid0(VALU_DEP_2) | instskip(NEXT) | instid1(VALU_DEP_1)
	v_mov_b32_e32 v29, v34
	v_pk_add_f32 v[36:37], v[28:29], v[26:27] neg_lo:[0,1] neg_hi:[0,1]
	s_delay_alu instid0(VALU_DEP_1) | instskip(SKIP_1) | instid1(VALU_DEP_1)
	v_pk_add_f32 v[24:25], v[24:25], v[36:37] neg_lo:[0,1] neg_hi:[0,1]
	v_fmaak_f32 v15, v31, v15, 0xbd97d4d7
	v_fmaak_f32 v15, v31, v15, 0x3dd931b2
	s_delay_alu instid0(VALU_DEP_1) | instskip(NEXT) | instid1(VALU_DEP_1)
	v_dual_fmaak_f32 v8, v31, v15, 0xbe1160e6 :: v_dual_sub_f32 v15, v28, v36
	v_dual_fmaak_f32 v8, v31, v8, 0x3e4cb8bf :: v_dual_sub_f32 v15, v26, v15
	s_delay_alu instid0(VALU_DEP_1) | instskip(NEXT) | instid1(VALU_DEP_1)
	v_fmaak_f32 v8, v31, v8, 0xbeaaaa62
	v_mul_f32_e32 v8, v31, v8
	s_delay_alu instid0(VALU_DEP_1) | instskip(SKIP_1) | instid1(VALU_DEP_2)
	v_dual_fmac_f32 v23, v23, v8 :: v_dual_add_f32 v8, v24, v15
	v_cndmask_b32_e32 v24, 0x3f490fdb, v30, vcc_lo
	v_sub_f32_e32 v15, 0x3fc90fdb, v23
	s_delay_alu instid0(VALU_DEP_1) | instskip(NEXT) | instid1(VALU_DEP_1)
	v_dual_cndmask_b32 v15, v23, v15, s0 :: v_dual_add_f32 v8, v8, v25
	v_dual_sub_f32 v23, 0x40490fdb, v15 :: v_dual_add_f32 v8, v34, v8
	s_delay_alu instid0(VALU_DEP_1) | instskip(NEXT) | instid1(VALU_DEP_2)
	v_cndmask_b32_e32 v15, v15, v23, vcc_lo
	v_cndmask_b32_e64 v8, 0x7f800000, v8, s1
	v_cmp_gt_f32_e64 vcc_lo, 0x33800000, |v22|
	v_cmp_class_f32_e64 s1, v3, 0x204
	s_delay_alu instid0(VALU_DEP_3) | instskip(SKIP_1) | instid1(VALU_DEP_2)
	v_cndmask_b32_e32 v8, v8, v22, vcc_lo
	v_cmp_eq_f32_e32 vcc_lo, 0, v3
	v_mul_f32_e32 v23, 0.5, v8
	v_cndmask_b32_e32 v15, v15, v20, vcc_lo
	s_and_b32 vcc_lo, s4, s1
	s_delay_alu instid0(VALU_DEP_1)
	v_cndmask_b32_e32 v8, v15, v24, vcc_lo
                                        ; implicit-def: $vgpr24
.LBB198_251:                            ;   in Loop: Header=BB198_162 Depth=1
	s_and_not1_saveexec_b32 s3, s3
	s_cbranch_execz .LBB198_253
; %bb.252:                              ;   in Loop: Header=BB198_162 Depth=1
	v_max_num_f32_e64 v8, |v3|, |v3|
	v_max_num_f32_e64 v15, |v2|, |v2|
	v_cmp_eq_f32_e64 s1, 0, v3
	v_cmp_gt_i32_e32 vcc_lo, 0, v2
	v_cmp_class_f32_e64 s4, v2, 0x204
	v_cmp_class_f32_e64 s5, v3, 0x204
	v_dual_max_num_f32 v20, v15, v8 :: v_dual_min_num_f32 v8, v15, v8
	s_delay_alu instid0(VALU_DEP_1) | instskip(SKIP_1) | instid1(VALU_DEP_2)
	v_frexp_mant_f32_e32 v22, v20
	v_frexp_exp_i32_f32_e32 v15, v20
	v_rcp_f32_e32 v20, v22
	v_nop
	v_frexp_exp_i32_f32_e32 v22, v8
	v_frexp_mant_f32_e32 v8, v8
	s_delay_alu instid0(TRANS32_DEP_1) | instid1(VALU_DEP_1)
	v_dual_mul_f32 v8, v8, v20 :: v_dual_sub_nc_u32 v15, v22, v15
	s_delay_alu instid0(VALU_DEP_1) | instskip(NEXT) | instid1(VALU_DEP_1)
	v_ldexp_f32 v8, v8, v15
	v_mul_f32_e32 v15, v8, v8
	s_delay_alu instid0(VALU_DEP_1) | instskip(NEXT) | instid1(VALU_DEP_1)
	v_fmaak_f32 v20, s12, v15, 0xbc7a590c
	v_fmaak_f32 v20, v15, v20, 0x3d29fb3f
	s_delay_alu instid0(VALU_DEP_1) | instskip(NEXT) | instid1(VALU_DEP_1)
	v_fmaak_f32 v20, v15, v20, 0xbd97d4d7
	v_fmaak_f32 v20, v15, v20, 0x3dd931b2
	;; [unrolled: 3-line block ×3, first 2 shown]
	s_delay_alu instid0(VALU_DEP_1) | instskip(NEXT) | instid1(VALU_DEP_1)
	v_fmaak_f32 v20, v15, v20, 0xbeaaaa62
	v_mul_f32_e32 v15, v15, v20
	v_cndmask_b32_e64 v20, 0, 0x40490fdb, vcc_lo
	v_cmp_gt_f32_e32 vcc_lo, 0, v2
	s_delay_alu instid0(VALU_DEP_3) | instskip(NEXT) | instid1(VALU_DEP_1)
	v_fmac_f32_e32 v8, v8, v15
	v_sub_f32_e32 v15, 0x3fc90fdb, v8
	s_delay_alu instid0(VALU_DEP_1) | instskip(NEXT) | instid1(VALU_DEP_1)
	v_cndmask_b32_e64 v8, v8, v15, s0
	v_sub_f32_e32 v15, 0x40490fdb, v8
	s_delay_alu instid0(VALU_DEP_1) | instskip(NEXT) | instid1(VALU_DEP_1)
	v_dual_cndmask_b32 v8, v8, v15 :: v_dual_mul_f32 v15, 0.5, v24
	v_cndmask_b32_e64 v8, v8, v20, s1
	v_cndmask_b32_e32 v20, 0x3f490fdb, v30, vcc_lo
	s_and_b32 vcc_lo, s4, s5
	s_delay_alu instid0(VALU_DEP_3) | instskip(NEXT) | instid1(VALU_DEP_2)
	v_mul_f32_e32 v23, v24, v15
	v_cndmask_b32_e32 v8, v8, v20, vcc_lo
.LBB198_253:                            ;   in Loop: Header=BB198_162 Depth=1
	s_or_b32 exec_lo, exec_lo, s3
.LBB198_254:                            ;   in Loop: Header=BB198_162 Depth=1
	s_delay_alu instid0(SALU_CYCLE_1)
	s_or_b32 exec_lo, exec_lo, s2
.LBB198_255:                            ;   in Loop: Header=BB198_162 Depth=1
	s_and_not1_saveexec_b32 s2, s17
	s_cbranch_execz .LBB198_257
; %bb.256:                              ;   in Loop: Header=BB198_162 Depth=1
	v_div_scale_f32 v8, null, 0x402df854, 0x402df854, v2
	v_div_scale_f32 v15, null, 0x402df854, 0x402df854, v3
	v_div_scale_f32 v25, vcc_lo, v2, 0x402df854, v2
	s_delay_alu instid0(VALU_DEP_3) | instskip(NEXT) | instid1(VALU_DEP_2)
	v_rcp_f32_e32 v20, v8
	v_rcp_f32_e32 v22, v15
	v_cmp_class_f32_e64 s3, v3, 0x204
	s_delay_alu instid0(TRANS32_DEP_2) | instskip(NEXT) | instid1(TRANS32_DEP_1)
	v_fma_f32 v23, -v8, v20, 1.0
	v_fma_f32 v24, -v15, v22, 1.0
	s_delay_alu instid0(VALU_DEP_1) | instskip(SKIP_1) | instid1(VALU_DEP_1)
	v_dual_fmac_f32 v20, v23, v20 :: v_dual_fmac_f32 v22, v24, v22
	v_div_scale_f32 v23, s1, v3, 0x402df854, v3
	v_dual_mul_f32 v24, v25, v20 :: v_dual_mul_f32 v26, v23, v22
	s_delay_alu instid0(VALU_DEP_1) | instskip(NEXT) | instid1(VALU_DEP_1)
	v_dual_fma_f32 v27, -v8, v24, v25 :: v_dual_fma_f32 v28, -v15, v26, v23
	v_dual_fmac_f32 v24, v27, v20 :: v_dual_fmac_f32 v26, v28, v22
	s_delay_alu instid0(VALU_DEP_1) | instskip(NEXT) | instid1(VALU_DEP_1)
	v_dual_fma_f32 v8, -v8, v24, v25 :: v_dual_fma_f32 v15, -v15, v26, v23
	v_div_fmas_f32 v8, v8, v20, v24
	s_mov_b32 vcc_lo, s1
	v_max_num_f32_e64 v24, |v2|, |v2|
	s_delay_alu instid0(VALU_DEP_3) | instskip(SKIP_2) | instid1(VALU_DEP_3)
	v_div_fmas_f32 v15, v15, v22, v26
	v_cmp_class_f32_e64 s1, v2, 0x204
	v_div_fixup_f32 v8, v8, 0x402df854, v2
	v_div_fixup_f32 v15, v15, 0x402df854, v3
	s_delay_alu instid0(VALU_DEP_1) | instskip(NEXT) | instid1(VALU_DEP_1)
	v_max_num_f32_e64 v20, |v8|, |v15|
	v_cvt_f64_f32_e32 v[22:23], v20
	v_cmp_neq_f32_e32 vcc_lo, 0x7f800000, v20
	s_delay_alu instid0(VALU_DEP_2) | instskip(SKIP_1) | instid1(VALU_DEP_1)
	v_frexp_exp_i32_f64_e32 v22, v[22:23]
	v_max_num_f32_e64 v23, |v3|, |v3|
	v_dual_max_num_f32 v25, v24, v23 :: v_dual_min_num_f32 v23, v24, v23
	s_delay_alu instid0(VALU_DEP_1) | instskip(SKIP_1) | instid1(VALU_DEP_2)
	v_frexp_mant_f32_e32 v26, v25
	v_frexp_exp_i32_f32_e32 v24, v25
	v_rcp_f32_e32 v25, v26
	v_nop
	v_frexp_exp_i32_f32_e32 v26, v23
	v_frexp_mant_f32_e32 v23, v23
	s_delay_alu instid0(TRANS32_DEP_1) | instid1(VALU_DEP_1)
	v_dual_mul_f32 v23, v23, v25 :: v_dual_sub_nc_u32 v24, v26, v24
	s_delay_alu instid0(VALU_DEP_1) | instskip(NEXT) | instid1(VALU_DEP_1)
	v_ldexp_f32 v23, v23, v24
	v_dual_mul_f32 v24, v23, v23 :: v_dual_sub_nc_u32 v25, 0, v22
	s_delay_alu instid0(VALU_DEP_1) | instskip(SKIP_1) | instid1(VALU_DEP_3)
	v_ldexp_f32 v15, |v15|, v25
	v_ldexp_f32 v8, |v8|, v25
	v_fmaak_f32 v25, s12, v24, 0xbc7a590c
	s_delay_alu instid0(VALU_DEP_3) | instskip(NEXT) | instid1(VALU_DEP_1)
	v_mul_f32_e32 v15, v15, v15
	v_fmac_f32_e32 v15, v8, v8
	s_delay_alu instid0(VALU_DEP_3) | instskip(NEXT) | instid1(VALU_DEP_2)
	v_fmaak_f32 v8, v24, v25, 0x3d29fb3f
	v_sqrt_f32_e32 v15, v15
	s_delay_alu instid0(VALU_DEP_1) | instskip(NEXT) | instid1(VALU_DEP_1)
	v_fmaak_f32 v8, v24, v8, 0xbd97d4d7
	v_fmaak_f32 v8, v24, v8, 0x3dd931b2
	s_delay_alu instid0(TRANS32_DEP_1) | instskip(NEXT) | instid1(VALU_DEP_2)
	v_ldexp_f32 v15, v15, v22
	v_fmaak_f32 v8, v24, v8, 0xbe1160e6
	s_delay_alu instid0(VALU_DEP_1) | instskip(NEXT) | instid1(VALU_DEP_1)
	v_fmaak_f32 v8, v24, v8, 0x3e4cb8bf
	v_fmaak_f32 v8, v24, v8, 0xbeaaaa62
	s_delay_alu instid0(VALU_DEP_1) | instskip(NEXT) | instid1(VALU_DEP_1)
	v_dual_cndmask_b32 v15, 0x7f800000, v15 :: v_dual_mul_f32 v8, v24, v8
	v_cmp_gt_f32_e32 vcc_lo, 0x800000, v15
	s_delay_alu instid0(VALU_DEP_2) | instskip(SKIP_2) | instid1(VALU_DEP_2)
	v_fmac_f32_e32 v23, v23, v8
	v_cndmask_b32_e64 v20, 0, 32, vcc_lo
	v_cndmask_b32_e64 v24, 0, 0x41b17218, vcc_lo
	v_ldexp_f32 v15, v15, v20
	s_delay_alu instid0(VALU_DEP_1) | instskip(SKIP_1) | instid1(TRANS32_DEP_1)
	v_log_f32_e32 v15, v15
	v_nop
	v_mul_f32_e32 v20, 0x3f317217, v15
	v_cmp_gt_f32_e64 vcc_lo, 0x7f800000, |v15|
	s_delay_alu instid0(VALU_DEP_2) | instskip(SKIP_1) | instid1(VALU_DEP_2)
	v_fma_f32 v8, 0x3f317217, v15, -v20
	v_sub_f32_e32 v20, 0x3fc90fdb, v23
	v_fmac_f32_e32 v8, 0x3377d1cf, v15
	s_delay_alu instid0(VALU_DEP_2) | instskip(SKIP_1) | instid1(VALU_DEP_3)
	v_cndmask_b32_e64 v20, v23, v20, s0
	v_cmp_gt_i32_e64 s0, 0, v2
	v_fmac_f32_e32 v8, 0x3f317217, v15
	s_delay_alu instid0(VALU_DEP_3) | instskip(NEXT) | instid1(VALU_DEP_3)
	v_sub_f32_e32 v23, 0x40490fdb, v20
	v_cndmask_b32_e64 v22, 0, 0x40490fdb, s0
	v_cmp_gt_f32_e64 s0, 0, v2
	s_delay_alu instid0(VALU_DEP_4) | instskip(SKIP_1) | instid1(VALU_DEP_3)
	v_cndmask_b32_e32 v8, v15, v8, vcc_lo
	v_cmp_eq_f32_e32 vcc_lo, 0, v3
	v_cndmask_b32_e64 v15, v20, v23, s0
	v_cndmask_b32_e64 v20, 0x3f490fdb, v30, s0
	s_delay_alu instid0(VALU_DEP_2) | instskip(SKIP_1) | instid1(VALU_DEP_1)
	v_dual_sub_f32 v8, v8, v24 :: v_dual_cndmask_b32 v15, v15, v22
	s_and_b32 vcc_lo, s1, s3
	v_add_f32_e32 v23, 1.0, v8
	s_delay_alu instid0(VALU_DEP_2)
	v_cndmask_b32_e32 v8, v15, v20, vcc_lo
.LBB198_257:                            ;   in Loop: Header=BB198_162 Depth=1
	s_or_b32 exec_lo, exec_lo, s2
.LBB198_258:                            ;   in Loop: Header=BB198_162 Depth=1
	s_and_not1_saveexec_b32 s0, s16
	s_cbranch_execz .LBB198_264
; %bb.259:                              ;   in Loop: Header=BB198_162 Depth=1
	v_cmp_ngt_f32_e64 s1, 0x20000000, |v2|
	v_cmp_ngt_f32_e64 s2, 0x20000000, |v3|
                                        ; implicit-def: $vgpr8
	s_or_b32 s1, s1, s2
	s_delay_alu instid0(SALU_CYCLE_1) | instskip(NEXT) | instid1(SALU_CYCLE_1)
	s_and_saveexec_b32 s2, s1
	s_xor_b32 s1, exec_lo, s2
; %bb.260:                              ;   in Loop: Header=BB198_162 Depth=1
	v_pk_mul_f32 v[22:23], v[2:3], v[2:3]
	s_delay_alu instid0(VALU_DEP_1)
	v_add_f32_e32 v8, v22, v23
; %bb.261:                              ;   in Loop: Header=BB198_162 Depth=1
	s_and_not1_saveexec_b32 s1, s1
; %bb.262:                              ;   in Loop: Header=BB198_162 Depth=1
	v_pk_mul_f32 v[22:23], v[2:3], 4.0 op_sel_hi:[1,0]
	s_delay_alu instid0(VALU_DEP_1) | instskip(NEXT) | instid1(VALU_DEP_1)
	v_pk_mul_f32 v[22:23], v[22:23], v[22:23]
	v_add_f32_e32 v2, v22, v23
	s_delay_alu instid0(VALU_DEP_1)
	v_mul_f32_e32 v8, 0x3d800000, v2
; %bb.263:                              ;   in Loop: Header=BB198_162 Depth=1
	s_or_b32 exec_lo, exec_lo, s1
	s_delay_alu instid0(VALU_DEP_1) | instskip(SKIP_2) | instid1(VALU_DEP_2)
	v_cmp_gt_f32_e32 vcc_lo, 0x800000, v8
	v_cndmask_b32_e64 v2, 0, 32, vcc_lo
	v_cndmask_b32_e64 v15, 0, 0x41b17218, vcc_lo
	v_ldexp_f32 v2, v8, v2
	s_delay_alu instid0(VALU_DEP_1) | instskip(SKIP_1) | instid1(TRANS32_DEP_1)
	v_log_f32_e32 v2, v2
	v_nop
	v_mul_f32_e32 v8, 0x3f317217, v2
	v_cmp_gt_f32_e64 vcc_lo, 0x7f800000, |v2|
	s_delay_alu instid0(VALU_DEP_2) | instskip(NEXT) | instid1(VALU_DEP_1)
	v_fma_f32 v8, 0x3f317217, v2, -v8
	v_fmac_f32_e32 v8, 0x3377d1cf, v2
	s_delay_alu instid0(VALU_DEP_1) | instskip(NEXT) | instid1(VALU_DEP_1)
	v_fmac_f32_e32 v8, 0x3f317217, v2
	v_cndmask_b32_e32 v2, v2, v8, vcc_lo
	s_delay_alu instid0(VALU_DEP_1)
	v_dual_mov_b32 v8, 0x7fc00000 :: v_dual_sub_f32 v23, v2, v15
.LBB198_264:                            ;   in Loop: Header=BB198_162 Depth=1
	s_or_b32 exec_lo, exec_lo, s0
                                        ; implicit-def: $vgpr25
                                        ; implicit-def: $vgpr2
	s_delay_alu instid0(SALU_CYCLE_1)
	s_mov_b32 s0, exec_lo
	v_cmpx_o_f32_e32 v5, v4
	s_xor_b32 s16, exec_lo, s0
	s_cbranch_execz .LBB198_292
; %bb.265:                              ;   in Loop: Header=BB198_162 Depth=1
	v_cmp_lt_f32_e64 s0, |v4|, |v5|
                                        ; implicit-def: $vgpr25
                                        ; implicit-def: $vgpr2
	s_mov_b32 s2, exec_lo
	v_cndmask_b32_e64 v15, v5, v4, s0
	s_delay_alu instid0(VALU_DEP_1)
	v_cmpx_nlt_f32_e64 0x77f684df, |v15|
	s_xor_b32 s17, exec_lo, s2
	s_cbranch_execz .LBB198_289
; %bb.266:                              ;   in Loop: Header=BB198_162 Depth=1
	v_cndmask_b32_e64 v2, v4, v5, s0
	v_and_b32_e32 v26, 0x7fffffff, v15
                                        ; implicit-def: $vgpr25
	s_mov_b32 s1, exec_lo
	s_delay_alu instid0(VALU_DEP_2) | instskip(NEXT) | instid1(VALU_DEP_1)
	v_and_b32_e32 v27, 0x7fffffff, v2
                                        ; implicit-def: $vgpr2
	v_cmpx_neq_f32_e32 1.0, v27
	s_xor_b32 s18, exec_lo, s1
	s_cbranch_execz .LBB198_282
; %bb.267:                              ;   in Loop: Header=BB198_162 Depth=1
	v_dual_max_num_f32 v2, v26, v26 :: v_dual_max_num_f32 v15, v27, v27
                                        ; implicit-def: $vgpr25
	s_delay_alu instid0(VALU_DEP_1) | instskip(NEXT) | instid1(VALU_DEP_1)
	v_dual_min_num_f32 v20, v15, v2 :: v_dual_max_num_f32 v2, v15, v2
	v_cmp_ngt_f32_e32 vcc_lo, 0x358637bd, v20
	s_delay_alu instid0(VALU_DEP_2) | instskip(SKIP_1) | instid1(SALU_CYCLE_1)
	v_cmp_nlt_f32_e64 s1, 0x49742400, v2
                                        ; implicit-def: $vgpr2
	s_and_b32 s1, s1, vcc_lo
	s_and_saveexec_b32 s2, s1
	s_delay_alu instid0(SALU_CYCLE_1)
	s_xor_b32 s19, exec_lo, s2
	s_cbranch_execz .LBB198_279
; %bb.268:                              ;   in Loop: Header=BB198_162 Depth=1
                                        ; implicit-def: $vgpr25
                                        ; implicit-def: $vgpr2
	s_mov_b32 s1, exec_lo
	v_cmpx_le_f32_e32 1.0, v27
	s_xor_b32 s2, exec_lo, s1
	s_cbranch_execz .LBB198_270
; %bb.269:                              ;   in Loop: Header=BB198_162 Depth=1
	v_pk_add_f32 v[24:25], v[26:27], v[12:13] op_sel:[1,0]
	v_mov_b32_e32 v28, v26
	v_cmp_class_f32_e64 s3, v4, 0x204
	s_delay_alu instid0(VALU_DEP_3) | instskip(SKIP_1) | instid1(VALU_DEP_1)
	v_dual_mov_b32 v27, v24 :: v_dual_mov_b32 v29, v25
	v_mul_f32_e32 v2, v24, v25
	v_pk_fma_f32 v[24:25], v[26:27], v[28:29], v[2:3] op_sel_hi:[1,1,0]
	s_delay_alu instid0(VALU_DEP_1) | instskip(SKIP_1) | instid1(VALU_DEP_2)
	v_add_f32_e32 v27, 1.0, v24
	v_cmp_neq_f32_e64 s1, -1.0, v24
	v_add_f32_e32 v25, -1.0, v27
	s_delay_alu instid0(VALU_DEP_1) | instskip(SKIP_2) | instid1(VALU_DEP_1)
	v_mov_b32_e32 v26, v25
	v_cvt_f64_f32_e32 v[28:29], v27
	v_frexp_mant_f32_e32 v15, v27
	v_cmp_gt_f32_e32 vcc_lo, 0x3f2aaaab, v15
	s_delay_alu instid0(VALU_DEP_3) | instskip(NEXT) | instid1(VALU_DEP_1)
	v_frexp_exp_i32_f64_e32 v2, v[28:29]
	v_subrev_co_ci_u32_e64 v2, null, 0, v2, vcc_lo
	v_cmp_neq_f32_e32 vcc_lo, 0x7f800000, v24
	s_delay_alu instid0(VALU_DEP_2) | instskip(SKIP_1) | instid1(VALU_DEP_2)
	v_sub_nc_u32_e32 v15, 0, v2
	v_pk_add_f32 v[28:29], v[24:25], v[26:27] neg_lo:[0,1] neg_hi:[0,1]
	v_ldexp_f32 v20, v27, v15
	s_delay_alu instid0(VALU_DEP_1) | instskip(NEXT) | instid1(VALU_DEP_1)
	v_dual_add_f32 v22, 1.0, v29 :: v_dual_add_f32 v25, 1.0, v20
	v_dual_add_f32 v22, v28, v22 :: v_dual_add_f32 v26, -1.0, v25
	v_add_f32_e32 v31, -1.0, v20
	s_delay_alu instid0(VALU_DEP_2) | instskip(NEXT) | instid1(VALU_DEP_2)
	v_ldexp_f32 v15, v22, v15
	v_dual_sub_f32 v22, v20, v26 :: v_dual_add_f32 v26, 1.0, v31
	s_delay_alu instid0(VALU_DEP_1) | instskip(NEXT) | instid1(VALU_DEP_2)
	v_add_f32_e32 v22, v15, v22
	v_sub_f32_e32 v20, v20, v26
	s_delay_alu instid0(VALU_DEP_1) | instskip(NEXT) | instid1(VALU_DEP_1)
	v_dual_add_f32 v34, v25, v22 :: v_dual_add_f32 v15, v15, v20
	v_rcp_f32_e32 v20, v34
	s_delay_alu instid0(VALU_DEP_1)
	v_dual_add_f32 v27, v31, v15 :: v_dual_sub_f32 v25, v34, v25
	s_delay_alu instid0(TRANS32_DEP_1) | instid1(VALU_DEP_1)
	v_dual_mul_f32 v35, v27, v20 :: v_dual_sub_f32 v22, v22, v25
	v_sub_f32_e32 v25, v27, v31
	s_delay_alu instid0(VALU_DEP_1) | instskip(NEXT) | instid1(VALU_DEP_1)
	v_dual_mul_f32 v28, v34, v35 :: v_dual_sub_f32 v15, v15, v25
	v_fma_f32 v32, v35, v34, -v28
	s_delay_alu instid0(VALU_DEP_1) | instskip(NEXT) | instid1(VALU_DEP_1)
	v_fmac_f32_e32 v32, v35, v22
	v_add_f32_e32 v26, v28, v32
	s_delay_alu instid0(VALU_DEP_1) | instskip(NEXT) | instid1(VALU_DEP_1)
	v_dual_sub_f32 v29, v27, v26 :: v_dual_mov_b32 v33, v26
	v_pk_add_f32 v[26:27], v[26:27], v[28:29] neg_lo:[0,1] neg_hi:[0,1]
	s_delay_alu instid0(VALU_DEP_1) | instskip(NEXT) | instid1(VALU_DEP_1)
	v_pk_add_f32 v[26:27], v[26:27], v[32:33] neg_lo:[0,1] neg_hi:[0,1]
	v_add_f32_e32 v15, v15, v27
	s_delay_alu instid0(VALU_DEP_1) | instskip(NEXT) | instid1(VALU_DEP_1)
	v_add_f32_e32 v15, v26, v15
	v_add_f32_e32 v27, v29, v15
	s_delay_alu instid0(VALU_DEP_1) | instskip(NEXT) | instid1(VALU_DEP_1)
	v_mul_f32_e32 v25, v20, v27
	v_mul_f32_e32 v32, v34, v25
	s_delay_alu instid0(VALU_DEP_1) | instskip(NEXT) | instid1(VALU_DEP_1)
	v_fma_f32 v28, v25, v34, -v32
	v_fmac_f32_e32 v28, v25, v22
	s_delay_alu instid0(VALU_DEP_1) | instskip(NEXT) | instid1(VALU_DEP_1)
	v_dual_add_f32 v26, v32, v28 :: v_dual_sub_f32 v22, v29, v27
	v_dual_sub_f32 v33, v27, v26 :: v_dual_mov_b32 v29, v26
	s_delay_alu instid0(VALU_DEP_2) | instskip(NEXT) | instid1(VALU_DEP_2)
	v_add_f32_e32 v15, v15, v22
	v_pk_add_f32 v[26:27], v[26:27], v[32:33] neg_lo:[0,1] neg_hi:[0,1]
	s_delay_alu instid0(VALU_DEP_1) | instskip(NEXT) | instid1(VALU_DEP_1)
	v_pk_add_f32 v[26:27], v[26:27], v[28:29] neg_lo:[0,1] neg_hi:[0,1]
	v_add_f32_e32 v15, v15, v27
	s_delay_alu instid0(VALU_DEP_1) | instskip(NEXT) | instid1(VALU_DEP_1)
	v_dual_add_f32 v22, v35, v25 :: v_dual_add_f32 v15, v26, v15
	v_sub_f32_e32 v26, v22, v35
	s_delay_alu instid0(VALU_DEP_2) | instskip(NEXT) | instid1(VALU_DEP_2)
	v_add_f32_e32 v15, v33, v15
	v_sub_f32_e32 v25, v25, v26
	v_cvt_f32_i32_e32 v26, v2
	s_delay_alu instid0(VALU_DEP_3) | instskip(NEXT) | instid1(VALU_DEP_1)
	v_mul_f32_e32 v15, v20, v15
	v_add_f32_e32 v20, v25, v15
	s_delay_alu instid0(VALU_DEP_1) | instskip(NEXT) | instid1(VALU_DEP_1)
	v_add_f32_e32 v25, v22, v20
	v_mul_f32_e32 v15, v25, v25
	v_ldexp_f32 v33, v25, 1
	v_sub_f32_e32 v2, v25, v22
	s_delay_alu instid0(VALU_DEP_3) | instskip(NEXT) | instid1(VALU_DEP_1)
	v_dual_fmaak_f32 v28, s11, v15, 0x3ecc95a3 :: v_dual_mul_f32 v27, v25, v15
	v_fmaak_f32 v15, v15, v28, 0x3f2aaada
	s_delay_alu instid0(VALU_DEP_1) | instskip(NEXT) | instid1(VALU_DEP_1)
	v_pk_mul_f32 v[28:29], v[26:27], v[14:15]
	v_fma_f32 v32, 0x3f317218, v26, -v28
	v_mov_b32_e32 v34, v28
	s_delay_alu instid0(VALU_DEP_2) | instskip(NEXT) | instid1(VALU_DEP_1)
	v_fmac_f32_e32 v32, 0xb102e308, v26
	v_pk_add_f32 v[26:27], v[28:29], v[32:33]
	s_delay_alu instid0(VALU_DEP_1) | instskip(NEXT) | instid1(VALU_DEP_1)
	v_dual_sub_f32 v2, v20, v2 :: v_dual_sub_f32 v15, v27, v33
	v_ldexp_f32 v2, v2, 1
	s_delay_alu instid0(VALU_DEP_2) | instskip(NEXT) | instid1(VALU_DEP_4)
	v_sub_f32_e32 v15, v29, v15
	v_pk_add_f32 v[28:29], v[26:27], v[28:29] neg_lo:[0,1] neg_hi:[0,1]
	s_delay_alu instid0(VALU_DEP_2) | instskip(SKIP_3) | instid1(VALU_DEP_4)
	v_add_f32_e32 v35, v2, v15
	v_max_num_f32_e64 v2, |v5|, |v5|
	v_max_num_f32_e64 v15, |v4|, |v4|
	v_mov_b32_e32 v33, v26
	v_pk_add_f32 v[36:37], v[26:27], v[34:35]
	s_delay_alu instid0(VALU_DEP_3) | instskip(NEXT) | instid1(VALU_DEP_2)
	v_dual_max_num_f32 v20, v15, v2 :: v_dual_min_num_f32 v15, v15, v2
	v_mov_b32_e32 v29, v37
	s_delay_alu instid0(VALU_DEP_2) | instskip(SKIP_1) | instid1(VALU_DEP_3)
	v_frexp_exp_i32_f32_e32 v22, v20
	v_frexp_mant_f32_e32 v20, v20
	v_pk_add_f32 v[38:39], v[32:33], v[28:29]
	v_mov_b32_e32 v38, v37
	v_frexp_exp_i32_f32_e32 v25, v15
	s_delay_alu instid0(VALU_DEP_4) | instskip(SKIP_4) | instid1(VALU_DEP_3)
	v_rcp_f32_e32 v20, v20
	v_frexp_mant_f32_e32 v31, v15
	v_mov_b32_e32 v2, v39
	v_pk_add_f32 v[28:29], v[32:33], v[28:29] neg_lo:[0,1] neg_hi:[0,1]
	v_dual_mov_b32 v29, v39 :: v_dual_sub_nc_u32 v22, v25, v22
	v_pk_add_f32 v[40:41], v[2:3], v[26:27] neg_lo:[0,1] neg_hi:[0,1]
	v_dual_mov_b32 v42, v27 :: v_dual_mov_b32 v27, v26
	v_mov_b32_e32 v26, v35
	s_delay_alu instid0(VALU_DEP_3) | instskip(SKIP_1) | instid1(VALU_DEP_2)
	v_dual_mul_f32 v20, v31, v20 :: v_dual_mov_b32 v15, v40
	v_mov_b32_e32 v43, v40
	v_pk_add_f32 v[34:35], v[36:37], v[14:15] neg_lo:[0,1] neg_hi:[0,1]
	s_delay_alu instid0(VALU_DEP_2) | instskip(NEXT) | instid1(VALU_DEP_4)
	v_pk_add_f32 v[32:33], v[38:39], v[42:43] neg_lo:[0,1] neg_hi:[0,1]
	v_ldexp_f32 v15, v20, v22
	v_mov_b32_e32 v34, v28
	s_delay_alu instid0(VALU_DEP_3) | instskip(NEXT) | instid1(VALU_DEP_3)
	v_pk_add_f32 v[26:27], v[26:27], v[32:33] neg_lo:[0,1] neg_hi:[0,1]
	v_mul_f32_e32 v22, v15, v15
	s_delay_alu instid0(VALU_DEP_2) | instskip(NEXT) | instid1(VALU_DEP_1)
	v_pk_add_f32 v[32:33], v[34:35], v[26:27]
	v_dual_fmaak_f32 v25, s12, v22, 0xbc7a590c :: v_dual_mov_b32 v20, v33
	s_delay_alu instid0(VALU_DEP_1) | instskip(NEXT) | instid1(VALU_DEP_2)
	v_pk_add_f32 v[34:35], v[32:33], v[20:21]
	v_fmaak_f32 v20, v22, v25, 0x3d29fb3f
	s_delay_alu instid0(VALU_DEP_2) | instskip(NEXT) | instid1(VALU_DEP_1)
	v_pk_add_f32 v[36:37], v[2:3], v[34:35]
	v_dual_fmaak_f32 v2, v22, v20, 0xbd97d4d7 :: v_dual_mov_b32 v33, v36
	s_delay_alu instid0(VALU_DEP_1) | instskip(NEXT) | instid1(VALU_DEP_2)
	v_fmaak_f32 v2, v22, v2, 0x3dd931b2
	v_pk_add_f32 v[38:39], v[32:33], v[28:29] neg_lo:[0,1] neg_hi:[0,1]
	s_delay_alu instid0(VALU_DEP_2) | instskip(NEXT) | instid1(VALU_DEP_2)
	v_fmaak_f32 v2, v22, v2, 0xbe1160e6
	v_dual_mov_b32 v27, v34 :: v_dual_sub_f32 v20, v32, v38
	s_delay_alu instid0(VALU_DEP_2) | instskip(NEXT) | instid1(VALU_DEP_2)
	v_fmaak_f32 v2, v22, v2, 0x3e4cb8bf
	v_pk_add_f32 v[26:27], v[26:27], v[38:39] neg_lo:[0,1] neg_hi:[0,1]
	s_delay_alu instid0(VALU_DEP_2) | instskip(NEXT) | instid1(VALU_DEP_1)
	v_fmaak_f32 v2, v22, v2, 0xbeaaaa62
	v_dual_sub_f32 v20, v28, v20 :: v_dual_mul_f32 v2, v22, v2
	s_delay_alu instid0(VALU_DEP_1) | instskip(NEXT) | instid1(VALU_DEP_1)
	v_dual_add_f32 v20, v26, v20 :: v_dual_fmac_f32 v15, v15, v2
	v_add_f32_e32 v20, v20, v27
                                        ; implicit-def: $vgpr26_vgpr27
	s_delay_alu instid0(VALU_DEP_1) | instskip(NEXT) | instid1(VALU_DEP_3)
	v_add_f32_e32 v2, v36, v20
	v_sub_f32_e32 v20, 0x3fc90fdb, v15
	s_delay_alu instid0(VALU_DEP_1) | instskip(NEXT) | instid1(VALU_DEP_3)
	v_cndmask_b32_e64 v15, v15, v20, s0
	v_cndmask_b32_e32 v2, 0x7f800000, v2, vcc_lo
	v_cmp_gt_i32_e32 vcc_lo, 0, v4
	s_delay_alu instid0(VALU_DEP_3) | instskip(SKIP_4) | instid1(VALU_DEP_2)
	v_sub_f32_e32 v22, 0x40490fdb, v15
	v_cndmask_b32_e64 v20, 0, 0x40490fdb, vcc_lo
	v_cmp_ngt_f32_e32 vcc_lo, -1.0, v24
	v_cndmask_b32_e32 v2, 0x7fc00000, v2, vcc_lo
	v_cmp_gt_f32_e32 vcc_lo, 0, v4
	v_cndmask_b32_e64 v2, 0xff800000, v2, s1
	v_cndmask_b32_e32 v15, v15, v22, vcc_lo
	v_cndmask_b32_e32 v22, 0x3f490fdb, v30, vcc_lo
	v_cmp_gt_f32_e64 vcc_lo, 0x33800000, |v24|
	v_cmp_class_f32_e64 s1, v5, 0x204
	v_cndmask_b32_e32 v2, v2, v24, vcc_lo
	v_cmp_eq_f32_e32 vcc_lo, 0, v5
	s_delay_alu instid0(VALU_DEP_2) | instskip(SKIP_1) | instid1(VALU_DEP_1)
	v_dual_mul_f32 v25, 0.5, v2 :: v_dual_cndmask_b32 v15, v15, v20, vcc_lo
	s_and_b32 vcc_lo, s3, s1
	v_cndmask_b32_e32 v2, v15, v22, vcc_lo
.LBB198_270:                            ;   in Loop: Header=BB198_162 Depth=1
	s_and_not1_saveexec_b32 s20, s2
	s_cbranch_execz .LBB198_278
; %bb.271:                              ;   in Loop: Header=BB198_162 Depth=1
	v_pk_mul_f32 v[24:25], v[26:27], v[26:27]
                                        ; implicit-def: $vgpr2
	s_mov_b32 s1, exec_lo
	s_delay_alu instid0(VALU_DEP_1) | instskip(NEXT) | instid1(VALU_DEP_1)
	v_add_f32_e32 v15, v25, v24
                                        ; implicit-def: $vgpr25
	v_cmpx_ge_f32_e32 0x3f333333, v15
	s_xor_b32 s2, exec_lo, s1
	s_cbranch_execz .LBB198_273
; %bb.272:                              ;   in Loop: Header=BB198_162 Depth=1
	v_max_num_f32_e64 v2, |v5|, |v5|
	v_max_num_f32_e64 v20, |v4|, |v4|
	v_cmp_gt_f32_e32 vcc_lo, 0x800000, v15
	v_cmp_gt_i32_e64 s1, 0, v4
	v_cmp_class_f32_e64 s3, v4, 0x204
	v_cmp_class_f32_e64 s4, v5, 0x204
	v_dual_max_num_f32 v22, v20, v2 :: v_dual_min_num_f32 v2, v20, v2
	v_cndmask_b32_e64 v25, 0, 0x41b17218, vcc_lo
                                        ; implicit-def: $vgpr26
	s_delay_alu instid0(VALU_DEP_2) | instskip(SKIP_1) | instid1(VALU_DEP_2)
	v_frexp_mant_f32_e32 v24, v22
	v_frexp_exp_i32_f32_e32 v20, v22
	v_rcp_f32_e32 v22, v24
	v_nop
	v_frexp_exp_i32_f32_e32 v24, v2
	v_frexp_mant_f32_e32 v2, v2
	s_delay_alu instid0(TRANS32_DEP_1) | instid1(VALU_DEP_1)
	v_dual_sub_nc_u32 v20, v24, v20 :: v_dual_mul_f32 v2, v2, v22
	v_cndmask_b32_e64 v24, 0, 32, vcc_lo
	s_delay_alu instid0(VALU_DEP_2) | instskip(NEXT) | instid1(VALU_DEP_2)
	v_ldexp_f32 v2, v2, v20
	v_ldexp_f32 v15, v15, v24
	s_delay_alu instid0(VALU_DEP_2) | instskip(NEXT) | instid1(VALU_DEP_2)
	v_mul_f32_e32 v20, v2, v2
	v_log_f32_e32 v15, v15
	s_delay_alu instid0(VALU_DEP_1) | instskip(NEXT) | instid1(TRANS32_DEP_1)
	v_fmaak_f32 v22, s12, v20, 0xbc7a590c
	v_cmp_gt_f32_e64 vcc_lo, 0x7f800000, |v15|
	s_delay_alu instid0(VALU_DEP_2) | instskip(NEXT) | instid1(VALU_DEP_1)
	v_fmaak_f32 v22, v20, v22, 0x3d29fb3f
	v_fmaak_f32 v22, v20, v22, 0xbd97d4d7
	s_delay_alu instid0(VALU_DEP_1) | instskip(NEXT) | instid1(VALU_DEP_1)
	v_fmaak_f32 v22, v20, v22, 0x3dd931b2
	v_fmaak_f32 v22, v20, v22, 0xbe1160e6
	s_delay_alu instid0(VALU_DEP_1) | instskip(NEXT) | instid1(VALU_DEP_1)
	v_fmaak_f32 v22, v20, v22, 0x3e4cb8bf
	v_fmaak_f32 v22, v20, v22, 0xbeaaaa62
	s_delay_alu instid0(VALU_DEP_1) | instskip(SKIP_1) | instid1(VALU_DEP_2)
	v_mul_f32_e32 v20, v20, v22
	v_mul_f32_e32 v22, 0x3f317217, v15
	v_fmac_f32_e32 v2, v2, v20
	s_delay_alu instid0(VALU_DEP_2) | instskip(NEXT) | instid1(VALU_DEP_2)
	v_fma_f32 v20, 0x3f317217, v15, -v22
	v_sub_f32_e32 v22, 0x3fc90fdb, v2
	s_delay_alu instid0(VALU_DEP_2) | instskip(NEXT) | instid1(VALU_DEP_2)
	v_fmac_f32_e32 v20, 0x3377d1cf, v15
	v_cndmask_b32_e64 v2, v2, v22, s0
	s_delay_alu instid0(VALU_DEP_2) | instskip(SKIP_2) | instid1(VALU_DEP_3)
	v_fmac_f32_e32 v20, 0x3f317217, v15
	v_cndmask_b32_e64 v22, 0, 0x40490fdb, s1
	v_cmp_eq_f32_e64 s1, 0, v5
	v_dual_sub_f32 v24, 0x40490fdb, v2 :: v_dual_cndmask_b32 v15, v15, v20
	v_cmp_gt_f32_e32 vcc_lo, 0, v4
	s_delay_alu instid0(VALU_DEP_2) | instskip(SKIP_2) | instid1(VALU_DEP_2)
	v_dual_sub_f32 v15, v15, v25 :: v_dual_cndmask_b32 v2, v2, v24
	v_cndmask_b32_e32 v20, 0x3f490fdb, v30, vcc_lo
	s_and_b32 vcc_lo, s3, s4
	v_dual_mul_f32 v25, 0.5, v15 :: v_dual_cndmask_b32 v2, v2, v22, s1
	s_delay_alu instid0(VALU_DEP_1)
	v_cndmask_b32_e32 v2, v2, v20, vcc_lo
.LBB198_273:                            ;   in Loop: Header=BB198_162 Depth=1
	s_and_not1_saveexec_b32 s21, s2
	s_cbranch_execz .LBB198_277
; %bb.274:                              ;   in Loop: Header=BB198_162 Depth=1
	v_and_b32_e32 v25, 0x7fff0000, v26
	v_and_b32_e32 v24, 0x7fff0000, v27
	s_mov_b32 s22, 0
	s_delay_alu instid0(VALU_DEP_1) | instskip(SKIP_2) | instid1(VALU_DEP_2)
	v_dual_add_f32 v31, v25, v25 :: v_dual_add_f32 v15, v24, v24
	v_pk_add_f32 v[26:27], v[26:27], v[24:25] op_sel:[1,0] op_sel_hi:[0,1] neg_lo:[0,1] neg_hi:[0,1]
	v_pk_mul_f32 v[24:25], v[24:25], v[24:25]
	v_and_b32_e32 v29, 0xffff0000, v27
	s_delay_alu instid0(VALU_DEP_3) | instskip(NEXT) | instid1(VALU_DEP_2)
	v_and_b32_e32 v28, 0xffff0000, v26
	v_dual_mul_f32 v22, v31, v29 :: v_dual_add_f32 v34, v29, v29
	s_delay_alu instid0(VALU_DEP_2) | instskip(SKIP_2) | instid1(VALU_DEP_3)
	v_pk_add_f32 v[26:27], v[26:27], v[28:29] neg_lo:[0,1] neg_hi:[0,1]
	v_dual_mul_f32 v2, v15, v28 :: v_dual_add_f32 v33, v28, v28
	v_pk_mul_f32 v[28:29], v[28:29], v[28:29]
	v_mul_f32_e32 v20, v15, v26
	s_delay_alu instid0(VALU_DEP_4) | instskip(NEXT) | instid1(VALU_DEP_4)
	v_dual_mul_f32 v32, v31, v27 :: v_dual_mul_f32 v31, v34, v27
	v_mul_f32_e32 v15, v33, v26
	v_pk_mul_f32 v[26:27], v[26:27], v[26:27]
.LBB198_275:                            ;   Parent Loop BB198_162 Depth=1
                                        ; =>  This Inner Loop Header: Depth=2
	v_cmp_nlt_f32_e32 vcc_lo, v24, v25
	v_dual_cndmask_b32 v33, v24, v25 :: v_dual_cndmask_b32 v24, v25, v24
	s_delay_alu instid0(VALU_DEP_1) | instskip(NEXT) | instid1(VALU_DEP_1)
	v_cmp_nlt_f32_e64 s1, v33, v2
	v_dual_cndmask_b32 v34, v33, v2, s1 :: v_dual_cndmask_b32 v25, v2, v33, s1
	s_and_b32 s1, vcc_lo, s1
	s_delay_alu instid0(VALU_DEP_1) | instskip(NEXT) | instid1(VALU_DEP_1)
	v_cmp_nlt_f32_e64 s2, v34, v22
	v_cndmask_b32_e64 v35, v34, v22, s2
	v_cndmask_b32_e64 v2, v22, v34, s2
	s_delay_alu instid0(VALU_DEP_2) | instskip(NEXT) | instid1(VALU_DEP_1)
	v_cmp_nlt_f32_e64 s3, v35, v28
	v_cndmask_b32_e64 v33, v35, v28, s3
	s_and_b32 s23, s2, s3
	s_delay_alu instid0(VALU_DEP_1) | instskip(NEXT) | instid1(VALU_DEP_1)
	v_cmp_nlt_f32_e64 s4, v33, v29
	v_dual_cndmask_b32 v34, v33, v29, s4 :: v_dual_cndmask_b32 v22, v28, v35, s3
	v_cndmask_b32_e64 v28, v29, v33, s4
	s_delay_alu instid0(VALU_DEP_2) | instskip(NEXT) | instid1(VALU_DEP_1)
	v_cmp_nlt_f32_e64 s5, v34, v20
	v_cndmask_b32_e64 v36, v34, v20, s5
	s_and_b32 s4, s4, s5
	v_cndmask_b32_e64 v29, v20, v34, s5
	s_delay_alu instid0(VALU_DEP_2) | instskip(NEXT) | instid1(VALU_DEP_1)
	v_cmp_nlt_f32_e64 s6, v36, v32
	v_cndmask_b32_e64 v37, v36, v32, s6
	s_and_b32 s4, s4, s6
	;; [unrolled: 5-line block ×3, first 2 shown]
	v_cndmask_b32_e64 v32, v15, v37, s7
	s_delay_alu instid0(VALU_DEP_2) | instskip(NEXT) | instid1(VALU_DEP_1)
	v_cmp_nlt_f32_e64 s2, v35, v31
	v_cndmask_b32_e64 v33, v35, v31, s2
	s_delay_alu instid0(VALU_DEP_1) | instskip(SKIP_4) | instid1(VALU_DEP_1)
	v_cmp_nlt_f32_e64 s3, v33, v26
	v_cndmask_b32_e64 v15, v31, v35, s2
	s_and_b32 s2, s5, s2
	v_dual_cndmask_b32 v34, v33, v26, s3 :: v_dual_cndmask_b32 v31, v26, v33, s3
	s_and_b32 s2, s2, s3
	v_cmp_nlt_f32_e64 s4, v34, v27
	s_and_b32 s2, s2, s4
	v_dual_cndmask_b32 v26, v27, v34, s4 :: v_dual_cndmask_b32 v27, v34, v27, s4
	s_and_b32 s2, s2, s23
	s_delay_alu instid0(SALU_CYCLE_1) | instskip(NEXT) | instid1(SALU_CYCLE_1)
	s_and_b32 s1, s2, s1
	s_and_b32 s1, exec_lo, s1
	s_delay_alu instid0(SALU_CYCLE_1) | instskip(NEXT) | instid1(SALU_CYCLE_1)
	s_or_b32 s22, s1, s22
	s_and_not1_b32 exec_lo, exec_lo, s22
	s_cbranch_execnz .LBB198_275
; %bb.276:                              ;   in Loop: Header=BB198_162 Depth=1
	s_or_b32 exec_lo, exec_lo, s22
	v_add_f32_e32 v24, -1.0, v24
	v_cmp_class_f32_e64 s2, v4, 0x204
	s_delay_alu instid0(VALU_DEP_2) | instskip(NEXT) | instid1(VALU_DEP_1)
	v_add_f32_e32 v24, v24, v25
	v_add_f32_e32 v2, v24, v2
	s_delay_alu instid0(VALU_DEP_1) | instskip(NEXT) | instid1(VALU_DEP_1)
	v_add_f32_e32 v2, v2, v22
	v_add_f32_e32 v2, v2, v28
	s_delay_alu instid0(VALU_DEP_1) | instskip(NEXT) | instid1(VALU_DEP_1)
	;; [unrolled: 3-line block ×5, first 2 shown]
	v_add_f32_e32 v24, v27, v2
	v_add_f32_e32 v27, 1.0, v24
	s_delay_alu instid0(VALU_DEP_1) | instskip(SKIP_2) | instid1(VALU_DEP_2)
	v_cvt_f64_f32_e32 v[28:29], v27
	v_frexp_mant_f32_e32 v15, v27
	v_add_f32_e32 v25, -1.0, v27
	v_cmp_gt_f32_e32 vcc_lo, 0x3f2aaaab, v15
	s_delay_alu instid0(VALU_DEP_2) | instskip(SKIP_1) | instid1(VALU_DEP_1)
	v_mov_b32_e32 v26, v25
	v_frexp_exp_i32_f64_e32 v2, v[28:29]
	v_subrev_co_ci_u32_e64 v2, null, 0, v2, vcc_lo
	s_delay_alu instid0(VALU_DEP_1) | instskip(NEXT) | instid1(VALU_DEP_4)
	v_sub_nc_u32_e32 v15, 0, v2
	v_pk_add_f32 v[28:29], v[24:25], v[26:27] neg_lo:[0,1] neg_hi:[0,1]
	v_cmp_neq_f32_e32 vcc_lo, 0x7f800000, v24
	v_cmp_neq_f32_e64 s1, -1.0, v24
	s_delay_alu instid0(VALU_DEP_4) | instskip(NEXT) | instid1(VALU_DEP_1)
	v_ldexp_f32 v20, v27, v15
	v_dual_add_f32 v22, 1.0, v29 :: v_dual_add_f32 v25, 1.0, v20
	s_delay_alu instid0(VALU_DEP_1) | instskip(SKIP_1) | instid1(VALU_DEP_2)
	v_dual_add_f32 v22, v28, v22 :: v_dual_add_f32 v26, -1.0, v25
	v_add_f32_e32 v31, -1.0, v20
	v_ldexp_f32 v15, v22, v15
	s_delay_alu instid0(VALU_DEP_2) | instskip(NEXT) | instid1(VALU_DEP_1)
	v_dual_sub_f32 v22, v20, v26 :: v_dual_add_f32 v26, 1.0, v31
	v_add_f32_e32 v22, v15, v22
	s_delay_alu instid0(VALU_DEP_2) | instskip(NEXT) | instid1(VALU_DEP_1)
	v_sub_f32_e32 v20, v20, v26
	v_dual_add_f32 v34, v25, v22 :: v_dual_add_f32 v15, v15, v20
	s_delay_alu instid0(VALU_DEP_1) | instskip(NEXT) | instid1(VALU_DEP_1)
	v_rcp_f32_e32 v20, v34
	v_dual_add_f32 v27, v31, v15 :: v_dual_sub_f32 v25, v34, v25
	s_delay_alu instid0(TRANS32_DEP_1) | instid1(VALU_DEP_1)
	v_dual_mul_f32 v35, v27, v20 :: v_dual_sub_f32 v22, v22, v25
	v_sub_f32_e32 v25, v27, v31
	s_delay_alu instid0(VALU_DEP_1) | instskip(NEXT) | instid1(VALU_DEP_1)
	v_dual_mul_f32 v28, v34, v35 :: v_dual_sub_f32 v15, v15, v25
	v_fma_f32 v32, v35, v34, -v28
	s_delay_alu instid0(VALU_DEP_1) | instskip(NEXT) | instid1(VALU_DEP_1)
	v_fmac_f32_e32 v32, v35, v22
	v_add_f32_e32 v26, v28, v32
	s_delay_alu instid0(VALU_DEP_1) | instskip(NEXT) | instid1(VALU_DEP_1)
	v_dual_sub_f32 v29, v27, v26 :: v_dual_mov_b32 v33, v26
	v_pk_add_f32 v[26:27], v[26:27], v[28:29] neg_lo:[0,1] neg_hi:[0,1]
	s_delay_alu instid0(VALU_DEP_1) | instskip(NEXT) | instid1(VALU_DEP_1)
	v_pk_add_f32 v[26:27], v[26:27], v[32:33] neg_lo:[0,1] neg_hi:[0,1]
	v_add_f32_e32 v15, v15, v27
	s_delay_alu instid0(VALU_DEP_1) | instskip(NEXT) | instid1(VALU_DEP_1)
	v_add_f32_e32 v15, v26, v15
	v_add_f32_e32 v27, v29, v15
	s_delay_alu instid0(VALU_DEP_1) | instskip(NEXT) | instid1(VALU_DEP_1)
	v_mul_f32_e32 v25, v20, v27
	v_mul_f32_e32 v32, v34, v25
	s_delay_alu instid0(VALU_DEP_1) | instskip(NEXT) | instid1(VALU_DEP_1)
	v_fma_f32 v28, v25, v34, -v32
	v_fmac_f32_e32 v28, v25, v22
	s_delay_alu instid0(VALU_DEP_1) | instskip(NEXT) | instid1(VALU_DEP_1)
	v_dual_add_f32 v26, v32, v28 :: v_dual_sub_f32 v22, v29, v27
	v_dual_sub_f32 v33, v27, v26 :: v_dual_mov_b32 v29, v26
	s_delay_alu instid0(VALU_DEP_2) | instskip(NEXT) | instid1(VALU_DEP_2)
	v_add_f32_e32 v15, v15, v22
	v_pk_add_f32 v[26:27], v[26:27], v[32:33] neg_lo:[0,1] neg_hi:[0,1]
	s_delay_alu instid0(VALU_DEP_1) | instskip(NEXT) | instid1(VALU_DEP_1)
	v_pk_add_f32 v[26:27], v[26:27], v[28:29] neg_lo:[0,1] neg_hi:[0,1]
	v_add_f32_e32 v15, v15, v27
	s_delay_alu instid0(VALU_DEP_1) | instskip(NEXT) | instid1(VALU_DEP_1)
	v_dual_add_f32 v22, v35, v25 :: v_dual_add_f32 v15, v26, v15
	v_sub_f32_e32 v26, v22, v35
	s_delay_alu instid0(VALU_DEP_2) | instskip(NEXT) | instid1(VALU_DEP_2)
	v_add_f32_e32 v15, v33, v15
	v_sub_f32_e32 v25, v25, v26
	v_cvt_f32_i32_e32 v26, v2
	s_delay_alu instid0(VALU_DEP_3) | instskip(NEXT) | instid1(VALU_DEP_1)
	v_mul_f32_e32 v15, v20, v15
	v_add_f32_e32 v20, v25, v15
	s_delay_alu instid0(VALU_DEP_1) | instskip(NEXT) | instid1(VALU_DEP_1)
	v_add_f32_e32 v25, v22, v20
	v_mul_f32_e32 v15, v25, v25
	v_ldexp_f32 v33, v25, 1
	v_sub_f32_e32 v2, v25, v22
	s_delay_alu instid0(VALU_DEP_3) | instskip(NEXT) | instid1(VALU_DEP_1)
	v_dual_fmaak_f32 v28, s11, v15, 0x3ecc95a3 :: v_dual_mul_f32 v27, v25, v15
	v_fmaak_f32 v15, v15, v28, 0x3f2aaada
	s_delay_alu instid0(VALU_DEP_1) | instskip(NEXT) | instid1(VALU_DEP_1)
	v_pk_mul_f32 v[28:29], v[26:27], v[14:15]
	v_fma_f32 v32, 0x3f317218, v26, -v28
	v_mov_b32_e32 v34, v28
	s_delay_alu instid0(VALU_DEP_2) | instskip(NEXT) | instid1(VALU_DEP_1)
	v_fmac_f32_e32 v32, 0xb102e308, v26
	v_pk_add_f32 v[26:27], v[28:29], v[32:33]
	s_delay_alu instid0(VALU_DEP_1) | instskip(NEXT) | instid1(VALU_DEP_1)
	v_dual_sub_f32 v2, v20, v2 :: v_dual_sub_f32 v15, v27, v33
	v_ldexp_f32 v2, v2, 1
	s_delay_alu instid0(VALU_DEP_2) | instskip(NEXT) | instid1(VALU_DEP_4)
	v_sub_f32_e32 v15, v29, v15
	v_pk_add_f32 v[28:29], v[26:27], v[28:29] neg_lo:[0,1] neg_hi:[0,1]
	s_delay_alu instid0(VALU_DEP_2) | instskip(SKIP_3) | instid1(VALU_DEP_4)
	v_add_f32_e32 v35, v2, v15
	v_max_num_f32_e64 v2, |v5|, |v5|
	v_max_num_f32_e64 v15, |v4|, |v4|
	v_mov_b32_e32 v33, v26
	v_pk_add_f32 v[36:37], v[26:27], v[34:35]
	s_delay_alu instid0(VALU_DEP_3) | instskip(NEXT) | instid1(VALU_DEP_2)
	v_dual_max_num_f32 v20, v15, v2 :: v_dual_min_num_f32 v15, v15, v2
	v_mov_b32_e32 v29, v37
	s_delay_alu instid0(VALU_DEP_2) | instskip(SKIP_1) | instid1(VALU_DEP_3)
	v_frexp_exp_i32_f32_e32 v22, v20
	v_frexp_mant_f32_e32 v20, v20
	v_pk_add_f32 v[38:39], v[32:33], v[28:29]
	v_mov_b32_e32 v38, v37
	v_frexp_exp_i32_f32_e32 v25, v15
	s_delay_alu instid0(VALU_DEP_4) | instskip(SKIP_4) | instid1(VALU_DEP_3)
	v_rcp_f32_e32 v20, v20
	v_frexp_mant_f32_e32 v31, v15
	v_mov_b32_e32 v2, v39
	v_pk_add_f32 v[28:29], v[32:33], v[28:29] neg_lo:[0,1] neg_hi:[0,1]
	v_dual_mov_b32 v29, v39 :: v_dual_sub_nc_u32 v22, v25, v22
	v_pk_add_f32 v[40:41], v[2:3], v[26:27] neg_lo:[0,1] neg_hi:[0,1]
	v_dual_mov_b32 v42, v27 :: v_dual_mov_b32 v27, v26
	v_mov_b32_e32 v26, v35
	s_delay_alu instid0(VALU_DEP_3) | instskip(SKIP_1) | instid1(VALU_DEP_2)
	v_dual_mul_f32 v20, v31, v20 :: v_dual_mov_b32 v15, v40
	v_mov_b32_e32 v43, v40
	v_pk_add_f32 v[34:35], v[36:37], v[14:15] neg_lo:[0,1] neg_hi:[0,1]
	s_delay_alu instid0(VALU_DEP_2) | instskip(NEXT) | instid1(VALU_DEP_4)
	v_pk_add_f32 v[32:33], v[38:39], v[42:43] neg_lo:[0,1] neg_hi:[0,1]
	v_ldexp_f32 v15, v20, v22
	v_mov_b32_e32 v34, v28
	s_delay_alu instid0(VALU_DEP_3) | instskip(NEXT) | instid1(VALU_DEP_3)
	v_pk_add_f32 v[26:27], v[26:27], v[32:33] neg_lo:[0,1] neg_hi:[0,1]
	v_mul_f32_e32 v22, v15, v15
	s_delay_alu instid0(VALU_DEP_2) | instskip(NEXT) | instid1(VALU_DEP_1)
	v_pk_add_f32 v[32:33], v[34:35], v[26:27]
	v_dual_fmaak_f32 v25, s12, v22, 0xbc7a590c :: v_dual_mov_b32 v20, v33
	s_delay_alu instid0(VALU_DEP_1) | instskip(NEXT) | instid1(VALU_DEP_2)
	v_pk_add_f32 v[34:35], v[32:33], v[20:21]
	v_fmaak_f32 v20, v22, v25, 0x3d29fb3f
	s_delay_alu instid0(VALU_DEP_2) | instskip(NEXT) | instid1(VALU_DEP_1)
	v_pk_add_f32 v[36:37], v[2:3], v[34:35]
	v_dual_fmaak_f32 v2, v22, v20, 0xbd97d4d7 :: v_dual_mov_b32 v33, v36
	s_delay_alu instid0(VALU_DEP_1) | instskip(NEXT) | instid1(VALU_DEP_2)
	v_fmaak_f32 v2, v22, v2, 0x3dd931b2
	v_pk_add_f32 v[38:39], v[32:33], v[28:29] neg_lo:[0,1] neg_hi:[0,1]
	s_delay_alu instid0(VALU_DEP_2) | instskip(NEXT) | instid1(VALU_DEP_2)
	v_fmaak_f32 v2, v22, v2, 0xbe1160e6
	v_dual_mov_b32 v27, v34 :: v_dual_sub_f32 v20, v32, v38
	s_delay_alu instid0(VALU_DEP_2) | instskip(NEXT) | instid1(VALU_DEP_2)
	v_fmaak_f32 v2, v22, v2, 0x3e4cb8bf
	v_pk_add_f32 v[26:27], v[26:27], v[38:39] neg_lo:[0,1] neg_hi:[0,1]
	s_delay_alu instid0(VALU_DEP_2) | instskip(NEXT) | instid1(VALU_DEP_1)
	v_fmaak_f32 v2, v22, v2, 0xbeaaaa62
	v_dual_sub_f32 v20, v28, v20 :: v_dual_mul_f32 v2, v22, v2
	s_delay_alu instid0(VALU_DEP_1) | instskip(NEXT) | instid1(VALU_DEP_1)
	v_dual_add_f32 v20, v26, v20 :: v_dual_fmac_f32 v15, v15, v2
	v_add_f32_e32 v20, v20, v27
	s_delay_alu instid0(VALU_DEP_1) | instskip(NEXT) | instid1(VALU_DEP_3)
	v_add_f32_e32 v2, v36, v20
	v_sub_f32_e32 v20, 0x3fc90fdb, v15
	s_delay_alu instid0(VALU_DEP_1) | instskip(NEXT) | instid1(VALU_DEP_3)
	v_cndmask_b32_e64 v15, v15, v20, s0
	v_cndmask_b32_e32 v2, 0x7f800000, v2, vcc_lo
	v_cmp_gt_i32_e32 vcc_lo, 0, v4
	s_delay_alu instid0(VALU_DEP_3) | instskip(SKIP_4) | instid1(VALU_DEP_2)
	v_sub_f32_e32 v22, 0x40490fdb, v15
	v_cndmask_b32_e64 v20, 0, 0x40490fdb, vcc_lo
	v_cmp_ngt_f32_e32 vcc_lo, -1.0, v24
	v_cndmask_b32_e32 v2, 0x7fc00000, v2, vcc_lo
	v_cmp_gt_f32_e32 vcc_lo, 0, v4
	v_cndmask_b32_e64 v2, 0xff800000, v2, s1
	v_cndmask_b32_e32 v15, v15, v22, vcc_lo
	v_cndmask_b32_e32 v22, 0x3f490fdb, v30, vcc_lo
	v_cmp_gt_f32_e64 vcc_lo, 0x33800000, |v24|
	v_cmp_class_f32_e64 s1, v5, 0x204
	v_cndmask_b32_e32 v2, v2, v24, vcc_lo
	v_cmp_eq_f32_e32 vcc_lo, 0, v5
	s_delay_alu instid0(VALU_DEP_2) | instskip(SKIP_1) | instid1(VALU_DEP_1)
	v_dual_mul_f32 v25, 0.5, v2 :: v_dual_cndmask_b32 v15, v15, v20, vcc_lo
	s_and_b32 vcc_lo, s2, s1
	v_cndmask_b32_e32 v2, v15, v22, vcc_lo
.LBB198_277:                            ;   in Loop: Header=BB198_162 Depth=1
	s_or_b32 exec_lo, exec_lo, s21
.LBB198_278:                            ;   in Loop: Header=BB198_162 Depth=1
	s_delay_alu instid0(SALU_CYCLE_1)
	s_or_b32 exec_lo, exec_lo, s20
.LBB198_279:                            ;   in Loop: Header=BB198_162 Depth=1
	s_and_not1_saveexec_b32 s2, s19
	s_cbranch_execz .LBB198_281
; %bb.280:                              ;   in Loop: Header=BB198_162 Depth=1
	v_max_num_f32_e64 v2, |v5|, |v5|
	v_max_num_f32_e64 v15, |v4|, |v4|
	v_cmp_gt_i32_e64 s1, 0, v4
	v_cmp_class_f32_e64 s3, v4, 0x204
	v_cmp_class_f32_e64 s4, v5, 0x204
	s_delay_alu instid0(VALU_DEP_4) | instskip(NEXT) | instid1(VALU_DEP_1)
	v_dual_max_num_f32 v20, v15, v2 :: v_dual_min_num_f32 v2, v15, v2
	v_cvt_f64_f32_e32 v[24:25], v20
	v_frexp_exp_i32_f32_e32 v15, v20
	v_cmp_neq_f32_e32 vcc_lo, 0x7f800000, v20
	s_delay_alu instid0(VALU_DEP_3) | instskip(SKIP_3) | instid1(VALU_DEP_3)
	v_frexp_exp_i32_f64_e32 v22, v[24:25]
	v_frexp_mant_f32_e32 v24, v20
	v_frexp_exp_i32_f32_e32 v25, v2
	v_frexp_mant_f32_e32 v2, v2
	v_rcp_f32_e32 v24, v24
	v_nop
	s_delay_alu instid0(TRANS32_DEP_1) | instskip(NEXT) | instid1(VALU_DEP_1)
	v_dual_mul_f32 v2, v2, v24 :: v_dual_sub_nc_u32 v15, v25, v15
	v_ldexp_f32 v2, v2, v15
	s_delay_alu instid0(VALU_DEP_1) | instskip(NEXT) | instid1(VALU_DEP_1)
	v_mul_f32_e32 v24, v2, v2
	v_dual_fmaak_f32 v26, s12, v24, 0xbc7a590c :: v_dual_sub_nc_u32 v15, 0, v22
	s_delay_alu instid0(VALU_DEP_1) | instskip(SKIP_1) | instid1(VALU_DEP_2)
	v_ldexp_f32 v25, |v5|, v15
	v_ldexp_f32 v15, |v4|, v15
	v_dual_mul_f32 v25, v25, v25 :: v_dual_fmaak_f32 v26, v24, v26, 0x3d29fb3f
	s_delay_alu instid0(VALU_DEP_1) | instskip(NEXT) | instid1(VALU_DEP_2)
	v_fmac_f32_e32 v25, v15, v15
	v_fmaak_f32 v15, v24, v26, 0xbd97d4d7
	s_delay_alu instid0(VALU_DEP_2) | instskip(NEXT) | instid1(VALU_DEP_1)
	v_sqrt_f32_e32 v25, v25
	v_fmaak_f32 v15, v24, v15, 0x3dd931b2
	s_delay_alu instid0(VALU_DEP_1) | instskip(NEXT) | instid1(TRANS32_DEP_1)
	v_fmaak_f32 v15, v24, v15, 0xbe1160e6
	v_ldexp_f32 v22, v25, v22
	s_delay_alu instid0(VALU_DEP_2) | instskip(NEXT) | instid1(VALU_DEP_1)
	v_fmaak_f32 v15, v24, v15, 0x3e4cb8bf
	v_fmaak_f32 v15, v24, v15, 0xbeaaaa62
	s_delay_alu instid0(VALU_DEP_1) | instskip(NEXT) | instid1(VALU_DEP_1)
	v_dual_cndmask_b32 v20, 0x7f800000, v22 :: v_dual_mul_f32 v15, v24, v15
	v_cmp_gt_f32_e32 vcc_lo, 0x800000, v20
	v_cndmask_b32_e64 v22, 0, 32, vcc_lo
	v_cndmask_b32_e64 v25, 0, 0x41b17218, vcc_lo
	s_delay_alu instid0(VALU_DEP_2) | instskip(NEXT) | instid1(VALU_DEP_1)
	v_ldexp_f32 v20, v20, v22
	v_log_f32_e32 v20, v20
	v_nop
	s_delay_alu instid0(TRANS32_DEP_1) | instskip(SKIP_1) | instid1(VALU_DEP_2)
	v_dual_fmac_f32 v2, v2, v15 :: v_dual_mul_f32 v15, 0x3f317217, v20
	v_cmp_gt_f32_e64 vcc_lo, 0x7f800000, |v20|
	v_fma_f32 v15, 0x3f317217, v20, -v15
	s_delay_alu instid0(VALU_DEP_1) | instskip(NEXT) | instid1(VALU_DEP_1)
	v_fmac_f32_e32 v15, 0x3377d1cf, v20
	v_fmac_f32_e32 v15, 0x3f317217, v20
	s_delay_alu instid0(VALU_DEP_1) | instskip(NEXT) | instid1(VALU_DEP_1)
	v_dual_sub_f32 v22, 0x3fc90fdb, v2 :: v_dual_cndmask_b32 v15, v20, v15
	v_cndmask_b32_e64 v2, v2, v22, s0
	v_cndmask_b32_e64 v22, 0, 0x40490fdb, s1
	v_cmp_gt_f32_e64 s1, 0, v4
	v_cmp_eq_f32_e32 vcc_lo, 0, v5
	s_delay_alu instid0(VALU_DEP_4) | instskip(NEXT) | instid1(VALU_DEP_1)
	v_dual_sub_f32 v25, v15, v25 :: v_dual_sub_f32 v24, 0x40490fdb, v2
	v_cndmask_b32_e64 v2, v2, v24, s1
	v_cndmask_b32_e64 v24, 0x3f490fdb, v30, s1
	s_delay_alu instid0(VALU_DEP_2) | instskip(SKIP_1) | instid1(VALU_DEP_1)
	v_cndmask_b32_e32 v2, v2, v22, vcc_lo
	s_and_b32 vcc_lo, s3, s4
	v_cndmask_b32_e32 v2, v2, v24, vcc_lo
.LBB198_281:                            ;   in Loop: Header=BB198_162 Depth=1
	s_or_b32 exec_lo, exec_lo, s2
                                        ; implicit-def: $vgpr26
.LBB198_282:                            ;   in Loop: Header=BB198_162 Depth=1
	s_and_not1_saveexec_b32 s2, s18
	s_cbranch_execz .LBB198_288
; %bb.283:                              ;   in Loop: Header=BB198_162 Depth=1
                                        ; implicit-def: $vgpr25
                                        ; implicit-def: $vgpr2
	s_mov_b32 s1, exec_lo
	v_cmpx_ngt_f32_e32 0x1fec1e4a, v26
	s_xor_b32 s3, exec_lo, s1
	s_cbranch_execz .LBB198_285
; %bb.284:                              ;   in Loop: Header=BB198_162 Depth=1
	v_pk_mul_f32 v[24:25], v[26:27], v[26:27]
	v_cmp_class_f32_e64 s4, v4, 0x204
	s_delay_alu instid0(VALU_DEP_2) | instskip(SKIP_1) | instid1(VALU_DEP_2)
	v_add_f32_e32 v27, 1.0, v24
	v_cmp_neq_f32_e64 s1, 0x7f800000, v24
	v_add_f32_e32 v25, -1.0, v27
	s_delay_alu instid0(VALU_DEP_1) | instskip(SKIP_2) | instid1(VALU_DEP_1)
	v_mov_b32_e32 v26, v25
	v_cvt_f64_f32_e32 v[28:29], v27
	v_frexp_mant_f32_e32 v15, v27
	v_cmp_gt_f32_e32 vcc_lo, 0x3f2aaaab, v15
	s_delay_alu instid0(VALU_DEP_3) | instskip(NEXT) | instid1(VALU_DEP_1)
	v_frexp_exp_i32_f64_e32 v2, v[28:29]
	v_subrev_co_ci_u32_e64 v2, null, 0, v2, vcc_lo
	v_cmp_gt_i32_e32 vcc_lo, 0, v4
	s_delay_alu instid0(VALU_DEP_2) | instskip(SKIP_1) | instid1(VALU_DEP_2)
	v_sub_nc_u32_e32 v15, 0, v2
	v_pk_add_f32 v[28:29], v[24:25], v[26:27] neg_lo:[0,1] neg_hi:[0,1]
	v_ldexp_f32 v20, v27, v15
	s_delay_alu instid0(VALU_DEP_1) | instskip(NEXT) | instid1(VALU_DEP_1)
	v_dual_add_f32 v22, 1.0, v29 :: v_dual_add_f32 v25, 1.0, v20
	v_dual_add_f32 v22, v28, v22 :: v_dual_add_f32 v26, -1.0, v25
	v_add_f32_e32 v31, -1.0, v20
	s_delay_alu instid0(VALU_DEP_2) | instskip(NEXT) | instid1(VALU_DEP_2)
	v_ldexp_f32 v15, v22, v15
	v_dual_sub_f32 v22, v20, v26 :: v_dual_add_f32 v26, 1.0, v31
	s_delay_alu instid0(VALU_DEP_1) | instskip(NEXT) | instid1(VALU_DEP_2)
	v_add_f32_e32 v22, v15, v22
	v_sub_f32_e32 v20, v20, v26
	s_delay_alu instid0(VALU_DEP_1) | instskip(NEXT) | instid1(VALU_DEP_1)
	v_dual_add_f32 v34, v25, v22 :: v_dual_add_f32 v15, v15, v20
	v_rcp_f32_e32 v20, v34
	s_delay_alu instid0(VALU_DEP_1)
	v_dual_add_f32 v27, v31, v15 :: v_dual_sub_f32 v25, v25, v34
	s_delay_alu instid0(TRANS32_DEP_1) | instid1(VALU_DEP_1)
	v_dual_mul_f32 v35, v27, v20 :: v_dual_add_f32 v22, v22, v25
	v_sub_f32_e32 v25, v31, v27
	s_delay_alu instid0(VALU_DEP_1) | instskip(NEXT) | instid1(VALU_DEP_1)
	v_dual_mul_f32 v28, v34, v35 :: v_dual_add_f32 v15, v15, v25
	v_fma_f32 v32, v35, v34, -v28
	s_delay_alu instid0(VALU_DEP_1) | instskip(NEXT) | instid1(VALU_DEP_1)
	v_fmac_f32_e32 v32, v35, v22
	v_add_f32_e32 v26, v28, v32
	s_delay_alu instid0(VALU_DEP_1) | instskip(NEXT) | instid1(VALU_DEP_1)
	v_dual_sub_f32 v29, v27, v26 :: v_dual_mov_b32 v33, v26
	v_pk_add_f32 v[26:27], v[26:27], v[28:29] neg_lo:[0,1] neg_hi:[0,1]
	s_delay_alu instid0(VALU_DEP_1) | instskip(NEXT) | instid1(VALU_DEP_1)
	v_pk_add_f32 v[26:27], v[26:27], v[32:33] neg_lo:[0,1] neg_hi:[0,1]
	v_add_f32_e32 v15, v15, v27
	s_delay_alu instid0(VALU_DEP_1) | instskip(NEXT) | instid1(VALU_DEP_1)
	v_add_f32_e32 v15, v26, v15
	v_add_f32_e32 v27, v29, v15
	s_delay_alu instid0(VALU_DEP_1) | instskip(NEXT) | instid1(VALU_DEP_1)
	v_mul_f32_e32 v25, v20, v27
	v_mul_f32_e32 v32, v34, v25
	s_delay_alu instid0(VALU_DEP_1) | instskip(NEXT) | instid1(VALU_DEP_1)
	v_fma_f32 v28, v25, v34, -v32
	v_fmac_f32_e32 v28, v25, v22
	s_delay_alu instid0(VALU_DEP_1) | instskip(NEXT) | instid1(VALU_DEP_1)
	v_dual_add_f32 v26, v32, v28 :: v_dual_sub_f32 v22, v29, v27
	v_dual_sub_f32 v33, v27, v26 :: v_dual_mov_b32 v29, v26
	s_delay_alu instid0(VALU_DEP_2) | instskip(NEXT) | instid1(VALU_DEP_2)
	v_add_f32_e32 v15, v15, v22
	v_pk_add_f32 v[26:27], v[26:27], v[32:33] neg_lo:[0,1] neg_hi:[0,1]
	s_delay_alu instid0(VALU_DEP_1) | instskip(NEXT) | instid1(VALU_DEP_1)
	v_pk_add_f32 v[26:27], v[26:27], v[28:29] neg_lo:[0,1] neg_hi:[0,1]
	v_add_f32_e32 v15, v15, v27
	s_delay_alu instid0(VALU_DEP_1) | instskip(NEXT) | instid1(VALU_DEP_1)
	v_dual_add_f32 v22, v35, v25 :: v_dual_add_f32 v15, v26, v15
	v_sub_f32_e32 v26, v22, v35
	s_delay_alu instid0(VALU_DEP_2) | instskip(NEXT) | instid1(VALU_DEP_2)
	v_add_f32_e32 v15, v33, v15
	v_sub_f32_e32 v25, v25, v26
	v_cvt_f32_i32_e32 v26, v2
	s_delay_alu instid0(VALU_DEP_3) | instskip(NEXT) | instid1(VALU_DEP_1)
	v_mul_f32_e32 v15, v20, v15
	v_add_f32_e32 v20, v25, v15
	s_delay_alu instid0(VALU_DEP_1) | instskip(NEXT) | instid1(VALU_DEP_1)
	v_add_f32_e32 v25, v22, v20
	v_mul_f32_e32 v15, v25, v25
	v_ldexp_f32 v33, v25, 1
	v_sub_f32_e32 v2, v25, v22
	v_max_num_f32_e64 v22, |v4|, |v4|
	s_delay_alu instid0(VALU_DEP_4) | instskip(NEXT) | instid1(VALU_DEP_1)
	v_dual_fmaak_f32 v28, s11, v15, 0x3ecc95a3 :: v_dual_mul_f32 v27, v25, v15
	v_fmaak_f32 v15, v15, v28, 0x3f2aaada
	s_delay_alu instid0(VALU_DEP_1) | instskip(NEXT) | instid1(VALU_DEP_1)
	v_pk_mul_f32 v[28:29], v[26:27], v[14:15]
	v_fma_f32 v32, 0x3f317218, v26, -v28
	v_mov_b32_e32 v34, v28
	s_delay_alu instid0(VALU_DEP_2) | instskip(NEXT) | instid1(VALU_DEP_1)
	v_fmac_f32_e32 v32, 0xb102e308, v26
	v_pk_add_f32 v[26:27], v[28:29], v[32:33]
	v_sub_f32_e32 v2, v20, v2
	v_max_num_f32_e64 v20, |v5|, |v5|
	s_delay_alu instid0(VALU_DEP_3) | instskip(NEXT) | instid1(VALU_DEP_3)
	v_sub_f32_e32 v15, v27, v33
	v_ldexp_f32 v2, v2, 1
	s_delay_alu instid0(VALU_DEP_2) | instskip(SKIP_1) | instid1(VALU_DEP_2)
	v_dual_mov_b32 v33, v26 :: v_dual_sub_f32 v15, v29, v15
	v_pk_add_f32 v[28:29], v[26:27], v[28:29] neg_lo:[0,1] neg_hi:[0,1]
	v_add_f32_e32 v35, v2, v15
	v_dual_max_num_f32 v2, v22, v20 :: v_dual_min_num_f32 v20, v22, v20
	s_delay_alu instid0(VALU_DEP_2) | instskip(NEXT) | instid1(VALU_DEP_2)
	v_pk_add_f32 v[36:37], v[26:27], v[34:35]
	v_frexp_mant_f32_e32 v15, v2
	v_frexp_exp_i32_f32_e32 v22, v2
	s_delay_alu instid0(VALU_DEP_4) | instskip(SKIP_3) | instid1(VALU_DEP_3)
	v_frexp_exp_i32_f32_e32 v25, v20
	v_frexp_mant_f32_e32 v20, v20
	v_mov_b32_e32 v29, v37
	v_rcp_f32_e32 v15, v15
	v_dual_mov_b32 v42, v27 :: v_dual_sub_nc_u32 v22, v25, v22
	s_delay_alu instid0(VALU_DEP_2) | instskip(NEXT) | instid1(TRANS32_DEP_1)
	v_pk_add_f32 v[38:39], v[32:33], v[28:29]
	v_dual_mov_b32 v38, v37 :: v_dual_mul_f32 v15, v20, v15
	s_delay_alu instid0(VALU_DEP_2) | instskip(SKIP_2) | instid1(VALU_DEP_4)
	v_mov_b32_e32 v2, v39
	v_pk_add_f32 v[28:29], v[32:33], v[28:29] neg_lo:[0,1] neg_hi:[0,1]
	v_mov_b32_e32 v29, v39
	v_ldexp_f32 v22, v15, v22
	s_delay_alu instid0(VALU_DEP_4) | instskip(SKIP_1) | instid1(VALU_DEP_2)
	v_pk_add_f32 v[40:41], v[2:3], v[26:27] neg_lo:[0,1] neg_hi:[0,1]
	v_dual_mov_b32 v27, v26 :: v_dual_mov_b32 v26, v35
	v_dual_mul_f32 v25, v22, v22 :: v_dual_mov_b32 v43, v40
	v_mov_b32_e32 v15, v40
	s_delay_alu instid0(VALU_DEP_2) | instskip(NEXT) | instid1(VALU_DEP_2)
	v_pk_add_f32 v[32:33], v[38:39], v[42:43] neg_lo:[0,1] neg_hi:[0,1]
	v_pk_add_f32 v[34:35], v[36:37], v[14:15] neg_lo:[0,1] neg_hi:[0,1]
	v_mov_b32_e32 v34, v28
	s_delay_alu instid0(VALU_DEP_3) | instskip(NEXT) | instid1(VALU_DEP_1)
	v_pk_add_f32 v[26:27], v[26:27], v[32:33] neg_lo:[0,1] neg_hi:[0,1]
	v_pk_add_f32 v[32:33], v[34:35], v[26:27]
	s_delay_alu instid0(VALU_DEP_1) | instskip(NEXT) | instid1(VALU_DEP_1)
	v_dual_fmaak_f32 v15, s12, v25, 0xbc7a590c :: v_dual_mov_b32 v20, v33
	v_fmaak_f32 v15, v25, v15, 0x3d29fb3f
	s_delay_alu instid0(VALU_DEP_2) | instskip(NEXT) | instid1(VALU_DEP_2)
	v_pk_add_f32 v[34:35], v[32:33], v[20:21]
	v_fmaak_f32 v15, v25, v15, 0xbd97d4d7
	v_cndmask_b32_e64 v20, 0, 0x40490fdb, vcc_lo
	v_cmp_gt_f32_e32 vcc_lo, 0, v4
	s_delay_alu instid0(VALU_DEP_4) | instskip(NEXT) | instid1(VALU_DEP_4)
	v_pk_add_f32 v[36:37], v[2:3], v[34:35]
	v_fmaak_f32 v15, v25, v15, 0x3dd931b2
	s_delay_alu instid0(VALU_DEP_1) | instskip(NEXT) | instid1(VALU_DEP_1)
	v_dual_mov_b32 v27, v34 :: v_dual_fmaak_f32 v2, v25, v15, 0xbe1160e6
	v_dual_mov_b32 v33, v36 :: v_dual_fmaak_f32 v2, v25, v2, 0x3e4cb8bf
	s_delay_alu instid0(VALU_DEP_1) | instskip(NEXT) | instid1(VALU_DEP_2)
	v_pk_add_f32 v[38:39], v[32:33], v[28:29] neg_lo:[0,1] neg_hi:[0,1]
	v_fmaak_f32 v2, v25, v2, 0xbeaaaa62
	s_delay_alu instid0(VALU_DEP_2) | instskip(SKIP_1) | instid1(VALU_DEP_1)
	v_pk_add_f32 v[26:27], v[26:27], v[38:39] neg_lo:[0,1] neg_hi:[0,1]
	v_sub_f32_e32 v15, v32, v38
	v_dual_mul_f32 v2, v25, v2 :: v_dual_sub_f32 v15, v28, v15
	s_delay_alu instid0(VALU_DEP_1) | instskip(NEXT) | instid1(VALU_DEP_2)
	v_fmac_f32_e32 v22, v22, v2
	v_add_f32_e32 v2, v26, v15
                                        ; implicit-def: $vgpr26
	s_delay_alu instid0(VALU_DEP_1) | instskip(NEXT) | instid1(VALU_DEP_1)
	v_dual_sub_f32 v15, 0x3fc90fdb, v22 :: v_dual_add_f32 v2, v2, v27
	v_dual_cndmask_b32 v15, v22, v15, s0 :: v_dual_add_f32 v2, v36, v2
	s_delay_alu instid0(VALU_DEP_1) | instskip(NEXT) | instid1(VALU_DEP_2)
	v_sub_f32_e32 v22, 0x40490fdb, v15
	v_cndmask_b32_e64 v2, 0x7f800000, v2, s1
	v_cmp_class_f32_e64 s1, v5, 0x204
	s_delay_alu instid0(VALU_DEP_3) | instskip(SKIP_4) | instid1(VALU_DEP_2)
	v_cndmask_b32_e32 v15, v15, v22, vcc_lo
	v_cndmask_b32_e32 v22, 0x3f490fdb, v30, vcc_lo
	v_cmp_gt_f32_e64 vcc_lo, 0x33800000, |v24|
	v_cndmask_b32_e32 v2, v2, v24, vcc_lo
	v_cmp_eq_f32_e32 vcc_lo, 0, v5
	v_dual_mul_f32 v25, 0.5, v2 :: v_dual_cndmask_b32 v15, v15, v20, vcc_lo
	s_and_b32 vcc_lo, s4, s1
	s_delay_alu instid0(VALU_DEP_1)
	v_cndmask_b32_e32 v2, v15, v22, vcc_lo
.LBB198_285:                            ;   in Loop: Header=BB198_162 Depth=1
	s_and_not1_saveexec_b32 s3, s3
	s_cbranch_execz .LBB198_287
; %bb.286:                              ;   in Loop: Header=BB198_162 Depth=1
	v_max_num_f32_e64 v2, |v5|, |v5|
	v_max_num_f32_e64 v15, |v4|, |v4|
	v_cmp_eq_f32_e64 s1, 0, v5
	v_cmp_gt_i32_e32 vcc_lo, 0, v4
	v_cmp_class_f32_e64 s4, v4, 0x204
	v_cmp_class_f32_e64 s5, v5, 0x204
	v_dual_max_num_f32 v20, v15, v2 :: v_dual_min_num_f32 v2, v15, v2
	s_delay_alu instid0(VALU_DEP_1) | instskip(SKIP_1) | instid1(VALU_DEP_2)
	v_frexp_mant_f32_e32 v22, v20
	v_frexp_exp_i32_f32_e32 v15, v20
	v_rcp_f32_e32 v20, v22
	v_nop
	v_frexp_exp_i32_f32_e32 v22, v2
	v_frexp_mant_f32_e32 v2, v2
	s_delay_alu instid0(VALU_DEP_2)
	v_sub_nc_u32_e32 v15, v22, v15
	s_delay_alu instid0(TRANS32_DEP_1) | instid1(VALU_DEP_2)
	v_mul_f32_e32 v2, v2, v20
	s_delay_alu instid0(VALU_DEP_1) | instskip(NEXT) | instid1(VALU_DEP_1)
	v_ldexp_f32 v2, v2, v15
	v_mul_f32_e32 v15, v2, v2
	s_delay_alu instid0(VALU_DEP_1) | instskip(NEXT) | instid1(VALU_DEP_1)
	v_fmaak_f32 v20, s12, v15, 0xbc7a590c
	v_fmaak_f32 v20, v15, v20, 0x3d29fb3f
	s_delay_alu instid0(VALU_DEP_1) | instskip(NEXT) | instid1(VALU_DEP_1)
	v_fmaak_f32 v20, v15, v20, 0xbd97d4d7
	v_fmaak_f32 v20, v15, v20, 0x3dd931b2
	;; [unrolled: 3-line block ×3, first 2 shown]
	s_delay_alu instid0(VALU_DEP_1) | instskip(NEXT) | instid1(VALU_DEP_1)
	v_fmaak_f32 v20, v15, v20, 0xbeaaaa62
	v_mul_f32_e32 v15, v15, v20
	v_cndmask_b32_e64 v20, 0, 0x40490fdb, vcc_lo
	v_cmp_gt_f32_e32 vcc_lo, 0, v4
	s_delay_alu instid0(VALU_DEP_3) | instskip(NEXT) | instid1(VALU_DEP_1)
	v_fmac_f32_e32 v2, v2, v15
	v_sub_f32_e32 v15, 0x3fc90fdb, v2
	s_delay_alu instid0(VALU_DEP_1) | instskip(NEXT) | instid1(VALU_DEP_1)
	v_cndmask_b32_e64 v2, v2, v15, s0
	v_sub_f32_e32 v15, 0x40490fdb, v2
	s_delay_alu instid0(VALU_DEP_1) | instskip(NEXT) | instid1(VALU_DEP_1)
	v_dual_cndmask_b32 v2, v2, v15 :: v_dual_mul_f32 v15, 0.5, v26
	v_cndmask_b32_e64 v2, v2, v20, s1
	v_cndmask_b32_e32 v20, 0x3f490fdb, v30, vcc_lo
	s_and_b32 vcc_lo, s4, s5
	s_delay_alu instid0(VALU_DEP_3) | instskip(NEXT) | instid1(VALU_DEP_2)
	v_mul_f32_e32 v25, v26, v15
	v_cndmask_b32_e32 v2, v2, v20, vcc_lo
.LBB198_287:                            ;   in Loop: Header=BB198_162 Depth=1
	s_or_b32 exec_lo, exec_lo, s3
.LBB198_288:                            ;   in Loop: Header=BB198_162 Depth=1
	s_delay_alu instid0(SALU_CYCLE_1)
	s_or_b32 exec_lo, exec_lo, s2
.LBB198_289:                            ;   in Loop: Header=BB198_162 Depth=1
	s_and_not1_saveexec_b32 s2, s17
	s_cbranch_execz .LBB198_291
; %bb.290:                              ;   in Loop: Header=BB198_162 Depth=1
	v_div_scale_f32 v2, null, 0x402df854, 0x402df854, v4
	v_div_scale_f32 v15, null, 0x402df854, 0x402df854, v5
	v_div_scale_f32 v26, vcc_lo, v4, 0x402df854, v4
	s_delay_alu instid0(VALU_DEP_3) | instskip(NEXT) | instid1(VALU_DEP_2)
	v_rcp_f32_e32 v20, v2
	v_rcp_f32_e32 v22, v15
	v_cmp_class_f32_e64 s3, v5, 0x204
	s_delay_alu instid0(TRANS32_DEP_2) | instskip(NEXT) | instid1(TRANS32_DEP_1)
	v_fma_f32 v24, -v2, v20, 1.0
	v_fma_f32 v25, -v15, v22, 1.0
	s_delay_alu instid0(VALU_DEP_1) | instskip(SKIP_1) | instid1(VALU_DEP_1)
	v_dual_fmac_f32 v20, v24, v20 :: v_dual_fmac_f32 v22, v25, v22
	v_div_scale_f32 v24, s1, v5, 0x402df854, v5
	v_dual_mul_f32 v25, v26, v20 :: v_dual_mul_f32 v27, v24, v22
	s_delay_alu instid0(VALU_DEP_1) | instskip(NEXT) | instid1(VALU_DEP_1)
	v_dual_fma_f32 v28, -v2, v25, v26 :: v_dual_fma_f32 v29, -v15, v27, v24
	v_dual_fmac_f32 v25, v28, v20 :: v_dual_fmac_f32 v27, v29, v22
	s_delay_alu instid0(VALU_DEP_1) | instskip(NEXT) | instid1(VALU_DEP_1)
	v_dual_fma_f32 v2, -v2, v25, v26 :: v_dual_fma_f32 v15, -v15, v27, v24
	v_div_fmas_f32 v2, v2, v20, v25
	s_mov_b32 vcc_lo, s1
	v_cmp_class_f32_e64 s1, v4, 0x204
	s_delay_alu instid0(VALU_DEP_3) | instskip(NEXT) | instid1(VALU_DEP_3)
	v_div_fmas_f32 v15, v15, v22, v27
	v_div_fixup_f32 v2, v2, 0x402df854, v4
	s_delay_alu instid0(VALU_DEP_2) | instskip(NEXT) | instid1(VALU_DEP_1)
	v_div_fixup_f32 v15, v15, 0x402df854, v5
	v_max_num_f32_e64 v20, |v2|, |v15|
	s_delay_alu instid0(VALU_DEP_1) | instskip(SKIP_1) | instid1(VALU_DEP_2)
	v_cvt_f64_f32_e32 v[24:25], v20
	v_cmp_neq_f32_e32 vcc_lo, 0x7f800000, v20
	v_frexp_exp_i32_f64_e32 v22, v[24:25]
	v_max_num_f32_e64 v24, |v5|, |v5|
	v_max_num_f32_e64 v25, |v4|, |v4|
	s_delay_alu instid0(VALU_DEP_1) | instskip(NEXT) | instid1(VALU_DEP_1)
	v_dual_max_num_f32 v26, v25, v24 :: v_dual_min_num_f32 v24, v25, v24
	v_frexp_mant_f32_e32 v27, v26
	v_frexp_exp_i32_f32_e32 v25, v26
	s_delay_alu instid0(VALU_DEP_2)
	v_rcp_f32_e32 v26, v27
	v_nop
	v_frexp_exp_i32_f32_e32 v27, v24
	v_frexp_mant_f32_e32 v24, v24
	s_delay_alu instid0(TRANS32_DEP_1) | instid1(VALU_DEP_1)
	v_dual_mul_f32 v24, v24, v26 :: v_dual_sub_nc_u32 v25, v27, v25
	s_delay_alu instid0(VALU_DEP_1) | instskip(NEXT) | instid1(VALU_DEP_1)
	v_ldexp_f32 v24, v24, v25
	v_dual_mul_f32 v25, v24, v24 :: v_dual_sub_nc_u32 v26, 0, v22
	s_delay_alu instid0(VALU_DEP_1) | instskip(SKIP_1) | instid1(VALU_DEP_2)
	v_ldexp_f32 v15, |v15|, v26
	v_ldexp_f32 v2, |v2|, v26
	v_dual_fmaak_f32 v26, s12, v25, 0xbc7a590c :: v_dual_mul_f32 v15, v15, v15
	s_delay_alu instid0(VALU_DEP_1) | instskip(NEXT) | instid1(VALU_DEP_2)
	v_fmac_f32_e32 v15, v2, v2
	v_fmaak_f32 v2, v25, v26, 0x3d29fb3f
	s_delay_alu instid0(VALU_DEP_1) | instskip(NEXT) | instid1(VALU_DEP_3)
	v_fmaak_f32 v2, v25, v2, 0xbd97d4d7
	v_sqrt_f32_e32 v15, v15
	s_delay_alu instid0(VALU_DEP_1) | instskip(NEXT) | instid1(TRANS32_DEP_1)
	v_fmaak_f32 v2, v25, v2, 0x3dd931b2
	v_ldexp_f32 v15, v15, v22
	s_delay_alu instid0(VALU_DEP_2) | instskip(NEXT) | instid1(VALU_DEP_1)
	v_fmaak_f32 v2, v25, v2, 0xbe1160e6
	v_fmaak_f32 v2, v25, v2, 0x3e4cb8bf
	s_delay_alu instid0(VALU_DEP_1) | instskip(NEXT) | instid1(VALU_DEP_1)
	v_fmaak_f32 v2, v25, v2, 0xbeaaaa62
	v_dual_cndmask_b32 v15, 0x7f800000, v15 :: v_dual_mul_f32 v2, v25, v2
	s_delay_alu instid0(VALU_DEP_1) | instskip(SKIP_2) | instid1(VALU_DEP_2)
	v_cmp_gt_f32_e32 vcc_lo, 0x800000, v15
	v_cndmask_b32_e64 v20, 0, 32, vcc_lo
	v_cndmask_b32_e64 v25, 0, 0x41b17218, vcc_lo
	v_ldexp_f32 v15, v15, v20
	s_delay_alu instid0(VALU_DEP_1) | instskip(SKIP_1) | instid1(TRANS32_DEP_1)
	v_log_f32_e32 v15, v15
	v_nop
	v_mul_f32_e32 v20, 0x3f317217, v15
	v_cmp_gt_f32_e64 vcc_lo, 0x7f800000, |v15|
	v_fmac_f32_e32 v24, v24, v2
	s_delay_alu instid0(VALU_DEP_3) | instskip(NEXT) | instid1(VALU_DEP_1)
	v_fma_f32 v2, 0x3f317217, v15, -v20
	v_fmac_f32_e32 v2, 0x3377d1cf, v15
	s_delay_alu instid0(VALU_DEP_1) | instskip(NEXT) | instid1(VALU_DEP_1)
	v_fmac_f32_e32 v2, 0x3f317217, v15
	v_cndmask_b32_e32 v2, v15, v2, vcc_lo
	v_cmp_eq_f32_e32 vcc_lo, 0, v5
	s_delay_alu instid0(VALU_DEP_2) | instskip(NEXT) | instid1(VALU_DEP_1)
	v_sub_f32_e32 v2, v2, v25
	v_dual_sub_f32 v20, 0x3fc90fdb, v24 :: v_dual_add_f32 v25, 1.0, v2
	s_delay_alu instid0(VALU_DEP_1) | instskip(SKIP_1) | instid1(VALU_DEP_2)
	v_cndmask_b32_e64 v20, v24, v20, s0
	v_cmp_gt_i32_e64 s0, 0, v4
	v_sub_f32_e32 v24, 0x40490fdb, v20
	s_delay_alu instid0(VALU_DEP_2) | instskip(SKIP_1) | instid1(VALU_DEP_1)
	v_cndmask_b32_e64 v22, 0, 0x40490fdb, s0
	v_cmp_gt_f32_e64 s0, 0, v4
	v_cndmask_b32_e64 v15, v20, v24, s0
	v_cndmask_b32_e64 v20, 0x3f490fdb, v30, s0
	s_delay_alu instid0(VALU_DEP_2) | instskip(SKIP_1) | instid1(VALU_DEP_1)
	v_cndmask_b32_e32 v15, v15, v22, vcc_lo
	s_and_b32 vcc_lo, s1, s3
	v_cndmask_b32_e32 v2, v15, v20, vcc_lo
.LBB198_291:                            ;   in Loop: Header=BB198_162 Depth=1
	s_or_b32 exec_lo, exec_lo, s2
.LBB198_292:                            ;   in Loop: Header=BB198_162 Depth=1
	s_and_not1_saveexec_b32 s0, s16
	s_cbranch_execz .LBB198_161
; %bb.293:                              ;   in Loop: Header=BB198_162 Depth=1
	v_cmp_ngt_f32_e64 s1, 0x20000000, |v4|
	v_cmp_ngt_f32_e64 s2, 0x20000000, |v5|
                                        ; implicit-def: $vgpr2
	s_or_b32 s1, s1, s2
	s_delay_alu instid0(SALU_CYCLE_1) | instskip(NEXT) | instid1(SALU_CYCLE_1)
	s_and_saveexec_b32 s2, s1
	s_xor_b32 s1, exec_lo, s2
; %bb.294:                              ;   in Loop: Header=BB198_162 Depth=1
	v_pk_mul_f32 v[24:25], v[4:5], v[4:5]
	s_delay_alu instid0(VALU_DEP_1)
	v_add_f32_e32 v2, v24, v25
; %bb.295:                              ;   in Loop: Header=BB198_162 Depth=1
	s_and_not1_saveexec_b32 s1, s1
	s_cbranch_execz .LBB198_160
; %bb.296:                              ;   in Loop: Header=BB198_162 Depth=1
	v_pk_mul_f32 v[24:25], v[4:5], 4.0 op_sel_hi:[1,0]
	s_delay_alu instid0(VALU_DEP_1) | instskip(NEXT) | instid1(VALU_DEP_1)
	v_pk_mul_f32 v[24:25], v[24:25], v[24:25]
	v_add_f32_e32 v2, v24, v25
	s_delay_alu instid0(VALU_DEP_1)
	v_mul_f32_e32 v2, 0x3d800000, v2
	s_branch .LBB198_160
.LBB198_297:
	s_endpgm
	.section	.rodata,"a",@progbits
	.p2align	6, 0x0
	.amdhsa_kernel _ZN2at6native12_GLOBAL__N_125multi_tensor_apply_kernelINS1_18TensorListMetadataILi1EEENS1_14UnaryOpFunctorIN3c107complexIfEELi1ELi1ELi0EEEJNS0_4Log2IS8_EEEEEvT_T0_DpT1_
		.amdhsa_group_segment_fixed_size 0
		.amdhsa_private_segment_fixed_size 0
		.amdhsa_kernarg_size 3632
		.amdhsa_user_sgpr_count 2
		.amdhsa_user_sgpr_dispatch_ptr 0
		.amdhsa_user_sgpr_queue_ptr 0
		.amdhsa_user_sgpr_kernarg_segment_ptr 1
		.amdhsa_user_sgpr_dispatch_id 0
		.amdhsa_user_sgpr_kernarg_preload_length 0
		.amdhsa_user_sgpr_kernarg_preload_offset 0
		.amdhsa_user_sgpr_private_segment_size 0
		.amdhsa_wavefront_size32 1
		.amdhsa_uses_dynamic_stack 0
		.amdhsa_enable_private_segment 0
		.amdhsa_system_sgpr_workgroup_id_x 1
		.amdhsa_system_sgpr_workgroup_id_y 0
		.amdhsa_system_sgpr_workgroup_id_z 0
		.amdhsa_system_sgpr_workgroup_info 0
		.amdhsa_system_vgpr_workitem_id 0
		.amdhsa_next_free_vgpr 52
		.amdhsa_next_free_sgpr 40
		.amdhsa_named_barrier_count 0
		.amdhsa_reserve_vcc 1
		.amdhsa_float_round_mode_32 0
		.amdhsa_float_round_mode_16_64 0
		.amdhsa_float_denorm_mode_32 3
		.amdhsa_float_denorm_mode_16_64 3
		.amdhsa_fp16_overflow 0
		.amdhsa_memory_ordered 1
		.amdhsa_forward_progress 1
		.amdhsa_inst_pref_size 255
		.amdhsa_round_robin_scheduling 0
		.amdhsa_exception_fp_ieee_invalid_op 0
		.amdhsa_exception_fp_denorm_src 0
		.amdhsa_exception_fp_ieee_div_zero 0
		.amdhsa_exception_fp_ieee_overflow 0
		.amdhsa_exception_fp_ieee_underflow 0
		.amdhsa_exception_fp_ieee_inexact 0
		.amdhsa_exception_int_div_zero 0
	.end_amdhsa_kernel
	.section	.text._ZN2at6native12_GLOBAL__N_125multi_tensor_apply_kernelINS1_18TensorListMetadataILi1EEENS1_14UnaryOpFunctorIN3c107complexIfEELi1ELi1ELi0EEEJNS0_4Log2IS8_EEEEEvT_T0_DpT1_,"axG",@progbits,_ZN2at6native12_GLOBAL__N_125multi_tensor_apply_kernelINS1_18TensorListMetadataILi1EEENS1_14UnaryOpFunctorIN3c107complexIfEELi1ELi1ELi0EEEJNS0_4Log2IS8_EEEEEvT_T0_DpT1_,comdat
.Lfunc_end198:
	.size	_ZN2at6native12_GLOBAL__N_125multi_tensor_apply_kernelINS1_18TensorListMetadataILi1EEENS1_14UnaryOpFunctorIN3c107complexIfEELi1ELi1ELi0EEEJNS0_4Log2IS8_EEEEEvT_T0_DpT1_, .Lfunc_end198-_ZN2at6native12_GLOBAL__N_125multi_tensor_apply_kernelINS1_18TensorListMetadataILi1EEENS1_14UnaryOpFunctorIN3c107complexIfEELi1ELi1ELi0EEEJNS0_4Log2IS8_EEEEEvT_T0_DpT1_
                                        ; -- End function
	.set _ZN2at6native12_GLOBAL__N_125multi_tensor_apply_kernelINS1_18TensorListMetadataILi1EEENS1_14UnaryOpFunctorIN3c107complexIfEELi1ELi1ELi0EEEJNS0_4Log2IS8_EEEEEvT_T0_DpT1_.num_vgpr, 52
	.set _ZN2at6native12_GLOBAL__N_125multi_tensor_apply_kernelINS1_18TensorListMetadataILi1EEENS1_14UnaryOpFunctorIN3c107complexIfEELi1ELi1ELi0EEEJNS0_4Log2IS8_EEEEEvT_T0_DpT1_.num_agpr, 0
	.set _ZN2at6native12_GLOBAL__N_125multi_tensor_apply_kernelINS1_18TensorListMetadataILi1EEENS1_14UnaryOpFunctorIN3c107complexIfEELi1ELi1ELi0EEEJNS0_4Log2IS8_EEEEEvT_T0_DpT1_.numbered_sgpr, 40
	.set _ZN2at6native12_GLOBAL__N_125multi_tensor_apply_kernelINS1_18TensorListMetadataILi1EEENS1_14UnaryOpFunctorIN3c107complexIfEELi1ELi1ELi0EEEJNS0_4Log2IS8_EEEEEvT_T0_DpT1_.num_named_barrier, 0
	.set _ZN2at6native12_GLOBAL__N_125multi_tensor_apply_kernelINS1_18TensorListMetadataILi1EEENS1_14UnaryOpFunctorIN3c107complexIfEELi1ELi1ELi0EEEJNS0_4Log2IS8_EEEEEvT_T0_DpT1_.private_seg_size, 0
	.set _ZN2at6native12_GLOBAL__N_125multi_tensor_apply_kernelINS1_18TensorListMetadataILi1EEENS1_14UnaryOpFunctorIN3c107complexIfEELi1ELi1ELi0EEEJNS0_4Log2IS8_EEEEEvT_T0_DpT1_.uses_vcc, 1
	.set _ZN2at6native12_GLOBAL__N_125multi_tensor_apply_kernelINS1_18TensorListMetadataILi1EEENS1_14UnaryOpFunctorIN3c107complexIfEELi1ELi1ELi0EEEJNS0_4Log2IS8_EEEEEvT_T0_DpT1_.uses_flat_scratch, 0
	.set _ZN2at6native12_GLOBAL__N_125multi_tensor_apply_kernelINS1_18TensorListMetadataILi1EEENS1_14UnaryOpFunctorIN3c107complexIfEELi1ELi1ELi0EEEJNS0_4Log2IS8_EEEEEvT_T0_DpT1_.has_dyn_sized_stack, 0
	.set _ZN2at6native12_GLOBAL__N_125multi_tensor_apply_kernelINS1_18TensorListMetadataILi1EEENS1_14UnaryOpFunctorIN3c107complexIfEELi1ELi1ELi0EEEJNS0_4Log2IS8_EEEEEvT_T0_DpT1_.has_recursion, 0
	.set _ZN2at6native12_GLOBAL__N_125multi_tensor_apply_kernelINS1_18TensorListMetadataILi1EEENS1_14UnaryOpFunctorIN3c107complexIfEELi1ELi1ELi0EEEJNS0_4Log2IS8_EEEEEvT_T0_DpT1_.has_indirect_call, 0
	.section	.AMDGPU.csdata,"",@progbits
; Kernel info:
; codeLenInByte = 51820
; TotalNumSgprs: 42
; NumVgprs: 52
; ScratchSize: 0
; MemoryBound: 1
; FloatMode: 240
; IeeeMode: 1
; LDSByteSize: 0 bytes/workgroup (compile time only)
; SGPRBlocks: 0
; VGPRBlocks: 3
; NumSGPRsForWavesPerEU: 42
; NumVGPRsForWavesPerEU: 52
; NamedBarCnt: 0
; Occupancy: 16
; WaveLimiterHint : 0
; COMPUTE_PGM_RSRC2:SCRATCH_EN: 0
; COMPUTE_PGM_RSRC2:USER_SGPR: 2
; COMPUTE_PGM_RSRC2:TRAP_HANDLER: 0
; COMPUTE_PGM_RSRC2:TGID_X_EN: 1
; COMPUTE_PGM_RSRC2:TGID_Y_EN: 0
; COMPUTE_PGM_RSRC2:TGID_Z_EN: 0
; COMPUTE_PGM_RSRC2:TIDIG_COMP_CNT: 0
	.section	.text._ZN2at6native12_GLOBAL__N_125multi_tensor_apply_kernelINS1_18TensorListMetadataILi1EEENS1_14UnaryOpFunctorIN3c104HalfELi1ELi1ELi0EEEJNS0_4Log2IfEEEEEvT_T0_DpT1_,"axG",@progbits,_ZN2at6native12_GLOBAL__N_125multi_tensor_apply_kernelINS1_18TensorListMetadataILi1EEENS1_14UnaryOpFunctorIN3c104HalfELi1ELi1ELi0EEEJNS0_4Log2IfEEEEEvT_T0_DpT1_,comdat
	.globl	_ZN2at6native12_GLOBAL__N_125multi_tensor_apply_kernelINS1_18TensorListMetadataILi1EEENS1_14UnaryOpFunctorIN3c104HalfELi1ELi1ELi0EEEJNS0_4Log2IfEEEEEvT_T0_DpT1_ ; -- Begin function _ZN2at6native12_GLOBAL__N_125multi_tensor_apply_kernelINS1_18TensorListMetadataILi1EEENS1_14UnaryOpFunctorIN3c104HalfELi1ELi1ELi0EEEJNS0_4Log2IfEEEEEvT_T0_DpT1_
	.p2align	8
	.type	_ZN2at6native12_GLOBAL__N_125multi_tensor_apply_kernelINS1_18TensorListMetadataILi1EEENS1_14UnaryOpFunctorIN3c104HalfELi1ELi1ELi0EEEJNS0_4Log2IfEEEEEvT_T0_DpT1_,@function
_ZN2at6native12_GLOBAL__N_125multi_tensor_apply_kernelINS1_18TensorListMetadataILi1EEENS1_14UnaryOpFunctorIN3c104HalfELi1ELi1ELi0EEEJNS0_4Log2IfEEEEEvT_T0_DpT1_: ; @_ZN2at6native12_GLOBAL__N_125multi_tensor_apply_kernelINS1_18TensorListMetadataILi1EEENS1_14UnaryOpFunctorIN3c104HalfELi1ELi1ELi0EEEJNS0_4Log2IfEEEEEvT_T0_DpT1_
; %bb.0:
	s_bfe_u32 s2, ttmp6, 0x4000c
	s_and_b32 s3, ttmp6, 15
	s_add_co_i32 s2, s2, 1
	s_getreg_b32 s4, hwreg(HW_REG_IB_STS2, 6, 4)
	s_mul_i32 s2, ttmp9, s2
	s_delay_alu instid0(SALU_CYCLE_1)
	s_add_co_i32 s3, s3, s2
	s_cmp_eq_u32 s4, 0
	s_cselect_b32 s2, ttmp9, s3
	s_mov_b32 s3, 0
	s_load_u8 s8, s[0:1], s2 offset:0x6e0
	s_add_nc_u64 s[4:5], s[0:1], s[2:3]
	s_mul_u64 s[6:7], s[2:3], 3
	s_delay_alu instid0(SALU_CYCLE_1)
	s_add_nc_u64 s[4:5], s[4:5], s[6:7]
	s_load_b32 s10, s[4:5], 0x820
	s_wait_kmcnt 0x0
	s_clause 0x1
	s_load_b64 s[6:7], s[0:1], s8 offset:0x0 scale_offset
	s_load_b64 s[12:13], s[0:1], s8 offset:0x370 scale_offset
	s_ashr_i32 s11, s10, 31
	s_wait_kmcnt 0x0
	s_and_b64 s[4:5], s[6:7], 7
	s_and_b32 s2, s12, 3
	s_lshl_b64 s[8:9], s[10:11], 17
	s_or_b64 s[2:3], s[4:5], s[2:3]
	s_lshl_b64 s[4:5], s[10:11], 16
	s_cmp_eq_u64 s[2:3], 0
	s_sub_nc_u64 s[10:11], s[12:13], s[4:5]
	s_cbranch_scc1 .LBB199_21
; %bb.1:
	v_cmp_lt_i64_e64 s2, s[10:11], 1
	s_and_b32 vcc_lo, exec_lo, s2
	s_cbranch_vccnz .LBB199_20
; %bb.2:
	s_load_b32 s2, s[0:1], 0xd3c
	v_min_i64 v[2:3], 0x10000, s[10:11]
	v_min_u64 v[4:5], 0x10000, s[10:11]
	v_dual_mov_b32 v1, 0 :: v_dual_lshlrev_b32 v8, 1, v0
	s_mov_b32 s3, 0
	s_add_nc_u64 s[4:5], s[6:7], s[8:9]
	s_mov_b32 s15, s3
	s_delay_alu instid0(VALU_DEP_1)
	v_mov_b32_e32 v15, v1
	s_mov_b32 s17, s3
	s_mov_b32 s13, s3
	s_mov_b64 s[18:19], 0
	s_wait_kmcnt 0x0
	s_and_b32 s2, s2, 0xffff
	s_delay_alu instid0(SALU_CYCLE_1)
	v_add_nc_u64_e32 v[6:7], s[2:3], v[0:1]
	v_mov_b32_e32 v9, v1
	s_lshl_b32 s14, s2, 1
	s_mul_i32 s16, s2, 3
	v_add_nc_u64_e32 v[12:13], s[14:15], v[0:1]
	v_add_nc_u64_e32 v[10:11], s[16:17], v[0:1]
	s_lshl_b32 s12, s2, 2
	v_lshlrev_b32_e32 v14, 1, v6
	v_add_nc_u64_e32 v[8:9], s[4:5], v[8:9]
	s_lshl_b32 s14, s2, 3
	s_mul_u64 s[16:17], s[2:3], 6
	s_delay_alu instid0(VALU_DEP_2)
	v_add_nc_u64_e32 v[14:15], s[4:5], v[14:15]
	s_branch .LBB199_4
.LBB199_3:                              ;   in Loop: Header=BB199_4 Depth=1
	s_wait_xcnt 0x0
	s_or_b32 exec_lo, exec_lo, s2
	s_add_nc_u64 s[18:19], s[18:19], s[12:13]
	v_add_nc_u64_e32 v[8:9], s[14:15], v[8:9]
	v_cmp_lt_i64_e32 vcc_lo, s[18:19], v[2:3]
	v_add_nc_u64_e32 v[14:15], s[14:15], v[14:15]
	s_cbranch_vccz .LBB199_20
.LBB199_4:                              ; =>This Inner Loop Header: Depth=1
	v_add_nc_u64_e32 v[16:17], s[18:19], v[0:1]
	v_mov_b32_e32 v21, 0
	s_delay_alu instid0(VALU_DEP_2)
	v_cmp_lt_u64_e64 s4, v[16:17], v[4:5]
	s_and_saveexec_b32 s2, s4
	s_cbranch_execz .LBB199_6
; %bb.5:                                ;   in Loop: Header=BB199_4 Depth=1
	global_load_u16 v16, v[8:9], off
	s_wait_loadcnt 0x0
	v_cvt_f32_f16_e32 v21, v16
.LBB199_6:                              ;   in Loop: Header=BB199_4 Depth=1
	s_wait_xcnt 0x0
	s_or_b32 exec_lo, exec_lo, s2
	v_add_nc_u64_e32 v[16:17], s[18:19], v[6:7]
	v_dual_mov_b32 v20, 0 :: v_dual_mov_b32 v22, 0
	s_delay_alu instid0(VALU_DEP_2)
	v_cmp_lt_u64_e32 vcc_lo, v[16:17], v[4:5]
	s_and_saveexec_b32 s2, vcc_lo
	s_cbranch_execz .LBB199_8
; %bb.7:                                ;   in Loop: Header=BB199_4 Depth=1
	global_load_u16 v16, v[14:15], off
	s_wait_loadcnt 0x0
	v_cvt_f32_f16_e32 v22, v16
.LBB199_8:                              ;   in Loop: Header=BB199_4 Depth=1
	s_wait_xcnt 0x0
	s_or_b32 exec_lo, exec_lo, s2
	v_add_nc_u64_e32 v[16:17], s[18:19], v[12:13]
	s_delay_alu instid0(VALU_DEP_1)
	v_cmp_lt_u64_e64 s2, v[16:17], v[4:5]
	v_add_nc_u64_e32 v[16:17], s[12:13], v[8:9]
	s_and_saveexec_b32 s3, s2
	s_cbranch_execz .LBB199_10
; %bb.9:                                ;   in Loop: Header=BB199_4 Depth=1
	global_load_u16 v18, v[16:17], off
	s_wait_loadcnt 0x0
	v_cvt_f32_f16_e32 v20, v18
.LBB199_10:                             ;   in Loop: Header=BB199_4 Depth=1
	s_wait_xcnt 0x0
	s_or_b32 exec_lo, exec_lo, s3
	v_add_nc_u64_e32 v[18:19], s[18:19], v[10:11]
	v_mov_b32_e32 v23, 0
	s_delay_alu instid0(VALU_DEP_2)
	v_cmp_lt_u64_e64 s3, v[18:19], v[4:5]
	v_add_nc_u64_e32 v[18:19], s[16:17], v[8:9]
	s_and_saveexec_b32 s5, s3
	s_cbranch_execnz .LBB199_15
; %bb.11:                               ;   in Loop: Header=BB199_4 Depth=1
	s_or_b32 exec_lo, exec_lo, s5
	s_and_saveexec_b32 s5, s4
	s_cbranch_execnz .LBB199_16
.LBB199_12:                             ;   in Loop: Header=BB199_4 Depth=1
	s_or_b32 exec_lo, exec_lo, s5
	s_and_saveexec_b32 s4, vcc_lo
	s_cbranch_execnz .LBB199_17
.LBB199_13:                             ;   in Loop: Header=BB199_4 Depth=1
	s_or_b32 exec_lo, exec_lo, s4
	s_and_saveexec_b32 s4, s2
	s_cbranch_execnz .LBB199_18
.LBB199_14:                             ;   in Loop: Header=BB199_4 Depth=1
	s_or_b32 exec_lo, exec_lo, s4
	s_and_saveexec_b32 s2, s3
	s_cbranch_execz .LBB199_3
	s_branch .LBB199_19
.LBB199_15:                             ;   in Loop: Header=BB199_4 Depth=1
	global_load_u16 v23, v[18:19], off
	s_wait_loadcnt 0x0
	v_cvt_f32_f16_e32 v23, v23
	s_wait_xcnt 0x0
	s_or_b32 exec_lo, exec_lo, s5
	s_and_saveexec_b32 s5, s4
	s_cbranch_execz .LBB199_12
.LBB199_16:                             ;   in Loop: Header=BB199_4 Depth=1
	v_cmp_gt_f32_e64 s4, 0x800000, v21
	s_delay_alu instid0(VALU_DEP_1) | instskip(SKIP_1) | instid1(VALU_DEP_2)
	v_cndmask_b32_e64 v25, 0, 32, s4
	v_cndmask_b32_e64 v24, 0, 0x42000000, s4
	v_ldexp_f32 v21, v21, v25
	s_delay_alu instid0(VALU_DEP_1) | instskip(SKIP_1) | instid1(TRANS32_DEP_1)
	v_log_f32_e32 v21, v21
	v_nop
	v_sub_f32_e32 v21, v21, v24
	s_delay_alu instid0(VALU_DEP_1)
	v_cvt_f16_f32_e32 v21, v21
	global_store_b16 v[8:9], v21, off
	s_wait_xcnt 0x0
	s_or_b32 exec_lo, exec_lo, s5
	s_and_saveexec_b32 s4, vcc_lo
	s_cbranch_execz .LBB199_13
.LBB199_17:                             ;   in Loop: Header=BB199_4 Depth=1
	v_cmp_gt_f32_e32 vcc_lo, 0x800000, v22
	v_cndmask_b32_e64 v24, 0, 32, vcc_lo
	v_cndmask_b32_e64 v21, 0, 0x42000000, vcc_lo
	s_delay_alu instid0(VALU_DEP_2) | instskip(NEXT) | instid1(VALU_DEP_1)
	v_ldexp_f32 v22, v22, v24
	v_log_f32_e32 v22, v22
	v_nop
	s_delay_alu instid0(TRANS32_DEP_1) | instskip(NEXT) | instid1(VALU_DEP_1)
	v_sub_f32_e32 v21, v22, v21
	v_cvt_f16_f32_e32 v21, v21
	global_store_b16 v[14:15], v21, off
	s_wait_xcnt 0x0
	s_or_b32 exec_lo, exec_lo, s4
	s_and_saveexec_b32 s4, s2
	s_cbranch_execz .LBB199_14
.LBB199_18:                             ;   in Loop: Header=BB199_4 Depth=1
	v_cmp_gt_f32_e32 vcc_lo, 0x800000, v20
	v_cndmask_b32_e64 v22, 0, 32, vcc_lo
	v_cndmask_b32_e64 v21, 0, 0x42000000, vcc_lo
	s_delay_alu instid0(VALU_DEP_2) | instskip(NEXT) | instid1(VALU_DEP_1)
	v_ldexp_f32 v20, v20, v22
	v_log_f32_e32 v20, v20
	v_nop
	s_delay_alu instid0(TRANS32_DEP_1) | instskip(NEXT) | instid1(VALU_DEP_1)
	v_sub_f32_e32 v20, v20, v21
	v_cvt_f16_f32_e32 v20, v20
	global_store_b16 v[16:17], v20, off
	s_wait_xcnt 0x0
	s_or_b32 exec_lo, exec_lo, s4
	s_and_saveexec_b32 s2, s3
	s_cbranch_execz .LBB199_3
.LBB199_19:                             ;   in Loop: Header=BB199_4 Depth=1
	v_cmp_gt_f32_e32 vcc_lo, 0x800000, v23
	v_cndmask_b32_e64 v17, 0, 32, vcc_lo
	v_cndmask_b32_e64 v16, 0, 0x42000000, vcc_lo
	s_delay_alu instid0(VALU_DEP_2) | instskip(NEXT) | instid1(VALU_DEP_1)
	v_ldexp_f32 v17, v23, v17
	v_log_f32_e32 v17, v17
	v_nop
	s_delay_alu instid0(TRANS32_DEP_1) | instskip(NEXT) | instid1(VALU_DEP_1)
	v_sub_f32_e32 v16, v17, v16
	v_cvt_f16_f32_e32 v16, v16
	global_store_b16 v[18:19], v16, off
	s_branch .LBB199_3
.LBB199_20:
	s_cbranch_execz .LBB199_22
	s_branch .LBB199_25
.LBB199_21:
.LBB199_22:
	v_min_i64 v[2:3], 0x10000, s[10:11]
	v_dual_mov_b32 v5, 0 :: v_dual_lshlrev_b32 v4, 2, v0
	s_mov_b32 s2, exec_lo
	s_delay_alu instid0(VALU_DEP_1)
	v_cmpx_lt_i64_e64 v[4:5], v[2:3]
	s_cbranch_execz .LBB199_25
; %bb.23:
	s_load_b32 s2, s[0:1], 0xd3c
	v_dual_mov_b32 v1, v5 :: v_dual_lshlrev_b32 v4, 3, v0
	s_wait_xcnt 0x0
	s_add_nc_u64 s[0:1], s[6:7], s[8:9]
	s_delay_alu instid0(VALU_DEP_1) | instid1(SALU_CYCLE_1)
	v_add_nc_u64_e32 v[6:7], s[0:1], v[4:5]
	s_mov_b32 s1, 0
	s_delay_alu instid0(SALU_CYCLE_1) | instskip(SKIP_1) | instid1(VALU_DEP_1)
	s_mov_b32 s3, s1
	s_mov_b32 s4, s1
	v_add_nc_u64_e32 v[4:5], 4, v[6:7]
	s_wait_kmcnt 0x0
	s_and_b32 s0, s2, 0xffff
	s_delay_alu instid0(SALU_CYCLE_1)
	s_lshl_b32 s2, s0, 3
.LBB199_24:                             ; =>This Inner Loop Header: Depth=1
	global_load_b64 v[6:7], v[4:5], off offset:-4
	v_add_nc_u64_e32 v[0:1], s[0:1], v[0:1]
	s_wait_loadcnt 0x0
	v_dual_lshrrev_b32 v8, 16, v7 :: v_dual_lshrrev_b32 v9, 16, v6
	v_cvt_f32_f16_e32 v6, v6
	v_cvt_f32_f16_e32 v7, v7
	s_delay_alu instid0(VALU_DEP_3) | instskip(NEXT) | instid1(VALU_DEP_4)
	v_cvt_f32_f16_e32 v8, v8
	v_cvt_f32_f16_e32 v9, v9
	s_delay_alu instid0(VALU_DEP_4) | instskip(NEXT) | instid1(VALU_DEP_3)
	v_log_f32_e32 v10, v6
	v_log_f32_e32 v11, v7
	v_nop
	v_lshlrev_b64_e32 v[6:7], 2, v[0:1]
	v_log_f32_e32 v8, v8
	v_log_f32_e32 v12, v9
	s_delay_alu instid0(VALU_DEP_1) | instskip(NEXT) | instid1(TRANS32_DEP_2)
	v_cmp_ge_i64_e32 vcc_lo, v[6:7], v[2:3]
	v_cvt_pk_f16_f32 v9, v11, v8
	s_delay_alu instid0(TRANS32_DEP_1)
	v_cvt_pk_f16_f32 v8, v10, v12
	s_or_b32 s4, vcc_lo, s4
	global_store_b64 v[4:5], v[8:9], off offset:-4
	s_wait_xcnt 0x0
	v_add_nc_u64_e32 v[4:5], s[2:3], v[4:5]
	s_and_not1_b32 exec_lo, exec_lo, s4
	s_cbranch_execnz .LBB199_24
.LBB199_25:
	s_endpgm
	.section	.rodata,"a",@progbits
	.p2align	6, 0x0
	.amdhsa_kernel _ZN2at6native12_GLOBAL__N_125multi_tensor_apply_kernelINS1_18TensorListMetadataILi1EEENS1_14UnaryOpFunctorIN3c104HalfELi1ELi1ELi0EEEJNS0_4Log2IfEEEEEvT_T0_DpT1_
		.amdhsa_group_segment_fixed_size 0
		.amdhsa_private_segment_fixed_size 0
		.amdhsa_kernarg_size 3632
		.amdhsa_user_sgpr_count 2
		.amdhsa_user_sgpr_dispatch_ptr 0
		.amdhsa_user_sgpr_queue_ptr 0
		.amdhsa_user_sgpr_kernarg_segment_ptr 1
		.amdhsa_user_sgpr_dispatch_id 0
		.amdhsa_user_sgpr_kernarg_preload_length 0
		.amdhsa_user_sgpr_kernarg_preload_offset 0
		.amdhsa_user_sgpr_private_segment_size 0
		.amdhsa_wavefront_size32 1
		.amdhsa_uses_dynamic_stack 0
		.amdhsa_enable_private_segment 0
		.amdhsa_system_sgpr_workgroup_id_x 1
		.amdhsa_system_sgpr_workgroup_id_y 0
		.amdhsa_system_sgpr_workgroup_id_z 0
		.amdhsa_system_sgpr_workgroup_info 0
		.amdhsa_system_vgpr_workitem_id 0
		.amdhsa_next_free_vgpr 26
		.amdhsa_next_free_sgpr 20
		.amdhsa_named_barrier_count 0
		.amdhsa_reserve_vcc 1
		.amdhsa_float_round_mode_32 0
		.amdhsa_float_round_mode_16_64 0
		.amdhsa_float_denorm_mode_32 3
		.amdhsa_float_denorm_mode_16_64 3
		.amdhsa_fp16_overflow 0
		.amdhsa_memory_ordered 1
		.amdhsa_forward_progress 1
		.amdhsa_inst_pref_size 10
		.amdhsa_round_robin_scheduling 0
		.amdhsa_exception_fp_ieee_invalid_op 0
		.amdhsa_exception_fp_denorm_src 0
		.amdhsa_exception_fp_ieee_div_zero 0
		.amdhsa_exception_fp_ieee_overflow 0
		.amdhsa_exception_fp_ieee_underflow 0
		.amdhsa_exception_fp_ieee_inexact 0
		.amdhsa_exception_int_div_zero 0
	.end_amdhsa_kernel
	.section	.text._ZN2at6native12_GLOBAL__N_125multi_tensor_apply_kernelINS1_18TensorListMetadataILi1EEENS1_14UnaryOpFunctorIN3c104HalfELi1ELi1ELi0EEEJNS0_4Log2IfEEEEEvT_T0_DpT1_,"axG",@progbits,_ZN2at6native12_GLOBAL__N_125multi_tensor_apply_kernelINS1_18TensorListMetadataILi1EEENS1_14UnaryOpFunctorIN3c104HalfELi1ELi1ELi0EEEJNS0_4Log2IfEEEEEvT_T0_DpT1_,comdat
.Lfunc_end199:
	.size	_ZN2at6native12_GLOBAL__N_125multi_tensor_apply_kernelINS1_18TensorListMetadataILi1EEENS1_14UnaryOpFunctorIN3c104HalfELi1ELi1ELi0EEEJNS0_4Log2IfEEEEEvT_T0_DpT1_, .Lfunc_end199-_ZN2at6native12_GLOBAL__N_125multi_tensor_apply_kernelINS1_18TensorListMetadataILi1EEENS1_14UnaryOpFunctorIN3c104HalfELi1ELi1ELi0EEEJNS0_4Log2IfEEEEEvT_T0_DpT1_
                                        ; -- End function
	.set _ZN2at6native12_GLOBAL__N_125multi_tensor_apply_kernelINS1_18TensorListMetadataILi1EEENS1_14UnaryOpFunctorIN3c104HalfELi1ELi1ELi0EEEJNS0_4Log2IfEEEEEvT_T0_DpT1_.num_vgpr, 26
	.set _ZN2at6native12_GLOBAL__N_125multi_tensor_apply_kernelINS1_18TensorListMetadataILi1EEENS1_14UnaryOpFunctorIN3c104HalfELi1ELi1ELi0EEEJNS0_4Log2IfEEEEEvT_T0_DpT1_.num_agpr, 0
	.set _ZN2at6native12_GLOBAL__N_125multi_tensor_apply_kernelINS1_18TensorListMetadataILi1EEENS1_14UnaryOpFunctorIN3c104HalfELi1ELi1ELi0EEEJNS0_4Log2IfEEEEEvT_T0_DpT1_.numbered_sgpr, 20
	.set _ZN2at6native12_GLOBAL__N_125multi_tensor_apply_kernelINS1_18TensorListMetadataILi1EEENS1_14UnaryOpFunctorIN3c104HalfELi1ELi1ELi0EEEJNS0_4Log2IfEEEEEvT_T0_DpT1_.num_named_barrier, 0
	.set _ZN2at6native12_GLOBAL__N_125multi_tensor_apply_kernelINS1_18TensorListMetadataILi1EEENS1_14UnaryOpFunctorIN3c104HalfELi1ELi1ELi0EEEJNS0_4Log2IfEEEEEvT_T0_DpT1_.private_seg_size, 0
	.set _ZN2at6native12_GLOBAL__N_125multi_tensor_apply_kernelINS1_18TensorListMetadataILi1EEENS1_14UnaryOpFunctorIN3c104HalfELi1ELi1ELi0EEEJNS0_4Log2IfEEEEEvT_T0_DpT1_.uses_vcc, 1
	.set _ZN2at6native12_GLOBAL__N_125multi_tensor_apply_kernelINS1_18TensorListMetadataILi1EEENS1_14UnaryOpFunctorIN3c104HalfELi1ELi1ELi0EEEJNS0_4Log2IfEEEEEvT_T0_DpT1_.uses_flat_scratch, 0
	.set _ZN2at6native12_GLOBAL__N_125multi_tensor_apply_kernelINS1_18TensorListMetadataILi1EEENS1_14UnaryOpFunctorIN3c104HalfELi1ELi1ELi0EEEJNS0_4Log2IfEEEEEvT_T0_DpT1_.has_dyn_sized_stack, 0
	.set _ZN2at6native12_GLOBAL__N_125multi_tensor_apply_kernelINS1_18TensorListMetadataILi1EEENS1_14UnaryOpFunctorIN3c104HalfELi1ELi1ELi0EEEJNS0_4Log2IfEEEEEvT_T0_DpT1_.has_recursion, 0
	.set _ZN2at6native12_GLOBAL__N_125multi_tensor_apply_kernelINS1_18TensorListMetadataILi1EEENS1_14UnaryOpFunctorIN3c104HalfELi1ELi1ELi0EEEJNS0_4Log2IfEEEEEvT_T0_DpT1_.has_indirect_call, 0
	.section	.AMDGPU.csdata,"",@progbits
; Kernel info:
; codeLenInByte = 1232
; TotalNumSgprs: 22
; NumVgprs: 26
; ScratchSize: 0
; MemoryBound: 0
; FloatMode: 240
; IeeeMode: 1
; LDSByteSize: 0 bytes/workgroup (compile time only)
; SGPRBlocks: 0
; VGPRBlocks: 1
; NumSGPRsForWavesPerEU: 22
; NumVGPRsForWavesPerEU: 26
; NamedBarCnt: 0
; Occupancy: 16
; WaveLimiterHint : 0
; COMPUTE_PGM_RSRC2:SCRATCH_EN: 0
; COMPUTE_PGM_RSRC2:USER_SGPR: 2
; COMPUTE_PGM_RSRC2:TRAP_HANDLER: 0
; COMPUTE_PGM_RSRC2:TGID_X_EN: 1
; COMPUTE_PGM_RSRC2:TGID_Y_EN: 0
; COMPUTE_PGM_RSRC2:TGID_Z_EN: 0
; COMPUTE_PGM_RSRC2:TIDIG_COMP_CNT: 0
	.section	.text._ZN2at6native12_GLOBAL__N_125multi_tensor_apply_kernelINS1_18TensorListMetadataILi1EEENS1_14UnaryOpFunctorIN3c108BFloat16ELi1ELi1ELi0EEEJNS0_4Log2IfEEEEEvT_T0_DpT1_,"axG",@progbits,_ZN2at6native12_GLOBAL__N_125multi_tensor_apply_kernelINS1_18TensorListMetadataILi1EEENS1_14UnaryOpFunctorIN3c108BFloat16ELi1ELi1ELi0EEEJNS0_4Log2IfEEEEEvT_T0_DpT1_,comdat
	.globl	_ZN2at6native12_GLOBAL__N_125multi_tensor_apply_kernelINS1_18TensorListMetadataILi1EEENS1_14UnaryOpFunctorIN3c108BFloat16ELi1ELi1ELi0EEEJNS0_4Log2IfEEEEEvT_T0_DpT1_ ; -- Begin function _ZN2at6native12_GLOBAL__N_125multi_tensor_apply_kernelINS1_18TensorListMetadataILi1EEENS1_14UnaryOpFunctorIN3c108BFloat16ELi1ELi1ELi0EEEJNS0_4Log2IfEEEEEvT_T0_DpT1_
	.p2align	8
	.type	_ZN2at6native12_GLOBAL__N_125multi_tensor_apply_kernelINS1_18TensorListMetadataILi1EEENS1_14UnaryOpFunctorIN3c108BFloat16ELi1ELi1ELi0EEEJNS0_4Log2IfEEEEEvT_T0_DpT1_,@function
_ZN2at6native12_GLOBAL__N_125multi_tensor_apply_kernelINS1_18TensorListMetadataILi1EEENS1_14UnaryOpFunctorIN3c108BFloat16ELi1ELi1ELi0EEEJNS0_4Log2IfEEEEEvT_T0_DpT1_: ; @_ZN2at6native12_GLOBAL__N_125multi_tensor_apply_kernelINS1_18TensorListMetadataILi1EEENS1_14UnaryOpFunctorIN3c108BFloat16ELi1ELi1ELi0EEEJNS0_4Log2IfEEEEEvT_T0_DpT1_
; %bb.0:
	s_bfe_u32 s2, ttmp6, 0x4000c
	s_and_b32 s3, ttmp6, 15
	s_add_co_i32 s2, s2, 1
	s_getreg_b32 s4, hwreg(HW_REG_IB_STS2, 6, 4)
	s_mul_i32 s2, ttmp9, s2
	s_delay_alu instid0(SALU_CYCLE_1)
	s_add_co_i32 s3, s3, s2
	s_cmp_eq_u32 s4, 0
	s_cselect_b32 s2, ttmp9, s3
	s_mov_b32 s3, 0
	s_load_u8 s8, s[0:1], s2 offset:0x6e0
	s_add_nc_u64 s[4:5], s[0:1], s[2:3]
	s_mul_u64 s[6:7], s[2:3], 3
	s_delay_alu instid0(SALU_CYCLE_1)
	s_add_nc_u64 s[4:5], s[4:5], s[6:7]
	s_load_b32 s10, s[4:5], 0x820
	s_wait_kmcnt 0x0
	s_clause 0x1
	s_load_b64 s[6:7], s[0:1], s8 offset:0x0 scale_offset
	s_load_b64 s[12:13], s[0:1], s8 offset:0x370 scale_offset
	s_ashr_i32 s11, s10, 31
	s_wait_kmcnt 0x0
	s_and_b64 s[4:5], s[6:7], 7
	s_and_b32 s2, s12, 3
	s_lshl_b64 s[8:9], s[10:11], 17
	s_or_b64 s[2:3], s[4:5], s[2:3]
	s_lshl_b64 s[4:5], s[10:11], 16
	s_cmp_eq_u64 s[2:3], 0
	s_sub_nc_u64 s[10:11], s[12:13], s[4:5]
	s_cbranch_scc1 .LBB200_21
; %bb.1:
	v_cmp_lt_i64_e64 s2, s[10:11], 1
	s_and_b32 vcc_lo, exec_lo, s2
	s_cbranch_vccnz .LBB200_20
; %bb.2:
	s_load_b32 s2, s[0:1], 0xd3c
	v_min_i64 v[2:3], 0x10000, s[10:11]
	v_min_u64 v[4:5], 0x10000, s[10:11]
	v_dual_mov_b32 v1, 0 :: v_dual_lshlrev_b32 v8, 1, v0
	s_mov_b32 s3, 0
	s_add_nc_u64 s[4:5], s[6:7], s[8:9]
	s_mov_b32 s15, s3
	s_delay_alu instid0(VALU_DEP_1)
	v_mov_b32_e32 v15, v1
	s_mov_b32 s17, s3
	s_mov_b32 s13, s3
	s_mov_b64 s[18:19], 0
	s_wait_kmcnt 0x0
	s_and_b32 s2, s2, 0xffff
	s_delay_alu instid0(SALU_CYCLE_1)
	v_add_nc_u64_e32 v[6:7], s[2:3], v[0:1]
	v_mov_b32_e32 v9, v1
	s_lshl_b32 s14, s2, 1
	s_mul_i32 s16, s2, 3
	v_add_nc_u64_e32 v[12:13], s[14:15], v[0:1]
	v_add_nc_u64_e32 v[10:11], s[16:17], v[0:1]
	s_lshl_b32 s12, s2, 2
	v_lshlrev_b32_e32 v14, 1, v6
	v_add_nc_u64_e32 v[8:9], s[4:5], v[8:9]
	s_lshl_b32 s14, s2, 3
	s_mul_u64 s[16:17], s[2:3], 6
	s_delay_alu instid0(VALU_DEP_2)
	v_add_nc_u64_e32 v[14:15], s[4:5], v[14:15]
	s_branch .LBB200_4
.LBB200_3:                              ;   in Loop: Header=BB200_4 Depth=1
	s_wait_xcnt 0x0
	s_or_b32 exec_lo, exec_lo, s2
	s_add_nc_u64 s[18:19], s[18:19], s[12:13]
	v_add_nc_u64_e32 v[8:9], s[14:15], v[8:9]
	v_cmp_lt_i64_e32 vcc_lo, s[18:19], v[2:3]
	v_add_nc_u64_e32 v[14:15], s[14:15], v[14:15]
	s_cbranch_vccz .LBB200_20
.LBB200_4:                              ; =>This Inner Loop Header: Depth=1
	v_add_nc_u64_e32 v[16:17], s[18:19], v[0:1]
	v_mov_b32_e32 v23, 0
	s_delay_alu instid0(VALU_DEP_2)
	v_cmp_lt_u64_e64 s4, v[16:17], v[4:5]
	s_and_saveexec_b32 s2, s4
	s_cbranch_execz .LBB200_6
; %bb.5:                                ;   in Loop: Header=BB200_4 Depth=1
	global_load_u16 v16, v[8:9], off
	s_wait_loadcnt 0x0
	v_lshlrev_b32_e32 v23, 16, v16
.LBB200_6:                              ;   in Loop: Header=BB200_4 Depth=1
	s_wait_xcnt 0x0
	s_or_b32 exec_lo, exec_lo, s2
	v_add_nc_u64_e32 v[16:17], s[18:19], v[6:7]
	v_dual_mov_b32 v20, 0 :: v_dual_mov_b32 v22, 0
	s_delay_alu instid0(VALU_DEP_2)
	v_cmp_lt_u64_e64 s3, v[16:17], v[4:5]
	s_and_saveexec_b32 s2, s3
	s_cbranch_execz .LBB200_8
; %bb.7:                                ;   in Loop: Header=BB200_4 Depth=1
	global_load_u16 v16, v[14:15], off
	s_wait_loadcnt 0x0
	v_lshlrev_b32_e32 v22, 16, v16
.LBB200_8:                              ;   in Loop: Header=BB200_4 Depth=1
	s_wait_xcnt 0x0
	s_or_b32 exec_lo, exec_lo, s2
	v_add_nc_u64_e32 v[16:17], s[18:19], v[12:13]
	v_add_nc_u64_e32 v[18:19], s[12:13], v[8:9]
	s_delay_alu instid0(VALU_DEP_2)
	v_cmp_lt_u64_e64 s2, v[16:17], v[4:5]
	s_and_saveexec_b32 s5, s2
	s_cbranch_execz .LBB200_10
; %bb.9:                                ;   in Loop: Header=BB200_4 Depth=1
	global_load_u16 v16, v[18:19], off
	s_wait_loadcnt 0x0
	v_lshlrev_b32_e32 v20, 16, v16
.LBB200_10:                             ;   in Loop: Header=BB200_4 Depth=1
	s_wait_xcnt 0x0
	s_or_b32 exec_lo, exec_lo, s5
	v_add_nc_u64_e32 v[16:17], s[18:19], v[10:11]
	v_mov_b32_e32 v21, 0
	s_delay_alu instid0(VALU_DEP_2)
	v_cmp_lt_u64_e32 vcc_lo, v[16:17], v[4:5]
	v_add_nc_u64_e32 v[16:17], s[16:17], v[8:9]
	s_and_saveexec_b32 s5, vcc_lo
	s_cbranch_execnz .LBB200_15
; %bb.11:                               ;   in Loop: Header=BB200_4 Depth=1
	s_or_b32 exec_lo, exec_lo, s5
	s_and_saveexec_b32 s5, s4
	s_cbranch_execnz .LBB200_16
.LBB200_12:                             ;   in Loop: Header=BB200_4 Depth=1
	s_or_b32 exec_lo, exec_lo, s5
	s_and_saveexec_b32 s4, s3
	s_cbranch_execnz .LBB200_17
.LBB200_13:                             ;   in Loop: Header=BB200_4 Depth=1
	s_or_b32 exec_lo, exec_lo, s4
	s_and_saveexec_b32 s3, s2
	s_cbranch_execnz .LBB200_18
.LBB200_14:                             ;   in Loop: Header=BB200_4 Depth=1
	s_or_b32 exec_lo, exec_lo, s3
	s_and_saveexec_b32 s2, vcc_lo
	s_cbranch_execz .LBB200_3
	s_branch .LBB200_19
.LBB200_15:                             ;   in Loop: Header=BB200_4 Depth=1
	global_load_u16 v21, v[16:17], off
	s_wait_loadcnt 0x0
	v_lshlrev_b32_e32 v21, 16, v21
	s_wait_xcnt 0x0
	s_or_b32 exec_lo, exec_lo, s5
	s_and_saveexec_b32 s5, s4
	s_cbranch_execz .LBB200_12
.LBB200_16:                             ;   in Loop: Header=BB200_4 Depth=1
	v_cmp_gt_f32_e64 s4, 0x800000, v23
	s_delay_alu instid0(VALU_DEP_1) | instskip(SKIP_1) | instid1(VALU_DEP_2)
	v_cndmask_b32_e64 v25, 0, 32, s4
	v_cndmask_b32_e64 v24, 0, 0x42000000, s4
	v_ldexp_f32 v23, v23, v25
	s_delay_alu instid0(VALU_DEP_1) | instskip(SKIP_1) | instid1(TRANS32_DEP_1)
	v_log_f32_e32 v23, v23
	v_nop
	v_sub_f32_e32 v23, v23, v24
	s_delay_alu instid0(VALU_DEP_1) | instskip(NEXT) | instid1(VALU_DEP_1)
	v_bfe_u32 v24, v23, 16, 1
	v_add3_u32 v24, v23, v24, 0x7fff
	s_delay_alu instid0(VALU_DEP_1) | instskip(SKIP_1) | instid1(VALU_DEP_1)
	v_lshrrev_b32_e32 v24, 16, v24
	v_cmp_o_f32_e64 s4, v23, v23
	v_cndmask_b32_e64 v23, 0x7fc0, v24, s4
	global_store_b16 v[8:9], v23, off
	s_wait_xcnt 0x0
	s_or_b32 exec_lo, exec_lo, s5
	s_and_saveexec_b32 s4, s3
	s_cbranch_execz .LBB200_13
.LBB200_17:                             ;   in Loop: Header=BB200_4 Depth=1
	v_cmp_gt_f32_e64 s3, 0x800000, v22
	s_delay_alu instid0(VALU_DEP_1) | instskip(SKIP_1) | instid1(VALU_DEP_2)
	v_cndmask_b32_e64 v24, 0, 32, s3
	v_cndmask_b32_e64 v23, 0, 0x42000000, s3
	v_ldexp_f32 v22, v22, v24
	s_delay_alu instid0(VALU_DEP_1) | instskip(SKIP_1) | instid1(TRANS32_DEP_1)
	v_log_f32_e32 v22, v22
	v_nop
	v_sub_f32_e32 v22, v22, v23
	s_delay_alu instid0(VALU_DEP_1) | instskip(NEXT) | instid1(VALU_DEP_1)
	v_bfe_u32 v23, v22, 16, 1
	v_add3_u32 v23, v22, v23, 0x7fff
	s_delay_alu instid0(VALU_DEP_1) | instskip(SKIP_1) | instid1(VALU_DEP_1)
	v_lshrrev_b32_e32 v23, 16, v23
	v_cmp_o_f32_e64 s3, v22, v22
	v_cndmask_b32_e64 v22, 0x7fc0, v23, s3
	global_store_b16 v[14:15], v22, off
	s_wait_xcnt 0x0
	s_or_b32 exec_lo, exec_lo, s4
	s_and_saveexec_b32 s3, s2
	s_cbranch_execz .LBB200_14
.LBB200_18:                             ;   in Loop: Header=BB200_4 Depth=1
	v_cmp_gt_f32_e64 s2, 0x800000, v20
	s_delay_alu instid0(VALU_DEP_1) | instskip(SKIP_1) | instid1(VALU_DEP_2)
	v_cndmask_b32_e64 v23, 0, 32, s2
	v_cndmask_b32_e64 v22, 0, 0x42000000, s2
	v_ldexp_f32 v20, v20, v23
	s_delay_alu instid0(VALU_DEP_1) | instskip(SKIP_1) | instid1(TRANS32_DEP_1)
	v_log_f32_e32 v20, v20
	v_nop
	v_sub_f32_e32 v20, v20, v22
	s_delay_alu instid0(VALU_DEP_1) | instskip(NEXT) | instid1(VALU_DEP_1)
	v_bfe_u32 v22, v20, 16, 1
	v_add3_u32 v22, v20, v22, 0x7fff
	s_delay_alu instid0(VALU_DEP_1) | instskip(SKIP_1) | instid1(VALU_DEP_1)
	v_lshrrev_b32_e32 v22, 16, v22
	v_cmp_o_f32_e64 s2, v20, v20
	v_cndmask_b32_e64 v20, 0x7fc0, v22, s2
	global_store_b16 v[18:19], v20, off
	s_wait_xcnt 0x0
	s_or_b32 exec_lo, exec_lo, s3
	s_and_saveexec_b32 s2, vcc_lo
	s_cbranch_execz .LBB200_3
.LBB200_19:                             ;   in Loop: Header=BB200_4 Depth=1
	v_cmp_gt_f32_e32 vcc_lo, 0x800000, v21
	v_cndmask_b32_e64 v19, 0, 32, vcc_lo
	v_cndmask_b32_e64 v18, 0, 0x42000000, vcc_lo
	s_delay_alu instid0(VALU_DEP_2) | instskip(NEXT) | instid1(VALU_DEP_1)
	v_ldexp_f32 v19, v21, v19
	v_log_f32_e32 v19, v19
	v_nop
	s_delay_alu instid0(TRANS32_DEP_1) | instskip(NEXT) | instid1(VALU_DEP_1)
	v_sub_f32_e32 v18, v19, v18
	v_bfe_u32 v19, v18, 16, 1
	s_delay_alu instid0(VALU_DEP_1) | instskip(NEXT) | instid1(VALU_DEP_1)
	v_add3_u32 v19, v18, v19, 0x7fff
	v_lshrrev_b32_e32 v19, 16, v19
	v_cmp_o_f32_e32 vcc_lo, v18, v18
	s_delay_alu instid0(VALU_DEP_2)
	v_cndmask_b32_e32 v18, 0x7fc0, v19, vcc_lo
	global_store_b16 v[16:17], v18, off
	s_branch .LBB200_3
.LBB200_20:
	s_cbranch_execz .LBB200_22
	s_branch .LBB200_25
.LBB200_21:
.LBB200_22:
	v_min_i64 v[2:3], 0x10000, s[10:11]
	v_dual_mov_b32 v5, 0 :: v_dual_lshlrev_b32 v4, 2, v0
	s_mov_b32 s2, exec_lo
	s_delay_alu instid0(VALU_DEP_1)
	v_cmpx_lt_i64_e64 v[4:5], v[2:3]
	s_cbranch_execz .LBB200_25
; %bb.23:
	s_load_b32 s2, s[0:1], 0xd3c
	v_dual_mov_b32 v1, v5 :: v_dual_lshlrev_b32 v4, 3, v0
	s_wait_xcnt 0x0
	s_add_nc_u64 s[0:1], s[6:7], s[8:9]
	s_mov_b32 s5, 0
	s_delay_alu instid0(VALU_DEP_1) | instskip(SKIP_4) | instid1(SALU_CYCLE_1)
	v_add_nc_u64_e32 v[4:5], s[0:1], v[4:5]
	s_mov_b32 s7, s5
	s_mov_b32 s3, s5
	s_wait_kmcnt 0x0
	s_and_b32 s4, s2, 0xffff
	s_lshl_b32 s6, s4, 3
.LBB200_24:                             ; =>This Inner Loop Header: Depth=1
	global_load_b64 v[6:7], v[4:5], off
	v_add_nc_u64_e32 v[0:1], s[4:5], v[0:1]
	s_wait_loadcnt 0x0
	v_lshlrev_b32_e32 v8, 16, v6
	v_alignbit_b32 v9, v7, v6, 16
	v_and_b32_e32 v6, 0xffff0000, v6
	v_and_b32_e32 v7, 0xffff0000, v7
	s_delay_alu instid0(VALU_DEP_3) | instskip(NEXT) | instid1(VALU_DEP_3)
	v_and_b32_e32 v9, 0xffff0000, v9
	v_cmp_gt_f32_e64 s0, 0x800000, v6
	s_delay_alu instid0(VALU_DEP_3) | instskip(NEXT) | instid1(VALU_DEP_3)
	v_cmp_gt_f32_e64 s1, 0x800000, v7
	v_cmp_gt_f32_e64 s2, 0x800000, v9
	s_delay_alu instid0(VALU_DEP_3) | instskip(NEXT) | instid1(VALU_DEP_3)
	v_cndmask_b32_e64 v11, 0, 32, s0
	v_cndmask_b32_e64 v12, 0, 32, s1
	s_delay_alu instid0(VALU_DEP_3) | instskip(NEXT) | instid1(VALU_DEP_3)
	v_cndmask_b32_e64 v13, 0, 32, s2
	v_ldexp_f32 v6, v6, v11
	v_cndmask_b32_e64 v11, 0, 0x42000000, s0
	s_delay_alu instid0(VALU_DEP_4)
	v_ldexp_f32 v7, v7, v12
	v_cndmask_b32_e64 v12, 0, 0x42000000, s1
	v_ldexp_f32 v9, v9, v13
	v_log_f32_e32 v6, v6
	v_cndmask_b32_e64 v13, 0, 0x42000000, s2
	v_log_f32_e32 v7, v7
	s_delay_alu instid0(VALU_DEP_2) | instskip(NEXT) | instid1(TRANS32_DEP_3)
	v_log_f32_e32 v9, v9
	v_sub_f32_e32 v6, v6, v11
	v_cmp_gt_f32_e32 vcc_lo, 0x800000, v8
	s_delay_alu instid0(TRANS32_DEP_2) | instskip(SKIP_1) | instid1(VALU_DEP_2)
	v_sub_f32_e32 v7, v7, v12
	v_cndmask_b32_e64 v10, 0, 32, vcc_lo
	v_bfe_u32 v12, v7, 16, 1
	s_delay_alu instid0(VALU_DEP_2) | instskip(SKIP_2) | instid1(VALU_DEP_4)
	v_ldexp_f32 v8, v8, v10
	v_cndmask_b32_e64 v10, 0, 0x42000000, vcc_lo
	v_cmp_o_f32_e32 vcc_lo, v6, v6
	v_add3_u32 v12, v7, v12, 0x7fff
	s_delay_alu instid0(VALU_DEP_4) | instskip(NEXT) | instid1(VALU_DEP_1)
	v_log_f32_e32 v8, v8
	v_and_b32_e32 v12, 0xffff0000, v12
	s_delay_alu instid0(TRANS32_DEP_1) | instskip(SKIP_1) | instid1(VALU_DEP_2)
	v_sub_f32_e32 v8, v8, v10
	v_bfe_u32 v10, v6, 16, 1
	v_bfe_u32 v11, v8, 16, 1
	s_delay_alu instid0(VALU_DEP_2) | instskip(NEXT) | instid1(VALU_DEP_2)
	v_add3_u32 v10, v6, v10, 0x7fff
	v_add3_u32 v11, v8, v11, 0x7fff
	v_sub_f32_e32 v9, v9, v13
	s_delay_alu instid0(VALU_DEP_3) | instskip(NEXT) | instid1(VALU_DEP_3)
	v_and_b32_e32 v10, 0xffff0000, v10
	v_lshrrev_b32_e32 v11, 16, v11
	s_delay_alu instid0(VALU_DEP_3) | instskip(NEXT) | instid1(VALU_DEP_3)
	v_bfe_u32 v13, v9, 16, 1
	v_cndmask_b32_e32 v6, 0x7fc00000, v10, vcc_lo
	v_cmp_o_f32_e32 vcc_lo, v8, v8
	s_delay_alu instid0(VALU_DEP_3) | instskip(SKIP_2) | instid1(VALU_DEP_2)
	v_add3_u32 v13, v9, v13, 0x7fff
	v_cndmask_b32_e32 v8, 0x7fc0, v11, vcc_lo
	v_cmp_o_f32_e32 vcc_lo, v7, v7
	v_dual_lshrrev_b32 v13, 16, v13 :: v_dual_bitop2_b32 v8, v8, v6 bitop3:0x54
	v_cndmask_b32_e32 v10, 0x7fc00000, v12, vcc_lo
	v_cmp_o_f32_e32 vcc_lo, v9, v9
	v_lshlrev_b64_e32 v[6:7], 2, v[0:1]
	s_delay_alu instid0(VALU_DEP_4) | instskip(SKIP_1) | instid1(VALU_DEP_3)
	v_or3_b32 v8, v8, 0, 0
	v_cndmask_b32_e32 v9, 0x7fc0, v13, vcc_lo
	v_cmp_ge_i64_e32 vcc_lo, v[6:7], v[2:3]
	s_delay_alu instid0(VALU_DEP_2)
	v_or3_b32 v9, 0, v9, v10
	s_or_b32 s3, vcc_lo, s3
	global_store_b64 v[4:5], v[8:9], off
	s_wait_xcnt 0x0
	v_add_nc_u64_e32 v[4:5], s[6:7], v[4:5]
	s_and_not1_b32 exec_lo, exec_lo, s3
	s_cbranch_execnz .LBB200_24
.LBB200_25:
	s_endpgm
	.section	.rodata,"a",@progbits
	.p2align	6, 0x0
	.amdhsa_kernel _ZN2at6native12_GLOBAL__N_125multi_tensor_apply_kernelINS1_18TensorListMetadataILi1EEENS1_14UnaryOpFunctorIN3c108BFloat16ELi1ELi1ELi0EEEJNS0_4Log2IfEEEEEvT_T0_DpT1_
		.amdhsa_group_segment_fixed_size 0
		.amdhsa_private_segment_fixed_size 0
		.amdhsa_kernarg_size 3632
		.amdhsa_user_sgpr_count 2
		.amdhsa_user_sgpr_dispatch_ptr 0
		.amdhsa_user_sgpr_queue_ptr 0
		.amdhsa_user_sgpr_kernarg_segment_ptr 1
		.amdhsa_user_sgpr_dispatch_id 0
		.amdhsa_user_sgpr_kernarg_preload_length 0
		.amdhsa_user_sgpr_kernarg_preload_offset 0
		.amdhsa_user_sgpr_private_segment_size 0
		.amdhsa_wavefront_size32 1
		.amdhsa_uses_dynamic_stack 0
		.amdhsa_enable_private_segment 0
		.amdhsa_system_sgpr_workgroup_id_x 1
		.amdhsa_system_sgpr_workgroup_id_y 0
		.amdhsa_system_sgpr_workgroup_id_z 0
		.amdhsa_system_sgpr_workgroup_info 0
		.amdhsa_system_vgpr_workitem_id 0
		.amdhsa_next_free_vgpr 26
		.amdhsa_next_free_sgpr 20
		.amdhsa_named_barrier_count 0
		.amdhsa_reserve_vcc 1
		.amdhsa_float_round_mode_32 0
		.amdhsa_float_round_mode_16_64 0
		.amdhsa_float_denorm_mode_32 3
		.amdhsa_float_denorm_mode_16_64 3
		.amdhsa_fp16_overflow 0
		.amdhsa_memory_ordered 1
		.amdhsa_forward_progress 1
		.amdhsa_inst_pref_size 14
		.amdhsa_round_robin_scheduling 0
		.amdhsa_exception_fp_ieee_invalid_op 0
		.amdhsa_exception_fp_denorm_src 0
		.amdhsa_exception_fp_ieee_div_zero 0
		.amdhsa_exception_fp_ieee_overflow 0
		.amdhsa_exception_fp_ieee_underflow 0
		.amdhsa_exception_fp_ieee_inexact 0
		.amdhsa_exception_int_div_zero 0
	.end_amdhsa_kernel
	.section	.text._ZN2at6native12_GLOBAL__N_125multi_tensor_apply_kernelINS1_18TensorListMetadataILi1EEENS1_14UnaryOpFunctorIN3c108BFloat16ELi1ELi1ELi0EEEJNS0_4Log2IfEEEEEvT_T0_DpT1_,"axG",@progbits,_ZN2at6native12_GLOBAL__N_125multi_tensor_apply_kernelINS1_18TensorListMetadataILi1EEENS1_14UnaryOpFunctorIN3c108BFloat16ELi1ELi1ELi0EEEJNS0_4Log2IfEEEEEvT_T0_DpT1_,comdat
.Lfunc_end200:
	.size	_ZN2at6native12_GLOBAL__N_125multi_tensor_apply_kernelINS1_18TensorListMetadataILi1EEENS1_14UnaryOpFunctorIN3c108BFloat16ELi1ELi1ELi0EEEJNS0_4Log2IfEEEEEvT_T0_DpT1_, .Lfunc_end200-_ZN2at6native12_GLOBAL__N_125multi_tensor_apply_kernelINS1_18TensorListMetadataILi1EEENS1_14UnaryOpFunctorIN3c108BFloat16ELi1ELi1ELi0EEEJNS0_4Log2IfEEEEEvT_T0_DpT1_
                                        ; -- End function
	.set _ZN2at6native12_GLOBAL__N_125multi_tensor_apply_kernelINS1_18TensorListMetadataILi1EEENS1_14UnaryOpFunctorIN3c108BFloat16ELi1ELi1ELi0EEEJNS0_4Log2IfEEEEEvT_T0_DpT1_.num_vgpr, 26
	.set _ZN2at6native12_GLOBAL__N_125multi_tensor_apply_kernelINS1_18TensorListMetadataILi1EEENS1_14UnaryOpFunctorIN3c108BFloat16ELi1ELi1ELi0EEEJNS0_4Log2IfEEEEEvT_T0_DpT1_.num_agpr, 0
	.set _ZN2at6native12_GLOBAL__N_125multi_tensor_apply_kernelINS1_18TensorListMetadataILi1EEENS1_14UnaryOpFunctorIN3c108BFloat16ELi1ELi1ELi0EEEJNS0_4Log2IfEEEEEvT_T0_DpT1_.numbered_sgpr, 20
	.set _ZN2at6native12_GLOBAL__N_125multi_tensor_apply_kernelINS1_18TensorListMetadataILi1EEENS1_14UnaryOpFunctorIN3c108BFloat16ELi1ELi1ELi0EEEJNS0_4Log2IfEEEEEvT_T0_DpT1_.num_named_barrier, 0
	.set _ZN2at6native12_GLOBAL__N_125multi_tensor_apply_kernelINS1_18TensorListMetadataILi1EEENS1_14UnaryOpFunctorIN3c108BFloat16ELi1ELi1ELi0EEEJNS0_4Log2IfEEEEEvT_T0_DpT1_.private_seg_size, 0
	.set _ZN2at6native12_GLOBAL__N_125multi_tensor_apply_kernelINS1_18TensorListMetadataILi1EEENS1_14UnaryOpFunctorIN3c108BFloat16ELi1ELi1ELi0EEEJNS0_4Log2IfEEEEEvT_T0_DpT1_.uses_vcc, 1
	.set _ZN2at6native12_GLOBAL__N_125multi_tensor_apply_kernelINS1_18TensorListMetadataILi1EEENS1_14UnaryOpFunctorIN3c108BFloat16ELi1ELi1ELi0EEEJNS0_4Log2IfEEEEEvT_T0_DpT1_.uses_flat_scratch, 0
	.set _ZN2at6native12_GLOBAL__N_125multi_tensor_apply_kernelINS1_18TensorListMetadataILi1EEENS1_14UnaryOpFunctorIN3c108BFloat16ELi1ELi1ELi0EEEJNS0_4Log2IfEEEEEvT_T0_DpT1_.has_dyn_sized_stack, 0
	.set _ZN2at6native12_GLOBAL__N_125multi_tensor_apply_kernelINS1_18TensorListMetadataILi1EEENS1_14UnaryOpFunctorIN3c108BFloat16ELi1ELi1ELi0EEEJNS0_4Log2IfEEEEEvT_T0_DpT1_.has_recursion, 0
	.set _ZN2at6native12_GLOBAL__N_125multi_tensor_apply_kernelINS1_18TensorListMetadataILi1EEENS1_14UnaryOpFunctorIN3c108BFloat16ELi1ELi1ELi0EEEJNS0_4Log2IfEEEEEvT_T0_DpT1_.has_indirect_call, 0
	.section	.AMDGPU.csdata,"",@progbits
; Kernel info:
; codeLenInByte = 1792
; TotalNumSgprs: 22
; NumVgprs: 26
; ScratchSize: 0
; MemoryBound: 0
; FloatMode: 240
; IeeeMode: 1
; LDSByteSize: 0 bytes/workgroup (compile time only)
; SGPRBlocks: 0
; VGPRBlocks: 1
; NumSGPRsForWavesPerEU: 22
; NumVGPRsForWavesPerEU: 26
; NamedBarCnt: 0
; Occupancy: 16
; WaveLimiterHint : 0
; COMPUTE_PGM_RSRC2:SCRATCH_EN: 0
; COMPUTE_PGM_RSRC2:USER_SGPR: 2
; COMPUTE_PGM_RSRC2:TRAP_HANDLER: 0
; COMPUTE_PGM_RSRC2:TGID_X_EN: 1
; COMPUTE_PGM_RSRC2:TGID_Y_EN: 0
; COMPUTE_PGM_RSRC2:TGID_Z_EN: 0
; COMPUTE_PGM_RSRC2:TIDIG_COMP_CNT: 0
	.section	.text._ZN2at6native12_GLOBAL__N_125multi_tensor_apply_kernelINS1_18TensorListMetadataILi2EEENS1_14UnaryOpFunctorIdLi2ELi1ELi1EEEJNS0_5Log1pIdEEEEEvT_T0_DpT1_,"axG",@progbits,_ZN2at6native12_GLOBAL__N_125multi_tensor_apply_kernelINS1_18TensorListMetadataILi2EEENS1_14UnaryOpFunctorIdLi2ELi1ELi1EEEJNS0_5Log1pIdEEEEEvT_T0_DpT1_,comdat
	.globl	_ZN2at6native12_GLOBAL__N_125multi_tensor_apply_kernelINS1_18TensorListMetadataILi2EEENS1_14UnaryOpFunctorIdLi2ELi1ELi1EEEJNS0_5Log1pIdEEEEEvT_T0_DpT1_ ; -- Begin function _ZN2at6native12_GLOBAL__N_125multi_tensor_apply_kernelINS1_18TensorListMetadataILi2EEENS1_14UnaryOpFunctorIdLi2ELi1ELi1EEEJNS0_5Log1pIdEEEEEvT_T0_DpT1_
	.p2align	8
	.type	_ZN2at6native12_GLOBAL__N_125multi_tensor_apply_kernelINS1_18TensorListMetadataILi2EEENS1_14UnaryOpFunctorIdLi2ELi1ELi1EEEJNS0_5Log1pIdEEEEEvT_T0_DpT1_,@function
_ZN2at6native12_GLOBAL__N_125multi_tensor_apply_kernelINS1_18TensorListMetadataILi2EEENS1_14UnaryOpFunctorIdLi2ELi1ELi1EEEJNS0_5Log1pIdEEEEEvT_T0_DpT1_: ; @_ZN2at6native12_GLOBAL__N_125multi_tensor_apply_kernelINS1_18TensorListMetadataILi2EEENS1_14UnaryOpFunctorIdLi2ELi1ELi1EEEJNS0_5Log1pIdEEEEEvT_T0_DpT1_
; %bb.0:
	s_bfe_u32 s2, ttmp6, 0x4000c
	s_and_b32 s3, ttmp6, 15
	s_add_co_i32 s2, s2, 1
	s_getreg_b32 s4, hwreg(HW_REG_IB_STS2, 6, 4)
	s_mul_i32 s2, ttmp9, s2
	s_delay_alu instid0(SALU_CYCLE_1)
	s_add_co_i32 s3, s3, s2
	s_cmp_eq_u32 s4, 0
	s_cselect_b32 s2, ttmp9, s3
	s_mov_b32 s3, 0
	s_load_u8 s11, s[0:1], s2 offset:0x600
	s_add_nc_u64 s[4:5], s[0:1], s[2:3]
	s_mul_u64 s[6:7], s[2:3], 3
	s_mov_b32 s15, s3
	s_add_nc_u64 s[6:7], s[4:5], s[6:7]
	s_load_b32 s10, s[6:7], 0x740
	s_wait_kmcnt 0x0
	s_clause 0x2
	s_load_b64 s[4:5], s[0:1], s11 offset:0x0 scale_offset
	s_load_b64 s[8:9], s[0:1], s11 offset:0x200 scale_offset
	;; [unrolled: 1-line block ×3, first 2 shown]
	s_wait_xcnt 0x0
	s_ashr_i32 s11, s10, 31
	s_delay_alu instid0(SALU_CYCLE_1)
	s_lshl_b64 s[6:7], s[10:11], 19
	s_wait_kmcnt 0x0
	s_and_b64 s[18:19], s[8:9], 31
	s_add_nc_u64 s[16:17], s[4:5], s[6:7]
	s_and_b32 s14, s12, 3
	s_and_b32 s2, s16, 31
	s_or_b64 s[14:15], s[18:19], s[14:15]
	s_lshl_b64 s[10:11], s[10:11], 16
	s_or_b64 s[2:3], s[14:15], s[2:3]
	s_sub_nc_u64 s[10:11], s[12:13], s[10:11]
	s_cmp_eq_u64 s[2:3], 0
	s_mov_b32 s2, -1
	s_cbranch_scc0 .LBB201_5
; %bb.1:
	v_min_i64 v[14:15], 0x10000, s[10:11]
	v_dual_mov_b32 v3, 0 :: v_dual_lshlrev_b32 v2, 2, v0
	s_mov_b32 s3, exec_lo
	s_delay_alu instid0(VALU_DEP_1)
	v_cmpx_lt_i64_e64 v[2:3], v[14:15]
	s_cbranch_execz .LBB201_4
; %bb.2:
	s_load_b32 s2, s[0:1], 0xc5c
	v_dual_mov_b32 v1, v3 :: v_dual_lshlrev_b32 v2, 5, v0
	v_mov_b64_e32 v[16:17], 0x3fc385386b47b09a
	s_mov_b32 s13, 0
	s_mov_b64 s[14:15], 0x3fe5555555555555
	s_delay_alu instid0(VALU_DEP_2)
	v_mov_b64_e32 v[20:21], v[0:1]
	v_add_nc_u64_e32 v[18:19], s[6:7], v[2:3]
	s_mov_b64 s[16:17], 0x3fe62e42fefa39ef
	s_mov_b32 s19, s13
	s_mov_b32 s20, s13
                                        ; implicit-def: $vgpr2_vgpr3
                                        ; implicit-def: $vgpr2_vgpr3
	;; [unrolled: 1-line block ×5, first 2 shown]
	s_wait_kmcnt 0x0
	s_and_b32 s12, s2, 0xffff
	s_delay_alu instid0(SALU_CYCLE_1)
	s_lshl_b32 s18, s12, 5
.LBB201_3:                              ; =>This Inner Loop Header: Depth=1
	v_add_nc_u64_e32 v[6:7], s[4:5], v[18:19]
	v_add_nc_u64_e32 v[20:21], s[12:13], v[20:21]
	s_clause 0x1
	global_load_b128 v[2:5], v[6:7], off offset:16
	global_load_b128 v[8:11], v[6:7], off
	s_wait_loadcnt 0x0
	s_wait_xcnt 0x0
	v_add_f64_e32 v[6:7], 1.0, v[8:9]
	v_cmp_ngt_f64_e64 s2, -1.0, v[8:9]
	s_delay_alu instid0(VALU_DEP_2) | instskip(SKIP_1) | instid1(VALU_DEP_2)
	v_add_f64_e32 v[12:13], -1.0, v[6:7]
	v_frexp_exp_i32_f64_e32 v1, v[6:7]
	v_add_f64_e64 v[22:23], v[12:13], -v[6:7]
	v_add_f64_e64 v[12:13], v[8:9], -v[12:13]
	s_delay_alu instid0(VALU_DEP_2) | instskip(NEXT) | instid1(VALU_DEP_1)
	v_add_f64_e32 v[22:23], 1.0, v[22:23]
	v_add_f64_e32 v[12:13], v[12:13], v[22:23]
	v_frexp_mant_f64_e32 v[22:23], v[6:7]
	s_delay_alu instid0(VALU_DEP_1) | instskip(SKIP_2) | instid1(VALU_DEP_2)
	v_cmp_gt_f64_e32 vcc_lo, s[14:15], v[22:23]
	v_subrev_co_ci_u32_e64 v1, null, 0, v1, vcc_lo
	v_cmp_neq_f64_e32 vcc_lo, 0x7ff00000, v[8:9]
	v_sub_nc_u32_e32 v22, 0, v1
	s_delay_alu instid0(VALU_DEP_1) | instskip(SKIP_1) | instid1(VALU_DEP_2)
	v_ldexp_f64 v[6:7], v[6:7], v22
	v_ldexp_f64 v[12:13], v[12:13], v22
	v_add_f64_e32 v[22:23], -1.0, v[6:7]
	s_delay_alu instid0(VALU_DEP_1) | instskip(NEXT) | instid1(VALU_DEP_1)
	v_add_f64_e32 v[24:25], 1.0, v[22:23]
	v_add_f64_e64 v[24:25], v[6:7], -v[24:25]
	s_delay_alu instid0(VALU_DEP_1) | instskip(NEXT) | instid1(VALU_DEP_1)
	v_add_f64_e32 v[24:25], v[12:13], v[24:25]
	v_add_f64_e32 v[26:27], v[22:23], v[24:25]
	s_delay_alu instid0(VALU_DEP_1) | instskip(NEXT) | instid1(VALU_DEP_1)
	v_add_f64_e64 v[22:23], v[26:27], -v[22:23]
	v_add_f64_e64 v[22:23], v[24:25], -v[22:23]
	v_add_f64_e32 v[24:25], 1.0, v[6:7]
	s_delay_alu instid0(VALU_DEP_1) | instskip(NEXT) | instid1(VALU_DEP_1)
	v_add_f64_e32 v[28:29], -1.0, v[24:25]
	v_add_f64_e64 v[6:7], v[6:7], -v[28:29]
	s_delay_alu instid0(VALU_DEP_1) | instskip(NEXT) | instid1(VALU_DEP_1)
	v_add_f64_e32 v[6:7], v[12:13], v[6:7]
	v_add_f64_e32 v[12:13], v[24:25], v[6:7]
	s_delay_alu instid0(VALU_DEP_1) | instskip(NEXT) | instid1(VALU_DEP_1)
	v_add_f64_e64 v[24:25], v[12:13], -v[24:25]
	v_add_f64_e64 v[6:7], v[6:7], -v[24:25]
	v_rcp_f64_e32 v[24:25], v[12:13]
	v_nop
	s_delay_alu instid0(TRANS32_DEP_1) | instskip(NEXT) | instid1(VALU_DEP_1)
	v_fma_f64 v[28:29], -v[12:13], v[24:25], 1.0
	v_fmac_f64_e32 v[24:25], v[28:29], v[24:25]
	s_delay_alu instid0(VALU_DEP_1) | instskip(NEXT) | instid1(VALU_DEP_1)
	v_fma_f64 v[28:29], -v[12:13], v[24:25], 1.0
	v_fmac_f64_e32 v[24:25], v[28:29], v[24:25]
	s_delay_alu instid0(VALU_DEP_1) | instskip(NEXT) | instid1(VALU_DEP_1)
	v_mul_f64_e32 v[28:29], v[26:27], v[24:25]
	v_mul_f64_e32 v[30:31], v[12:13], v[28:29]
	s_delay_alu instid0(VALU_DEP_1) | instskip(NEXT) | instid1(VALU_DEP_1)
	v_fma_f64 v[32:33], v[28:29], v[12:13], -v[30:31]
	v_fmac_f64_e32 v[32:33], v[28:29], v[6:7]
	s_delay_alu instid0(VALU_DEP_1) | instskip(NEXT) | instid1(VALU_DEP_1)
	v_add_f64_e32 v[34:35], v[30:31], v[32:33]
	v_add_f64_e64 v[36:37], v[26:27], -v[34:35]
	v_add_f64_e64 v[30:31], v[34:35], -v[30:31]
	s_delay_alu instid0(VALU_DEP_2) | instskip(NEXT) | instid1(VALU_DEP_1)
	v_add_f64_e64 v[26:27], v[26:27], -v[36:37]
	v_add_f64_e64 v[26:27], v[26:27], -v[34:35]
	s_delay_alu instid0(VALU_DEP_1) | instskip(NEXT) | instid1(VALU_DEP_4)
	v_add_f64_e32 v[22:23], v[22:23], v[26:27]
	v_add_f64_e64 v[26:27], v[30:31], -v[32:33]
	s_delay_alu instid0(VALU_DEP_1) | instskip(NEXT) | instid1(VALU_DEP_1)
	v_add_f64_e32 v[22:23], v[26:27], v[22:23]
	v_add_f64_e32 v[26:27], v[36:37], v[22:23]
	s_delay_alu instid0(VALU_DEP_1) | instskip(NEXT) | instid1(VALU_DEP_1)
	v_add_f64_e64 v[30:31], v[36:37], -v[26:27]
	v_add_f64_e32 v[22:23], v[22:23], v[30:31]
	v_mul_f64_e32 v[30:31], v[24:25], v[26:27]
	s_delay_alu instid0(VALU_DEP_1) | instskip(NEXT) | instid1(VALU_DEP_1)
	v_mul_f64_e32 v[32:33], v[12:13], v[30:31]
	v_fma_f64 v[12:13], v[30:31], v[12:13], -v[32:33]
	s_delay_alu instid0(VALU_DEP_1) | instskip(NEXT) | instid1(VALU_DEP_1)
	v_fmac_f64_e32 v[12:13], v[30:31], v[6:7]
	v_add_f64_e32 v[6:7], v[32:33], v[12:13]
	s_delay_alu instid0(VALU_DEP_1) | instskip(SKIP_1) | instid1(VALU_DEP_2)
	v_add_f64_e64 v[34:35], v[26:27], -v[6:7]
	v_add_f64_e64 v[32:33], v[6:7], -v[32:33]
	;; [unrolled: 1-line block ×3, first 2 shown]
	s_delay_alu instid0(VALU_DEP_2) | instskip(NEXT) | instid1(VALU_DEP_2)
	v_add_f64_e64 v[12:13], v[32:33], -v[12:13]
	v_add_f64_e64 v[6:7], v[26:27], -v[6:7]
	v_cvt_f64_i32_e32 v[26:27], v1
	s_delay_alu instid0(VALU_DEP_2) | instskip(NEXT) | instid1(VALU_DEP_1)
	v_add_f64_e32 v[6:7], v[22:23], v[6:7]
	v_add_f64_e32 v[6:7], v[12:13], v[6:7]
	;; [unrolled: 1-line block ×3, first 2 shown]
	s_delay_alu instid0(VALU_DEP_2) | instskip(NEXT) | instid1(VALU_DEP_2)
	v_add_f64_e32 v[6:7], v[34:35], v[6:7]
	v_add_f64_e64 v[22:23], v[12:13], -v[28:29]
	v_mul_f64_e32 v[28:29], 0x3fe62e42fefa39ef, v[26:27]
	s_delay_alu instid0(VALU_DEP_3) | instskip(NEXT) | instid1(VALU_DEP_3)
	v_mul_f64_e32 v[6:7], v[24:25], v[6:7]
	v_add_f64_e64 v[22:23], v[30:31], -v[22:23]
	s_delay_alu instid0(VALU_DEP_3) | instskip(NEXT) | instid1(VALU_DEP_2)
	v_fma_f64 v[30:31], v[26:27], s[16:17], -v[28:29]
	v_add_f64_e32 v[6:7], v[22:23], v[6:7]
	s_delay_alu instid0(VALU_DEP_2) | instskip(NEXT) | instid1(VALU_DEP_2)
	v_fmac_f64_e32 v[30:31], 0x3c7abc9e3b39803f, v[26:27]
	v_add_f64_e32 v[22:23], v[12:13], v[6:7]
	s_delay_alu instid0(VALU_DEP_2) | instskip(NEXT) | instid1(VALU_DEP_2)
	v_add_f64_e32 v[26:27], v[28:29], v[30:31]
	v_add_f64_e64 v[12:13], v[22:23], -v[12:13]
	s_delay_alu instid0(VALU_DEP_2) | instskip(NEXT) | instid1(VALU_DEP_2)
	v_add_f64_e64 v[28:29], v[26:27], -v[28:29]
	v_add_f64_e64 v[6:7], v[6:7], -v[12:13]
	v_mul_f64_e32 v[12:13], v[22:23], v[22:23]
	s_delay_alu instid0(VALU_DEP_3) | instskip(SKIP_1) | instid1(VALU_DEP_4)
	v_add_f64_e64 v[28:29], v[30:31], -v[28:29]
	v_ldexp_f64 v[30:31], v[22:23], 1
	v_ldexp_f64 v[6:7], v[6:7], 1
	s_delay_alu instid0(VALU_DEP_4) | instskip(NEXT) | instid1(VALU_DEP_1)
	v_fmamk_f64 v[24:25], v[12:13], 0x3fc3ab76bf559e2b, v[16:17]
	v_fmaak_f64 v[24:25], v[12:13], v[24:25], 0x3fc7474dd7f4df2e
	s_delay_alu instid0(VALU_DEP_1) | instskip(NEXT) | instid1(VALU_DEP_1)
	v_fmaak_f64 v[24:25], v[12:13], v[24:25], 0x3fcc71c016291751
	v_fmaak_f64 v[24:25], v[12:13], v[24:25], 0x3fd249249b27acf1
	s_delay_alu instid0(VALU_DEP_1) | instskip(NEXT) | instid1(VALU_DEP_1)
	v_fmaak_f64 v[24:25], v[12:13], v[24:25], 0x3fd99999998ef7b6
	v_fmaak_f64 v[24:25], v[12:13], v[24:25], 0x3fe5555555555780
	v_mul_f64_e32 v[12:13], v[22:23], v[12:13]
	s_delay_alu instid0(VALU_DEP_1) | instskip(NEXT) | instid1(VALU_DEP_1)
	v_mul_f64_e32 v[12:13], v[12:13], v[24:25]
	v_add_f64_e32 v[22:23], v[30:31], v[12:13]
	s_delay_alu instid0(VALU_DEP_1) | instskip(NEXT) | instid1(VALU_DEP_1)
	v_add_f64_e64 v[24:25], v[22:23], -v[30:31]
	v_add_f64_e64 v[12:13], v[12:13], -v[24:25]
	s_delay_alu instid0(VALU_DEP_1) | instskip(NEXT) | instid1(VALU_DEP_1)
	v_add_f64_e32 v[6:7], v[6:7], v[12:13]
	v_add_f64_e32 v[12:13], v[22:23], v[6:7]
	s_delay_alu instid0(VALU_DEP_1) | instskip(NEXT) | instid1(VALU_DEP_1)
	v_add_f64_e64 v[22:23], v[12:13], -v[22:23]
	v_add_f64_e64 v[6:7], v[6:7], -v[22:23]
	v_add_f64_e32 v[22:23], v[26:27], v[12:13]
	s_delay_alu instid0(VALU_DEP_1) | instskip(NEXT) | instid1(VALU_DEP_1)
	v_add_f64_e64 v[24:25], v[22:23], -v[26:27]
	v_add_f64_e64 v[30:31], v[22:23], -v[24:25]
	;; [unrolled: 1-line block ×3, first 2 shown]
	v_add_f64_e32 v[24:25], v[28:29], v[6:7]
	s_delay_alu instid0(VALU_DEP_3) | instskip(NEXT) | instid1(VALU_DEP_1)
	v_add_f64_e64 v[26:27], v[26:27], -v[30:31]
	v_add_f64_e32 v[12:13], v[12:13], v[26:27]
	s_delay_alu instid0(VALU_DEP_3) | instskip(NEXT) | instid1(VALU_DEP_2)
	v_add_f64_e64 v[26:27], v[24:25], -v[28:29]
	v_add_f64_e32 v[12:13], v[24:25], v[12:13]
	s_delay_alu instid0(VALU_DEP_2) | instskip(SKIP_1) | instid1(VALU_DEP_3)
	v_add_f64_e64 v[30:31], v[24:25], -v[26:27]
	v_add_f64_e64 v[6:7], v[6:7], -v[26:27]
	v_add_f64_e32 v[24:25], v[22:23], v[12:13]
	s_delay_alu instid0(VALU_DEP_3) | instskip(NEXT) | instid1(VALU_DEP_2)
	v_add_f64_e64 v[28:29], v[28:29], -v[30:31]
	v_add_f64_e64 v[22:23], v[24:25], -v[22:23]
	s_delay_alu instid0(VALU_DEP_2) | instskip(NEXT) | instid1(VALU_DEP_2)
	v_add_f64_e32 v[6:7], v[6:7], v[28:29]
	v_add_f64_e64 v[12:13], v[12:13], -v[22:23]
	s_delay_alu instid0(VALU_DEP_1) | instskip(NEXT) | instid1(VALU_DEP_1)
	v_add_f64_e32 v[6:7], v[6:7], v[12:13]
	v_add_f64_e32 v[6:7], v[24:25], v[6:7]
	s_delay_alu instid0(VALU_DEP_1) | instskip(NEXT) | instid1(VALU_DEP_1)
	v_cndmask_b32_e32 v1, 0x7ff00000, v7, vcc_lo
	v_cndmask_b32_e64 v1, 0x7ff80000, v1, s2
	v_cmp_nge_f64_e64 s2, -1.0, v[8:9]
	s_and_b32 vcc_lo, s2, vcc_lo
	v_cmp_ngt_f64_e64 s2, -1.0, v[10:11]
	v_cndmask_b32_e32 v6, 0, v6, vcc_lo
	v_cmp_neq_f64_e32 vcc_lo, -1.0, v[8:9]
	v_add_f64_e32 v[8:9], 1.0, v[10:11]
	v_cndmask_b32_e32 v7, 0xfff00000, v1, vcc_lo
	s_delay_alu instid0(VALU_DEP_2) | instskip(SKIP_1) | instid1(VALU_DEP_2)
	v_add_f64_e32 v[12:13], -1.0, v[8:9]
	v_frexp_exp_i32_f64_e32 v1, v[8:9]
	v_add_f64_e64 v[22:23], v[12:13], -v[8:9]
	v_add_f64_e64 v[12:13], v[10:11], -v[12:13]
	s_delay_alu instid0(VALU_DEP_2) | instskip(NEXT) | instid1(VALU_DEP_1)
	v_add_f64_e32 v[22:23], 1.0, v[22:23]
	v_add_f64_e32 v[12:13], v[12:13], v[22:23]
	v_frexp_mant_f64_e32 v[22:23], v[8:9]
	s_delay_alu instid0(VALU_DEP_1) | instskip(SKIP_2) | instid1(VALU_DEP_2)
	v_cmp_gt_f64_e32 vcc_lo, s[14:15], v[22:23]
	v_subrev_co_ci_u32_e64 v1, null, 0, v1, vcc_lo
	v_cmp_neq_f64_e32 vcc_lo, 0x7ff00000, v[10:11]
	v_sub_nc_u32_e32 v22, 0, v1
	s_delay_alu instid0(VALU_DEP_1) | instskip(SKIP_1) | instid1(VALU_DEP_2)
	v_ldexp_f64 v[8:9], v[8:9], v22
	v_ldexp_f64 v[12:13], v[12:13], v22
	v_add_f64_e32 v[22:23], -1.0, v[8:9]
	s_delay_alu instid0(VALU_DEP_1) | instskip(NEXT) | instid1(VALU_DEP_1)
	v_add_f64_e32 v[24:25], 1.0, v[22:23]
	v_add_f64_e64 v[24:25], v[8:9], -v[24:25]
	s_delay_alu instid0(VALU_DEP_1) | instskip(NEXT) | instid1(VALU_DEP_1)
	v_add_f64_e32 v[24:25], v[12:13], v[24:25]
	v_add_f64_e32 v[26:27], v[22:23], v[24:25]
	s_delay_alu instid0(VALU_DEP_1) | instskip(NEXT) | instid1(VALU_DEP_1)
	v_add_f64_e64 v[22:23], v[26:27], -v[22:23]
	v_add_f64_e64 v[22:23], v[24:25], -v[22:23]
	v_add_f64_e32 v[24:25], 1.0, v[8:9]
	s_delay_alu instid0(VALU_DEP_1) | instskip(NEXT) | instid1(VALU_DEP_1)
	v_add_f64_e32 v[28:29], -1.0, v[24:25]
	v_add_f64_e64 v[8:9], v[8:9], -v[28:29]
	s_delay_alu instid0(VALU_DEP_1) | instskip(NEXT) | instid1(VALU_DEP_1)
	v_add_f64_e32 v[8:9], v[12:13], v[8:9]
	v_add_f64_e32 v[12:13], v[24:25], v[8:9]
	s_delay_alu instid0(VALU_DEP_1) | instskip(NEXT) | instid1(VALU_DEP_1)
	v_add_f64_e64 v[24:25], v[12:13], -v[24:25]
	v_add_f64_e64 v[8:9], v[8:9], -v[24:25]
	v_rcp_f64_e32 v[24:25], v[12:13]
	v_nop
	s_delay_alu instid0(TRANS32_DEP_1) | instskip(NEXT) | instid1(VALU_DEP_1)
	v_fma_f64 v[28:29], -v[12:13], v[24:25], 1.0
	v_fmac_f64_e32 v[24:25], v[28:29], v[24:25]
	s_delay_alu instid0(VALU_DEP_1) | instskip(NEXT) | instid1(VALU_DEP_1)
	v_fma_f64 v[28:29], -v[12:13], v[24:25], 1.0
	v_fmac_f64_e32 v[24:25], v[28:29], v[24:25]
	s_delay_alu instid0(VALU_DEP_1) | instskip(NEXT) | instid1(VALU_DEP_1)
	v_mul_f64_e32 v[28:29], v[26:27], v[24:25]
	v_mul_f64_e32 v[30:31], v[12:13], v[28:29]
	s_delay_alu instid0(VALU_DEP_1) | instskip(NEXT) | instid1(VALU_DEP_1)
	v_fma_f64 v[32:33], v[28:29], v[12:13], -v[30:31]
	v_fmac_f64_e32 v[32:33], v[28:29], v[8:9]
	s_delay_alu instid0(VALU_DEP_1) | instskip(NEXT) | instid1(VALU_DEP_1)
	v_add_f64_e32 v[34:35], v[30:31], v[32:33]
	v_add_f64_e64 v[36:37], v[26:27], -v[34:35]
	v_add_f64_e64 v[30:31], v[34:35], -v[30:31]
	s_delay_alu instid0(VALU_DEP_2) | instskip(NEXT) | instid1(VALU_DEP_1)
	v_add_f64_e64 v[26:27], v[26:27], -v[36:37]
	v_add_f64_e64 v[26:27], v[26:27], -v[34:35]
	s_delay_alu instid0(VALU_DEP_1) | instskip(NEXT) | instid1(VALU_DEP_4)
	v_add_f64_e32 v[22:23], v[22:23], v[26:27]
	v_add_f64_e64 v[26:27], v[30:31], -v[32:33]
	s_delay_alu instid0(VALU_DEP_1) | instskip(NEXT) | instid1(VALU_DEP_1)
	v_add_f64_e32 v[22:23], v[26:27], v[22:23]
	v_add_f64_e32 v[26:27], v[36:37], v[22:23]
	s_delay_alu instid0(VALU_DEP_1) | instskip(NEXT) | instid1(VALU_DEP_1)
	v_add_f64_e64 v[30:31], v[36:37], -v[26:27]
	v_add_f64_e32 v[22:23], v[22:23], v[30:31]
	v_mul_f64_e32 v[30:31], v[24:25], v[26:27]
	s_delay_alu instid0(VALU_DEP_1) | instskip(NEXT) | instid1(VALU_DEP_1)
	v_mul_f64_e32 v[32:33], v[12:13], v[30:31]
	v_fma_f64 v[12:13], v[30:31], v[12:13], -v[32:33]
	s_delay_alu instid0(VALU_DEP_1) | instskip(NEXT) | instid1(VALU_DEP_1)
	v_fmac_f64_e32 v[12:13], v[30:31], v[8:9]
	v_add_f64_e32 v[8:9], v[32:33], v[12:13]
	s_delay_alu instid0(VALU_DEP_1) | instskip(SKIP_1) | instid1(VALU_DEP_2)
	v_add_f64_e64 v[34:35], v[26:27], -v[8:9]
	v_add_f64_e64 v[32:33], v[8:9], -v[32:33]
	;; [unrolled: 1-line block ×3, first 2 shown]
	s_delay_alu instid0(VALU_DEP_2) | instskip(NEXT) | instid1(VALU_DEP_2)
	v_add_f64_e64 v[12:13], v[32:33], -v[12:13]
	v_add_f64_e64 v[8:9], v[26:27], -v[8:9]
	v_cvt_f64_i32_e32 v[26:27], v1
	s_delay_alu instid0(VALU_DEP_2) | instskip(NEXT) | instid1(VALU_DEP_1)
	v_add_f64_e32 v[8:9], v[22:23], v[8:9]
	v_add_f64_e32 v[8:9], v[12:13], v[8:9]
	;; [unrolled: 1-line block ×3, first 2 shown]
	s_delay_alu instid0(VALU_DEP_2) | instskip(NEXT) | instid1(VALU_DEP_2)
	v_add_f64_e32 v[8:9], v[34:35], v[8:9]
	v_add_f64_e64 v[22:23], v[12:13], -v[28:29]
	v_mul_f64_e32 v[28:29], 0x3fe62e42fefa39ef, v[26:27]
	s_delay_alu instid0(VALU_DEP_3) | instskip(NEXT) | instid1(VALU_DEP_3)
	v_mul_f64_e32 v[8:9], v[24:25], v[8:9]
	v_add_f64_e64 v[22:23], v[30:31], -v[22:23]
	s_delay_alu instid0(VALU_DEP_3) | instskip(NEXT) | instid1(VALU_DEP_2)
	v_fma_f64 v[30:31], v[26:27], s[16:17], -v[28:29]
	v_add_f64_e32 v[8:9], v[22:23], v[8:9]
	s_delay_alu instid0(VALU_DEP_2) | instskip(NEXT) | instid1(VALU_DEP_2)
	v_fmac_f64_e32 v[30:31], 0x3c7abc9e3b39803f, v[26:27]
	v_add_f64_e32 v[22:23], v[12:13], v[8:9]
	s_delay_alu instid0(VALU_DEP_2) | instskip(NEXT) | instid1(VALU_DEP_2)
	v_add_f64_e32 v[26:27], v[28:29], v[30:31]
	v_add_f64_e64 v[12:13], v[22:23], -v[12:13]
	s_delay_alu instid0(VALU_DEP_2) | instskip(NEXT) | instid1(VALU_DEP_2)
	v_add_f64_e64 v[28:29], v[26:27], -v[28:29]
	v_add_f64_e64 v[8:9], v[8:9], -v[12:13]
	v_mul_f64_e32 v[12:13], v[22:23], v[22:23]
	s_delay_alu instid0(VALU_DEP_3) | instskip(SKIP_1) | instid1(VALU_DEP_4)
	v_add_f64_e64 v[28:29], v[30:31], -v[28:29]
	v_ldexp_f64 v[30:31], v[22:23], 1
	v_ldexp_f64 v[8:9], v[8:9], 1
	s_delay_alu instid0(VALU_DEP_4) | instskip(NEXT) | instid1(VALU_DEP_1)
	v_fmamk_f64 v[24:25], v[12:13], 0x3fc3ab76bf559e2b, v[16:17]
	v_fmaak_f64 v[24:25], v[12:13], v[24:25], 0x3fc7474dd7f4df2e
	s_delay_alu instid0(VALU_DEP_1) | instskip(NEXT) | instid1(VALU_DEP_1)
	v_fmaak_f64 v[24:25], v[12:13], v[24:25], 0x3fcc71c016291751
	v_fmaak_f64 v[24:25], v[12:13], v[24:25], 0x3fd249249b27acf1
	s_delay_alu instid0(VALU_DEP_1) | instskip(NEXT) | instid1(VALU_DEP_1)
	v_fmaak_f64 v[24:25], v[12:13], v[24:25], 0x3fd99999998ef7b6
	v_fmaak_f64 v[24:25], v[12:13], v[24:25], 0x3fe5555555555780
	v_mul_f64_e32 v[12:13], v[22:23], v[12:13]
	s_delay_alu instid0(VALU_DEP_1) | instskip(NEXT) | instid1(VALU_DEP_1)
	v_mul_f64_e32 v[12:13], v[12:13], v[24:25]
	v_add_f64_e32 v[22:23], v[30:31], v[12:13]
	s_delay_alu instid0(VALU_DEP_1) | instskip(NEXT) | instid1(VALU_DEP_1)
	v_add_f64_e64 v[24:25], v[22:23], -v[30:31]
	v_add_f64_e64 v[12:13], v[12:13], -v[24:25]
	s_delay_alu instid0(VALU_DEP_1) | instskip(NEXT) | instid1(VALU_DEP_1)
	v_add_f64_e32 v[8:9], v[8:9], v[12:13]
	v_add_f64_e32 v[12:13], v[22:23], v[8:9]
	s_delay_alu instid0(VALU_DEP_1) | instskip(NEXT) | instid1(VALU_DEP_1)
	v_add_f64_e64 v[22:23], v[12:13], -v[22:23]
	v_add_f64_e64 v[8:9], v[8:9], -v[22:23]
	v_add_f64_e32 v[22:23], v[26:27], v[12:13]
	s_delay_alu instid0(VALU_DEP_1) | instskip(NEXT) | instid1(VALU_DEP_1)
	v_add_f64_e64 v[24:25], v[22:23], -v[26:27]
	v_add_f64_e64 v[30:31], v[22:23], -v[24:25]
	;; [unrolled: 1-line block ×3, first 2 shown]
	v_add_f64_e32 v[24:25], v[28:29], v[8:9]
	s_delay_alu instid0(VALU_DEP_3) | instskip(NEXT) | instid1(VALU_DEP_1)
	v_add_f64_e64 v[26:27], v[26:27], -v[30:31]
	v_add_f64_e32 v[12:13], v[12:13], v[26:27]
	s_delay_alu instid0(VALU_DEP_3) | instskip(NEXT) | instid1(VALU_DEP_2)
	v_add_f64_e64 v[26:27], v[24:25], -v[28:29]
	v_add_f64_e32 v[12:13], v[24:25], v[12:13]
	s_delay_alu instid0(VALU_DEP_2) | instskip(SKIP_1) | instid1(VALU_DEP_3)
	v_add_f64_e64 v[30:31], v[24:25], -v[26:27]
	v_add_f64_e64 v[8:9], v[8:9], -v[26:27]
	v_add_f64_e32 v[24:25], v[22:23], v[12:13]
	s_delay_alu instid0(VALU_DEP_3) | instskip(NEXT) | instid1(VALU_DEP_2)
	v_add_f64_e64 v[28:29], v[28:29], -v[30:31]
	v_add_f64_e64 v[22:23], v[24:25], -v[22:23]
	s_delay_alu instid0(VALU_DEP_2) | instskip(NEXT) | instid1(VALU_DEP_2)
	v_add_f64_e32 v[8:9], v[8:9], v[28:29]
	v_add_f64_e64 v[12:13], v[12:13], -v[22:23]
	s_delay_alu instid0(VALU_DEP_1) | instskip(NEXT) | instid1(VALU_DEP_1)
	v_add_f64_e32 v[8:9], v[8:9], v[12:13]
	v_add_f64_e32 v[8:9], v[24:25], v[8:9]
	s_delay_alu instid0(VALU_DEP_1) | instskip(NEXT) | instid1(VALU_DEP_1)
	v_cndmask_b32_e32 v1, 0x7ff00000, v9, vcc_lo
	v_cndmask_b32_e64 v1, 0x7ff80000, v1, s2
	v_cmp_nge_f64_e64 s2, -1.0, v[10:11]
	s_and_b32 vcc_lo, s2, vcc_lo
	v_cmp_ngt_f64_e64 s2, -1.0, v[2:3]
	v_cndmask_b32_e32 v8, 0, v8, vcc_lo
	v_cmp_neq_f64_e32 vcc_lo, -1.0, v[10:11]
	v_add_f64_e32 v[10:11], 1.0, v[2:3]
	v_cndmask_b32_e32 v9, 0xfff00000, v1, vcc_lo
	s_delay_alu instid0(VALU_DEP_2) | instskip(SKIP_1) | instid1(VALU_DEP_2)
	v_add_f64_e32 v[12:13], -1.0, v[10:11]
	v_frexp_exp_i32_f64_e32 v1, v[10:11]
	v_add_f64_e64 v[22:23], v[12:13], -v[10:11]
	v_add_f64_e64 v[12:13], v[2:3], -v[12:13]
	s_delay_alu instid0(VALU_DEP_2) | instskip(NEXT) | instid1(VALU_DEP_1)
	v_add_f64_e32 v[22:23], 1.0, v[22:23]
	v_add_f64_e32 v[12:13], v[12:13], v[22:23]
	v_frexp_mant_f64_e32 v[22:23], v[10:11]
	s_delay_alu instid0(VALU_DEP_1) | instskip(SKIP_2) | instid1(VALU_DEP_2)
	v_cmp_gt_f64_e32 vcc_lo, s[14:15], v[22:23]
	v_subrev_co_ci_u32_e64 v1, null, 0, v1, vcc_lo
	v_cmp_neq_f64_e32 vcc_lo, 0x7ff00000, v[2:3]
	v_sub_nc_u32_e32 v22, 0, v1
	s_delay_alu instid0(VALU_DEP_1) | instskip(SKIP_1) | instid1(VALU_DEP_2)
	v_ldexp_f64 v[10:11], v[10:11], v22
	v_ldexp_f64 v[12:13], v[12:13], v22
	v_add_f64_e32 v[22:23], -1.0, v[10:11]
	s_delay_alu instid0(VALU_DEP_1) | instskip(NEXT) | instid1(VALU_DEP_1)
	v_add_f64_e32 v[24:25], 1.0, v[22:23]
	v_add_f64_e64 v[24:25], v[10:11], -v[24:25]
	s_delay_alu instid0(VALU_DEP_1) | instskip(NEXT) | instid1(VALU_DEP_1)
	v_add_f64_e32 v[24:25], v[12:13], v[24:25]
	v_add_f64_e32 v[26:27], v[22:23], v[24:25]
	s_delay_alu instid0(VALU_DEP_1) | instskip(NEXT) | instid1(VALU_DEP_1)
	v_add_f64_e64 v[22:23], v[26:27], -v[22:23]
	v_add_f64_e64 v[22:23], v[24:25], -v[22:23]
	v_add_f64_e32 v[24:25], 1.0, v[10:11]
	s_delay_alu instid0(VALU_DEP_1) | instskip(NEXT) | instid1(VALU_DEP_1)
	v_add_f64_e32 v[28:29], -1.0, v[24:25]
	v_add_f64_e64 v[10:11], v[10:11], -v[28:29]
	s_delay_alu instid0(VALU_DEP_1) | instskip(NEXT) | instid1(VALU_DEP_1)
	v_add_f64_e32 v[10:11], v[12:13], v[10:11]
	v_add_f64_e32 v[12:13], v[24:25], v[10:11]
	s_delay_alu instid0(VALU_DEP_1) | instskip(NEXT) | instid1(VALU_DEP_1)
	v_add_f64_e64 v[24:25], v[12:13], -v[24:25]
	v_add_f64_e64 v[10:11], v[10:11], -v[24:25]
	v_rcp_f64_e32 v[24:25], v[12:13]
	v_nop
	s_delay_alu instid0(TRANS32_DEP_1) | instskip(NEXT) | instid1(VALU_DEP_1)
	v_fma_f64 v[28:29], -v[12:13], v[24:25], 1.0
	v_fmac_f64_e32 v[24:25], v[28:29], v[24:25]
	s_delay_alu instid0(VALU_DEP_1) | instskip(NEXT) | instid1(VALU_DEP_1)
	v_fma_f64 v[28:29], -v[12:13], v[24:25], 1.0
	v_fmac_f64_e32 v[24:25], v[28:29], v[24:25]
	s_delay_alu instid0(VALU_DEP_1) | instskip(NEXT) | instid1(VALU_DEP_1)
	v_mul_f64_e32 v[28:29], v[26:27], v[24:25]
	v_mul_f64_e32 v[30:31], v[12:13], v[28:29]
	s_delay_alu instid0(VALU_DEP_1) | instskip(NEXT) | instid1(VALU_DEP_1)
	v_fma_f64 v[32:33], v[28:29], v[12:13], -v[30:31]
	v_fmac_f64_e32 v[32:33], v[28:29], v[10:11]
	s_delay_alu instid0(VALU_DEP_1) | instskip(NEXT) | instid1(VALU_DEP_1)
	v_add_f64_e32 v[34:35], v[30:31], v[32:33]
	v_add_f64_e64 v[36:37], v[26:27], -v[34:35]
	v_add_f64_e64 v[30:31], v[34:35], -v[30:31]
	s_delay_alu instid0(VALU_DEP_2) | instskip(NEXT) | instid1(VALU_DEP_1)
	v_add_f64_e64 v[26:27], v[26:27], -v[36:37]
	v_add_f64_e64 v[26:27], v[26:27], -v[34:35]
	s_delay_alu instid0(VALU_DEP_1) | instskip(NEXT) | instid1(VALU_DEP_4)
	v_add_f64_e32 v[22:23], v[22:23], v[26:27]
	v_add_f64_e64 v[26:27], v[30:31], -v[32:33]
	s_delay_alu instid0(VALU_DEP_1) | instskip(NEXT) | instid1(VALU_DEP_1)
	v_add_f64_e32 v[22:23], v[26:27], v[22:23]
	v_add_f64_e32 v[26:27], v[36:37], v[22:23]
	s_delay_alu instid0(VALU_DEP_1) | instskip(NEXT) | instid1(VALU_DEP_1)
	v_add_f64_e64 v[30:31], v[36:37], -v[26:27]
	v_add_f64_e32 v[22:23], v[22:23], v[30:31]
	v_mul_f64_e32 v[30:31], v[24:25], v[26:27]
	s_delay_alu instid0(VALU_DEP_1) | instskip(NEXT) | instid1(VALU_DEP_1)
	v_mul_f64_e32 v[32:33], v[12:13], v[30:31]
	v_fma_f64 v[12:13], v[30:31], v[12:13], -v[32:33]
	s_delay_alu instid0(VALU_DEP_1) | instskip(NEXT) | instid1(VALU_DEP_1)
	v_fmac_f64_e32 v[12:13], v[30:31], v[10:11]
	v_add_f64_e32 v[10:11], v[32:33], v[12:13]
	s_delay_alu instid0(VALU_DEP_1) | instskip(SKIP_1) | instid1(VALU_DEP_2)
	v_add_f64_e64 v[34:35], v[26:27], -v[10:11]
	v_add_f64_e64 v[32:33], v[10:11], -v[32:33]
	;; [unrolled: 1-line block ×3, first 2 shown]
	s_delay_alu instid0(VALU_DEP_2) | instskip(NEXT) | instid1(VALU_DEP_2)
	v_add_f64_e64 v[12:13], v[32:33], -v[12:13]
	v_add_f64_e64 v[10:11], v[26:27], -v[10:11]
	v_cvt_f64_i32_e32 v[26:27], v1
	s_delay_alu instid0(VALU_DEP_2) | instskip(NEXT) | instid1(VALU_DEP_1)
	v_add_f64_e32 v[10:11], v[22:23], v[10:11]
	v_add_f64_e32 v[10:11], v[12:13], v[10:11]
	;; [unrolled: 1-line block ×3, first 2 shown]
	s_delay_alu instid0(VALU_DEP_2) | instskip(NEXT) | instid1(VALU_DEP_2)
	v_add_f64_e32 v[10:11], v[34:35], v[10:11]
	v_add_f64_e64 v[22:23], v[12:13], -v[28:29]
	v_mul_f64_e32 v[28:29], 0x3fe62e42fefa39ef, v[26:27]
	s_delay_alu instid0(VALU_DEP_3) | instskip(NEXT) | instid1(VALU_DEP_3)
	v_mul_f64_e32 v[10:11], v[24:25], v[10:11]
	v_add_f64_e64 v[22:23], v[30:31], -v[22:23]
	s_delay_alu instid0(VALU_DEP_3) | instskip(NEXT) | instid1(VALU_DEP_2)
	v_fma_f64 v[30:31], v[26:27], s[16:17], -v[28:29]
	v_add_f64_e32 v[10:11], v[22:23], v[10:11]
	s_delay_alu instid0(VALU_DEP_2) | instskip(NEXT) | instid1(VALU_DEP_2)
	v_fmac_f64_e32 v[30:31], 0x3c7abc9e3b39803f, v[26:27]
	v_add_f64_e32 v[22:23], v[12:13], v[10:11]
	s_delay_alu instid0(VALU_DEP_2) | instskip(NEXT) | instid1(VALU_DEP_2)
	v_add_f64_e32 v[26:27], v[28:29], v[30:31]
	v_add_f64_e64 v[12:13], v[22:23], -v[12:13]
	s_delay_alu instid0(VALU_DEP_2) | instskip(NEXT) | instid1(VALU_DEP_2)
	v_add_f64_e64 v[28:29], v[26:27], -v[28:29]
	v_add_f64_e64 v[10:11], v[10:11], -v[12:13]
	v_mul_f64_e32 v[12:13], v[22:23], v[22:23]
	s_delay_alu instid0(VALU_DEP_3) | instskip(SKIP_1) | instid1(VALU_DEP_4)
	v_add_f64_e64 v[28:29], v[30:31], -v[28:29]
	v_ldexp_f64 v[30:31], v[22:23], 1
	v_ldexp_f64 v[10:11], v[10:11], 1
	s_delay_alu instid0(VALU_DEP_4) | instskip(NEXT) | instid1(VALU_DEP_1)
	v_fmamk_f64 v[24:25], v[12:13], 0x3fc3ab76bf559e2b, v[16:17]
	v_fmaak_f64 v[24:25], v[12:13], v[24:25], 0x3fc7474dd7f4df2e
	s_delay_alu instid0(VALU_DEP_1) | instskip(NEXT) | instid1(VALU_DEP_1)
	v_fmaak_f64 v[24:25], v[12:13], v[24:25], 0x3fcc71c016291751
	v_fmaak_f64 v[24:25], v[12:13], v[24:25], 0x3fd249249b27acf1
	s_delay_alu instid0(VALU_DEP_1) | instskip(NEXT) | instid1(VALU_DEP_1)
	v_fmaak_f64 v[24:25], v[12:13], v[24:25], 0x3fd99999998ef7b6
	v_fmaak_f64 v[24:25], v[12:13], v[24:25], 0x3fe5555555555780
	v_mul_f64_e32 v[12:13], v[22:23], v[12:13]
	s_delay_alu instid0(VALU_DEP_1) | instskip(NEXT) | instid1(VALU_DEP_1)
	v_mul_f64_e32 v[12:13], v[12:13], v[24:25]
	v_add_f64_e32 v[22:23], v[30:31], v[12:13]
	s_delay_alu instid0(VALU_DEP_1) | instskip(NEXT) | instid1(VALU_DEP_1)
	v_add_f64_e64 v[24:25], v[22:23], -v[30:31]
	v_add_f64_e64 v[12:13], v[12:13], -v[24:25]
	s_delay_alu instid0(VALU_DEP_1) | instskip(NEXT) | instid1(VALU_DEP_1)
	v_add_f64_e32 v[10:11], v[10:11], v[12:13]
	v_add_f64_e32 v[12:13], v[22:23], v[10:11]
	s_delay_alu instid0(VALU_DEP_1) | instskip(NEXT) | instid1(VALU_DEP_1)
	v_add_f64_e64 v[22:23], v[12:13], -v[22:23]
	v_add_f64_e64 v[10:11], v[10:11], -v[22:23]
	v_add_f64_e32 v[22:23], v[26:27], v[12:13]
	s_delay_alu instid0(VALU_DEP_1) | instskip(NEXT) | instid1(VALU_DEP_1)
	v_add_f64_e64 v[24:25], v[22:23], -v[26:27]
	v_add_f64_e64 v[30:31], v[22:23], -v[24:25]
	;; [unrolled: 1-line block ×3, first 2 shown]
	v_add_f64_e32 v[24:25], v[28:29], v[10:11]
	s_delay_alu instid0(VALU_DEP_3) | instskip(NEXT) | instid1(VALU_DEP_1)
	v_add_f64_e64 v[26:27], v[26:27], -v[30:31]
	v_add_f64_e32 v[12:13], v[12:13], v[26:27]
	s_delay_alu instid0(VALU_DEP_3) | instskip(NEXT) | instid1(VALU_DEP_2)
	v_add_f64_e64 v[26:27], v[24:25], -v[28:29]
	v_add_f64_e32 v[12:13], v[24:25], v[12:13]
	s_delay_alu instid0(VALU_DEP_2) | instskip(SKIP_1) | instid1(VALU_DEP_3)
	v_add_f64_e64 v[30:31], v[24:25], -v[26:27]
	v_add_f64_e64 v[10:11], v[10:11], -v[26:27]
	v_add_f64_e32 v[24:25], v[22:23], v[12:13]
	s_delay_alu instid0(VALU_DEP_3) | instskip(NEXT) | instid1(VALU_DEP_2)
	v_add_f64_e64 v[28:29], v[28:29], -v[30:31]
	v_add_f64_e64 v[22:23], v[24:25], -v[22:23]
	s_delay_alu instid0(VALU_DEP_2) | instskip(NEXT) | instid1(VALU_DEP_2)
	v_add_f64_e32 v[10:11], v[10:11], v[28:29]
	v_add_f64_e64 v[12:13], v[12:13], -v[22:23]
	s_delay_alu instid0(VALU_DEP_1) | instskip(NEXT) | instid1(VALU_DEP_1)
	v_add_f64_e32 v[10:11], v[10:11], v[12:13]
	v_add_f64_e32 v[10:11], v[24:25], v[10:11]
	s_delay_alu instid0(VALU_DEP_1) | instskip(NEXT) | instid1(VALU_DEP_1)
	v_cndmask_b32_e32 v1, 0x7ff00000, v11, vcc_lo
	v_cndmask_b32_e64 v1, 0x7ff80000, v1, s2
	v_cmp_nge_f64_e64 s2, -1.0, v[2:3]
	s_and_b32 vcc_lo, s2, vcc_lo
	v_cmp_ngt_f64_e64 s2, -1.0, v[4:5]
	v_cndmask_b32_e32 v10, 0, v10, vcc_lo
	v_cmp_neq_f64_e32 vcc_lo, -1.0, v[2:3]
	v_add_f64_e32 v[2:3], 1.0, v[4:5]
	v_cndmask_b32_e32 v11, 0xfff00000, v1, vcc_lo
	s_delay_alu instid0(VALU_DEP_2) | instskip(SKIP_1) | instid1(VALU_DEP_2)
	v_add_f64_e32 v[12:13], -1.0, v[2:3]
	v_frexp_exp_i32_f64_e32 v1, v[2:3]
	v_add_f64_e64 v[22:23], v[12:13], -v[2:3]
	v_add_f64_e64 v[12:13], v[4:5], -v[12:13]
	s_delay_alu instid0(VALU_DEP_2) | instskip(NEXT) | instid1(VALU_DEP_1)
	v_add_f64_e32 v[22:23], 1.0, v[22:23]
	v_add_f64_e32 v[12:13], v[12:13], v[22:23]
	v_frexp_mant_f64_e32 v[22:23], v[2:3]
	s_delay_alu instid0(VALU_DEP_1) | instskip(SKIP_2) | instid1(VALU_DEP_2)
	v_cmp_gt_f64_e32 vcc_lo, s[14:15], v[22:23]
	v_subrev_co_ci_u32_e64 v1, null, 0, v1, vcc_lo
	v_cmp_neq_f64_e32 vcc_lo, 0x7ff00000, v[4:5]
	v_sub_nc_u32_e32 v22, 0, v1
	s_delay_alu instid0(VALU_DEP_1) | instskip(SKIP_1) | instid1(VALU_DEP_2)
	v_ldexp_f64 v[2:3], v[2:3], v22
	v_ldexp_f64 v[12:13], v[12:13], v22
	v_add_f64_e32 v[22:23], -1.0, v[2:3]
	s_delay_alu instid0(VALU_DEP_1) | instskip(NEXT) | instid1(VALU_DEP_1)
	v_add_f64_e32 v[24:25], 1.0, v[22:23]
	v_add_f64_e64 v[24:25], v[2:3], -v[24:25]
	s_delay_alu instid0(VALU_DEP_1) | instskip(NEXT) | instid1(VALU_DEP_1)
	v_add_f64_e32 v[24:25], v[12:13], v[24:25]
	v_add_f64_e32 v[26:27], v[22:23], v[24:25]
	s_delay_alu instid0(VALU_DEP_1) | instskip(NEXT) | instid1(VALU_DEP_1)
	v_add_f64_e64 v[22:23], v[26:27], -v[22:23]
	v_add_f64_e64 v[22:23], v[24:25], -v[22:23]
	v_add_f64_e32 v[24:25], 1.0, v[2:3]
	s_delay_alu instid0(VALU_DEP_1) | instskip(NEXT) | instid1(VALU_DEP_1)
	v_add_f64_e32 v[28:29], -1.0, v[24:25]
	v_add_f64_e64 v[2:3], v[2:3], -v[28:29]
	s_delay_alu instid0(VALU_DEP_1) | instskip(NEXT) | instid1(VALU_DEP_1)
	v_add_f64_e32 v[2:3], v[12:13], v[2:3]
	v_add_f64_e32 v[12:13], v[24:25], v[2:3]
	s_delay_alu instid0(VALU_DEP_1) | instskip(NEXT) | instid1(VALU_DEP_1)
	v_add_f64_e64 v[24:25], v[12:13], -v[24:25]
	v_add_f64_e64 v[2:3], v[2:3], -v[24:25]
	v_rcp_f64_e32 v[24:25], v[12:13]
	v_nop
	s_delay_alu instid0(TRANS32_DEP_1) | instskip(NEXT) | instid1(VALU_DEP_1)
	v_fma_f64 v[28:29], -v[12:13], v[24:25], 1.0
	v_fmac_f64_e32 v[24:25], v[28:29], v[24:25]
	s_delay_alu instid0(VALU_DEP_1) | instskip(NEXT) | instid1(VALU_DEP_1)
	v_fma_f64 v[28:29], -v[12:13], v[24:25], 1.0
	v_fmac_f64_e32 v[24:25], v[28:29], v[24:25]
	s_delay_alu instid0(VALU_DEP_1) | instskip(NEXT) | instid1(VALU_DEP_1)
	v_mul_f64_e32 v[28:29], v[26:27], v[24:25]
	v_mul_f64_e32 v[30:31], v[12:13], v[28:29]
	s_delay_alu instid0(VALU_DEP_1) | instskip(NEXT) | instid1(VALU_DEP_1)
	v_fma_f64 v[32:33], v[28:29], v[12:13], -v[30:31]
	v_fmac_f64_e32 v[32:33], v[28:29], v[2:3]
	s_delay_alu instid0(VALU_DEP_1) | instskip(NEXT) | instid1(VALU_DEP_1)
	v_add_f64_e32 v[34:35], v[30:31], v[32:33]
	v_add_f64_e64 v[36:37], v[26:27], -v[34:35]
	v_add_f64_e64 v[30:31], v[34:35], -v[30:31]
	s_delay_alu instid0(VALU_DEP_2) | instskip(NEXT) | instid1(VALU_DEP_1)
	v_add_f64_e64 v[26:27], v[26:27], -v[36:37]
	v_add_f64_e64 v[26:27], v[26:27], -v[34:35]
	s_delay_alu instid0(VALU_DEP_1) | instskip(NEXT) | instid1(VALU_DEP_4)
	v_add_f64_e32 v[22:23], v[22:23], v[26:27]
	v_add_f64_e64 v[26:27], v[30:31], -v[32:33]
	s_delay_alu instid0(VALU_DEP_1) | instskip(NEXT) | instid1(VALU_DEP_1)
	v_add_f64_e32 v[22:23], v[26:27], v[22:23]
	v_add_f64_e32 v[26:27], v[36:37], v[22:23]
	s_delay_alu instid0(VALU_DEP_1) | instskip(NEXT) | instid1(VALU_DEP_1)
	v_add_f64_e64 v[30:31], v[36:37], -v[26:27]
	v_add_f64_e32 v[22:23], v[22:23], v[30:31]
	v_mul_f64_e32 v[30:31], v[24:25], v[26:27]
	s_delay_alu instid0(VALU_DEP_1) | instskip(NEXT) | instid1(VALU_DEP_1)
	v_mul_f64_e32 v[32:33], v[12:13], v[30:31]
	v_fma_f64 v[12:13], v[30:31], v[12:13], -v[32:33]
	s_delay_alu instid0(VALU_DEP_1) | instskip(NEXT) | instid1(VALU_DEP_1)
	v_fmac_f64_e32 v[12:13], v[30:31], v[2:3]
	v_add_f64_e32 v[2:3], v[32:33], v[12:13]
	s_delay_alu instid0(VALU_DEP_1) | instskip(SKIP_1) | instid1(VALU_DEP_2)
	v_add_f64_e64 v[34:35], v[26:27], -v[2:3]
	v_add_f64_e64 v[32:33], v[2:3], -v[32:33]
	;; [unrolled: 1-line block ×3, first 2 shown]
	s_delay_alu instid0(VALU_DEP_2) | instskip(NEXT) | instid1(VALU_DEP_2)
	v_add_f64_e64 v[12:13], v[32:33], -v[12:13]
	v_add_f64_e64 v[2:3], v[26:27], -v[2:3]
	s_delay_alu instid0(VALU_DEP_1) | instskip(NEXT) | instid1(VALU_DEP_1)
	v_add_f64_e32 v[2:3], v[22:23], v[2:3]
	v_add_f64_e32 v[2:3], v[12:13], v[2:3]
	v_add_f64_e32 v[12:13], v[28:29], v[30:31]
	s_delay_alu instid0(VALU_DEP_2) | instskip(NEXT) | instid1(VALU_DEP_2)
	v_add_f64_e32 v[2:3], v[34:35], v[2:3]
	v_add_f64_e64 v[22:23], v[12:13], -v[28:29]
	s_delay_alu instid0(VALU_DEP_2) | instskip(NEXT) | instid1(VALU_DEP_2)
	v_mul_f64_e32 v[2:3], v[24:25], v[2:3]
	v_add_f64_e64 v[22:23], v[30:31], -v[22:23]
	v_cvt_f64_i32_e32 v[24:25], v1
	s_delay_alu instid0(VALU_DEP_2) | instskip(NEXT) | instid1(VALU_DEP_2)
	v_add_f64_e32 v[22:23], v[22:23], v[2:3]
	v_mul_f64_e32 v[30:31], 0x3fe62e42fefa39ef, v[24:25]
	s_delay_alu instid0(VALU_DEP_2) | instskip(NEXT) | instid1(VALU_DEP_2)
	v_add_f64_e32 v[2:3], v[12:13], v[22:23]
	v_fma_f64 v[32:33], v[24:25], s[16:17], -v[30:31]
	s_delay_alu instid0(VALU_DEP_2) | instskip(NEXT) | instid1(VALU_DEP_2)
	v_add_f64_e64 v[12:13], v[2:3], -v[12:13]
	v_fmac_f64_e32 v[32:33], 0x3c7abc9e3b39803f, v[24:25]
	s_delay_alu instid0(VALU_DEP_2) | instskip(SKIP_1) | instid1(VALU_DEP_3)
	v_add_f64_e64 v[28:29], v[22:23], -v[12:13]
	v_mul_f64_e32 v[22:23], v[2:3], v[2:3]
	v_add_f64_e32 v[26:27], v[30:31], v[32:33]
	s_delay_alu instid0(VALU_DEP_3) | instskip(NEXT) | instid1(VALU_DEP_3)
	v_ldexp_f64 v[28:29], v[28:29], 1
	v_fmamk_f64 v[12:13], v[22:23], 0x3fc3ab76bf559e2b, v[16:17]
	s_delay_alu instid0(VALU_DEP_3) | instskip(SKIP_2) | instid1(VALU_DEP_4)
	v_add_f64_e64 v[24:25], v[26:27], -v[30:31]
	v_ldexp_f64 v[30:31], v[2:3], 1
	v_mul_f64_e32 v[2:3], v[2:3], v[22:23]
	v_fmaak_f64 v[12:13], v[22:23], v[12:13], 0x3fc7474dd7f4df2e
	s_delay_alu instid0(VALU_DEP_1) | instskip(NEXT) | instid1(VALU_DEP_1)
	v_fmaak_f64 v[12:13], v[22:23], v[12:13], 0x3fcc71c016291751
	v_fmaak_f64 v[12:13], v[22:23], v[12:13], 0x3fd249249b27acf1
	s_delay_alu instid0(VALU_DEP_1) | instskip(SKIP_1) | instid1(VALU_DEP_2)
	v_fmaak_f64 v[12:13], v[22:23], v[12:13], 0x3fd99999998ef7b6
	v_add_f64_e64 v[24:25], v[32:33], -v[24:25]
	v_fmaak_f64 v[12:13], v[22:23], v[12:13], 0x3fe5555555555780
	s_delay_alu instid0(VALU_DEP_1) | instskip(NEXT) | instid1(VALU_DEP_1)
	v_mul_f64_e32 v[2:3], v[2:3], v[12:13]
	v_add_f64_e32 v[12:13], v[30:31], v[2:3]
	s_delay_alu instid0(VALU_DEP_1) | instskip(NEXT) | instid1(VALU_DEP_1)
	v_add_f64_e64 v[22:23], v[12:13], -v[30:31]
	v_add_f64_e64 v[2:3], v[2:3], -v[22:23]
	s_delay_alu instid0(VALU_DEP_1) | instskip(NEXT) | instid1(VALU_DEP_1)
	v_add_f64_e32 v[2:3], v[28:29], v[2:3]
	v_add_f64_e32 v[22:23], v[12:13], v[2:3]
	s_delay_alu instid0(VALU_DEP_1) | instskip(NEXT) | instid1(VALU_DEP_1)
	v_add_f64_e64 v[12:13], v[22:23], -v[12:13]
	v_add_f64_e64 v[2:3], v[2:3], -v[12:13]
	v_add_f64_e32 v[12:13], v[26:27], v[22:23]
	s_delay_alu instid0(VALU_DEP_1) | instskip(NEXT) | instid1(VALU_DEP_1)
	v_add_f64_e64 v[28:29], v[12:13], -v[26:27]
	v_add_f64_e64 v[30:31], v[12:13], -v[28:29]
	;; [unrolled: 1-line block ×3, first 2 shown]
	s_delay_alu instid0(VALU_DEP_2) | instskip(NEXT) | instid1(VALU_DEP_1)
	v_add_f64_e64 v[26:27], v[26:27], -v[30:31]
	v_add_f64_e32 v[22:23], v[22:23], v[26:27]
	v_add_f64_e32 v[26:27], v[24:25], v[2:3]
	s_delay_alu instid0(VALU_DEP_1) | instskip(NEXT) | instid1(VALU_DEP_3)
	v_add_f64_e64 v[28:29], v[26:27], -v[24:25]
	v_add_f64_e32 v[22:23], v[26:27], v[22:23]
	s_delay_alu instid0(VALU_DEP_2) | instskip(SKIP_1) | instid1(VALU_DEP_2)
	v_add_f64_e64 v[30:31], v[26:27], -v[28:29]
	v_add_f64_e64 v[2:3], v[2:3], -v[28:29]
	v_add_f64_e64 v[24:25], v[24:25], -v[30:31]
	s_delay_alu instid0(VALU_DEP_1) | instskip(SKIP_1) | instid1(VALU_DEP_1)
	v_add_f64_e32 v[2:3], v[2:3], v[24:25]
	v_add_f64_e32 v[24:25], v[12:13], v[22:23]
	v_add_f64_e64 v[12:13], v[24:25], -v[12:13]
	s_delay_alu instid0(VALU_DEP_1) | instskip(NEXT) | instid1(VALU_DEP_1)
	v_add_f64_e64 v[12:13], v[22:23], -v[12:13]
	v_add_f64_e32 v[2:3], v[2:3], v[12:13]
	s_delay_alu instid0(VALU_DEP_1) | instskip(NEXT) | instid1(VALU_DEP_1)
	v_add_f64_e32 v[2:3], v[24:25], v[2:3]
	v_cndmask_b32_e32 v1, 0x7ff00000, v3, vcc_lo
	s_delay_alu instid0(VALU_DEP_1)
	v_cndmask_b32_e64 v1, 0x7ff80000, v1, s2
	v_cmp_nge_f64_e64 s2, -1.0, v[4:5]
	s_and_b32 vcc_lo, s2, vcc_lo
	v_cndmask_b32_e32 v12, 0, v2, vcc_lo
	v_cmp_neq_f64_e32 vcc_lo, -1.0, v[4:5]
	v_add_nc_u64_e32 v[2:3], s[8:9], v[18:19]
	v_add_nc_u64_e32 v[18:19], s[18:19], v[18:19]
	v_cndmask_b32_e32 v13, 0xfff00000, v1, vcc_lo
	s_clause 0x1
	global_store_b128 v[2:3], v[6:9], off
	global_store_b128 v[2:3], v[10:13], off offset:16
	s_wait_xcnt 0x0
	v_lshlrev_b64_e32 v[2:3], 2, v[20:21]
	s_delay_alu instid0(VALU_DEP_1) | instskip(SKIP_1) | instid1(SALU_CYCLE_1)
	v_cmp_ge_i64_e32 vcc_lo, v[2:3], v[14:15]
	s_or_b32 s20, vcc_lo, s20
	s_and_not1_b32 exec_lo, exec_lo, s20
	s_cbranch_execnz .LBB201_3
.LBB201_4:
	s_or_b32 exec_lo, exec_lo, s3
	s_mov_b32 s2, 0
.LBB201_5:
	s_delay_alu instid0(SALU_CYCLE_1)
	s_and_not1_b32 vcc_lo, exec_lo, s2
	s_cbranch_vccnz .LBB201_25
; %bb.6:
	v_cmp_lt_i64_e64 s2, s[10:11], 1
	s_and_b32 vcc_lo, exec_lo, s2
	s_cbranch_vccnz .LBB201_25
; %bb.7:
	s_load_b32 s0, s[0:1], 0xc5c
	v_min_i64 v[2:3], 0x10000, s[10:11]
	v_min_u64 v[4:5], 0x10000, s[10:11]
	v_dual_mov_b32 v1, 0 :: v_dual_lshlrev_b32 v10, 3, v0
	s_mov_b32 s15, 0
	v_mov_b64_e32 v[28:29], 0x3fc385386b47b09a
	s_mov_b32 s17, s15
	s_delay_alu instid0(VALU_DEP_2)
	v_dual_mov_b32 v11, v1 :: v_dual_mov_b32 v27, v1
	s_wait_xcnt 0x0
	s_mov_b32 s1, s15
	s_mov_b32 s3, s15
	s_mov_b64 s[10:11], 0x3fe5555555555555
	v_add_nc_u64_e32 v[6:7], s[4:5], v[10:11]
	s_mov_b64 s[12:13], 0x3fe62e42fefa39ef
                                        ; implicit-def: $vgpr30_vgpr31
                                        ; implicit-def: $vgpr30_vgpr31
	;; [unrolled: 1-line block ×5, first 2 shown]
	s_wait_kmcnt 0x0
	s_and_b32 s14, s0, 0xffff
	s_delay_alu instid0(SALU_CYCLE_1)
	v_add_nc_u64_e32 v[8:9], s[14:15], v[0:1]
	v_mad_nc_u64_u32 v[22:23], s14, 24, v[10:11]
	s_lshl_b32 s16, s14, 4
	s_mul_i32 s2, s14, 3
	v_add_nc_u64_e32 v[18:19], s[16:17], v[10:11]
	s_lshl_b32 s0, s14, 1
	v_add_nc_u64_e32 v[10:11], s[8:9], v[10:11]
	v_lshlrev_b32_e32 v26, 3, v8
	v_add_nc_u64_e32 v[12:13], s[2:3], v[0:1]
	v_add_nc_u64_e32 v[14:15], s[0:1], v[0:1]
	s_mov_b64 s[16:17], 0
	v_add_nc_u64_e32 v[16:17], s[4:5], v[18:19]
	v_add_nc_u64_e32 v[18:19], s[8:9], v[18:19]
	;; [unrolled: 1-line block ×6, first 2 shown]
	s_lshl_b32 s8, s14, 2
	s_mov_b32 s9, s15
	s_lshl_b32 s14, s14, 5
	s_branch .LBB201_9
.LBB201_8:                              ;   in Loop: Header=BB201_9 Depth=1
	s_wait_xcnt 0x0
	s_or_b32 exec_lo, exec_lo, s2
	s_add_nc_u64 s[16:17], s[16:17], s[8:9]
	v_add_nc_u64_e32 v[6:7], s[14:15], v[6:7]
	v_cmp_ge_i64_e32 vcc_lo, s[16:17], v[2:3]
	v_add_nc_u64_e32 v[10:11], s[14:15], v[10:11]
	v_add_nc_u64_e32 v[20:21], s[14:15], v[20:21]
	;; [unrolled: 1-line block ×7, first 2 shown]
	s_cbranch_vccnz .LBB201_25
.LBB201_9:                              ; =>This Inner Loop Header: Depth=1
	s_wait_loadcnt 0x0
	v_add_nc_u64_e32 v[30:31], s[16:17], v[0:1]
	v_mov_b64_e32 v[34:35], 0
	v_mov_b64_e32 v[36:37], 0
	s_delay_alu instid0(VALU_DEP_3)
	v_cmp_lt_u64_e64 s2, v[30:31], v[4:5]
	s_and_saveexec_b32 s0, s2
	s_cbranch_execz .LBB201_11
; %bb.10:                               ;   in Loop: Header=BB201_9 Depth=1
	v_add_nc_u64_e32 v[30:31], s[6:7], v[6:7]
	global_load_b64 v[36:37], v[30:31], off
.LBB201_11:                             ;   in Loop: Header=BB201_9 Depth=1
	s_wait_xcnt 0x0
	s_or_b32 exec_lo, exec_lo, s0
	v_add_nc_u64_e32 v[30:31], s[16:17], v[8:9]
	s_delay_alu instid0(VALU_DEP_1)
	v_cmp_lt_u64_e64 s1, v[30:31], v[4:5]
	s_and_saveexec_b32 s0, s1
	s_cbranch_execz .LBB201_13
; %bb.12:                               ;   in Loop: Header=BB201_9 Depth=1
	v_add_nc_u64_e32 v[30:31], s[6:7], v[24:25]
	global_load_b64 v[34:35], v[30:31], off
.LBB201_13:                             ;   in Loop: Header=BB201_9 Depth=1
	s_wait_xcnt 0x0
	s_or_b32 exec_lo, exec_lo, s0
	v_add_nc_u64_e32 v[32:33], s[16:17], v[14:15]
	v_mov_b64_e32 v[30:31], 0
	s_delay_alu instid0(VALU_DEP_2)
	v_cmp_lt_u64_e64 s0, v[32:33], v[4:5]
	v_mov_b64_e32 v[32:33], 0
	s_and_saveexec_b32 s3, s0
	s_cbranch_execz .LBB201_15
; %bb.14:                               ;   in Loop: Header=BB201_9 Depth=1
	v_add_nc_u64_e32 v[32:33], s[6:7], v[16:17]
	global_load_b64 v[32:33], v[32:33], off
.LBB201_15:                             ;   in Loop: Header=BB201_9 Depth=1
	s_wait_xcnt 0x0
	s_or_b32 exec_lo, exec_lo, s3
	v_add_nc_u64_e32 v[38:39], s[16:17], v[12:13]
	s_delay_alu instid0(VALU_DEP_1)
	v_cmp_lt_u64_e32 vcc_lo, v[38:39], v[4:5]
	s_and_saveexec_b32 s3, vcc_lo
	s_cbranch_execnz .LBB201_20
; %bb.16:                               ;   in Loop: Header=BB201_9 Depth=1
	s_or_b32 exec_lo, exec_lo, s3
	s_and_saveexec_b32 s5, s2
	s_cbranch_execnz .LBB201_21
.LBB201_17:                             ;   in Loop: Header=BB201_9 Depth=1
	s_or_b32 exec_lo, exec_lo, s5
	s_and_saveexec_b32 s4, s1
	s_cbranch_execnz .LBB201_22
.LBB201_18:                             ;   in Loop: Header=BB201_9 Depth=1
	s_or_b32 exec_lo, exec_lo, s4
	s_and_saveexec_b32 s3, s0
	s_cbranch_execnz .LBB201_23
.LBB201_19:                             ;   in Loop: Header=BB201_9 Depth=1
	s_or_b32 exec_lo, exec_lo, s3
	s_and_saveexec_b32 s2, vcc_lo
	s_cbranch_execz .LBB201_8
	s_branch .LBB201_24
.LBB201_20:                             ;   in Loop: Header=BB201_9 Depth=1
	v_add_nc_u64_e32 v[30:31], s[6:7], v[20:21]
	global_load_b64 v[30:31], v[30:31], off
	s_wait_xcnt 0x0
	s_or_b32 exec_lo, exec_lo, s3
	s_and_saveexec_b32 s5, s2
	s_cbranch_execz .LBB201_17
.LBB201_21:                             ;   in Loop: Header=BB201_9 Depth=1
	s_wait_loadcnt 0x0
	v_add_f64_e32 v[38:39], 1.0, v[36:37]
	v_cmp_neq_f64_e64 s3, 0x7ff00000, v[36:37]
	v_cmp_ngt_f64_e64 s4, -1.0, v[36:37]
	s_delay_alu instid0(VALU_DEP_3) | instskip(SKIP_1) | instid1(VALU_DEP_2)
	v_frexp_mant_f64_e32 v[40:41], v[38:39]
	v_frexp_exp_i32_f64_e32 v44, v[38:39]
	v_cmp_gt_f64_e64 s2, s[10:11], v[40:41]
	s_delay_alu instid0(VALU_DEP_1) | instskip(SKIP_2) | instid1(VALU_DEP_2)
	v_subrev_co_ci_u32_e64 v60, null, 0, v44, s2
	v_add_f64_e32 v[42:43], -1.0, v[38:39]
	v_cmp_nge_f64_e64 s2, -1.0, v[36:37]
	v_dual_add_f64 v[40:41], v[42:43], -v[38:39] :: v_dual_sub_nc_u32 v46, 0, v60
	s_delay_alu instid0(VALU_DEP_1) | instskip(SKIP_2) | instid1(VALU_DEP_3)
	v_ldexp_f64 v[38:39], v[38:39], v46
	v_add_f64_e64 v[42:43], v[36:37], -v[42:43]
	s_and_b32 s2, s2, s3
	v_add_f64_e32 v[40:41], 1.0, v[40:41]
	s_delay_alu instid0(VALU_DEP_3) | instskip(SKIP_1) | instid1(VALU_DEP_3)
	v_add_f64_e32 v[44:45], 1.0, v[38:39]
	v_add_f64_e32 v[50:51], -1.0, v[38:39]
	v_add_f64_e32 v[40:41], v[42:43], v[40:41]
	s_delay_alu instid0(VALU_DEP_3) | instskip(NEXT) | instid1(VALU_DEP_3)
	v_add_f64_e32 v[42:43], -1.0, v[44:45]
	v_add_f64_e32 v[52:53], 1.0, v[50:51]
	s_delay_alu instid0(VALU_DEP_3) | instskip(NEXT) | instid1(VALU_DEP_3)
	v_ldexp_f64 v[40:41], v[40:41], v46
	v_add_f64_e64 v[42:43], v[38:39], -v[42:43]
	s_delay_alu instid0(VALU_DEP_3) | instskip(NEXT) | instid1(VALU_DEP_2)
	v_add_f64_e64 v[38:39], v[38:39], -v[52:53]
	v_add_f64_e32 v[42:43], v[40:41], v[42:43]
	s_delay_alu instid0(VALU_DEP_2) | instskip(NEXT) | instid1(VALU_DEP_2)
	v_add_f64_e32 v[38:39], v[40:41], v[38:39]
	v_add_f64_e32 v[46:47], v[44:45], v[42:43]
	s_delay_alu instid0(VALU_DEP_2) | instskip(NEXT) | instid1(VALU_DEP_2)
	v_add_f64_e32 v[52:53], v[50:51], v[38:39]
	v_rcp_f64_e32 v[48:49], v[46:47]
	v_add_f64_e64 v[44:45], v[46:47], -v[44:45]
	s_delay_alu instid0(VALU_DEP_2) | instskip(NEXT) | instid1(VALU_DEP_2)
	v_add_f64_e64 v[50:51], v[52:53], -v[50:51]
	v_add_f64_e64 v[42:43], v[42:43], -v[44:45]
	s_delay_alu instid0(VALU_DEP_2) | instskip(NEXT) | instid1(TRANS32_DEP_1)
	v_add_f64_e64 v[38:39], v[38:39], -v[50:51]
	v_fma_f64 v[54:55], -v[46:47], v[48:49], 1.0
	s_delay_alu instid0(VALU_DEP_1) | instskip(NEXT) | instid1(VALU_DEP_1)
	v_fmac_f64_e32 v[48:49], v[54:55], v[48:49]
	v_fma_f64 v[40:41], -v[46:47], v[48:49], 1.0
	s_delay_alu instid0(VALU_DEP_1) | instskip(NEXT) | instid1(VALU_DEP_1)
	v_fmac_f64_e32 v[48:49], v[40:41], v[48:49]
	v_mul_f64_e32 v[40:41], v[52:53], v[48:49]
	s_delay_alu instid0(VALU_DEP_1) | instskip(NEXT) | instid1(VALU_DEP_1)
	v_mul_f64_e32 v[54:55], v[46:47], v[40:41]
	v_fma_f64 v[44:45], v[40:41], v[46:47], -v[54:55]
	s_delay_alu instid0(VALU_DEP_1) | instskip(NEXT) | instid1(VALU_DEP_1)
	v_fmac_f64_e32 v[44:45], v[40:41], v[42:43]
	v_add_f64_e32 v[56:57], v[54:55], v[44:45]
	s_delay_alu instid0(VALU_DEP_1) | instskip(SKIP_1) | instid1(VALU_DEP_2)
	v_add_f64_e64 v[58:59], v[52:53], -v[56:57]
	v_add_f64_e64 v[54:55], v[56:57], -v[54:55]
	;; [unrolled: 1-line block ×3, first 2 shown]
	s_delay_alu instid0(VALU_DEP_2) | instskip(NEXT) | instid1(VALU_DEP_2)
	v_add_f64_e64 v[44:45], v[54:55], -v[44:45]
	v_add_f64_e64 v[50:51], v[52:53], -v[56:57]
	s_delay_alu instid0(VALU_DEP_1) | instskip(NEXT) | instid1(VALU_DEP_1)
	v_add_f64_e32 v[38:39], v[38:39], v[50:51]
	v_add_f64_e32 v[38:39], v[44:45], v[38:39]
	s_delay_alu instid0(VALU_DEP_1) | instskip(NEXT) | instid1(VALU_DEP_1)
	v_add_f64_e32 v[44:45], v[58:59], v[38:39]
	v_mul_f64_e32 v[50:51], v[48:49], v[44:45]
	v_add_f64_e64 v[56:57], v[58:59], -v[44:45]
	s_delay_alu instid0(VALU_DEP_2) | instskip(NEXT) | instid1(VALU_DEP_2)
	v_mul_f64_e32 v[52:53], v[46:47], v[50:51]
	v_add_f64_e32 v[38:39], v[38:39], v[56:57]
	s_delay_alu instid0(VALU_DEP_2) | instskip(NEXT) | instid1(VALU_DEP_1)
	v_fma_f64 v[46:47], v[50:51], v[46:47], -v[52:53]
	v_fmac_f64_e32 v[46:47], v[50:51], v[42:43]
	s_delay_alu instid0(VALU_DEP_1) | instskip(NEXT) | instid1(VALU_DEP_1)
	v_add_f64_e32 v[42:43], v[52:53], v[46:47]
	v_add_f64_e64 v[54:55], v[44:45], -v[42:43]
	v_add_f64_e64 v[52:53], v[42:43], -v[52:53]
	s_delay_alu instid0(VALU_DEP_2) | instskip(NEXT) | instid1(VALU_DEP_1)
	v_add_f64_e64 v[44:45], v[44:45], -v[54:55]
	v_add_f64_e64 v[42:43], v[44:45], -v[42:43]
	s_delay_alu instid0(VALU_DEP_3) | instskip(NEXT) | instid1(VALU_DEP_2)
	v_add_f64_e64 v[44:45], v[52:53], -v[46:47]
	v_add_f64_e32 v[38:39], v[38:39], v[42:43]
	v_add_f64_e32 v[42:43], v[40:41], v[50:51]
	s_delay_alu instid0(VALU_DEP_2) | instskip(NEXT) | instid1(VALU_DEP_2)
	v_add_f64_e32 v[38:39], v[44:45], v[38:39]
	v_add_f64_e64 v[40:41], v[42:43], -v[40:41]
	s_delay_alu instid0(VALU_DEP_2) | instskip(NEXT) | instid1(VALU_DEP_2)
	v_add_f64_e32 v[38:39], v[54:55], v[38:39]
	v_add_f64_e64 v[40:41], v[50:51], -v[40:41]
	s_delay_alu instid0(VALU_DEP_2) | instskip(NEXT) | instid1(VALU_DEP_1)
	v_mul_f64_e32 v[38:39], v[48:49], v[38:39]
	v_add_f64_e32 v[38:39], v[40:41], v[38:39]
	s_delay_alu instid0(VALU_DEP_1) | instskip(NEXT) | instid1(VALU_DEP_1)
	v_add_f64_e32 v[40:41], v[42:43], v[38:39]
	v_mul_f64_e32 v[44:45], v[40:41], v[40:41]
	s_delay_alu instid0(VALU_DEP_1) | instskip(SKIP_1) | instid1(VALU_DEP_2)
	v_fmamk_f64 v[46:47], v[44:45], 0x3fc3ab76bf559e2b, v[28:29]
	v_mul_f64_e32 v[48:49], v[40:41], v[44:45]
	v_fmaak_f64 v[46:47], v[44:45], v[46:47], 0x3fc7474dd7f4df2e
	s_delay_alu instid0(VALU_DEP_1) | instskip(NEXT) | instid1(VALU_DEP_1)
	v_fmaak_f64 v[46:47], v[44:45], v[46:47], 0x3fcc71c016291751
	v_fmaak_f64 v[46:47], v[44:45], v[46:47], 0x3fd249249b27acf1
	s_delay_alu instid0(VALU_DEP_1) | instskip(NEXT) | instid1(VALU_DEP_1)
	v_fmaak_f64 v[46:47], v[44:45], v[46:47], 0x3fd99999998ef7b6
	v_fmaak_f64 v[44:45], v[44:45], v[46:47], 0x3fe5555555555780
	v_ldexp_f64 v[46:47], v[40:41], 1
	v_add_f64_e64 v[40:41], v[40:41], -v[42:43]
	s_delay_alu instid0(VALU_DEP_3) | instskip(SKIP_1) | instid1(VALU_DEP_3)
	v_mul_f64_e32 v[44:45], v[48:49], v[44:45]
	v_cvt_f64_i32_e32 v[48:49], v60
	v_add_f64_e64 v[38:39], v[38:39], -v[40:41]
	s_delay_alu instid0(VALU_DEP_3) | instskip(NEXT) | instid1(VALU_DEP_3)
	v_add_f64_e32 v[42:43], v[46:47], v[44:45]
	v_mul_f64_e32 v[50:51], 0x3fe62e42fefa39ef, v[48:49]
	s_delay_alu instid0(VALU_DEP_3) | instskip(NEXT) | instid1(VALU_DEP_3)
	v_ldexp_f64 v[38:39], v[38:39], 1
	v_add_f64_e64 v[40:41], v[42:43], -v[46:47]
	s_delay_alu instid0(VALU_DEP_3) | instskip(NEXT) | instid1(VALU_DEP_2)
	v_fma_f64 v[46:47], v[48:49], s[12:13], -v[50:51]
	v_add_f64_e64 v[40:41], v[44:45], -v[40:41]
	s_delay_alu instid0(VALU_DEP_2) | instskip(NEXT) | instid1(VALU_DEP_2)
	v_fmac_f64_e32 v[46:47], 0x3c7abc9e3b39803f, v[48:49]
	v_add_f64_e32 v[38:39], v[38:39], v[40:41]
	s_delay_alu instid0(VALU_DEP_2) | instskip(NEXT) | instid1(VALU_DEP_2)
	v_add_f64_e32 v[40:41], v[50:51], v[46:47]
	v_add_f64_e32 v[44:45], v[42:43], v[38:39]
	s_delay_alu instid0(VALU_DEP_2) | instskip(NEXT) | instid1(VALU_DEP_2)
	v_add_f64_e64 v[50:51], v[40:41], -v[50:51]
	v_add_f64_e32 v[48:49], v[40:41], v[44:45]
	v_add_f64_e64 v[42:43], v[44:45], -v[42:43]
	s_delay_alu instid0(VALU_DEP_3) | instskip(NEXT) | instid1(VALU_DEP_3)
	v_add_f64_e64 v[46:47], v[46:47], -v[50:51]
	v_add_f64_e64 v[52:53], v[48:49], -v[40:41]
	s_delay_alu instid0(VALU_DEP_3) | instskip(NEXT) | instid1(VALU_DEP_2)
	v_add_f64_e64 v[38:39], v[38:39], -v[42:43]
	v_add_f64_e64 v[54:55], v[48:49], -v[52:53]
	;; [unrolled: 1-line block ×3, first 2 shown]
	s_delay_alu instid0(VALU_DEP_3) | instskip(NEXT) | instid1(VALU_DEP_3)
	v_add_f64_e32 v[44:45], v[46:47], v[38:39]
	v_add_f64_e64 v[40:41], v[40:41], -v[54:55]
	s_delay_alu instid0(VALU_DEP_1) | instskip(NEXT) | instid1(VALU_DEP_3)
	v_add_f64_e32 v[40:41], v[42:43], v[40:41]
	v_add_f64_e64 v[42:43], v[44:45], -v[46:47]
	s_delay_alu instid0(VALU_DEP_2) | instskip(NEXT) | instid1(VALU_DEP_2)
	v_add_f64_e32 v[40:41], v[44:45], v[40:41]
	v_add_f64_e64 v[44:45], v[44:45], -v[42:43]
	v_add_f64_e64 v[38:39], v[38:39], -v[42:43]
	s_delay_alu instid0(VALU_DEP_3) | instskip(NEXT) | instid1(VALU_DEP_3)
	v_add_f64_e32 v[50:51], v[48:49], v[40:41]
	v_add_f64_e64 v[42:43], v[46:47], -v[44:45]
	s_delay_alu instid0(VALU_DEP_2) | instskip(NEXT) | instid1(VALU_DEP_2)
	v_add_f64_e64 v[44:45], v[50:51], -v[48:49]
	v_add_f64_e32 v[38:39], v[38:39], v[42:43]
	s_delay_alu instid0(VALU_DEP_2) | instskip(NEXT) | instid1(VALU_DEP_1)
	v_add_f64_e64 v[40:41], v[40:41], -v[44:45]
	v_add_f64_e32 v[38:39], v[38:39], v[40:41]
	v_add_nc_u64_e32 v[40:41], s[6:7], v[10:11]
	s_delay_alu instid0(VALU_DEP_2) | instskip(NEXT) | instid1(VALU_DEP_1)
	v_add_f64_e32 v[38:39], v[50:51], v[38:39]
	v_cndmask_b32_e64 v38, 0, v38, s2
	v_cmp_neq_f64_e64 s2, -1.0, v[36:37]
	s_delay_alu instid0(VALU_DEP_3) | instskip(NEXT) | instid1(VALU_DEP_1)
	v_cndmask_b32_e64 v39, 0x7ff00000, v39, s3
	v_cndmask_b32_e64 v39, 0x7ff80000, v39, s4
	s_delay_alu instid0(VALU_DEP_1)
	v_cndmask_b32_e64 v39, 0xfff00000, v39, s2
	global_store_b64 v[40:41], v[38:39], off
	s_wait_xcnt 0x0
	s_or_b32 exec_lo, exec_lo, s5
	s_and_saveexec_b32 s4, s1
	s_cbranch_execz .LBB201_18
.LBB201_22:                             ;   in Loop: Header=BB201_9 Depth=1
	s_wait_loadcnt 0x0
	v_add_f64_e32 v[36:37], 1.0, v[34:35]
	v_cmp_neq_f64_e64 s2, 0x7ff00000, v[34:35]
	v_cmp_ngt_f64_e64 s3, -1.0, v[34:35]
	s_delay_alu instid0(VALU_DEP_3) | instskip(SKIP_1) | instid1(VALU_DEP_2)
	v_frexp_mant_f64_e32 v[38:39], v[36:37]
	v_frexp_exp_i32_f64_e32 v42, v[36:37]
	v_cmp_gt_f64_e64 s1, s[10:11], v[38:39]
	s_delay_alu instid0(VALU_DEP_1) | instskip(SKIP_2) | instid1(VALU_DEP_2)
	v_subrev_co_ci_u32_e64 v58, null, 0, v42, s1
	v_add_f64_e32 v[40:41], -1.0, v[36:37]
	v_cmp_nge_f64_e64 s1, -1.0, v[34:35]
	v_dual_add_f64 v[38:39], v[40:41], -v[36:37] :: v_dual_sub_nc_u32 v44, 0, v58
	s_delay_alu instid0(VALU_DEP_1) | instskip(SKIP_2) | instid1(VALU_DEP_3)
	v_ldexp_f64 v[36:37], v[36:37], v44
	v_add_f64_e64 v[40:41], v[34:35], -v[40:41]
	s_and_b32 s1, s1, s2
	v_add_f64_e32 v[38:39], 1.0, v[38:39]
	s_delay_alu instid0(VALU_DEP_3) | instskip(SKIP_1) | instid1(VALU_DEP_3)
	v_add_f64_e32 v[42:43], 1.0, v[36:37]
	v_add_f64_e32 v[48:49], -1.0, v[36:37]
	v_add_f64_e32 v[38:39], v[40:41], v[38:39]
	s_delay_alu instid0(VALU_DEP_3) | instskip(NEXT) | instid1(VALU_DEP_3)
	v_add_f64_e32 v[40:41], -1.0, v[42:43]
	v_add_f64_e32 v[50:51], 1.0, v[48:49]
	s_delay_alu instid0(VALU_DEP_3) | instskip(NEXT) | instid1(VALU_DEP_3)
	v_ldexp_f64 v[38:39], v[38:39], v44
	v_add_f64_e64 v[40:41], v[36:37], -v[40:41]
	s_delay_alu instid0(VALU_DEP_3) | instskip(NEXT) | instid1(VALU_DEP_2)
	v_add_f64_e64 v[36:37], v[36:37], -v[50:51]
	v_add_f64_e32 v[40:41], v[38:39], v[40:41]
	s_delay_alu instid0(VALU_DEP_2) | instskip(NEXT) | instid1(VALU_DEP_2)
	v_add_f64_e32 v[36:37], v[38:39], v[36:37]
	v_add_f64_e32 v[44:45], v[42:43], v[40:41]
	s_delay_alu instid0(VALU_DEP_2) | instskip(NEXT) | instid1(VALU_DEP_2)
	v_add_f64_e32 v[50:51], v[48:49], v[36:37]
	v_rcp_f64_e32 v[46:47], v[44:45]
	v_add_f64_e64 v[42:43], v[44:45], -v[42:43]
	s_delay_alu instid0(VALU_DEP_2) | instskip(NEXT) | instid1(VALU_DEP_2)
	v_add_f64_e64 v[48:49], v[50:51], -v[48:49]
	v_add_f64_e64 v[40:41], v[40:41], -v[42:43]
	s_delay_alu instid0(VALU_DEP_2) | instskip(NEXT) | instid1(TRANS32_DEP_1)
	v_add_f64_e64 v[36:37], v[36:37], -v[48:49]
	v_fma_f64 v[52:53], -v[44:45], v[46:47], 1.0
	s_delay_alu instid0(VALU_DEP_1) | instskip(NEXT) | instid1(VALU_DEP_1)
	v_fmac_f64_e32 v[46:47], v[52:53], v[46:47]
	v_fma_f64 v[38:39], -v[44:45], v[46:47], 1.0
	s_delay_alu instid0(VALU_DEP_1) | instskip(NEXT) | instid1(VALU_DEP_1)
	v_fmac_f64_e32 v[46:47], v[38:39], v[46:47]
	v_mul_f64_e32 v[38:39], v[50:51], v[46:47]
	s_delay_alu instid0(VALU_DEP_1) | instskip(NEXT) | instid1(VALU_DEP_1)
	v_mul_f64_e32 v[52:53], v[44:45], v[38:39]
	v_fma_f64 v[42:43], v[38:39], v[44:45], -v[52:53]
	s_delay_alu instid0(VALU_DEP_1) | instskip(NEXT) | instid1(VALU_DEP_1)
	v_fmac_f64_e32 v[42:43], v[38:39], v[40:41]
	v_add_f64_e32 v[54:55], v[52:53], v[42:43]
	s_delay_alu instid0(VALU_DEP_1) | instskip(SKIP_1) | instid1(VALU_DEP_2)
	v_add_f64_e64 v[56:57], v[50:51], -v[54:55]
	v_add_f64_e64 v[48:49], v[54:55], -v[52:53]
	;; [unrolled: 1-line block ×3, first 2 shown]
	s_delay_alu instid0(VALU_DEP_2) | instskip(NEXT) | instid1(VALU_DEP_2)
	v_add_f64_e64 v[42:43], v[48:49], -v[42:43]
	v_add_f64_e64 v[50:51], v[50:51], -v[54:55]
	s_delay_alu instid0(VALU_DEP_1) | instskip(NEXT) | instid1(VALU_DEP_1)
	v_add_f64_e32 v[36:37], v[36:37], v[50:51]
	v_add_f64_e32 v[36:37], v[42:43], v[36:37]
	s_delay_alu instid0(VALU_DEP_1) | instskip(NEXT) | instid1(VALU_DEP_1)
	v_add_f64_e32 v[42:43], v[56:57], v[36:37]
	v_mul_f64_e32 v[48:49], v[46:47], v[42:43]
	v_add_f64_e64 v[54:55], v[56:57], -v[42:43]
	s_delay_alu instid0(VALU_DEP_2) | instskip(NEXT) | instid1(VALU_DEP_2)
	v_mul_f64_e32 v[50:51], v[44:45], v[48:49]
	v_add_f64_e32 v[36:37], v[36:37], v[54:55]
	s_delay_alu instid0(VALU_DEP_2) | instskip(NEXT) | instid1(VALU_DEP_1)
	v_fma_f64 v[44:45], v[48:49], v[44:45], -v[50:51]
	v_fmac_f64_e32 v[44:45], v[48:49], v[40:41]
	s_delay_alu instid0(VALU_DEP_1) | instskip(NEXT) | instid1(VALU_DEP_1)
	v_add_f64_e32 v[40:41], v[50:51], v[44:45]
	v_add_f64_e64 v[52:53], v[42:43], -v[40:41]
	v_add_f64_e64 v[50:51], v[40:41], -v[50:51]
	s_delay_alu instid0(VALU_DEP_2) | instskip(NEXT) | instid1(VALU_DEP_1)
	v_add_f64_e64 v[42:43], v[42:43], -v[52:53]
	v_add_f64_e64 v[40:41], v[42:43], -v[40:41]
	s_delay_alu instid0(VALU_DEP_3) | instskip(NEXT) | instid1(VALU_DEP_2)
	v_add_f64_e64 v[42:43], v[50:51], -v[44:45]
	v_add_f64_e32 v[36:37], v[36:37], v[40:41]
	v_add_f64_e32 v[40:41], v[38:39], v[48:49]
	s_delay_alu instid0(VALU_DEP_2) | instskip(NEXT) | instid1(VALU_DEP_2)
	v_add_f64_e32 v[36:37], v[42:43], v[36:37]
	v_add_f64_e64 v[38:39], v[40:41], -v[38:39]
	s_delay_alu instid0(VALU_DEP_2) | instskip(NEXT) | instid1(VALU_DEP_2)
	v_add_f64_e32 v[36:37], v[52:53], v[36:37]
	v_add_f64_e64 v[38:39], v[48:49], -v[38:39]
	s_delay_alu instid0(VALU_DEP_2) | instskip(NEXT) | instid1(VALU_DEP_1)
	v_mul_f64_e32 v[36:37], v[46:47], v[36:37]
	v_add_f64_e32 v[36:37], v[38:39], v[36:37]
	s_delay_alu instid0(VALU_DEP_1) | instskip(NEXT) | instid1(VALU_DEP_1)
	v_add_f64_e32 v[38:39], v[40:41], v[36:37]
	v_mul_f64_e32 v[42:43], v[38:39], v[38:39]
	s_delay_alu instid0(VALU_DEP_1) | instskip(SKIP_1) | instid1(VALU_DEP_2)
	v_fmamk_f64 v[44:45], v[42:43], 0x3fc3ab76bf559e2b, v[28:29]
	v_mul_f64_e32 v[46:47], v[38:39], v[42:43]
	v_fmaak_f64 v[44:45], v[42:43], v[44:45], 0x3fc7474dd7f4df2e
	s_delay_alu instid0(VALU_DEP_1) | instskip(NEXT) | instid1(VALU_DEP_1)
	v_fmaak_f64 v[44:45], v[42:43], v[44:45], 0x3fcc71c016291751
	v_fmaak_f64 v[44:45], v[42:43], v[44:45], 0x3fd249249b27acf1
	s_delay_alu instid0(VALU_DEP_1) | instskip(NEXT) | instid1(VALU_DEP_1)
	v_fmaak_f64 v[44:45], v[42:43], v[44:45], 0x3fd99999998ef7b6
	v_fmaak_f64 v[42:43], v[42:43], v[44:45], 0x3fe5555555555780
	v_ldexp_f64 v[44:45], v[38:39], 1
	v_add_f64_e64 v[38:39], v[38:39], -v[40:41]
	s_delay_alu instid0(VALU_DEP_3) | instskip(SKIP_1) | instid1(VALU_DEP_3)
	v_mul_f64_e32 v[42:43], v[46:47], v[42:43]
	v_cvt_f64_i32_e32 v[46:47], v58
	v_add_f64_e64 v[36:37], v[36:37], -v[38:39]
	s_delay_alu instid0(VALU_DEP_3) | instskip(NEXT) | instid1(VALU_DEP_3)
	v_add_f64_e32 v[40:41], v[44:45], v[42:43]
	v_mul_f64_e32 v[48:49], 0x3fe62e42fefa39ef, v[46:47]
	s_delay_alu instid0(VALU_DEP_3) | instskip(NEXT) | instid1(VALU_DEP_3)
	v_ldexp_f64 v[36:37], v[36:37], 1
	v_add_f64_e64 v[38:39], v[40:41], -v[44:45]
	s_delay_alu instid0(VALU_DEP_3) | instskip(NEXT) | instid1(VALU_DEP_2)
	v_fma_f64 v[44:45], v[46:47], s[12:13], -v[48:49]
	v_add_f64_e64 v[38:39], v[42:43], -v[38:39]
	s_delay_alu instid0(VALU_DEP_2) | instskip(NEXT) | instid1(VALU_DEP_2)
	v_fmac_f64_e32 v[44:45], 0x3c7abc9e3b39803f, v[46:47]
	v_add_f64_e32 v[36:37], v[36:37], v[38:39]
	s_delay_alu instid0(VALU_DEP_2) | instskip(NEXT) | instid1(VALU_DEP_2)
	v_add_f64_e32 v[38:39], v[48:49], v[44:45]
	v_add_f64_e32 v[42:43], v[40:41], v[36:37]
	s_delay_alu instid0(VALU_DEP_2) | instskip(NEXT) | instid1(VALU_DEP_2)
	v_add_f64_e64 v[48:49], v[38:39], -v[48:49]
	v_add_f64_e32 v[46:47], v[38:39], v[42:43]
	v_add_f64_e64 v[40:41], v[42:43], -v[40:41]
	s_delay_alu instid0(VALU_DEP_3) | instskip(NEXT) | instid1(VALU_DEP_3)
	v_add_f64_e64 v[44:45], v[44:45], -v[48:49]
	v_add_f64_e64 v[50:51], v[46:47], -v[38:39]
	s_delay_alu instid0(VALU_DEP_3) | instskip(NEXT) | instid1(VALU_DEP_2)
	v_add_f64_e64 v[36:37], v[36:37], -v[40:41]
	v_add_f64_e64 v[52:53], v[46:47], -v[50:51]
	;; [unrolled: 1-line block ×3, first 2 shown]
	s_delay_alu instid0(VALU_DEP_3) | instskip(NEXT) | instid1(VALU_DEP_3)
	v_add_f64_e32 v[42:43], v[44:45], v[36:37]
	v_add_f64_e64 v[38:39], v[38:39], -v[52:53]
	s_delay_alu instid0(VALU_DEP_1) | instskip(NEXT) | instid1(VALU_DEP_3)
	v_add_f64_e32 v[38:39], v[40:41], v[38:39]
	v_add_f64_e64 v[40:41], v[42:43], -v[44:45]
	s_delay_alu instid0(VALU_DEP_2) | instskip(NEXT) | instid1(VALU_DEP_2)
	v_add_f64_e32 v[38:39], v[42:43], v[38:39]
	v_add_f64_e64 v[42:43], v[42:43], -v[40:41]
	v_add_f64_e64 v[36:37], v[36:37], -v[40:41]
	s_delay_alu instid0(VALU_DEP_3) | instskip(NEXT) | instid1(VALU_DEP_3)
	v_add_f64_e32 v[48:49], v[46:47], v[38:39]
	v_add_f64_e64 v[42:43], v[44:45], -v[42:43]
	s_delay_alu instid0(VALU_DEP_2) | instskip(NEXT) | instid1(VALU_DEP_2)
	v_add_f64_e64 v[40:41], v[48:49], -v[46:47]
	v_add_f64_e32 v[36:37], v[36:37], v[42:43]
	s_delay_alu instid0(VALU_DEP_2) | instskip(NEXT) | instid1(VALU_DEP_1)
	v_add_f64_e64 v[38:39], v[38:39], -v[40:41]
	v_add_f64_e32 v[36:37], v[36:37], v[38:39]
	v_add_nc_u64_e32 v[38:39], s[6:7], v[26:27]
	s_delay_alu instid0(VALU_DEP_2) | instskip(NEXT) | instid1(VALU_DEP_1)
	v_add_f64_e32 v[36:37], v[48:49], v[36:37]
	v_cndmask_b32_e64 v36, 0, v36, s1
	v_cmp_neq_f64_e64 s1, -1.0, v[34:35]
	s_delay_alu instid0(VALU_DEP_3) | instskip(NEXT) | instid1(VALU_DEP_1)
	v_cndmask_b32_e64 v37, 0x7ff00000, v37, s2
	v_cndmask_b32_e64 v37, 0x7ff80000, v37, s3
	s_delay_alu instid0(VALU_DEP_1)
	v_cndmask_b32_e64 v37, 0xfff00000, v37, s1
	global_store_b64 v[38:39], v[36:37], off
	s_wait_xcnt 0x0
	s_or_b32 exec_lo, exec_lo, s4
	s_and_saveexec_b32 s3, s0
	s_cbranch_execz .LBB201_19
.LBB201_23:                             ;   in Loop: Header=BB201_9 Depth=1
	s_wait_loadcnt 0x0
	v_add_f64_e32 v[34:35], 1.0, v[32:33]
	v_cmp_neq_f64_e64 s1, 0x7ff00000, v[32:33]
	v_cmp_ngt_f64_e64 s2, -1.0, v[32:33]
	s_delay_alu instid0(VALU_DEP_3) | instskip(SKIP_1) | instid1(VALU_DEP_2)
	v_frexp_mant_f64_e32 v[36:37], v[34:35]
	v_frexp_exp_i32_f64_e32 v40, v[34:35]
	v_cmp_gt_f64_e64 s0, s[10:11], v[36:37]
	s_delay_alu instid0(VALU_DEP_1) | instskip(SKIP_2) | instid1(VALU_DEP_2)
	v_subrev_co_ci_u32_e64 v56, null, 0, v40, s0
	v_add_f64_e32 v[38:39], -1.0, v[34:35]
	v_cmp_nge_f64_e64 s0, -1.0, v[32:33]
	v_dual_add_f64 v[36:37], v[38:39], -v[34:35] :: v_dual_sub_nc_u32 v42, 0, v56
	s_delay_alu instid0(VALU_DEP_1) | instskip(SKIP_2) | instid1(VALU_DEP_3)
	v_ldexp_f64 v[34:35], v[34:35], v42
	v_add_f64_e64 v[38:39], v[32:33], -v[38:39]
	s_and_b32 s0, s0, s1
	v_add_f64_e32 v[36:37], 1.0, v[36:37]
	s_delay_alu instid0(VALU_DEP_3) | instskip(SKIP_1) | instid1(VALU_DEP_3)
	v_add_f64_e32 v[40:41], 1.0, v[34:35]
	v_add_f64_e32 v[46:47], -1.0, v[34:35]
	v_add_f64_e32 v[36:37], v[38:39], v[36:37]
	s_delay_alu instid0(VALU_DEP_3) | instskip(NEXT) | instid1(VALU_DEP_3)
	v_add_f64_e32 v[38:39], -1.0, v[40:41]
	v_add_f64_e32 v[48:49], 1.0, v[46:47]
	s_delay_alu instid0(VALU_DEP_3) | instskip(NEXT) | instid1(VALU_DEP_3)
	v_ldexp_f64 v[36:37], v[36:37], v42
	v_add_f64_e64 v[38:39], v[34:35], -v[38:39]
	s_delay_alu instid0(VALU_DEP_3) | instskip(NEXT) | instid1(VALU_DEP_2)
	v_add_f64_e64 v[34:35], v[34:35], -v[48:49]
	v_add_f64_e32 v[38:39], v[36:37], v[38:39]
	s_delay_alu instid0(VALU_DEP_2) | instskip(NEXT) | instid1(VALU_DEP_2)
	v_add_f64_e32 v[34:35], v[36:37], v[34:35]
	v_add_f64_e32 v[42:43], v[40:41], v[38:39]
	s_delay_alu instid0(VALU_DEP_2) | instskip(NEXT) | instid1(VALU_DEP_2)
	v_add_f64_e32 v[48:49], v[46:47], v[34:35]
	v_rcp_f64_e32 v[44:45], v[42:43]
	v_add_f64_e64 v[40:41], v[42:43], -v[40:41]
	s_delay_alu instid0(VALU_DEP_2) | instskip(NEXT) | instid1(VALU_DEP_2)
	v_add_f64_e64 v[46:47], v[48:49], -v[46:47]
	v_add_f64_e64 v[38:39], v[38:39], -v[40:41]
	s_delay_alu instid0(VALU_DEP_2) | instskip(NEXT) | instid1(TRANS32_DEP_1)
	v_add_f64_e64 v[34:35], v[34:35], -v[46:47]
	v_fma_f64 v[50:51], -v[42:43], v[44:45], 1.0
	s_delay_alu instid0(VALU_DEP_1) | instskip(NEXT) | instid1(VALU_DEP_1)
	v_fmac_f64_e32 v[44:45], v[50:51], v[44:45]
	v_fma_f64 v[36:37], -v[42:43], v[44:45], 1.0
	s_delay_alu instid0(VALU_DEP_1) | instskip(NEXT) | instid1(VALU_DEP_1)
	v_fmac_f64_e32 v[44:45], v[36:37], v[44:45]
	v_mul_f64_e32 v[36:37], v[48:49], v[44:45]
	s_delay_alu instid0(VALU_DEP_1) | instskip(NEXT) | instid1(VALU_DEP_1)
	v_mul_f64_e32 v[50:51], v[42:43], v[36:37]
	v_fma_f64 v[40:41], v[36:37], v[42:43], -v[50:51]
	s_delay_alu instid0(VALU_DEP_1) | instskip(NEXT) | instid1(VALU_DEP_1)
	v_fmac_f64_e32 v[40:41], v[36:37], v[38:39]
	v_add_f64_e32 v[52:53], v[50:51], v[40:41]
	s_delay_alu instid0(VALU_DEP_1) | instskip(SKIP_1) | instid1(VALU_DEP_2)
	v_add_f64_e64 v[54:55], v[48:49], -v[52:53]
	v_add_f64_e64 v[46:47], v[52:53], -v[50:51]
	v_add_f64_e64 v[48:49], v[48:49], -v[54:55]
	s_delay_alu instid0(VALU_DEP_2) | instskip(NEXT) | instid1(VALU_DEP_2)
	v_add_f64_e64 v[40:41], v[46:47], -v[40:41]
	v_add_f64_e64 v[48:49], v[48:49], -v[52:53]
	s_delay_alu instid0(VALU_DEP_1) | instskip(NEXT) | instid1(VALU_DEP_1)
	v_add_f64_e32 v[34:35], v[34:35], v[48:49]
	v_add_f64_e32 v[34:35], v[40:41], v[34:35]
	s_delay_alu instid0(VALU_DEP_1) | instskip(NEXT) | instid1(VALU_DEP_1)
	v_add_f64_e32 v[40:41], v[54:55], v[34:35]
	v_mul_f64_e32 v[46:47], v[44:45], v[40:41]
	v_add_f64_e64 v[52:53], v[54:55], -v[40:41]
	s_delay_alu instid0(VALU_DEP_2) | instskip(NEXT) | instid1(VALU_DEP_2)
	v_mul_f64_e32 v[48:49], v[42:43], v[46:47]
	v_add_f64_e32 v[34:35], v[34:35], v[52:53]
	s_delay_alu instid0(VALU_DEP_2) | instskip(NEXT) | instid1(VALU_DEP_1)
	v_fma_f64 v[42:43], v[46:47], v[42:43], -v[48:49]
	v_fmac_f64_e32 v[42:43], v[46:47], v[38:39]
	s_delay_alu instid0(VALU_DEP_1) | instskip(NEXT) | instid1(VALU_DEP_1)
	v_add_f64_e32 v[38:39], v[48:49], v[42:43]
	v_add_f64_e64 v[50:51], v[40:41], -v[38:39]
	v_add_f64_e64 v[48:49], v[38:39], -v[48:49]
	s_delay_alu instid0(VALU_DEP_2) | instskip(NEXT) | instid1(VALU_DEP_1)
	v_add_f64_e64 v[40:41], v[40:41], -v[50:51]
	v_add_f64_e64 v[38:39], v[40:41], -v[38:39]
	s_delay_alu instid0(VALU_DEP_3) | instskip(NEXT) | instid1(VALU_DEP_2)
	v_add_f64_e64 v[40:41], v[48:49], -v[42:43]
	v_add_f64_e32 v[34:35], v[34:35], v[38:39]
	v_add_f64_e32 v[38:39], v[36:37], v[46:47]
	s_delay_alu instid0(VALU_DEP_2) | instskip(NEXT) | instid1(VALU_DEP_2)
	v_add_f64_e32 v[34:35], v[40:41], v[34:35]
	v_add_f64_e64 v[36:37], v[38:39], -v[36:37]
	s_delay_alu instid0(VALU_DEP_2) | instskip(NEXT) | instid1(VALU_DEP_2)
	v_add_f64_e32 v[34:35], v[50:51], v[34:35]
	v_add_f64_e64 v[36:37], v[46:47], -v[36:37]
	s_delay_alu instid0(VALU_DEP_2) | instskip(NEXT) | instid1(VALU_DEP_1)
	v_mul_f64_e32 v[34:35], v[44:45], v[34:35]
	v_add_f64_e32 v[34:35], v[36:37], v[34:35]
	s_delay_alu instid0(VALU_DEP_1) | instskip(NEXT) | instid1(VALU_DEP_1)
	v_add_f64_e32 v[36:37], v[38:39], v[34:35]
	v_mul_f64_e32 v[40:41], v[36:37], v[36:37]
	s_delay_alu instid0(VALU_DEP_1) | instskip(SKIP_1) | instid1(VALU_DEP_2)
	v_fmamk_f64 v[42:43], v[40:41], 0x3fc3ab76bf559e2b, v[28:29]
	v_mul_f64_e32 v[44:45], v[36:37], v[40:41]
	v_fmaak_f64 v[42:43], v[40:41], v[42:43], 0x3fc7474dd7f4df2e
	s_delay_alu instid0(VALU_DEP_1) | instskip(NEXT) | instid1(VALU_DEP_1)
	v_fmaak_f64 v[42:43], v[40:41], v[42:43], 0x3fcc71c016291751
	v_fmaak_f64 v[42:43], v[40:41], v[42:43], 0x3fd249249b27acf1
	s_delay_alu instid0(VALU_DEP_1) | instskip(NEXT) | instid1(VALU_DEP_1)
	v_fmaak_f64 v[42:43], v[40:41], v[42:43], 0x3fd99999998ef7b6
	v_fmaak_f64 v[40:41], v[40:41], v[42:43], 0x3fe5555555555780
	v_ldexp_f64 v[42:43], v[36:37], 1
	v_add_f64_e64 v[36:37], v[36:37], -v[38:39]
	s_delay_alu instid0(VALU_DEP_3) | instskip(SKIP_1) | instid1(VALU_DEP_3)
	v_mul_f64_e32 v[40:41], v[44:45], v[40:41]
	v_cvt_f64_i32_e32 v[44:45], v56
	v_add_f64_e64 v[34:35], v[34:35], -v[36:37]
	s_delay_alu instid0(VALU_DEP_3) | instskip(NEXT) | instid1(VALU_DEP_3)
	v_add_f64_e32 v[38:39], v[42:43], v[40:41]
	v_mul_f64_e32 v[46:47], 0x3fe62e42fefa39ef, v[44:45]
	s_delay_alu instid0(VALU_DEP_3) | instskip(NEXT) | instid1(VALU_DEP_3)
	v_ldexp_f64 v[34:35], v[34:35], 1
	v_add_f64_e64 v[36:37], v[38:39], -v[42:43]
	s_delay_alu instid0(VALU_DEP_3) | instskip(NEXT) | instid1(VALU_DEP_2)
	v_fma_f64 v[42:43], v[44:45], s[12:13], -v[46:47]
	v_add_f64_e64 v[36:37], v[40:41], -v[36:37]
	s_delay_alu instid0(VALU_DEP_2) | instskip(NEXT) | instid1(VALU_DEP_2)
	v_fmac_f64_e32 v[42:43], 0x3c7abc9e3b39803f, v[44:45]
	v_add_f64_e32 v[34:35], v[34:35], v[36:37]
	s_delay_alu instid0(VALU_DEP_2) | instskip(NEXT) | instid1(VALU_DEP_2)
	v_add_f64_e32 v[36:37], v[46:47], v[42:43]
	v_add_f64_e32 v[40:41], v[38:39], v[34:35]
	s_delay_alu instid0(VALU_DEP_2) | instskip(NEXT) | instid1(VALU_DEP_2)
	v_add_f64_e64 v[46:47], v[36:37], -v[46:47]
	v_add_f64_e32 v[44:45], v[36:37], v[40:41]
	v_add_f64_e64 v[38:39], v[40:41], -v[38:39]
	s_delay_alu instid0(VALU_DEP_3) | instskip(NEXT) | instid1(VALU_DEP_3)
	v_add_f64_e64 v[42:43], v[42:43], -v[46:47]
	v_add_f64_e64 v[48:49], v[44:45], -v[36:37]
	s_delay_alu instid0(VALU_DEP_3) | instskip(NEXT) | instid1(VALU_DEP_2)
	v_add_f64_e64 v[34:35], v[34:35], -v[38:39]
	v_add_f64_e64 v[50:51], v[44:45], -v[48:49]
	;; [unrolled: 1-line block ×3, first 2 shown]
	s_delay_alu instid0(VALU_DEP_3) | instskip(NEXT) | instid1(VALU_DEP_3)
	v_add_f64_e32 v[40:41], v[42:43], v[34:35]
	v_add_f64_e64 v[36:37], v[36:37], -v[50:51]
	s_delay_alu instid0(VALU_DEP_1) | instskip(NEXT) | instid1(VALU_DEP_3)
	v_add_f64_e32 v[36:37], v[38:39], v[36:37]
	v_add_f64_e64 v[38:39], v[40:41], -v[42:43]
	s_delay_alu instid0(VALU_DEP_2) | instskip(NEXT) | instid1(VALU_DEP_2)
	v_add_f64_e32 v[36:37], v[40:41], v[36:37]
	v_add_f64_e64 v[40:41], v[40:41], -v[38:39]
	v_add_f64_e64 v[34:35], v[34:35], -v[38:39]
	s_delay_alu instid0(VALU_DEP_3) | instskip(NEXT) | instid1(VALU_DEP_3)
	v_add_f64_e32 v[46:47], v[44:45], v[36:37]
	v_add_f64_e64 v[40:41], v[42:43], -v[40:41]
	s_delay_alu instid0(VALU_DEP_2) | instskip(NEXT) | instid1(VALU_DEP_2)
	v_add_f64_e64 v[38:39], v[46:47], -v[44:45]
	v_add_f64_e32 v[34:35], v[34:35], v[40:41]
	s_delay_alu instid0(VALU_DEP_2) | instskip(NEXT) | instid1(VALU_DEP_1)
	v_add_f64_e64 v[36:37], v[36:37], -v[38:39]
	v_add_f64_e32 v[34:35], v[34:35], v[36:37]
	v_add_nc_u64_e32 v[36:37], s[6:7], v[18:19]
	s_delay_alu instid0(VALU_DEP_2) | instskip(NEXT) | instid1(VALU_DEP_1)
	v_add_f64_e32 v[34:35], v[46:47], v[34:35]
	v_cndmask_b32_e64 v34, 0, v34, s0
	v_cmp_neq_f64_e64 s0, -1.0, v[32:33]
	s_delay_alu instid0(VALU_DEP_3) | instskip(NEXT) | instid1(VALU_DEP_1)
	v_cndmask_b32_e64 v35, 0x7ff00000, v35, s1
	v_cndmask_b32_e64 v35, 0x7ff80000, v35, s2
	s_delay_alu instid0(VALU_DEP_1)
	v_cndmask_b32_e64 v35, 0xfff00000, v35, s0
	global_store_b64 v[36:37], v[34:35], off
	s_wait_xcnt 0x0
	s_or_b32 exec_lo, exec_lo, s3
	s_and_saveexec_b32 s2, vcc_lo
	s_cbranch_execz .LBB201_8
.LBB201_24:                             ;   in Loop: Header=BB201_9 Depth=1
	s_wait_loadcnt 0x0
	v_add_f64_e32 v[32:33], 1.0, v[30:31]
	v_cmp_neq_f64_e64 s0, 0x7ff00000, v[30:31]
	v_cmp_ngt_f64_e64 s1, -1.0, v[30:31]
	s_delay_alu instid0(VALU_DEP_3) | instskip(SKIP_1) | instid1(VALU_DEP_2)
	v_frexp_mant_f64_e32 v[34:35], v[32:33]
	v_frexp_exp_i32_f64_e32 v38, v[32:33]
	v_cmp_gt_f64_e32 vcc_lo, s[10:11], v[34:35]
	s_delay_alu instid0(VALU_DEP_2) | instskip(SKIP_2) | instid1(VALU_DEP_2)
	v_subrev_co_ci_u32_e64 v54, null, 0, v38, vcc_lo
	v_add_f64_e32 v[36:37], -1.0, v[32:33]
	v_cmp_nge_f64_e32 vcc_lo, -1.0, v[30:31]
	v_dual_add_f64 v[34:35], v[36:37], -v[32:33] :: v_dual_sub_nc_u32 v40, 0, v54
	s_delay_alu instid0(VALU_DEP_1) | instskip(SKIP_2) | instid1(VALU_DEP_3)
	v_ldexp_f64 v[32:33], v[32:33], v40
	v_add_f64_e64 v[36:37], v[30:31], -v[36:37]
	s_and_b32 vcc_lo, vcc_lo, s0
	v_add_f64_e32 v[34:35], 1.0, v[34:35]
	s_delay_alu instid0(VALU_DEP_3) | instskip(SKIP_1) | instid1(VALU_DEP_3)
	v_add_f64_e32 v[38:39], 1.0, v[32:33]
	v_add_f64_e32 v[44:45], -1.0, v[32:33]
	v_add_f64_e32 v[34:35], v[36:37], v[34:35]
	s_delay_alu instid0(VALU_DEP_3) | instskip(NEXT) | instid1(VALU_DEP_3)
	v_add_f64_e32 v[36:37], -1.0, v[38:39]
	v_add_f64_e32 v[46:47], 1.0, v[44:45]
	s_delay_alu instid0(VALU_DEP_3) | instskip(NEXT) | instid1(VALU_DEP_3)
	v_ldexp_f64 v[34:35], v[34:35], v40
	v_add_f64_e64 v[36:37], v[32:33], -v[36:37]
	s_delay_alu instid0(VALU_DEP_3) | instskip(NEXT) | instid1(VALU_DEP_2)
	v_add_f64_e64 v[32:33], v[32:33], -v[46:47]
	v_add_f64_e32 v[36:37], v[34:35], v[36:37]
	s_delay_alu instid0(VALU_DEP_2) | instskip(NEXT) | instid1(VALU_DEP_2)
	v_add_f64_e32 v[32:33], v[34:35], v[32:33]
	v_add_f64_e32 v[40:41], v[38:39], v[36:37]
	s_delay_alu instid0(VALU_DEP_2) | instskip(NEXT) | instid1(VALU_DEP_2)
	v_add_f64_e32 v[46:47], v[44:45], v[32:33]
	v_rcp_f64_e32 v[42:43], v[40:41]
	v_add_f64_e64 v[38:39], v[40:41], -v[38:39]
	s_delay_alu instid0(VALU_DEP_2) | instskip(NEXT) | instid1(VALU_DEP_2)
	v_add_f64_e64 v[44:45], v[46:47], -v[44:45]
	v_add_f64_e64 v[36:37], v[36:37], -v[38:39]
	s_delay_alu instid0(VALU_DEP_2) | instskip(NEXT) | instid1(TRANS32_DEP_1)
	v_add_f64_e64 v[32:33], v[32:33], -v[44:45]
	v_fma_f64 v[48:49], -v[40:41], v[42:43], 1.0
	s_delay_alu instid0(VALU_DEP_1) | instskip(NEXT) | instid1(VALU_DEP_1)
	v_fmac_f64_e32 v[42:43], v[48:49], v[42:43]
	v_fma_f64 v[34:35], -v[40:41], v[42:43], 1.0
	s_delay_alu instid0(VALU_DEP_1) | instskip(NEXT) | instid1(VALU_DEP_1)
	v_fmac_f64_e32 v[42:43], v[34:35], v[42:43]
	v_mul_f64_e32 v[34:35], v[46:47], v[42:43]
	s_delay_alu instid0(VALU_DEP_1) | instskip(NEXT) | instid1(VALU_DEP_1)
	v_mul_f64_e32 v[48:49], v[40:41], v[34:35]
	v_fma_f64 v[38:39], v[34:35], v[40:41], -v[48:49]
	s_delay_alu instid0(VALU_DEP_1) | instskip(NEXT) | instid1(VALU_DEP_1)
	v_fmac_f64_e32 v[38:39], v[34:35], v[36:37]
	v_add_f64_e32 v[50:51], v[48:49], v[38:39]
	s_delay_alu instid0(VALU_DEP_1) | instskip(SKIP_1) | instid1(VALU_DEP_2)
	v_add_f64_e64 v[52:53], v[46:47], -v[50:51]
	v_add_f64_e64 v[44:45], v[50:51], -v[48:49]
	v_add_f64_e64 v[46:47], v[46:47], -v[52:53]
	s_delay_alu instid0(VALU_DEP_2) | instskip(NEXT) | instid1(VALU_DEP_2)
	v_add_f64_e64 v[38:39], v[44:45], -v[38:39]
	v_add_f64_e64 v[46:47], v[46:47], -v[50:51]
	s_delay_alu instid0(VALU_DEP_1) | instskip(NEXT) | instid1(VALU_DEP_1)
	v_add_f64_e32 v[32:33], v[32:33], v[46:47]
	v_add_f64_e32 v[32:33], v[38:39], v[32:33]
	s_delay_alu instid0(VALU_DEP_1) | instskip(NEXT) | instid1(VALU_DEP_1)
	v_add_f64_e32 v[38:39], v[52:53], v[32:33]
	v_mul_f64_e32 v[44:45], v[42:43], v[38:39]
	v_add_f64_e64 v[50:51], v[52:53], -v[38:39]
	s_delay_alu instid0(VALU_DEP_2) | instskip(NEXT) | instid1(VALU_DEP_2)
	v_mul_f64_e32 v[46:47], v[40:41], v[44:45]
	v_add_f64_e32 v[32:33], v[32:33], v[50:51]
	s_delay_alu instid0(VALU_DEP_2) | instskip(NEXT) | instid1(VALU_DEP_1)
	v_fma_f64 v[40:41], v[44:45], v[40:41], -v[46:47]
	v_fmac_f64_e32 v[40:41], v[44:45], v[36:37]
	s_delay_alu instid0(VALU_DEP_1) | instskip(NEXT) | instid1(VALU_DEP_1)
	v_add_f64_e32 v[36:37], v[46:47], v[40:41]
	v_add_f64_e64 v[48:49], v[38:39], -v[36:37]
	v_add_f64_e64 v[46:47], v[36:37], -v[46:47]
	s_delay_alu instid0(VALU_DEP_2) | instskip(NEXT) | instid1(VALU_DEP_1)
	v_add_f64_e64 v[38:39], v[38:39], -v[48:49]
	v_add_f64_e64 v[36:37], v[38:39], -v[36:37]
	s_delay_alu instid0(VALU_DEP_3) | instskip(NEXT) | instid1(VALU_DEP_2)
	v_add_f64_e64 v[38:39], v[46:47], -v[40:41]
	v_add_f64_e32 v[32:33], v[32:33], v[36:37]
	v_add_f64_e32 v[36:37], v[34:35], v[44:45]
	s_delay_alu instid0(VALU_DEP_2) | instskip(NEXT) | instid1(VALU_DEP_2)
	v_add_f64_e32 v[32:33], v[38:39], v[32:33]
	v_add_f64_e64 v[34:35], v[36:37], -v[34:35]
	s_delay_alu instid0(VALU_DEP_2) | instskip(NEXT) | instid1(VALU_DEP_2)
	v_add_f64_e32 v[32:33], v[48:49], v[32:33]
	v_add_f64_e64 v[34:35], v[44:45], -v[34:35]
	s_delay_alu instid0(VALU_DEP_2) | instskip(NEXT) | instid1(VALU_DEP_1)
	v_mul_f64_e32 v[32:33], v[42:43], v[32:33]
	v_add_f64_e32 v[32:33], v[34:35], v[32:33]
	s_delay_alu instid0(VALU_DEP_1) | instskip(NEXT) | instid1(VALU_DEP_1)
	v_add_f64_e32 v[34:35], v[36:37], v[32:33]
	v_mul_f64_e32 v[38:39], v[34:35], v[34:35]
	s_delay_alu instid0(VALU_DEP_1) | instskip(SKIP_1) | instid1(VALU_DEP_2)
	v_fmamk_f64 v[40:41], v[38:39], 0x3fc3ab76bf559e2b, v[28:29]
	v_mul_f64_e32 v[42:43], v[34:35], v[38:39]
	v_fmaak_f64 v[40:41], v[38:39], v[40:41], 0x3fc7474dd7f4df2e
	s_delay_alu instid0(VALU_DEP_1) | instskip(NEXT) | instid1(VALU_DEP_1)
	v_fmaak_f64 v[40:41], v[38:39], v[40:41], 0x3fcc71c016291751
	v_fmaak_f64 v[40:41], v[38:39], v[40:41], 0x3fd249249b27acf1
	s_delay_alu instid0(VALU_DEP_1) | instskip(NEXT) | instid1(VALU_DEP_1)
	v_fmaak_f64 v[40:41], v[38:39], v[40:41], 0x3fd99999998ef7b6
	v_fmaak_f64 v[38:39], v[38:39], v[40:41], 0x3fe5555555555780
	v_ldexp_f64 v[40:41], v[34:35], 1
	v_add_f64_e64 v[34:35], v[34:35], -v[36:37]
	s_delay_alu instid0(VALU_DEP_3) | instskip(SKIP_1) | instid1(VALU_DEP_3)
	v_mul_f64_e32 v[38:39], v[42:43], v[38:39]
	v_cvt_f64_i32_e32 v[42:43], v54
	v_add_f64_e64 v[32:33], v[32:33], -v[34:35]
	s_delay_alu instid0(VALU_DEP_3) | instskip(NEXT) | instid1(VALU_DEP_3)
	v_add_f64_e32 v[36:37], v[40:41], v[38:39]
	v_mul_f64_e32 v[44:45], 0x3fe62e42fefa39ef, v[42:43]
	s_delay_alu instid0(VALU_DEP_3) | instskip(NEXT) | instid1(VALU_DEP_3)
	v_ldexp_f64 v[32:33], v[32:33], 1
	v_add_f64_e64 v[34:35], v[36:37], -v[40:41]
	s_delay_alu instid0(VALU_DEP_3) | instskip(NEXT) | instid1(VALU_DEP_2)
	v_fma_f64 v[40:41], v[42:43], s[12:13], -v[44:45]
	v_add_f64_e64 v[34:35], v[38:39], -v[34:35]
	s_delay_alu instid0(VALU_DEP_2) | instskip(NEXT) | instid1(VALU_DEP_2)
	v_fmac_f64_e32 v[40:41], 0x3c7abc9e3b39803f, v[42:43]
	v_add_f64_e32 v[32:33], v[32:33], v[34:35]
	s_delay_alu instid0(VALU_DEP_2) | instskip(NEXT) | instid1(VALU_DEP_2)
	v_add_f64_e32 v[34:35], v[44:45], v[40:41]
	v_add_f64_e32 v[38:39], v[36:37], v[32:33]
	s_delay_alu instid0(VALU_DEP_2) | instskip(NEXT) | instid1(VALU_DEP_2)
	v_add_f64_e64 v[44:45], v[34:35], -v[44:45]
	v_add_f64_e32 v[42:43], v[34:35], v[38:39]
	v_add_f64_e64 v[36:37], v[38:39], -v[36:37]
	s_delay_alu instid0(VALU_DEP_3) | instskip(NEXT) | instid1(VALU_DEP_3)
	v_add_f64_e64 v[40:41], v[40:41], -v[44:45]
	v_add_f64_e64 v[46:47], v[42:43], -v[34:35]
	s_delay_alu instid0(VALU_DEP_3) | instskip(NEXT) | instid1(VALU_DEP_2)
	v_add_f64_e64 v[32:33], v[32:33], -v[36:37]
	v_add_f64_e64 v[48:49], v[42:43], -v[46:47]
	;; [unrolled: 1-line block ×3, first 2 shown]
	s_delay_alu instid0(VALU_DEP_3) | instskip(NEXT) | instid1(VALU_DEP_3)
	v_add_f64_e32 v[38:39], v[40:41], v[32:33]
	v_add_f64_e64 v[34:35], v[34:35], -v[48:49]
	s_delay_alu instid0(VALU_DEP_1) | instskip(NEXT) | instid1(VALU_DEP_3)
	v_add_f64_e32 v[34:35], v[36:37], v[34:35]
	v_add_f64_e64 v[36:37], v[38:39], -v[40:41]
	s_delay_alu instid0(VALU_DEP_2) | instskip(NEXT) | instid1(VALU_DEP_2)
	v_add_f64_e32 v[34:35], v[38:39], v[34:35]
	v_add_f64_e64 v[38:39], v[38:39], -v[36:37]
	v_add_f64_e64 v[32:33], v[32:33], -v[36:37]
	s_delay_alu instid0(VALU_DEP_3) | instskip(NEXT) | instid1(VALU_DEP_3)
	v_add_f64_e32 v[44:45], v[42:43], v[34:35]
	v_add_f64_e64 v[38:39], v[40:41], -v[38:39]
	s_delay_alu instid0(VALU_DEP_2) | instskip(NEXT) | instid1(VALU_DEP_2)
	v_add_f64_e64 v[36:37], v[44:45], -v[42:43]
	v_add_f64_e32 v[32:33], v[32:33], v[38:39]
	s_delay_alu instid0(VALU_DEP_2) | instskip(NEXT) | instid1(VALU_DEP_1)
	v_add_f64_e64 v[34:35], v[34:35], -v[36:37]
	v_add_f64_e32 v[32:33], v[32:33], v[34:35]
	v_add_nc_u64_e32 v[34:35], s[6:7], v[22:23]
	s_delay_alu instid0(VALU_DEP_2) | instskip(NEXT) | instid1(VALU_DEP_1)
	v_add_f64_e32 v[32:33], v[44:45], v[32:33]
	v_cndmask_b32_e32 v32, 0, v32, vcc_lo
	v_cmp_neq_f64_e32 vcc_lo, -1.0, v[30:31]
	s_delay_alu instid0(VALU_DEP_3) | instskip(NEXT) | instid1(VALU_DEP_1)
	v_cndmask_b32_e64 v33, 0x7ff00000, v33, s0
	v_cndmask_b32_e64 v33, 0x7ff80000, v33, s1
	s_delay_alu instid0(VALU_DEP_1)
	v_cndmask_b32_e32 v33, 0xfff00000, v33, vcc_lo
	global_store_b64 v[34:35], v[32:33], off
	s_branch .LBB201_8
.LBB201_25:
	s_endpgm
	.section	.rodata,"a",@progbits
	.p2align	6, 0x0
	.amdhsa_kernel _ZN2at6native12_GLOBAL__N_125multi_tensor_apply_kernelINS1_18TensorListMetadataILi2EEENS1_14UnaryOpFunctorIdLi2ELi1ELi1EEEJNS0_5Log1pIdEEEEEvT_T0_DpT1_
		.amdhsa_group_segment_fixed_size 0
		.amdhsa_private_segment_fixed_size 0
		.amdhsa_kernarg_size 3408
		.amdhsa_user_sgpr_count 2
		.amdhsa_user_sgpr_dispatch_ptr 0
		.amdhsa_user_sgpr_queue_ptr 0
		.amdhsa_user_sgpr_kernarg_segment_ptr 1
		.amdhsa_user_sgpr_dispatch_id 0
		.amdhsa_user_sgpr_kernarg_preload_length 0
		.amdhsa_user_sgpr_kernarg_preload_offset 0
		.amdhsa_user_sgpr_private_segment_size 0
		.amdhsa_wavefront_size32 1
		.amdhsa_uses_dynamic_stack 0
		.amdhsa_enable_private_segment 0
		.amdhsa_system_sgpr_workgroup_id_x 1
		.amdhsa_system_sgpr_workgroup_id_y 0
		.amdhsa_system_sgpr_workgroup_id_z 0
		.amdhsa_system_sgpr_workgroup_info 0
		.amdhsa_system_vgpr_workitem_id 0
		.amdhsa_next_free_vgpr 61
		.amdhsa_next_free_sgpr 21
		.amdhsa_named_barrier_count 0
		.amdhsa_reserve_vcc 1
		.amdhsa_float_round_mode_32 0
		.amdhsa_float_round_mode_16_64 0
		.amdhsa_float_denorm_mode_32 3
		.amdhsa_float_denorm_mode_16_64 3
		.amdhsa_fp16_overflow 0
		.amdhsa_memory_ordered 1
		.amdhsa_forward_progress 1
		.amdhsa_inst_pref_size 70
		.amdhsa_round_robin_scheduling 0
		.amdhsa_exception_fp_ieee_invalid_op 0
		.amdhsa_exception_fp_denorm_src 0
		.amdhsa_exception_fp_ieee_div_zero 0
		.amdhsa_exception_fp_ieee_overflow 0
		.amdhsa_exception_fp_ieee_underflow 0
		.amdhsa_exception_fp_ieee_inexact 0
		.amdhsa_exception_int_div_zero 0
	.end_amdhsa_kernel
	.section	.text._ZN2at6native12_GLOBAL__N_125multi_tensor_apply_kernelINS1_18TensorListMetadataILi2EEENS1_14UnaryOpFunctorIdLi2ELi1ELi1EEEJNS0_5Log1pIdEEEEEvT_T0_DpT1_,"axG",@progbits,_ZN2at6native12_GLOBAL__N_125multi_tensor_apply_kernelINS1_18TensorListMetadataILi2EEENS1_14UnaryOpFunctorIdLi2ELi1ELi1EEEJNS0_5Log1pIdEEEEEvT_T0_DpT1_,comdat
.Lfunc_end201:
	.size	_ZN2at6native12_GLOBAL__N_125multi_tensor_apply_kernelINS1_18TensorListMetadataILi2EEENS1_14UnaryOpFunctorIdLi2ELi1ELi1EEEJNS0_5Log1pIdEEEEEvT_T0_DpT1_, .Lfunc_end201-_ZN2at6native12_GLOBAL__N_125multi_tensor_apply_kernelINS1_18TensorListMetadataILi2EEENS1_14UnaryOpFunctorIdLi2ELi1ELi1EEEJNS0_5Log1pIdEEEEEvT_T0_DpT1_
                                        ; -- End function
	.set _ZN2at6native12_GLOBAL__N_125multi_tensor_apply_kernelINS1_18TensorListMetadataILi2EEENS1_14UnaryOpFunctorIdLi2ELi1ELi1EEEJNS0_5Log1pIdEEEEEvT_T0_DpT1_.num_vgpr, 61
	.set _ZN2at6native12_GLOBAL__N_125multi_tensor_apply_kernelINS1_18TensorListMetadataILi2EEENS1_14UnaryOpFunctorIdLi2ELi1ELi1EEEJNS0_5Log1pIdEEEEEvT_T0_DpT1_.num_agpr, 0
	.set _ZN2at6native12_GLOBAL__N_125multi_tensor_apply_kernelINS1_18TensorListMetadataILi2EEENS1_14UnaryOpFunctorIdLi2ELi1ELi1EEEJNS0_5Log1pIdEEEEEvT_T0_DpT1_.numbered_sgpr, 21
	.set _ZN2at6native12_GLOBAL__N_125multi_tensor_apply_kernelINS1_18TensorListMetadataILi2EEENS1_14UnaryOpFunctorIdLi2ELi1ELi1EEEJNS0_5Log1pIdEEEEEvT_T0_DpT1_.num_named_barrier, 0
	.set _ZN2at6native12_GLOBAL__N_125multi_tensor_apply_kernelINS1_18TensorListMetadataILi2EEENS1_14UnaryOpFunctorIdLi2ELi1ELi1EEEJNS0_5Log1pIdEEEEEvT_T0_DpT1_.private_seg_size, 0
	.set _ZN2at6native12_GLOBAL__N_125multi_tensor_apply_kernelINS1_18TensorListMetadataILi2EEENS1_14UnaryOpFunctorIdLi2ELi1ELi1EEEJNS0_5Log1pIdEEEEEvT_T0_DpT1_.uses_vcc, 1
	.set _ZN2at6native12_GLOBAL__N_125multi_tensor_apply_kernelINS1_18TensorListMetadataILi2EEENS1_14UnaryOpFunctorIdLi2ELi1ELi1EEEJNS0_5Log1pIdEEEEEvT_T0_DpT1_.uses_flat_scratch, 0
	.set _ZN2at6native12_GLOBAL__N_125multi_tensor_apply_kernelINS1_18TensorListMetadataILi2EEENS1_14UnaryOpFunctorIdLi2ELi1ELi1EEEJNS0_5Log1pIdEEEEEvT_T0_DpT1_.has_dyn_sized_stack, 0
	.set _ZN2at6native12_GLOBAL__N_125multi_tensor_apply_kernelINS1_18TensorListMetadataILi2EEENS1_14UnaryOpFunctorIdLi2ELi1ELi1EEEJNS0_5Log1pIdEEEEEvT_T0_DpT1_.has_recursion, 0
	.set _ZN2at6native12_GLOBAL__N_125multi_tensor_apply_kernelINS1_18TensorListMetadataILi2EEENS1_14UnaryOpFunctorIdLi2ELi1ELi1EEEJNS0_5Log1pIdEEEEEvT_T0_DpT1_.has_indirect_call, 0
	.section	.AMDGPU.csdata,"",@progbits
; Kernel info:
; codeLenInByte = 8884
; TotalNumSgprs: 23
; NumVgprs: 61
; ScratchSize: 0
; MemoryBound: 0
; FloatMode: 240
; IeeeMode: 1
; LDSByteSize: 0 bytes/workgroup (compile time only)
; SGPRBlocks: 0
; VGPRBlocks: 3
; NumSGPRsForWavesPerEU: 23
; NumVGPRsForWavesPerEU: 61
; NamedBarCnt: 0
; Occupancy: 16
; WaveLimiterHint : 0
; COMPUTE_PGM_RSRC2:SCRATCH_EN: 0
; COMPUTE_PGM_RSRC2:USER_SGPR: 2
; COMPUTE_PGM_RSRC2:TRAP_HANDLER: 0
; COMPUTE_PGM_RSRC2:TGID_X_EN: 1
; COMPUTE_PGM_RSRC2:TGID_Y_EN: 0
; COMPUTE_PGM_RSRC2:TGID_Z_EN: 0
; COMPUTE_PGM_RSRC2:TIDIG_COMP_CNT: 0
	.section	.text._ZN2at6native12_GLOBAL__N_125multi_tensor_apply_kernelINS1_18TensorListMetadataILi2EEENS1_14UnaryOpFunctorIfLi2ELi1ELi1EEEJNS0_5Log1pIfEEEEEvT_T0_DpT1_,"axG",@progbits,_ZN2at6native12_GLOBAL__N_125multi_tensor_apply_kernelINS1_18TensorListMetadataILi2EEENS1_14UnaryOpFunctorIfLi2ELi1ELi1EEEJNS0_5Log1pIfEEEEEvT_T0_DpT1_,comdat
	.globl	_ZN2at6native12_GLOBAL__N_125multi_tensor_apply_kernelINS1_18TensorListMetadataILi2EEENS1_14UnaryOpFunctorIfLi2ELi1ELi1EEEJNS0_5Log1pIfEEEEEvT_T0_DpT1_ ; -- Begin function _ZN2at6native12_GLOBAL__N_125multi_tensor_apply_kernelINS1_18TensorListMetadataILi2EEENS1_14UnaryOpFunctorIfLi2ELi1ELi1EEEJNS0_5Log1pIfEEEEEvT_T0_DpT1_
	.p2align	8
	.type	_ZN2at6native12_GLOBAL__N_125multi_tensor_apply_kernelINS1_18TensorListMetadataILi2EEENS1_14UnaryOpFunctorIfLi2ELi1ELi1EEEJNS0_5Log1pIfEEEEEvT_T0_DpT1_,@function
_ZN2at6native12_GLOBAL__N_125multi_tensor_apply_kernelINS1_18TensorListMetadataILi2EEENS1_14UnaryOpFunctorIfLi2ELi1ELi1EEEJNS0_5Log1pIfEEEEEvT_T0_DpT1_: ; @_ZN2at6native12_GLOBAL__N_125multi_tensor_apply_kernelINS1_18TensorListMetadataILi2EEENS1_14UnaryOpFunctorIfLi2ELi1ELi1EEEJNS0_5Log1pIfEEEEEvT_T0_DpT1_
; %bb.0:
	s_bfe_u32 s2, ttmp6, 0x4000c
	s_and_b32 s3, ttmp6, 15
	s_add_co_i32 s2, s2, 1
	s_getreg_b32 s4, hwreg(HW_REG_IB_STS2, 6, 4)
	s_mul_i32 s2, ttmp9, s2
	s_delay_alu instid0(SALU_CYCLE_1)
	s_add_co_i32 s3, s3, s2
	s_cmp_eq_u32 s4, 0
	s_cselect_b32 s2, ttmp9, s3
	s_mov_b32 s3, 0
	s_load_u8 s13, s[0:1], s2 offset:0x600
	s_add_nc_u64 s[4:5], s[0:1], s[2:3]
	s_mul_u64 s[6:7], s[2:3], 3
	s_delay_alu instid0(SALU_CYCLE_1)
	s_add_nc_u64 s[4:5], s[4:5], s[6:7]
	s_load_b32 s12, s[4:5], 0x740
	s_wait_kmcnt 0x0
	s_clause 0x2
	s_load_b64 s[8:9], s[0:1], s13 offset:0x0 scale_offset
	s_load_b64 s[10:11], s[0:1], s13 offset:0x200 scale_offset
	;; [unrolled: 1-line block ×3, first 2 shown]
	s_mov_b32 s5, s3
	s_wait_xcnt 0x0
	s_ashr_i32 s13, s12, 31
	s_delay_alu instid0(SALU_CYCLE_1)
	s_lshl_b64 s[6:7], s[12:13], 18
	s_wait_kmcnt 0x0
	s_and_b64 s[18:19], s[10:11], 15
	s_add_nc_u64 s[16:17], s[8:9], s[6:7]
	s_and_b32 s4, s14, 3
	s_and_b32 s2, s16, 15
	s_or_b64 s[4:5], s[18:19], s[4:5]
	s_lshl_b64 s[12:13], s[12:13], 16
	s_or_b64 s[2:3], s[4:5], s[2:3]
	s_sub_nc_u64 s[12:13], s[14:15], s[12:13]
	s_cmp_eq_u64 s[2:3], 0
	s_mov_b32 s2, -1
	s_cbranch_scc0 .LBB202_5
; %bb.1:
	v_min_i64 v[6:7], 0x10000, s[12:13]
	v_dual_mov_b32 v3, 0 :: v_dual_lshlrev_b32 v2, 2, v0
	s_mov_b32 s19, exec_lo
	s_delay_alu instid0(VALU_DEP_1)
	v_cmpx_lt_i64_e64 v[2:3], v[6:7]
	s_cbranch_execz .LBB202_4
; %bb.2:
	s_load_b32 s2, s[0:1], 0xc5c
	v_dual_mov_b32 v1, v3 :: v_dual_lshlrev_b32 v2, 4, v0
	s_mov_b32 s15, 0
	s_add_nc_u64 s[16:17], s[8:9], 8
	s_mov_b32 s18, 0x3ecc95a3
	s_delay_alu instid0(VALU_DEP_1)
	v_mov_b64_e32 v[10:11], v[0:1]
	v_add_nc_u64_e32 v[8:9], s[6:7], v[2:3]
	s_mov_b32 s20, 0x3e9b6dac
	s_mov_b32 s22, 0x3f2aaada
	;; [unrolled: 1-line block ×6, first 2 shown]
	s_wait_kmcnt 0x0
	s_and_b32 s14, s2, 0xffff
	s_delay_alu instid0(SALU_CYCLE_1)
	s_lshl_b32 s28, s14, 4
.LBB202_3:                              ; =>This Inner Loop Header: Depth=1
	v_add_nc_u64_e32 v[2:3], s[16:17], v[8:9]
	v_add_nc_u64_e32 v[10:11], s[14:15], v[10:11]
	global_load_b128 v[2:5], v[2:3], off offset:-8
	v_lshlrev_b64_e32 v[12:13], 2, v[10:11]
	s_delay_alu instid0(VALU_DEP_1) | instskip(SKIP_3) | instid1(VALU_DEP_2)
	v_cmp_ge_i64_e32 vcc_lo, v[12:13], v[6:7]
	s_wait_loadcnt 0x0
	v_dual_add_f32 v1, 1.0, v3 :: v_dual_add_f32 v20, 1.0, v2
	v_dual_add_f32 v22, 1.0, v4 :: v_dual_add_f32 v23, 1.0, v5
	v_cvt_f64_f32_e32 v[12:13], v1
	s_delay_alu instid0(VALU_DEP_3) | instskip(NEXT) | instid1(VALU_DEP_3)
	v_cvt_f64_f32_e32 v[14:15], v20
	v_cvt_f64_f32_e32 v[18:19], v22
	s_delay_alu instid0(VALU_DEP_4)
	v_cvt_f64_f32_e32 v[16:17], v23
	v_frexp_mant_f32_e32 v24, v20
	v_frexp_mant_f32_e32 v25, v1
	v_dual_add_f32 v21, -1.0, v20 :: v_dual_add_f32 v26, -1.0, v1
	v_dual_add_f32 v27, -1.0, v22 :: v_dual_add_f32 v30, -1.0, v23
	v_frexp_mant_f32_e32 v28, v22
	v_frexp_mant_f32_e32 v29, v23
	v_cmp_gt_f32_e64 s2, 0x3f2aaaab, v24
	v_cmp_gt_f32_e64 s5, 0x3f2aaaab, v25
	v_dual_sub_f32 v31, v21, v20 :: v_dual_sub_f32 v21, v2, v21
	v_dual_sub_f32 v32, v26, v1 :: v_dual_sub_f32 v26, v3, v26
	;; [unrolled: 1-line block ×3, first 2 shown]
	v_cmp_gt_f32_e64 s3, 0x3f2aaaab, v28
	v_cmp_gt_f32_e64 s4, 0x3f2aaaab, v29
	v_dual_sub_f32 v34, v30, v23 :: v_dual_sub_f32 v30, v5, v30
	v_dual_add_f32 v31, 1.0, v31 :: v_dual_add_f32 v32, 1.0, v32
	s_delay_alu instid0(VALU_DEP_2) | instskip(NEXT) | instid1(VALU_DEP_2)
	v_dual_add_f32 v33, 1.0, v33 :: v_dual_add_f32 v34, 1.0, v34
	v_dual_add_f32 v21, v21, v31 :: v_dual_add_f32 v26, v26, v32
	s_delay_alu instid0(VALU_DEP_2) | instskip(SKIP_4) | instid1(VALU_DEP_4)
	v_dual_add_f32 v27, v27, v33 :: v_dual_add_f32 v30, v30, v34
	v_frexp_exp_i32_f64_e32 v12, v[12:13]
	v_frexp_exp_i32_f64_e32 v13, v[14:15]
	;; [unrolled: 1-line block ×4, first 2 shown]
	v_subrev_co_ci_u32_e64 v12, null, 0, v12, s5
	s_delay_alu instid0(VALU_DEP_4) | instskip(NEXT) | instid1(VALU_DEP_4)
	v_subrev_co_ci_u32_e64 v16, null, 0, v13, s2
	v_subrev_co_ci_u32_e64 v14, null, 0, v14, s4
	s_delay_alu instid0(VALU_DEP_4) | instskip(NEXT) | instid1(VALU_DEP_3)
	v_subrev_co_ci_u32_e64 v17, null, 0, v15, s3
	v_sub_nc_u32_e32 v18, 0, v16
	s_delay_alu instid0(VALU_DEP_3)
	v_dual_sub_nc_u32 v19, 0, v12 :: v_dual_sub_nc_u32 v25, 0, v14
	v_cvt_f32_i32_e32 v13, v12
	v_cvt_f32_i32_e32 v12, v16
	v_sub_nc_u32_e32 v24, 0, v17
	v_cvt_f32_i32_e32 v15, v14
	v_cvt_f32_i32_e32 v14, v17
	v_ldexp_f32 v16, v20, v18
	v_ldexp_f32 v17, v1, v19
	;; [unrolled: 1-line block ×4, first 2 shown]
	v_pk_mul_f32 v[20:21], v[12:13], s[24:25] op_sel_hi:[1,0]
	v_ldexp_f32 v22, v22, v24
	v_ldexp_f32 v24, v27, v24
	;; [unrolled: 1-line block ×3, first 2 shown]
	v_pk_mul_f32 v[26:27], v[14:15], s[24:25] op_sel_hi:[1,0]
	v_pk_add_f32 v[28:29], v[16:17], 1.0 op_sel_hi:[1,0]
	v_ldexp_f32 v25, v30, v25
	v_pk_add_f32 v[30:31], v[16:17], -1.0 op_sel_hi:[1,0]
	v_pk_fma_f32 v[32:33], v[12:13], s[24:25], v[20:21] op_sel_hi:[1,0,1] neg_lo:[0,0,1] neg_hi:[0,0,1]
	v_pk_add_f32 v[38:39], v[22:23], 1.0 op_sel_hi:[1,0]
	v_pk_add_f32 v[40:41], v[22:23], -1.0 op_sel_hi:[1,0]
	v_pk_fma_f32 v[42:43], v[14:15], s[24:25], v[26:27] op_sel_hi:[1,0,1] neg_lo:[0,0,1] neg_hi:[0,0,1]
	v_pk_add_f32 v[48:49], v[28:29], -1.0 op_sel_hi:[1,0]
	v_pk_add_f32 v[50:51], v[30:31], 1.0 op_sel_hi:[1,0]
	v_pk_fma_f32 v[12:13], v[12:13], s[26:27], v[32:33] op_sel_hi:[1,0,1]
	v_pk_add_f32 v[32:33], v[38:39], -1.0 op_sel_hi:[1,0]
	v_pk_add_f32 v[52:53], v[40:41], 1.0 op_sel_hi:[1,0]
	v_pk_fma_f32 v[14:15], v[14:15], s[26:27], v[42:43] op_sel_hi:[1,0,1]
	v_pk_add_f32 v[42:43], v[16:17], v[48:49] neg_lo:[0,1] neg_hi:[0,1]
	v_pk_add_f32 v[16:17], v[16:17], v[50:51] neg_lo:[0,1] neg_hi:[0,1]
	;; [unrolled: 1-line block ×4, first 2 shown]
	v_dual_mov_b32 v34, v20 :: v_dual_mov_b32 v37, v21
	v_pk_add_f32 v[42:43], v[18:19], v[42:43]
	v_pk_add_f32 v[16:17], v[18:19], v[16:17]
	;; [unrolled: 1-line block ×4, first 2 shown]
	v_dual_mov_b32 v44, v26 :: v_dual_mov_b32 v47, v27
	v_pk_add_f32 v[24:25], v[28:29], v[42:43]
	v_pk_add_f32 v[32:33], v[30:31], v[16:17]
	s_delay_alu instid0(VALU_DEP_4)
	v_pk_add_f32 v[50:51], v[40:41], v[22:23]
	v_pk_add_f32 v[48:49], v[38:39], v[18:19]
	v_cmp_neq_f32_e64 s2, 0x7f800000, v3
	v_rcp_f32_e32 v52, v24
	v_rcp_f32_e32 v53, v25
	v_pk_add_f32 v[30:31], v[32:33], v[30:31] neg_lo:[0,1] neg_hi:[0,1]
	v_pk_add_f32 v[40:41], v[50:51], v[40:41] neg_lo:[0,1] neg_hi:[0,1]
	v_rcp_f32_e32 v54, v48
	v_rcp_f32_e32 v55, v49
	v_pk_add_f32 v[28:29], v[24:25], v[28:29] neg_lo:[0,1] neg_hi:[0,1]
	v_pk_add_f32 v[16:17], v[16:17], v[30:31] neg_lo:[0,1] neg_hi:[0,1]
	v_pk_mul_f32 v[30:31], v[32:33], v[52:53]
	v_pk_add_f32 v[38:39], v[48:49], v[38:39] neg_lo:[0,1] neg_hi:[0,1]
	v_pk_add_f32 v[22:23], v[22:23], v[40:41] neg_lo:[0,1] neg_hi:[0,1]
	;; [unrolled: 1-line block ×3, first 2 shown]
	v_cmp_neq_f32_e64 s3, 0x7f800000, v4
	v_pk_mul_f32 v[40:41], v[24:25], v[30:31]
	v_pk_add_f32 v[18:19], v[18:19], v[38:39] neg_lo:[0,1] neg_hi:[0,1]
	v_pk_mul_f32 v[38:39], v[50:51], v[54:55]
	v_cmp_neq_f32_e64 s4, 0x7f800000, v5
	v_cmp_neq_f32_e64 s5, 0x7f800000, v2
	v_pk_fma_f32 v[56:57], v[30:31], v[24:25], v[40:41] neg_lo:[0,0,1] neg_hi:[0,0,1]
	s_delay_alu instid0(VALU_DEP_4) | instskip(NEXT) | instid1(VALU_DEP_2)
	v_pk_mul_f32 v[42:43], v[48:49], v[38:39]
	v_pk_fma_f32 v[56:57], v[30:31], v[28:29], v[56:57]
	s_delay_alu instid0(VALU_DEP_2) | instskip(NEXT) | instid1(VALU_DEP_2)
	v_pk_fma_f32 v[58:59], v[38:39], v[48:49], v[42:43] neg_lo:[0,0,1] neg_hi:[0,0,1]
	v_pk_add_f32 v[60:61], v[40:41], v[56:57]
	s_delay_alu instid0(VALU_DEP_2) | instskip(NEXT) | instid1(VALU_DEP_2)
	v_pk_fma_f32 v[58:59], v[38:39], v[18:19], v[58:59]
	v_pk_add_f32 v[40:41], v[60:61], v[40:41] neg_lo:[0,1] neg_hi:[0,1]
	s_delay_alu instid0(VALU_DEP_1) | instskip(NEXT) | instid1(VALU_DEP_3)
	v_pk_add_f32 v[40:41], v[40:41], v[56:57] neg_lo:[0,1] neg_hi:[0,1]
	v_pk_add_f32 v[56:57], v[42:43], v[58:59]
	s_delay_alu instid0(VALU_DEP_1) | instskip(NEXT) | instid1(VALU_DEP_1)
	v_pk_add_f32 v[42:43], v[56:57], v[42:43] neg_lo:[0,1] neg_hi:[0,1]
	v_pk_add_f32 v[42:43], v[42:43], v[58:59] neg_lo:[0,1] neg_hi:[0,1]
	;; [unrolled: 1-line block ×3, first 2 shown]
	s_delay_alu instid0(VALU_DEP_1) | instskip(NEXT) | instid1(VALU_DEP_1)
	v_pk_add_f32 v[32:33], v[32:33], v[58:59] neg_lo:[0,1] neg_hi:[0,1]
	v_pk_add_f32 v[32:33], v[32:33], v[60:61] neg_lo:[0,1] neg_hi:[0,1]
	;; [unrolled: 1-line block ×3, first 2 shown]
	s_delay_alu instid0(VALU_DEP_2) | instskip(NEXT) | instid1(VALU_DEP_2)
	v_pk_add_f32 v[16:17], v[16:17], v[32:33]
	v_pk_add_f32 v[50:51], v[50:51], v[60:61] neg_lo:[0,1] neg_hi:[0,1]
	v_mov_b32_e32 v32, v12
	s_delay_alu instid0(VALU_DEP_3) | instskip(NEXT) | instid1(VALU_DEP_3)
	v_pk_add_f32 v[16:17], v[40:41], v[16:17]
	v_pk_add_f32 v[50:51], v[50:51], v[56:57] neg_lo:[0,1] neg_hi:[0,1]
	v_pk_add_f32 v[56:57], v[20:21], v[12:13]
	s_delay_alu instid0(VALU_DEP_3) | instskip(NEXT) | instid1(VALU_DEP_3)
	v_pk_add_f32 v[40:41], v[58:59], v[16:17]
	v_pk_add_f32 v[22:23], v[22:23], v[50:51]
	s_delay_alu instid0(VALU_DEP_3) | instskip(NEXT) | instid1(VALU_DEP_3)
	v_mov_b32_e32 v36, v56
	v_pk_add_f32 v[50:51], v[58:59], v[40:41] neg_lo:[0,1] neg_hi:[0,1]
	s_delay_alu instid0(VALU_DEP_3) | instskip(NEXT) | instid1(VALU_DEP_2)
	v_pk_add_f32 v[22:23], v[42:43], v[22:23]
	v_pk_add_f32 v[16:17], v[16:17], v[50:51]
	s_delay_alu instid0(VALU_DEP_2) | instskip(NEXT) | instid1(VALU_DEP_1)
	v_pk_add_f32 v[42:43], v[60:61], v[22:23]
	v_pk_add_f32 v[58:59], v[60:61], v[42:43] neg_lo:[0,1] neg_hi:[0,1]
	v_pk_mul_f32 v[60:61], v[52:53], v[40:41]
	v_pk_mul_f32 v[50:51], v[54:55], v[42:43]
	s_delay_alu instid0(VALU_DEP_3) | instskip(NEXT) | instid1(VALU_DEP_3)
	v_pk_add_f32 v[22:23], v[22:23], v[58:59]
	v_pk_mul_f32 v[58:59], v[24:25], v[60:61]
	s_delay_alu instid0(VALU_DEP_1) | instskip(NEXT) | instid1(VALU_DEP_1)
	v_pk_fma_f32 v[24:25], v[60:61], v[24:25], v[58:59] neg_lo:[0,0,1] neg_hi:[0,0,1]
	v_pk_fma_f32 v[24:25], v[60:61], v[28:29], v[24:25]
	v_pk_add_f32 v[28:29], v[30:31], v[60:61]
	s_delay_alu instid0(VALU_DEP_1) | instskip(NEXT) | instid1(VALU_DEP_1)
	v_pk_add_f32 v[30:31], v[28:29], v[30:31] neg_lo:[0,1] neg_hi:[0,1]
	v_pk_add_f32 v[30:31], v[60:61], v[30:31] neg_lo:[0,1] neg_hi:[0,1]
	v_pk_mul_f32 v[60:61], v[48:49], v[50:51]
	s_delay_alu instid0(VALU_DEP_1) | instskip(NEXT) | instid1(VALU_DEP_1)
	v_pk_fma_f32 v[48:49], v[50:51], v[48:49], v[60:61] neg_lo:[0,0,1] neg_hi:[0,0,1]
	v_pk_fma_f32 v[18:19], v[50:51], v[18:19], v[48:49]
	v_pk_add_f32 v[48:49], v[38:39], v[50:51]
	s_delay_alu instid0(VALU_DEP_1) | instskip(NEXT) | instid1(VALU_DEP_1)
	v_pk_add_f32 v[38:39], v[48:49], v[38:39] neg_lo:[0,1] neg_hi:[0,1]
	v_pk_add_f32 v[38:39], v[50:51], v[38:39] neg_lo:[0,1] neg_hi:[0,1]
	v_pk_add_f32 v[50:51], v[58:59], v[24:25]
	s_delay_alu instid0(VALU_DEP_1) | instskip(NEXT) | instid1(VALU_DEP_1)
	v_pk_add_f32 v[58:59], v[50:51], v[58:59] neg_lo:[0,1] neg_hi:[0,1]
	v_pk_add_f32 v[24:25], v[58:59], v[24:25] neg_lo:[0,1] neg_hi:[0,1]
	;; [unrolled: 4-line block ×3, first 2 shown]
	v_pk_add_f32 v[60:61], v[40:41], v[50:51] neg_lo:[0,1] neg_hi:[0,1]
	s_delay_alu instid0(VALU_DEP_1) | instskip(NEXT) | instid1(VALU_DEP_1)
	v_pk_add_f32 v[40:41], v[40:41], v[60:61] neg_lo:[0,1] neg_hi:[0,1]
	v_pk_add_f32 v[40:41], v[40:41], v[50:51] neg_lo:[0,1] neg_hi:[0,1]
	;; [unrolled: 1-line block ×3, first 2 shown]
	s_delay_alu instid0(VALU_DEP_2) | instskip(NEXT) | instid1(VALU_DEP_2)
	v_pk_add_f32 v[16:17], v[16:17], v[40:41]
	v_pk_add_f32 v[42:43], v[42:43], v[50:51] neg_lo:[0,1] neg_hi:[0,1]
	v_pk_add_f32 v[40:41], v[26:27], v[14:15]
	s_delay_alu instid0(VALU_DEP_3) | instskip(NEXT) | instid1(VALU_DEP_3)
	v_pk_add_f32 v[16:17], v[24:25], v[16:17]
	v_pk_add_f32 v[42:43], v[42:43], v[58:59] neg_lo:[0,1] neg_hi:[0,1]
	v_dual_mov_b32 v59, v13 :: v_dual_mov_b32 v25, v15
	s_delay_alu instid0(VALU_DEP_4) | instskip(NEXT) | instid1(VALU_DEP_4)
	v_mov_b32_e32 v46, v40
	v_pk_add_f32 v[16:17], v[60:61], v[16:17]
	s_delay_alu instid0(VALU_DEP_4) | instskip(SKIP_1) | instid1(VALU_DEP_3)
	v_pk_add_f32 v[22:23], v[22:23], v[42:43]
	v_dual_mov_b32 v42, v14 :: v_dual_mov_b32 v61, v57
	v_pk_mul_f32 v[16:17], v[52:53], v[16:17]
	s_delay_alu instid0(VALU_DEP_3) | instskip(SKIP_1) | instid1(VALU_DEP_3)
	v_pk_add_f32 v[18:19], v[18:19], v[22:23]
	v_mov_b32_e32 v22, v56
	v_pk_add_f32 v[16:17], v[30:31], v[16:17]
	s_delay_alu instid0(VALU_DEP_3) | instskip(NEXT) | instid1(VALU_DEP_2)
	v_pk_add_f32 v[18:19], v[50:51], v[18:19]
	v_pk_add_f32 v[30:31], v[28:29], v[16:17]
	s_delay_alu instid0(VALU_DEP_2) | instskip(NEXT) | instid1(VALU_DEP_2)
	v_pk_mul_f32 v[18:19], v[54:55], v[18:19]
	v_pk_add_f32 v[28:29], v[30:31], v[28:29] neg_lo:[0,1] neg_hi:[0,1]
	s_delay_alu instid0(VALU_DEP_2)
	v_pk_add_f32 v[18:19], v[38:39], v[18:19]
	v_pk_mul_f32 v[52:53], v[30:31], v[30:31]
	v_ldexp_f32 v50, v30, 1
	v_ldexp_f32 v51, v31, 1
	v_pk_add_f32 v[16:17], v[16:17], v[28:29] neg_lo:[0,1] neg_hi:[0,1]
	v_pk_add_f32 v[38:39], v[48:49], v[18:19]
	v_pk_mul_f32 v[30:31], v[30:31], v[52:53]
	s_delay_alu instid0(VALU_DEP_3) | instskip(NEXT) | instid1(VALU_DEP_3)
	v_ldexp_f32 v33, v17, 1
	v_pk_add_f32 v[48:49], v[38:39], v[48:49] neg_lo:[0,1] neg_hi:[0,1]
	v_pk_mul_f32 v[28:29], v[38:39], v[38:39]
	v_ldexp_f32 v54, v38, 1
	v_ldexp_f32 v55, v39, 1
	;; [unrolled: 1-line block ×3, first 2 shown]
	v_pk_add_f32 v[18:19], v[18:19], v[48:49] neg_lo:[0,1] neg_hi:[0,1]
	v_pk_fma_f32 v[48:49], v[52:53], s[20:21], s[18:19] op_sel_hi:[1,0,0]
	v_pk_mul_f32 v[38:39], v[38:39], v[28:29]
	s_delay_alu instid0(VALU_DEP_3) | instskip(NEXT) | instid1(VALU_DEP_3)
	v_ldexp_f32 v43, v19, 1
	v_pk_fma_f32 v[48:49], v[52:53], v[48:49], s[22:23] op_sel_hi:[1,1,0]
	v_pk_fma_f32 v[52:53], v[28:29], s[20:21], s[18:19] op_sel_hi:[1,0,0]
	v_mov_b32_e32 v17, v33
	v_ldexp_f32 v18, v18, 1
	v_mov_b32_e32 v19, v43
	v_pk_mul_f32 v[30:31], v[30:31], v[48:49]
	v_pk_fma_f32 v[28:29], v[28:29], v[52:53], s[22:23] op_sel_hi:[1,1,0]
	v_dual_mov_b32 v52, v40 :: v_dual_mov_b32 v49, v41
	s_or_b32 s21, vcc_lo, s21
	s_delay_alu instid0(VALU_DEP_2) | instskip(SKIP_1) | instid1(VALU_DEP_1)
	v_pk_mul_f32 v[28:29], v[38:39], v[28:29]
	v_pk_add_f32 v[38:39], v[50:51], v[30:31]
	v_pk_add_f32 v[50:51], v[38:39], v[50:51] neg_lo:[0,1] neg_hi:[0,1]
	v_dual_mov_b32 v23, v39 :: v_dual_mov_b32 v60, v38
	s_delay_alu instid0(VALU_DEP_2) | instskip(SKIP_1) | instid1(VALU_DEP_2)
	v_pk_add_f32 v[30:31], v[30:31], v[50:51] neg_lo:[0,1] neg_hi:[0,1]
	v_pk_add_f32 v[50:51], v[54:55], v[28:29]
	v_mov_b32_e32 v35, v31
	s_delay_alu instid0(VALU_DEP_2) | instskip(SKIP_1) | instid1(VALU_DEP_2)
	v_pk_add_f32 v[54:55], v[50:51], v[54:55] neg_lo:[0,1] neg_hi:[0,1]
	v_dual_mov_b32 v53, v51 :: v_dual_mov_b32 v48, v50
	v_pk_add_f32 v[28:29], v[28:29], v[54:55] neg_lo:[0,1] neg_hi:[0,1]
	v_pk_add_f32 v[54:55], v[16:17], v[30:31]
	v_mov_b32_e32 v31, v39
	v_pk_add_f32 v[32:33], v[34:35], v[32:33]
	s_delay_alu instid0(VALU_DEP_4) | instskip(SKIP_2) | instid1(VALU_DEP_3)
	v_mov_b32_e32 v45, v29
	v_pk_add_f32 v[34:35], v[18:19], v[28:29]
	v_dual_mov_b32 v29, v51 :: v_dual_mov_b32 v17, v55
	v_pk_add_f32 v[42:43], v[44:45], v[42:43]
	v_pk_add_f32 v[44:45], v[38:39], v[54:55]
	s_delay_alu instid0(VALU_DEP_4) | instskip(NEXT) | instid1(VALU_DEP_4)
	v_mov_b32_e32 v19, v35
	v_pk_add_f32 v[16:17], v[16:17], v[30:31]
	s_delay_alu instid0(VALU_DEP_3) | instskip(NEXT) | instid1(VALU_DEP_3)
	v_dual_mov_b32 v31, v55 :: v_dual_mov_b32 v30, v44
	v_pk_add_f32 v[18:19], v[18:19], v[28:29]
	v_pk_add_f32 v[28:29], v[50:51], v[34:35]
	v_mov_b32_e32 v58, v44
	s_delay_alu instid0(VALU_DEP_4) | instskip(SKIP_1) | instid1(VALU_DEP_4)
	v_pk_add_f32 v[22:23], v[22:23], v[30:31]
	v_pk_add_f32 v[30:31], v[44:45], v[38:39] neg_lo:[0,1] neg_hi:[0,1]
	v_mov_b32_e32 v24, v28
	s_delay_alu instid0(VALU_DEP_2) | instskip(SKIP_1) | instid1(VALU_DEP_1)
	v_pk_add_f32 v[30:31], v[54:55], v[30:31] neg_lo:[0,1] neg_hi:[0,1]
	v_dual_mov_b32 v55, v35 :: v_dual_mov_b32 v54, v28
	v_pk_add_f32 v[52:53], v[52:53], v[54:55]
	v_pk_add_f32 v[54:55], v[28:29], v[50:51] neg_lo:[0,1] neg_hi:[0,1]
	v_mov_b32_e32 v50, v56
	s_delay_alu instid0(VALU_DEP_2) | instskip(SKIP_1) | instid1(VALU_DEP_1)
	v_pk_add_f32 v[34:35], v[34:35], v[54:55] neg_lo:[0,1] neg_hi:[0,1]
	v_pk_add_f32 v[54:55], v[36:37], v[58:59]
	v_pk_add_f32 v[36:37], v[54:55], v[36:37] neg_lo:[0,1] neg_hi:[0,1]
	v_pk_add_f32 v[54:55], v[56:57], v[44:45]
	s_delay_alu instid0(VALU_DEP_1) | instskip(NEXT) | instid1(VALU_DEP_1)
	v_mov_b32_e32 v45, v55
	v_pk_add_f32 v[44:45], v[44:45], v[60:61] neg_lo:[0,1] neg_hi:[0,1]
	v_pk_add_f32 v[60:61], v[46:47], v[24:25]
	s_delay_alu instid0(VALU_DEP_2) | instskip(NEXT) | instid1(VALU_DEP_2)
	v_pk_add_f32 v[16:17], v[16:17], v[44:45] neg_lo:[0,1] neg_hi:[0,1]
	v_pk_add_f32 v[46:47], v[60:61], v[46:47] neg_lo:[0,1] neg_hi:[0,1]
	v_pk_add_f32 v[60:61], v[40:41], v[28:29]
	s_delay_alu instid0(VALU_DEP_2) | instskip(NEXT) | instid1(VALU_DEP_2)
	v_dual_mov_b32 v21, v45 :: v_dual_mov_b32 v45, v47
	v_mov_b32_e32 v29, v61
	s_delay_alu instid0(VALU_DEP_4) | instskip(SKIP_1) | instid1(VALU_DEP_3)
	v_pk_add_f32 v[24:25], v[24:25], v[46:47] neg_lo:[0,1] neg_hi:[0,1]
	v_dual_mov_b32 v47, v51 :: v_dual_mov_b32 v51, v55
	v_pk_add_f32 v[28:29], v[28:29], v[48:49] neg_lo:[0,1] neg_hi:[0,1]
	v_pk_add_f32 v[48:49], v[58:59], v[36:37] neg_lo:[0,1] neg_hi:[0,1]
	v_dual_mov_b32 v59, v37 :: v_dual_mov_b32 v37, v39
	v_add_nc_u64_e32 v[38:39], s[10:11], v[8:9]
	s_delay_alu instid0(VALU_DEP_4)
	v_mov_b32_e32 v27, v29
	v_pk_add_f32 v[18:19], v[18:19], v[28:29] neg_lo:[0,1] neg_hi:[0,1]
	v_dual_mov_b32 v28, v40 :: v_dual_mov_b32 v29, v61
	v_pk_add_f32 v[20:21], v[50:51], v[20:21] neg_lo:[0,1] neg_hi:[0,1]
	v_pk_add_f32 v[22:23], v[22:23], v[36:37] neg_lo:[0,1] neg_hi:[0,1]
	v_add_nc_u64_e32 v[8:9], s[28:29], v[8:9]
	s_delay_alu instid0(VALU_DEP_4) | instskip(SKIP_3) | instid1(VALU_DEP_4)
	v_pk_add_f32 v[26:27], v[28:29], v[26:27] neg_lo:[0,1] neg_hi:[0,1]
	v_pk_add_f32 v[28:29], v[52:53], v[46:47] neg_lo:[0,1] neg_hi:[0,1]
	v_mov_b32_e32 v58, v20
	v_pk_add_f32 v[22:23], v[32:33], v[22:23] neg_lo:[0,1] neg_hi:[0,1]
	v_mov_b32_e32 v44, v26
	s_delay_alu instid0(VALU_DEP_4) | instskip(NEXT) | instid1(VALU_DEP_4)
	v_pk_add_f32 v[28:29], v[42:43], v[28:29] neg_lo:[0,1] neg_hi:[0,1]
	v_pk_add_f32 v[32:33], v[12:13], v[58:59] neg_lo:[0,1] neg_hi:[0,1]
	v_mov_b32_e32 v13, v57
	v_pk_add_f32 v[36:37], v[48:49], v[22:23]
	v_pk_add_f32 v[42:43], v[14:15], v[44:45] neg_lo:[0,1] neg_hi:[0,1]
	v_mov_b32_e32 v15, v41
	v_pk_add_f32 v[40:41], v[24:25], v[28:29]
	v_pk_add_f32 v[12:13], v[12:13], v[20:21] neg_lo:[0,1] neg_hi:[0,1]
	v_mov_b32_e32 v21, v37
	s_delay_alu instid0(VALU_DEP_4) | instskip(NEXT) | instid1(VALU_DEP_4)
	v_pk_add_f32 v[14:15], v[14:15], v[26:27] neg_lo:[0,1] neg_hi:[0,1]
	v_mov_b32_e32 v27, v41
	s_delay_alu instid0(VALU_DEP_4) | instskip(SKIP_1) | instid1(VALU_DEP_4)
	v_pk_add_f32 v[44:45], v[16:17], v[12:13]
	v_dual_mov_b32 v17, v23 :: v_dual_mov_b32 v13, v49
	v_pk_add_f32 v[22:23], v[18:19], v[14:15]
	v_dual_mov_b32 v19, v29 :: v_dual_mov_b32 v15, v25
	s_delay_alu instid0(VALU_DEP_3) | instskip(NEXT) | instid1(VALU_DEP_3)
	v_pk_add_f32 v[16:17], v[32:33], v[16:17]
	v_dual_mov_b32 v20, v44 :: v_dual_mov_b32 v26, v22
	s_delay_alu instid0(VALU_DEP_3) | instskip(SKIP_3) | instid1(VALU_DEP_4)
	v_pk_add_f32 v[18:19], v[42:43], v[18:19]
	v_pk_add_f32 v[24:25], v[36:37], v[44:45]
	;; [unrolled: 1-line block ×3, first 2 shown]
	v_pk_add_f32 v[16:17], v[16:17], v[12:13] neg_lo:[0,1] neg_hi:[0,1]
	v_pk_add_f32 v[18:19], v[18:19], v[14:15] neg_lo:[0,1] neg_hi:[0,1]
	s_delay_alu instid0(VALU_DEP_4) | instskip(NEXT) | instid1(VALU_DEP_4)
	v_pk_add_f32 v[28:29], v[54:55], v[24:25]
	v_pk_add_f32 v[32:33], v[60:61], v[22:23]
	s_delay_alu instid0(VALU_DEP_4)
	v_pk_add_f32 v[20:21], v[20:21], v[16:17] neg_lo:[0,1] neg_hi:[0,1]
	v_pk_add_f32 v[16:17], v[30:31], v[16:17] neg_lo:[0,1] neg_hi:[0,1]
	v_pk_add_f32 v[26:27], v[26:27], v[18:19] neg_lo:[0,1] neg_hi:[0,1]
	v_pk_add_f32 v[30:31], v[28:29], v[54:55] neg_lo:[0,1] neg_hi:[0,1]
	v_pk_add_f32 v[18:19], v[34:35], v[18:19] neg_lo:[0,1] neg_hi:[0,1]
	v_pk_add_f32 v[34:35], v[32:33], v[60:61] neg_lo:[0,1] neg_hi:[0,1]
	v_pk_add_f32 v[12:13], v[12:13], v[20:21] neg_lo:[0,1] neg_hi:[0,1]
	v_pk_add_f32 v[14:15], v[14:15], v[26:27] neg_lo:[0,1] neg_hi:[0,1]
	v_pk_add_f32 v[20:21], v[24:25], v[30:31] neg_lo:[0,1] neg_hi:[0,1]
	s_delay_alu instid0(VALU_DEP_4) | instskip(NEXT) | instid1(VALU_DEP_4)
	v_pk_add_f32 v[22:23], v[22:23], v[34:35] neg_lo:[0,1] neg_hi:[0,1]
	v_pk_add_f32 v[12:13], v[16:17], v[12:13]
	s_delay_alu instid0(VALU_DEP_4) | instskip(NEXT) | instid1(VALU_DEP_2)
	v_pk_add_f32 v[14:15], v[18:19], v[14:15]
	v_pk_add_f32 v[12:13], v[12:13], v[20:21]
	s_delay_alu instid0(VALU_DEP_2) | instskip(NEXT) | instid1(VALU_DEP_2)
	v_pk_add_f32 v[14:15], v[14:15], v[22:23]
	v_pk_add_f32 v[12:13], v[28:29], v[12:13]
	s_delay_alu instid0(VALU_DEP_2) | instskip(NEXT) | instid1(VALU_DEP_2)
	v_pk_add_f32 v[14:15], v[32:33], v[14:15]
	v_cndmask_b32_e64 v1, 0x7f800000, v12, s5
	s_delay_alu instid0(VALU_DEP_3) | instskip(SKIP_1) | instid1(VALU_DEP_4)
	v_cndmask_b32_e64 v12, 0x7f800000, v13, s2
	v_cmp_ngt_f32_e64 s2, -1.0, v2
	v_cndmask_b32_e64 v13, 0x7f800000, v14, s3
	v_cndmask_b32_e64 v14, 0x7f800000, v15, s4
	v_cmp_ngt_f32_e64 s3, -1.0, v5
	v_cmp_ngt_f32_e64 s4, -1.0, v4
	;; [unrolled: 1-line block ×3, first 2 shown]
	v_cndmask_b32_e64 v1, 0x7fc00000, v1, s2
	v_cmp_neq_f32_e64 s2, -1.0, v3
	v_cndmask_b32_e64 v14, 0x7fc00000, v14, s3
	v_cndmask_b32_e64 v13, 0x7fc00000, v13, s4
	v_cndmask_b32_e64 v12, 0x7fc00000, v12, s5
	v_cmp_neq_f32_e64 s3, -1.0, v4
	v_cmp_neq_f32_e64 s4, -1.0, v5
	;; [unrolled: 1-line block ×3, first 2 shown]
	s_delay_alu instid0(VALU_DEP_4) | instskip(SKIP_2) | instid1(VALU_DEP_4)
	v_cndmask_b32_e64 v12, 0xff800000, v12, s2
	v_cmp_gt_f32_e64 s2, 0x33800000, |v2|
	v_cndmask_b32_e64 v13, 0xff800000, v13, s3
	v_cndmask_b32_e64 v1, 0xff800000, v1, s5
	v_cndmask_b32_e64 v14, 0xff800000, v14, s4
	v_cmp_gt_f32_e64 s3, 0x33800000, |v4|
	v_cmp_gt_f32_e64 s4, 0x33800000, |v5|
	;; [unrolled: 1-line block ×3, first 2 shown]
	s_wait_xcnt 0x0
	v_cndmask_b32_e64 v2, v1, v2, s2
	s_delay_alu instid0(VALU_DEP_3) | instskip(NEXT) | instid1(VALU_DEP_3)
	v_dual_cndmask_b32 v4, v13, v4, s3 :: v_dual_cndmask_b32 v5, v14, v5, s4
	v_cndmask_b32_e64 v3, v12, v3, s5
	global_store_b128 v[38:39], v[2:5], off
	s_wait_xcnt 0x0
	s_and_not1_b32 exec_lo, exec_lo, s21
	s_cbranch_execnz .LBB202_3
.LBB202_4:
	s_or_b32 exec_lo, exec_lo, s19
	s_mov_b32 s2, 0
.LBB202_5:
	s_delay_alu instid0(SALU_CYCLE_1)
	s_and_not1_b32 vcc_lo, exec_lo, s2
	s_cbranch_vccnz .LBB202_25
; %bb.6:
	v_cmp_lt_i64_e64 s2, s[12:13], 1
	s_and_b32 vcc_lo, exec_lo, s2
	s_cbranch_vccnz .LBB202_25
; %bb.7:
	s_load_b32 s0, s[0:1], 0xc5c
	v_min_i64 v[2:3], 0x10000, s[12:13]
	v_min_u64 v[4:5], 0x10000, s[12:13]
	v_dual_mov_b32 v1, 0 :: v_dual_lshlrev_b32 v12, 2, v0
	s_wait_xcnt 0x0
	s_mov_b32 s1, 0
	v_mov_b32_e32 v28, 0x3f317218
	s_mov_b32 s15, s1
	v_dual_mov_b32 v13, v1 :: v_dual_mov_b32 v27, v1
	s_mov_b32 s3, s1
	s_mov_b32 s13, s1
	;; [unrolled: 1-line block ×3, first 2 shown]
	s_delay_alu instid0(VALU_DEP_1) | instskip(SKIP_3) | instid1(SALU_CYCLE_1)
	v_add_nc_u64_e32 v[6:7], s[8:9], v[12:13]
	v_add_nc_u64_e32 v[8:9], s[10:11], v[12:13]
	s_wait_kmcnt 0x0
	s_and_b32 s0, s0, 0xffff
	v_add_nc_u64_e32 v[10:11], s[0:1], v[0:1]
	v_mad_nc_u64_u32 v[22:23], s0, 12, v[12:13]
	s_lshl_b32 s14, s0, 3
	s_lshl_b32 s2, s0, 1
	v_add_nc_u64_e32 v[18:19], s[14:15], v[12:13]
	s_mul_i32 s12, s0, 3
	v_add_nc_u64_e32 v[14:15], s[2:3], v[0:1]
	v_lshlrev_b32_e32 v26, 2, v10
	v_add_nc_u64_e32 v[12:13], s[12:13], v[0:1]
	s_lshl_b32 s4, s0, 2
	s_mov_b32 s3, 0x3e9b6dac
	v_add_nc_u64_e32 v[16:17], s[8:9], v[18:19]
	v_add_nc_u64_e32 v[18:19], s[10:11], v[18:19]
	v_add_nc_u64_e32 v[20:21], s[8:9], v[22:23]
	v_add_nc_u64_e32 v[22:23], s[10:11], v[22:23]
	v_add_nc_u64_e32 v[24:25], s[8:9], v[26:27]
	v_add_nc_u64_e32 v[26:27], s[10:11], v[26:27]
	s_lshl_b32 s8, s0, 4
	s_mov_b32 s9, s1
	s_mov_b64 s[10:11], 0
	s_branch .LBB202_9
.LBB202_8:                              ;   in Loop: Header=BB202_9 Depth=1
	s_wait_xcnt 0x0
	s_or_b32 exec_lo, exec_lo, s0
	s_add_nc_u64 s[10:11], s[10:11], s[4:5]
	v_add_nc_u64_e32 v[6:7], s[8:9], v[6:7]
	v_cmp_ge_i64_e32 vcc_lo, s[10:11], v[2:3]
	v_add_nc_u64_e32 v[8:9], s[8:9], v[8:9]
	v_add_nc_u64_e32 v[20:21], s[8:9], v[20:21]
	;; [unrolled: 1-line block ×7, first 2 shown]
	s_cbranch_vccnz .LBB202_25
.LBB202_9:                              ; =>This Inner Loop Header: Depth=1
	s_wait_loadcnt 0x0
	v_add_nc_u64_e32 v[30:31], s[10:11], v[0:1]
	v_mov_b32_e32 v33, 0
	s_delay_alu instid0(VALU_DEP_2)
	v_cmp_lt_u64_e64 s2, v[30:31], v[4:5]
	s_and_saveexec_b32 s0, s2
	s_cbranch_execz .LBB202_11
; %bb.10:                               ;   in Loop: Header=BB202_9 Depth=1
	v_add_nc_u64_e32 v[30:31], s[6:7], v[6:7]
	global_load_b32 v33, v[30:31], off
.LBB202_11:                             ;   in Loop: Header=BB202_9 Depth=1
	s_wait_xcnt 0x0
	s_or_b32 exec_lo, exec_lo, s0
	v_add_nc_u64_e32 v[30:31], s[10:11], v[10:11]
	v_mov_b32_e32 v32, 0
	s_delay_alu instid0(VALU_DEP_2)
	v_cmp_lt_u64_e64 s1, v[30:31], v[4:5]
	v_mov_b32_e32 v31, 0
	s_and_saveexec_b32 s0, s1
	s_cbranch_execz .LBB202_13
; %bb.12:                               ;   in Loop: Header=BB202_9 Depth=1
	v_add_nc_u64_e32 v[34:35], s[6:7], v[24:25]
	global_load_b32 v32, v[34:35], off
.LBB202_13:                             ;   in Loop: Header=BB202_9 Depth=1
	s_wait_xcnt 0x0
	s_or_b32 exec_lo, exec_lo, s0
	v_add_nc_u64_e32 v[34:35], s[10:11], v[14:15]
	s_delay_alu instid0(VALU_DEP_1)
	v_cmp_lt_u64_e64 s0, v[34:35], v[4:5]
	s_and_saveexec_b32 s12, s0
	s_cbranch_execz .LBB202_15
; %bb.14:                               ;   in Loop: Header=BB202_9 Depth=1
	v_add_nc_u64_e32 v[30:31], s[6:7], v[16:17]
	global_load_b32 v31, v[30:31], off
.LBB202_15:                             ;   in Loop: Header=BB202_9 Depth=1
	s_wait_xcnt 0x0
	s_or_b32 exec_lo, exec_lo, s12
	v_add_nc_u64_e32 v[34:35], s[10:11], v[12:13]
	v_mov_b32_e32 v30, 0
	s_delay_alu instid0(VALU_DEP_2)
	v_cmp_lt_u64_e32 vcc_lo, v[34:35], v[4:5]
	s_and_saveexec_b32 s12, vcc_lo
	s_cbranch_execnz .LBB202_20
; %bb.16:                               ;   in Loop: Header=BB202_9 Depth=1
	s_or_b32 exec_lo, exec_lo, s12
	s_and_saveexec_b32 s12, s2
	s_cbranch_execnz .LBB202_21
.LBB202_17:                             ;   in Loop: Header=BB202_9 Depth=1
	s_or_b32 exec_lo, exec_lo, s12
	s_and_saveexec_b32 s2, s1
	s_cbranch_execnz .LBB202_22
.LBB202_18:                             ;   in Loop: Header=BB202_9 Depth=1
	s_or_b32 exec_lo, exec_lo, s2
	s_and_saveexec_b32 s1, s0
	s_cbranch_execnz .LBB202_23
.LBB202_19:                             ;   in Loop: Header=BB202_9 Depth=1
	s_or_b32 exec_lo, exec_lo, s1
	s_and_saveexec_b32 s0, vcc_lo
	s_cbranch_execz .LBB202_8
	s_branch .LBB202_24
.LBB202_20:                             ;   in Loop: Header=BB202_9 Depth=1
	v_add_nc_u64_e32 v[34:35], s[6:7], v[20:21]
	global_load_b32 v30, v[34:35], off
	s_wait_xcnt 0x0
	s_or_b32 exec_lo, exec_lo, s12
	s_and_saveexec_b32 s12, s2
	s_cbranch_execz .LBB202_17
.LBB202_21:                             ;   in Loop: Header=BB202_9 Depth=1
	s_wait_loadcnt 0x0
	v_add_f32_e32 v29, 1.0, v33
	s_delay_alu instid0(VALU_DEP_1) | instskip(NEXT) | instid1(VALU_DEP_1)
	v_cvt_f64_f32_e32 v[34:35], v29
	v_frexp_exp_i32_f64_e32 v34, v[34:35]
	v_frexp_mant_f32_e32 v35, v29
	s_delay_alu instid0(VALU_DEP_1) | instskip(NEXT) | instid1(VALU_DEP_1)
	v_cmp_gt_f32_e64 s2, 0x3f2aaaab, v35
	v_subrev_co_ci_u32_e64 v40, null, 0, v34, s2
	v_cmp_neq_f32_e64 s2, 0x7f800000, v33
	s_delay_alu instid0(VALU_DEP_2) | instskip(NEXT) | instid1(VALU_DEP_1)
	v_dual_add_f32 v34, -1.0, v29 :: v_dual_sub_nc_u32 v35, 0, v40
	v_sub_f32_e32 v36, v34, v29
	s_delay_alu instid0(VALU_DEP_2) | instskip(NEXT) | instid1(VALU_DEP_2)
	v_ldexp_f32 v29, v29, v35
	v_dual_add_f32 v36, 1.0, v36 :: v_dual_sub_f32 v34, v33, v34
	s_delay_alu instid0(VALU_DEP_1) | instskip(NEXT) | instid1(VALU_DEP_1)
	v_dual_add_f32 v37, 1.0, v29 :: v_dual_add_f32 v34, v34, v36
	v_ldexp_f32 v34, v34, v35
	s_delay_alu instid0(VALU_DEP_2) | instskip(NEXT) | instid1(VALU_DEP_1)
	v_add_f32_e32 v36, -1.0, v37
	v_dual_add_f32 v39, -1.0, v29 :: v_dual_sub_f32 v35, v29, v36
	s_delay_alu instid0(VALU_DEP_1) | instskip(NEXT) | instid1(VALU_DEP_1)
	v_add_f32_e32 v38, v34, v35
	v_dual_add_f32 v36, 1.0, v39 :: v_dual_add_f32 v41, v37, v38
	s_delay_alu instid0(VALU_DEP_1) | instskip(NEXT) | instid1(VALU_DEP_1)
	v_rcp_f32_e32 v42, v41
	v_sub_f32_e32 v29, v29, v36
	s_delay_alu instid0(VALU_DEP_1) | instskip(SKIP_1) | instid1(VALU_DEP_1)
	v_add_f32_e32 v29, v34, v29
	v_sub_f32_e32 v34, v41, v37
	v_dual_add_f32 v35, v39, v29 :: v_dual_sub_f32 v44, v38, v34
	s_delay_alu instid0(TRANS32_DEP_1) | instid1(VALU_DEP_1)
	v_dual_mul_f32 v43, v35, v42 :: v_dual_sub_f32 v45, v35, v39
	s_delay_alu instid0(VALU_DEP_1) | instskip(NEXT) | instid1(VALU_DEP_2)
	v_mul_f32_e32 v36, v41, v43
	v_sub_f32_e32 v29, v29, v45
	s_delay_alu instid0(VALU_DEP_2) | instskip(NEXT) | instid1(VALU_DEP_1)
	v_fma_f32 v38, v43, v41, -v36
	v_fmac_f32_e32 v38, v43, v44
	s_delay_alu instid0(VALU_DEP_1) | instskip(NEXT) | instid1(VALU_DEP_1)
	v_add_f32_e32 v34, v36, v38
	v_dual_sub_f32 v37, v35, v34 :: v_dual_mov_b32 v39, v34
	s_delay_alu instid0(VALU_DEP_1) | instskip(NEXT) | instid1(VALU_DEP_1)
	v_pk_add_f32 v[34:35], v[34:35], v[36:37] neg_lo:[0,1] neg_hi:[0,1]
	v_pk_add_f32 v[34:35], v[34:35], v[38:39] neg_lo:[0,1] neg_hi:[0,1]
	s_delay_alu instid0(VALU_DEP_1) | instskip(NEXT) | instid1(VALU_DEP_1)
	v_add_f32_e32 v29, v29, v35
	v_add_f32_e32 v29, v34, v29
	s_delay_alu instid0(VALU_DEP_1) | instskip(NEXT) | instid1(VALU_DEP_1)
	v_add_f32_e32 v35, v37, v29
	v_mul_f32_e32 v45, v42, v35
	s_delay_alu instid0(VALU_DEP_1) | instskip(NEXT) | instid1(VALU_DEP_1)
	v_mul_f32_e32 v38, v41, v45
	v_fma_f32 v36, v45, v41, -v38
	s_delay_alu instid0(VALU_DEP_1) | instskip(NEXT) | instid1(VALU_DEP_1)
	v_fmac_f32_e32 v36, v45, v44
	v_dual_add_f32 v34, v38, v36 :: v_dual_sub_f32 v41, v37, v35
	s_delay_alu instid0(VALU_DEP_1) | instskip(NEXT) | instid1(VALU_DEP_2)
	v_dual_sub_f32 v39, v35, v34 :: v_dual_mov_b32 v37, v34
	v_add_f32_e32 v29, v29, v41
	v_add_f32_e32 v41, v43, v45
	s_delay_alu instid0(VALU_DEP_3) | instskip(NEXT) | instid1(VALU_DEP_1)
	v_pk_add_f32 v[34:35], v[34:35], v[38:39] neg_lo:[0,1] neg_hi:[0,1]
	v_pk_add_f32 v[34:35], v[34:35], v[36:37] neg_lo:[0,1] neg_hi:[0,1]
	s_delay_alu instid0(VALU_DEP_1) | instskip(NEXT) | instid1(VALU_DEP_1)
	v_add_f32_e32 v29, v29, v35
	v_dual_add_f32 v29, v34, v29 :: v_dual_sub_f32 v34, v41, v43
	s_delay_alu instid0(VALU_DEP_1) | instskip(NEXT) | instid1(VALU_DEP_1)
	v_dual_add_f32 v29, v39, v29 :: v_dual_sub_f32 v34, v45, v34
	v_mul_f32_e32 v29, v42, v29
	s_delay_alu instid0(VALU_DEP_1) | instskip(SKIP_1) | instid1(VALU_DEP_2)
	v_add_f32_e32 v42, v34, v29
	v_cvt_f32_i32_e32 v34, v40
	v_add_f32_e32 v43, v41, v42
	s_delay_alu instid0(VALU_DEP_1) | instskip(NEXT) | instid1(VALU_DEP_1)
	v_mul_f32_e32 v29, v43, v43
	v_dual_fmaak_f32 v36, s3, v29, 0x3ecc95a3 :: v_dual_mul_f32 v35, v43, v29
	v_ldexp_f32 v39, v43, 1
	s_delay_alu instid0(VALU_DEP_2) | instskip(NEXT) | instid1(VALU_DEP_1)
	v_fmaak_f32 v29, v29, v36, 0x3f2aaada
	v_pk_mul_f32 v[36:37], v[34:35], v[28:29]
	s_delay_alu instid0(VALU_DEP_1) | instskip(SKIP_1) | instid1(VALU_DEP_2)
	v_fma_f32 v38, 0x3f317218, v34, -v36
	v_mov_b32_e32 v40, v36
	v_fmac_f32_e32 v38, 0xb102e308, v34
	s_delay_alu instid0(VALU_DEP_1) | instskip(NEXT) | instid1(VALU_DEP_1)
	v_pk_add_f32 v[34:35], v[36:37], v[38:39]
	v_sub_f32_e32 v39, v35, v39
	v_sub_f32_e32 v29, v43, v41
	s_delay_alu instid0(VALU_DEP_2) | instskip(NEXT) | instid1(VALU_DEP_2)
	v_dual_mov_b32 v48, v35 :: v_dual_sub_f32 v39, v37, v39
	v_sub_f32_e32 v29, v42, v29
	v_pk_add_f32 v[36:37], v[34:35], v[36:37] neg_lo:[0,1] neg_hi:[0,1]
	s_delay_alu instid0(VALU_DEP_2) | instskip(NEXT) | instid1(VALU_DEP_1)
	v_ldexp_f32 v29, v29, 1
	v_dual_add_f32 v41, v29, v39 :: v_dual_mov_b32 v39, v34
	s_delay_alu instid0(VALU_DEP_1) | instskip(NEXT) | instid1(VALU_DEP_1)
	v_pk_add_f32 v[42:43], v[34:35], v[40:41]
	v_mov_b32_e32 v37, v43
	s_delay_alu instid0(VALU_DEP_1) | instskip(SKIP_1) | instid1(VALU_DEP_2)
	v_pk_add_f32 v[44:45], v[38:39], v[36:37]
	v_pk_add_f32 v[36:37], v[38:39], v[36:37] neg_lo:[0,1] neg_hi:[0,1]
	v_dual_mov_b32 v40, v45 :: v_dual_mov_b32 v37, v45
	s_delay_alu instid0(VALU_DEP_1) | instskip(SKIP_1) | instid1(VALU_DEP_2)
	v_pk_add_f32 v[46:47], v[40:41], v[34:35] neg_lo:[0,1] neg_hi:[0,1]
	v_dual_mov_b32 v44, v43 :: v_dual_mov_b32 v35, v34
	v_dual_mov_b32 v34, v41 :: v_dual_mov_b32 v49, v46
	v_mov_b32_e32 v29, v46
	s_delay_alu instid0(VALU_DEP_2) | instskip(NEXT) | instid1(VALU_DEP_2)
	v_pk_add_f32 v[46:47], v[44:45], v[48:49] neg_lo:[0,1] neg_hi:[0,1]
	v_pk_add_f32 v[38:39], v[42:43], v[28:29] neg_lo:[0,1] neg_hi:[0,1]
	v_mov_b32_e32 v38, v36
	s_delay_alu instid0(VALU_DEP_3) | instskip(NEXT) | instid1(VALU_DEP_1)
	v_pk_add_f32 v[34:35], v[34:35], v[46:47] neg_lo:[0,1] neg_hi:[0,1]
	v_pk_add_f32 v[38:39], v[38:39], v[34:35]
	s_delay_alu instid0(VALU_DEP_1) | instskip(NEXT) | instid1(VALU_DEP_1)
	v_mov_b32_e32 v42, v39
	v_pk_add_f32 v[42:43], v[38:39], v[42:43]
	s_delay_alu instid0(VALU_DEP_1) | instskip(NEXT) | instid1(VALU_DEP_1)
	v_pk_add_f32 v[40:41], v[40:41], v[42:43]
	v_dual_mov_b32 v35, v42 :: v_dual_mov_b32 v39, v40
	s_delay_alu instid0(VALU_DEP_1) | instskip(NEXT) | instid1(VALU_DEP_1)
	v_pk_add_f32 v[44:45], v[38:39], v[36:37] neg_lo:[0,1] neg_hi:[0,1]
	v_sub_f32_e32 v29, v38, v44
	s_delay_alu instid0(VALU_DEP_2) | instskip(NEXT) | instid1(VALU_DEP_2)
	v_pk_add_f32 v[34:35], v[34:35], v[44:45] neg_lo:[0,1] neg_hi:[0,1]
	v_sub_f32_e32 v29, v36, v29
	s_delay_alu instid0(VALU_DEP_1) | instskip(NEXT) | instid1(VALU_DEP_1)
	v_add_f32_e32 v29, v34, v29
	v_add_f32_e32 v29, v29, v35
	v_add_nc_u64_e32 v[34:35], s[6:7], v[8:9]
	s_delay_alu instid0(VALU_DEP_2) | instskip(NEXT) | instid1(VALU_DEP_1)
	v_add_f32_e32 v29, v40, v29
	v_cndmask_b32_e64 v29, 0x7f800000, v29, s2
	v_cmp_ngt_f32_e64 s2, -1.0, v33
	s_delay_alu instid0(VALU_DEP_1) | instskip(SKIP_1) | instid1(VALU_DEP_1)
	v_cndmask_b32_e64 v29, 0x7fc00000, v29, s2
	v_cmp_neq_f32_e64 s2, -1.0, v33
	v_cndmask_b32_e64 v29, 0xff800000, v29, s2
	v_cmp_gt_f32_e64 s2, 0x33800000, |v33|
	s_delay_alu instid0(VALU_DEP_1)
	v_cndmask_b32_e64 v29, v29, v33, s2
	global_store_b32 v[34:35], v29, off
	s_wait_xcnt 0x0
	s_or_b32 exec_lo, exec_lo, s12
	s_and_saveexec_b32 s2, s1
	s_cbranch_execz .LBB202_18
.LBB202_22:                             ;   in Loop: Header=BB202_9 Depth=1
	s_wait_loadcnt 0x0
	v_add_f32_e32 v29, 1.0, v32
	s_delay_alu instid0(VALU_DEP_1) | instskip(NEXT) | instid1(VALU_DEP_1)
	v_cvt_f64_f32_e32 v[34:35], v29
	v_frexp_exp_i32_f64_e32 v33, v[34:35]
	v_frexp_mant_f32_e32 v34, v29
	s_delay_alu instid0(VALU_DEP_1) | instskip(NEXT) | instid1(VALU_DEP_1)
	v_cmp_gt_f32_e64 s1, 0x3f2aaaab, v34
	v_subrev_co_ci_u32_e64 v33, null, 0, v33, s1
	v_cmp_neq_f32_e64 s1, 0x7f800000, v32
	s_delay_alu instid0(VALU_DEP_2) | instskip(SKIP_2) | instid1(VALU_DEP_2)
	v_sub_nc_u32_e32 v35, 0, v33
	v_add_f32_e32 v34, -1.0, v29
	v_cvt_f32_i32_e32 v33, v33
	v_sub_f32_e32 v36, v34, v29
	s_delay_alu instid0(VALU_DEP_4) | instskip(NEXT) | instid1(VALU_DEP_2)
	v_ldexp_f32 v29, v29, v35
	v_dual_add_f32 v36, 1.0, v36 :: v_dual_sub_f32 v34, v32, v34
	s_delay_alu instid0(VALU_DEP_1) | instskip(NEXT) | instid1(VALU_DEP_1)
	v_dual_add_f32 v37, 1.0, v29 :: v_dual_add_f32 v34, v34, v36
	v_ldexp_f32 v34, v34, v35
	s_delay_alu instid0(VALU_DEP_2) | instskip(NEXT) | instid1(VALU_DEP_1)
	v_add_f32_e32 v36, -1.0, v37
	v_dual_add_f32 v38, -1.0, v29 :: v_dual_sub_f32 v35, v29, v36
	s_delay_alu instid0(VALU_DEP_1) | instskip(NEXT) | instid1(VALU_DEP_1)
	v_dual_add_f32 v36, 1.0, v38 :: v_dual_add_f32 v35, v34, v35
	v_sub_f32_e32 v29, v29, v36
	s_delay_alu instid0(VALU_DEP_1) | instskip(NEXT) | instid1(VALU_DEP_1)
	v_dual_add_f32 v29, v34, v29 :: v_dual_add_f32 v36, v37, v35
	v_add_f32_e32 v39, v38, v29
	s_delay_alu instid0(VALU_DEP_2) | instskip(NEXT) | instid1(VALU_DEP_1)
	v_rcp_f32_e32 v34, v36
	v_sub_f32_e32 v38, v39, v38
	s_delay_alu instid0(TRANS32_DEP_1) | instskip(NEXT) | instid1(VALU_DEP_1)
	v_dual_mul_f32 v40, v39, v34 :: v_dual_sub_f32 v37, v36, v37
	v_dual_sub_f32 v29, v29, v38 :: v_dual_mul_f32 v41, v36, v40
	s_delay_alu instid0(VALU_DEP_1) | instskip(NEXT) | instid1(VALU_DEP_1)
	v_dual_sub_f32 v35, v35, v37 :: v_dual_fma_f32 v37, v40, v36, -v41
	v_fmac_f32_e32 v37, v40, v35
	s_delay_alu instid0(VALU_DEP_1) | instskip(NEXT) | instid1(VALU_DEP_1)
	v_add_f32_e32 v42, v41, v37
	v_sub_f32_e32 v43, v39, v42
	s_delay_alu instid0(VALU_DEP_1) | instskip(NEXT) | instid1(VALU_DEP_1)
	v_dual_sub_f32 v39, v39, v43 :: v_dual_sub_f32 v38, v42, v41
	v_dual_sub_f32 v39, v39, v42 :: v_dual_sub_f32 v37, v38, v37
	s_delay_alu instid0(VALU_DEP_1) | instskip(NEXT) | instid1(VALU_DEP_1)
	v_add_f32_e32 v29, v29, v39
	v_add_f32_e32 v29, v37, v29
	s_delay_alu instid0(VALU_DEP_1) | instskip(NEXT) | instid1(VALU_DEP_1)
	v_add_f32_e32 v37, v43, v29
	v_mul_f32_e32 v38, v34, v37
	s_delay_alu instid0(VALU_DEP_1) | instskip(NEXT) | instid1(VALU_DEP_1)
	v_mul_f32_e32 v39, v36, v38
	v_fma_f32 v36, v38, v36, -v39
	s_delay_alu instid0(VALU_DEP_1) | instskip(NEXT) | instid1(VALU_DEP_1)
	v_fmac_f32_e32 v36, v38, v35
	v_add_f32_e32 v35, v39, v36
	s_delay_alu instid0(VALU_DEP_1) | instskip(NEXT) | instid1(VALU_DEP_1)
	v_dual_sub_f32 v42, v43, v37 :: v_dual_sub_f32 v41, v37, v35
	v_dual_sub_f32 v39, v35, v39 :: v_dual_sub_f32 v37, v37, v41
	s_delay_alu instid0(VALU_DEP_1) | instskip(NEXT) | instid1(VALU_DEP_3)
	v_dual_sub_f32 v36, v39, v36 :: v_dual_sub_f32 v35, v37, v35
	v_add_f32_e32 v29, v29, v42
	s_delay_alu instid0(VALU_DEP_1) | instskip(NEXT) | instid1(VALU_DEP_1)
	v_dual_add_f32 v29, v29, v35 :: v_dual_add_f32 v35, v40, v38
	v_dual_add_f32 v29, v36, v29 :: v_dual_sub_f32 v36, v35, v40
	s_delay_alu instid0(VALU_DEP_1) | instskip(NEXT) | instid1(VALU_DEP_1)
	v_dual_add_f32 v29, v41, v29 :: v_dual_sub_f32 v36, v38, v36
	v_mul_f32_e32 v29, v34, v29
	s_delay_alu instid0(VALU_DEP_1) | instskip(NEXT) | instid1(VALU_DEP_1)
	v_add_f32_e32 v29, v36, v29
	v_add_f32_e32 v34, v35, v29
	s_delay_alu instid0(VALU_DEP_1) | instskip(NEXT) | instid1(VALU_DEP_1)
	v_mul_f32_e32 v36, v34, v34
	v_dual_fmaak_f32 v37, s3, v36, 0x3ecc95a3 :: v_dual_mul_f32 v38, v34, v36
	s_delay_alu instid0(VALU_DEP_1) | instskip(SKIP_2) | instid1(VALU_DEP_1)
	v_fmaak_f32 v36, v36, v37, 0x3f2aaada
	v_ldexp_f32 v37, v34, 1
	v_sub_f32_e32 v34, v34, v35
	v_dual_sub_f32 v29, v29, v34 :: v_dual_mul_f32 v36, v38, v36
	s_delay_alu instid0(VALU_DEP_1) | instskip(NEXT) | instid1(VALU_DEP_2)
	v_ldexp_f32 v29, v29, 1
	v_add_f32_e32 v35, v37, v36
	s_delay_alu instid0(VALU_DEP_1) | instskip(NEXT) | instid1(VALU_DEP_1)
	v_sub_f32_e32 v34, v35, v37
	v_sub_f32_e32 v34, v36, v34
	s_delay_alu instid0(VALU_DEP_1) | instskip(NEXT) | instid1(VALU_DEP_1)
	v_dual_mul_f32 v38, 0x3f317218, v33 :: v_dual_add_f32 v29, v29, v34
	v_fma_f32 v37, 0x3f317218, v33, -v38
	s_delay_alu instid0(VALU_DEP_1) | instskip(NEXT) | instid1(VALU_DEP_1)
	v_fmac_f32_e32 v37, 0xb102e308, v33
	v_add_f32_e32 v33, v38, v37
	s_delay_alu instid0(VALU_DEP_4) | instskip(NEXT) | instid1(VALU_DEP_1)
	v_add_f32_e32 v34, v35, v29
	v_add_f32_e32 v36, v33, v34
	s_delay_alu instid0(VALU_DEP_1) | instskip(NEXT) | instid1(VALU_DEP_1)
	v_sub_f32_e32 v39, v36, v33
	v_dual_sub_f32 v40, v36, v39 :: v_dual_sub_f32 v38, v33, v38
	s_delay_alu instid0(VALU_DEP_1) | instskip(NEXT) | instid1(VALU_DEP_2)
	v_dual_sub_f32 v35, v34, v35 :: v_dual_sub_f32 v37, v37, v38
	v_dual_sub_f32 v33, v33, v40 :: v_dual_sub_f32 v34, v34, v39
	s_delay_alu instid0(VALU_DEP_1) | instskip(NEXT) | instid1(VALU_DEP_1)
	v_dual_sub_f32 v29, v29, v35 :: v_dual_add_f32 v33, v34, v33
	v_add_f32_e32 v35, v37, v29
	s_delay_alu instid0(VALU_DEP_1) | instskip(NEXT) | instid1(VALU_DEP_1)
	v_sub_f32_e32 v34, v35, v37
	v_dual_add_f32 v33, v35, v33 :: v_dual_sub_f32 v35, v35, v34
	s_delay_alu instid0(VALU_DEP_1) | instskip(NEXT) | instid1(VALU_DEP_1)
	v_dual_sub_f32 v35, v37, v35 :: v_dual_add_f32 v38, v36, v33
	v_dual_sub_f32 v29, v29, v34 :: v_dual_sub_f32 v34, v38, v36
	s_delay_alu instid0(VALU_DEP_1) | instskip(NEXT) | instid1(VALU_DEP_2)
	v_add_f32_e32 v29, v29, v35
	v_sub_f32_e32 v33, v33, v34
	v_add_nc_u64_e32 v[34:35], s[6:7], v[26:27]
	s_delay_alu instid0(VALU_DEP_2) | instskip(NEXT) | instid1(VALU_DEP_1)
	v_add_f32_e32 v29, v29, v33
	v_add_f32_e32 v29, v38, v29
	s_delay_alu instid0(VALU_DEP_1) | instskip(SKIP_1) | instid1(VALU_DEP_1)
	v_cndmask_b32_e64 v29, 0x7f800000, v29, s1
	v_cmp_ngt_f32_e64 s1, -1.0, v32
	v_cndmask_b32_e64 v29, 0x7fc00000, v29, s1
	v_cmp_neq_f32_e64 s1, -1.0, v32
	s_delay_alu instid0(VALU_DEP_1) | instskip(SKIP_1) | instid1(VALU_DEP_1)
	v_cndmask_b32_e64 v29, 0xff800000, v29, s1
	v_cmp_gt_f32_e64 s1, 0x33800000, |v32|
	v_cndmask_b32_e64 v29, v29, v32, s1
	global_store_b32 v[34:35], v29, off
	s_wait_xcnt 0x0
	s_or_b32 exec_lo, exec_lo, s2
	s_and_saveexec_b32 s1, s0
	s_cbranch_execz .LBB202_19
.LBB202_23:                             ;   in Loop: Header=BB202_9 Depth=1
	s_wait_loadcnt 0x0
	v_add_f32_e32 v29, 1.0, v31
	s_delay_alu instid0(VALU_DEP_1) | instskip(NEXT) | instid1(VALU_DEP_1)
	v_cvt_f64_f32_e32 v[32:33], v29
	v_frexp_exp_i32_f64_e32 v32, v[32:33]
	v_frexp_mant_f32_e32 v33, v29
	s_delay_alu instid0(VALU_DEP_1) | instskip(NEXT) | instid1(VALU_DEP_1)
	v_cmp_gt_f32_e64 s0, 0x3f2aaaab, v33
	v_subrev_co_ci_u32_e64 v32, null, 0, v32, s0
	v_cmp_neq_f32_e64 s0, 0x7f800000, v31
	s_delay_alu instid0(VALU_DEP_2) | instskip(SKIP_1) | instid1(VALU_DEP_2)
	v_dual_add_f32 v33, -1.0, v29 :: v_dual_sub_nc_u32 v34, 0, v32
	v_cvt_f32_i32_e32 v32, v32
	v_sub_f32_e32 v35, v33, v29
	s_delay_alu instid0(VALU_DEP_3) | instskip(NEXT) | instid1(VALU_DEP_1)
	v_ldexp_f32 v29, v29, v34
	v_dual_add_f32 v36, 1.0, v29 :: v_dual_add_f32 v35, 1.0, v35
	v_sub_f32_e32 v33, v31, v33
	s_delay_alu instid0(VALU_DEP_1) | instskip(NEXT) | instid1(VALU_DEP_3)
	v_dual_add_f32 v37, -1.0, v29 :: v_dual_add_f32 v33, v33, v35
	v_add_f32_e32 v35, -1.0, v36
	s_delay_alu instid0(VALU_DEP_2) | instskip(NEXT) | instid1(VALU_DEP_2)
	v_ldexp_f32 v33, v33, v34
	v_dual_sub_f32 v34, v29, v35 :: v_dual_add_f32 v35, 1.0, v37
	s_delay_alu instid0(VALU_DEP_1) | instskip(NEXT) | instid1(VALU_DEP_1)
	v_sub_f32_e32 v29, v29, v35
	v_dual_add_f32 v34, v33, v34 :: v_dual_add_f32 v29, v33, v29
	s_delay_alu instid0(VALU_DEP_1) | instskip(NEXT) | instid1(VALU_DEP_1)
	v_dual_add_f32 v35, v36, v34 :: v_dual_add_f32 v38, v37, v29
	v_sub_f32_e32 v36, v35, v36
	v_rcp_f32_e32 v33, v35
	s_delay_alu instid0(VALU_DEP_2) | instskip(NEXT) | instid1(VALU_DEP_2)
	v_sub_f32_e32 v37, v38, v37
	v_sub_f32_e32 v34, v34, v36
	s_delay_alu instid0(TRANS32_DEP_1) | instskip(NEXT) | instid1(VALU_DEP_1)
	v_mul_f32_e32 v39, v38, v33
	v_dual_sub_f32 v29, v29, v37 :: v_dual_mul_f32 v40, v35, v39
	s_delay_alu instid0(VALU_DEP_1) | instskip(NEXT) | instid1(VALU_DEP_1)
	v_fma_f32 v36, v39, v35, -v40
	v_fmac_f32_e32 v36, v39, v34
	s_delay_alu instid0(VALU_DEP_1) | instskip(NEXT) | instid1(VALU_DEP_1)
	v_add_f32_e32 v41, v40, v36
	v_sub_f32_e32 v42, v38, v41
	s_delay_alu instid0(VALU_DEP_1) | instskip(NEXT) | instid1(VALU_DEP_1)
	v_dual_sub_f32 v38, v38, v42 :: v_dual_sub_f32 v37, v41, v40
	v_dual_sub_f32 v38, v38, v41 :: v_dual_sub_f32 v36, v37, v36
	s_delay_alu instid0(VALU_DEP_1) | instskip(NEXT) | instid1(VALU_DEP_1)
	v_add_f32_e32 v29, v29, v38
	v_add_f32_e32 v29, v36, v29
	s_delay_alu instid0(VALU_DEP_1) | instskip(NEXT) | instid1(VALU_DEP_1)
	v_add_f32_e32 v36, v42, v29
	v_mul_f32_e32 v37, v33, v36
	s_delay_alu instid0(VALU_DEP_1) | instskip(NEXT) | instid1(VALU_DEP_1)
	v_mul_f32_e32 v38, v35, v37
	v_fma_f32 v35, v37, v35, -v38
	s_delay_alu instid0(VALU_DEP_1) | instskip(NEXT) | instid1(VALU_DEP_1)
	v_fmac_f32_e32 v35, v37, v34
	v_add_f32_e32 v34, v38, v35
	s_delay_alu instid0(VALU_DEP_1) | instskip(NEXT) | instid1(VALU_DEP_1)
	v_dual_sub_f32 v41, v42, v36 :: v_dual_sub_f32 v40, v36, v34
	v_dual_sub_f32 v38, v34, v38 :: v_dual_sub_f32 v36, v36, v40
	s_delay_alu instid0(VALU_DEP_1) | instskip(NEXT) | instid1(VALU_DEP_1)
	v_dual_sub_f32 v34, v36, v34 :: v_dual_add_f32 v29, v29, v41
	v_dual_add_f32 v29, v29, v34 :: v_dual_add_f32 v34, v39, v37
	s_delay_alu instid0(VALU_DEP_3) | instskip(NEXT) | instid1(VALU_DEP_1)
	v_sub_f32_e32 v35, v38, v35
	v_dual_add_f32 v29, v35, v29 :: v_dual_sub_f32 v35, v34, v39
	s_delay_alu instid0(VALU_DEP_1) | instskip(NEXT) | instid1(VALU_DEP_1)
	v_dual_sub_f32 v35, v37, v35 :: v_dual_add_f32 v29, v40, v29
	v_mul_f32_e32 v29, v33, v29
	s_delay_alu instid0(VALU_DEP_1) | instskip(NEXT) | instid1(VALU_DEP_1)
	v_add_f32_e32 v29, v35, v29
	v_add_f32_e32 v33, v34, v29
	s_delay_alu instid0(VALU_DEP_1) | instskip(NEXT) | instid1(VALU_DEP_1)
	v_mul_f32_e32 v35, v33, v33
	v_dual_fmaak_f32 v36, s3, v35, 0x3ecc95a3 :: v_dual_mul_f32 v37, v33, v35
	s_delay_alu instid0(VALU_DEP_1) | instskip(NEXT) | instid1(VALU_DEP_1)
	v_fmaak_f32 v35, v35, v36, 0x3f2aaada
	v_mul_f32_e32 v35, v37, v35
	v_ldexp_f32 v36, v33, 1
	v_sub_f32_e32 v33, v33, v34
	s_delay_alu instid0(VALU_DEP_2) | instskip(NEXT) | instid1(VALU_DEP_1)
	v_dual_mul_f32 v37, 0x3f317218, v32 :: v_dual_add_f32 v34, v36, v35
	v_dual_sub_f32 v29, v29, v33 :: v_dual_sub_f32 v33, v34, v36
	s_delay_alu instid0(VALU_DEP_2) | instskip(NEXT) | instid1(VALU_DEP_2)
	v_fma_f32 v36, 0x3f317218, v32, -v37
	v_ldexp_f32 v29, v29, 1
	s_delay_alu instid0(VALU_DEP_2) | instskip(NEXT) | instid1(VALU_DEP_1)
	v_dual_sub_f32 v33, v35, v33 :: v_dual_fmac_f32 v36, 0xb102e308, v32
	v_add_f32_e32 v32, v37, v36
	s_delay_alu instid0(VALU_DEP_2) | instskip(NEXT) | instid1(VALU_DEP_1)
	v_add_f32_e32 v29, v29, v33
	v_add_f32_e32 v33, v34, v29
	s_delay_alu instid0(VALU_DEP_1) | instskip(NEXT) | instid1(VALU_DEP_1)
	v_add_f32_e32 v35, v32, v33
	v_dual_sub_f32 v38, v35, v32 :: v_dual_sub_f32 v37, v32, v37
	v_sub_f32_e32 v34, v33, v34
	s_delay_alu instid0(VALU_DEP_2) | instskip(NEXT) | instid1(VALU_DEP_1)
	v_dual_sub_f32 v39, v35, v38 :: v_dual_sub_f32 v36, v36, v37
	v_dual_sub_f32 v29, v29, v34 :: v_dual_sub_f32 v32, v32, v39
	s_delay_alu instid0(VALU_DEP_1) | instskip(NEXT) | instid1(VALU_DEP_1)
	v_dual_sub_f32 v33, v33, v38 :: v_dual_add_f32 v34, v36, v29
	v_add_f32_e32 v32, v33, v32
	s_delay_alu instid0(VALU_DEP_2) | instskip(NEXT) | instid1(VALU_DEP_1)
	v_sub_f32_e32 v33, v34, v36
	v_dual_add_f32 v32, v34, v32 :: v_dual_sub_f32 v34, v34, v33
	s_delay_alu instid0(VALU_DEP_1) | instskip(NEXT) | instid1(VALU_DEP_1)
	v_dual_sub_f32 v34, v36, v34 :: v_dual_sub_f32 v29, v29, v33
	v_dual_add_f32 v37, v35, v32 :: v_dual_add_f32 v29, v29, v34
	s_delay_alu instid0(VALU_DEP_1) | instskip(NEXT) | instid1(VALU_DEP_1)
	v_sub_f32_e32 v33, v37, v35
	v_sub_f32_e32 v32, v32, v33
	s_delay_alu instid0(VALU_DEP_1) | instskip(SKIP_1) | instid1(VALU_DEP_2)
	v_add_f32_e32 v29, v29, v32
	v_add_nc_u64_e32 v[32:33], s[6:7], v[18:19]
	v_add_f32_e32 v29, v37, v29
	s_delay_alu instid0(VALU_DEP_1) | instskip(SKIP_1) | instid1(VALU_DEP_1)
	v_cndmask_b32_e64 v29, 0x7f800000, v29, s0
	v_cmp_ngt_f32_e64 s0, -1.0, v31
	v_cndmask_b32_e64 v29, 0x7fc00000, v29, s0
	v_cmp_neq_f32_e64 s0, -1.0, v31
	s_delay_alu instid0(VALU_DEP_1) | instskip(SKIP_1) | instid1(VALU_DEP_1)
	v_cndmask_b32_e64 v29, 0xff800000, v29, s0
	v_cmp_gt_f32_e64 s0, 0x33800000, |v31|
	v_cndmask_b32_e64 v29, v29, v31, s0
	global_store_b32 v[32:33], v29, off
	s_wait_xcnt 0x0
	s_or_b32 exec_lo, exec_lo, s1
	s_and_saveexec_b32 s0, vcc_lo
	s_cbranch_execz .LBB202_8
.LBB202_24:                             ;   in Loop: Header=BB202_9 Depth=1
	s_wait_loadcnt 0x0
	v_add_f32_e32 v29, 1.0, v30
	s_delay_alu instid0(VALU_DEP_1) | instskip(NEXT) | instid1(VALU_DEP_1)
	v_cvt_f64_f32_e32 v[32:33], v29
	v_frexp_exp_i32_f64_e32 v31, v[32:33]
	v_frexp_mant_f32_e32 v32, v29
	s_delay_alu instid0(VALU_DEP_1) | instskip(NEXT) | instid1(VALU_DEP_3)
	v_cmp_gt_f32_e32 vcc_lo, 0x3f2aaaab, v32
	v_subrev_co_ci_u32_e64 v31, null, 0, v31, vcc_lo
	v_cmp_neq_f32_e32 vcc_lo, 0x7f800000, v30
	s_delay_alu instid0(VALU_DEP_2) | instskip(SKIP_1) | instid1(VALU_DEP_2)
	v_dual_add_f32 v32, -1.0, v29 :: v_dual_sub_nc_u32 v33, 0, v31
	v_cvt_f32_i32_e32 v31, v31
	v_sub_f32_e32 v34, v32, v29
	s_delay_alu instid0(VALU_DEP_3) | instskip(NEXT) | instid1(VALU_DEP_2)
	v_ldexp_f32 v29, v29, v33
	v_dual_add_f32 v34, 1.0, v34 :: v_dual_sub_f32 v32, v30, v32
	s_delay_alu instid0(VALU_DEP_2) | instskip(NEXT) | instid1(VALU_DEP_1)
	v_dual_add_f32 v35, 1.0, v29 :: v_dual_add_f32 v36, -1.0, v29
	v_dual_add_f32 v32, v32, v34 :: v_dual_add_f32 v34, -1.0, v35
	s_delay_alu instid0(VALU_DEP_1) | instskip(NEXT) | instid1(VALU_DEP_2)
	v_ldexp_f32 v32, v32, v33
	v_dual_sub_f32 v33, v29, v34 :: v_dual_add_f32 v34, 1.0, v36
	s_delay_alu instid0(VALU_DEP_1) | instskip(NEXT) | instid1(VALU_DEP_1)
	v_dual_add_f32 v33, v32, v33 :: v_dual_sub_f32 v29, v29, v34
	v_add_f32_e32 v29, v32, v29
	s_delay_alu instid0(VALU_DEP_1) | instskip(NEXT) | instid1(VALU_DEP_3)
	v_add_f32_e32 v37, v36, v29
	v_add_f32_e32 v34, v35, v33
	s_delay_alu instid0(VALU_DEP_1) | instskip(SKIP_1) | instid1(TRANS32_DEP_1)
	v_rcp_f32_e32 v32, v34
	v_nop
	v_dual_mul_f32 v38, v37, v32 :: v_dual_sub_f32 v35, v34, v35
	s_delay_alu instid0(VALU_DEP_1) | instskip(NEXT) | instid1(VALU_DEP_1)
	v_dual_mul_f32 v39, v34, v38 :: v_dual_sub_f32 v33, v33, v35
	v_dual_sub_f32 v36, v37, v36 :: v_dual_fma_f32 v35, v38, v34, -v39
	s_delay_alu instid0(VALU_DEP_1) | instskip(NEXT) | instid1(VALU_DEP_1)
	v_fmac_f32_e32 v35, v38, v33
	v_add_f32_e32 v40, v39, v35
	s_delay_alu instid0(VALU_DEP_1) | instskip(NEXT) | instid1(VALU_DEP_4)
	v_sub_f32_e32 v41, v37, v40
	v_dual_sub_f32 v29, v29, v36 :: v_dual_sub_f32 v36, v40, v39
	s_delay_alu instid0(VALU_DEP_1) | instskip(NEXT) | instid1(VALU_DEP_1)
	v_dual_sub_f32 v37, v37, v41 :: v_dual_sub_f32 v35, v36, v35
	v_sub_f32_e32 v37, v37, v40
	s_delay_alu instid0(VALU_DEP_1) | instskip(NEXT) | instid1(VALU_DEP_1)
	v_add_f32_e32 v29, v29, v37
	v_add_f32_e32 v29, v35, v29
	s_delay_alu instid0(VALU_DEP_1) | instskip(NEXT) | instid1(VALU_DEP_1)
	v_add_f32_e32 v35, v41, v29
	v_mul_f32_e32 v36, v32, v35
	s_delay_alu instid0(VALU_DEP_1) | instskip(NEXT) | instid1(VALU_DEP_1)
	v_dual_mul_f32 v37, v34, v36 :: v_dual_sub_f32 v40, v41, v35
	v_fma_f32 v34, v36, v34, -v37
	s_delay_alu instid0(VALU_DEP_1) | instskip(NEXT) | instid1(VALU_DEP_1)
	v_fmac_f32_e32 v34, v36, v33
	v_add_f32_e32 v33, v37, v34
	s_delay_alu instid0(VALU_DEP_1) | instskip(NEXT) | instid1(VALU_DEP_1)
	v_sub_f32_e32 v39, v35, v33
	v_dual_sub_f32 v35, v35, v39 :: v_dual_add_f32 v29, v29, v40
	v_sub_f32_e32 v37, v33, v37
	s_delay_alu instid0(VALU_DEP_2) | instskip(NEXT) | instid1(VALU_DEP_1)
	v_sub_f32_e32 v33, v35, v33
	v_dual_add_f32 v29, v29, v33 :: v_dual_add_f32 v33, v38, v36
	s_delay_alu instid0(VALU_DEP_3) | instskip(NEXT) | instid1(VALU_DEP_1)
	v_sub_f32_e32 v34, v37, v34
	v_dual_add_f32 v29, v34, v29 :: v_dual_sub_f32 v34, v33, v38
	s_delay_alu instid0(VALU_DEP_1) | instskip(NEXT) | instid1(VALU_DEP_1)
	v_dual_add_f32 v29, v39, v29 :: v_dual_sub_f32 v34, v36, v34
	v_mul_f32_e32 v29, v32, v29
	s_delay_alu instid0(VALU_DEP_1) | instskip(NEXT) | instid1(VALU_DEP_1)
	v_add_f32_e32 v29, v34, v29
	v_add_f32_e32 v32, v33, v29
	s_delay_alu instid0(VALU_DEP_1) | instskip(NEXT) | instid1(VALU_DEP_1)
	v_mul_f32_e32 v34, v32, v32
	v_dual_fmaak_f32 v35, s3, v34, 0x3ecc95a3 :: v_dual_mul_f32 v36, v32, v34
	s_delay_alu instid0(VALU_DEP_1) | instskip(SKIP_2) | instid1(VALU_DEP_1)
	v_fmaak_f32 v34, v34, v35, 0x3f2aaada
	v_ldexp_f32 v35, v32, 1
	v_sub_f32_e32 v32, v32, v33
	v_dual_sub_f32 v29, v29, v32 :: v_dual_mul_f32 v34, v36, v34
	s_delay_alu instid0(VALU_DEP_1) | instskip(NEXT) | instid1(VALU_DEP_2)
	v_ldexp_f32 v29, v29, 1
	v_add_f32_e32 v33, v35, v34
	s_delay_alu instid0(VALU_DEP_1) | instskip(NEXT) | instid1(VALU_DEP_1)
	v_sub_f32_e32 v32, v33, v35
	v_sub_f32_e32 v32, v34, v32
	s_delay_alu instid0(VALU_DEP_1) | instskip(NEXT) | instid1(VALU_DEP_1)
	v_dual_mul_f32 v36, 0x3f317218, v31 :: v_dual_add_f32 v29, v29, v32
	v_fma_f32 v35, 0x3f317218, v31, -v36
	s_delay_alu instid0(VALU_DEP_1) | instskip(NEXT) | instid1(VALU_DEP_1)
	v_dual_add_f32 v32, v33, v29 :: v_dual_fmac_f32 v35, 0xb102e308, v31
	v_sub_f32_e32 v33, v32, v33
	s_delay_alu instid0(VALU_DEP_2) | instskip(NEXT) | instid1(VALU_DEP_1)
	v_add_f32_e32 v31, v36, v35
	v_add_f32_e32 v34, v31, v32
	s_delay_alu instid0(VALU_DEP_1) | instskip(NEXT) | instid1(VALU_DEP_1)
	v_dual_sub_f32 v36, v31, v36 :: v_dual_sub_f32 v37, v34, v31
	v_dual_sub_f32 v35, v35, v36 :: v_dual_sub_f32 v38, v34, v37
	s_delay_alu instid0(VALU_DEP_1) | instskip(NEXT) | instid1(VALU_DEP_1)
	v_dual_sub_f32 v29, v29, v33 :: v_dual_sub_f32 v31, v31, v38
	v_add_f32_e32 v33, v35, v29
	v_sub_f32_e32 v32, v32, v37
	s_delay_alu instid0(VALU_DEP_1) | instskip(NEXT) | instid1(VALU_DEP_3)
	v_add_f32_e32 v31, v32, v31
	v_sub_f32_e32 v32, v33, v35
	s_delay_alu instid0(VALU_DEP_1) | instskip(NEXT) | instid1(VALU_DEP_1)
	v_dual_add_f32 v31, v33, v31 :: v_dual_sub_f32 v33, v33, v32
	v_dual_add_f32 v36, v34, v31 :: v_dual_sub_f32 v33, v35, v33
	s_delay_alu instid0(VALU_DEP_1) | instskip(NEXT) | instid1(VALU_DEP_1)
	v_dual_sub_f32 v29, v29, v32 :: v_dual_sub_f32 v32, v36, v34
	v_dual_add_f32 v29, v29, v33 :: v_dual_sub_f32 v31, v31, v32
	v_add_nc_u64_e32 v[32:33], s[6:7], v[22:23]
	s_delay_alu instid0(VALU_DEP_2) | instskip(NEXT) | instid1(VALU_DEP_1)
	v_add_f32_e32 v29, v29, v31
	v_add_f32_e32 v29, v36, v29
	s_delay_alu instid0(VALU_DEP_1) | instskip(SKIP_1) | instid1(VALU_DEP_2)
	v_cndmask_b32_e32 v29, 0x7f800000, v29, vcc_lo
	v_cmp_ngt_f32_e32 vcc_lo, -1.0, v30
	v_cndmask_b32_e32 v29, 0x7fc00000, v29, vcc_lo
	v_cmp_neq_f32_e32 vcc_lo, -1.0, v30
	s_delay_alu instid0(VALU_DEP_2) | instskip(SKIP_1) | instid1(VALU_DEP_2)
	v_cndmask_b32_e32 v29, 0xff800000, v29, vcc_lo
	v_cmp_gt_f32_e64 vcc_lo, 0x33800000, |v30|
	v_cndmask_b32_e32 v29, v29, v30, vcc_lo
	global_store_b32 v[32:33], v29, off
	s_branch .LBB202_8
.LBB202_25:
	s_endpgm
	.section	.rodata,"a",@progbits
	.p2align	6, 0x0
	.amdhsa_kernel _ZN2at6native12_GLOBAL__N_125multi_tensor_apply_kernelINS1_18TensorListMetadataILi2EEENS1_14UnaryOpFunctorIfLi2ELi1ELi1EEEJNS0_5Log1pIfEEEEEvT_T0_DpT1_
		.amdhsa_group_segment_fixed_size 0
		.amdhsa_private_segment_fixed_size 0
		.amdhsa_kernarg_size 3408
		.amdhsa_user_sgpr_count 2
		.amdhsa_user_sgpr_dispatch_ptr 0
		.amdhsa_user_sgpr_queue_ptr 0
		.amdhsa_user_sgpr_kernarg_segment_ptr 1
		.amdhsa_user_sgpr_dispatch_id 0
		.amdhsa_user_sgpr_kernarg_preload_length 0
		.amdhsa_user_sgpr_kernarg_preload_offset 0
		.amdhsa_user_sgpr_private_segment_size 0
		.amdhsa_wavefront_size32 1
		.amdhsa_uses_dynamic_stack 0
		.amdhsa_enable_private_segment 0
		.amdhsa_system_sgpr_workgroup_id_x 1
		.amdhsa_system_sgpr_workgroup_id_y 0
		.amdhsa_system_sgpr_workgroup_id_z 0
		.amdhsa_system_sgpr_workgroup_info 0
		.amdhsa_system_vgpr_workitem_id 0
		.amdhsa_next_free_vgpr 62
		.amdhsa_next_free_sgpr 30
		.amdhsa_named_barrier_count 0
		.amdhsa_reserve_vcc 1
		.amdhsa_float_round_mode_32 0
		.amdhsa_float_round_mode_16_64 0
		.amdhsa_float_denorm_mode_32 3
		.amdhsa_float_denorm_mode_16_64 3
		.amdhsa_fp16_overflow 0
		.amdhsa_memory_ordered 1
		.amdhsa_forward_progress 1
		.amdhsa_inst_pref_size 55
		.amdhsa_round_robin_scheduling 0
		.amdhsa_exception_fp_ieee_invalid_op 0
		.amdhsa_exception_fp_denorm_src 0
		.amdhsa_exception_fp_ieee_div_zero 0
		.amdhsa_exception_fp_ieee_overflow 0
		.amdhsa_exception_fp_ieee_underflow 0
		.amdhsa_exception_fp_ieee_inexact 0
		.amdhsa_exception_int_div_zero 0
	.end_amdhsa_kernel
	.section	.text._ZN2at6native12_GLOBAL__N_125multi_tensor_apply_kernelINS1_18TensorListMetadataILi2EEENS1_14UnaryOpFunctorIfLi2ELi1ELi1EEEJNS0_5Log1pIfEEEEEvT_T0_DpT1_,"axG",@progbits,_ZN2at6native12_GLOBAL__N_125multi_tensor_apply_kernelINS1_18TensorListMetadataILi2EEENS1_14UnaryOpFunctorIfLi2ELi1ELi1EEEJNS0_5Log1pIfEEEEEvT_T0_DpT1_,comdat
.Lfunc_end202:
	.size	_ZN2at6native12_GLOBAL__N_125multi_tensor_apply_kernelINS1_18TensorListMetadataILi2EEENS1_14UnaryOpFunctorIfLi2ELi1ELi1EEEJNS0_5Log1pIfEEEEEvT_T0_DpT1_, .Lfunc_end202-_ZN2at6native12_GLOBAL__N_125multi_tensor_apply_kernelINS1_18TensorListMetadataILi2EEENS1_14UnaryOpFunctorIfLi2ELi1ELi1EEEJNS0_5Log1pIfEEEEEvT_T0_DpT1_
                                        ; -- End function
	.set _ZN2at6native12_GLOBAL__N_125multi_tensor_apply_kernelINS1_18TensorListMetadataILi2EEENS1_14UnaryOpFunctorIfLi2ELi1ELi1EEEJNS0_5Log1pIfEEEEEvT_T0_DpT1_.num_vgpr, 62
	.set _ZN2at6native12_GLOBAL__N_125multi_tensor_apply_kernelINS1_18TensorListMetadataILi2EEENS1_14UnaryOpFunctorIfLi2ELi1ELi1EEEJNS0_5Log1pIfEEEEEvT_T0_DpT1_.num_agpr, 0
	.set _ZN2at6native12_GLOBAL__N_125multi_tensor_apply_kernelINS1_18TensorListMetadataILi2EEENS1_14UnaryOpFunctorIfLi2ELi1ELi1EEEJNS0_5Log1pIfEEEEEvT_T0_DpT1_.numbered_sgpr, 30
	.set _ZN2at6native12_GLOBAL__N_125multi_tensor_apply_kernelINS1_18TensorListMetadataILi2EEENS1_14UnaryOpFunctorIfLi2ELi1ELi1EEEJNS0_5Log1pIfEEEEEvT_T0_DpT1_.num_named_barrier, 0
	.set _ZN2at6native12_GLOBAL__N_125multi_tensor_apply_kernelINS1_18TensorListMetadataILi2EEENS1_14UnaryOpFunctorIfLi2ELi1ELi1EEEJNS0_5Log1pIfEEEEEvT_T0_DpT1_.private_seg_size, 0
	.set _ZN2at6native12_GLOBAL__N_125multi_tensor_apply_kernelINS1_18TensorListMetadataILi2EEENS1_14UnaryOpFunctorIfLi2ELi1ELi1EEEJNS0_5Log1pIfEEEEEvT_T0_DpT1_.uses_vcc, 1
	.set _ZN2at6native12_GLOBAL__N_125multi_tensor_apply_kernelINS1_18TensorListMetadataILi2EEENS1_14UnaryOpFunctorIfLi2ELi1ELi1EEEJNS0_5Log1pIfEEEEEvT_T0_DpT1_.uses_flat_scratch, 0
	.set _ZN2at6native12_GLOBAL__N_125multi_tensor_apply_kernelINS1_18TensorListMetadataILi2EEENS1_14UnaryOpFunctorIfLi2ELi1ELi1EEEJNS0_5Log1pIfEEEEEvT_T0_DpT1_.has_dyn_sized_stack, 0
	.set _ZN2at6native12_GLOBAL__N_125multi_tensor_apply_kernelINS1_18TensorListMetadataILi2EEENS1_14UnaryOpFunctorIfLi2ELi1ELi1EEEJNS0_5Log1pIfEEEEEvT_T0_DpT1_.has_recursion, 0
	.set _ZN2at6native12_GLOBAL__N_125multi_tensor_apply_kernelINS1_18TensorListMetadataILi2EEENS1_14UnaryOpFunctorIfLi2ELi1ELi1EEEJNS0_5Log1pIfEEEEEvT_T0_DpT1_.has_indirect_call, 0
	.section	.AMDGPU.csdata,"",@progbits
; Kernel info:
; codeLenInByte = 6928
; TotalNumSgprs: 32
; NumVgprs: 62
; ScratchSize: 0
; MemoryBound: 0
; FloatMode: 240
; IeeeMode: 1
; LDSByteSize: 0 bytes/workgroup (compile time only)
; SGPRBlocks: 0
; VGPRBlocks: 3
; NumSGPRsForWavesPerEU: 32
; NumVGPRsForWavesPerEU: 62
; NamedBarCnt: 0
; Occupancy: 16
; WaveLimiterHint : 0
; COMPUTE_PGM_RSRC2:SCRATCH_EN: 0
; COMPUTE_PGM_RSRC2:USER_SGPR: 2
; COMPUTE_PGM_RSRC2:TRAP_HANDLER: 0
; COMPUTE_PGM_RSRC2:TGID_X_EN: 1
; COMPUTE_PGM_RSRC2:TGID_Y_EN: 0
; COMPUTE_PGM_RSRC2:TGID_Z_EN: 0
; COMPUTE_PGM_RSRC2:TIDIG_COMP_CNT: 0
	.section	.text._ZN2at6native12_GLOBAL__N_125multi_tensor_apply_kernelINS1_18TensorListMetadataILi2EEENS1_14UnaryOpFunctorIN3c107complexIdEELi2ELi1ELi1EEEJNS0_5Log1pIS8_EEEEEvT_T0_DpT1_,"axG",@progbits,_ZN2at6native12_GLOBAL__N_125multi_tensor_apply_kernelINS1_18TensorListMetadataILi2EEENS1_14UnaryOpFunctorIN3c107complexIdEELi2ELi1ELi1EEEJNS0_5Log1pIS8_EEEEEvT_T0_DpT1_,comdat
	.globl	_ZN2at6native12_GLOBAL__N_125multi_tensor_apply_kernelINS1_18TensorListMetadataILi2EEENS1_14UnaryOpFunctorIN3c107complexIdEELi2ELi1ELi1EEEJNS0_5Log1pIS8_EEEEEvT_T0_DpT1_ ; -- Begin function _ZN2at6native12_GLOBAL__N_125multi_tensor_apply_kernelINS1_18TensorListMetadataILi2EEENS1_14UnaryOpFunctorIN3c107complexIdEELi2ELi1ELi1EEEJNS0_5Log1pIS8_EEEEEvT_T0_DpT1_
	.p2align	8
	.type	_ZN2at6native12_GLOBAL__N_125multi_tensor_apply_kernelINS1_18TensorListMetadataILi2EEENS1_14UnaryOpFunctorIN3c107complexIdEELi2ELi1ELi1EEEJNS0_5Log1pIS8_EEEEEvT_T0_DpT1_,@function
_ZN2at6native12_GLOBAL__N_125multi_tensor_apply_kernelINS1_18TensorListMetadataILi2EEENS1_14UnaryOpFunctorIN3c107complexIdEELi2ELi1ELi1EEEJNS0_5Log1pIS8_EEEEEvT_T0_DpT1_: ; @_ZN2at6native12_GLOBAL__N_125multi_tensor_apply_kernelINS1_18TensorListMetadataILi2EEENS1_14UnaryOpFunctorIN3c107complexIdEELi2ELi1ELi1EEEJNS0_5Log1pIS8_EEEEEvT_T0_DpT1_
; %bb.0:
	s_bfe_u32 s2, ttmp6, 0x4000c
	s_and_b32 s3, ttmp6, 15
	s_add_co_i32 s2, s2, 1
	s_getreg_b32 s4, hwreg(HW_REG_IB_STS2, 6, 4)
	s_mul_i32 s2, ttmp9, s2
	s_delay_alu instid0(SALU_CYCLE_1)
	s_add_co_i32 s3, s3, s2
	s_cmp_eq_u32 s4, 0
	s_cselect_b32 s2, ttmp9, s3
	s_mov_b32 s3, 0
	s_load_u8 s14, s[0:1], s2 offset:0x600
	s_add_nc_u64 s[4:5], s[0:1], s[2:3]
	s_mul_u64 s[6:7], s[2:3], 3
	s_delay_alu instid0(SALU_CYCLE_1)
	s_add_nc_u64 s[4:5], s[4:5], s[6:7]
	s_load_b32 s6, s[4:5], 0x740
	s_wait_kmcnt 0x0
	s_clause 0x2
	s_load_b64 s[8:9], s[0:1], s14 offset:0x0 scale_offset
	s_load_b64 s[10:11], s[0:1], s14 offset:0x200 scale_offset
	;; [unrolled: 1-line block ×3, first 2 shown]
	s_ashr_i32 s7, s6, 31
	s_delay_alu instid0(SALU_CYCLE_1)
	s_lshl_b64 s[4:5], s[6:7], 20
	s_lshl_b64 s[6:7], s[6:7], 16
	s_wait_kmcnt 0x0
	s_add_nc_u64 s[16:17], s[10:11], s[4:5]
	s_add_nc_u64 s[14:15], s[8:9], s[4:5]
	s_and_b32 s4, s12, 3
	s_and_b64 s[8:9], s[16:17], 63
	s_mov_b32 s5, s3
	s_and_b32 s2, s14, 63
	s_or_b64 s[4:5], s[8:9], s[4:5]
	s_sub_nc_u64 s[18:19], s[12:13], s[6:7]
	s_or_b64 s[2:3], s[4:5], s[2:3]
	s_delay_alu instid0(SALU_CYCLE_1)
	s_cmp_eq_u64 s[2:3], 0
	s_mov_b32 s2, -1
	s_cbranch_scc0 .LBB203_29
; %bb.1:
	v_min_i64 v[18:19], 0x10000, s[18:19]
	v_dual_mov_b32 v21, 0 :: v_dual_lshlrev_b32 v20, 2, v0
	s_mov_b32 s33, exec_lo
	s_delay_alu instid0(VALU_DEP_1)
	v_cmpx_lt_i64_e64 v[20:21], v[18:19]
	s_cbranch_execz .LBB203_28
; %bb.2:
	s_load_b32 s2, s[0:1], 0xc5c
	v_dual_mov_b32 v1, v21 :: v_dual_lshlrev_b32 v20, 6, v0
	v_mov_b64_e32 v[22:23], 0x3fc385386b47b09a
	v_mov_b64_e32 v[24:25], 0xbf23e260bd3237f4
	v_mov_b32_e32 v54, 0x7f3321d2
	s_delay_alu instid0(VALU_DEP_4)
	v_mov_b64_e32 v[26:27], v[0:1]
	v_mov_b32_e32 v55, 0x4002d97c
	s_mov_b32 s21, 0
	s_mov_b64 s[22:23], 0x3fe5555555555555
	s_mov_b64 s[24:25], 0x3fe62e42fefa39ef
	s_mov_b64 s[26:27], 0x3ff921fb54442d18
	s_mov_b64 s[28:29], 0x400921fb54442d18
	s_mov_b64 s[30:31], s[16:17]
	s_mov_b32 s35, s21
	s_mov_b32 s38, s21
	s_mov_b64 s[36:37], s[14:15]
                                        ; implicit-def: $vgpr2_vgpr3
                                        ; implicit-def: $vgpr2_vgpr3
	;; [unrolled: 1-line block ×23, first 2 shown]
	s_wait_kmcnt 0x0
	s_and_b32 s20, s2, 0xffff
	s_delay_alu instid0(SALU_CYCLE_1)
	s_lshl_b32 s34, s20, 6
	s_branch .LBB203_5
.LBB203_3:                              ;   in Loop: Header=BB203_5 Depth=1
	s_or_b32 exec_lo, exec_lo, s9
.LBB203_4:                              ;   in Loop: Header=BB203_5 Depth=1
	s_delay_alu instid0(SALU_CYCLE_1)
	s_or_b32 exec_lo, exec_lo, s8
	v_max_num_f64_e64 v[52:53], |v[40:41]|, |v[40:41]|
	v_max_num_f64_e64 v[56:57], |v[34:35]|, |v[34:35]|
	;; [unrolled: 1-line block ×4, first 2 shown]
	v_cmp_eq_f64_e64 s9, 0, v[12:13]
	v_cmp_eq_f64_e64 s11, 0, v[4:5]
	;; [unrolled: 1-line block ×4, first 2 shown]
	v_add_nc_u64_e32 v[26:27], s[20:21], v[26:27]
	s_add_nc_u64 s[36:37], s[36:37], s[34:35]
	v_ashrrev_i32_e32 v1, 31, v41
	v_min_num_f64_e32 v[44:45], v[52:53], v[44:45]
	v_min_num_f64_e32 v[38:39], v[56:57], v[38:39]
	;; [unrolled: 1-line block ×4, first 2 shown]
	s_delay_alu instid0(VALU_DEP_4) | instskip(NEXT) | instid1(VALU_DEP_4)
	v_div_scale_f64 v[52:53], null, v[42:43], v[42:43], v[44:45]
	v_div_scale_f64 v[56:57], null, v[36:37], v[36:37], v[38:39]
	s_delay_alu instid0(VALU_DEP_4) | instskip(NEXT) | instid1(VALU_DEP_4)
	v_div_scale_f64 v[58:59], null, v[30:31], v[30:31], v[32:33]
	v_div_scale_f64 v[60:61], null, v[48:49], v[48:49], v[50:51]
	v_div_scale_f64 v[78:79], vcc_lo, v[44:45], v[42:43], v[44:45]
	v_rcp_f64_e32 v[62:63], v[52:53]
	s_delay_alu instid0(VALU_DEP_4) | instskip(NEXT) | instid1(VALU_DEP_3)
	v_rcp_f64_e32 v[64:65], v[56:57]
	v_rcp_f64_e32 v[66:67], v[58:59]
	s_delay_alu instid0(VALU_DEP_2) | instskip(SKIP_1) | instid1(TRANS32_DEP_3)
	v_rcp_f64_e32 v[68:69], v[60:61]
	v_fma_f64 v[70:71], -v[52:53], v[62:63], 1.0
	v_fma_f64 v[72:73], -v[56:57], v[64:65], 1.0
	s_delay_alu instid0(TRANS32_DEP_2) | instskip(NEXT) | instid1(TRANS32_DEP_1)
	v_fma_f64 v[74:75], -v[58:59], v[66:67], 1.0
	v_fma_f64 v[76:77], -v[60:61], v[68:69], 1.0
	s_delay_alu instid0(VALU_DEP_4) | instskip(NEXT) | instid1(VALU_DEP_4)
	v_fmac_f64_e32 v[62:63], v[62:63], v[70:71]
	v_fmac_f64_e32 v[64:65], v[64:65], v[72:73]
	s_delay_alu instid0(VALU_DEP_4) | instskip(NEXT) | instid1(VALU_DEP_4)
	v_fmac_f64_e32 v[66:67], v[66:67], v[74:75]
	v_fmac_f64_e32 v[68:69], v[68:69], v[76:77]
	s_delay_alu instid0(VALU_DEP_4) | instskip(NEXT) | instid1(VALU_DEP_4)
	v_fma_f64 v[70:71], -v[52:53], v[62:63], 1.0
	v_fma_f64 v[72:73], -v[56:57], v[64:65], 1.0
	s_delay_alu instid0(VALU_DEP_4) | instskip(NEXT) | instid1(VALU_DEP_4)
	v_fma_f64 v[74:75], -v[58:59], v[66:67], 1.0
	v_fma_f64 v[76:77], -v[60:61], v[68:69], 1.0
	s_delay_alu instid0(VALU_DEP_4)
	v_fmac_f64_e32 v[62:63], v[62:63], v[70:71]
	v_div_scale_f64 v[70:71], s6, v[38:39], v[36:37], v[38:39]
	v_fmac_f64_e32 v[64:65], v[64:65], v[72:73]
	v_div_scale_f64 v[72:73], s7, v[32:33], v[30:31], v[32:33]
	v_fmac_f64_e32 v[66:67], v[66:67], v[74:75]
	v_fmac_f64_e32 v[68:69], v[68:69], v[76:77]
	v_div_scale_f64 v[74:75], s8, v[50:51], v[48:49], v[50:51]
	v_mul_f64_e32 v[76:77], v[78:79], v[62:63]
	v_mul_f64_e32 v[80:81], v[70:71], v[64:65]
	v_mul_f64_e32 v[82:83], v[72:73], v[66:67]
	s_delay_alu instid0(VALU_DEP_3) | instskip(NEXT) | instid1(VALU_DEP_3)
	v_fma_f64 v[52:53], -v[52:53], v[76:77], v[78:79]
	v_fma_f64 v[56:57], -v[56:57], v[80:81], v[70:71]
	s_delay_alu instid0(VALU_DEP_2) | instskip(SKIP_3) | instid1(VALU_DEP_4)
	v_div_fmas_f64 v[52:53], v[52:53], v[62:63], v[76:77]
	s_mov_b32 vcc_lo, s6
	v_cmp_lt_f64_e64 s6, |v[34:35]|, |v[16:17]|
	v_fma_f64 v[58:59], -v[58:59], v[82:83], v[72:73]
	v_div_fmas_f64 v[56:57], v[56:57], v[64:65], v[80:81]
	s_mov_b32 vcc_lo, s7
	v_cmp_lt_f64_e64 s7, |v[28:29]|, |v[4:5]|
	v_div_fixup_f64 v[42:43], v[52:53], v[42:43], v[44:45]
	s_delay_alu instid0(VALU_DEP_4) | instskip(SKIP_4) | instid1(VALU_DEP_2)
	v_div_fmas_f64 v[58:59], v[58:59], v[66:67], v[82:83]
	s_mov_b32 vcc_lo, s8
	v_cmp_lt_f64_e64 s8, |v[46:47]|, |v[8:9]|
	v_mul_f64_e32 v[84:85], v[74:75], v[68:69]
	v_ashrrev_i32_e32 v46, 31, v29
	v_fma_f64 v[60:61], -v[60:61], v[84:85], v[74:75]
	s_delay_alu instid0(VALU_DEP_1) | instskip(SKIP_3) | instid1(VALU_DEP_4)
	v_div_fmas_f64 v[60:61], v[60:61], v[68:69], v[84:85]
	v_cmp_lt_f64_e64 vcc_lo, |v[40:41]|, |v[12:13]|
	v_ashrrev_i32_e32 v40, 31, v35
	v_div_fixup_f64 v[30:31], v[58:59], v[30:31], v[32:33]
	v_div_fixup_f64 v[32:33], v[60:61], v[48:49], v[50:51]
	s_delay_alu instid0(VALU_DEP_2) | instskip(NEXT) | instid1(VALU_DEP_2)
	v_mul_f64_e32 v[48:49], v[30:31], v[30:31]
	v_mul_f64_e32 v[50:51], v[32:33], v[32:33]
	s_delay_alu instid0(VALU_DEP_2) | instskip(NEXT) | instid1(VALU_DEP_1)
	v_fmamk_f64 v[58:59], v[48:49], 0x3eeba404b5e68a13, v[24:25]
	v_fmaak_f64 v[58:59], v[48:49], v[58:59], 0x3f4b2bb069efb384
	s_delay_alu instid0(VALU_DEP_1) | instskip(NEXT) | instid1(VALU_DEP_1)
	v_fmaak_f64 v[58:59], v[48:49], v[58:59], 0xbf67952daf56de9b
	v_fmaak_f64 v[58:59], v[48:49], v[58:59], 0x3f7d6d43a595c56f
	s_delay_alu instid0(VALU_DEP_1) | instskip(SKIP_1) | instid1(VALU_DEP_2)
	v_fmaak_f64 v[58:59], v[48:49], v[58:59], 0xbf8c6ea4a57d9582
	v_fmamk_f64 v[60:61], v[50:51], 0x3eeba404b5e68a13, v[24:25]
	v_fmaak_f64 v[58:59], v[48:49], v[58:59], 0x3f967e295f08b19f
	s_delay_alu instid0(VALU_DEP_2) | instskip(NEXT) | instid1(VALU_DEP_2)
	v_fmaak_f64 v[60:61], v[50:51], v[60:61], 0x3f4b2bb069efb384
	v_fmaak_f64 v[58:59], v[48:49], v[58:59], 0xbf9e9ae6fc27006a
	s_delay_alu instid0(VALU_DEP_2) | instskip(NEXT) | instid1(VALU_DEP_2)
	v_fmaak_f64 v[60:61], v[50:51], v[60:61], 0xbf67952daf56de9b
	;; [unrolled: 3-line block ×14, first 2 shown]
	v_mul_f64_e32 v[48:49], v[48:49], v[58:59]
	s_delay_alu instid0(VALU_DEP_2) | instskip(SKIP_1) | instid1(VALU_DEP_2)
	v_fmaak_f64 v[60:61], v[50:51], v[60:61], 0x3fbc71c717e1913c
	v_and_b32_e32 v58, 0x54442d18, v46
	v_fmaak_f64 v[60:61], v[50:51], v[60:61], 0xbfc2492492376b7d
	s_delay_alu instid0(VALU_DEP_1) | instskip(NEXT) | instid1(VALU_DEP_1)
	v_fmaak_f64 v[60:61], v[50:51], v[60:61], 0x3fc99999999952cc
	v_fmaak_f64 v[60:61], v[50:51], v[60:61], 0xbfd5555555555523
	s_delay_alu instid0(VALU_DEP_1) | instskip(SKIP_1) | instid1(VALU_DEP_2)
	v_mul_f64_e32 v[50:51], v[50:51], v[60:61]
	v_fmac_f64_e32 v[30:31], v[30:31], v[48:49]
	v_fmac_f64_e32 v[32:33], v[32:33], v[50:51]
	s_delay_alu instid0(VALU_DEP_2) | instskip(NEXT) | instid1(VALU_DEP_2)
	v_add_f64_e64 v[48:49], -v[30:31], s[26:27]
	v_add_f64_e64 v[50:51], -v[32:33], s[26:27]
	s_delay_alu instid0(VALU_DEP_2)
	v_cndmask_b32_e64 v31, v31, v49, s7
	v_div_fixup_f64 v[36:37], v[56:57], v[36:37], v[38:39]
	v_mul_f64_e32 v[38:39], v[42:43], v[42:43]
	v_cndmask_b32_e64 v30, v30, v48, s7
	v_cmp_gt_i32_e64 s7, 0, v35
	v_lshlrev_b64_e32 v[34:35], 2, v[26:27]
	s_delay_alu instid0(VALU_DEP_3) | instskip(NEXT) | instid1(VALU_DEP_2)
	v_add_f64_e64 v[48:49], -v[30:31], s[28:29]
	v_cmp_ge_i64_e64 s13, v[34:35], v[18:19]
	v_dual_cndmask_b32 v33, v33, v51, s8 :: v_dual_cndmask_b32 v32, v32, v50, s8
	v_cmp_gt_i32_e64 s8, 0, v29
	v_add_nc_u64_e32 v[28:29], s[30:31], v[20:21]
	s_add_nc_u64 s[30:31], s[30:31], s[34:35]
	v_fmamk_f64 v[52:53], v[38:39], 0x3eeba404b5e68a13, v[24:25]
	v_add_f64_e64 v[50:51], -v[32:33], s[28:29]
	s_delay_alu instid0(VALU_DEP_2) | instskip(NEXT) | instid1(VALU_DEP_1)
	v_fmaak_f64 v[52:53], v[38:39], v[52:53], 0x3f4b2bb069efb384
	v_fmaak_f64 v[52:53], v[38:39], v[52:53], 0xbf67952daf56de9b
	s_delay_alu instid0(VALU_DEP_1) | instskip(NEXT) | instid1(VALU_DEP_1)
	v_fmaak_f64 v[52:53], v[38:39], v[52:53], 0x3f7d6d43a595c56f
	v_fmaak_f64 v[52:53], v[38:39], v[52:53], 0xbf8c6ea4a57d9582
	s_delay_alu instid0(VALU_DEP_1) | instskip(NEXT) | instid1(VALU_DEP_1)
	v_fmaak_f64 v[52:53], v[38:39], v[52:53], 0x3f967e295f08b19f
	v_fmaak_f64 v[52:53], v[38:39], v[52:53], 0xbf9e9ae6fc27006a
	s_delay_alu instid0(VALU_DEP_1) | instskip(NEXT) | instid1(VALU_DEP_1)
	v_fmaak_f64 v[52:53], v[38:39], v[52:53], 0x3fa2c15b5711927a
	v_fmaak_f64 v[52:53], v[38:39], v[52:53], 0xbfa59976e82d3ff0
	s_delay_alu instid0(VALU_DEP_1) | instskip(NEXT) | instid1(VALU_DEP_1)
	v_fmaak_f64 v[52:53], v[38:39], v[52:53], 0x3fa82d5d6ef28734
	v_fmaak_f64 v[52:53], v[38:39], v[52:53], 0xbfaae5ce6a214619
	s_delay_alu instid0(VALU_DEP_1) | instskip(NEXT) | instid1(VALU_DEP_1)
	v_fmaak_f64 v[52:53], v[38:39], v[52:53], 0x3fae1bb48427b883
	v_fmaak_f64 v[52:53], v[38:39], v[52:53], 0xbfb110e48b207f05
	s_delay_alu instid0(VALU_DEP_1) | instskip(NEXT) | instid1(VALU_DEP_1)
	v_fmaak_f64 v[52:53], v[38:39], v[52:53], 0x3fb3b13657b87036
	v_fmaak_f64 v[52:53], v[38:39], v[52:53], 0xbfb745d119378e4f
	s_delay_alu instid0(VALU_DEP_1) | instskip(NEXT) | instid1(VALU_DEP_1)
	v_fmaak_f64 v[52:53], v[38:39], v[52:53], 0x3fbc71c717e1913c
	v_fmaak_f64 v[52:53], v[38:39], v[52:53], 0xbfc2492492376b7d
	s_delay_alu instid0(VALU_DEP_1) | instskip(NEXT) | instid1(VALU_DEP_1)
	v_fmaak_f64 v[52:53], v[38:39], v[52:53], 0x3fc99999999952cc
	v_fmaak_f64 v[52:53], v[38:39], v[52:53], 0xbfd5555555555523
	s_delay_alu instid0(VALU_DEP_1) | instskip(SKIP_2) | instid1(VALU_DEP_3)
	v_mul_f64_e32 v[38:39], v[38:39], v[52:53]
	v_cndmask_b32_e64 v52, 0x54442d18, v54, s7
	v_cndmask_b32_e64 v53, 0x54442d18, v54, s8
	v_fmac_f64_e32 v[42:43], v[42:43], v[38:39]
	s_delay_alu instid0(VALU_DEP_1) | instskip(NEXT) | instid1(VALU_DEP_1)
	v_add_f64_e64 v[38:39], -v[42:43], s[26:27]
	v_dual_cndmask_b32 v39, v43, v39 :: v_dual_cndmask_b32 v38, v42, v38
	v_cmp_gt_i32_e32 vcc_lo, 0, v47
	v_dual_ashrrev_i32 v47, 31, v47 :: v_dual_cndmask_b32 v31, v31, v49, s8
	s_delay_alu instid0(VALU_DEP_3) | instskip(SKIP_3) | instid1(VALU_DEP_3)
	v_add_f64_e64 v[42:43], -v[38:39], s[28:29]
	v_mul_f64_e32 v[44:45], v[36:37], v[36:37]
	v_dual_cndmask_b32 v32, v32, v50 :: v_dual_cndmask_b32 v33, v33, v51
	v_cndmask_b32_e32 v4, 0x54442d18, v54, vcc_lo
	v_fmamk_f64 v[56:57], v[44:45], 0x3eeba404b5e68a13, v[24:25]
	s_delay_alu instid0(VALU_DEP_1) | instskip(NEXT) | instid1(VALU_DEP_1)
	v_fmaak_f64 v[56:57], v[44:45], v[56:57], 0x3f4b2bb069efb384
	v_fmaak_f64 v[56:57], v[44:45], v[56:57], 0xbf67952daf56de9b
	s_delay_alu instid0(VALU_DEP_1) | instskip(NEXT) | instid1(VALU_DEP_1)
	v_fmaak_f64 v[56:57], v[44:45], v[56:57], 0x3f7d6d43a595c56f
	v_fmaak_f64 v[56:57], v[44:45], v[56:57], 0xbf8c6ea4a57d9582
	;; [unrolled: 3-line block ×9, first 2 shown]
	s_delay_alu instid0(VALU_DEP_1)
	v_mul_f64_e32 v[44:45], v[44:45], v[56:57]
	v_and_b32_e32 v56, 0x54442d18, v1
	v_and_b32_e32 v1, 0x400921fb, v1
	;; [unrolled: 1-line block ×4, first 2 shown]
	v_fmac_f64_e32 v[36:37], v[36:37], v[44:45]
	s_delay_alu instid0(VALU_DEP_1) | instskip(NEXT) | instid1(VALU_DEP_1)
	v_add_f64_e64 v[44:45], -v[36:37], s[26:27]
	v_dual_cndmask_b32 v37, v37, v45, s6 :: v_dual_cndmask_b32 v36, v36, v44, s6
	v_cmp_gt_i32_e64 s6, 0, v41
	s_delay_alu instid0(VALU_DEP_2) | instskip(NEXT) | instid1(VALU_DEP_2)
	v_add_f64_e64 v[44:45], -v[36:37], s[28:29]
	v_dual_cndmask_b32 v38, v38, v42, s6 :: v_dual_cndmask_b32 v34, v39, v43, s6
	v_cndmask_b32_e64 v16, v30, v48, s8
	v_and_b32_e32 v30, 0x54442d18, v47
	v_cndmask_b32_e64 v41, 0x54442d18, v54, s6
	v_cndmask_b32_e64 v8, 0x3fe921fb, v55, s6
	;; [unrolled: 1-line block ×3, first 2 shown]
	v_and_b32_e32 v47, 0x400921fb, v47
	v_cndmask_b32_e64 v30, v32, v30, s12
	v_cndmask_b32_e64 v42, 0x3fe921fb, v55, s8
	v_dual_cndmask_b32 v12, v36, v44, s7 :: v_dual_cndmask_b32 v35, v37, v45, s7
	v_and_b32_e32 v44, 0x400921fb, v46
	v_cndmask_b32_e64 v37, v38, v56, s9
	v_cndmask_b32_e64 v36, 0x3fe921fb, v55, s7
	s_delay_alu instid0(VALU_DEP_4)
	v_dual_cndmask_b32 v12, v12, v57, s10 :: v_dual_cndmask_b32 v32, v35, v40, s10
	v_cndmask_b32_e32 v46, 0x3fe921fb, v55, vcc_lo
	s_and_b32 vcc_lo, s43, s44
	v_dual_cndmask_b32 v16, v16, v58, s11 :: v_dual_cndmask_b32 v31, v31, v44, s11
	v_cndmask_b32_e32 v1, v1, v8, vcc_lo
	v_cndmask_b32_e32 v8, v37, v41, vcc_lo
	s_and_b32 vcc_lo, s41, s42
	s_delay_alu instid0(SALU_CYCLE_1)
	v_dual_cndmask_b32 v33, v33, v47, s12 :: v_dual_cndmask_b32 v32, v32, v36, vcc_lo
	v_cndmask_b32_e32 v34, v12, v52, vcc_lo
	s_and_b32 vcc_lo, s39, s40
	v_cndmask_b32_e64 v12, v8, 0, s4
	v_dual_cndmask_b32 v31, v31, v42, vcc_lo :: v_dual_cndmask_b32 v35, v16, v53, vcc_lo
	s_and_b32 vcc_lo, s45, s46
	v_cndmask_b32_e64 v1, v1, 0x7ff80000, s4
	v_cndmask_b32_e32 v8, v33, v46, vcc_lo
	v_cndmask_b32_e64 v32, v32, 0x7ff80000, s3
	v_cndmask_b32_e32 v30, v30, v4, vcc_lo
	v_cndmask_b32_e64 v31, v31, 0x7ff80000, s2
	v_cndmask_b32_e64 v16, v34, 0, s3
	;; [unrolled: 1-line block ×3, first 2 shown]
	v_bfi_b32 v17, 0x7fffffff, v32, v17
	v_bfi_b32 v13, 0x7fffffff, v1, v13
	v_cndmask_b32_e64 v4, v35, 0, s2
	v_bfi_b32 v5, 0x7fffffff, v31, v5
	v_cndmask_b32_e64 v8, v30, 0, s5
	v_bfi_b32 v9, 0x7fffffff, v33, v9
	s_or_b32 s38, s13, s38
	s_clause 0x3
	global_store_b128 v[28:29], v[14:17], off offset:16
	global_store_b128 v[28:29], v[2:5], off
	global_store_b128 v[28:29], v[10:13], off offset:32
	global_store_b128 v[28:29], v[6:9], off offset:48
	s_wait_xcnt 0x0
	s_and_not1_b32 exec_lo, exec_lo, s38
	s_cbranch_execz .LBB203_28
.LBB203_5:                              ; =>This Inner Loop Header: Depth=1
	v_add_nc_u64_e32 v[28:29], s[36:37], v[20:21]
	global_load_b128 v[2:5], v[28:29], off
	s_wait_loadcnt 0x0
	v_max_num_f64_e64 v[6:7], |v[2:3]|, |v[2:3]|
	v_max_num_f64_e64 v[32:33], |v[4:5]|, |v[4:5]|
	v_cmp_class_f64_e64 s4, v[2:3], 0x204
	v_cmp_class_f64_e64 s39, v[4:5], 0x204
	s_delay_alu instid0(VALU_DEP_3) | instskip(SKIP_1) | instid1(VALU_DEP_1)
	v_max_num_f64_e32 v[6:7], v[6:7], v[32:33]
	s_or_b32 s4, s4, s39
	v_frexp_exp_i32_f64_e32 v1, v[6:7]
	s_delay_alu instid0(VALU_DEP_1) | instskip(NEXT) | instid1(VALU_DEP_1)
	v_sub_nc_u32_e32 v8, 0, v1
	v_ldexp_f64 v[6:7], |v[4:5]|, v8
	s_delay_alu instid0(VALU_DEP_1)
	v_mul_f64_e32 v[34:35], v[6:7], v[6:7]
	v_ldexp_f64 v[30:31], |v[2:3]|, v8
	s_clause 0x2
	global_load_b128 v[14:17], v[28:29], off offset:16
	global_load_b128 v[6:9], v[28:29], off offset:48
	;; [unrolled: 1-line block ×3, first 2 shown]
	v_fmac_f64_e32 v[34:35], v[30:31], v[30:31]
	s_wait_xcnt 0x0
	s_delay_alu instid0(VALU_DEP_1) | instskip(SKIP_1) | instid1(TRANS32_DEP_1)
	v_rsq_f64_e32 v[28:29], v[34:35]
	v_cmp_eq_f64_e32 vcc_lo, 0, v[34:35]
	v_mul_f64_e32 v[30:31], v[34:35], v[28:29]
	v_mul_f64_e32 v[28:29], 0.5, v[28:29]
	s_delay_alu instid0(VALU_DEP_1) | instskip(NEXT) | instid1(VALU_DEP_1)
	v_fma_f64 v[36:37], -v[28:29], v[30:31], 0.5
	v_fmac_f64_e32 v[30:31], v[30:31], v[36:37]
	v_fmac_f64_e32 v[28:29], v[28:29], v[36:37]
	s_delay_alu instid0(VALU_DEP_2) | instskip(NEXT) | instid1(VALU_DEP_1)
	v_fma_f64 v[36:37], -v[30:31], v[30:31], v[34:35]
	v_fmac_f64_e32 v[30:31], v[36:37], v[28:29]
	v_add_f64_e32 v[28:29], 1.0, v[2:3]
	s_delay_alu instid0(VALU_DEP_2) | instskip(SKIP_1) | instid1(VALU_DEP_3)
	v_dual_cndmask_b32 v31, v31, v35 :: v_dual_cndmask_b32 v30, v30, v34
	v_cmp_u_f64_e32 vcc_lo, v[2:3], v[4:5]
	v_cmp_u_f64_e64 s2, v[28:29], v[4:5]
	v_cmp_class_f64_e64 s40, v[28:29], 0x204
	s_delay_alu instid0(VALU_DEP_4) | instskip(SKIP_2) | instid1(VALU_DEP_2)
	v_ldexp_f64 v[34:35], v[30:31], v1
	v_max_num_f64_e64 v[30:31], |v[28:29]|, v[32:33]
	s_or_b32 s4, s4, vcc_lo
	v_cmp_ngt_f64_e64 s3, 0.5, v[34:35]
	s_or_b32 s3, s4, s3
	s_delay_alu instid0(SALU_CYCLE_1) | instskip(NEXT) | instid1(SALU_CYCLE_1)
	s_and_saveexec_b32 s4, s3
	s_xor_b32 s3, exec_lo, s4
	s_cbranch_execz .LBB203_7
; %bb.6:                                ;   in Loop: Header=BB203_5 Depth=1
	v_frexp_exp_i32_f64_e32 v1, v[30:31]
	s_or_b32 s4, s40, s39
	s_delay_alu instid0(VALU_DEP_1) | instskip(NEXT) | instid1(VALU_DEP_1)
	v_sub_nc_u32_e32 v34, 0, v1
	v_ldexp_f64 v[2:3], |v[4:5]|, v34
	s_delay_alu instid0(VALU_DEP_1) | instskip(SKIP_1) | instid1(VALU_DEP_1)
	v_mul_f64_e32 v[2:3], v[2:3], v[2:3]
	v_ldexp_f64 v[34:35], |v[28:29]|, v34
	v_fmac_f64_e32 v[2:3], v[34:35], v[34:35]
	s_delay_alu instid0(VALU_DEP_1) | instskip(SKIP_1) | instid1(TRANS32_DEP_1)
	v_rsq_f64_e32 v[34:35], v[2:3]
	v_cmp_eq_f64_e32 vcc_lo, 0, v[2:3]
	v_mul_f64_e32 v[36:37], v[2:3], v[34:35]
	v_mul_f64_e32 v[34:35], 0.5, v[34:35]
	s_delay_alu instid0(VALU_DEP_1) | instskip(NEXT) | instid1(VALU_DEP_1)
	v_fma_f64 v[38:39], -v[34:35], v[36:37], 0.5
	v_fmac_f64_e32 v[36:37], v[36:37], v[38:39]
	v_fmac_f64_e32 v[34:35], v[34:35], v[38:39]
	s_delay_alu instid0(VALU_DEP_2) | instskip(NEXT) | instid1(VALU_DEP_1)
	v_fma_f64 v[38:39], -v[36:37], v[36:37], v[2:3]
	v_fmac_f64_e32 v[36:37], v[38:39], v[34:35]
	s_delay_alu instid0(VALU_DEP_1) | instskip(NEXT) | instid1(VALU_DEP_1)
	v_dual_cndmask_b32 v3, v37, v3 :: v_dual_cndmask_b32 v2, v36, v2
	v_ldexp_f64 v[2:3], v[2:3], v1
	s_delay_alu instid0(VALU_DEP_1) | instskip(NEXT) | instid1(VALU_DEP_1)
	v_cndmask_b32_e64 v1, v3, 0x7ff80000, s2
	v_cndmask_b32_e64 v35, v1, 0x7ff00000, s4
	s_or_b32 s4, s4, s2
	s_delay_alu instid0(VALU_DEP_3) | instid1(SALU_CYCLE_1)
	v_cndmask_b32_e64 v34, v2, 0, s4
	s_delay_alu instid0(VALU_DEP_1) | instskip(NEXT) | instid1(VALU_DEP_1)
	v_frexp_mant_f64_e32 v[2:3], v[34:35]
	v_cmp_gt_f64_e32 vcc_lo, s[22:23], v[2:3]
	v_cndmask_b32_e64 v1, 0, 1, vcc_lo
	s_delay_alu instid0(VALU_DEP_1) | instskip(SKIP_1) | instid1(VALU_DEP_2)
	v_ldexp_f64 v[2:3], v[2:3], v1
	v_frexp_exp_i32_f64_e32 v1, v[34:35]
	v_add_f64_e32 v[36:37], 1.0, v[2:3]
	v_add_f64_e32 v[42:43], -1.0, v[2:3]
	s_delay_alu instid0(VALU_DEP_3) | instskip(SKIP_1) | instid1(VALU_DEP_4)
	v_subrev_co_ci_u32_e64 v1, null, 0, v1, vcc_lo
	v_cmp_class_f64_e64 vcc_lo, v[34:35], 0x204
	v_rcp_f64_e32 v[38:39], v[36:37]
	v_add_f64_e32 v[44:45], -1.0, v[36:37]
	s_delay_alu instid0(VALU_DEP_1) | instskip(NEXT) | instid1(TRANS32_DEP_1)
	v_add_f64_e64 v[2:3], v[2:3], -v[44:45]
	v_fma_f64 v[40:41], -v[36:37], v[38:39], 1.0
	s_delay_alu instid0(VALU_DEP_1) | instskip(NEXT) | instid1(VALU_DEP_1)
	v_fmac_f64_e32 v[38:39], v[40:41], v[38:39]
	v_fma_f64 v[40:41], -v[36:37], v[38:39], 1.0
	s_delay_alu instid0(VALU_DEP_1) | instskip(NEXT) | instid1(VALU_DEP_1)
	v_fmac_f64_e32 v[38:39], v[40:41], v[38:39]
	v_mul_f64_e32 v[40:41], v[42:43], v[38:39]
	s_delay_alu instid0(VALU_DEP_1) | instskip(NEXT) | instid1(VALU_DEP_1)
	v_mul_f64_e32 v[46:47], v[36:37], v[40:41]
	v_fma_f64 v[36:37], v[40:41], v[36:37], -v[46:47]
	s_delay_alu instid0(VALU_DEP_1) | instskip(NEXT) | instid1(VALU_DEP_1)
	v_fmac_f64_e32 v[36:37], v[40:41], v[2:3]
	v_add_f64_e32 v[2:3], v[46:47], v[36:37]
	s_delay_alu instid0(VALU_DEP_1) | instskip(SKIP_1) | instid1(VALU_DEP_2)
	v_add_f64_e64 v[44:45], v[42:43], -v[2:3]
	v_add_f64_e64 v[46:47], v[2:3], -v[46:47]
	;; [unrolled: 1-line block ×3, first 2 shown]
	s_delay_alu instid0(VALU_DEP_2) | instskip(NEXT) | instid1(VALU_DEP_2)
	v_add_f64_e64 v[36:37], v[46:47], -v[36:37]
	v_add_f64_e64 v[2:3], v[42:43], -v[2:3]
	s_delay_alu instid0(VALU_DEP_1) | instskip(NEXT) | instid1(VALU_DEP_1)
	v_add_f64_e32 v[2:3], v[36:37], v[2:3]
	v_add_f64_e32 v[2:3], v[44:45], v[2:3]
	s_delay_alu instid0(VALU_DEP_1) | instskip(NEXT) | instid1(VALU_DEP_1)
	v_mul_f64_e32 v[2:3], v[38:39], v[2:3]
	v_add_f64_e32 v[36:37], v[40:41], v[2:3]
	s_delay_alu instid0(VALU_DEP_1) | instskip(NEXT) | instid1(VALU_DEP_1)
	v_mul_f64_e32 v[38:39], v[36:37], v[36:37]
	v_fmamk_f64 v[42:43], v[38:39], 0x3fc3ab76bf559e2b, v[22:23]
	v_mul_f64_e32 v[44:45], v[36:37], v[38:39]
	s_delay_alu instid0(VALU_DEP_2) | instskip(NEXT) | instid1(VALU_DEP_1)
	v_fmaak_f64 v[42:43], v[38:39], v[42:43], 0x3fc7474dd7f4df2e
	v_fmaak_f64 v[42:43], v[38:39], v[42:43], 0x3fcc71c016291751
	s_delay_alu instid0(VALU_DEP_1) | instskip(NEXT) | instid1(VALU_DEP_1)
	v_fmaak_f64 v[42:43], v[38:39], v[42:43], 0x3fd249249b27acf1
	v_fmaak_f64 v[42:43], v[38:39], v[42:43], 0x3fd99999998ef7b6
	s_delay_alu instid0(VALU_DEP_1) | instskip(SKIP_2) | instid1(VALU_DEP_3)
	v_fmaak_f64 v[38:39], v[38:39], v[42:43], 0x3fe5555555555780
	v_ldexp_f64 v[42:43], v[36:37], 1
	v_add_f64_e64 v[36:37], v[36:37], -v[40:41]
	v_mul_f64_e32 v[38:39], v[44:45], v[38:39]
	v_cvt_f64_i32_e32 v[44:45], v1
	s_delay_alu instid0(VALU_DEP_3) | instskip(NEXT) | instid1(VALU_DEP_3)
	v_add_f64_e64 v[2:3], v[2:3], -v[36:37]
	v_add_f64_e32 v[40:41], v[42:43], v[38:39]
	s_delay_alu instid0(VALU_DEP_3) | instskip(NEXT) | instid1(VALU_DEP_3)
	v_mul_f64_e32 v[46:47], 0x3fe62e42fefa39ef, v[44:45]
	v_ldexp_f64 v[2:3], v[2:3], 1
	s_delay_alu instid0(VALU_DEP_3) | instskip(NEXT) | instid1(VALU_DEP_3)
	v_add_f64_e64 v[36:37], v[40:41], -v[42:43]
	v_fma_f64 v[42:43], v[44:45], s[24:25], -v[46:47]
	s_delay_alu instid0(VALU_DEP_2) | instskip(NEXT) | instid1(VALU_DEP_2)
	v_add_f64_e64 v[36:37], v[38:39], -v[36:37]
	v_fmac_f64_e32 v[42:43], 0x3c7abc9e3b39803f, v[44:45]
	s_delay_alu instid0(VALU_DEP_2) | instskip(NEXT) | instid1(VALU_DEP_2)
	v_add_f64_e32 v[2:3], v[2:3], v[36:37]
	v_add_f64_e32 v[36:37], v[46:47], v[42:43]
	s_delay_alu instid0(VALU_DEP_2) | instskip(NEXT) | instid1(VALU_DEP_2)
	v_add_f64_e32 v[38:39], v[40:41], v[2:3]
	v_add_f64_e64 v[46:47], v[36:37], -v[46:47]
	s_delay_alu instid0(VALU_DEP_2) | instskip(SKIP_1) | instid1(VALU_DEP_3)
	v_add_f64_e32 v[44:45], v[36:37], v[38:39]
	v_add_f64_e64 v[40:41], v[38:39], -v[40:41]
	v_add_f64_e64 v[42:43], v[42:43], -v[46:47]
	s_delay_alu instid0(VALU_DEP_3) | instskip(NEXT) | instid1(VALU_DEP_3)
	v_add_f64_e64 v[48:49], v[44:45], -v[36:37]
	v_add_f64_e64 v[2:3], v[2:3], -v[40:41]
	s_delay_alu instid0(VALU_DEP_2) | instskip(SKIP_1) | instid1(VALU_DEP_3)
	v_add_f64_e64 v[50:51], v[44:45], -v[48:49]
	v_add_f64_e64 v[38:39], v[38:39], -v[48:49]
	v_add_f64_e32 v[40:41], v[42:43], v[2:3]
	s_delay_alu instid0(VALU_DEP_3) | instskip(NEXT) | instid1(VALU_DEP_1)
	v_add_f64_e64 v[36:37], v[36:37], -v[50:51]
	v_add_f64_e32 v[36:37], v[38:39], v[36:37]
	s_delay_alu instid0(VALU_DEP_3) | instskip(NEXT) | instid1(VALU_DEP_2)
	v_add_f64_e64 v[38:39], v[40:41], -v[42:43]
	v_add_f64_e32 v[36:37], v[40:41], v[36:37]
	s_delay_alu instid0(VALU_DEP_2) | instskip(SKIP_1) | instid1(VALU_DEP_3)
	v_add_f64_e64 v[40:41], v[40:41], -v[38:39]
	v_add_f64_e64 v[2:3], v[2:3], -v[38:39]
	v_add_f64_e32 v[46:47], v[44:45], v[36:37]
	s_delay_alu instid0(VALU_DEP_3) | instskip(NEXT) | instid1(VALU_DEP_2)
	v_add_f64_e64 v[38:39], v[42:43], -v[40:41]
	v_add_f64_e64 v[40:41], v[46:47], -v[44:45]
	s_delay_alu instid0(VALU_DEP_2) | instskip(NEXT) | instid1(VALU_DEP_2)
	v_add_f64_e32 v[2:3], v[2:3], v[38:39]
	v_add_f64_e64 v[36:37], v[36:37], -v[40:41]
	s_delay_alu instid0(VALU_DEP_1) | instskip(NEXT) | instid1(VALU_DEP_1)
	v_add_f64_e32 v[2:3], v[2:3], v[36:37]
	v_add_f64_e32 v[2:3], v[46:47], v[2:3]
	s_delay_alu instid0(VALU_DEP_1) | instskip(SKIP_1) | instid1(VALU_DEP_2)
	v_dual_cndmask_b32 v1, v2, v34 :: v_dual_cndmask_b32 v2, v3, v35
	v_cmp_ngt_f64_e32 vcc_lo, 0, v[34:35]
	v_cndmask_b32_e32 v3, 0x7ff80000, v2, vcc_lo
	v_cmp_nge_f64_e32 vcc_lo, 0, v[34:35]
	s_delay_alu instid0(VALU_DEP_4) | instskip(SKIP_1) | instid1(VALU_DEP_4)
	v_cndmask_b32_e32 v2, 0, v1, vcc_lo
	v_cmp_neq_f64_e32 vcc_lo, 0, v[34:35]
	v_cndmask_b32_e32 v3, 0xfff00000, v3, vcc_lo
.LBB203_7:                              ;   in Loop: Header=BB203_5 Depth=1
	s_and_not1_saveexec_b32 s5, s3
	s_cbranch_execz .LBB203_11
; %bb.8:                                ;   in Loop: Header=BB203_5 Depth=1
	s_delay_alu instid0(VALU_DEP_1) | instskip(SKIP_2) | instid1(VALU_DEP_1)
	v_add_f64_e32 v[36:37], 2.0, v[2:3]
	v_mul_f64_e32 v[34:35], v[4:5], v[4:5]
	s_mov_b32 s6, exec_lo
	v_fmac_f64_e32 v[34:35], v[2:3], v[36:37]
	s_delay_alu instid0(VALU_DEP_1)
	v_cmpx_neq_f64_e32 0, v[34:35]
	s_cbranch_execz .LBB203_10
; %bb.9:                                ;   in Loop: Header=BB203_5 Depth=1
	v_add_f64_e32 v[2:3], 1.0, v[34:35]
	v_cmp_neq_f64_e64 s3, 0x7ff00000, v[34:35]
	v_cmp_ngt_f64_e64 s4, -1.0, v[34:35]
	s_delay_alu instid0(VALU_DEP_3) | instskip(SKIP_1) | instid1(VALU_DEP_2)
	v_frexp_mant_f64_e32 v[36:37], v[2:3]
	v_frexp_exp_i32_f64_e32 v1, v[2:3]
	v_cmp_gt_f64_e32 vcc_lo, s[22:23], v[36:37]
	s_delay_alu instid0(VALU_DEP_2) | instskip(SKIP_1) | instid1(VALU_DEP_2)
	v_subrev_co_ci_u32_e64 v1, null, 0, v1, vcc_lo
	v_cmp_nge_f64_e32 vcc_lo, -1.0, v[34:35]
	v_dual_add_f64 v[38:39], -1.0, v[2:3] :: v_dual_sub_nc_u32 v42, 0, v1
	s_and_b32 vcc_lo, vcc_lo, s3
	s_delay_alu instid0(VALU_DEP_1) | instskip(NEXT) | instid1(VALU_DEP_2)
	v_add_f64_e64 v[36:37], v[38:39], -v[2:3]
	v_ldexp_f64 v[2:3], v[2:3], v42
	v_add_f64_e64 v[38:39], v[34:35], -v[38:39]
	s_delay_alu instid0(VALU_DEP_3) | instskip(NEXT) | instid1(VALU_DEP_3)
	v_add_f64_e32 v[36:37], 1.0, v[36:37]
	v_add_f64_e32 v[40:41], 1.0, v[2:3]
	v_add_f64_e32 v[46:47], -1.0, v[2:3]
	s_delay_alu instid0(VALU_DEP_3) | instskip(NEXT) | instid1(VALU_DEP_3)
	v_add_f64_e32 v[36:37], v[38:39], v[36:37]
	v_add_f64_e32 v[38:39], -1.0, v[40:41]
	s_delay_alu instid0(VALU_DEP_3) | instskip(NEXT) | instid1(VALU_DEP_3)
	v_add_f64_e32 v[48:49], 1.0, v[46:47]
	v_ldexp_f64 v[36:37], v[36:37], v42
	s_delay_alu instid0(VALU_DEP_3) | instskip(NEXT) | instid1(VALU_DEP_3)
	v_add_f64_e64 v[38:39], v[2:3], -v[38:39]
	v_add_f64_e64 v[2:3], v[2:3], -v[48:49]
	s_delay_alu instid0(VALU_DEP_2) | instskip(NEXT) | instid1(VALU_DEP_2)
	v_add_f64_e32 v[38:39], v[36:37], v[38:39]
	v_add_f64_e32 v[2:3], v[36:37], v[2:3]
	s_delay_alu instid0(VALU_DEP_2) | instskip(NEXT) | instid1(VALU_DEP_2)
	v_add_f64_e32 v[42:43], v[40:41], v[38:39]
	v_add_f64_e32 v[48:49], v[46:47], v[2:3]
	s_delay_alu instid0(VALU_DEP_2) | instskip(SKIP_1) | instid1(VALU_DEP_2)
	v_rcp_f64_e32 v[44:45], v[42:43]
	v_add_f64_e64 v[40:41], v[42:43], -v[40:41]
	v_add_f64_e64 v[46:47], v[48:49], -v[46:47]
	s_delay_alu instid0(VALU_DEP_2) | instskip(NEXT) | instid1(VALU_DEP_2)
	v_add_f64_e64 v[38:39], v[38:39], -v[40:41]
	v_add_f64_e64 v[2:3], v[2:3], -v[46:47]
	s_delay_alu instid0(TRANS32_DEP_1) | instskip(NEXT) | instid1(VALU_DEP_1)
	v_fma_f64 v[50:51], -v[42:43], v[44:45], 1.0
	v_fmac_f64_e32 v[44:45], v[50:51], v[44:45]
	s_delay_alu instid0(VALU_DEP_1) | instskip(NEXT) | instid1(VALU_DEP_1)
	v_fma_f64 v[36:37], -v[42:43], v[44:45], 1.0
	v_fmac_f64_e32 v[44:45], v[36:37], v[44:45]
	s_delay_alu instid0(VALU_DEP_1) | instskip(NEXT) | instid1(VALU_DEP_1)
	v_mul_f64_e32 v[36:37], v[48:49], v[44:45]
	v_mul_f64_e32 v[50:51], v[42:43], v[36:37]
	s_delay_alu instid0(VALU_DEP_1) | instskip(NEXT) | instid1(VALU_DEP_1)
	v_fma_f64 v[40:41], v[36:37], v[42:43], -v[50:51]
	v_fmac_f64_e32 v[40:41], v[36:37], v[38:39]
	s_delay_alu instid0(VALU_DEP_1) | instskip(NEXT) | instid1(VALU_DEP_1)
	v_add_f64_e32 v[52:53], v[50:51], v[40:41]
	v_add_f64_e64 v[56:57], v[48:49], -v[52:53]
	v_add_f64_e64 v[46:47], v[52:53], -v[50:51]
	s_delay_alu instid0(VALU_DEP_2) | instskip(NEXT) | instid1(VALU_DEP_2)
	v_add_f64_e64 v[48:49], v[48:49], -v[56:57]
	v_add_f64_e64 v[40:41], v[46:47], -v[40:41]
	s_delay_alu instid0(VALU_DEP_2) | instskip(NEXT) | instid1(VALU_DEP_1)
	v_add_f64_e64 v[48:49], v[48:49], -v[52:53]
	v_add_f64_e32 v[2:3], v[2:3], v[48:49]
	s_delay_alu instid0(VALU_DEP_1) | instskip(NEXT) | instid1(VALU_DEP_1)
	v_add_f64_e32 v[2:3], v[40:41], v[2:3]
	v_add_f64_e32 v[40:41], v[56:57], v[2:3]
	s_delay_alu instid0(VALU_DEP_1) | instskip(SKIP_1) | instid1(VALU_DEP_2)
	v_mul_f64_e32 v[46:47], v[44:45], v[40:41]
	v_add_f64_e64 v[52:53], v[56:57], -v[40:41]
	v_mul_f64_e32 v[48:49], v[42:43], v[46:47]
	s_delay_alu instid0(VALU_DEP_2) | instskip(NEXT) | instid1(VALU_DEP_2)
	v_add_f64_e32 v[2:3], v[2:3], v[52:53]
	v_fma_f64 v[42:43], v[46:47], v[42:43], -v[48:49]
	s_delay_alu instid0(VALU_DEP_1) | instskip(NEXT) | instid1(VALU_DEP_1)
	v_fmac_f64_e32 v[42:43], v[46:47], v[38:39]
	v_add_f64_e32 v[38:39], v[48:49], v[42:43]
	s_delay_alu instid0(VALU_DEP_1) | instskip(SKIP_1) | instid1(VALU_DEP_2)
	v_add_f64_e64 v[50:51], v[40:41], -v[38:39]
	v_add_f64_e64 v[48:49], v[38:39], -v[48:49]
	;; [unrolled: 1-line block ×3, first 2 shown]
	s_delay_alu instid0(VALU_DEP_1) | instskip(NEXT) | instid1(VALU_DEP_3)
	v_add_f64_e64 v[38:39], v[40:41], -v[38:39]
	v_add_f64_e64 v[40:41], v[48:49], -v[42:43]
	s_delay_alu instid0(VALU_DEP_2) | instskip(SKIP_1) | instid1(VALU_DEP_2)
	v_add_f64_e32 v[2:3], v[2:3], v[38:39]
	v_add_f64_e32 v[38:39], v[36:37], v[46:47]
	;; [unrolled: 1-line block ×3, first 2 shown]
	s_delay_alu instid0(VALU_DEP_2) | instskip(NEXT) | instid1(VALU_DEP_2)
	v_add_f64_e64 v[36:37], v[38:39], -v[36:37]
	v_add_f64_e32 v[2:3], v[50:51], v[2:3]
	s_delay_alu instid0(VALU_DEP_2) | instskip(NEXT) | instid1(VALU_DEP_2)
	v_add_f64_e64 v[36:37], v[46:47], -v[36:37]
	v_mul_f64_e32 v[2:3], v[44:45], v[2:3]
	s_delay_alu instid0(VALU_DEP_1) | instskip(NEXT) | instid1(VALU_DEP_1)
	v_add_f64_e32 v[2:3], v[36:37], v[2:3]
	v_add_f64_e32 v[36:37], v[38:39], v[2:3]
	s_delay_alu instid0(VALU_DEP_1) | instskip(NEXT) | instid1(VALU_DEP_1)
	v_mul_f64_e32 v[40:41], v[36:37], v[36:37]
	v_fmamk_f64 v[42:43], v[40:41], 0x3fc3ab76bf559e2b, v[22:23]
	v_mul_f64_e32 v[44:45], v[36:37], v[40:41]
	s_delay_alu instid0(VALU_DEP_2) | instskip(NEXT) | instid1(VALU_DEP_1)
	v_fmaak_f64 v[42:43], v[40:41], v[42:43], 0x3fc7474dd7f4df2e
	v_fmaak_f64 v[42:43], v[40:41], v[42:43], 0x3fcc71c016291751
	s_delay_alu instid0(VALU_DEP_1) | instskip(NEXT) | instid1(VALU_DEP_1)
	v_fmaak_f64 v[42:43], v[40:41], v[42:43], 0x3fd249249b27acf1
	v_fmaak_f64 v[42:43], v[40:41], v[42:43], 0x3fd99999998ef7b6
	s_delay_alu instid0(VALU_DEP_1) | instskip(SKIP_2) | instid1(VALU_DEP_3)
	v_fmaak_f64 v[40:41], v[40:41], v[42:43], 0x3fe5555555555780
	v_ldexp_f64 v[42:43], v[36:37], 1
	v_add_f64_e64 v[36:37], v[36:37], -v[38:39]
	v_mul_f64_e32 v[40:41], v[44:45], v[40:41]
	v_cvt_f64_i32_e32 v[44:45], v1
	s_delay_alu instid0(VALU_DEP_3) | instskip(NEXT) | instid1(VALU_DEP_3)
	v_add_f64_e64 v[2:3], v[2:3], -v[36:37]
	v_add_f64_e32 v[38:39], v[42:43], v[40:41]
	s_delay_alu instid0(VALU_DEP_3) | instskip(NEXT) | instid1(VALU_DEP_3)
	v_mul_f64_e32 v[46:47], 0x3fe62e42fefa39ef, v[44:45]
	v_ldexp_f64 v[2:3], v[2:3], 1
	s_delay_alu instid0(VALU_DEP_3) | instskip(NEXT) | instid1(VALU_DEP_3)
	v_add_f64_e64 v[36:37], v[38:39], -v[42:43]
	v_fma_f64 v[42:43], v[44:45], s[24:25], -v[46:47]
	s_delay_alu instid0(VALU_DEP_2) | instskip(NEXT) | instid1(VALU_DEP_2)
	v_add_f64_e64 v[36:37], v[40:41], -v[36:37]
	v_fmac_f64_e32 v[42:43], 0x3c7abc9e3b39803f, v[44:45]
	s_delay_alu instid0(VALU_DEP_2) | instskip(NEXT) | instid1(VALU_DEP_2)
	v_add_f64_e32 v[2:3], v[2:3], v[36:37]
	v_add_f64_e32 v[36:37], v[46:47], v[42:43]
	s_delay_alu instid0(VALU_DEP_2) | instskip(NEXT) | instid1(VALU_DEP_2)
	v_add_f64_e32 v[40:41], v[38:39], v[2:3]
	v_add_f64_e64 v[46:47], v[36:37], -v[46:47]
	s_delay_alu instid0(VALU_DEP_2) | instskip(SKIP_1) | instid1(VALU_DEP_3)
	v_add_f64_e32 v[44:45], v[36:37], v[40:41]
	v_add_f64_e64 v[38:39], v[40:41], -v[38:39]
	v_add_f64_e64 v[42:43], v[42:43], -v[46:47]
	s_delay_alu instid0(VALU_DEP_3) | instskip(NEXT) | instid1(VALU_DEP_3)
	v_add_f64_e64 v[48:49], v[44:45], -v[36:37]
	v_add_f64_e64 v[2:3], v[2:3], -v[38:39]
	s_delay_alu instid0(VALU_DEP_2) | instskip(SKIP_1) | instid1(VALU_DEP_3)
	v_add_f64_e64 v[50:51], v[44:45], -v[48:49]
	v_add_f64_e64 v[38:39], v[40:41], -v[48:49]
	v_add_f64_e32 v[40:41], v[42:43], v[2:3]
	s_delay_alu instid0(VALU_DEP_3) | instskip(NEXT) | instid1(VALU_DEP_1)
	v_add_f64_e64 v[36:37], v[36:37], -v[50:51]
	v_add_f64_e32 v[36:37], v[38:39], v[36:37]
	s_delay_alu instid0(VALU_DEP_3) | instskip(NEXT) | instid1(VALU_DEP_2)
	v_add_f64_e64 v[38:39], v[40:41], -v[42:43]
	v_add_f64_e32 v[36:37], v[40:41], v[36:37]
	s_delay_alu instid0(VALU_DEP_2) | instskip(SKIP_1) | instid1(VALU_DEP_3)
	v_add_f64_e64 v[40:41], v[40:41], -v[38:39]
	v_add_f64_e64 v[2:3], v[2:3], -v[38:39]
	v_add_f64_e32 v[46:47], v[44:45], v[36:37]
	s_delay_alu instid0(VALU_DEP_3) | instskip(NEXT) | instid1(VALU_DEP_2)
	v_add_f64_e64 v[40:41], v[42:43], -v[40:41]
	v_add_f64_e64 v[38:39], v[46:47], -v[44:45]
	s_delay_alu instid0(VALU_DEP_2) | instskip(NEXT) | instid1(VALU_DEP_2)
	v_add_f64_e32 v[2:3], v[2:3], v[40:41]
	v_add_f64_e64 v[36:37], v[36:37], -v[38:39]
	s_delay_alu instid0(VALU_DEP_1) | instskip(NEXT) | instid1(VALU_DEP_1)
	v_add_f64_e32 v[2:3], v[2:3], v[36:37]
	v_add_f64_e32 v[2:3], v[46:47], v[2:3]
	s_delay_alu instid0(VALU_DEP_1) | instskip(NEXT) | instid1(VALU_DEP_1)
	v_mul_f64_e32 v[2:3], 0.5, v[2:3]
	v_cndmask_b32_e32 v2, 0, v2, vcc_lo
	v_cmp_neq_f64_e32 vcc_lo, -1.0, v[34:35]
	s_delay_alu instid0(VALU_DEP_3) | instskip(NEXT) | instid1(VALU_DEP_1)
	v_cndmask_b32_e64 v1, 0x7ff00000, v3, s3
	v_cndmask_b32_e64 v1, 0x7ff80000, v1, s4
	s_delay_alu instid0(VALU_DEP_1)
	v_cndmask_b32_e32 v3, 0xfff00000, v1, vcc_lo
.LBB203_10:                             ;   in Loop: Header=BB203_5 Depth=1
	s_or_b32 exec_lo, exec_lo, s6
.LBB203_11:                             ;   in Loop: Header=BB203_5 Depth=1
	s_delay_alu instid0(SALU_CYCLE_1)
	s_or_b32 exec_lo, exec_lo, s5
	s_wait_loadcnt 0x2
	v_max_num_f64_e64 v[34:35], |v[14:15]|, |v[14:15]|
	v_max_num_f64_e64 v[38:39], |v[16:17]|, |v[16:17]|
	v_cmp_class_f64_e64 s5, v[14:15], 0x204
	v_cmp_class_f64_e64 s41, v[16:17], 0x204
	s_delay_alu instid0(VALU_DEP_3) | instskip(SKIP_1) | instid1(VALU_DEP_1)
	v_max_num_f64_e32 v[34:35], v[34:35], v[38:39]
	s_or_b32 s5, s5, s41
	v_frexp_exp_i32_f64_e32 v1, v[34:35]
	s_delay_alu instid0(VALU_DEP_1) | instskip(NEXT) | instid1(VALU_DEP_1)
	v_sub_nc_u32_e32 v36, 0, v1
	v_ldexp_f64 v[34:35], |v[16:17]|, v36
	v_ldexp_f64 v[36:37], |v[14:15]|, v36
	s_delay_alu instid0(VALU_DEP_2) | instskip(NEXT) | instid1(VALU_DEP_1)
	v_mul_f64_e32 v[34:35], v[34:35], v[34:35]
	v_fmac_f64_e32 v[34:35], v[36:37], v[36:37]
	s_delay_alu instid0(VALU_DEP_1) | instskip(SKIP_1) | instid1(TRANS32_DEP_1)
	v_rsq_f64_e32 v[36:37], v[34:35]
	v_cmp_eq_f64_e32 vcc_lo, 0, v[34:35]
	v_mul_f64_e32 v[40:41], v[34:35], v[36:37]
	v_mul_f64_e32 v[36:37], 0.5, v[36:37]
	s_delay_alu instid0(VALU_DEP_1) | instskip(NEXT) | instid1(VALU_DEP_1)
	v_fma_f64 v[42:43], -v[36:37], v[40:41], 0.5
	v_fmac_f64_e32 v[40:41], v[40:41], v[42:43]
	v_fmac_f64_e32 v[36:37], v[36:37], v[42:43]
	s_delay_alu instid0(VALU_DEP_2) | instskip(NEXT) | instid1(VALU_DEP_1)
	v_fma_f64 v[42:43], -v[40:41], v[40:41], v[34:35]
	v_fmac_f64_e32 v[40:41], v[42:43], v[36:37]
	s_delay_alu instid0(VALU_DEP_1) | instskip(SKIP_2) | instid1(VALU_DEP_3)
	v_dual_cndmask_b32 v37, v41, v35 :: v_dual_cndmask_b32 v36, v40, v34
	v_add_f64_e32 v[34:35], 1.0, v[14:15]
	v_cmp_u_f64_e32 vcc_lo, v[14:15], v[16:17]
	v_ldexp_f64 v[40:41], v[36:37], v1
	s_delay_alu instid0(VALU_DEP_3)
	v_max_num_f64_e64 v[36:37], |v[34:35]|, v[38:39]
	v_cmp_u_f64_e64 s3, v[34:35], v[16:17]
	v_cmp_class_f64_e64 s42, v[34:35], 0x204
	s_or_b32 s5, s5, vcc_lo
	v_cmp_ngt_f64_e64 s4, 0.5, v[40:41]
	s_or_b32 s4, s5, s4
	s_delay_alu instid0(SALU_CYCLE_1) | instskip(NEXT) | instid1(SALU_CYCLE_1)
	s_and_saveexec_b32 s5, s4
	s_xor_b32 s4, exec_lo, s5
	s_cbranch_execz .LBB203_13
; %bb.12:                               ;   in Loop: Header=BB203_5 Depth=1
	v_frexp_exp_i32_f64_e32 v1, v[36:37]
	s_or_b32 s5, s42, s41
	s_delay_alu instid0(VALU_DEP_1) | instskip(NEXT) | instid1(VALU_DEP_1)
	v_sub_nc_u32_e32 v40, 0, v1
	v_ldexp_f64 v[14:15], |v[16:17]|, v40
	s_delay_alu instid0(VALU_DEP_1) | instskip(SKIP_1) | instid1(VALU_DEP_1)
	v_mul_f64_e32 v[14:15], v[14:15], v[14:15]
	v_ldexp_f64 v[40:41], |v[34:35]|, v40
	v_fmac_f64_e32 v[14:15], v[40:41], v[40:41]
	s_delay_alu instid0(VALU_DEP_1) | instskip(SKIP_1) | instid1(TRANS32_DEP_1)
	v_rsq_f64_e32 v[40:41], v[14:15]
	v_cmp_eq_f64_e32 vcc_lo, 0, v[14:15]
	v_mul_f64_e32 v[42:43], v[14:15], v[40:41]
	v_mul_f64_e32 v[40:41], 0.5, v[40:41]
	s_delay_alu instid0(VALU_DEP_1) | instskip(NEXT) | instid1(VALU_DEP_1)
	v_fma_f64 v[44:45], -v[40:41], v[42:43], 0.5
	v_fmac_f64_e32 v[42:43], v[42:43], v[44:45]
	v_fmac_f64_e32 v[40:41], v[40:41], v[44:45]
	s_delay_alu instid0(VALU_DEP_2) | instskip(NEXT) | instid1(VALU_DEP_1)
	v_fma_f64 v[44:45], -v[42:43], v[42:43], v[14:15]
	v_fmac_f64_e32 v[42:43], v[44:45], v[40:41]
	s_delay_alu instid0(VALU_DEP_1) | instskip(NEXT) | instid1(VALU_DEP_1)
	v_dual_cndmask_b32 v15, v43, v15 :: v_dual_cndmask_b32 v14, v42, v14
	v_ldexp_f64 v[14:15], v[14:15], v1
	s_delay_alu instid0(VALU_DEP_1) | instskip(NEXT) | instid1(VALU_DEP_1)
	v_cndmask_b32_e64 v1, v15, 0x7ff80000, s3
	v_cndmask_b32_e64 v41, v1, 0x7ff00000, s5
	s_or_b32 s5, s5, s3
	s_delay_alu instid0(VALU_DEP_3) | instid1(SALU_CYCLE_1)
	v_cndmask_b32_e64 v40, v14, 0, s5
	s_delay_alu instid0(VALU_DEP_1) | instskip(NEXT) | instid1(VALU_DEP_1)
	v_frexp_mant_f64_e32 v[14:15], v[40:41]
	v_cmp_gt_f64_e32 vcc_lo, s[22:23], v[14:15]
	v_cndmask_b32_e64 v1, 0, 1, vcc_lo
	s_delay_alu instid0(VALU_DEP_1) | instskip(SKIP_1) | instid1(VALU_DEP_1)
	v_ldexp_f64 v[14:15], v[14:15], v1
	v_frexp_exp_i32_f64_e32 v1, v[40:41]
	v_subrev_co_ci_u32_e64 v1, null, 0, v1, vcc_lo
	v_cmp_class_f64_e64 vcc_lo, v[40:41], 0x204
	s_delay_alu instid0(VALU_DEP_4) | instskip(SKIP_1) | instid1(VALU_DEP_2)
	v_add_f64_e32 v[42:43], 1.0, v[14:15]
	v_add_f64_e32 v[48:49], -1.0, v[14:15]
	v_rcp_f64_e32 v[44:45], v[42:43]
	v_add_f64_e32 v[50:51], -1.0, v[42:43]
	s_delay_alu instid0(VALU_DEP_1) | instskip(NEXT) | instid1(TRANS32_DEP_1)
	v_add_f64_e64 v[14:15], v[14:15], -v[50:51]
	v_fma_f64 v[46:47], -v[42:43], v[44:45], 1.0
	s_delay_alu instid0(VALU_DEP_1) | instskip(NEXT) | instid1(VALU_DEP_1)
	v_fmac_f64_e32 v[44:45], v[46:47], v[44:45]
	v_fma_f64 v[46:47], -v[42:43], v[44:45], 1.0
	s_delay_alu instid0(VALU_DEP_1) | instskip(NEXT) | instid1(VALU_DEP_1)
	v_fmac_f64_e32 v[44:45], v[46:47], v[44:45]
	v_mul_f64_e32 v[46:47], v[48:49], v[44:45]
	s_delay_alu instid0(VALU_DEP_1) | instskip(NEXT) | instid1(VALU_DEP_1)
	v_mul_f64_e32 v[52:53], v[42:43], v[46:47]
	v_fma_f64 v[42:43], v[46:47], v[42:43], -v[52:53]
	s_delay_alu instid0(VALU_DEP_1) | instskip(NEXT) | instid1(VALU_DEP_1)
	v_fmac_f64_e32 v[42:43], v[46:47], v[14:15]
	v_add_f64_e32 v[14:15], v[52:53], v[42:43]
	s_delay_alu instid0(VALU_DEP_1) | instskip(SKIP_1) | instid1(VALU_DEP_2)
	v_add_f64_e64 v[50:51], v[48:49], -v[14:15]
	v_add_f64_e64 v[52:53], v[14:15], -v[52:53]
	;; [unrolled: 1-line block ×3, first 2 shown]
	s_delay_alu instid0(VALU_DEP_2) | instskip(NEXT) | instid1(VALU_DEP_2)
	v_add_f64_e64 v[42:43], v[52:53], -v[42:43]
	v_add_f64_e64 v[14:15], v[48:49], -v[14:15]
	s_delay_alu instid0(VALU_DEP_1) | instskip(NEXT) | instid1(VALU_DEP_1)
	v_add_f64_e32 v[14:15], v[42:43], v[14:15]
	v_add_f64_e32 v[14:15], v[50:51], v[14:15]
	s_delay_alu instid0(VALU_DEP_1) | instskip(NEXT) | instid1(VALU_DEP_1)
	v_mul_f64_e32 v[14:15], v[44:45], v[14:15]
	v_add_f64_e32 v[42:43], v[46:47], v[14:15]
	s_delay_alu instid0(VALU_DEP_1) | instskip(NEXT) | instid1(VALU_DEP_1)
	v_mul_f64_e32 v[44:45], v[42:43], v[42:43]
	v_fmamk_f64 v[48:49], v[44:45], 0x3fc3ab76bf559e2b, v[22:23]
	v_mul_f64_e32 v[50:51], v[42:43], v[44:45]
	s_delay_alu instid0(VALU_DEP_2) | instskip(NEXT) | instid1(VALU_DEP_1)
	v_fmaak_f64 v[48:49], v[44:45], v[48:49], 0x3fc7474dd7f4df2e
	v_fmaak_f64 v[48:49], v[44:45], v[48:49], 0x3fcc71c016291751
	s_delay_alu instid0(VALU_DEP_1) | instskip(NEXT) | instid1(VALU_DEP_1)
	v_fmaak_f64 v[48:49], v[44:45], v[48:49], 0x3fd249249b27acf1
	v_fmaak_f64 v[48:49], v[44:45], v[48:49], 0x3fd99999998ef7b6
	s_delay_alu instid0(VALU_DEP_1) | instskip(SKIP_2) | instid1(VALU_DEP_3)
	v_fmaak_f64 v[44:45], v[44:45], v[48:49], 0x3fe5555555555780
	v_ldexp_f64 v[48:49], v[42:43], 1
	v_add_f64_e64 v[42:43], v[42:43], -v[46:47]
	v_mul_f64_e32 v[44:45], v[50:51], v[44:45]
	v_cvt_f64_i32_e32 v[50:51], v1
	s_delay_alu instid0(VALU_DEP_3) | instskip(NEXT) | instid1(VALU_DEP_3)
	v_add_f64_e64 v[14:15], v[14:15], -v[42:43]
	v_add_f64_e32 v[46:47], v[48:49], v[44:45]
	s_delay_alu instid0(VALU_DEP_3) | instskip(NEXT) | instid1(VALU_DEP_3)
	v_mul_f64_e32 v[52:53], 0x3fe62e42fefa39ef, v[50:51]
	v_ldexp_f64 v[14:15], v[14:15], 1
	s_delay_alu instid0(VALU_DEP_3) | instskip(NEXT) | instid1(VALU_DEP_3)
	v_add_f64_e64 v[42:43], v[46:47], -v[48:49]
	v_fma_f64 v[48:49], v[50:51], s[24:25], -v[52:53]
	s_delay_alu instid0(VALU_DEP_2) | instskip(NEXT) | instid1(VALU_DEP_2)
	v_add_f64_e64 v[42:43], v[44:45], -v[42:43]
	v_fmac_f64_e32 v[48:49], 0x3c7abc9e3b39803f, v[50:51]
	s_delay_alu instid0(VALU_DEP_2) | instskip(NEXT) | instid1(VALU_DEP_2)
	v_add_f64_e32 v[14:15], v[14:15], v[42:43]
	v_add_f64_e32 v[42:43], v[52:53], v[48:49]
	s_delay_alu instid0(VALU_DEP_2) | instskip(NEXT) | instid1(VALU_DEP_2)
	v_add_f64_e32 v[44:45], v[46:47], v[14:15]
	v_add_f64_e64 v[52:53], v[42:43], -v[52:53]
	s_delay_alu instid0(VALU_DEP_2) | instskip(SKIP_1) | instid1(VALU_DEP_3)
	v_add_f64_e32 v[50:51], v[42:43], v[44:45]
	v_add_f64_e64 v[46:47], v[44:45], -v[46:47]
	v_add_f64_e64 v[48:49], v[48:49], -v[52:53]
	s_delay_alu instid0(VALU_DEP_3) | instskip(NEXT) | instid1(VALU_DEP_3)
	v_add_f64_e64 v[56:57], v[50:51], -v[42:43]
	v_add_f64_e64 v[14:15], v[14:15], -v[46:47]
	s_delay_alu instid0(VALU_DEP_2) | instskip(SKIP_1) | instid1(VALU_DEP_3)
	v_add_f64_e64 v[58:59], v[50:51], -v[56:57]
	v_add_f64_e64 v[44:45], v[44:45], -v[56:57]
	v_add_f64_e32 v[46:47], v[48:49], v[14:15]
	s_delay_alu instid0(VALU_DEP_3) | instskip(NEXT) | instid1(VALU_DEP_1)
	v_add_f64_e64 v[42:43], v[42:43], -v[58:59]
	v_add_f64_e32 v[42:43], v[44:45], v[42:43]
	s_delay_alu instid0(VALU_DEP_3) | instskip(NEXT) | instid1(VALU_DEP_2)
	v_add_f64_e64 v[44:45], v[46:47], -v[48:49]
	v_add_f64_e32 v[42:43], v[46:47], v[42:43]
	s_delay_alu instid0(VALU_DEP_2) | instskip(SKIP_1) | instid1(VALU_DEP_3)
	v_add_f64_e64 v[46:47], v[46:47], -v[44:45]
	v_add_f64_e64 v[14:15], v[14:15], -v[44:45]
	v_add_f64_e32 v[52:53], v[50:51], v[42:43]
	s_delay_alu instid0(VALU_DEP_3) | instskip(NEXT) | instid1(VALU_DEP_2)
	v_add_f64_e64 v[44:45], v[48:49], -v[46:47]
	v_add_f64_e64 v[46:47], v[52:53], -v[50:51]
	s_delay_alu instid0(VALU_DEP_2) | instskip(NEXT) | instid1(VALU_DEP_2)
	v_add_f64_e32 v[14:15], v[14:15], v[44:45]
	v_add_f64_e64 v[42:43], v[42:43], -v[46:47]
	s_delay_alu instid0(VALU_DEP_1) | instskip(NEXT) | instid1(VALU_DEP_1)
	v_add_f64_e32 v[14:15], v[14:15], v[42:43]
	v_add_f64_e32 v[14:15], v[52:53], v[14:15]
	s_delay_alu instid0(VALU_DEP_1) | instskip(SKIP_1) | instid1(VALU_DEP_2)
	v_dual_cndmask_b32 v1, v14, v40 :: v_dual_cndmask_b32 v14, v15, v41
	v_cmp_ngt_f64_e32 vcc_lo, 0, v[40:41]
	v_cndmask_b32_e32 v15, 0x7ff80000, v14, vcc_lo
	v_cmp_nge_f64_e32 vcc_lo, 0, v[40:41]
	s_delay_alu instid0(VALU_DEP_4) | instskip(SKIP_1) | instid1(VALU_DEP_4)
	v_cndmask_b32_e32 v14, 0, v1, vcc_lo
	v_cmp_neq_f64_e32 vcc_lo, 0, v[40:41]
	v_cndmask_b32_e32 v15, 0xfff00000, v15, vcc_lo
.LBB203_13:                             ;   in Loop: Header=BB203_5 Depth=1
	s_and_not1_saveexec_b32 s6, s4
	s_cbranch_execz .LBB203_17
; %bb.14:                               ;   in Loop: Header=BB203_5 Depth=1
	s_delay_alu instid0(VALU_DEP_1) | instskip(SKIP_2) | instid1(VALU_DEP_1)
	v_add_f64_e32 v[42:43], 2.0, v[14:15]
	v_mul_f64_e32 v[40:41], v[16:17], v[16:17]
	s_mov_b32 s7, exec_lo
	v_fmac_f64_e32 v[40:41], v[14:15], v[42:43]
	s_delay_alu instid0(VALU_DEP_1)
	v_cmpx_neq_f64_e32 0, v[40:41]
	s_cbranch_execz .LBB203_16
; %bb.15:                               ;   in Loop: Header=BB203_5 Depth=1
	v_add_f64_e32 v[14:15], 1.0, v[40:41]
	v_cmp_neq_f64_e64 s4, 0x7ff00000, v[40:41]
	v_cmp_ngt_f64_e64 s5, -1.0, v[40:41]
	s_delay_alu instid0(VALU_DEP_3) | instskip(SKIP_1) | instid1(VALU_DEP_2)
	v_frexp_mant_f64_e32 v[42:43], v[14:15]
	v_frexp_exp_i32_f64_e32 v1, v[14:15]
	v_cmp_gt_f64_e32 vcc_lo, s[22:23], v[42:43]
	s_delay_alu instid0(VALU_DEP_2) | instskip(SKIP_2) | instid1(VALU_DEP_2)
	v_subrev_co_ci_u32_e64 v1, null, 0, v1, vcc_lo
	v_add_f64_e32 v[44:45], -1.0, v[14:15]
	v_cmp_nge_f64_e32 vcc_lo, -1.0, v[40:41]
	v_dual_add_f64 v[42:43], v[44:45], -v[14:15] :: v_dual_sub_nc_u32 v48, 0, v1
	s_delay_alu instid0(VALU_DEP_1) | instskip(SKIP_2) | instid1(VALU_DEP_3)
	v_ldexp_f64 v[14:15], v[14:15], v48
	s_and_b32 vcc_lo, vcc_lo, s4
	v_add_f64_e64 v[44:45], v[40:41], -v[44:45]
	v_add_f64_e32 v[42:43], 1.0, v[42:43]
	s_delay_alu instid0(VALU_DEP_3) | instskip(SKIP_1) | instid1(VALU_DEP_3)
	v_add_f64_e32 v[46:47], 1.0, v[14:15]
	v_add_f64_e32 v[52:53], -1.0, v[14:15]
	v_add_f64_e32 v[42:43], v[44:45], v[42:43]
	s_delay_alu instid0(VALU_DEP_3) | instskip(NEXT) | instid1(VALU_DEP_3)
	v_add_f64_e32 v[44:45], -1.0, v[46:47]
	v_add_f64_e32 v[56:57], 1.0, v[52:53]
	s_delay_alu instid0(VALU_DEP_3) | instskip(NEXT) | instid1(VALU_DEP_3)
	v_ldexp_f64 v[42:43], v[42:43], v48
	v_add_f64_e64 v[44:45], v[14:15], -v[44:45]
	s_delay_alu instid0(VALU_DEP_3) | instskip(NEXT) | instid1(VALU_DEP_2)
	v_add_f64_e64 v[14:15], v[14:15], -v[56:57]
	v_add_f64_e32 v[44:45], v[42:43], v[44:45]
	s_delay_alu instid0(VALU_DEP_2) | instskip(NEXT) | instid1(VALU_DEP_2)
	v_add_f64_e32 v[14:15], v[42:43], v[14:15]
	v_add_f64_e32 v[48:49], v[46:47], v[44:45]
	s_delay_alu instid0(VALU_DEP_2) | instskip(NEXT) | instid1(VALU_DEP_2)
	v_add_f64_e32 v[56:57], v[52:53], v[14:15]
	v_rcp_f64_e32 v[50:51], v[48:49]
	v_add_f64_e64 v[46:47], v[48:49], -v[46:47]
	s_delay_alu instid0(VALU_DEP_2) | instskip(NEXT) | instid1(VALU_DEP_2)
	v_add_f64_e64 v[52:53], v[56:57], -v[52:53]
	v_add_f64_e64 v[44:45], v[44:45], -v[46:47]
	s_delay_alu instid0(VALU_DEP_2) | instskip(NEXT) | instid1(TRANS32_DEP_1)
	v_add_f64_e64 v[14:15], v[14:15], -v[52:53]
	v_fma_f64 v[58:59], -v[48:49], v[50:51], 1.0
	s_delay_alu instid0(VALU_DEP_1) | instskip(NEXT) | instid1(VALU_DEP_1)
	v_fmac_f64_e32 v[50:51], v[58:59], v[50:51]
	v_fma_f64 v[42:43], -v[48:49], v[50:51], 1.0
	s_delay_alu instid0(VALU_DEP_1) | instskip(NEXT) | instid1(VALU_DEP_1)
	v_fmac_f64_e32 v[50:51], v[42:43], v[50:51]
	v_mul_f64_e32 v[42:43], v[56:57], v[50:51]
	s_delay_alu instid0(VALU_DEP_1) | instskip(NEXT) | instid1(VALU_DEP_1)
	v_mul_f64_e32 v[58:59], v[48:49], v[42:43]
	v_fma_f64 v[46:47], v[42:43], v[48:49], -v[58:59]
	s_delay_alu instid0(VALU_DEP_1) | instskip(NEXT) | instid1(VALU_DEP_1)
	v_fmac_f64_e32 v[46:47], v[42:43], v[44:45]
	v_add_f64_e32 v[60:61], v[58:59], v[46:47]
	s_delay_alu instid0(VALU_DEP_1) | instskip(SKIP_1) | instid1(VALU_DEP_2)
	v_add_f64_e64 v[62:63], v[56:57], -v[60:61]
	v_add_f64_e64 v[52:53], v[60:61], -v[58:59]
	;; [unrolled: 1-line block ×3, first 2 shown]
	s_delay_alu instid0(VALU_DEP_2) | instskip(NEXT) | instid1(VALU_DEP_2)
	v_add_f64_e64 v[46:47], v[52:53], -v[46:47]
	v_add_f64_e64 v[56:57], v[56:57], -v[60:61]
	s_delay_alu instid0(VALU_DEP_1) | instskip(NEXT) | instid1(VALU_DEP_1)
	v_add_f64_e32 v[14:15], v[14:15], v[56:57]
	v_add_f64_e32 v[14:15], v[46:47], v[14:15]
	s_delay_alu instid0(VALU_DEP_1) | instskip(NEXT) | instid1(VALU_DEP_1)
	v_add_f64_e32 v[46:47], v[62:63], v[14:15]
	v_mul_f64_e32 v[52:53], v[50:51], v[46:47]
	v_add_f64_e64 v[60:61], v[62:63], -v[46:47]
	s_delay_alu instid0(VALU_DEP_2) | instskip(NEXT) | instid1(VALU_DEP_2)
	v_mul_f64_e32 v[56:57], v[48:49], v[52:53]
	v_add_f64_e32 v[14:15], v[14:15], v[60:61]
	s_delay_alu instid0(VALU_DEP_2) | instskip(NEXT) | instid1(VALU_DEP_1)
	v_fma_f64 v[48:49], v[52:53], v[48:49], -v[56:57]
	v_fmac_f64_e32 v[48:49], v[52:53], v[44:45]
	s_delay_alu instid0(VALU_DEP_1) | instskip(NEXT) | instid1(VALU_DEP_1)
	v_add_f64_e32 v[44:45], v[56:57], v[48:49]
	v_add_f64_e64 v[58:59], v[46:47], -v[44:45]
	v_add_f64_e64 v[56:57], v[44:45], -v[56:57]
	s_delay_alu instid0(VALU_DEP_2) | instskip(NEXT) | instid1(VALU_DEP_1)
	v_add_f64_e64 v[46:47], v[46:47], -v[58:59]
	v_add_f64_e64 v[44:45], v[46:47], -v[44:45]
	s_delay_alu instid0(VALU_DEP_3) | instskip(NEXT) | instid1(VALU_DEP_2)
	v_add_f64_e64 v[46:47], v[56:57], -v[48:49]
	v_add_f64_e32 v[14:15], v[14:15], v[44:45]
	v_add_f64_e32 v[44:45], v[42:43], v[52:53]
	s_delay_alu instid0(VALU_DEP_2) | instskip(NEXT) | instid1(VALU_DEP_2)
	v_add_f64_e32 v[14:15], v[46:47], v[14:15]
	v_add_f64_e64 v[42:43], v[44:45], -v[42:43]
	s_delay_alu instid0(VALU_DEP_2) | instskip(NEXT) | instid1(VALU_DEP_2)
	v_add_f64_e32 v[14:15], v[58:59], v[14:15]
	v_add_f64_e64 v[42:43], v[52:53], -v[42:43]
	s_delay_alu instid0(VALU_DEP_2) | instskip(NEXT) | instid1(VALU_DEP_1)
	v_mul_f64_e32 v[14:15], v[50:51], v[14:15]
	v_add_f64_e32 v[14:15], v[42:43], v[14:15]
	s_delay_alu instid0(VALU_DEP_1) | instskip(NEXT) | instid1(VALU_DEP_1)
	v_add_f64_e32 v[42:43], v[44:45], v[14:15]
	v_mul_f64_e32 v[46:47], v[42:43], v[42:43]
	s_delay_alu instid0(VALU_DEP_1) | instskip(SKIP_1) | instid1(VALU_DEP_2)
	v_fmamk_f64 v[48:49], v[46:47], 0x3fc3ab76bf559e2b, v[22:23]
	v_mul_f64_e32 v[50:51], v[42:43], v[46:47]
	v_fmaak_f64 v[48:49], v[46:47], v[48:49], 0x3fc7474dd7f4df2e
	s_delay_alu instid0(VALU_DEP_1) | instskip(NEXT) | instid1(VALU_DEP_1)
	v_fmaak_f64 v[48:49], v[46:47], v[48:49], 0x3fcc71c016291751
	v_fmaak_f64 v[48:49], v[46:47], v[48:49], 0x3fd249249b27acf1
	s_delay_alu instid0(VALU_DEP_1) | instskip(NEXT) | instid1(VALU_DEP_1)
	v_fmaak_f64 v[48:49], v[46:47], v[48:49], 0x3fd99999998ef7b6
	v_fmaak_f64 v[46:47], v[46:47], v[48:49], 0x3fe5555555555780
	v_ldexp_f64 v[48:49], v[42:43], 1
	v_add_f64_e64 v[42:43], v[42:43], -v[44:45]
	s_delay_alu instid0(VALU_DEP_3) | instskip(SKIP_1) | instid1(VALU_DEP_3)
	v_mul_f64_e32 v[46:47], v[50:51], v[46:47]
	v_cvt_f64_i32_e32 v[50:51], v1
	v_add_f64_e64 v[14:15], v[14:15], -v[42:43]
	s_delay_alu instid0(VALU_DEP_3) | instskip(NEXT) | instid1(VALU_DEP_3)
	v_add_f64_e32 v[44:45], v[48:49], v[46:47]
	v_mul_f64_e32 v[52:53], 0x3fe62e42fefa39ef, v[50:51]
	s_delay_alu instid0(VALU_DEP_3) | instskip(NEXT) | instid1(VALU_DEP_3)
	v_ldexp_f64 v[14:15], v[14:15], 1
	v_add_f64_e64 v[42:43], v[44:45], -v[48:49]
	s_delay_alu instid0(VALU_DEP_3) | instskip(NEXT) | instid1(VALU_DEP_2)
	v_fma_f64 v[48:49], v[50:51], s[24:25], -v[52:53]
	v_add_f64_e64 v[42:43], v[46:47], -v[42:43]
	s_delay_alu instid0(VALU_DEP_2) | instskip(NEXT) | instid1(VALU_DEP_2)
	v_fmac_f64_e32 v[48:49], 0x3c7abc9e3b39803f, v[50:51]
	v_add_f64_e32 v[14:15], v[14:15], v[42:43]
	s_delay_alu instid0(VALU_DEP_2) | instskip(NEXT) | instid1(VALU_DEP_2)
	v_add_f64_e32 v[42:43], v[52:53], v[48:49]
	v_add_f64_e32 v[46:47], v[44:45], v[14:15]
	s_delay_alu instid0(VALU_DEP_2) | instskip(NEXT) | instid1(VALU_DEP_2)
	v_add_f64_e64 v[52:53], v[42:43], -v[52:53]
	v_add_f64_e32 v[50:51], v[42:43], v[46:47]
	v_add_f64_e64 v[44:45], v[46:47], -v[44:45]
	s_delay_alu instid0(VALU_DEP_3) | instskip(NEXT) | instid1(VALU_DEP_3)
	v_add_f64_e64 v[48:49], v[48:49], -v[52:53]
	v_add_f64_e64 v[56:57], v[50:51], -v[42:43]
	s_delay_alu instid0(VALU_DEP_3) | instskip(NEXT) | instid1(VALU_DEP_2)
	v_add_f64_e64 v[14:15], v[14:15], -v[44:45]
	v_add_f64_e64 v[58:59], v[50:51], -v[56:57]
	;; [unrolled: 1-line block ×3, first 2 shown]
	s_delay_alu instid0(VALU_DEP_3) | instskip(NEXT) | instid1(VALU_DEP_3)
	v_add_f64_e32 v[46:47], v[48:49], v[14:15]
	v_add_f64_e64 v[42:43], v[42:43], -v[58:59]
	s_delay_alu instid0(VALU_DEP_1) | instskip(NEXT) | instid1(VALU_DEP_3)
	v_add_f64_e32 v[42:43], v[44:45], v[42:43]
	v_add_f64_e64 v[44:45], v[46:47], -v[48:49]
	s_delay_alu instid0(VALU_DEP_2) | instskip(NEXT) | instid1(VALU_DEP_2)
	v_add_f64_e32 v[42:43], v[46:47], v[42:43]
	v_add_f64_e64 v[46:47], v[46:47], -v[44:45]
	v_add_f64_e64 v[14:15], v[14:15], -v[44:45]
	s_delay_alu instid0(VALU_DEP_3) | instskip(NEXT) | instid1(VALU_DEP_3)
	v_add_f64_e32 v[52:53], v[50:51], v[42:43]
	v_add_f64_e64 v[46:47], v[48:49], -v[46:47]
	s_delay_alu instid0(VALU_DEP_2) | instskip(NEXT) | instid1(VALU_DEP_2)
	v_add_f64_e64 v[44:45], v[52:53], -v[50:51]
	v_add_f64_e32 v[14:15], v[14:15], v[46:47]
	s_delay_alu instid0(VALU_DEP_2) | instskip(NEXT) | instid1(VALU_DEP_1)
	v_add_f64_e64 v[42:43], v[42:43], -v[44:45]
	v_add_f64_e32 v[14:15], v[14:15], v[42:43]
	s_delay_alu instid0(VALU_DEP_1) | instskip(NEXT) | instid1(VALU_DEP_1)
	v_add_f64_e32 v[14:15], v[52:53], v[14:15]
	v_mul_f64_e32 v[14:15], 0.5, v[14:15]
	s_delay_alu instid0(VALU_DEP_1) | instskip(SKIP_1) | instid1(VALU_DEP_3)
	v_cndmask_b32_e32 v14, 0, v14, vcc_lo
	v_cmp_neq_f64_e32 vcc_lo, -1.0, v[40:41]
	v_cndmask_b32_e64 v1, 0x7ff00000, v15, s4
	s_delay_alu instid0(VALU_DEP_1) | instskip(NEXT) | instid1(VALU_DEP_1)
	v_cndmask_b32_e64 v1, 0x7ff80000, v1, s5
	v_cndmask_b32_e32 v15, 0xfff00000, v1, vcc_lo
.LBB203_16:                             ;   in Loop: Header=BB203_5 Depth=1
	s_or_b32 exec_lo, exec_lo, s7
.LBB203_17:                             ;   in Loop: Header=BB203_5 Depth=1
	s_delay_alu instid0(SALU_CYCLE_1)
	s_or_b32 exec_lo, exec_lo, s6
	s_wait_loadcnt 0x0
	v_max_num_f64_e64 v[40:41], |v[10:11]|, |v[10:11]|
	v_max_num_f64_e64 v[44:45], |v[12:13]|, |v[12:13]|
	v_cmp_class_f64_e64 s6, v[10:11], 0x204
	v_cmp_class_f64_e64 s43, v[12:13], 0x204
	s_delay_alu instid0(VALU_DEP_3) | instskip(SKIP_1) | instid1(VALU_DEP_1)
	v_max_num_f64_e32 v[40:41], v[40:41], v[44:45]
	s_or_b32 s6, s6, s43
	v_frexp_exp_i32_f64_e32 v1, v[40:41]
	s_delay_alu instid0(VALU_DEP_1) | instskip(NEXT) | instid1(VALU_DEP_1)
	v_sub_nc_u32_e32 v42, 0, v1
	v_ldexp_f64 v[40:41], |v[12:13]|, v42
	v_ldexp_f64 v[42:43], |v[10:11]|, v42
	s_delay_alu instid0(VALU_DEP_2) | instskip(NEXT) | instid1(VALU_DEP_1)
	v_mul_f64_e32 v[40:41], v[40:41], v[40:41]
	v_fmac_f64_e32 v[40:41], v[42:43], v[42:43]
	s_delay_alu instid0(VALU_DEP_1) | instskip(SKIP_1) | instid1(TRANS32_DEP_1)
	v_rsq_f64_e32 v[42:43], v[40:41]
	v_cmp_eq_f64_e32 vcc_lo, 0, v[40:41]
	v_mul_f64_e32 v[46:47], v[40:41], v[42:43]
	v_mul_f64_e32 v[42:43], 0.5, v[42:43]
	s_delay_alu instid0(VALU_DEP_1) | instskip(NEXT) | instid1(VALU_DEP_1)
	v_fma_f64 v[48:49], -v[42:43], v[46:47], 0.5
	v_fmac_f64_e32 v[46:47], v[46:47], v[48:49]
	v_fmac_f64_e32 v[42:43], v[42:43], v[48:49]
	s_delay_alu instid0(VALU_DEP_2) | instskip(NEXT) | instid1(VALU_DEP_1)
	v_fma_f64 v[48:49], -v[46:47], v[46:47], v[40:41]
	v_fmac_f64_e32 v[46:47], v[48:49], v[42:43]
	s_delay_alu instid0(VALU_DEP_1) | instskip(SKIP_2) | instid1(VALU_DEP_3)
	v_dual_cndmask_b32 v43, v47, v41 :: v_dual_cndmask_b32 v42, v46, v40
	v_add_f64_e32 v[40:41], 1.0, v[10:11]
	v_cmp_u_f64_e32 vcc_lo, v[10:11], v[12:13]
	v_ldexp_f64 v[46:47], v[42:43], v1
	s_delay_alu instid0(VALU_DEP_3)
	v_max_num_f64_e64 v[42:43], |v[40:41]|, v[44:45]
	v_cmp_u_f64_e64 s4, v[40:41], v[12:13]
	v_cmp_class_f64_e64 s44, v[40:41], 0x204
	s_or_b32 s6, s6, vcc_lo
	v_cmp_ngt_f64_e64 s5, 0.5, v[46:47]
	s_or_b32 s5, s6, s5
	s_delay_alu instid0(SALU_CYCLE_1) | instskip(NEXT) | instid1(SALU_CYCLE_1)
	s_and_saveexec_b32 s6, s5
	s_xor_b32 s5, exec_lo, s6
	s_cbranch_execz .LBB203_19
; %bb.18:                               ;   in Loop: Header=BB203_5 Depth=1
	v_frexp_exp_i32_f64_e32 v1, v[42:43]
	s_or_b32 s6, s44, s43
	s_delay_alu instid0(VALU_DEP_1) | instskip(NEXT) | instid1(VALU_DEP_1)
	v_sub_nc_u32_e32 v46, 0, v1
	v_ldexp_f64 v[10:11], |v[12:13]|, v46
	s_delay_alu instid0(VALU_DEP_1) | instskip(SKIP_1) | instid1(VALU_DEP_1)
	v_mul_f64_e32 v[10:11], v[10:11], v[10:11]
	v_ldexp_f64 v[46:47], |v[40:41]|, v46
	v_fmac_f64_e32 v[10:11], v[46:47], v[46:47]
	s_delay_alu instid0(VALU_DEP_1) | instskip(SKIP_1) | instid1(TRANS32_DEP_1)
	v_rsq_f64_e32 v[46:47], v[10:11]
	v_cmp_eq_f64_e32 vcc_lo, 0, v[10:11]
	v_mul_f64_e32 v[48:49], v[10:11], v[46:47]
	v_mul_f64_e32 v[46:47], 0.5, v[46:47]
	s_delay_alu instid0(VALU_DEP_1) | instskip(NEXT) | instid1(VALU_DEP_1)
	v_fma_f64 v[50:51], -v[46:47], v[48:49], 0.5
	v_fmac_f64_e32 v[48:49], v[48:49], v[50:51]
	v_fmac_f64_e32 v[46:47], v[46:47], v[50:51]
	s_delay_alu instid0(VALU_DEP_2) | instskip(NEXT) | instid1(VALU_DEP_1)
	v_fma_f64 v[50:51], -v[48:49], v[48:49], v[10:11]
	v_fmac_f64_e32 v[48:49], v[50:51], v[46:47]
	s_delay_alu instid0(VALU_DEP_1) | instskip(NEXT) | instid1(VALU_DEP_1)
	v_dual_cndmask_b32 v11, v49, v11 :: v_dual_cndmask_b32 v10, v48, v10
	v_ldexp_f64 v[10:11], v[10:11], v1
	s_delay_alu instid0(VALU_DEP_1) | instskip(NEXT) | instid1(VALU_DEP_1)
	v_cndmask_b32_e64 v1, v11, 0x7ff80000, s4
	v_cndmask_b32_e64 v47, v1, 0x7ff00000, s6
	s_or_b32 s6, s6, s4
	s_delay_alu instid0(VALU_DEP_3) | instid1(SALU_CYCLE_1)
	v_cndmask_b32_e64 v46, v10, 0, s6
	s_delay_alu instid0(VALU_DEP_1) | instskip(NEXT) | instid1(VALU_DEP_1)
	v_frexp_mant_f64_e32 v[10:11], v[46:47]
	v_cmp_gt_f64_e32 vcc_lo, s[22:23], v[10:11]
	v_cndmask_b32_e64 v1, 0, 1, vcc_lo
	s_delay_alu instid0(VALU_DEP_1) | instskip(SKIP_1) | instid1(VALU_DEP_2)
	v_ldexp_f64 v[10:11], v[10:11], v1
	v_frexp_exp_i32_f64_e32 v1, v[46:47]
	v_add_f64_e32 v[48:49], 1.0, v[10:11]
	v_add_f64_e32 v[56:57], -1.0, v[10:11]
	s_delay_alu instid0(VALU_DEP_3) | instskip(SKIP_1) | instid1(VALU_DEP_4)
	v_subrev_co_ci_u32_e64 v1, null, 0, v1, vcc_lo
	v_cmp_class_f64_e64 vcc_lo, v[46:47], 0x204
	v_rcp_f64_e32 v[50:51], v[48:49]
	v_add_f64_e32 v[58:59], -1.0, v[48:49]
	s_delay_alu instid0(VALU_DEP_1) | instskip(NEXT) | instid1(TRANS32_DEP_1)
	v_add_f64_e64 v[10:11], v[10:11], -v[58:59]
	v_fma_f64 v[52:53], -v[48:49], v[50:51], 1.0
	s_delay_alu instid0(VALU_DEP_1) | instskip(NEXT) | instid1(VALU_DEP_1)
	v_fmac_f64_e32 v[50:51], v[52:53], v[50:51]
	v_fma_f64 v[52:53], -v[48:49], v[50:51], 1.0
	s_delay_alu instid0(VALU_DEP_1) | instskip(NEXT) | instid1(VALU_DEP_1)
	v_fmac_f64_e32 v[50:51], v[52:53], v[50:51]
	v_mul_f64_e32 v[52:53], v[56:57], v[50:51]
	s_delay_alu instid0(VALU_DEP_1) | instskip(NEXT) | instid1(VALU_DEP_1)
	v_mul_f64_e32 v[60:61], v[48:49], v[52:53]
	v_fma_f64 v[48:49], v[52:53], v[48:49], -v[60:61]
	s_delay_alu instid0(VALU_DEP_1) | instskip(NEXT) | instid1(VALU_DEP_1)
	v_fmac_f64_e32 v[48:49], v[52:53], v[10:11]
	v_add_f64_e32 v[10:11], v[60:61], v[48:49]
	s_delay_alu instid0(VALU_DEP_1) | instskip(SKIP_1) | instid1(VALU_DEP_2)
	v_add_f64_e64 v[58:59], v[56:57], -v[10:11]
	v_add_f64_e64 v[60:61], v[10:11], -v[60:61]
	;; [unrolled: 1-line block ×3, first 2 shown]
	s_delay_alu instid0(VALU_DEP_2) | instskip(NEXT) | instid1(VALU_DEP_2)
	v_add_f64_e64 v[48:49], v[60:61], -v[48:49]
	v_add_f64_e64 v[10:11], v[56:57], -v[10:11]
	s_delay_alu instid0(VALU_DEP_1) | instskip(NEXT) | instid1(VALU_DEP_1)
	v_add_f64_e32 v[10:11], v[48:49], v[10:11]
	v_add_f64_e32 v[10:11], v[58:59], v[10:11]
	s_delay_alu instid0(VALU_DEP_1) | instskip(NEXT) | instid1(VALU_DEP_1)
	v_mul_f64_e32 v[10:11], v[50:51], v[10:11]
	v_add_f64_e32 v[48:49], v[52:53], v[10:11]
	s_delay_alu instid0(VALU_DEP_1) | instskip(NEXT) | instid1(VALU_DEP_1)
	v_mul_f64_e32 v[50:51], v[48:49], v[48:49]
	v_fmamk_f64 v[56:57], v[50:51], 0x3fc3ab76bf559e2b, v[22:23]
	v_mul_f64_e32 v[58:59], v[48:49], v[50:51]
	s_delay_alu instid0(VALU_DEP_2) | instskip(NEXT) | instid1(VALU_DEP_1)
	v_fmaak_f64 v[56:57], v[50:51], v[56:57], 0x3fc7474dd7f4df2e
	v_fmaak_f64 v[56:57], v[50:51], v[56:57], 0x3fcc71c016291751
	s_delay_alu instid0(VALU_DEP_1) | instskip(NEXT) | instid1(VALU_DEP_1)
	v_fmaak_f64 v[56:57], v[50:51], v[56:57], 0x3fd249249b27acf1
	v_fmaak_f64 v[56:57], v[50:51], v[56:57], 0x3fd99999998ef7b6
	s_delay_alu instid0(VALU_DEP_1) | instskip(SKIP_2) | instid1(VALU_DEP_3)
	v_fmaak_f64 v[50:51], v[50:51], v[56:57], 0x3fe5555555555780
	v_ldexp_f64 v[56:57], v[48:49], 1
	v_add_f64_e64 v[48:49], v[48:49], -v[52:53]
	v_mul_f64_e32 v[50:51], v[58:59], v[50:51]
	v_cvt_f64_i32_e32 v[58:59], v1
	s_delay_alu instid0(VALU_DEP_3) | instskip(NEXT) | instid1(VALU_DEP_3)
	v_add_f64_e64 v[10:11], v[10:11], -v[48:49]
	v_add_f64_e32 v[52:53], v[56:57], v[50:51]
	s_delay_alu instid0(VALU_DEP_3) | instskip(NEXT) | instid1(VALU_DEP_3)
	v_mul_f64_e32 v[60:61], 0x3fe62e42fefa39ef, v[58:59]
	v_ldexp_f64 v[10:11], v[10:11], 1
	s_delay_alu instid0(VALU_DEP_3) | instskip(NEXT) | instid1(VALU_DEP_3)
	v_add_f64_e64 v[48:49], v[52:53], -v[56:57]
	v_fma_f64 v[56:57], v[58:59], s[24:25], -v[60:61]
	s_delay_alu instid0(VALU_DEP_2) | instskip(NEXT) | instid1(VALU_DEP_2)
	v_add_f64_e64 v[48:49], v[50:51], -v[48:49]
	v_fmac_f64_e32 v[56:57], 0x3c7abc9e3b39803f, v[58:59]
	s_delay_alu instid0(VALU_DEP_2) | instskip(NEXT) | instid1(VALU_DEP_2)
	v_add_f64_e32 v[10:11], v[10:11], v[48:49]
	v_add_f64_e32 v[48:49], v[60:61], v[56:57]
	s_delay_alu instid0(VALU_DEP_2) | instskip(NEXT) | instid1(VALU_DEP_2)
	v_add_f64_e32 v[50:51], v[52:53], v[10:11]
	v_add_f64_e64 v[60:61], v[48:49], -v[60:61]
	s_delay_alu instid0(VALU_DEP_2) | instskip(SKIP_1) | instid1(VALU_DEP_3)
	v_add_f64_e32 v[58:59], v[48:49], v[50:51]
	v_add_f64_e64 v[52:53], v[50:51], -v[52:53]
	v_add_f64_e64 v[56:57], v[56:57], -v[60:61]
	s_delay_alu instid0(VALU_DEP_3) | instskip(NEXT) | instid1(VALU_DEP_3)
	v_add_f64_e64 v[62:63], v[58:59], -v[48:49]
	v_add_f64_e64 v[10:11], v[10:11], -v[52:53]
	s_delay_alu instid0(VALU_DEP_2) | instskip(SKIP_1) | instid1(VALU_DEP_3)
	v_add_f64_e64 v[64:65], v[58:59], -v[62:63]
	v_add_f64_e64 v[50:51], v[50:51], -v[62:63]
	v_add_f64_e32 v[52:53], v[56:57], v[10:11]
	s_delay_alu instid0(VALU_DEP_3) | instskip(NEXT) | instid1(VALU_DEP_1)
	v_add_f64_e64 v[48:49], v[48:49], -v[64:65]
	v_add_f64_e32 v[48:49], v[50:51], v[48:49]
	s_delay_alu instid0(VALU_DEP_3) | instskip(NEXT) | instid1(VALU_DEP_2)
	v_add_f64_e64 v[50:51], v[52:53], -v[56:57]
	v_add_f64_e32 v[48:49], v[52:53], v[48:49]
	s_delay_alu instid0(VALU_DEP_2) | instskip(SKIP_1) | instid1(VALU_DEP_3)
	v_add_f64_e64 v[52:53], v[52:53], -v[50:51]
	v_add_f64_e64 v[10:11], v[10:11], -v[50:51]
	v_add_f64_e32 v[60:61], v[58:59], v[48:49]
	s_delay_alu instid0(VALU_DEP_3) | instskip(NEXT) | instid1(VALU_DEP_2)
	v_add_f64_e64 v[50:51], v[56:57], -v[52:53]
	v_add_f64_e64 v[52:53], v[60:61], -v[58:59]
	s_delay_alu instid0(VALU_DEP_2) | instskip(NEXT) | instid1(VALU_DEP_2)
	v_add_f64_e32 v[10:11], v[10:11], v[50:51]
	v_add_f64_e64 v[48:49], v[48:49], -v[52:53]
	s_delay_alu instid0(VALU_DEP_1) | instskip(NEXT) | instid1(VALU_DEP_1)
	v_add_f64_e32 v[10:11], v[10:11], v[48:49]
	v_add_f64_e32 v[10:11], v[60:61], v[10:11]
	s_delay_alu instid0(VALU_DEP_1) | instskip(SKIP_1) | instid1(VALU_DEP_2)
	v_dual_cndmask_b32 v1, v10, v46 :: v_dual_cndmask_b32 v10, v11, v47
	v_cmp_ngt_f64_e32 vcc_lo, 0, v[46:47]
	v_cndmask_b32_e32 v11, 0x7ff80000, v10, vcc_lo
	v_cmp_nge_f64_e32 vcc_lo, 0, v[46:47]
	s_delay_alu instid0(VALU_DEP_4) | instskip(SKIP_1) | instid1(VALU_DEP_4)
	v_cndmask_b32_e32 v10, 0, v1, vcc_lo
	v_cmp_neq_f64_e32 vcc_lo, 0, v[46:47]
	v_cndmask_b32_e32 v11, 0xfff00000, v11, vcc_lo
.LBB203_19:                             ;   in Loop: Header=BB203_5 Depth=1
	s_and_not1_saveexec_b32 s7, s5
	s_cbranch_execz .LBB203_23
; %bb.20:                               ;   in Loop: Header=BB203_5 Depth=1
	s_delay_alu instid0(VALU_DEP_1) | instskip(SKIP_2) | instid1(VALU_DEP_1)
	v_add_f64_e32 v[48:49], 2.0, v[10:11]
	v_mul_f64_e32 v[46:47], v[12:13], v[12:13]
	s_mov_b32 s8, exec_lo
	v_fmac_f64_e32 v[46:47], v[10:11], v[48:49]
	s_delay_alu instid0(VALU_DEP_1)
	v_cmpx_neq_f64_e32 0, v[46:47]
	s_cbranch_execz .LBB203_22
; %bb.21:                               ;   in Loop: Header=BB203_5 Depth=1
	v_add_f64_e32 v[10:11], 1.0, v[46:47]
	v_cmp_neq_f64_e64 s5, 0x7ff00000, v[46:47]
	v_cmp_ngt_f64_e64 s6, -1.0, v[46:47]
	s_delay_alu instid0(VALU_DEP_3) | instskip(SKIP_1) | instid1(VALU_DEP_2)
	v_frexp_mant_f64_e32 v[48:49], v[10:11]
	v_frexp_exp_i32_f64_e32 v1, v[10:11]
	v_cmp_gt_f64_e32 vcc_lo, s[22:23], v[48:49]
	s_delay_alu instid0(VALU_DEP_2) | instskip(SKIP_1) | instid1(VALU_DEP_2)
	v_subrev_co_ci_u32_e64 v1, null, 0, v1, vcc_lo
	v_cmp_nge_f64_e32 vcc_lo, -1.0, v[46:47]
	v_dual_add_f64 v[50:51], -1.0, v[10:11] :: v_dual_sub_nc_u32 v56, 0, v1
	s_and_b32 vcc_lo, vcc_lo, s5
	s_delay_alu instid0(VALU_DEP_1) | instskip(NEXT) | instid1(VALU_DEP_2)
	v_add_f64_e64 v[48:49], v[50:51], -v[10:11]
	v_ldexp_f64 v[10:11], v[10:11], v56
	v_add_f64_e64 v[50:51], v[46:47], -v[50:51]
	s_delay_alu instid0(VALU_DEP_3) | instskip(NEXT) | instid1(VALU_DEP_3)
	v_add_f64_e32 v[48:49], 1.0, v[48:49]
	v_add_f64_e32 v[52:53], 1.0, v[10:11]
	v_add_f64_e32 v[60:61], -1.0, v[10:11]
	s_delay_alu instid0(VALU_DEP_3) | instskip(NEXT) | instid1(VALU_DEP_3)
	v_add_f64_e32 v[48:49], v[50:51], v[48:49]
	v_add_f64_e32 v[50:51], -1.0, v[52:53]
	s_delay_alu instid0(VALU_DEP_3) | instskip(NEXT) | instid1(VALU_DEP_3)
	v_add_f64_e32 v[62:63], 1.0, v[60:61]
	v_ldexp_f64 v[48:49], v[48:49], v56
	s_delay_alu instid0(VALU_DEP_3) | instskip(NEXT) | instid1(VALU_DEP_3)
	v_add_f64_e64 v[50:51], v[10:11], -v[50:51]
	v_add_f64_e64 v[10:11], v[10:11], -v[62:63]
	s_delay_alu instid0(VALU_DEP_2) | instskip(NEXT) | instid1(VALU_DEP_2)
	v_add_f64_e32 v[50:51], v[48:49], v[50:51]
	v_add_f64_e32 v[10:11], v[48:49], v[10:11]
	s_delay_alu instid0(VALU_DEP_2) | instskip(NEXT) | instid1(VALU_DEP_2)
	v_add_f64_e32 v[56:57], v[52:53], v[50:51]
	v_add_f64_e32 v[62:63], v[60:61], v[10:11]
	s_delay_alu instid0(VALU_DEP_2) | instskip(SKIP_1) | instid1(VALU_DEP_2)
	v_rcp_f64_e32 v[58:59], v[56:57]
	v_add_f64_e64 v[52:53], v[56:57], -v[52:53]
	v_add_f64_e64 v[60:61], v[62:63], -v[60:61]
	s_delay_alu instid0(VALU_DEP_2) | instskip(NEXT) | instid1(VALU_DEP_2)
	v_add_f64_e64 v[50:51], v[50:51], -v[52:53]
	v_add_f64_e64 v[10:11], v[10:11], -v[60:61]
	s_delay_alu instid0(TRANS32_DEP_1) | instskip(NEXT) | instid1(VALU_DEP_1)
	v_fma_f64 v[64:65], -v[56:57], v[58:59], 1.0
	v_fmac_f64_e32 v[58:59], v[64:65], v[58:59]
	s_delay_alu instid0(VALU_DEP_1) | instskip(NEXT) | instid1(VALU_DEP_1)
	v_fma_f64 v[48:49], -v[56:57], v[58:59], 1.0
	v_fmac_f64_e32 v[58:59], v[48:49], v[58:59]
	s_delay_alu instid0(VALU_DEP_1) | instskip(NEXT) | instid1(VALU_DEP_1)
	v_mul_f64_e32 v[48:49], v[62:63], v[58:59]
	v_mul_f64_e32 v[64:65], v[56:57], v[48:49]
	s_delay_alu instid0(VALU_DEP_1) | instskip(NEXT) | instid1(VALU_DEP_1)
	v_fma_f64 v[52:53], v[48:49], v[56:57], -v[64:65]
	v_fmac_f64_e32 v[52:53], v[48:49], v[50:51]
	s_delay_alu instid0(VALU_DEP_1) | instskip(NEXT) | instid1(VALU_DEP_1)
	v_add_f64_e32 v[66:67], v[64:65], v[52:53]
	v_add_f64_e64 v[68:69], v[62:63], -v[66:67]
	v_add_f64_e64 v[60:61], v[66:67], -v[64:65]
	s_delay_alu instid0(VALU_DEP_2) | instskip(NEXT) | instid1(VALU_DEP_2)
	v_add_f64_e64 v[62:63], v[62:63], -v[68:69]
	v_add_f64_e64 v[52:53], v[60:61], -v[52:53]
	s_delay_alu instid0(VALU_DEP_2) | instskip(NEXT) | instid1(VALU_DEP_1)
	v_add_f64_e64 v[62:63], v[62:63], -v[66:67]
	v_add_f64_e32 v[10:11], v[10:11], v[62:63]
	s_delay_alu instid0(VALU_DEP_1) | instskip(NEXT) | instid1(VALU_DEP_1)
	v_add_f64_e32 v[10:11], v[52:53], v[10:11]
	v_add_f64_e32 v[52:53], v[68:69], v[10:11]
	s_delay_alu instid0(VALU_DEP_1) | instskip(SKIP_1) | instid1(VALU_DEP_2)
	v_mul_f64_e32 v[60:61], v[58:59], v[52:53]
	v_add_f64_e64 v[66:67], v[68:69], -v[52:53]
	v_mul_f64_e32 v[62:63], v[56:57], v[60:61]
	s_delay_alu instid0(VALU_DEP_2) | instskip(NEXT) | instid1(VALU_DEP_2)
	v_add_f64_e32 v[10:11], v[10:11], v[66:67]
	v_fma_f64 v[56:57], v[60:61], v[56:57], -v[62:63]
	s_delay_alu instid0(VALU_DEP_1) | instskip(NEXT) | instid1(VALU_DEP_1)
	v_fmac_f64_e32 v[56:57], v[60:61], v[50:51]
	v_add_f64_e32 v[50:51], v[62:63], v[56:57]
	s_delay_alu instid0(VALU_DEP_1) | instskip(SKIP_1) | instid1(VALU_DEP_2)
	v_add_f64_e64 v[64:65], v[52:53], -v[50:51]
	v_add_f64_e64 v[62:63], v[50:51], -v[62:63]
	;; [unrolled: 1-line block ×3, first 2 shown]
	s_delay_alu instid0(VALU_DEP_1) | instskip(NEXT) | instid1(VALU_DEP_3)
	v_add_f64_e64 v[50:51], v[52:53], -v[50:51]
	v_add_f64_e64 v[52:53], v[62:63], -v[56:57]
	s_delay_alu instid0(VALU_DEP_2) | instskip(SKIP_1) | instid1(VALU_DEP_2)
	v_add_f64_e32 v[10:11], v[10:11], v[50:51]
	v_add_f64_e32 v[50:51], v[48:49], v[60:61]
	;; [unrolled: 1-line block ×3, first 2 shown]
	s_delay_alu instid0(VALU_DEP_2) | instskip(NEXT) | instid1(VALU_DEP_2)
	v_add_f64_e64 v[48:49], v[50:51], -v[48:49]
	v_add_f64_e32 v[10:11], v[64:65], v[10:11]
	s_delay_alu instid0(VALU_DEP_2) | instskip(NEXT) | instid1(VALU_DEP_2)
	v_add_f64_e64 v[48:49], v[60:61], -v[48:49]
	v_mul_f64_e32 v[10:11], v[58:59], v[10:11]
	s_delay_alu instid0(VALU_DEP_1) | instskip(NEXT) | instid1(VALU_DEP_1)
	v_add_f64_e32 v[10:11], v[48:49], v[10:11]
	v_add_f64_e32 v[48:49], v[50:51], v[10:11]
	s_delay_alu instid0(VALU_DEP_1) | instskip(NEXT) | instid1(VALU_DEP_1)
	v_mul_f64_e32 v[52:53], v[48:49], v[48:49]
	v_fmamk_f64 v[56:57], v[52:53], 0x3fc3ab76bf559e2b, v[22:23]
	v_mul_f64_e32 v[58:59], v[48:49], v[52:53]
	s_delay_alu instid0(VALU_DEP_2) | instskip(NEXT) | instid1(VALU_DEP_1)
	v_fmaak_f64 v[56:57], v[52:53], v[56:57], 0x3fc7474dd7f4df2e
	v_fmaak_f64 v[56:57], v[52:53], v[56:57], 0x3fcc71c016291751
	s_delay_alu instid0(VALU_DEP_1) | instskip(NEXT) | instid1(VALU_DEP_1)
	v_fmaak_f64 v[56:57], v[52:53], v[56:57], 0x3fd249249b27acf1
	v_fmaak_f64 v[56:57], v[52:53], v[56:57], 0x3fd99999998ef7b6
	s_delay_alu instid0(VALU_DEP_1) | instskip(SKIP_2) | instid1(VALU_DEP_3)
	v_fmaak_f64 v[52:53], v[52:53], v[56:57], 0x3fe5555555555780
	v_ldexp_f64 v[56:57], v[48:49], 1
	v_add_f64_e64 v[48:49], v[48:49], -v[50:51]
	v_mul_f64_e32 v[52:53], v[58:59], v[52:53]
	v_cvt_f64_i32_e32 v[58:59], v1
	s_delay_alu instid0(VALU_DEP_3) | instskip(NEXT) | instid1(VALU_DEP_3)
	v_add_f64_e64 v[10:11], v[10:11], -v[48:49]
	v_add_f64_e32 v[50:51], v[56:57], v[52:53]
	s_delay_alu instid0(VALU_DEP_3) | instskip(NEXT) | instid1(VALU_DEP_3)
	v_mul_f64_e32 v[60:61], 0x3fe62e42fefa39ef, v[58:59]
	v_ldexp_f64 v[10:11], v[10:11], 1
	s_delay_alu instid0(VALU_DEP_3) | instskip(NEXT) | instid1(VALU_DEP_3)
	v_add_f64_e64 v[48:49], v[50:51], -v[56:57]
	v_fma_f64 v[56:57], v[58:59], s[24:25], -v[60:61]
	s_delay_alu instid0(VALU_DEP_2) | instskip(NEXT) | instid1(VALU_DEP_2)
	v_add_f64_e64 v[48:49], v[52:53], -v[48:49]
	v_fmac_f64_e32 v[56:57], 0x3c7abc9e3b39803f, v[58:59]
	s_delay_alu instid0(VALU_DEP_2) | instskip(NEXT) | instid1(VALU_DEP_2)
	v_add_f64_e32 v[10:11], v[10:11], v[48:49]
	v_add_f64_e32 v[48:49], v[60:61], v[56:57]
	s_delay_alu instid0(VALU_DEP_2) | instskip(NEXT) | instid1(VALU_DEP_2)
	v_add_f64_e32 v[52:53], v[50:51], v[10:11]
	v_add_f64_e64 v[60:61], v[48:49], -v[60:61]
	s_delay_alu instid0(VALU_DEP_2) | instskip(SKIP_1) | instid1(VALU_DEP_3)
	v_add_f64_e32 v[58:59], v[48:49], v[52:53]
	v_add_f64_e64 v[50:51], v[52:53], -v[50:51]
	v_add_f64_e64 v[56:57], v[56:57], -v[60:61]
	s_delay_alu instid0(VALU_DEP_3) | instskip(NEXT) | instid1(VALU_DEP_3)
	v_add_f64_e64 v[62:63], v[58:59], -v[48:49]
	v_add_f64_e64 v[10:11], v[10:11], -v[50:51]
	s_delay_alu instid0(VALU_DEP_2) | instskip(SKIP_1) | instid1(VALU_DEP_3)
	v_add_f64_e64 v[64:65], v[58:59], -v[62:63]
	v_add_f64_e64 v[50:51], v[52:53], -v[62:63]
	v_add_f64_e32 v[52:53], v[56:57], v[10:11]
	s_delay_alu instid0(VALU_DEP_3) | instskip(NEXT) | instid1(VALU_DEP_1)
	v_add_f64_e64 v[48:49], v[48:49], -v[64:65]
	v_add_f64_e32 v[48:49], v[50:51], v[48:49]
	s_delay_alu instid0(VALU_DEP_3) | instskip(NEXT) | instid1(VALU_DEP_2)
	v_add_f64_e64 v[50:51], v[52:53], -v[56:57]
	v_add_f64_e32 v[48:49], v[52:53], v[48:49]
	s_delay_alu instid0(VALU_DEP_2) | instskip(SKIP_1) | instid1(VALU_DEP_3)
	v_add_f64_e64 v[52:53], v[52:53], -v[50:51]
	v_add_f64_e64 v[10:11], v[10:11], -v[50:51]
	v_add_f64_e32 v[60:61], v[58:59], v[48:49]
	s_delay_alu instid0(VALU_DEP_3) | instskip(NEXT) | instid1(VALU_DEP_2)
	v_add_f64_e64 v[52:53], v[56:57], -v[52:53]
	v_add_f64_e64 v[50:51], v[60:61], -v[58:59]
	s_delay_alu instid0(VALU_DEP_2) | instskip(NEXT) | instid1(VALU_DEP_2)
	v_add_f64_e32 v[10:11], v[10:11], v[52:53]
	v_add_f64_e64 v[48:49], v[48:49], -v[50:51]
	s_delay_alu instid0(VALU_DEP_1) | instskip(NEXT) | instid1(VALU_DEP_1)
	v_add_f64_e32 v[10:11], v[10:11], v[48:49]
	v_add_f64_e32 v[10:11], v[60:61], v[10:11]
	s_delay_alu instid0(VALU_DEP_1) | instskip(NEXT) | instid1(VALU_DEP_1)
	v_mul_f64_e32 v[10:11], 0.5, v[10:11]
	v_cndmask_b32_e32 v10, 0, v10, vcc_lo
	v_cmp_neq_f64_e32 vcc_lo, -1.0, v[46:47]
	s_delay_alu instid0(VALU_DEP_3) | instskip(NEXT) | instid1(VALU_DEP_1)
	v_cndmask_b32_e64 v1, 0x7ff00000, v11, s5
	v_cndmask_b32_e64 v1, 0x7ff80000, v1, s6
	s_delay_alu instid0(VALU_DEP_1)
	v_cndmask_b32_e32 v11, 0xfff00000, v1, vcc_lo
.LBB203_22:                             ;   in Loop: Header=BB203_5 Depth=1
	s_or_b32 exec_lo, exec_lo, s8
.LBB203_23:                             ;   in Loop: Header=BB203_5 Depth=1
	s_delay_alu instid0(SALU_CYCLE_1) | instskip(SKIP_4) | instid1(VALU_DEP_3)
	s_or_b32 exec_lo, exec_lo, s7
	v_max_num_f64_e64 v[46:47], |v[6:7]|, |v[6:7]|
	v_max_num_f64_e64 v[50:51], |v[8:9]|, |v[8:9]|
	v_cmp_class_f64_e64 s7, v[6:7], 0x204
	v_cmp_class_f64_e64 s45, v[8:9], 0x204
	v_max_num_f64_e32 v[46:47], v[46:47], v[50:51]
	s_or_b32 s7, s7, s45
	s_delay_alu instid0(VALU_DEP_1) | instskip(NEXT) | instid1(VALU_DEP_1)
	v_frexp_exp_i32_f64_e32 v1, v[46:47]
	v_sub_nc_u32_e32 v48, 0, v1
	s_delay_alu instid0(VALU_DEP_1) | instskip(SKIP_1) | instid1(VALU_DEP_2)
	v_ldexp_f64 v[46:47], |v[8:9]|, v48
	v_ldexp_f64 v[48:49], |v[6:7]|, v48
	v_mul_f64_e32 v[46:47], v[46:47], v[46:47]
	s_delay_alu instid0(VALU_DEP_1) | instskip(NEXT) | instid1(VALU_DEP_1)
	v_fmac_f64_e32 v[46:47], v[48:49], v[48:49]
	v_rsq_f64_e32 v[48:49], v[46:47]
	v_cmp_eq_f64_e32 vcc_lo, 0, v[46:47]
	s_delay_alu instid0(TRANS32_DEP_1) | instskip(SKIP_1) | instid1(VALU_DEP_1)
	v_mul_f64_e32 v[52:53], v[46:47], v[48:49]
	v_mul_f64_e32 v[48:49], 0.5, v[48:49]
	v_fma_f64 v[56:57], -v[48:49], v[52:53], 0.5
	s_delay_alu instid0(VALU_DEP_1) | instskip(SKIP_1) | instid1(VALU_DEP_2)
	v_fmac_f64_e32 v[52:53], v[52:53], v[56:57]
	v_fmac_f64_e32 v[48:49], v[48:49], v[56:57]
	v_fma_f64 v[56:57], -v[52:53], v[52:53], v[46:47]
	s_delay_alu instid0(VALU_DEP_1) | instskip(NEXT) | instid1(VALU_DEP_1)
	v_fmac_f64_e32 v[52:53], v[56:57], v[48:49]
	v_dual_cndmask_b32 v49, v53, v47 :: v_dual_cndmask_b32 v48, v52, v46
	v_add_f64_e32 v[46:47], 1.0, v[6:7]
	v_cmp_u_f64_e32 vcc_lo, v[6:7], v[8:9]
	s_delay_alu instid0(VALU_DEP_3) | instskip(NEXT) | instid1(VALU_DEP_3)
	v_ldexp_f64 v[52:53], v[48:49], v1
	v_max_num_f64_e64 v[48:49], |v[46:47]|, v[50:51]
	v_cmp_u_f64_e64 s5, v[46:47], v[8:9]
	v_cmp_class_f64_e64 s46, v[46:47], 0x204
	s_or_b32 s7, s7, vcc_lo
	v_cmp_ngt_f64_e64 s6, 0.5, v[52:53]
	s_or_b32 s6, s7, s6
	s_delay_alu instid0(SALU_CYCLE_1) | instskip(NEXT) | instid1(SALU_CYCLE_1)
	s_and_saveexec_b32 s7, s6
	s_xor_b32 s6, exec_lo, s7
	s_cbranch_execz .LBB203_25
; %bb.24:                               ;   in Loop: Header=BB203_5 Depth=1
	v_frexp_exp_i32_f64_e32 v1, v[48:49]
	s_or_b32 s7, s46, s45
	s_delay_alu instid0(VALU_DEP_1) | instskip(NEXT) | instid1(VALU_DEP_1)
	v_sub_nc_u32_e32 v52, 0, v1
	v_ldexp_f64 v[6:7], |v[8:9]|, v52
	s_delay_alu instid0(VALU_DEP_1) | instskip(SKIP_1) | instid1(VALU_DEP_1)
	v_mul_f64_e32 v[6:7], v[6:7], v[6:7]
	v_ldexp_f64 v[52:53], |v[46:47]|, v52
	v_fmac_f64_e32 v[6:7], v[52:53], v[52:53]
	s_delay_alu instid0(VALU_DEP_1) | instskip(SKIP_1) | instid1(TRANS32_DEP_1)
	v_rsq_f64_e32 v[52:53], v[6:7]
	v_cmp_eq_f64_e32 vcc_lo, 0, v[6:7]
	v_mul_f64_e32 v[56:57], v[6:7], v[52:53]
	v_mul_f64_e32 v[52:53], 0.5, v[52:53]
	s_delay_alu instid0(VALU_DEP_1) | instskip(NEXT) | instid1(VALU_DEP_1)
	v_fma_f64 v[58:59], -v[52:53], v[56:57], 0.5
	v_fmac_f64_e32 v[56:57], v[56:57], v[58:59]
	v_fmac_f64_e32 v[52:53], v[52:53], v[58:59]
	s_delay_alu instid0(VALU_DEP_2) | instskip(NEXT) | instid1(VALU_DEP_1)
	v_fma_f64 v[58:59], -v[56:57], v[56:57], v[6:7]
	v_fmac_f64_e32 v[56:57], v[58:59], v[52:53]
	s_delay_alu instid0(VALU_DEP_1) | instskip(NEXT) | instid1(VALU_DEP_1)
	v_dual_cndmask_b32 v7, v57, v7 :: v_dual_cndmask_b32 v6, v56, v6
	v_ldexp_f64 v[6:7], v[6:7], v1
	s_delay_alu instid0(VALU_DEP_1) | instskip(NEXT) | instid1(VALU_DEP_1)
	v_cndmask_b32_e64 v1, v7, 0x7ff80000, s5
	v_cndmask_b32_e64 v53, v1, 0x7ff00000, s7
	s_or_b32 s7, s7, s5
	s_delay_alu instid0(VALU_DEP_3) | instid1(SALU_CYCLE_1)
	v_cndmask_b32_e64 v52, v6, 0, s7
	s_delay_alu instid0(VALU_DEP_1) | instskip(NEXT) | instid1(VALU_DEP_1)
	v_frexp_mant_f64_e32 v[6:7], v[52:53]
	v_cmp_gt_f64_e32 vcc_lo, s[22:23], v[6:7]
	v_cndmask_b32_e64 v1, 0, 1, vcc_lo
	s_delay_alu instid0(VALU_DEP_1) | instskip(SKIP_1) | instid1(VALU_DEP_1)
	v_ldexp_f64 v[6:7], v[6:7], v1
	v_frexp_exp_i32_f64_e32 v1, v[52:53]
	v_subrev_co_ci_u32_e64 v1, null, 0, v1, vcc_lo
	v_cmp_class_f64_e64 vcc_lo, v[52:53], 0x204
	s_delay_alu instid0(VALU_DEP_4) | instskip(SKIP_1) | instid1(VALU_DEP_2)
	v_add_f64_e32 v[56:57], 1.0, v[6:7]
	v_add_f64_e32 v[62:63], -1.0, v[6:7]
	v_rcp_f64_e32 v[58:59], v[56:57]
	v_add_f64_e32 v[64:65], -1.0, v[56:57]
	s_delay_alu instid0(VALU_DEP_1) | instskip(NEXT) | instid1(TRANS32_DEP_1)
	v_add_f64_e64 v[6:7], v[6:7], -v[64:65]
	v_fma_f64 v[60:61], -v[56:57], v[58:59], 1.0
	s_delay_alu instid0(VALU_DEP_1) | instskip(NEXT) | instid1(VALU_DEP_1)
	v_fmac_f64_e32 v[58:59], v[60:61], v[58:59]
	v_fma_f64 v[60:61], -v[56:57], v[58:59], 1.0
	s_delay_alu instid0(VALU_DEP_1) | instskip(NEXT) | instid1(VALU_DEP_1)
	v_fmac_f64_e32 v[58:59], v[60:61], v[58:59]
	v_mul_f64_e32 v[60:61], v[62:63], v[58:59]
	s_delay_alu instid0(VALU_DEP_1) | instskip(NEXT) | instid1(VALU_DEP_1)
	v_mul_f64_e32 v[66:67], v[56:57], v[60:61]
	v_fma_f64 v[56:57], v[60:61], v[56:57], -v[66:67]
	s_delay_alu instid0(VALU_DEP_1) | instskip(NEXT) | instid1(VALU_DEP_1)
	v_fmac_f64_e32 v[56:57], v[60:61], v[6:7]
	v_add_f64_e32 v[6:7], v[66:67], v[56:57]
	s_delay_alu instid0(VALU_DEP_1) | instskip(SKIP_1) | instid1(VALU_DEP_2)
	v_add_f64_e64 v[64:65], v[62:63], -v[6:7]
	v_add_f64_e64 v[66:67], v[6:7], -v[66:67]
	v_add_f64_e64 v[62:63], v[62:63], -v[64:65]
	s_delay_alu instid0(VALU_DEP_2) | instskip(NEXT) | instid1(VALU_DEP_2)
	v_add_f64_e64 v[56:57], v[66:67], -v[56:57]
	v_add_f64_e64 v[6:7], v[62:63], -v[6:7]
	s_delay_alu instid0(VALU_DEP_1) | instskip(NEXT) | instid1(VALU_DEP_1)
	v_add_f64_e32 v[6:7], v[56:57], v[6:7]
	v_add_f64_e32 v[6:7], v[64:65], v[6:7]
	s_delay_alu instid0(VALU_DEP_1) | instskip(NEXT) | instid1(VALU_DEP_1)
	v_mul_f64_e32 v[6:7], v[58:59], v[6:7]
	v_add_f64_e32 v[56:57], v[60:61], v[6:7]
	s_delay_alu instid0(VALU_DEP_1) | instskip(NEXT) | instid1(VALU_DEP_1)
	v_mul_f64_e32 v[58:59], v[56:57], v[56:57]
	v_fmamk_f64 v[62:63], v[58:59], 0x3fc3ab76bf559e2b, v[22:23]
	v_mul_f64_e32 v[64:65], v[56:57], v[58:59]
	s_delay_alu instid0(VALU_DEP_2) | instskip(NEXT) | instid1(VALU_DEP_1)
	v_fmaak_f64 v[62:63], v[58:59], v[62:63], 0x3fc7474dd7f4df2e
	v_fmaak_f64 v[62:63], v[58:59], v[62:63], 0x3fcc71c016291751
	s_delay_alu instid0(VALU_DEP_1) | instskip(NEXT) | instid1(VALU_DEP_1)
	v_fmaak_f64 v[62:63], v[58:59], v[62:63], 0x3fd249249b27acf1
	v_fmaak_f64 v[62:63], v[58:59], v[62:63], 0x3fd99999998ef7b6
	s_delay_alu instid0(VALU_DEP_1) | instskip(SKIP_2) | instid1(VALU_DEP_3)
	v_fmaak_f64 v[58:59], v[58:59], v[62:63], 0x3fe5555555555780
	v_ldexp_f64 v[62:63], v[56:57], 1
	v_add_f64_e64 v[56:57], v[56:57], -v[60:61]
	v_mul_f64_e32 v[58:59], v[64:65], v[58:59]
	v_cvt_f64_i32_e32 v[64:65], v1
	s_delay_alu instid0(VALU_DEP_3) | instskip(NEXT) | instid1(VALU_DEP_3)
	v_add_f64_e64 v[6:7], v[6:7], -v[56:57]
	v_add_f64_e32 v[60:61], v[62:63], v[58:59]
	s_delay_alu instid0(VALU_DEP_3) | instskip(NEXT) | instid1(VALU_DEP_3)
	v_mul_f64_e32 v[66:67], 0x3fe62e42fefa39ef, v[64:65]
	v_ldexp_f64 v[6:7], v[6:7], 1
	s_delay_alu instid0(VALU_DEP_3) | instskip(NEXT) | instid1(VALU_DEP_3)
	v_add_f64_e64 v[56:57], v[60:61], -v[62:63]
	v_fma_f64 v[62:63], v[64:65], s[24:25], -v[66:67]
	s_delay_alu instid0(VALU_DEP_2) | instskip(NEXT) | instid1(VALU_DEP_2)
	v_add_f64_e64 v[56:57], v[58:59], -v[56:57]
	v_fmac_f64_e32 v[62:63], 0x3c7abc9e3b39803f, v[64:65]
	s_delay_alu instid0(VALU_DEP_2) | instskip(NEXT) | instid1(VALU_DEP_2)
	v_add_f64_e32 v[6:7], v[6:7], v[56:57]
	v_add_f64_e32 v[56:57], v[66:67], v[62:63]
	s_delay_alu instid0(VALU_DEP_2) | instskip(NEXT) | instid1(VALU_DEP_2)
	v_add_f64_e32 v[58:59], v[60:61], v[6:7]
	v_add_f64_e64 v[66:67], v[56:57], -v[66:67]
	s_delay_alu instid0(VALU_DEP_2) | instskip(SKIP_1) | instid1(VALU_DEP_3)
	v_add_f64_e32 v[64:65], v[56:57], v[58:59]
	v_add_f64_e64 v[60:61], v[58:59], -v[60:61]
	v_add_f64_e64 v[62:63], v[62:63], -v[66:67]
	s_delay_alu instid0(VALU_DEP_3) | instskip(NEXT) | instid1(VALU_DEP_3)
	v_add_f64_e64 v[68:69], v[64:65], -v[56:57]
	v_add_f64_e64 v[6:7], v[6:7], -v[60:61]
	s_delay_alu instid0(VALU_DEP_2) | instskip(SKIP_1) | instid1(VALU_DEP_3)
	v_add_f64_e64 v[70:71], v[64:65], -v[68:69]
	v_add_f64_e64 v[58:59], v[58:59], -v[68:69]
	v_add_f64_e32 v[60:61], v[62:63], v[6:7]
	s_delay_alu instid0(VALU_DEP_3) | instskip(NEXT) | instid1(VALU_DEP_1)
	v_add_f64_e64 v[56:57], v[56:57], -v[70:71]
	v_add_f64_e32 v[56:57], v[58:59], v[56:57]
	s_delay_alu instid0(VALU_DEP_3) | instskip(NEXT) | instid1(VALU_DEP_2)
	v_add_f64_e64 v[58:59], v[60:61], -v[62:63]
	v_add_f64_e32 v[56:57], v[60:61], v[56:57]
	s_delay_alu instid0(VALU_DEP_2) | instskip(SKIP_1) | instid1(VALU_DEP_3)
	v_add_f64_e64 v[60:61], v[60:61], -v[58:59]
	v_add_f64_e64 v[6:7], v[6:7], -v[58:59]
	v_add_f64_e32 v[66:67], v[64:65], v[56:57]
	s_delay_alu instid0(VALU_DEP_3) | instskip(NEXT) | instid1(VALU_DEP_2)
	v_add_f64_e64 v[58:59], v[62:63], -v[60:61]
	v_add_f64_e64 v[60:61], v[66:67], -v[64:65]
	s_delay_alu instid0(VALU_DEP_2) | instskip(NEXT) | instid1(VALU_DEP_2)
	v_add_f64_e32 v[6:7], v[6:7], v[58:59]
	v_add_f64_e64 v[56:57], v[56:57], -v[60:61]
	s_delay_alu instid0(VALU_DEP_1) | instskip(NEXT) | instid1(VALU_DEP_1)
	v_add_f64_e32 v[6:7], v[6:7], v[56:57]
	v_add_f64_e32 v[6:7], v[66:67], v[6:7]
	s_delay_alu instid0(VALU_DEP_1) | instskip(SKIP_1) | instid1(VALU_DEP_2)
	v_dual_cndmask_b32 v1, v6, v52 :: v_dual_cndmask_b32 v6, v7, v53
	v_cmp_ngt_f64_e32 vcc_lo, 0, v[52:53]
	v_cndmask_b32_e32 v7, 0x7ff80000, v6, vcc_lo
	v_cmp_nge_f64_e32 vcc_lo, 0, v[52:53]
	s_delay_alu instid0(VALU_DEP_4) | instskip(SKIP_1) | instid1(VALU_DEP_4)
	v_cndmask_b32_e32 v6, 0, v1, vcc_lo
	v_cmp_neq_f64_e32 vcc_lo, 0, v[52:53]
	v_cndmask_b32_e32 v7, 0xfff00000, v7, vcc_lo
.LBB203_25:                             ;   in Loop: Header=BB203_5 Depth=1
	s_and_not1_saveexec_b32 s8, s6
	s_cbranch_execz .LBB203_4
; %bb.26:                               ;   in Loop: Header=BB203_5 Depth=1
	s_delay_alu instid0(VALU_DEP_1) | instskip(SKIP_2) | instid1(VALU_DEP_1)
	v_add_f64_e32 v[56:57], 2.0, v[6:7]
	v_mul_f64_e32 v[52:53], v[8:9], v[8:9]
	s_mov_b32 s9, exec_lo
	v_fmac_f64_e32 v[52:53], v[6:7], v[56:57]
	s_delay_alu instid0(VALU_DEP_1)
	v_cmpx_neq_f64_e32 0, v[52:53]
	s_cbranch_execz .LBB203_3
; %bb.27:                               ;   in Loop: Header=BB203_5 Depth=1
	v_add_f64_e32 v[6:7], 1.0, v[52:53]
	v_cmp_neq_f64_e64 s6, 0x7ff00000, v[52:53]
	v_cmp_ngt_f64_e64 s7, -1.0, v[52:53]
	s_delay_alu instid0(VALU_DEP_3) | instskip(SKIP_1) | instid1(VALU_DEP_2)
	v_frexp_mant_f64_e32 v[56:57], v[6:7]
	v_frexp_exp_i32_f64_e32 v1, v[6:7]
	v_cmp_gt_f64_e32 vcc_lo, s[22:23], v[56:57]
	s_delay_alu instid0(VALU_DEP_2) | instskip(SKIP_2) | instid1(VALU_DEP_2)
	v_subrev_co_ci_u32_e64 v1, null, 0, v1, vcc_lo
	v_add_f64_e32 v[58:59], -1.0, v[6:7]
	v_cmp_nge_f64_e32 vcc_lo, -1.0, v[52:53]
	v_dual_add_f64 v[56:57], v[58:59], -v[6:7] :: v_dual_sub_nc_u32 v62, 0, v1
	s_delay_alu instid0(VALU_DEP_1) | instskip(SKIP_2) | instid1(VALU_DEP_3)
	v_ldexp_f64 v[6:7], v[6:7], v62
	v_add_f64_e64 v[58:59], v[52:53], -v[58:59]
	s_and_b32 vcc_lo, vcc_lo, s6
	v_add_f64_e32 v[56:57], 1.0, v[56:57]
	s_delay_alu instid0(VALU_DEP_3) | instskip(SKIP_1) | instid1(VALU_DEP_3)
	v_add_f64_e32 v[60:61], 1.0, v[6:7]
	v_add_f64_e32 v[66:67], -1.0, v[6:7]
	v_add_f64_e32 v[56:57], v[58:59], v[56:57]
	s_delay_alu instid0(VALU_DEP_3) | instskip(NEXT) | instid1(VALU_DEP_3)
	v_add_f64_e32 v[58:59], -1.0, v[60:61]
	v_add_f64_e32 v[68:69], 1.0, v[66:67]
	s_delay_alu instid0(VALU_DEP_3) | instskip(NEXT) | instid1(VALU_DEP_3)
	v_ldexp_f64 v[56:57], v[56:57], v62
	v_add_f64_e64 v[58:59], v[6:7], -v[58:59]
	s_delay_alu instid0(VALU_DEP_3) | instskip(NEXT) | instid1(VALU_DEP_2)
	v_add_f64_e64 v[6:7], v[6:7], -v[68:69]
	v_add_f64_e32 v[58:59], v[56:57], v[58:59]
	s_delay_alu instid0(VALU_DEP_2) | instskip(NEXT) | instid1(VALU_DEP_2)
	v_add_f64_e32 v[6:7], v[56:57], v[6:7]
	v_add_f64_e32 v[62:63], v[60:61], v[58:59]
	s_delay_alu instid0(VALU_DEP_2) | instskip(NEXT) | instid1(VALU_DEP_2)
	v_add_f64_e32 v[68:69], v[66:67], v[6:7]
	v_rcp_f64_e32 v[64:65], v[62:63]
	v_add_f64_e64 v[60:61], v[62:63], -v[60:61]
	s_delay_alu instid0(VALU_DEP_2) | instskip(NEXT) | instid1(VALU_DEP_2)
	v_add_f64_e64 v[66:67], v[68:69], -v[66:67]
	v_add_f64_e64 v[58:59], v[58:59], -v[60:61]
	s_delay_alu instid0(VALU_DEP_2) | instskip(NEXT) | instid1(TRANS32_DEP_1)
	v_add_f64_e64 v[6:7], v[6:7], -v[66:67]
	v_fma_f64 v[70:71], -v[62:63], v[64:65], 1.0
	s_delay_alu instid0(VALU_DEP_1) | instskip(NEXT) | instid1(VALU_DEP_1)
	v_fmac_f64_e32 v[64:65], v[70:71], v[64:65]
	v_fma_f64 v[56:57], -v[62:63], v[64:65], 1.0
	s_delay_alu instid0(VALU_DEP_1) | instskip(NEXT) | instid1(VALU_DEP_1)
	v_fmac_f64_e32 v[64:65], v[56:57], v[64:65]
	v_mul_f64_e32 v[56:57], v[68:69], v[64:65]
	s_delay_alu instid0(VALU_DEP_1) | instskip(NEXT) | instid1(VALU_DEP_1)
	v_mul_f64_e32 v[70:71], v[62:63], v[56:57]
	v_fma_f64 v[60:61], v[56:57], v[62:63], -v[70:71]
	s_delay_alu instid0(VALU_DEP_1) | instskip(NEXT) | instid1(VALU_DEP_1)
	v_fmac_f64_e32 v[60:61], v[56:57], v[58:59]
	v_add_f64_e32 v[72:73], v[70:71], v[60:61]
	s_delay_alu instid0(VALU_DEP_1) | instskip(SKIP_1) | instid1(VALU_DEP_2)
	v_add_f64_e64 v[74:75], v[68:69], -v[72:73]
	v_add_f64_e64 v[66:67], v[72:73], -v[70:71]
	;; [unrolled: 1-line block ×3, first 2 shown]
	s_delay_alu instid0(VALU_DEP_2) | instskip(NEXT) | instid1(VALU_DEP_2)
	v_add_f64_e64 v[60:61], v[66:67], -v[60:61]
	v_add_f64_e64 v[68:69], v[68:69], -v[72:73]
	s_delay_alu instid0(VALU_DEP_1) | instskip(NEXT) | instid1(VALU_DEP_1)
	v_add_f64_e32 v[6:7], v[6:7], v[68:69]
	v_add_f64_e32 v[6:7], v[60:61], v[6:7]
	s_delay_alu instid0(VALU_DEP_1) | instskip(NEXT) | instid1(VALU_DEP_1)
	v_add_f64_e32 v[60:61], v[74:75], v[6:7]
	v_mul_f64_e32 v[66:67], v[64:65], v[60:61]
	v_add_f64_e64 v[72:73], v[74:75], -v[60:61]
	s_delay_alu instid0(VALU_DEP_2) | instskip(NEXT) | instid1(VALU_DEP_2)
	v_mul_f64_e32 v[68:69], v[62:63], v[66:67]
	v_add_f64_e32 v[6:7], v[6:7], v[72:73]
	s_delay_alu instid0(VALU_DEP_2) | instskip(NEXT) | instid1(VALU_DEP_1)
	v_fma_f64 v[62:63], v[66:67], v[62:63], -v[68:69]
	v_fmac_f64_e32 v[62:63], v[66:67], v[58:59]
	s_delay_alu instid0(VALU_DEP_1) | instskip(NEXT) | instid1(VALU_DEP_1)
	v_add_f64_e32 v[58:59], v[68:69], v[62:63]
	v_add_f64_e64 v[70:71], v[60:61], -v[58:59]
	v_add_f64_e64 v[68:69], v[58:59], -v[68:69]
	s_delay_alu instid0(VALU_DEP_2) | instskip(NEXT) | instid1(VALU_DEP_1)
	v_add_f64_e64 v[60:61], v[60:61], -v[70:71]
	v_add_f64_e64 v[58:59], v[60:61], -v[58:59]
	s_delay_alu instid0(VALU_DEP_3) | instskip(NEXT) | instid1(VALU_DEP_2)
	v_add_f64_e64 v[60:61], v[68:69], -v[62:63]
	v_add_f64_e32 v[6:7], v[6:7], v[58:59]
	v_add_f64_e32 v[58:59], v[56:57], v[66:67]
	s_delay_alu instid0(VALU_DEP_2) | instskip(NEXT) | instid1(VALU_DEP_2)
	v_add_f64_e32 v[6:7], v[60:61], v[6:7]
	v_add_f64_e64 v[56:57], v[58:59], -v[56:57]
	s_delay_alu instid0(VALU_DEP_2) | instskip(NEXT) | instid1(VALU_DEP_2)
	v_add_f64_e32 v[6:7], v[70:71], v[6:7]
	v_add_f64_e64 v[56:57], v[66:67], -v[56:57]
	s_delay_alu instid0(VALU_DEP_2) | instskip(NEXT) | instid1(VALU_DEP_1)
	v_mul_f64_e32 v[6:7], v[64:65], v[6:7]
	v_add_f64_e32 v[6:7], v[56:57], v[6:7]
	s_delay_alu instid0(VALU_DEP_1) | instskip(NEXT) | instid1(VALU_DEP_1)
	v_add_f64_e32 v[56:57], v[58:59], v[6:7]
	v_mul_f64_e32 v[60:61], v[56:57], v[56:57]
	s_delay_alu instid0(VALU_DEP_1) | instskip(SKIP_1) | instid1(VALU_DEP_2)
	v_fmamk_f64 v[62:63], v[60:61], 0x3fc3ab76bf559e2b, v[22:23]
	v_mul_f64_e32 v[64:65], v[56:57], v[60:61]
	v_fmaak_f64 v[62:63], v[60:61], v[62:63], 0x3fc7474dd7f4df2e
	s_delay_alu instid0(VALU_DEP_1) | instskip(NEXT) | instid1(VALU_DEP_1)
	v_fmaak_f64 v[62:63], v[60:61], v[62:63], 0x3fcc71c016291751
	v_fmaak_f64 v[62:63], v[60:61], v[62:63], 0x3fd249249b27acf1
	s_delay_alu instid0(VALU_DEP_1) | instskip(NEXT) | instid1(VALU_DEP_1)
	v_fmaak_f64 v[62:63], v[60:61], v[62:63], 0x3fd99999998ef7b6
	v_fmaak_f64 v[60:61], v[60:61], v[62:63], 0x3fe5555555555780
	v_ldexp_f64 v[62:63], v[56:57], 1
	v_add_f64_e64 v[56:57], v[56:57], -v[58:59]
	s_delay_alu instid0(VALU_DEP_3) | instskip(SKIP_1) | instid1(VALU_DEP_3)
	v_mul_f64_e32 v[60:61], v[64:65], v[60:61]
	v_cvt_f64_i32_e32 v[64:65], v1
	v_add_f64_e64 v[6:7], v[6:7], -v[56:57]
	s_delay_alu instid0(VALU_DEP_3) | instskip(NEXT) | instid1(VALU_DEP_3)
	v_add_f64_e32 v[58:59], v[62:63], v[60:61]
	v_mul_f64_e32 v[66:67], 0x3fe62e42fefa39ef, v[64:65]
	s_delay_alu instid0(VALU_DEP_3) | instskip(NEXT) | instid1(VALU_DEP_3)
	v_ldexp_f64 v[6:7], v[6:7], 1
	v_add_f64_e64 v[56:57], v[58:59], -v[62:63]
	s_delay_alu instid0(VALU_DEP_3) | instskip(NEXT) | instid1(VALU_DEP_2)
	v_fma_f64 v[62:63], v[64:65], s[24:25], -v[66:67]
	v_add_f64_e64 v[56:57], v[60:61], -v[56:57]
	s_delay_alu instid0(VALU_DEP_2) | instskip(NEXT) | instid1(VALU_DEP_2)
	v_fmac_f64_e32 v[62:63], 0x3c7abc9e3b39803f, v[64:65]
	v_add_f64_e32 v[6:7], v[6:7], v[56:57]
	s_delay_alu instid0(VALU_DEP_2) | instskip(NEXT) | instid1(VALU_DEP_2)
	v_add_f64_e32 v[56:57], v[66:67], v[62:63]
	v_add_f64_e32 v[60:61], v[58:59], v[6:7]
	s_delay_alu instid0(VALU_DEP_2) | instskip(NEXT) | instid1(VALU_DEP_2)
	v_add_f64_e64 v[66:67], v[56:57], -v[66:67]
	v_add_f64_e32 v[64:65], v[56:57], v[60:61]
	v_add_f64_e64 v[58:59], v[60:61], -v[58:59]
	s_delay_alu instid0(VALU_DEP_3) | instskip(NEXT) | instid1(VALU_DEP_3)
	v_add_f64_e64 v[62:63], v[62:63], -v[66:67]
	v_add_f64_e64 v[68:69], v[64:65], -v[56:57]
	s_delay_alu instid0(VALU_DEP_3) | instskip(NEXT) | instid1(VALU_DEP_2)
	v_add_f64_e64 v[6:7], v[6:7], -v[58:59]
	v_add_f64_e64 v[70:71], v[64:65], -v[68:69]
	;; [unrolled: 1-line block ×3, first 2 shown]
	s_delay_alu instid0(VALU_DEP_3) | instskip(NEXT) | instid1(VALU_DEP_3)
	v_add_f64_e32 v[60:61], v[62:63], v[6:7]
	v_add_f64_e64 v[56:57], v[56:57], -v[70:71]
	s_delay_alu instid0(VALU_DEP_1) | instskip(NEXT) | instid1(VALU_DEP_3)
	v_add_f64_e32 v[56:57], v[58:59], v[56:57]
	v_add_f64_e64 v[58:59], v[60:61], -v[62:63]
	s_delay_alu instid0(VALU_DEP_2) | instskip(NEXT) | instid1(VALU_DEP_2)
	v_add_f64_e32 v[56:57], v[60:61], v[56:57]
	v_add_f64_e64 v[60:61], v[60:61], -v[58:59]
	v_add_f64_e64 v[6:7], v[6:7], -v[58:59]
	s_delay_alu instid0(VALU_DEP_3) | instskip(NEXT) | instid1(VALU_DEP_3)
	v_add_f64_e32 v[66:67], v[64:65], v[56:57]
	v_add_f64_e64 v[60:61], v[62:63], -v[60:61]
	s_delay_alu instid0(VALU_DEP_2) | instskip(NEXT) | instid1(VALU_DEP_2)
	v_add_f64_e64 v[58:59], v[66:67], -v[64:65]
	v_add_f64_e32 v[6:7], v[6:7], v[60:61]
	s_delay_alu instid0(VALU_DEP_2) | instskip(NEXT) | instid1(VALU_DEP_1)
	v_add_f64_e64 v[56:57], v[56:57], -v[58:59]
	v_add_f64_e32 v[6:7], v[6:7], v[56:57]
	s_delay_alu instid0(VALU_DEP_1) | instskip(NEXT) | instid1(VALU_DEP_1)
	v_add_f64_e32 v[6:7], v[66:67], v[6:7]
	v_mul_f64_e32 v[6:7], 0.5, v[6:7]
	s_delay_alu instid0(VALU_DEP_1) | instskip(SKIP_1) | instid1(VALU_DEP_3)
	v_cndmask_b32_e32 v6, 0, v6, vcc_lo
	v_cmp_neq_f64_e32 vcc_lo, -1.0, v[52:53]
	v_cndmask_b32_e64 v1, 0x7ff00000, v7, s6
	s_delay_alu instid0(VALU_DEP_1) | instskip(NEXT) | instid1(VALU_DEP_1)
	v_cndmask_b32_e64 v1, 0x7ff80000, v1, s7
	v_cndmask_b32_e32 v7, 0xfff00000, v1, vcc_lo
	s_branch .LBB203_3
.LBB203_28:
	s_or_b32 exec_lo, exec_lo, s33
	s_mov_b32 s2, 0
.LBB203_29:
	s_delay_alu instid0(SALU_CYCLE_1)
	s_and_not1_b32 vcc_lo, exec_lo, s2
	s_cbranch_vccnz .LBB203_73
; %bb.30:
	v_cmp_lt_i64_e64 s2, s[18:19], 1
	s_and_b32 vcc_lo, exec_lo, s2
	s_cbranch_vccnz .LBB203_73
; %bb.31:
	v_min_i64 v[18:19], 0x10000, s[18:19]
	v_min_u64 v[20:21], 0x10000, s[18:19]
	s_load_b32 s0, s[0:1], 0xc5c
	v_mov_b64_e32 v[22:23], 0x3fc385386b47b09a
	v_mov_b64_e32 v[24:25], 0xbf23e260bd3237f4
	v_dual_mov_b32 v1, 0 :: v_dual_mov_b32 v60, 0x7f3321d2
	v_mov_b32_e32 v61, 0x4002d97c
	s_mov_b32 s13, 0
	s_mov_b64 s[18:19], 0x3fe5555555555555
	s_mov_b64 s[20:21], 0x3fe62e42fefa39ef
	s_mov_b32 s23, s13
	s_mov_b32 s25, s13
	s_mov_b64 s[26:27], 0x3ff921fb54442d18
	s_mov_b64 s[28:29], 0x400921fb54442d18
	s_mov_b32 s31, s13
	s_mov_b64 s[34:35], 0
                                        ; implicit-def: $vgpr2_vgpr3
                                        ; implicit-def: $vgpr2_vgpr3
	;; [unrolled: 1-line block ×23, first 2 shown]
	s_wait_kmcnt 0x0
	s_and_b32 s12, s0, 0xffff
	s_delay_alu instid0(SALU_CYCLE_1)
	s_lshl_b32 s22, s12, 1
	s_mul_i32 s24, s12, 3
	s_lshl_b32 s30, s12, 2
	s_branch .LBB203_33
.LBB203_32:                             ;   in Loop: Header=BB203_33 Depth=1
	s_wait_xcnt 0x0
	s_or_b32 exec_lo, exec_lo, s1
	s_add_nc_u64 s[34:35], s[34:35], s[30:31]
	s_delay_alu instid0(SALU_CYCLE_1)
	v_cmp_ge_i64_e32 vcc_lo, s[34:35], v[18:19]
	s_cbranch_vccnz .LBB203_73
.LBB203_33:                             ; =>This Inner Loop Header: Depth=1
	v_add_nc_u64_e32 v[32:33], s[34:35], v[0:1]
	v_mov_b64_e32 v[12:13], 0
	v_mov_b64_e32 v[16:17], 0
	;; [unrolled: 1-line block ×3, first 2 shown]
	s_delay_alu instid0(VALU_DEP_4)
	v_cmp_lt_u64_e32 vcc_lo, v[32:33], v[20:21]
	s_and_saveexec_b32 s0, vcc_lo
	s_cbranch_execz .LBB203_35
; %bb.34:                               ;   in Loop: Header=BB203_33 Depth=1
	v_lshl_add_u64 v[2:3], v[32:33], 4, s[14:15]
	global_load_b128 v[14:17], v[2:3], off
.LBB203_35:                             ;   in Loop: Header=BB203_33 Depth=1
	s_wait_xcnt 0x0
	s_or_b32 exec_lo, exec_lo, s0
	v_add_nc_u64_e32 v[30:31], s[12:13], v[32:33]
	v_mov_b64_e32 v[10:11], 0
	s_delay_alu instid0(VALU_DEP_2)
	v_cmp_lt_u64_e64 s2, v[30:31], v[20:21]
	s_and_saveexec_b32 s0, s2
	s_cbranch_execz .LBB203_37
; %bb.36:                               ;   in Loop: Header=BB203_33 Depth=1
	v_lshl_add_u64 v[2:3], v[30:31], 4, s[14:15]
	global_load_b128 v[10:13], v[2:3], off
.LBB203_37:                             ;   in Loop: Header=BB203_33 Depth=1
	s_wait_xcnt 0x0
	s_or_b32 exec_lo, exec_lo, s0
	v_add_nc_u64_e32 v[28:29], s[22:23], v[32:33]
	v_mov_b64_e32 v[4:5], 0
	v_mov_b64_e32 v[8:9], 0
	;; [unrolled: 1-line block ×3, first 2 shown]
	s_delay_alu instid0(VALU_DEP_4)
	v_cmp_lt_u64_e64 s1, v[28:29], v[20:21]
	s_and_saveexec_b32 s0, s1
	s_cbranch_execz .LBB203_39
; %bb.38:                               ;   in Loop: Header=BB203_33 Depth=1
	v_lshl_add_u64 v[2:3], v[28:29], 4, s[14:15]
	global_load_b128 v[6:9], v[2:3], off
.LBB203_39:                             ;   in Loop: Header=BB203_33 Depth=1
	s_wait_xcnt 0x0
	s_or_b32 exec_lo, exec_lo, s0
	v_add_nc_u64_e32 v[26:27], s[24:25], v[32:33]
	v_mov_b64_e32 v[2:3], 0
	s_delay_alu instid0(VALU_DEP_2)
	v_cmp_lt_u64_e64 s0, v[26:27], v[20:21]
	s_and_saveexec_b32 s3, s0
	s_cbranch_execz .LBB203_41
; %bb.40:                               ;   in Loop: Header=BB203_33 Depth=1
	v_lshl_add_u64 v[2:3], v[26:27], 4, s[14:15]
	global_load_b128 v[2:5], v[2:3], off
.LBB203_41:                             ;   in Loop: Header=BB203_33 Depth=1
	s_wait_xcnt 0x0
	s_or_b32 exec_lo, exec_lo, s3
	s_wait_loadcnt 0x0
	v_max_num_f64_e64 v[34:35], |v[14:15]|, |v[14:15]|
	v_max_num_f64_e64 v[36:37], |v[16:17]|, |v[16:17]|
	v_cmp_class_f64_e64 s6, v[14:15], 0x204
	v_cmp_class_f64_e64 s11, v[16:17], 0x204
	v_cmp_u_f64_e64 s4, v[14:15], v[16:17]
	s_delay_alu instid0(VALU_DEP_4) | instskip(SKIP_1) | instid1(SALU_CYCLE_1)
	v_max_num_f64_e32 v[34:35], v[34:35], v[36:37]
	s_or_b32 s6, s11, s6
	s_or_b32 s4, s6, s4
	s_delay_alu instid0(VALU_DEP_1) | instskip(NEXT) | instid1(VALU_DEP_1)
	v_frexp_exp_i32_f64_e32 v44, v[34:35]
	v_sub_nc_u32_e32 v38, 0, v44
	s_delay_alu instid0(VALU_DEP_1) | instskip(NEXT) | instid1(VALU_DEP_1)
	v_ldexp_f64 v[34:35], |v[16:17]|, v38
	v_mul_f64_e32 v[34:35], v[34:35], v[34:35]
	v_ldexp_f64 v[38:39], |v[14:15]|, v38
	s_delay_alu instid0(VALU_DEP_1) | instskip(NEXT) | instid1(VALU_DEP_1)
	v_fmac_f64_e32 v[34:35], v[38:39], v[38:39]
	v_rsq_f64_e32 v[38:39], v[34:35]
	v_cmp_eq_f64_e64 s3, 0, v[34:35]
	s_delay_alu instid0(TRANS32_DEP_1) | instskip(SKIP_1) | instid1(VALU_DEP_1)
	v_mul_f64_e32 v[40:41], v[34:35], v[38:39]
	v_mul_f64_e32 v[38:39], 0.5, v[38:39]
	v_fma_f64 v[42:43], -v[38:39], v[40:41], 0.5
	s_delay_alu instid0(VALU_DEP_1) | instskip(SKIP_1) | instid1(VALU_DEP_2)
	v_fmac_f64_e32 v[40:41], v[40:41], v[42:43]
	v_fmac_f64_e32 v[38:39], v[38:39], v[42:43]
	v_fma_f64 v[42:43], -v[40:41], v[40:41], v[34:35]
	s_delay_alu instid0(VALU_DEP_1) | instskip(NEXT) | instid1(VALU_DEP_1)
	v_fmac_f64_e32 v[40:41], v[42:43], v[38:39]
	v_dual_cndmask_b32 v39, v41, v35, s3 :: v_dual_cndmask_b32 v38, v40, v34, s3
	v_add_f64_e32 v[34:35], 1.0, v[14:15]
	s_delay_alu instid0(VALU_DEP_2) | instskip(NEXT) | instid1(VALU_DEP_2)
	v_ldexp_f64 v[40:41], v[38:39], v44
	v_max_num_f64_e64 v[38:39], |v[34:35]|, v[36:37]
	v_cmp_u_f64_e64 s3, v[34:35], v[16:17]
	v_cmp_class_f64_e64 s33, v[34:35], 0x204
	s_delay_alu instid0(VALU_DEP_4) | instskip(SKIP_1) | instid1(SALU_CYCLE_1)
	v_cmp_ngt_f64_e64 s5, 0.5, v[40:41]
	s_or_b32 s4, s4, s5
	s_and_saveexec_b32 s5, s4
	s_delay_alu instid0(SALU_CYCLE_1)
	s_xor_b32 s5, exec_lo, s5
	s_cbranch_execz .LBB203_43
; %bb.42:                               ;   in Loop: Header=BB203_33 Depth=1
	v_frexp_exp_i32_f64_e32 v46, v[38:39]
	s_delay_alu instid0(VALU_DEP_1) | instskip(NEXT) | instid1(VALU_DEP_1)
	v_sub_nc_u32_e32 v40, 0, v46
	v_ldexp_f64 v[14:15], |v[16:17]|, v40
	v_ldexp_f64 v[40:41], |v[34:35]|, v40
	s_delay_alu instid0(VALU_DEP_2) | instskip(NEXT) | instid1(VALU_DEP_1)
	v_mul_f64_e32 v[14:15], v[14:15], v[14:15]
	v_fmac_f64_e32 v[14:15], v[40:41], v[40:41]
	s_delay_alu instid0(VALU_DEP_1) | instskip(SKIP_1) | instid1(TRANS32_DEP_1)
	v_rsq_f64_e32 v[40:41], v[14:15]
	v_cmp_eq_f64_e64 s4, 0, v[14:15]
	v_mul_f64_e32 v[42:43], v[14:15], v[40:41]
	v_mul_f64_e32 v[40:41], 0.5, v[40:41]
	s_delay_alu instid0(VALU_DEP_1) | instskip(NEXT) | instid1(VALU_DEP_1)
	v_fma_f64 v[44:45], -v[40:41], v[42:43], 0.5
	v_fmac_f64_e32 v[42:43], v[42:43], v[44:45]
	v_fmac_f64_e32 v[40:41], v[40:41], v[44:45]
	s_delay_alu instid0(VALU_DEP_2) | instskip(NEXT) | instid1(VALU_DEP_1)
	v_fma_f64 v[44:45], -v[42:43], v[42:43], v[14:15]
	v_fmac_f64_e32 v[42:43], v[44:45], v[40:41]
	s_delay_alu instid0(VALU_DEP_1) | instskip(SKIP_1) | instid1(VALU_DEP_1)
	v_dual_cndmask_b32 v15, v43, v15, s4 :: v_dual_cndmask_b32 v14, v42, v14, s4
	s_or_b32 s4, s11, s33
	v_ldexp_f64 v[14:15], v[14:15], v46
	s_delay_alu instid0(VALU_DEP_1) | instskip(NEXT) | instid1(VALU_DEP_1)
	v_cndmask_b32_e64 v15, v15, 0x7ff80000, s3
	v_cndmask_b32_e64 v41, v15, 0x7ff00000, s4
	s_or_b32 s4, s4, s3
	s_delay_alu instid0(VALU_DEP_3) | instid1(SALU_CYCLE_1)
	v_cndmask_b32_e64 v40, v14, 0, s4
	s_delay_alu instid0(VALU_DEP_1) | instskip(NEXT) | instid1(VALU_DEP_1)
	v_frexp_mant_f64_e32 v[14:15], v[40:41]
	v_cmp_gt_f64_e64 s4, s[18:19], v[14:15]
	s_delay_alu instid0(VALU_DEP_1) | instskip(NEXT) | instid1(VALU_DEP_1)
	v_cndmask_b32_e64 v42, 0, 1, s4
	v_ldexp_f64 v[14:15], v[14:15], v42
	s_delay_alu instid0(VALU_DEP_1) | instskip(SKIP_1) | instid1(VALU_DEP_2)
	v_add_f64_e32 v[42:43], 1.0, v[14:15]
	v_add_f64_e32 v[48:49], -1.0, v[14:15]
	v_rcp_f64_e32 v[44:45], v[42:43]
	v_add_f64_e32 v[50:51], -1.0, v[42:43]
	s_delay_alu instid0(VALU_DEP_1) | instskip(NEXT) | instid1(TRANS32_DEP_1)
	v_add_f64_e64 v[14:15], v[14:15], -v[50:51]
	v_fma_f64 v[46:47], -v[42:43], v[44:45], 1.0
	s_delay_alu instid0(VALU_DEP_1) | instskip(NEXT) | instid1(VALU_DEP_1)
	v_fmac_f64_e32 v[44:45], v[46:47], v[44:45]
	v_fma_f64 v[46:47], -v[42:43], v[44:45], 1.0
	s_delay_alu instid0(VALU_DEP_1) | instskip(NEXT) | instid1(VALU_DEP_1)
	v_fmac_f64_e32 v[44:45], v[46:47], v[44:45]
	v_mul_f64_e32 v[46:47], v[48:49], v[44:45]
	s_delay_alu instid0(VALU_DEP_1) | instskip(NEXT) | instid1(VALU_DEP_1)
	v_mul_f64_e32 v[52:53], v[42:43], v[46:47]
	v_fma_f64 v[42:43], v[46:47], v[42:43], -v[52:53]
	s_delay_alu instid0(VALU_DEP_1) | instskip(NEXT) | instid1(VALU_DEP_1)
	v_fmac_f64_e32 v[42:43], v[46:47], v[14:15]
	v_add_f64_e32 v[14:15], v[52:53], v[42:43]
	s_delay_alu instid0(VALU_DEP_1) | instskip(SKIP_1) | instid1(VALU_DEP_2)
	v_add_f64_e64 v[50:51], v[48:49], -v[14:15]
	v_add_f64_e64 v[52:53], v[14:15], -v[52:53]
	;; [unrolled: 1-line block ×3, first 2 shown]
	s_delay_alu instid0(VALU_DEP_2) | instskip(SKIP_1) | instid1(VALU_DEP_3)
	v_add_f64_e64 v[42:43], v[52:53], -v[42:43]
	v_frexp_exp_i32_f64_e32 v52, v[40:41]
	v_add_f64_e64 v[14:15], v[48:49], -v[14:15]
	s_delay_alu instid0(VALU_DEP_1) | instskip(NEXT) | instid1(VALU_DEP_1)
	v_add_f64_e32 v[14:15], v[42:43], v[14:15]
	v_add_f64_e32 v[14:15], v[50:51], v[14:15]
	s_delay_alu instid0(VALU_DEP_1) | instskip(NEXT) | instid1(VALU_DEP_1)
	v_mul_f64_e32 v[14:15], v[44:45], v[14:15]
	v_add_f64_e32 v[42:43], v[46:47], v[14:15]
	s_delay_alu instid0(VALU_DEP_1) | instskip(NEXT) | instid1(VALU_DEP_1)
	v_mul_f64_e32 v[44:45], v[42:43], v[42:43]
	v_fmamk_f64 v[48:49], v[44:45], 0x3fc3ab76bf559e2b, v[22:23]
	v_mul_f64_e32 v[50:51], v[42:43], v[44:45]
	s_delay_alu instid0(VALU_DEP_2) | instskip(NEXT) | instid1(VALU_DEP_1)
	v_fmaak_f64 v[48:49], v[44:45], v[48:49], 0x3fc7474dd7f4df2e
	v_fmaak_f64 v[48:49], v[44:45], v[48:49], 0x3fcc71c016291751
	s_delay_alu instid0(VALU_DEP_1) | instskip(NEXT) | instid1(VALU_DEP_1)
	v_fmaak_f64 v[48:49], v[44:45], v[48:49], 0x3fd249249b27acf1
	v_fmaak_f64 v[48:49], v[44:45], v[48:49], 0x3fd99999998ef7b6
	s_delay_alu instid0(VALU_DEP_1) | instskip(SKIP_2) | instid1(VALU_DEP_3)
	v_fmaak_f64 v[44:45], v[44:45], v[48:49], 0x3fe5555555555780
	v_ldexp_f64 v[48:49], v[42:43], 1
	v_add_f64_e64 v[42:43], v[42:43], -v[46:47]
	v_mul_f64_e32 v[44:45], v[50:51], v[44:45]
	v_subrev_co_ci_u32_e64 v50, null, 0, v52, s4
	v_cmp_class_f64_e64 s4, v[40:41], 0x204
	s_delay_alu instid0(VALU_DEP_2) | instskip(SKIP_2) | instid1(VALU_DEP_3)
	v_cvt_f64_i32_e32 v[50:51], v50
	v_add_f64_e64 v[14:15], v[14:15], -v[42:43]
	v_add_f64_e32 v[46:47], v[48:49], v[44:45]
	v_mul_f64_e32 v[52:53], 0x3fe62e42fefa39ef, v[50:51]
	s_delay_alu instid0(VALU_DEP_3) | instskip(NEXT) | instid1(VALU_DEP_3)
	v_ldexp_f64 v[14:15], v[14:15], 1
	v_add_f64_e64 v[42:43], v[46:47], -v[48:49]
	s_delay_alu instid0(VALU_DEP_3) | instskip(NEXT) | instid1(VALU_DEP_2)
	v_fma_f64 v[48:49], v[50:51], s[20:21], -v[52:53]
	v_add_f64_e64 v[42:43], v[44:45], -v[42:43]
	s_delay_alu instid0(VALU_DEP_2) | instskip(NEXT) | instid1(VALU_DEP_2)
	v_fmac_f64_e32 v[48:49], 0x3c7abc9e3b39803f, v[50:51]
	v_add_f64_e32 v[14:15], v[14:15], v[42:43]
	s_delay_alu instid0(VALU_DEP_2) | instskip(NEXT) | instid1(VALU_DEP_2)
	v_add_f64_e32 v[42:43], v[52:53], v[48:49]
	v_add_f64_e32 v[44:45], v[46:47], v[14:15]
	s_delay_alu instid0(VALU_DEP_2) | instskip(NEXT) | instid1(VALU_DEP_2)
	v_add_f64_e64 v[52:53], v[42:43], -v[52:53]
	v_add_f64_e32 v[50:51], v[42:43], v[44:45]
	v_add_f64_e64 v[46:47], v[44:45], -v[46:47]
	s_delay_alu instid0(VALU_DEP_3) | instskip(NEXT) | instid1(VALU_DEP_3)
	v_add_f64_e64 v[48:49], v[48:49], -v[52:53]
	v_add_f64_e64 v[54:55], v[50:51], -v[42:43]
	s_delay_alu instid0(VALU_DEP_3) | instskip(NEXT) | instid1(VALU_DEP_2)
	v_add_f64_e64 v[14:15], v[14:15], -v[46:47]
	v_add_f64_e64 v[56:57], v[50:51], -v[54:55]
	;; [unrolled: 1-line block ×3, first 2 shown]
	s_delay_alu instid0(VALU_DEP_3) | instskip(NEXT) | instid1(VALU_DEP_3)
	v_add_f64_e32 v[46:47], v[48:49], v[14:15]
	v_add_f64_e64 v[42:43], v[42:43], -v[56:57]
	s_delay_alu instid0(VALU_DEP_1) | instskip(NEXT) | instid1(VALU_DEP_3)
	v_add_f64_e32 v[42:43], v[44:45], v[42:43]
	v_add_f64_e64 v[44:45], v[46:47], -v[48:49]
	s_delay_alu instid0(VALU_DEP_2) | instskip(NEXT) | instid1(VALU_DEP_2)
	v_add_f64_e32 v[42:43], v[46:47], v[42:43]
	v_add_f64_e64 v[46:47], v[46:47], -v[44:45]
	v_add_f64_e64 v[14:15], v[14:15], -v[44:45]
	s_delay_alu instid0(VALU_DEP_3) | instskip(NEXT) | instid1(VALU_DEP_3)
	v_add_f64_e32 v[52:53], v[50:51], v[42:43]
	v_add_f64_e64 v[44:45], v[48:49], -v[46:47]
	s_delay_alu instid0(VALU_DEP_2) | instskip(NEXT) | instid1(VALU_DEP_2)
	v_add_f64_e64 v[46:47], v[52:53], -v[50:51]
	v_add_f64_e32 v[14:15], v[14:15], v[44:45]
	s_delay_alu instid0(VALU_DEP_2) | instskip(NEXT) | instid1(VALU_DEP_1)
	v_add_f64_e64 v[42:43], v[42:43], -v[46:47]
	v_add_f64_e32 v[14:15], v[14:15], v[42:43]
	s_delay_alu instid0(VALU_DEP_1) | instskip(NEXT) | instid1(VALU_DEP_1)
	v_add_f64_e32 v[14:15], v[52:53], v[14:15]
	v_dual_cndmask_b32 v14, v14, v40, s4 :: v_dual_cndmask_b32 v15, v15, v41, s4
	v_cmp_ngt_f64_e64 s4, 0, v[40:41]
	s_delay_alu instid0(VALU_DEP_1) | instskip(SKIP_1) | instid1(VALU_DEP_1)
	v_cndmask_b32_e64 v15, 0x7ff80000, v15, s4
	v_cmp_nge_f64_e64 s4, 0, v[40:41]
	v_cndmask_b32_e64 v14, 0, v14, s4
	v_cmp_neq_f64_e64 s4, 0, v[40:41]
	s_delay_alu instid0(VALU_DEP_1)
	v_cndmask_b32_e64 v15, 0xfff00000, v15, s4
.LBB203_43:                             ;   in Loop: Header=BB203_33 Depth=1
	s_and_not1_saveexec_b32 s7, s5
	s_cbranch_execz .LBB203_47
; %bb.44:                               ;   in Loop: Header=BB203_33 Depth=1
	s_delay_alu instid0(VALU_DEP_1) | instskip(SKIP_1) | instid1(VALU_DEP_1)
	v_add_f64_e32 v[40:41], 2.0, v[14:15]
	s_mov_b32 s8, exec_lo
	v_mul_f64_e32 v[40:41], v[14:15], v[40:41]
	s_delay_alu instid0(VALU_DEP_1) | instskip(NEXT) | instid1(VALU_DEP_1)
	v_fmac_f64_e32 v[40:41], v[16:17], v[16:17]
	v_cmpx_neq_f64_e32 0, v[40:41]
	s_cbranch_execz .LBB203_46
; %bb.45:                               ;   in Loop: Header=BB203_33 Depth=1
	v_add_f64_e32 v[14:15], 1.0, v[40:41]
	v_cmp_neq_f64_e64 s5, 0x7ff00000, v[40:41]
	v_cmp_ngt_f64_e64 s6, -1.0, v[40:41]
	s_delay_alu instid0(VALU_DEP_3) | instskip(SKIP_1) | instid1(VALU_DEP_2)
	v_frexp_mant_f64_e32 v[42:43], v[14:15]
	v_frexp_exp_i32_f64_e32 v46, v[14:15]
	v_cmp_gt_f64_e64 s4, s[18:19], v[42:43]
	s_delay_alu instid0(VALU_DEP_1) | instskip(SKIP_2) | instid1(VALU_DEP_2)
	v_subrev_co_ci_u32_e64 v64, null, 0, v46, s4
	v_add_f64_e32 v[44:45], -1.0, v[14:15]
	v_cmp_nge_f64_e64 s4, -1.0, v[40:41]
	v_dual_add_f64 v[42:43], v[44:45], -v[14:15] :: v_dual_sub_nc_u32 v48, 0, v64
	s_delay_alu instid0(VALU_DEP_1) | instskip(SKIP_2) | instid1(VALU_DEP_3)
	v_ldexp_f64 v[14:15], v[14:15], v48
	s_and_b32 s4, s4, s5
	v_add_f64_e64 v[44:45], v[40:41], -v[44:45]
	v_add_f64_e32 v[42:43], 1.0, v[42:43]
	s_delay_alu instid0(VALU_DEP_3) | instskip(SKIP_1) | instid1(VALU_DEP_3)
	v_add_f64_e32 v[46:47], 1.0, v[14:15]
	v_add_f64_e32 v[52:53], -1.0, v[14:15]
	v_add_f64_e32 v[42:43], v[44:45], v[42:43]
	s_delay_alu instid0(VALU_DEP_3) | instskip(NEXT) | instid1(VALU_DEP_3)
	v_add_f64_e32 v[44:45], -1.0, v[46:47]
	v_add_f64_e32 v[54:55], 1.0, v[52:53]
	s_delay_alu instid0(VALU_DEP_3) | instskip(NEXT) | instid1(VALU_DEP_3)
	v_ldexp_f64 v[42:43], v[42:43], v48
	v_add_f64_e64 v[44:45], v[14:15], -v[44:45]
	s_delay_alu instid0(VALU_DEP_3) | instskip(NEXT) | instid1(VALU_DEP_2)
	v_add_f64_e64 v[14:15], v[14:15], -v[54:55]
	v_add_f64_e32 v[44:45], v[42:43], v[44:45]
	s_delay_alu instid0(VALU_DEP_2) | instskip(NEXT) | instid1(VALU_DEP_2)
	v_add_f64_e32 v[14:15], v[42:43], v[14:15]
	v_add_f64_e32 v[48:49], v[46:47], v[44:45]
	s_delay_alu instid0(VALU_DEP_2) | instskip(NEXT) | instid1(VALU_DEP_2)
	v_add_f64_e32 v[54:55], v[52:53], v[14:15]
	v_rcp_f64_e32 v[50:51], v[48:49]
	v_add_f64_e64 v[46:47], v[48:49], -v[46:47]
	s_delay_alu instid0(VALU_DEP_2) | instskip(NEXT) | instid1(VALU_DEP_2)
	v_add_f64_e64 v[52:53], v[54:55], -v[52:53]
	v_add_f64_e64 v[44:45], v[44:45], -v[46:47]
	s_delay_alu instid0(VALU_DEP_2) | instskip(NEXT) | instid1(TRANS32_DEP_1)
	v_add_f64_e64 v[14:15], v[14:15], -v[52:53]
	v_fma_f64 v[56:57], -v[48:49], v[50:51], 1.0
	s_delay_alu instid0(VALU_DEP_1) | instskip(NEXT) | instid1(VALU_DEP_1)
	v_fmac_f64_e32 v[50:51], v[56:57], v[50:51]
	v_fma_f64 v[42:43], -v[48:49], v[50:51], 1.0
	s_delay_alu instid0(VALU_DEP_1) | instskip(NEXT) | instid1(VALU_DEP_1)
	v_fmac_f64_e32 v[50:51], v[42:43], v[50:51]
	v_mul_f64_e32 v[42:43], v[54:55], v[50:51]
	s_delay_alu instid0(VALU_DEP_1) | instskip(NEXT) | instid1(VALU_DEP_1)
	v_mul_f64_e32 v[56:57], v[48:49], v[42:43]
	v_fma_f64 v[46:47], v[42:43], v[48:49], -v[56:57]
	s_delay_alu instid0(VALU_DEP_1) | instskip(NEXT) | instid1(VALU_DEP_1)
	v_fmac_f64_e32 v[46:47], v[42:43], v[44:45]
	v_add_f64_e32 v[58:59], v[56:57], v[46:47]
	s_delay_alu instid0(VALU_DEP_1) | instskip(SKIP_1) | instid1(VALU_DEP_2)
	v_add_f64_e64 v[62:63], v[54:55], -v[58:59]
	v_add_f64_e64 v[52:53], v[58:59], -v[56:57]
	v_add_f64_e64 v[54:55], v[54:55], -v[62:63]
	s_delay_alu instid0(VALU_DEP_2) | instskip(NEXT) | instid1(VALU_DEP_2)
	v_add_f64_e64 v[46:47], v[52:53], -v[46:47]
	v_add_f64_e64 v[54:55], v[54:55], -v[58:59]
	s_delay_alu instid0(VALU_DEP_1) | instskip(NEXT) | instid1(VALU_DEP_1)
	v_add_f64_e32 v[14:15], v[14:15], v[54:55]
	v_add_f64_e32 v[14:15], v[46:47], v[14:15]
	s_delay_alu instid0(VALU_DEP_1) | instskip(NEXT) | instid1(VALU_DEP_1)
	v_add_f64_e32 v[46:47], v[62:63], v[14:15]
	v_mul_f64_e32 v[52:53], v[50:51], v[46:47]
	v_add_f64_e64 v[58:59], v[62:63], -v[46:47]
	s_delay_alu instid0(VALU_DEP_2) | instskip(NEXT) | instid1(VALU_DEP_2)
	v_mul_f64_e32 v[54:55], v[48:49], v[52:53]
	v_add_f64_e32 v[14:15], v[14:15], v[58:59]
	s_delay_alu instid0(VALU_DEP_2) | instskip(NEXT) | instid1(VALU_DEP_1)
	v_fma_f64 v[48:49], v[52:53], v[48:49], -v[54:55]
	v_fmac_f64_e32 v[48:49], v[52:53], v[44:45]
	s_delay_alu instid0(VALU_DEP_1) | instskip(NEXT) | instid1(VALU_DEP_1)
	v_add_f64_e32 v[44:45], v[54:55], v[48:49]
	v_add_f64_e64 v[56:57], v[46:47], -v[44:45]
	v_add_f64_e64 v[54:55], v[44:45], -v[54:55]
	s_delay_alu instid0(VALU_DEP_2) | instskip(NEXT) | instid1(VALU_DEP_1)
	v_add_f64_e64 v[46:47], v[46:47], -v[56:57]
	v_add_f64_e64 v[44:45], v[46:47], -v[44:45]
	s_delay_alu instid0(VALU_DEP_3) | instskip(NEXT) | instid1(VALU_DEP_2)
	v_add_f64_e64 v[46:47], v[54:55], -v[48:49]
	v_add_f64_e32 v[14:15], v[14:15], v[44:45]
	v_add_f64_e32 v[44:45], v[42:43], v[52:53]
	s_delay_alu instid0(VALU_DEP_2) | instskip(NEXT) | instid1(VALU_DEP_2)
	v_add_f64_e32 v[14:15], v[46:47], v[14:15]
	v_add_f64_e64 v[42:43], v[44:45], -v[42:43]
	s_delay_alu instid0(VALU_DEP_2) | instskip(NEXT) | instid1(VALU_DEP_2)
	v_add_f64_e32 v[14:15], v[56:57], v[14:15]
	v_add_f64_e64 v[42:43], v[52:53], -v[42:43]
	s_delay_alu instid0(VALU_DEP_2) | instskip(NEXT) | instid1(VALU_DEP_1)
	v_mul_f64_e32 v[14:15], v[50:51], v[14:15]
	v_add_f64_e32 v[14:15], v[42:43], v[14:15]
	s_delay_alu instid0(VALU_DEP_1) | instskip(NEXT) | instid1(VALU_DEP_1)
	v_add_f64_e32 v[42:43], v[44:45], v[14:15]
	v_mul_f64_e32 v[46:47], v[42:43], v[42:43]
	s_delay_alu instid0(VALU_DEP_1) | instskip(SKIP_1) | instid1(VALU_DEP_2)
	v_fmamk_f64 v[48:49], v[46:47], 0x3fc3ab76bf559e2b, v[22:23]
	v_mul_f64_e32 v[50:51], v[42:43], v[46:47]
	v_fmaak_f64 v[48:49], v[46:47], v[48:49], 0x3fc7474dd7f4df2e
	s_delay_alu instid0(VALU_DEP_1) | instskip(NEXT) | instid1(VALU_DEP_1)
	v_fmaak_f64 v[48:49], v[46:47], v[48:49], 0x3fcc71c016291751
	v_fmaak_f64 v[48:49], v[46:47], v[48:49], 0x3fd249249b27acf1
	s_delay_alu instid0(VALU_DEP_1) | instskip(NEXT) | instid1(VALU_DEP_1)
	v_fmaak_f64 v[48:49], v[46:47], v[48:49], 0x3fd99999998ef7b6
	v_fmaak_f64 v[46:47], v[46:47], v[48:49], 0x3fe5555555555780
	v_ldexp_f64 v[48:49], v[42:43], 1
	v_add_f64_e64 v[42:43], v[42:43], -v[44:45]
	s_delay_alu instid0(VALU_DEP_3) | instskip(SKIP_1) | instid1(VALU_DEP_3)
	v_mul_f64_e32 v[46:47], v[50:51], v[46:47]
	v_cvt_f64_i32_e32 v[50:51], v64
	v_add_f64_e64 v[14:15], v[14:15], -v[42:43]
	s_delay_alu instid0(VALU_DEP_3) | instskip(NEXT) | instid1(VALU_DEP_3)
	v_add_f64_e32 v[44:45], v[48:49], v[46:47]
	v_mul_f64_e32 v[52:53], 0x3fe62e42fefa39ef, v[50:51]
	s_delay_alu instid0(VALU_DEP_3) | instskip(NEXT) | instid1(VALU_DEP_3)
	v_ldexp_f64 v[14:15], v[14:15], 1
	v_add_f64_e64 v[42:43], v[44:45], -v[48:49]
	s_delay_alu instid0(VALU_DEP_3) | instskip(NEXT) | instid1(VALU_DEP_2)
	v_fma_f64 v[48:49], v[50:51], s[20:21], -v[52:53]
	v_add_f64_e64 v[42:43], v[46:47], -v[42:43]
	s_delay_alu instid0(VALU_DEP_2) | instskip(NEXT) | instid1(VALU_DEP_2)
	v_fmac_f64_e32 v[48:49], 0x3c7abc9e3b39803f, v[50:51]
	v_add_f64_e32 v[14:15], v[14:15], v[42:43]
	s_delay_alu instid0(VALU_DEP_2) | instskip(NEXT) | instid1(VALU_DEP_2)
	v_add_f64_e32 v[42:43], v[52:53], v[48:49]
	v_add_f64_e32 v[46:47], v[44:45], v[14:15]
	s_delay_alu instid0(VALU_DEP_2) | instskip(NEXT) | instid1(VALU_DEP_2)
	v_add_f64_e64 v[52:53], v[42:43], -v[52:53]
	v_add_f64_e32 v[50:51], v[42:43], v[46:47]
	v_add_f64_e64 v[44:45], v[46:47], -v[44:45]
	s_delay_alu instid0(VALU_DEP_3) | instskip(NEXT) | instid1(VALU_DEP_3)
	v_add_f64_e64 v[48:49], v[48:49], -v[52:53]
	v_add_f64_e64 v[54:55], v[50:51], -v[42:43]
	s_delay_alu instid0(VALU_DEP_3) | instskip(NEXT) | instid1(VALU_DEP_2)
	v_add_f64_e64 v[14:15], v[14:15], -v[44:45]
	v_add_f64_e64 v[56:57], v[50:51], -v[54:55]
	;; [unrolled: 1-line block ×3, first 2 shown]
	s_delay_alu instid0(VALU_DEP_3) | instskip(NEXT) | instid1(VALU_DEP_3)
	v_add_f64_e32 v[46:47], v[48:49], v[14:15]
	v_add_f64_e64 v[42:43], v[42:43], -v[56:57]
	s_delay_alu instid0(VALU_DEP_1) | instskip(NEXT) | instid1(VALU_DEP_3)
	v_add_f64_e32 v[42:43], v[44:45], v[42:43]
	v_add_f64_e64 v[44:45], v[46:47], -v[48:49]
	s_delay_alu instid0(VALU_DEP_2) | instskip(NEXT) | instid1(VALU_DEP_2)
	v_add_f64_e32 v[42:43], v[46:47], v[42:43]
	v_add_f64_e64 v[46:47], v[46:47], -v[44:45]
	v_add_f64_e64 v[14:15], v[14:15], -v[44:45]
	s_delay_alu instid0(VALU_DEP_3) | instskip(NEXT) | instid1(VALU_DEP_3)
	v_add_f64_e32 v[52:53], v[50:51], v[42:43]
	v_add_f64_e64 v[46:47], v[48:49], -v[46:47]
	s_delay_alu instid0(VALU_DEP_2) | instskip(NEXT) | instid1(VALU_DEP_2)
	v_add_f64_e64 v[44:45], v[52:53], -v[50:51]
	v_add_f64_e32 v[14:15], v[14:15], v[46:47]
	s_delay_alu instid0(VALU_DEP_2) | instskip(NEXT) | instid1(VALU_DEP_1)
	v_add_f64_e64 v[42:43], v[42:43], -v[44:45]
	v_add_f64_e32 v[14:15], v[14:15], v[42:43]
	s_delay_alu instid0(VALU_DEP_1) | instskip(NEXT) | instid1(VALU_DEP_1)
	v_add_f64_e32 v[14:15], v[52:53], v[14:15]
	v_mul_f64_e32 v[14:15], 0.5, v[14:15]
	s_delay_alu instid0(VALU_DEP_1) | instskip(SKIP_1) | instid1(VALU_DEP_3)
	v_cndmask_b32_e64 v14, 0, v14, s4
	v_cmp_neq_f64_e64 s4, -1.0, v[40:41]
	v_cndmask_b32_e64 v15, 0x7ff00000, v15, s5
	s_delay_alu instid0(VALU_DEP_1) | instskip(NEXT) | instid1(VALU_DEP_1)
	v_cndmask_b32_e64 v15, 0x7ff80000, v15, s6
	v_cndmask_b32_e64 v15, 0xfff00000, v15, s4
.LBB203_46:                             ;   in Loop: Header=BB203_33 Depth=1
	s_or_b32 exec_lo, exec_lo, s8
.LBB203_47:                             ;   in Loop: Header=BB203_33 Depth=1
	s_delay_alu instid0(SALU_CYCLE_1)
	s_or_b32 exec_lo, exec_lo, s7
	v_max_num_f64_e64 v[40:41], |v[10:11]|, |v[10:11]|
	v_max_num_f64_e64 v[42:43], |v[12:13]|, |v[12:13]|
	v_cmp_class_f64_e64 s7, v[10:11], 0x204
	v_cmp_class_f64_e64 s36, v[12:13], 0x204
	v_cmp_u_f64_e64 s5, v[10:11], v[12:13]
	s_delay_alu instid0(VALU_DEP_4) | instskip(SKIP_1) | instid1(SALU_CYCLE_1)
	v_max_num_f64_e32 v[40:41], v[40:41], v[42:43]
	s_or_b32 s7, s36, s7
	s_or_b32 s5, s7, s5
	s_delay_alu instid0(VALU_DEP_1) | instskip(NEXT) | instid1(VALU_DEP_1)
	v_frexp_exp_i32_f64_e32 v50, v[40:41]
	v_sub_nc_u32_e32 v44, 0, v50
	s_delay_alu instid0(VALU_DEP_1) | instskip(NEXT) | instid1(VALU_DEP_1)
	v_ldexp_f64 v[40:41], |v[12:13]|, v44
	v_mul_f64_e32 v[40:41], v[40:41], v[40:41]
	v_ldexp_f64 v[44:45], |v[10:11]|, v44
	s_delay_alu instid0(VALU_DEP_1) | instskip(NEXT) | instid1(VALU_DEP_1)
	v_fmac_f64_e32 v[40:41], v[44:45], v[44:45]
	v_rsq_f64_e32 v[44:45], v[40:41]
	v_cmp_eq_f64_e64 s4, 0, v[40:41]
	s_delay_alu instid0(TRANS32_DEP_1) | instskip(SKIP_1) | instid1(VALU_DEP_1)
	v_mul_f64_e32 v[46:47], v[40:41], v[44:45]
	v_mul_f64_e32 v[44:45], 0.5, v[44:45]
	v_fma_f64 v[48:49], -v[44:45], v[46:47], 0.5
	s_delay_alu instid0(VALU_DEP_1) | instskip(SKIP_1) | instid1(VALU_DEP_2)
	v_fmac_f64_e32 v[46:47], v[46:47], v[48:49]
	v_fmac_f64_e32 v[44:45], v[44:45], v[48:49]
	v_fma_f64 v[48:49], -v[46:47], v[46:47], v[40:41]
	s_delay_alu instid0(VALU_DEP_1) | instskip(NEXT) | instid1(VALU_DEP_1)
	v_fmac_f64_e32 v[46:47], v[48:49], v[44:45]
	v_dual_cndmask_b32 v45, v47, v41, s4 :: v_dual_cndmask_b32 v44, v46, v40, s4
	v_add_f64_e32 v[40:41], 1.0, v[10:11]
	s_delay_alu instid0(VALU_DEP_2) | instskip(NEXT) | instid1(VALU_DEP_2)
	v_ldexp_f64 v[46:47], v[44:45], v50
	v_max_num_f64_e64 v[44:45], |v[40:41]|, v[42:43]
	v_cmp_u_f64_e64 s4, v[40:41], v[12:13]
	v_cmp_class_f64_e64 s37, v[40:41], 0x204
	s_delay_alu instid0(VALU_DEP_4) | instskip(SKIP_1) | instid1(SALU_CYCLE_1)
	v_cmp_ngt_f64_e64 s6, 0.5, v[46:47]
	s_or_b32 s5, s5, s6
	s_and_saveexec_b32 s6, s5
	s_delay_alu instid0(SALU_CYCLE_1)
	s_xor_b32 s6, exec_lo, s6
	s_cbranch_execz .LBB203_49
; %bb.48:                               ;   in Loop: Header=BB203_33 Depth=1
	v_frexp_exp_i32_f64_e32 v52, v[44:45]
	s_delay_alu instid0(VALU_DEP_1) | instskip(NEXT) | instid1(VALU_DEP_1)
	v_sub_nc_u32_e32 v46, 0, v52
	v_ldexp_f64 v[10:11], |v[12:13]|, v46
	s_delay_alu instid0(VALU_DEP_1) | instskip(SKIP_1) | instid1(VALU_DEP_1)
	v_mul_f64_e32 v[10:11], v[10:11], v[10:11]
	v_ldexp_f64 v[46:47], |v[40:41]|, v46
	v_fmac_f64_e32 v[10:11], v[46:47], v[46:47]
	s_delay_alu instid0(VALU_DEP_1) | instskip(SKIP_1) | instid1(TRANS32_DEP_1)
	v_rsq_f64_e32 v[46:47], v[10:11]
	v_cmp_eq_f64_e64 s5, 0, v[10:11]
	v_mul_f64_e32 v[48:49], v[10:11], v[46:47]
	v_mul_f64_e32 v[46:47], 0.5, v[46:47]
	s_delay_alu instid0(VALU_DEP_1) | instskip(NEXT) | instid1(VALU_DEP_1)
	v_fma_f64 v[50:51], -v[46:47], v[48:49], 0.5
	v_fmac_f64_e32 v[48:49], v[48:49], v[50:51]
	v_fmac_f64_e32 v[46:47], v[46:47], v[50:51]
	s_delay_alu instid0(VALU_DEP_2) | instskip(NEXT) | instid1(VALU_DEP_1)
	v_fma_f64 v[50:51], -v[48:49], v[48:49], v[10:11]
	v_fmac_f64_e32 v[48:49], v[50:51], v[46:47]
	s_delay_alu instid0(VALU_DEP_1) | instskip(SKIP_1) | instid1(VALU_DEP_1)
	v_dual_cndmask_b32 v11, v49, v11, s5 :: v_dual_cndmask_b32 v10, v48, v10, s5
	s_or_b32 s5, s36, s37
	v_ldexp_f64 v[10:11], v[10:11], v52
	s_delay_alu instid0(VALU_DEP_1) | instskip(NEXT) | instid1(VALU_DEP_1)
	v_cndmask_b32_e64 v11, v11, 0x7ff80000, s4
	v_cndmask_b32_e64 v47, v11, 0x7ff00000, s5
	s_or_b32 s5, s5, s4
	s_delay_alu instid0(VALU_DEP_3) | instid1(SALU_CYCLE_1)
	v_cndmask_b32_e64 v46, v10, 0, s5
	s_delay_alu instid0(VALU_DEP_1) | instskip(NEXT) | instid1(VALU_DEP_1)
	v_frexp_mant_f64_e32 v[10:11], v[46:47]
	v_cmp_gt_f64_e64 s5, s[18:19], v[10:11]
	s_delay_alu instid0(VALU_DEP_1) | instskip(NEXT) | instid1(VALU_DEP_1)
	v_cndmask_b32_e64 v48, 0, 1, s5
	v_ldexp_f64 v[10:11], v[10:11], v48
	s_delay_alu instid0(VALU_DEP_1) | instskip(SKIP_1) | instid1(VALU_DEP_2)
	v_add_f64_e32 v[48:49], 1.0, v[10:11]
	v_add_f64_e32 v[54:55], -1.0, v[10:11]
	v_rcp_f64_e32 v[50:51], v[48:49]
	v_add_f64_e32 v[56:57], -1.0, v[48:49]
	s_delay_alu instid0(VALU_DEP_1) | instskip(NEXT) | instid1(TRANS32_DEP_1)
	v_add_f64_e64 v[10:11], v[10:11], -v[56:57]
	v_fma_f64 v[52:53], -v[48:49], v[50:51], 1.0
	s_delay_alu instid0(VALU_DEP_1) | instskip(NEXT) | instid1(VALU_DEP_1)
	v_fmac_f64_e32 v[50:51], v[52:53], v[50:51]
	v_fma_f64 v[52:53], -v[48:49], v[50:51], 1.0
	s_delay_alu instid0(VALU_DEP_1) | instskip(NEXT) | instid1(VALU_DEP_1)
	v_fmac_f64_e32 v[50:51], v[52:53], v[50:51]
	v_mul_f64_e32 v[52:53], v[54:55], v[50:51]
	s_delay_alu instid0(VALU_DEP_1) | instskip(NEXT) | instid1(VALU_DEP_1)
	v_mul_f64_e32 v[58:59], v[48:49], v[52:53]
	v_fma_f64 v[48:49], v[52:53], v[48:49], -v[58:59]
	s_delay_alu instid0(VALU_DEP_1) | instskip(NEXT) | instid1(VALU_DEP_1)
	v_fmac_f64_e32 v[48:49], v[52:53], v[10:11]
	v_add_f64_e32 v[10:11], v[58:59], v[48:49]
	s_delay_alu instid0(VALU_DEP_1) | instskip(SKIP_1) | instid1(VALU_DEP_2)
	v_add_f64_e64 v[56:57], v[54:55], -v[10:11]
	v_add_f64_e64 v[58:59], v[10:11], -v[58:59]
	;; [unrolled: 1-line block ×3, first 2 shown]
	s_delay_alu instid0(VALU_DEP_2) | instskip(SKIP_1) | instid1(VALU_DEP_3)
	v_add_f64_e64 v[48:49], v[58:59], -v[48:49]
	v_frexp_exp_i32_f64_e32 v58, v[46:47]
	v_add_f64_e64 v[10:11], v[54:55], -v[10:11]
	s_delay_alu instid0(VALU_DEP_1) | instskip(NEXT) | instid1(VALU_DEP_1)
	v_add_f64_e32 v[10:11], v[48:49], v[10:11]
	v_add_f64_e32 v[10:11], v[56:57], v[10:11]
	s_delay_alu instid0(VALU_DEP_1) | instskip(NEXT) | instid1(VALU_DEP_1)
	v_mul_f64_e32 v[10:11], v[50:51], v[10:11]
	v_add_f64_e32 v[48:49], v[52:53], v[10:11]
	s_delay_alu instid0(VALU_DEP_1) | instskip(NEXT) | instid1(VALU_DEP_1)
	v_mul_f64_e32 v[50:51], v[48:49], v[48:49]
	v_fmamk_f64 v[54:55], v[50:51], 0x3fc3ab76bf559e2b, v[22:23]
	v_mul_f64_e32 v[56:57], v[48:49], v[50:51]
	s_delay_alu instid0(VALU_DEP_2) | instskip(NEXT) | instid1(VALU_DEP_1)
	v_fmaak_f64 v[54:55], v[50:51], v[54:55], 0x3fc7474dd7f4df2e
	v_fmaak_f64 v[54:55], v[50:51], v[54:55], 0x3fcc71c016291751
	s_delay_alu instid0(VALU_DEP_1) | instskip(NEXT) | instid1(VALU_DEP_1)
	v_fmaak_f64 v[54:55], v[50:51], v[54:55], 0x3fd249249b27acf1
	v_fmaak_f64 v[54:55], v[50:51], v[54:55], 0x3fd99999998ef7b6
	s_delay_alu instid0(VALU_DEP_1) | instskip(SKIP_2) | instid1(VALU_DEP_3)
	v_fmaak_f64 v[50:51], v[50:51], v[54:55], 0x3fe5555555555780
	v_ldexp_f64 v[54:55], v[48:49], 1
	v_add_f64_e64 v[48:49], v[48:49], -v[52:53]
	v_mul_f64_e32 v[50:51], v[56:57], v[50:51]
	v_subrev_co_ci_u32_e64 v56, null, 0, v58, s5
	v_cmp_class_f64_e64 s5, v[46:47], 0x204
	s_delay_alu instid0(VALU_DEP_2) | instskip(SKIP_2) | instid1(VALU_DEP_3)
	v_cvt_f64_i32_e32 v[56:57], v56
	v_add_f64_e64 v[10:11], v[10:11], -v[48:49]
	v_add_f64_e32 v[52:53], v[54:55], v[50:51]
	v_mul_f64_e32 v[58:59], 0x3fe62e42fefa39ef, v[56:57]
	s_delay_alu instid0(VALU_DEP_3) | instskip(NEXT) | instid1(VALU_DEP_3)
	v_ldexp_f64 v[10:11], v[10:11], 1
	v_add_f64_e64 v[48:49], v[52:53], -v[54:55]
	s_delay_alu instid0(VALU_DEP_3) | instskip(NEXT) | instid1(VALU_DEP_2)
	v_fma_f64 v[54:55], v[56:57], s[20:21], -v[58:59]
	v_add_f64_e64 v[48:49], v[50:51], -v[48:49]
	s_delay_alu instid0(VALU_DEP_2) | instskip(NEXT) | instid1(VALU_DEP_2)
	v_fmac_f64_e32 v[54:55], 0x3c7abc9e3b39803f, v[56:57]
	v_add_f64_e32 v[10:11], v[10:11], v[48:49]
	s_delay_alu instid0(VALU_DEP_2) | instskip(NEXT) | instid1(VALU_DEP_2)
	v_add_f64_e32 v[48:49], v[58:59], v[54:55]
	v_add_f64_e32 v[50:51], v[52:53], v[10:11]
	s_delay_alu instid0(VALU_DEP_2) | instskip(NEXT) | instid1(VALU_DEP_2)
	v_add_f64_e64 v[58:59], v[48:49], -v[58:59]
	v_add_f64_e32 v[56:57], v[48:49], v[50:51]
	v_add_f64_e64 v[52:53], v[50:51], -v[52:53]
	s_delay_alu instid0(VALU_DEP_3) | instskip(NEXT) | instid1(VALU_DEP_3)
	v_add_f64_e64 v[54:55], v[54:55], -v[58:59]
	v_add_f64_e64 v[62:63], v[56:57], -v[48:49]
	s_delay_alu instid0(VALU_DEP_3) | instskip(NEXT) | instid1(VALU_DEP_2)
	v_add_f64_e64 v[10:11], v[10:11], -v[52:53]
	v_add_f64_e64 v[64:65], v[56:57], -v[62:63]
	;; [unrolled: 1-line block ×3, first 2 shown]
	s_delay_alu instid0(VALU_DEP_3) | instskip(NEXT) | instid1(VALU_DEP_3)
	v_add_f64_e32 v[52:53], v[54:55], v[10:11]
	v_add_f64_e64 v[48:49], v[48:49], -v[64:65]
	s_delay_alu instid0(VALU_DEP_1) | instskip(NEXT) | instid1(VALU_DEP_3)
	v_add_f64_e32 v[48:49], v[50:51], v[48:49]
	v_add_f64_e64 v[50:51], v[52:53], -v[54:55]
	s_delay_alu instid0(VALU_DEP_2) | instskip(NEXT) | instid1(VALU_DEP_2)
	v_add_f64_e32 v[48:49], v[52:53], v[48:49]
	v_add_f64_e64 v[52:53], v[52:53], -v[50:51]
	v_add_f64_e64 v[10:11], v[10:11], -v[50:51]
	s_delay_alu instid0(VALU_DEP_3) | instskip(NEXT) | instid1(VALU_DEP_3)
	v_add_f64_e32 v[58:59], v[56:57], v[48:49]
	v_add_f64_e64 v[50:51], v[54:55], -v[52:53]
	s_delay_alu instid0(VALU_DEP_2) | instskip(NEXT) | instid1(VALU_DEP_2)
	v_add_f64_e64 v[52:53], v[58:59], -v[56:57]
	v_add_f64_e32 v[10:11], v[10:11], v[50:51]
	s_delay_alu instid0(VALU_DEP_2) | instskip(NEXT) | instid1(VALU_DEP_1)
	v_add_f64_e64 v[48:49], v[48:49], -v[52:53]
	v_add_f64_e32 v[10:11], v[10:11], v[48:49]
	s_delay_alu instid0(VALU_DEP_1) | instskip(NEXT) | instid1(VALU_DEP_1)
	v_add_f64_e32 v[10:11], v[58:59], v[10:11]
	v_dual_cndmask_b32 v10, v10, v46, s5 :: v_dual_cndmask_b32 v11, v11, v47, s5
	v_cmp_ngt_f64_e64 s5, 0, v[46:47]
	s_delay_alu instid0(VALU_DEP_1) | instskip(SKIP_1) | instid1(VALU_DEP_1)
	v_cndmask_b32_e64 v11, 0x7ff80000, v11, s5
	v_cmp_nge_f64_e64 s5, 0, v[46:47]
	v_cndmask_b32_e64 v10, 0, v10, s5
	v_cmp_neq_f64_e64 s5, 0, v[46:47]
	s_delay_alu instid0(VALU_DEP_1)
	v_cndmask_b32_e64 v11, 0xfff00000, v11, s5
.LBB203_49:                             ;   in Loop: Header=BB203_33 Depth=1
	s_and_not1_saveexec_b32 s8, s6
	s_cbranch_execz .LBB203_53
; %bb.50:                               ;   in Loop: Header=BB203_33 Depth=1
	s_delay_alu instid0(VALU_DEP_1) | instskip(SKIP_1) | instid1(VALU_DEP_1)
	v_add_f64_e32 v[46:47], 2.0, v[10:11]
	s_mov_b32 s9, exec_lo
	v_mul_f64_e32 v[46:47], v[10:11], v[46:47]
	s_delay_alu instid0(VALU_DEP_1) | instskip(NEXT) | instid1(VALU_DEP_1)
	v_fmac_f64_e32 v[46:47], v[12:13], v[12:13]
	v_cmpx_neq_f64_e32 0, v[46:47]
	s_cbranch_execz .LBB203_52
; %bb.51:                               ;   in Loop: Header=BB203_33 Depth=1
	v_add_f64_e32 v[10:11], 1.0, v[46:47]
	v_cmp_neq_f64_e64 s6, 0x7ff00000, v[46:47]
	v_cmp_ngt_f64_e64 s7, -1.0, v[46:47]
	s_delay_alu instid0(VALU_DEP_3) | instskip(SKIP_2) | instid1(VALU_DEP_3)
	v_frexp_mant_f64_e32 v[48:49], v[10:11]
	v_add_f64_e32 v[50:51], -1.0, v[10:11]
	v_frexp_exp_i32_f64_e32 v52, v[10:11]
	v_cmp_gt_f64_e64 s5, s[18:19], v[48:49]
	s_delay_alu instid0(VALU_DEP_3) | instskip(SKIP_1) | instid1(VALU_DEP_3)
	v_add_f64_e64 v[48:49], v[50:51], -v[10:11]
	v_add_f64_e64 v[50:51], v[46:47], -v[50:51]
	v_subrev_co_ci_u32_e64 v70, null, 0, v52, s5
	v_cmp_nge_f64_e64 s5, -1.0, v[46:47]
	s_delay_alu instid0(VALU_DEP_2) | instskip(NEXT) | instid1(VALU_DEP_1)
	v_dual_add_f64 v[48:49], 1.0, v[48:49] :: v_dual_sub_nc_u32 v54, 0, v70
	v_ldexp_f64 v[10:11], v[10:11], v54
	s_and_b32 s5, s5, s6
	s_delay_alu instid0(VALU_DEP_2) | instskip(NEXT) | instid1(VALU_DEP_2)
	v_add_f64_e32 v[48:49], v[50:51], v[48:49]
	v_add_f64_e32 v[52:53], 1.0, v[10:11]
	v_add_f64_e32 v[58:59], -1.0, v[10:11]
	s_delay_alu instid0(VALU_DEP_3) | instskip(NEXT) | instid1(VALU_DEP_3)
	v_ldexp_f64 v[48:49], v[48:49], v54
	v_add_f64_e32 v[50:51], -1.0, v[52:53]
	s_delay_alu instid0(VALU_DEP_3) | instskip(NEXT) | instid1(VALU_DEP_2)
	v_add_f64_e32 v[62:63], 1.0, v[58:59]
	v_add_f64_e64 v[50:51], v[10:11], -v[50:51]
	s_delay_alu instid0(VALU_DEP_2) | instskip(NEXT) | instid1(VALU_DEP_2)
	v_add_f64_e64 v[10:11], v[10:11], -v[62:63]
	v_add_f64_e32 v[50:51], v[48:49], v[50:51]
	s_delay_alu instid0(VALU_DEP_2) | instskip(NEXT) | instid1(VALU_DEP_2)
	v_add_f64_e32 v[10:11], v[48:49], v[10:11]
	v_add_f64_e32 v[54:55], v[52:53], v[50:51]
	s_delay_alu instid0(VALU_DEP_2) | instskip(NEXT) | instid1(VALU_DEP_2)
	v_add_f64_e32 v[62:63], v[58:59], v[10:11]
	v_rcp_f64_e32 v[56:57], v[54:55]
	v_add_f64_e64 v[52:53], v[54:55], -v[52:53]
	s_delay_alu instid0(VALU_DEP_2) | instskip(NEXT) | instid1(VALU_DEP_2)
	v_add_f64_e64 v[58:59], v[62:63], -v[58:59]
	v_add_f64_e64 v[50:51], v[50:51], -v[52:53]
	s_delay_alu instid0(VALU_DEP_2) | instskip(NEXT) | instid1(TRANS32_DEP_1)
	v_add_f64_e64 v[10:11], v[10:11], -v[58:59]
	v_fma_f64 v[64:65], -v[54:55], v[56:57], 1.0
	s_delay_alu instid0(VALU_DEP_1) | instskip(NEXT) | instid1(VALU_DEP_1)
	v_fmac_f64_e32 v[56:57], v[64:65], v[56:57]
	v_fma_f64 v[48:49], -v[54:55], v[56:57], 1.0
	s_delay_alu instid0(VALU_DEP_1) | instskip(NEXT) | instid1(VALU_DEP_1)
	v_fmac_f64_e32 v[56:57], v[48:49], v[56:57]
	v_mul_f64_e32 v[48:49], v[62:63], v[56:57]
	s_delay_alu instid0(VALU_DEP_1) | instskip(NEXT) | instid1(VALU_DEP_1)
	v_mul_f64_e32 v[64:65], v[54:55], v[48:49]
	v_fma_f64 v[52:53], v[48:49], v[54:55], -v[64:65]
	s_delay_alu instid0(VALU_DEP_1) | instskip(NEXT) | instid1(VALU_DEP_1)
	v_fmac_f64_e32 v[52:53], v[48:49], v[50:51]
	v_add_f64_e32 v[66:67], v[64:65], v[52:53]
	s_delay_alu instid0(VALU_DEP_1) | instskip(SKIP_1) | instid1(VALU_DEP_2)
	v_add_f64_e64 v[68:69], v[62:63], -v[66:67]
	v_add_f64_e64 v[58:59], v[66:67], -v[64:65]
	v_add_f64_e64 v[62:63], v[62:63], -v[68:69]
	s_delay_alu instid0(VALU_DEP_2) | instskip(NEXT) | instid1(VALU_DEP_2)
	v_add_f64_e64 v[52:53], v[58:59], -v[52:53]
	v_add_f64_e64 v[62:63], v[62:63], -v[66:67]
	s_delay_alu instid0(VALU_DEP_1) | instskip(NEXT) | instid1(VALU_DEP_1)
	v_add_f64_e32 v[10:11], v[10:11], v[62:63]
	v_add_f64_e32 v[10:11], v[52:53], v[10:11]
	s_delay_alu instid0(VALU_DEP_1) | instskip(NEXT) | instid1(VALU_DEP_1)
	v_add_f64_e32 v[52:53], v[68:69], v[10:11]
	v_mul_f64_e32 v[58:59], v[56:57], v[52:53]
	v_add_f64_e64 v[66:67], v[68:69], -v[52:53]
	s_delay_alu instid0(VALU_DEP_2) | instskip(NEXT) | instid1(VALU_DEP_2)
	v_mul_f64_e32 v[62:63], v[54:55], v[58:59]
	v_add_f64_e32 v[10:11], v[10:11], v[66:67]
	s_delay_alu instid0(VALU_DEP_2) | instskip(NEXT) | instid1(VALU_DEP_1)
	v_fma_f64 v[54:55], v[58:59], v[54:55], -v[62:63]
	v_fmac_f64_e32 v[54:55], v[58:59], v[50:51]
	s_delay_alu instid0(VALU_DEP_1) | instskip(NEXT) | instid1(VALU_DEP_1)
	v_add_f64_e32 v[50:51], v[62:63], v[54:55]
	v_add_f64_e64 v[64:65], v[52:53], -v[50:51]
	v_add_f64_e64 v[62:63], v[50:51], -v[62:63]
	s_delay_alu instid0(VALU_DEP_2) | instskip(NEXT) | instid1(VALU_DEP_1)
	v_add_f64_e64 v[52:53], v[52:53], -v[64:65]
	v_add_f64_e64 v[50:51], v[52:53], -v[50:51]
	s_delay_alu instid0(VALU_DEP_3) | instskip(NEXT) | instid1(VALU_DEP_2)
	v_add_f64_e64 v[52:53], v[62:63], -v[54:55]
	v_add_f64_e32 v[10:11], v[10:11], v[50:51]
	v_add_f64_e32 v[50:51], v[48:49], v[58:59]
	s_delay_alu instid0(VALU_DEP_2) | instskip(NEXT) | instid1(VALU_DEP_2)
	v_add_f64_e32 v[10:11], v[52:53], v[10:11]
	v_add_f64_e64 v[48:49], v[50:51], -v[48:49]
	s_delay_alu instid0(VALU_DEP_2) | instskip(NEXT) | instid1(VALU_DEP_2)
	v_add_f64_e32 v[10:11], v[64:65], v[10:11]
	v_add_f64_e64 v[48:49], v[58:59], -v[48:49]
	s_delay_alu instid0(VALU_DEP_2) | instskip(NEXT) | instid1(VALU_DEP_1)
	v_mul_f64_e32 v[10:11], v[56:57], v[10:11]
	v_add_f64_e32 v[10:11], v[48:49], v[10:11]
	s_delay_alu instid0(VALU_DEP_1) | instskip(NEXT) | instid1(VALU_DEP_1)
	v_add_f64_e32 v[48:49], v[50:51], v[10:11]
	v_mul_f64_e32 v[52:53], v[48:49], v[48:49]
	s_delay_alu instid0(VALU_DEP_1) | instskip(SKIP_1) | instid1(VALU_DEP_2)
	v_fmamk_f64 v[54:55], v[52:53], 0x3fc3ab76bf559e2b, v[22:23]
	v_mul_f64_e32 v[56:57], v[48:49], v[52:53]
	v_fmaak_f64 v[54:55], v[52:53], v[54:55], 0x3fc7474dd7f4df2e
	s_delay_alu instid0(VALU_DEP_1) | instskip(NEXT) | instid1(VALU_DEP_1)
	v_fmaak_f64 v[54:55], v[52:53], v[54:55], 0x3fcc71c016291751
	v_fmaak_f64 v[54:55], v[52:53], v[54:55], 0x3fd249249b27acf1
	s_delay_alu instid0(VALU_DEP_1) | instskip(NEXT) | instid1(VALU_DEP_1)
	v_fmaak_f64 v[54:55], v[52:53], v[54:55], 0x3fd99999998ef7b6
	v_fmaak_f64 v[52:53], v[52:53], v[54:55], 0x3fe5555555555780
	v_ldexp_f64 v[54:55], v[48:49], 1
	v_add_f64_e64 v[48:49], v[48:49], -v[50:51]
	s_delay_alu instid0(VALU_DEP_3) | instskip(SKIP_1) | instid1(VALU_DEP_3)
	v_mul_f64_e32 v[52:53], v[56:57], v[52:53]
	v_cvt_f64_i32_e32 v[56:57], v70
	v_add_f64_e64 v[10:11], v[10:11], -v[48:49]
	s_delay_alu instid0(VALU_DEP_3) | instskip(NEXT) | instid1(VALU_DEP_3)
	v_add_f64_e32 v[50:51], v[54:55], v[52:53]
	v_mul_f64_e32 v[58:59], 0x3fe62e42fefa39ef, v[56:57]
	s_delay_alu instid0(VALU_DEP_3) | instskip(NEXT) | instid1(VALU_DEP_3)
	v_ldexp_f64 v[10:11], v[10:11], 1
	v_add_f64_e64 v[48:49], v[50:51], -v[54:55]
	s_delay_alu instid0(VALU_DEP_3) | instskip(NEXT) | instid1(VALU_DEP_2)
	v_fma_f64 v[54:55], v[56:57], s[20:21], -v[58:59]
	v_add_f64_e64 v[48:49], v[52:53], -v[48:49]
	s_delay_alu instid0(VALU_DEP_2) | instskip(NEXT) | instid1(VALU_DEP_2)
	v_fmac_f64_e32 v[54:55], 0x3c7abc9e3b39803f, v[56:57]
	v_add_f64_e32 v[10:11], v[10:11], v[48:49]
	s_delay_alu instid0(VALU_DEP_2) | instskip(NEXT) | instid1(VALU_DEP_2)
	v_add_f64_e32 v[48:49], v[58:59], v[54:55]
	v_add_f64_e32 v[52:53], v[50:51], v[10:11]
	s_delay_alu instid0(VALU_DEP_2) | instskip(NEXT) | instid1(VALU_DEP_2)
	v_add_f64_e64 v[58:59], v[48:49], -v[58:59]
	v_add_f64_e32 v[56:57], v[48:49], v[52:53]
	v_add_f64_e64 v[50:51], v[52:53], -v[50:51]
	s_delay_alu instid0(VALU_DEP_3) | instskip(NEXT) | instid1(VALU_DEP_3)
	v_add_f64_e64 v[54:55], v[54:55], -v[58:59]
	v_add_f64_e64 v[62:63], v[56:57], -v[48:49]
	s_delay_alu instid0(VALU_DEP_3) | instskip(NEXT) | instid1(VALU_DEP_2)
	v_add_f64_e64 v[10:11], v[10:11], -v[50:51]
	v_add_f64_e64 v[64:65], v[56:57], -v[62:63]
	;; [unrolled: 1-line block ×3, first 2 shown]
	s_delay_alu instid0(VALU_DEP_3) | instskip(NEXT) | instid1(VALU_DEP_3)
	v_add_f64_e32 v[52:53], v[54:55], v[10:11]
	v_add_f64_e64 v[48:49], v[48:49], -v[64:65]
	s_delay_alu instid0(VALU_DEP_1) | instskip(NEXT) | instid1(VALU_DEP_3)
	v_add_f64_e32 v[48:49], v[50:51], v[48:49]
	v_add_f64_e64 v[50:51], v[52:53], -v[54:55]
	s_delay_alu instid0(VALU_DEP_2) | instskip(NEXT) | instid1(VALU_DEP_2)
	v_add_f64_e32 v[48:49], v[52:53], v[48:49]
	v_add_f64_e64 v[52:53], v[52:53], -v[50:51]
	v_add_f64_e64 v[10:11], v[10:11], -v[50:51]
	s_delay_alu instid0(VALU_DEP_3) | instskip(NEXT) | instid1(VALU_DEP_3)
	v_add_f64_e32 v[58:59], v[56:57], v[48:49]
	v_add_f64_e64 v[52:53], v[54:55], -v[52:53]
	s_delay_alu instid0(VALU_DEP_2) | instskip(NEXT) | instid1(VALU_DEP_2)
	v_add_f64_e64 v[50:51], v[58:59], -v[56:57]
	v_add_f64_e32 v[10:11], v[10:11], v[52:53]
	s_delay_alu instid0(VALU_DEP_2) | instskip(NEXT) | instid1(VALU_DEP_1)
	v_add_f64_e64 v[48:49], v[48:49], -v[50:51]
	v_add_f64_e32 v[10:11], v[10:11], v[48:49]
	s_delay_alu instid0(VALU_DEP_1) | instskip(NEXT) | instid1(VALU_DEP_1)
	v_add_f64_e32 v[10:11], v[58:59], v[10:11]
	v_mul_f64_e32 v[10:11], 0.5, v[10:11]
	s_delay_alu instid0(VALU_DEP_1) | instskip(SKIP_1) | instid1(VALU_DEP_3)
	v_cndmask_b32_e64 v10, 0, v10, s5
	v_cmp_neq_f64_e64 s5, -1.0, v[46:47]
	v_cndmask_b32_e64 v11, 0x7ff00000, v11, s6
	s_delay_alu instid0(VALU_DEP_1) | instskip(NEXT) | instid1(VALU_DEP_1)
	v_cndmask_b32_e64 v11, 0x7ff80000, v11, s7
	v_cndmask_b32_e64 v11, 0xfff00000, v11, s5
.LBB203_52:                             ;   in Loop: Header=BB203_33 Depth=1
	s_or_b32 exec_lo, exec_lo, s9
.LBB203_53:                             ;   in Loop: Header=BB203_33 Depth=1
	s_delay_alu instid0(SALU_CYCLE_1)
	s_or_b32 exec_lo, exec_lo, s8
	v_max_num_f64_e64 v[46:47], |v[6:7]|, |v[6:7]|
	v_max_num_f64_e64 v[48:49], |v[8:9]|, |v[8:9]|
	v_cmp_class_f64_e64 s8, v[6:7], 0x204
	v_cmp_class_f64_e64 s38, v[8:9], 0x204
	v_cmp_u_f64_e64 s6, v[6:7], v[8:9]
	s_delay_alu instid0(VALU_DEP_4) | instskip(SKIP_1) | instid1(SALU_CYCLE_1)
	v_max_num_f64_e32 v[46:47], v[46:47], v[48:49]
	s_or_b32 s8, s38, s8
	s_or_b32 s6, s8, s6
	s_delay_alu instid0(VALU_DEP_1) | instskip(NEXT) | instid1(VALU_DEP_1)
	v_frexp_exp_i32_f64_e32 v56, v[46:47]
	v_sub_nc_u32_e32 v50, 0, v56
	s_delay_alu instid0(VALU_DEP_1) | instskip(NEXT) | instid1(VALU_DEP_1)
	v_ldexp_f64 v[46:47], |v[8:9]|, v50
	v_mul_f64_e32 v[46:47], v[46:47], v[46:47]
	v_ldexp_f64 v[50:51], |v[6:7]|, v50
	s_delay_alu instid0(VALU_DEP_1) | instskip(NEXT) | instid1(VALU_DEP_1)
	v_fmac_f64_e32 v[46:47], v[50:51], v[50:51]
	v_rsq_f64_e32 v[50:51], v[46:47]
	v_cmp_eq_f64_e64 s5, 0, v[46:47]
	s_delay_alu instid0(TRANS32_DEP_1) | instskip(SKIP_1) | instid1(VALU_DEP_1)
	v_mul_f64_e32 v[52:53], v[46:47], v[50:51]
	v_mul_f64_e32 v[50:51], 0.5, v[50:51]
	v_fma_f64 v[54:55], -v[50:51], v[52:53], 0.5
	s_delay_alu instid0(VALU_DEP_1) | instskip(SKIP_1) | instid1(VALU_DEP_2)
	v_fmac_f64_e32 v[52:53], v[52:53], v[54:55]
	v_fmac_f64_e32 v[50:51], v[50:51], v[54:55]
	v_fma_f64 v[54:55], -v[52:53], v[52:53], v[46:47]
	s_delay_alu instid0(VALU_DEP_1) | instskip(NEXT) | instid1(VALU_DEP_1)
	v_fmac_f64_e32 v[52:53], v[54:55], v[50:51]
	v_dual_cndmask_b32 v51, v53, v47, s5 :: v_dual_cndmask_b32 v50, v52, v46, s5
	v_add_f64_e32 v[46:47], 1.0, v[6:7]
	s_delay_alu instid0(VALU_DEP_2) | instskip(NEXT) | instid1(VALU_DEP_2)
	v_ldexp_f64 v[52:53], v[50:51], v56
	v_max_num_f64_e64 v[50:51], |v[46:47]|, v[48:49]
	v_cmp_u_f64_e64 s5, v[46:47], v[8:9]
	v_cmp_class_f64_e64 s39, v[46:47], 0x204
	s_delay_alu instid0(VALU_DEP_4) | instskip(SKIP_1) | instid1(SALU_CYCLE_1)
	v_cmp_ngt_f64_e64 s7, 0.5, v[52:53]
	s_or_b32 s6, s6, s7
	s_and_saveexec_b32 s7, s6
	s_delay_alu instid0(SALU_CYCLE_1)
	s_xor_b32 s7, exec_lo, s7
	s_cbranch_execz .LBB203_55
; %bb.54:                               ;   in Loop: Header=BB203_33 Depth=1
	v_frexp_exp_i32_f64_e32 v58, v[50:51]
	s_delay_alu instid0(VALU_DEP_1) | instskip(NEXT) | instid1(VALU_DEP_1)
	v_sub_nc_u32_e32 v52, 0, v58
	v_ldexp_f64 v[6:7], |v[8:9]|, v52
	v_ldexp_f64 v[52:53], |v[46:47]|, v52
	s_delay_alu instid0(VALU_DEP_2) | instskip(NEXT) | instid1(VALU_DEP_1)
	v_mul_f64_e32 v[6:7], v[6:7], v[6:7]
	v_fmac_f64_e32 v[6:7], v[52:53], v[52:53]
	s_delay_alu instid0(VALU_DEP_1) | instskip(SKIP_1) | instid1(TRANS32_DEP_1)
	v_rsq_f64_e32 v[52:53], v[6:7]
	v_cmp_eq_f64_e64 s6, 0, v[6:7]
	v_mul_f64_e32 v[54:55], v[6:7], v[52:53]
	v_mul_f64_e32 v[52:53], 0.5, v[52:53]
	s_delay_alu instid0(VALU_DEP_1) | instskip(NEXT) | instid1(VALU_DEP_1)
	v_fma_f64 v[56:57], -v[52:53], v[54:55], 0.5
	v_fmac_f64_e32 v[54:55], v[54:55], v[56:57]
	v_fmac_f64_e32 v[52:53], v[52:53], v[56:57]
	s_delay_alu instid0(VALU_DEP_2) | instskip(NEXT) | instid1(VALU_DEP_1)
	v_fma_f64 v[56:57], -v[54:55], v[54:55], v[6:7]
	v_fmac_f64_e32 v[54:55], v[56:57], v[52:53]
	s_delay_alu instid0(VALU_DEP_1) | instskip(SKIP_1) | instid1(VALU_DEP_1)
	v_dual_cndmask_b32 v7, v55, v7, s6 :: v_dual_cndmask_b32 v6, v54, v6, s6
	s_or_b32 s6, s38, s39
	v_ldexp_f64 v[6:7], v[6:7], v58
	s_delay_alu instid0(VALU_DEP_1) | instskip(NEXT) | instid1(VALU_DEP_1)
	v_cndmask_b32_e64 v7, v7, 0x7ff80000, s5
	v_cndmask_b32_e64 v53, v7, 0x7ff00000, s6
	s_or_b32 s6, s6, s5
	s_delay_alu instid0(VALU_DEP_3) | instid1(SALU_CYCLE_1)
	v_cndmask_b32_e64 v52, v6, 0, s6
	s_delay_alu instid0(VALU_DEP_1) | instskip(NEXT) | instid1(VALU_DEP_1)
	v_frexp_mant_f64_e32 v[6:7], v[52:53]
	v_cmp_gt_f64_e64 s6, s[18:19], v[6:7]
	s_delay_alu instid0(VALU_DEP_1) | instskip(NEXT) | instid1(VALU_DEP_1)
	v_cndmask_b32_e64 v54, 0, 1, s6
	v_ldexp_f64 v[6:7], v[6:7], v54
	s_delay_alu instid0(VALU_DEP_1) | instskip(SKIP_1) | instid1(VALU_DEP_2)
	v_add_f64_e32 v[54:55], 1.0, v[6:7]
	v_add_f64_e32 v[62:63], -1.0, v[6:7]
	v_rcp_f64_e32 v[56:57], v[54:55]
	v_add_f64_e32 v[64:65], -1.0, v[54:55]
	s_delay_alu instid0(VALU_DEP_1) | instskip(NEXT) | instid1(TRANS32_DEP_1)
	v_add_f64_e64 v[6:7], v[6:7], -v[64:65]
	v_fma_f64 v[58:59], -v[54:55], v[56:57], 1.0
	s_delay_alu instid0(VALU_DEP_1) | instskip(NEXT) | instid1(VALU_DEP_1)
	v_fmac_f64_e32 v[56:57], v[58:59], v[56:57]
	v_fma_f64 v[58:59], -v[54:55], v[56:57], 1.0
	s_delay_alu instid0(VALU_DEP_1) | instskip(NEXT) | instid1(VALU_DEP_1)
	v_fmac_f64_e32 v[56:57], v[58:59], v[56:57]
	v_mul_f64_e32 v[58:59], v[62:63], v[56:57]
	s_delay_alu instid0(VALU_DEP_1) | instskip(NEXT) | instid1(VALU_DEP_1)
	v_mul_f64_e32 v[66:67], v[54:55], v[58:59]
	v_fma_f64 v[54:55], v[58:59], v[54:55], -v[66:67]
	s_delay_alu instid0(VALU_DEP_1) | instskip(NEXT) | instid1(VALU_DEP_1)
	v_fmac_f64_e32 v[54:55], v[58:59], v[6:7]
	v_add_f64_e32 v[6:7], v[66:67], v[54:55]
	s_delay_alu instid0(VALU_DEP_1) | instskip(SKIP_1) | instid1(VALU_DEP_2)
	v_add_f64_e64 v[64:65], v[62:63], -v[6:7]
	v_add_f64_e64 v[66:67], v[6:7], -v[66:67]
	;; [unrolled: 1-line block ×3, first 2 shown]
	s_delay_alu instid0(VALU_DEP_2) | instskip(SKIP_1) | instid1(VALU_DEP_3)
	v_add_f64_e64 v[54:55], v[66:67], -v[54:55]
	v_frexp_exp_i32_f64_e32 v66, v[52:53]
	v_add_f64_e64 v[6:7], v[62:63], -v[6:7]
	s_delay_alu instid0(VALU_DEP_1) | instskip(NEXT) | instid1(VALU_DEP_1)
	v_add_f64_e32 v[6:7], v[54:55], v[6:7]
	v_add_f64_e32 v[6:7], v[64:65], v[6:7]
	s_delay_alu instid0(VALU_DEP_1) | instskip(NEXT) | instid1(VALU_DEP_1)
	v_mul_f64_e32 v[6:7], v[56:57], v[6:7]
	v_add_f64_e32 v[54:55], v[58:59], v[6:7]
	s_delay_alu instid0(VALU_DEP_1) | instskip(NEXT) | instid1(VALU_DEP_1)
	v_mul_f64_e32 v[56:57], v[54:55], v[54:55]
	v_fmamk_f64 v[62:63], v[56:57], 0x3fc3ab76bf559e2b, v[22:23]
	v_mul_f64_e32 v[64:65], v[54:55], v[56:57]
	s_delay_alu instid0(VALU_DEP_2) | instskip(NEXT) | instid1(VALU_DEP_1)
	v_fmaak_f64 v[62:63], v[56:57], v[62:63], 0x3fc7474dd7f4df2e
	v_fmaak_f64 v[62:63], v[56:57], v[62:63], 0x3fcc71c016291751
	s_delay_alu instid0(VALU_DEP_1) | instskip(NEXT) | instid1(VALU_DEP_1)
	v_fmaak_f64 v[62:63], v[56:57], v[62:63], 0x3fd249249b27acf1
	v_fmaak_f64 v[62:63], v[56:57], v[62:63], 0x3fd99999998ef7b6
	s_delay_alu instid0(VALU_DEP_1) | instskip(SKIP_2) | instid1(VALU_DEP_3)
	v_fmaak_f64 v[56:57], v[56:57], v[62:63], 0x3fe5555555555780
	v_ldexp_f64 v[62:63], v[54:55], 1
	v_add_f64_e64 v[54:55], v[54:55], -v[58:59]
	v_mul_f64_e32 v[56:57], v[64:65], v[56:57]
	v_subrev_co_ci_u32_e64 v64, null, 0, v66, s6
	v_cmp_class_f64_e64 s6, v[52:53], 0x204
	s_delay_alu instid0(VALU_DEP_2) | instskip(SKIP_2) | instid1(VALU_DEP_3)
	v_cvt_f64_i32_e32 v[64:65], v64
	v_add_f64_e64 v[6:7], v[6:7], -v[54:55]
	v_add_f64_e32 v[58:59], v[62:63], v[56:57]
	v_mul_f64_e32 v[66:67], 0x3fe62e42fefa39ef, v[64:65]
	s_delay_alu instid0(VALU_DEP_3) | instskip(NEXT) | instid1(VALU_DEP_3)
	v_ldexp_f64 v[6:7], v[6:7], 1
	v_add_f64_e64 v[54:55], v[58:59], -v[62:63]
	s_delay_alu instid0(VALU_DEP_3) | instskip(NEXT) | instid1(VALU_DEP_2)
	v_fma_f64 v[62:63], v[64:65], s[20:21], -v[66:67]
	v_add_f64_e64 v[54:55], v[56:57], -v[54:55]
	s_delay_alu instid0(VALU_DEP_2) | instskip(NEXT) | instid1(VALU_DEP_2)
	v_fmac_f64_e32 v[62:63], 0x3c7abc9e3b39803f, v[64:65]
	v_add_f64_e32 v[6:7], v[6:7], v[54:55]
	s_delay_alu instid0(VALU_DEP_2) | instskip(NEXT) | instid1(VALU_DEP_2)
	v_add_f64_e32 v[54:55], v[66:67], v[62:63]
	v_add_f64_e32 v[56:57], v[58:59], v[6:7]
	s_delay_alu instid0(VALU_DEP_2) | instskip(NEXT) | instid1(VALU_DEP_2)
	v_add_f64_e64 v[66:67], v[54:55], -v[66:67]
	v_add_f64_e32 v[64:65], v[54:55], v[56:57]
	v_add_f64_e64 v[58:59], v[56:57], -v[58:59]
	s_delay_alu instid0(VALU_DEP_3) | instskip(NEXT) | instid1(VALU_DEP_3)
	v_add_f64_e64 v[62:63], v[62:63], -v[66:67]
	v_add_f64_e64 v[68:69], v[64:65], -v[54:55]
	s_delay_alu instid0(VALU_DEP_3) | instskip(NEXT) | instid1(VALU_DEP_2)
	v_add_f64_e64 v[6:7], v[6:7], -v[58:59]
	v_add_f64_e64 v[70:71], v[64:65], -v[68:69]
	;; [unrolled: 1-line block ×3, first 2 shown]
	s_delay_alu instid0(VALU_DEP_3) | instskip(NEXT) | instid1(VALU_DEP_3)
	v_add_f64_e32 v[58:59], v[62:63], v[6:7]
	v_add_f64_e64 v[54:55], v[54:55], -v[70:71]
	s_delay_alu instid0(VALU_DEP_1) | instskip(NEXT) | instid1(VALU_DEP_3)
	v_add_f64_e32 v[54:55], v[56:57], v[54:55]
	v_add_f64_e64 v[56:57], v[58:59], -v[62:63]
	s_delay_alu instid0(VALU_DEP_2) | instskip(NEXT) | instid1(VALU_DEP_2)
	v_add_f64_e32 v[54:55], v[58:59], v[54:55]
	v_add_f64_e64 v[58:59], v[58:59], -v[56:57]
	v_add_f64_e64 v[6:7], v[6:7], -v[56:57]
	s_delay_alu instid0(VALU_DEP_3) | instskip(NEXT) | instid1(VALU_DEP_3)
	v_add_f64_e32 v[66:67], v[64:65], v[54:55]
	v_add_f64_e64 v[56:57], v[62:63], -v[58:59]
	s_delay_alu instid0(VALU_DEP_2) | instskip(NEXT) | instid1(VALU_DEP_2)
	v_add_f64_e64 v[58:59], v[66:67], -v[64:65]
	v_add_f64_e32 v[6:7], v[6:7], v[56:57]
	s_delay_alu instid0(VALU_DEP_2) | instskip(NEXT) | instid1(VALU_DEP_1)
	v_add_f64_e64 v[54:55], v[54:55], -v[58:59]
	v_add_f64_e32 v[6:7], v[6:7], v[54:55]
	s_delay_alu instid0(VALU_DEP_1) | instskip(NEXT) | instid1(VALU_DEP_1)
	v_add_f64_e32 v[6:7], v[66:67], v[6:7]
	v_dual_cndmask_b32 v6, v6, v52, s6 :: v_dual_cndmask_b32 v7, v7, v53, s6
	v_cmp_ngt_f64_e64 s6, 0, v[52:53]
	s_delay_alu instid0(VALU_DEP_1) | instskip(SKIP_1) | instid1(VALU_DEP_1)
	v_cndmask_b32_e64 v7, 0x7ff80000, v7, s6
	v_cmp_nge_f64_e64 s6, 0, v[52:53]
	v_cndmask_b32_e64 v6, 0, v6, s6
	v_cmp_neq_f64_e64 s6, 0, v[52:53]
	s_delay_alu instid0(VALU_DEP_1)
	v_cndmask_b32_e64 v7, 0xfff00000, v7, s6
.LBB203_55:                             ;   in Loop: Header=BB203_33 Depth=1
	s_and_not1_saveexec_b32 s9, s7
	s_cbranch_execz .LBB203_59
; %bb.56:                               ;   in Loop: Header=BB203_33 Depth=1
	s_delay_alu instid0(VALU_DEP_1) | instskip(SKIP_1) | instid1(VALU_DEP_1)
	v_add_f64_e32 v[52:53], 2.0, v[6:7]
	s_mov_b32 s10, exec_lo
	v_mul_f64_e32 v[52:53], v[6:7], v[52:53]
	s_delay_alu instid0(VALU_DEP_1) | instskip(NEXT) | instid1(VALU_DEP_1)
	v_fmac_f64_e32 v[52:53], v[8:9], v[8:9]
	v_cmpx_neq_f64_e32 0, v[52:53]
	s_cbranch_execz .LBB203_58
; %bb.57:                               ;   in Loop: Header=BB203_33 Depth=1
	v_add_f64_e32 v[6:7], 1.0, v[52:53]
	v_cmp_neq_f64_e64 s7, 0x7ff00000, v[52:53]
	v_cmp_ngt_f64_e64 s8, -1.0, v[52:53]
	s_delay_alu instid0(VALU_DEP_3) | instskip(SKIP_1) | instid1(VALU_DEP_2)
	v_frexp_mant_f64_e32 v[54:55], v[6:7]
	v_frexp_exp_i32_f64_e32 v58, v[6:7]
	v_cmp_gt_f64_e64 s6, s[18:19], v[54:55]
	s_delay_alu instid0(VALU_DEP_1) | instskip(SKIP_2) | instid1(VALU_DEP_2)
	v_subrev_co_ci_u32_e64 v76, null, 0, v58, s6
	v_add_f64_e32 v[56:57], -1.0, v[6:7]
	v_cmp_nge_f64_e64 s6, -1.0, v[52:53]
	v_dual_add_f64 v[54:55], v[56:57], -v[6:7] :: v_dual_sub_nc_u32 v62, 0, v76
	s_delay_alu instid0(VALU_DEP_1) | instskip(SKIP_2) | instid1(VALU_DEP_3)
	v_ldexp_f64 v[6:7], v[6:7], v62
	s_and_b32 s6, s6, s7
	v_add_f64_e64 v[56:57], v[52:53], -v[56:57]
	v_add_f64_e32 v[54:55], 1.0, v[54:55]
	s_delay_alu instid0(VALU_DEP_3) | instskip(SKIP_1) | instid1(VALU_DEP_3)
	v_add_f64_e32 v[58:59], 1.0, v[6:7]
	v_add_f64_e32 v[66:67], -1.0, v[6:7]
	v_add_f64_e32 v[54:55], v[56:57], v[54:55]
	s_delay_alu instid0(VALU_DEP_3) | instskip(NEXT) | instid1(VALU_DEP_3)
	v_add_f64_e32 v[56:57], -1.0, v[58:59]
	v_add_f64_e32 v[68:69], 1.0, v[66:67]
	s_delay_alu instid0(VALU_DEP_3) | instskip(NEXT) | instid1(VALU_DEP_3)
	v_ldexp_f64 v[54:55], v[54:55], v62
	v_add_f64_e64 v[56:57], v[6:7], -v[56:57]
	s_delay_alu instid0(VALU_DEP_3) | instskip(NEXT) | instid1(VALU_DEP_2)
	v_add_f64_e64 v[6:7], v[6:7], -v[68:69]
	v_add_f64_e32 v[56:57], v[54:55], v[56:57]
	s_delay_alu instid0(VALU_DEP_2) | instskip(NEXT) | instid1(VALU_DEP_2)
	v_add_f64_e32 v[6:7], v[54:55], v[6:7]
	v_add_f64_e32 v[62:63], v[58:59], v[56:57]
	s_delay_alu instid0(VALU_DEP_2) | instskip(NEXT) | instid1(VALU_DEP_2)
	v_add_f64_e32 v[68:69], v[66:67], v[6:7]
	v_rcp_f64_e32 v[64:65], v[62:63]
	v_add_f64_e64 v[58:59], v[62:63], -v[58:59]
	s_delay_alu instid0(VALU_DEP_2) | instskip(NEXT) | instid1(VALU_DEP_2)
	v_add_f64_e64 v[66:67], v[68:69], -v[66:67]
	v_add_f64_e64 v[56:57], v[56:57], -v[58:59]
	s_delay_alu instid0(VALU_DEP_2) | instskip(NEXT) | instid1(TRANS32_DEP_1)
	v_add_f64_e64 v[6:7], v[6:7], -v[66:67]
	v_fma_f64 v[70:71], -v[62:63], v[64:65], 1.0
	s_delay_alu instid0(VALU_DEP_1) | instskip(NEXT) | instid1(VALU_DEP_1)
	v_fmac_f64_e32 v[64:65], v[70:71], v[64:65]
	v_fma_f64 v[54:55], -v[62:63], v[64:65], 1.0
	s_delay_alu instid0(VALU_DEP_1) | instskip(NEXT) | instid1(VALU_DEP_1)
	v_fmac_f64_e32 v[64:65], v[54:55], v[64:65]
	v_mul_f64_e32 v[54:55], v[68:69], v[64:65]
	s_delay_alu instid0(VALU_DEP_1) | instskip(NEXT) | instid1(VALU_DEP_1)
	v_mul_f64_e32 v[70:71], v[62:63], v[54:55]
	v_fma_f64 v[58:59], v[54:55], v[62:63], -v[70:71]
	s_delay_alu instid0(VALU_DEP_1) | instskip(NEXT) | instid1(VALU_DEP_1)
	v_fmac_f64_e32 v[58:59], v[54:55], v[56:57]
	v_add_f64_e32 v[72:73], v[70:71], v[58:59]
	s_delay_alu instid0(VALU_DEP_1) | instskip(SKIP_1) | instid1(VALU_DEP_2)
	v_add_f64_e64 v[74:75], v[68:69], -v[72:73]
	v_add_f64_e64 v[66:67], v[72:73], -v[70:71]
	;; [unrolled: 1-line block ×3, first 2 shown]
	s_delay_alu instid0(VALU_DEP_2) | instskip(NEXT) | instid1(VALU_DEP_2)
	v_add_f64_e64 v[58:59], v[66:67], -v[58:59]
	v_add_f64_e64 v[68:69], v[68:69], -v[72:73]
	s_delay_alu instid0(VALU_DEP_1) | instskip(NEXT) | instid1(VALU_DEP_1)
	v_add_f64_e32 v[6:7], v[6:7], v[68:69]
	v_add_f64_e32 v[6:7], v[58:59], v[6:7]
	s_delay_alu instid0(VALU_DEP_1) | instskip(NEXT) | instid1(VALU_DEP_1)
	v_add_f64_e32 v[58:59], v[74:75], v[6:7]
	v_mul_f64_e32 v[66:67], v[64:65], v[58:59]
	v_add_f64_e64 v[72:73], v[74:75], -v[58:59]
	s_delay_alu instid0(VALU_DEP_2) | instskip(NEXT) | instid1(VALU_DEP_2)
	v_mul_f64_e32 v[68:69], v[62:63], v[66:67]
	v_add_f64_e32 v[6:7], v[6:7], v[72:73]
	s_delay_alu instid0(VALU_DEP_2) | instskip(NEXT) | instid1(VALU_DEP_1)
	v_fma_f64 v[62:63], v[66:67], v[62:63], -v[68:69]
	v_fmac_f64_e32 v[62:63], v[66:67], v[56:57]
	s_delay_alu instid0(VALU_DEP_1) | instskip(NEXT) | instid1(VALU_DEP_1)
	v_add_f64_e32 v[56:57], v[68:69], v[62:63]
	v_add_f64_e64 v[70:71], v[58:59], -v[56:57]
	v_add_f64_e64 v[68:69], v[56:57], -v[68:69]
	s_delay_alu instid0(VALU_DEP_2) | instskip(NEXT) | instid1(VALU_DEP_1)
	v_add_f64_e64 v[58:59], v[58:59], -v[70:71]
	v_add_f64_e64 v[56:57], v[58:59], -v[56:57]
	s_delay_alu instid0(VALU_DEP_3) | instskip(NEXT) | instid1(VALU_DEP_2)
	v_add_f64_e64 v[58:59], v[68:69], -v[62:63]
	v_add_f64_e32 v[6:7], v[6:7], v[56:57]
	v_add_f64_e32 v[56:57], v[54:55], v[66:67]
	s_delay_alu instid0(VALU_DEP_2) | instskip(NEXT) | instid1(VALU_DEP_2)
	v_add_f64_e32 v[6:7], v[58:59], v[6:7]
	v_add_f64_e64 v[54:55], v[56:57], -v[54:55]
	s_delay_alu instid0(VALU_DEP_2) | instskip(NEXT) | instid1(VALU_DEP_2)
	v_add_f64_e32 v[6:7], v[70:71], v[6:7]
	v_add_f64_e64 v[54:55], v[66:67], -v[54:55]
	s_delay_alu instid0(VALU_DEP_2) | instskip(NEXT) | instid1(VALU_DEP_1)
	v_mul_f64_e32 v[6:7], v[64:65], v[6:7]
	v_add_f64_e32 v[6:7], v[54:55], v[6:7]
	s_delay_alu instid0(VALU_DEP_1) | instskip(NEXT) | instid1(VALU_DEP_1)
	v_add_f64_e32 v[54:55], v[56:57], v[6:7]
	v_mul_f64_e32 v[58:59], v[54:55], v[54:55]
	s_delay_alu instid0(VALU_DEP_1) | instskip(SKIP_1) | instid1(VALU_DEP_2)
	v_fmamk_f64 v[62:63], v[58:59], 0x3fc3ab76bf559e2b, v[22:23]
	v_mul_f64_e32 v[64:65], v[54:55], v[58:59]
	v_fmaak_f64 v[62:63], v[58:59], v[62:63], 0x3fc7474dd7f4df2e
	s_delay_alu instid0(VALU_DEP_1) | instskip(NEXT) | instid1(VALU_DEP_1)
	v_fmaak_f64 v[62:63], v[58:59], v[62:63], 0x3fcc71c016291751
	v_fmaak_f64 v[62:63], v[58:59], v[62:63], 0x3fd249249b27acf1
	s_delay_alu instid0(VALU_DEP_1) | instskip(NEXT) | instid1(VALU_DEP_1)
	v_fmaak_f64 v[62:63], v[58:59], v[62:63], 0x3fd99999998ef7b6
	v_fmaak_f64 v[58:59], v[58:59], v[62:63], 0x3fe5555555555780
	v_ldexp_f64 v[62:63], v[54:55], 1
	v_add_f64_e64 v[54:55], v[54:55], -v[56:57]
	s_delay_alu instid0(VALU_DEP_3) | instskip(SKIP_1) | instid1(VALU_DEP_3)
	v_mul_f64_e32 v[58:59], v[64:65], v[58:59]
	v_cvt_f64_i32_e32 v[64:65], v76
	v_add_f64_e64 v[6:7], v[6:7], -v[54:55]
	s_delay_alu instid0(VALU_DEP_3) | instskip(NEXT) | instid1(VALU_DEP_3)
	v_add_f64_e32 v[56:57], v[62:63], v[58:59]
	v_mul_f64_e32 v[66:67], 0x3fe62e42fefa39ef, v[64:65]
	s_delay_alu instid0(VALU_DEP_3) | instskip(NEXT) | instid1(VALU_DEP_3)
	v_ldexp_f64 v[6:7], v[6:7], 1
	v_add_f64_e64 v[54:55], v[56:57], -v[62:63]
	s_delay_alu instid0(VALU_DEP_3) | instskip(NEXT) | instid1(VALU_DEP_2)
	v_fma_f64 v[62:63], v[64:65], s[20:21], -v[66:67]
	v_add_f64_e64 v[54:55], v[58:59], -v[54:55]
	s_delay_alu instid0(VALU_DEP_2) | instskip(NEXT) | instid1(VALU_DEP_2)
	v_fmac_f64_e32 v[62:63], 0x3c7abc9e3b39803f, v[64:65]
	v_add_f64_e32 v[6:7], v[6:7], v[54:55]
	s_delay_alu instid0(VALU_DEP_2) | instskip(NEXT) | instid1(VALU_DEP_2)
	v_add_f64_e32 v[54:55], v[66:67], v[62:63]
	v_add_f64_e32 v[58:59], v[56:57], v[6:7]
	s_delay_alu instid0(VALU_DEP_2) | instskip(NEXT) | instid1(VALU_DEP_2)
	v_add_f64_e64 v[66:67], v[54:55], -v[66:67]
	v_add_f64_e32 v[64:65], v[54:55], v[58:59]
	v_add_f64_e64 v[56:57], v[58:59], -v[56:57]
	s_delay_alu instid0(VALU_DEP_3) | instskip(NEXT) | instid1(VALU_DEP_3)
	v_add_f64_e64 v[62:63], v[62:63], -v[66:67]
	v_add_f64_e64 v[68:69], v[64:65], -v[54:55]
	s_delay_alu instid0(VALU_DEP_3) | instskip(NEXT) | instid1(VALU_DEP_2)
	v_add_f64_e64 v[6:7], v[6:7], -v[56:57]
	v_add_f64_e64 v[70:71], v[64:65], -v[68:69]
	;; [unrolled: 1-line block ×3, first 2 shown]
	s_delay_alu instid0(VALU_DEP_3) | instskip(NEXT) | instid1(VALU_DEP_3)
	v_add_f64_e32 v[58:59], v[62:63], v[6:7]
	v_add_f64_e64 v[54:55], v[54:55], -v[70:71]
	s_delay_alu instid0(VALU_DEP_1) | instskip(NEXT) | instid1(VALU_DEP_3)
	v_add_f64_e32 v[54:55], v[56:57], v[54:55]
	v_add_f64_e64 v[56:57], v[58:59], -v[62:63]
	s_delay_alu instid0(VALU_DEP_2) | instskip(NEXT) | instid1(VALU_DEP_2)
	v_add_f64_e32 v[54:55], v[58:59], v[54:55]
	v_add_f64_e64 v[58:59], v[58:59], -v[56:57]
	v_add_f64_e64 v[6:7], v[6:7], -v[56:57]
	s_delay_alu instid0(VALU_DEP_3) | instskip(NEXT) | instid1(VALU_DEP_3)
	v_add_f64_e32 v[66:67], v[64:65], v[54:55]
	v_add_f64_e64 v[58:59], v[62:63], -v[58:59]
	s_delay_alu instid0(VALU_DEP_2) | instskip(NEXT) | instid1(VALU_DEP_2)
	v_add_f64_e64 v[56:57], v[66:67], -v[64:65]
	v_add_f64_e32 v[6:7], v[6:7], v[58:59]
	s_delay_alu instid0(VALU_DEP_2) | instskip(NEXT) | instid1(VALU_DEP_1)
	v_add_f64_e64 v[54:55], v[54:55], -v[56:57]
	v_add_f64_e32 v[6:7], v[6:7], v[54:55]
	s_delay_alu instid0(VALU_DEP_1) | instskip(NEXT) | instid1(VALU_DEP_1)
	v_add_f64_e32 v[6:7], v[66:67], v[6:7]
	v_mul_f64_e32 v[6:7], 0.5, v[6:7]
	s_delay_alu instid0(VALU_DEP_1) | instskip(SKIP_1) | instid1(VALU_DEP_3)
	v_cndmask_b32_e64 v6, 0, v6, s6
	v_cmp_neq_f64_e64 s6, -1.0, v[52:53]
	v_cndmask_b32_e64 v7, 0x7ff00000, v7, s7
	s_delay_alu instid0(VALU_DEP_1) | instskip(NEXT) | instid1(VALU_DEP_1)
	v_cndmask_b32_e64 v7, 0x7ff80000, v7, s8
	v_cndmask_b32_e64 v7, 0xfff00000, v7, s6
.LBB203_58:                             ;   in Loop: Header=BB203_33 Depth=1
	s_or_b32 exec_lo, exec_lo, s10
.LBB203_59:                             ;   in Loop: Header=BB203_33 Depth=1
	s_delay_alu instid0(SALU_CYCLE_1)
	s_or_b32 exec_lo, exec_lo, s9
	v_max_num_f64_e64 v[52:53], |v[2:3]|, |v[2:3]|
	v_max_num_f64_e64 v[54:55], |v[4:5]|, |v[4:5]|
	v_cmp_class_f64_e64 s9, v[2:3], 0x204
	v_cmp_class_f64_e64 s40, v[4:5], 0x204
	v_cmp_u_f64_e64 s7, v[2:3], v[4:5]
	s_delay_alu instid0(VALU_DEP_4) | instskip(SKIP_1) | instid1(SALU_CYCLE_1)
	v_max_num_f64_e32 v[52:53], v[52:53], v[54:55]
	s_or_b32 s9, s40, s9
	s_or_b32 s7, s9, s7
	s_delay_alu instid0(VALU_DEP_1) | instskip(NEXT) | instid1(VALU_DEP_1)
	v_frexp_exp_i32_f64_e32 v64, v[52:53]
	v_sub_nc_u32_e32 v56, 0, v64
	s_delay_alu instid0(VALU_DEP_1) | instskip(SKIP_1) | instid1(VALU_DEP_2)
	v_ldexp_f64 v[52:53], |v[4:5]|, v56
	v_ldexp_f64 v[56:57], |v[2:3]|, v56
	v_mul_f64_e32 v[52:53], v[52:53], v[52:53]
	s_delay_alu instid0(VALU_DEP_1) | instskip(NEXT) | instid1(VALU_DEP_1)
	v_fmac_f64_e32 v[52:53], v[56:57], v[56:57]
	v_rsq_f64_e32 v[56:57], v[52:53]
	v_cmp_eq_f64_e64 s6, 0, v[52:53]
	s_delay_alu instid0(TRANS32_DEP_1) | instskip(SKIP_1) | instid1(VALU_DEP_1)
	v_mul_f64_e32 v[58:59], v[52:53], v[56:57]
	v_mul_f64_e32 v[56:57], 0.5, v[56:57]
	v_fma_f64 v[62:63], -v[56:57], v[58:59], 0.5
	s_delay_alu instid0(VALU_DEP_1) | instskip(SKIP_1) | instid1(VALU_DEP_2)
	v_fmac_f64_e32 v[58:59], v[58:59], v[62:63]
	v_fmac_f64_e32 v[56:57], v[56:57], v[62:63]
	v_fma_f64 v[62:63], -v[58:59], v[58:59], v[52:53]
	s_delay_alu instid0(VALU_DEP_1) | instskip(NEXT) | instid1(VALU_DEP_1)
	v_fmac_f64_e32 v[58:59], v[62:63], v[56:57]
	v_dual_cndmask_b32 v57, v59, v53, s6 :: v_dual_cndmask_b32 v56, v58, v52, s6
	v_add_f64_e32 v[52:53], 1.0, v[2:3]
	s_delay_alu instid0(VALU_DEP_2) | instskip(NEXT) | instid1(VALU_DEP_2)
	v_ldexp_f64 v[58:59], v[56:57], v64
	v_max_num_f64_e64 v[56:57], |v[52:53]|, v[54:55]
	v_cmp_u_f64_e64 s6, v[52:53], v[4:5]
	v_cmp_class_f64_e64 s41, v[52:53], 0x204
	s_delay_alu instid0(VALU_DEP_4) | instskip(SKIP_1) | instid1(SALU_CYCLE_1)
	v_cmp_ngt_f64_e64 s8, 0.5, v[58:59]
	s_or_b32 s7, s7, s8
	s_and_saveexec_b32 s8, s7
	s_delay_alu instid0(SALU_CYCLE_1)
	s_xor_b32 s8, exec_lo, s8
	s_cbranch_execnz .LBB203_65
; %bb.60:                               ;   in Loop: Header=BB203_33 Depth=1
	s_and_not1_saveexec_b32 s42, s8
	s_cbranch_execnz .LBB203_66
.LBB203_61:                             ;   in Loop: Header=BB203_33 Depth=1
	s_or_b32 exec_lo, exec_lo, s42
	s_and_saveexec_b32 s7, vcc_lo
	s_delay_alu instid0(SALU_CYCLE_1)
	s_xor_b32 s8, exec_lo, s7
	s_cbranch_execnz .LBB203_69
.LBB203_62:                             ;   in Loop: Header=BB203_33 Depth=1
	s_or_b32 exec_lo, exec_lo, s8
	s_and_saveexec_b32 s3, s2
	s_cbranch_execnz .LBB203_70
.LBB203_63:                             ;   in Loop: Header=BB203_33 Depth=1
	s_or_b32 exec_lo, exec_lo, s3
	s_and_saveexec_b32 s2, s1
	s_cbranch_execnz .LBB203_71
.LBB203_64:                             ;   in Loop: Header=BB203_33 Depth=1
	s_or_b32 exec_lo, exec_lo, s2
	s_and_saveexec_b32 s1, s0
	s_cbranch_execz .LBB203_32
	s_branch .LBB203_72
.LBB203_65:                             ;   in Loop: Header=BB203_33 Depth=1
	v_frexp_exp_i32_f64_e32 v66, v[56:57]
	s_delay_alu instid0(VALU_DEP_1) | instskip(NEXT) | instid1(VALU_DEP_1)
	v_sub_nc_u32_e32 v58, 0, v66
	v_ldexp_f64 v[2:3], |v[4:5]|, v58
	v_ldexp_f64 v[58:59], |v[52:53]|, v58
	s_delay_alu instid0(VALU_DEP_2) | instskip(NEXT) | instid1(VALU_DEP_1)
	v_mul_f64_e32 v[2:3], v[2:3], v[2:3]
	v_fmac_f64_e32 v[2:3], v[58:59], v[58:59]
	s_delay_alu instid0(VALU_DEP_1) | instskip(SKIP_1) | instid1(TRANS32_DEP_1)
	v_rsq_f64_e32 v[58:59], v[2:3]
	v_cmp_eq_f64_e64 s7, 0, v[2:3]
	v_mul_f64_e32 v[62:63], v[2:3], v[58:59]
	v_mul_f64_e32 v[58:59], 0.5, v[58:59]
	s_delay_alu instid0(VALU_DEP_1) | instskip(NEXT) | instid1(VALU_DEP_1)
	v_fma_f64 v[64:65], -v[58:59], v[62:63], 0.5
	v_fmac_f64_e32 v[62:63], v[62:63], v[64:65]
	v_fmac_f64_e32 v[58:59], v[58:59], v[64:65]
	s_delay_alu instid0(VALU_DEP_2) | instskip(NEXT) | instid1(VALU_DEP_1)
	v_fma_f64 v[64:65], -v[62:63], v[62:63], v[2:3]
	v_fmac_f64_e32 v[62:63], v[64:65], v[58:59]
	s_delay_alu instid0(VALU_DEP_1) | instskip(SKIP_1) | instid1(VALU_DEP_1)
	v_dual_cndmask_b32 v3, v63, v3, s7 :: v_dual_cndmask_b32 v2, v62, v2, s7
	s_or_b32 s7, s40, s41
	v_ldexp_f64 v[2:3], v[2:3], v66
	s_delay_alu instid0(VALU_DEP_1) | instskip(NEXT) | instid1(VALU_DEP_1)
	v_cndmask_b32_e64 v3, v3, 0x7ff80000, s6
	v_cndmask_b32_e64 v59, v3, 0x7ff00000, s7
	s_or_b32 s7, s7, s6
	s_delay_alu instid0(VALU_DEP_3) | instid1(SALU_CYCLE_1)
	v_cndmask_b32_e64 v58, v2, 0, s7
	s_delay_alu instid0(VALU_DEP_1) | instskip(NEXT) | instid1(VALU_DEP_1)
	v_frexp_mant_f64_e32 v[2:3], v[58:59]
	v_cmp_gt_f64_e64 s7, s[18:19], v[2:3]
	s_delay_alu instid0(VALU_DEP_1) | instskip(NEXT) | instid1(VALU_DEP_1)
	v_cndmask_b32_e64 v62, 0, 1, s7
	v_ldexp_f64 v[2:3], v[2:3], v62
	s_delay_alu instid0(VALU_DEP_1) | instskip(SKIP_1) | instid1(VALU_DEP_2)
	v_add_f64_e32 v[62:63], 1.0, v[2:3]
	v_add_f64_e32 v[68:69], -1.0, v[2:3]
	v_rcp_f64_e32 v[64:65], v[62:63]
	v_add_f64_e32 v[70:71], -1.0, v[62:63]
	s_delay_alu instid0(VALU_DEP_1) | instskip(NEXT) | instid1(TRANS32_DEP_1)
	v_add_f64_e64 v[2:3], v[2:3], -v[70:71]
	v_fma_f64 v[66:67], -v[62:63], v[64:65], 1.0
	s_delay_alu instid0(VALU_DEP_1) | instskip(NEXT) | instid1(VALU_DEP_1)
	v_fmac_f64_e32 v[64:65], v[66:67], v[64:65]
	v_fma_f64 v[66:67], -v[62:63], v[64:65], 1.0
	s_delay_alu instid0(VALU_DEP_1) | instskip(NEXT) | instid1(VALU_DEP_1)
	v_fmac_f64_e32 v[64:65], v[66:67], v[64:65]
	v_mul_f64_e32 v[66:67], v[68:69], v[64:65]
	s_delay_alu instid0(VALU_DEP_1) | instskip(NEXT) | instid1(VALU_DEP_1)
	v_mul_f64_e32 v[72:73], v[62:63], v[66:67]
	v_fma_f64 v[62:63], v[66:67], v[62:63], -v[72:73]
	s_delay_alu instid0(VALU_DEP_1) | instskip(NEXT) | instid1(VALU_DEP_1)
	v_fmac_f64_e32 v[62:63], v[66:67], v[2:3]
	v_add_f64_e32 v[2:3], v[72:73], v[62:63]
	s_delay_alu instid0(VALU_DEP_1) | instskip(SKIP_1) | instid1(VALU_DEP_2)
	v_add_f64_e64 v[70:71], v[68:69], -v[2:3]
	v_add_f64_e64 v[72:73], v[2:3], -v[72:73]
	;; [unrolled: 1-line block ×3, first 2 shown]
	s_delay_alu instid0(VALU_DEP_2) | instskip(SKIP_1) | instid1(VALU_DEP_3)
	v_add_f64_e64 v[62:63], v[72:73], -v[62:63]
	v_frexp_exp_i32_f64_e32 v72, v[58:59]
	v_add_f64_e64 v[2:3], v[68:69], -v[2:3]
	s_delay_alu instid0(VALU_DEP_1) | instskip(NEXT) | instid1(VALU_DEP_1)
	v_add_f64_e32 v[2:3], v[62:63], v[2:3]
	v_add_f64_e32 v[2:3], v[70:71], v[2:3]
	s_delay_alu instid0(VALU_DEP_1) | instskip(NEXT) | instid1(VALU_DEP_1)
	v_mul_f64_e32 v[2:3], v[64:65], v[2:3]
	v_add_f64_e32 v[62:63], v[66:67], v[2:3]
	s_delay_alu instid0(VALU_DEP_1) | instskip(NEXT) | instid1(VALU_DEP_1)
	v_mul_f64_e32 v[64:65], v[62:63], v[62:63]
	v_fmamk_f64 v[68:69], v[64:65], 0x3fc3ab76bf559e2b, v[22:23]
	v_mul_f64_e32 v[70:71], v[62:63], v[64:65]
	s_delay_alu instid0(VALU_DEP_2) | instskip(NEXT) | instid1(VALU_DEP_1)
	v_fmaak_f64 v[68:69], v[64:65], v[68:69], 0x3fc7474dd7f4df2e
	v_fmaak_f64 v[68:69], v[64:65], v[68:69], 0x3fcc71c016291751
	s_delay_alu instid0(VALU_DEP_1) | instskip(NEXT) | instid1(VALU_DEP_1)
	v_fmaak_f64 v[68:69], v[64:65], v[68:69], 0x3fd249249b27acf1
	v_fmaak_f64 v[68:69], v[64:65], v[68:69], 0x3fd99999998ef7b6
	s_delay_alu instid0(VALU_DEP_1) | instskip(SKIP_2) | instid1(VALU_DEP_3)
	v_fmaak_f64 v[64:65], v[64:65], v[68:69], 0x3fe5555555555780
	v_ldexp_f64 v[68:69], v[62:63], 1
	v_add_f64_e64 v[62:63], v[62:63], -v[66:67]
	v_mul_f64_e32 v[64:65], v[70:71], v[64:65]
	v_subrev_co_ci_u32_e64 v70, null, 0, v72, s7
	v_cmp_class_f64_e64 s7, v[58:59], 0x204
	s_delay_alu instid0(VALU_DEP_2) | instskip(SKIP_2) | instid1(VALU_DEP_3)
	v_cvt_f64_i32_e32 v[70:71], v70
	v_add_f64_e64 v[2:3], v[2:3], -v[62:63]
	v_add_f64_e32 v[66:67], v[68:69], v[64:65]
	v_mul_f64_e32 v[72:73], 0x3fe62e42fefa39ef, v[70:71]
	s_delay_alu instid0(VALU_DEP_3) | instskip(NEXT) | instid1(VALU_DEP_3)
	v_ldexp_f64 v[2:3], v[2:3], 1
	v_add_f64_e64 v[62:63], v[66:67], -v[68:69]
	s_delay_alu instid0(VALU_DEP_3) | instskip(NEXT) | instid1(VALU_DEP_2)
	v_fma_f64 v[68:69], v[70:71], s[20:21], -v[72:73]
	v_add_f64_e64 v[62:63], v[64:65], -v[62:63]
	s_delay_alu instid0(VALU_DEP_2) | instskip(NEXT) | instid1(VALU_DEP_2)
	v_fmac_f64_e32 v[68:69], 0x3c7abc9e3b39803f, v[70:71]
	v_add_f64_e32 v[2:3], v[2:3], v[62:63]
	s_delay_alu instid0(VALU_DEP_2) | instskip(NEXT) | instid1(VALU_DEP_2)
	v_add_f64_e32 v[62:63], v[72:73], v[68:69]
	v_add_f64_e32 v[64:65], v[66:67], v[2:3]
	s_delay_alu instid0(VALU_DEP_2) | instskip(NEXT) | instid1(VALU_DEP_2)
	v_add_f64_e64 v[72:73], v[62:63], -v[72:73]
	v_add_f64_e32 v[70:71], v[62:63], v[64:65]
	v_add_f64_e64 v[66:67], v[64:65], -v[66:67]
	s_delay_alu instid0(VALU_DEP_3) | instskip(NEXT) | instid1(VALU_DEP_3)
	v_add_f64_e64 v[68:69], v[68:69], -v[72:73]
	v_add_f64_e64 v[74:75], v[70:71], -v[62:63]
	s_delay_alu instid0(VALU_DEP_3) | instskip(NEXT) | instid1(VALU_DEP_2)
	v_add_f64_e64 v[2:3], v[2:3], -v[66:67]
	v_add_f64_e64 v[76:77], v[70:71], -v[74:75]
	;; [unrolled: 1-line block ×3, first 2 shown]
	s_delay_alu instid0(VALU_DEP_3) | instskip(NEXT) | instid1(VALU_DEP_3)
	v_add_f64_e32 v[66:67], v[68:69], v[2:3]
	v_add_f64_e64 v[62:63], v[62:63], -v[76:77]
	s_delay_alu instid0(VALU_DEP_1) | instskip(NEXT) | instid1(VALU_DEP_3)
	v_add_f64_e32 v[62:63], v[64:65], v[62:63]
	v_add_f64_e64 v[64:65], v[66:67], -v[68:69]
	s_delay_alu instid0(VALU_DEP_2) | instskip(NEXT) | instid1(VALU_DEP_2)
	v_add_f64_e32 v[62:63], v[66:67], v[62:63]
	v_add_f64_e64 v[66:67], v[66:67], -v[64:65]
	v_add_f64_e64 v[2:3], v[2:3], -v[64:65]
	s_delay_alu instid0(VALU_DEP_3) | instskip(NEXT) | instid1(VALU_DEP_3)
	v_add_f64_e32 v[72:73], v[70:71], v[62:63]
	v_add_f64_e64 v[64:65], v[68:69], -v[66:67]
	s_delay_alu instid0(VALU_DEP_2) | instskip(NEXT) | instid1(VALU_DEP_2)
	v_add_f64_e64 v[66:67], v[72:73], -v[70:71]
	v_add_f64_e32 v[2:3], v[2:3], v[64:65]
	s_delay_alu instid0(VALU_DEP_2) | instskip(NEXT) | instid1(VALU_DEP_1)
	v_add_f64_e64 v[62:63], v[62:63], -v[66:67]
	v_add_f64_e32 v[2:3], v[2:3], v[62:63]
	s_delay_alu instid0(VALU_DEP_1) | instskip(NEXT) | instid1(VALU_DEP_1)
	v_add_f64_e32 v[2:3], v[72:73], v[2:3]
	v_dual_cndmask_b32 v2, v2, v58, s7 :: v_dual_cndmask_b32 v3, v3, v59, s7
	v_cmp_ngt_f64_e64 s7, 0, v[58:59]
	s_delay_alu instid0(VALU_DEP_1) | instskip(SKIP_1) | instid1(VALU_DEP_1)
	v_cndmask_b32_e64 v3, 0x7ff80000, v3, s7
	v_cmp_nge_f64_e64 s7, 0, v[58:59]
	v_cndmask_b32_e64 v2, 0, v2, s7
	v_cmp_neq_f64_e64 s7, 0, v[58:59]
	s_delay_alu instid0(VALU_DEP_1)
	v_cndmask_b32_e64 v3, 0xfff00000, v3, s7
	s_and_not1_saveexec_b32 s42, s8
	s_cbranch_execz .LBB203_61
.LBB203_66:                             ;   in Loop: Header=BB203_33 Depth=1
	s_delay_alu instid0(VALU_DEP_1) | instskip(SKIP_1) | instid1(VALU_DEP_1)
	v_add_f64_e32 v[58:59], 2.0, v[2:3]
	s_mov_b32 s43, exec_lo
	v_mul_f64_e32 v[58:59], v[2:3], v[58:59]
	s_delay_alu instid0(VALU_DEP_1) | instskip(NEXT) | instid1(VALU_DEP_1)
	v_fmac_f64_e32 v[58:59], v[4:5], v[4:5]
	v_cmpx_neq_f64_e32 0, v[58:59]
	s_cbranch_execz .LBB203_68
; %bb.67:                               ;   in Loop: Header=BB203_33 Depth=1
	v_add_f64_e32 v[2:3], 1.0, v[58:59]
	v_cmp_ngt_f64_e64 s8, -1.0, v[58:59]
	v_cmp_nge_f64_e64 s9, -1.0, v[58:59]
	v_cmp_neq_f64_e64 s10, -1.0, v[58:59]
	s_delay_alu instid0(VALU_DEP_4) | instskip(SKIP_1) | instid1(VALU_DEP_2)
	v_frexp_mant_f64_e32 v[62:63], v[2:3]
	v_frexp_exp_i32_f64_e32 v64, v[2:3]
	v_cmp_gt_f64_e64 s7, s[18:19], v[62:63]
	v_add_f64_e32 v[62:63], -1.0, v[2:3]
	s_delay_alu instid0(VALU_DEP_2) | instskip(NEXT) | instid1(VALU_DEP_2)
	v_subrev_co_ci_u32_e64 v82, null, 0, v64, s7
	v_add_f64_e64 v[64:65], v[62:63], -v[2:3]
	v_add_f64_e64 v[62:63], v[58:59], -v[62:63]
	v_cmp_neq_f64_e64 s7, 0x7ff00000, v[58:59]
	s_delay_alu instid0(VALU_DEP_3) | instskip(NEXT) | instid1(VALU_DEP_1)
	v_dual_add_f64 v[64:65], 1.0, v[64:65] :: v_dual_sub_nc_u32 v68, 0, v82
	v_ldexp_f64 v[2:3], v[2:3], v68
	s_delay_alu instid0(VALU_DEP_2) | instskip(NEXT) | instid1(VALU_DEP_2)
	v_add_f64_e32 v[62:63], v[62:63], v[64:65]
	v_add_f64_e32 v[66:67], 1.0, v[2:3]
	v_add_f64_e32 v[72:73], -1.0, v[2:3]
	s_delay_alu instid0(VALU_DEP_3) | instskip(NEXT) | instid1(VALU_DEP_3)
	v_ldexp_f64 v[62:63], v[62:63], v68
	v_add_f64_e32 v[64:65], -1.0, v[66:67]
	s_delay_alu instid0(VALU_DEP_3) | instskip(NEXT) | instid1(VALU_DEP_2)
	v_add_f64_e32 v[74:75], 1.0, v[72:73]
	v_add_f64_e64 v[64:65], v[2:3], -v[64:65]
	s_delay_alu instid0(VALU_DEP_2) | instskip(NEXT) | instid1(VALU_DEP_2)
	v_add_f64_e64 v[2:3], v[2:3], -v[74:75]
	v_add_f64_e32 v[64:65], v[62:63], v[64:65]
	s_delay_alu instid0(VALU_DEP_2) | instskip(NEXT) | instid1(VALU_DEP_2)
	v_add_f64_e32 v[2:3], v[62:63], v[2:3]
	v_add_f64_e32 v[68:69], v[66:67], v[64:65]
	s_delay_alu instid0(VALU_DEP_2) | instskip(NEXT) | instid1(VALU_DEP_2)
	v_add_f64_e32 v[74:75], v[72:73], v[2:3]
	v_rcp_f64_e32 v[70:71], v[68:69]
	v_add_f64_e64 v[66:67], v[68:69], -v[66:67]
	s_delay_alu instid0(VALU_DEP_2) | instskip(NEXT) | instid1(VALU_DEP_2)
	v_add_f64_e64 v[72:73], v[74:75], -v[72:73]
	v_add_f64_e64 v[64:65], v[64:65], -v[66:67]
	s_delay_alu instid0(VALU_DEP_2) | instskip(NEXT) | instid1(TRANS32_DEP_1)
	v_add_f64_e64 v[2:3], v[2:3], -v[72:73]
	v_fma_f64 v[76:77], -v[68:69], v[70:71], 1.0
	s_delay_alu instid0(VALU_DEP_1) | instskip(NEXT) | instid1(VALU_DEP_1)
	v_fmac_f64_e32 v[70:71], v[76:77], v[70:71]
	v_fma_f64 v[62:63], -v[68:69], v[70:71], 1.0
	s_delay_alu instid0(VALU_DEP_1) | instskip(NEXT) | instid1(VALU_DEP_1)
	v_fmac_f64_e32 v[70:71], v[62:63], v[70:71]
	v_mul_f64_e32 v[62:63], v[74:75], v[70:71]
	s_delay_alu instid0(VALU_DEP_1) | instskip(NEXT) | instid1(VALU_DEP_1)
	v_mul_f64_e32 v[76:77], v[68:69], v[62:63]
	v_fma_f64 v[66:67], v[62:63], v[68:69], -v[76:77]
	s_delay_alu instid0(VALU_DEP_1) | instskip(NEXT) | instid1(VALU_DEP_1)
	v_fmac_f64_e32 v[66:67], v[62:63], v[64:65]
	v_add_f64_e32 v[78:79], v[76:77], v[66:67]
	s_delay_alu instid0(VALU_DEP_1) | instskip(SKIP_1) | instid1(VALU_DEP_2)
	v_add_f64_e64 v[80:81], v[74:75], -v[78:79]
	v_add_f64_e64 v[72:73], v[78:79], -v[76:77]
	;; [unrolled: 1-line block ×3, first 2 shown]
	s_delay_alu instid0(VALU_DEP_2) | instskip(NEXT) | instid1(VALU_DEP_2)
	v_add_f64_e64 v[66:67], v[72:73], -v[66:67]
	v_add_f64_e64 v[74:75], v[74:75], -v[78:79]
	s_delay_alu instid0(VALU_DEP_1) | instskip(NEXT) | instid1(VALU_DEP_1)
	v_add_f64_e32 v[2:3], v[2:3], v[74:75]
	v_add_f64_e32 v[2:3], v[66:67], v[2:3]
	s_delay_alu instid0(VALU_DEP_1) | instskip(NEXT) | instid1(VALU_DEP_1)
	v_add_f64_e32 v[66:67], v[80:81], v[2:3]
	v_mul_f64_e32 v[72:73], v[70:71], v[66:67]
	v_add_f64_e64 v[78:79], v[80:81], -v[66:67]
	s_delay_alu instid0(VALU_DEP_2) | instskip(NEXT) | instid1(VALU_DEP_2)
	v_mul_f64_e32 v[74:75], v[68:69], v[72:73]
	v_add_f64_e32 v[2:3], v[2:3], v[78:79]
	s_delay_alu instid0(VALU_DEP_2) | instskip(NEXT) | instid1(VALU_DEP_1)
	v_fma_f64 v[68:69], v[72:73], v[68:69], -v[74:75]
	v_fmac_f64_e32 v[68:69], v[72:73], v[64:65]
	s_delay_alu instid0(VALU_DEP_1) | instskip(NEXT) | instid1(VALU_DEP_1)
	v_add_f64_e32 v[64:65], v[74:75], v[68:69]
	v_add_f64_e64 v[76:77], v[66:67], -v[64:65]
	v_add_f64_e64 v[74:75], v[64:65], -v[74:75]
	s_delay_alu instid0(VALU_DEP_2) | instskip(NEXT) | instid1(VALU_DEP_1)
	v_add_f64_e64 v[66:67], v[66:67], -v[76:77]
	v_add_f64_e64 v[64:65], v[66:67], -v[64:65]
	s_delay_alu instid0(VALU_DEP_3) | instskip(NEXT) | instid1(VALU_DEP_2)
	v_add_f64_e64 v[66:67], v[74:75], -v[68:69]
	v_add_f64_e32 v[2:3], v[2:3], v[64:65]
	v_add_f64_e32 v[64:65], v[62:63], v[72:73]
	s_delay_alu instid0(VALU_DEP_2) | instskip(NEXT) | instid1(VALU_DEP_2)
	v_add_f64_e32 v[2:3], v[66:67], v[2:3]
	v_add_f64_e64 v[62:63], v[64:65], -v[62:63]
	s_delay_alu instid0(VALU_DEP_2) | instskip(NEXT) | instid1(VALU_DEP_2)
	v_add_f64_e32 v[2:3], v[76:77], v[2:3]
	v_add_f64_e64 v[62:63], v[72:73], -v[62:63]
	s_delay_alu instid0(VALU_DEP_2) | instskip(NEXT) | instid1(VALU_DEP_1)
	v_mul_f64_e32 v[2:3], v[70:71], v[2:3]
	v_add_f64_e32 v[2:3], v[62:63], v[2:3]
	s_delay_alu instid0(VALU_DEP_1) | instskip(NEXT) | instid1(VALU_DEP_1)
	v_add_f64_e32 v[62:63], v[64:65], v[2:3]
	v_mul_f64_e32 v[66:67], v[62:63], v[62:63]
	s_delay_alu instid0(VALU_DEP_1) | instskip(SKIP_1) | instid1(VALU_DEP_2)
	v_fmamk_f64 v[68:69], v[66:67], 0x3fc3ab76bf559e2b, v[22:23]
	v_mul_f64_e32 v[70:71], v[62:63], v[66:67]
	v_fmaak_f64 v[68:69], v[66:67], v[68:69], 0x3fc7474dd7f4df2e
	s_delay_alu instid0(VALU_DEP_1) | instskip(NEXT) | instid1(VALU_DEP_1)
	v_fmaak_f64 v[68:69], v[66:67], v[68:69], 0x3fcc71c016291751
	v_fmaak_f64 v[68:69], v[66:67], v[68:69], 0x3fd249249b27acf1
	s_delay_alu instid0(VALU_DEP_1) | instskip(NEXT) | instid1(VALU_DEP_1)
	v_fmaak_f64 v[68:69], v[66:67], v[68:69], 0x3fd99999998ef7b6
	v_fmaak_f64 v[66:67], v[66:67], v[68:69], 0x3fe5555555555780
	v_ldexp_f64 v[68:69], v[62:63], 1
	v_add_f64_e64 v[62:63], v[62:63], -v[64:65]
	s_delay_alu instid0(VALU_DEP_3) | instskip(SKIP_1) | instid1(VALU_DEP_3)
	v_mul_f64_e32 v[66:67], v[70:71], v[66:67]
	v_cvt_f64_i32_e32 v[70:71], v82
	v_add_f64_e64 v[2:3], v[2:3], -v[62:63]
	s_delay_alu instid0(VALU_DEP_3) | instskip(NEXT) | instid1(VALU_DEP_3)
	v_add_f64_e32 v[64:65], v[68:69], v[66:67]
	v_mul_f64_e32 v[72:73], 0x3fe62e42fefa39ef, v[70:71]
	s_delay_alu instid0(VALU_DEP_3) | instskip(NEXT) | instid1(VALU_DEP_3)
	v_ldexp_f64 v[2:3], v[2:3], 1
	v_add_f64_e64 v[62:63], v[64:65], -v[68:69]
	s_delay_alu instid0(VALU_DEP_3) | instskip(NEXT) | instid1(VALU_DEP_2)
	v_fma_f64 v[68:69], v[70:71], s[20:21], -v[72:73]
	v_add_f64_e64 v[62:63], v[66:67], -v[62:63]
	s_delay_alu instid0(VALU_DEP_2) | instskip(NEXT) | instid1(VALU_DEP_2)
	v_fmac_f64_e32 v[68:69], 0x3c7abc9e3b39803f, v[70:71]
	v_add_f64_e32 v[2:3], v[2:3], v[62:63]
	s_delay_alu instid0(VALU_DEP_2) | instskip(NEXT) | instid1(VALU_DEP_2)
	v_add_f64_e32 v[62:63], v[72:73], v[68:69]
	v_add_f64_e32 v[66:67], v[64:65], v[2:3]
	s_delay_alu instid0(VALU_DEP_2) | instskip(NEXT) | instid1(VALU_DEP_2)
	v_add_f64_e64 v[72:73], v[62:63], -v[72:73]
	v_add_f64_e32 v[70:71], v[62:63], v[66:67]
	v_add_f64_e64 v[64:65], v[66:67], -v[64:65]
	s_delay_alu instid0(VALU_DEP_3) | instskip(NEXT) | instid1(VALU_DEP_3)
	v_add_f64_e64 v[68:69], v[68:69], -v[72:73]
	v_add_f64_e64 v[74:75], v[70:71], -v[62:63]
	s_delay_alu instid0(VALU_DEP_3) | instskip(NEXT) | instid1(VALU_DEP_2)
	v_add_f64_e64 v[2:3], v[2:3], -v[64:65]
	v_add_f64_e64 v[76:77], v[70:71], -v[74:75]
	;; [unrolled: 1-line block ×3, first 2 shown]
	s_delay_alu instid0(VALU_DEP_3) | instskip(NEXT) | instid1(VALU_DEP_3)
	v_add_f64_e32 v[66:67], v[68:69], v[2:3]
	v_add_f64_e64 v[62:63], v[62:63], -v[76:77]
	s_delay_alu instid0(VALU_DEP_1) | instskip(NEXT) | instid1(VALU_DEP_3)
	v_add_f64_e32 v[62:63], v[64:65], v[62:63]
	v_add_f64_e64 v[64:65], v[66:67], -v[68:69]
	s_delay_alu instid0(VALU_DEP_2) | instskip(NEXT) | instid1(VALU_DEP_2)
	v_add_f64_e32 v[62:63], v[66:67], v[62:63]
	v_add_f64_e64 v[66:67], v[66:67], -v[64:65]
	v_add_f64_e64 v[2:3], v[2:3], -v[64:65]
	s_delay_alu instid0(VALU_DEP_3) | instskip(NEXT) | instid1(VALU_DEP_3)
	v_add_f64_e32 v[72:73], v[70:71], v[62:63]
	v_add_f64_e64 v[64:65], v[68:69], -v[66:67]
	s_delay_alu instid0(VALU_DEP_2) | instskip(NEXT) | instid1(VALU_DEP_2)
	v_add_f64_e64 v[66:67], v[72:73], -v[70:71]
	v_add_f64_e32 v[2:3], v[2:3], v[64:65]
	s_delay_alu instid0(VALU_DEP_2) | instskip(NEXT) | instid1(VALU_DEP_1)
	v_add_f64_e64 v[62:63], v[62:63], -v[66:67]
	v_add_f64_e32 v[2:3], v[2:3], v[62:63]
	s_delay_alu instid0(VALU_DEP_1) | instskip(NEXT) | instid1(VALU_DEP_1)
	v_add_f64_e32 v[2:3], v[72:73], v[2:3]
	v_mul_f64_e32 v[2:3], 0.5, v[2:3]
	s_delay_alu instid0(VALU_DEP_1)
	v_cndmask_b32_e64 v3, 0x7ff00000, v3, s7
	s_and_b32 s7, s9, s7
	s_delay_alu instid0(VALU_DEP_2) | instid1(SALU_CYCLE_1)
	v_cndmask_b32_e64 v2, 0, v2, s7
	s_delay_alu instid0(VALU_DEP_2) | instskip(NEXT) | instid1(VALU_DEP_1)
	v_cndmask_b32_e64 v3, 0x7ff80000, v3, s8
	v_cndmask_b32_e64 v3, 0xfff00000, v3, s10
.LBB203_68:                             ;   in Loop: Header=BB203_33 Depth=1
	s_or_b32 exec_lo, exec_lo, s43
	s_delay_alu instid0(SALU_CYCLE_1) | instskip(SKIP_1) | instid1(SALU_CYCLE_1)
	s_or_b32 exec_lo, exec_lo, s42
	s_and_saveexec_b32 s7, vcc_lo
	s_xor_b32 s8, exec_lo, s7
	s_cbranch_execz .LBB203_62
.LBB203_69:                             ;   in Loop: Header=BB203_33 Depth=1
	v_max_num_f64_e64 v[58:59], |v[34:35]|, |v[34:35]|
	v_cmp_eq_f64_e64 s7, 0, v[16:17]
	v_lshl_add_u64 v[32:33], v[32:33], 4, s[16:17]
	s_delay_alu instid0(VALU_DEP_3) | instskip(NEXT) | instid1(VALU_DEP_1)
	v_min_num_f64_e32 v[36:37], v[58:59], v[36:37]
	v_div_scale_f64 v[58:59], null, v[38:39], v[38:39], v[36:37]
	v_div_scale_f64 v[66:67], vcc_lo, v[36:37], v[38:39], v[36:37]
	s_delay_alu instid0(VALU_DEP_2) | instskip(SKIP_1) | instid1(TRANS32_DEP_1)
	v_rcp_f64_e32 v[62:63], v[58:59]
	v_nop
	v_fma_f64 v[64:65], -v[58:59], v[62:63], 1.0
	s_delay_alu instid0(VALU_DEP_1) | instskip(NEXT) | instid1(VALU_DEP_1)
	v_fmac_f64_e32 v[62:63], v[62:63], v[64:65]
	v_fma_f64 v[64:65], -v[58:59], v[62:63], 1.0
	s_delay_alu instid0(VALU_DEP_1) | instskip(NEXT) | instid1(VALU_DEP_1)
	v_fmac_f64_e32 v[62:63], v[62:63], v[64:65]
	v_mul_f64_e32 v[64:65], v[66:67], v[62:63]
	s_delay_alu instid0(VALU_DEP_1) | instskip(NEXT) | instid1(VALU_DEP_1)
	v_fma_f64 v[58:59], -v[58:59], v[64:65], v[66:67]
	v_div_fmas_f64 v[58:59], v[58:59], v[62:63], v[64:65]
	v_cmp_lt_f64_e64 vcc_lo, |v[34:35]|, |v[16:17]|
	v_ashrrev_i32_e32 v34, 31, v35
	s_delay_alu instid0(VALU_DEP_1) | instskip(NEXT) | instid1(VALU_DEP_4)
	v_and_b32_e32 v16, 0x400921fb, v34
	v_div_fixup_f64 v[36:37], v[58:59], v[38:39], v[36:37]
	s_delay_alu instid0(VALU_DEP_1) | instskip(NEXT) | instid1(VALU_DEP_1)
	v_mul_f64_e32 v[38:39], v[36:37], v[36:37]
	v_fmamk_f64 v[58:59], v[38:39], 0x3eeba404b5e68a13, v[24:25]
	s_delay_alu instid0(VALU_DEP_1) | instskip(NEXT) | instid1(VALU_DEP_1)
	v_fmaak_f64 v[58:59], v[38:39], v[58:59], 0x3f4b2bb069efb384
	v_fmaak_f64 v[58:59], v[38:39], v[58:59], 0xbf67952daf56de9b
	s_delay_alu instid0(VALU_DEP_1) | instskip(NEXT) | instid1(VALU_DEP_1)
	v_fmaak_f64 v[58:59], v[38:39], v[58:59], 0x3f7d6d43a595c56f
	v_fmaak_f64 v[58:59], v[38:39], v[58:59], 0xbf8c6ea4a57d9582
	;; [unrolled: 3-line block ×9, first 2 shown]
	s_delay_alu instid0(VALU_DEP_1) | instskip(SKIP_1) | instid1(VALU_DEP_2)
	v_mul_f64_e32 v[38:39], v[38:39], v[58:59]
	v_and_b32_e32 v58, 0x54442d18, v34
	v_fmac_f64_e32 v[36:37], v[36:37], v[38:39]
	s_delay_alu instid0(VALU_DEP_1) | instskip(NEXT) | instid1(VALU_DEP_1)
	v_add_f64_e64 v[38:39], -v[36:37], s[26:27]
	v_dual_cndmask_b32 v37, v37, v39 :: v_dual_cndmask_b32 v36, v36, v38
	v_cmp_gt_i32_e32 vcc_lo, 0, v35
	s_delay_alu instid0(VALU_DEP_2) | instskip(SKIP_1) | instid1(VALU_DEP_2)
	v_add_f64_e64 v[38:39], -v[36:37], s[28:29]
	v_cndmask_b32_e32 v35, 0x54442d18, v60, vcc_lo
	v_dual_cndmask_b32 v34, v37, v39, vcc_lo :: v_dual_cndmask_b32 v36, v36, v38, vcc_lo
	v_cndmask_b32_e32 v37, 0x3fe921fb, v61, vcc_lo
	s_and_b32 vcc_lo, s11, s33
	s_delay_alu instid0(VALU_DEP_2) | instskip(NEXT) | instid1(VALU_DEP_1)
	v_dual_cndmask_b32 v16, v34, v16, s7 :: v_dual_cndmask_b32 v36, v36, v58, s7
	v_cndmask_b32_e32 v16, v16, v37, vcc_lo
	s_delay_alu instid0(VALU_DEP_2) | instskip(NEXT) | instid1(VALU_DEP_2)
	v_cndmask_b32_e32 v34, v36, v35, vcc_lo
	v_cndmask_b32_e64 v35, v16, 0x7ff80000, s3
	s_delay_alu instid0(VALU_DEP_2) | instskip(NEXT) | instid1(VALU_DEP_2)
	v_cndmask_b32_e64 v16, v34, 0, s3
	v_bfi_b32 v17, 0x7fffffff, v35, v17
	global_store_b128 v[32:33], v[14:17], off
	s_wait_xcnt 0x0
	s_or_b32 exec_lo, exec_lo, s8
	s_and_saveexec_b32 s3, s2
	s_cbranch_execz .LBB203_63
.LBB203_70:                             ;   in Loop: Header=BB203_33 Depth=1
	v_max_num_f64_e64 v[14:15], |v[40:41]|, |v[40:41]|
	v_cmp_eq_f64_e64 s2, 0, v[12:13]
	s_delay_alu instid0(VALU_DEP_2) | instskip(NEXT) | instid1(VALU_DEP_1)
	v_min_num_f64_e32 v[14:15], v[14:15], v[42:43]
	v_div_scale_f64 v[16:17], null, v[44:45], v[44:45], v[14:15]
	v_div_scale_f64 v[36:37], vcc_lo, v[14:15], v[44:45], v[14:15]
	s_delay_alu instid0(VALU_DEP_2) | instskip(SKIP_1) | instid1(TRANS32_DEP_1)
	v_rcp_f64_e32 v[32:33], v[16:17]
	v_nop
	v_fma_f64 v[34:35], -v[16:17], v[32:33], 1.0
	s_delay_alu instid0(VALU_DEP_1) | instskip(NEXT) | instid1(VALU_DEP_1)
	v_fmac_f64_e32 v[32:33], v[32:33], v[34:35]
	v_fma_f64 v[34:35], -v[16:17], v[32:33], 1.0
	s_delay_alu instid0(VALU_DEP_1) | instskip(NEXT) | instid1(VALU_DEP_1)
	v_fmac_f64_e32 v[32:33], v[32:33], v[34:35]
	v_mul_f64_e32 v[34:35], v[36:37], v[32:33]
	s_delay_alu instid0(VALU_DEP_1) | instskip(NEXT) | instid1(VALU_DEP_1)
	v_fma_f64 v[16:17], -v[16:17], v[34:35], v[36:37]
	v_div_fmas_f64 v[16:17], v[16:17], v[32:33], v[34:35]
	v_cmp_lt_f64_e64 vcc_lo, |v[40:41]|, |v[12:13]|
	s_delay_alu instid0(VALU_DEP_2) | instskip(NEXT) | instid1(VALU_DEP_1)
	v_div_fixup_f64 v[14:15], v[16:17], v[44:45], v[14:15]
	v_mul_f64_e32 v[16:17], v[14:15], v[14:15]
	s_delay_alu instid0(VALU_DEP_1) | instskip(NEXT) | instid1(VALU_DEP_1)
	v_fmamk_f64 v[32:33], v[16:17], 0x3eeba404b5e68a13, v[24:25]
	v_fmaak_f64 v[32:33], v[16:17], v[32:33], 0x3f4b2bb069efb384
	s_delay_alu instid0(VALU_DEP_1) | instskip(NEXT) | instid1(VALU_DEP_1)
	v_fmaak_f64 v[32:33], v[16:17], v[32:33], 0xbf67952daf56de9b
	v_fmaak_f64 v[32:33], v[16:17], v[32:33], 0x3f7d6d43a595c56f
	s_delay_alu instid0(VALU_DEP_1) | instskip(NEXT) | instid1(VALU_DEP_1)
	v_fmaak_f64 v[32:33], v[16:17], v[32:33], 0xbf8c6ea4a57d9582
	;; [unrolled: 3-line block ×9, first 2 shown]
	v_mul_f64_e32 v[16:17], v[16:17], v[32:33]
	v_ashrrev_i32_e32 v32, 31, v41
	s_delay_alu instid0(VALU_DEP_1) | instskip(SKIP_1) | instid1(VALU_DEP_4)
	v_and_b32_e32 v12, 0x400921fb, v32
	v_and_b32_e32 v34, 0x54442d18, v32
	v_fmac_f64_e32 v[14:15], v[14:15], v[16:17]
	s_delay_alu instid0(VALU_DEP_1) | instskip(NEXT) | instid1(VALU_DEP_1)
	v_add_f64_e64 v[16:17], -v[14:15], s[26:27]
	v_dual_cndmask_b32 v15, v15, v17 :: v_dual_cndmask_b32 v14, v14, v16
	v_cmp_gt_i32_e32 vcc_lo, 0, v41
	s_delay_alu instid0(VALU_DEP_2) | instskip(SKIP_1) | instid1(VALU_DEP_2)
	v_add_f64_e64 v[16:17], -v[14:15], s[28:29]
	v_cndmask_b32_e32 v33, 0x54442d18, v60, vcc_lo
	v_dual_cndmask_b32 v14, v14, v16 :: v_dual_cndmask_b32 v15, v15, v17
	v_cndmask_b32_e32 v16, 0x3fe921fb, v61, vcc_lo
	s_and_b32 vcc_lo, s36, s37
	s_delay_alu instid0(VALU_DEP_2) | instskip(NEXT) | instid1(VALU_DEP_1)
	v_dual_cndmask_b32 v14, v14, v34, s2 :: v_dual_cndmask_b32 v12, v15, v12, s2
	v_dual_cndmask_b32 v14, v14, v33, vcc_lo :: v_dual_cndmask_b32 v12, v12, v16, vcc_lo
	s_delay_alu instid0(VALU_DEP_1) | instskip(NEXT) | instid1(VALU_DEP_2)
	v_cndmask_b32_e64 v15, v12, 0x7ff80000, s4
	v_cndmask_b32_e64 v12, v14, 0, s4
	s_delay_alu instid0(VALU_DEP_2)
	v_bfi_b32 v13, 0x7fffffff, v15, v13
	v_lshl_add_u64 v[14:15], v[30:31], 4, s[16:17]
	global_store_b128 v[14:15], v[10:13], off
	s_wait_xcnt 0x0
	s_or_b32 exec_lo, exec_lo, s3
	s_and_saveexec_b32 s2, s1
	s_cbranch_execz .LBB203_64
.LBB203_71:                             ;   in Loop: Header=BB203_33 Depth=1
	v_max_num_f64_e64 v[10:11], |v[46:47]|, |v[46:47]|
	v_cmp_eq_f64_e64 s1, 0, v[8:9]
	s_delay_alu instid0(VALU_DEP_2) | instskip(NEXT) | instid1(VALU_DEP_1)
	v_min_num_f64_e32 v[10:11], v[10:11], v[48:49]
	v_div_scale_f64 v[12:13], null, v[50:51], v[50:51], v[10:11]
	v_div_scale_f64 v[30:31], vcc_lo, v[10:11], v[50:51], v[10:11]
	s_delay_alu instid0(VALU_DEP_2) | instskip(SKIP_1) | instid1(TRANS32_DEP_1)
	v_rcp_f64_e32 v[14:15], v[12:13]
	v_nop
	v_fma_f64 v[16:17], -v[12:13], v[14:15], 1.0
	s_delay_alu instid0(VALU_DEP_1) | instskip(NEXT) | instid1(VALU_DEP_1)
	v_fmac_f64_e32 v[14:15], v[14:15], v[16:17]
	v_fma_f64 v[16:17], -v[12:13], v[14:15], 1.0
	s_delay_alu instid0(VALU_DEP_1) | instskip(NEXT) | instid1(VALU_DEP_1)
	v_fmac_f64_e32 v[14:15], v[14:15], v[16:17]
	v_mul_f64_e32 v[16:17], v[30:31], v[14:15]
	s_delay_alu instid0(VALU_DEP_1) | instskip(NEXT) | instid1(VALU_DEP_1)
	v_fma_f64 v[12:13], -v[12:13], v[16:17], v[30:31]
	v_div_fmas_f64 v[12:13], v[12:13], v[14:15], v[16:17]
	v_cmp_lt_f64_e64 vcc_lo, |v[46:47]|, |v[8:9]|
	s_delay_alu instid0(VALU_DEP_2) | instskip(NEXT) | instid1(VALU_DEP_1)
	v_div_fixup_f64 v[10:11], v[12:13], v[50:51], v[10:11]
	v_mul_f64_e32 v[12:13], v[10:11], v[10:11]
	s_delay_alu instid0(VALU_DEP_1) | instskip(NEXT) | instid1(VALU_DEP_1)
	v_fmamk_f64 v[14:15], v[12:13], 0x3eeba404b5e68a13, v[24:25]
	v_fmaak_f64 v[14:15], v[12:13], v[14:15], 0x3f4b2bb069efb384
	s_delay_alu instid0(VALU_DEP_1) | instskip(NEXT) | instid1(VALU_DEP_1)
	v_fmaak_f64 v[14:15], v[12:13], v[14:15], 0xbf67952daf56de9b
	v_fmaak_f64 v[14:15], v[12:13], v[14:15], 0x3f7d6d43a595c56f
	s_delay_alu instid0(VALU_DEP_1) | instskip(NEXT) | instid1(VALU_DEP_1)
	v_fmaak_f64 v[14:15], v[12:13], v[14:15], 0xbf8c6ea4a57d9582
	;; [unrolled: 3-line block ×9, first 2 shown]
	v_mul_f64_e32 v[12:13], v[12:13], v[14:15]
	v_ashrrev_i32_e32 v14, 31, v47
	s_delay_alu instid0(VALU_DEP_1) | instskip(SKIP_1) | instid1(VALU_DEP_4)
	v_and_b32_e32 v8, 0x400921fb, v14
	v_and_b32_e32 v16, 0x54442d18, v14
	v_fmac_f64_e32 v[10:11], v[10:11], v[12:13]
	s_delay_alu instid0(VALU_DEP_1) | instskip(NEXT) | instid1(VALU_DEP_1)
	v_add_f64_e64 v[12:13], -v[10:11], s[26:27]
	v_dual_cndmask_b32 v11, v11, v13 :: v_dual_cndmask_b32 v10, v10, v12
	v_cmp_gt_i32_e32 vcc_lo, 0, v47
	s_delay_alu instid0(VALU_DEP_2) | instskip(SKIP_1) | instid1(VALU_DEP_2)
	v_add_f64_e64 v[12:13], -v[10:11], s[28:29]
	v_cndmask_b32_e32 v15, 0x54442d18, v60, vcc_lo
	v_dual_cndmask_b32 v10, v10, v12 :: v_dual_cndmask_b32 v11, v11, v13
	v_cndmask_b32_e32 v12, 0x3fe921fb, v61, vcc_lo
	s_and_b32 vcc_lo, s38, s39
	s_delay_alu instid0(VALU_DEP_2) | instskip(NEXT) | instid1(VALU_DEP_1)
	v_cndmask_b32_e64 v10, v10, v16, s1
	v_dual_cndmask_b32 v8, v11, v8, s1 :: v_dual_cndmask_b32 v10, v10, v15, vcc_lo
	s_delay_alu instid0(VALU_DEP_1) | instskip(NEXT) | instid1(VALU_DEP_1)
	v_cndmask_b32_e32 v8, v8, v12, vcc_lo
	v_cndmask_b32_e64 v11, v8, 0x7ff80000, s5
	s_delay_alu instid0(VALU_DEP_3) | instskip(NEXT) | instid1(VALU_DEP_2)
	v_cndmask_b32_e64 v8, v10, 0, s5
	v_bfi_b32 v9, 0x7fffffff, v11, v9
	v_lshl_add_u64 v[10:11], v[28:29], 4, s[16:17]
	global_store_b128 v[10:11], v[6:9], off
	s_wait_xcnt 0x0
	s_or_b32 exec_lo, exec_lo, s2
	s_and_saveexec_b32 s1, s0
	s_cbranch_execz .LBB203_32
.LBB203_72:                             ;   in Loop: Header=BB203_33 Depth=1
	v_max_num_f64_e64 v[6:7], |v[52:53]|, |v[52:53]|
	v_cmp_eq_f64_e64 s0, 0, v[4:5]
	s_delay_alu instid0(VALU_DEP_2) | instskip(NEXT) | instid1(VALU_DEP_1)
	v_min_num_f64_e32 v[6:7], v[6:7], v[54:55]
	v_div_scale_f64 v[8:9], null, v[56:57], v[56:57], v[6:7]
	v_div_scale_f64 v[14:15], vcc_lo, v[6:7], v[56:57], v[6:7]
	s_delay_alu instid0(VALU_DEP_2) | instskip(SKIP_1) | instid1(TRANS32_DEP_1)
	v_rcp_f64_e32 v[10:11], v[8:9]
	v_nop
	v_fma_f64 v[12:13], -v[8:9], v[10:11], 1.0
	s_delay_alu instid0(VALU_DEP_1) | instskip(NEXT) | instid1(VALU_DEP_1)
	v_fmac_f64_e32 v[10:11], v[10:11], v[12:13]
	v_fma_f64 v[12:13], -v[8:9], v[10:11], 1.0
	s_delay_alu instid0(VALU_DEP_1) | instskip(NEXT) | instid1(VALU_DEP_1)
	v_fmac_f64_e32 v[10:11], v[10:11], v[12:13]
	v_mul_f64_e32 v[12:13], v[14:15], v[10:11]
	s_delay_alu instid0(VALU_DEP_1) | instskip(NEXT) | instid1(VALU_DEP_1)
	v_fma_f64 v[8:9], -v[8:9], v[12:13], v[14:15]
	v_div_fmas_f64 v[8:9], v[8:9], v[10:11], v[12:13]
	v_cmp_lt_f64_e64 vcc_lo, |v[52:53]|, |v[4:5]|
	s_delay_alu instid0(VALU_DEP_2) | instskip(NEXT) | instid1(VALU_DEP_1)
	v_div_fixup_f64 v[6:7], v[8:9], v[56:57], v[6:7]
	v_mul_f64_e32 v[8:9], v[6:7], v[6:7]
	s_delay_alu instid0(VALU_DEP_1) | instskip(NEXT) | instid1(VALU_DEP_1)
	v_fmamk_f64 v[10:11], v[8:9], 0x3eeba404b5e68a13, v[24:25]
	v_fmaak_f64 v[10:11], v[8:9], v[10:11], 0x3f4b2bb069efb384
	s_delay_alu instid0(VALU_DEP_1) | instskip(NEXT) | instid1(VALU_DEP_1)
	v_fmaak_f64 v[10:11], v[8:9], v[10:11], 0xbf67952daf56de9b
	v_fmaak_f64 v[10:11], v[8:9], v[10:11], 0x3f7d6d43a595c56f
	s_delay_alu instid0(VALU_DEP_1) | instskip(NEXT) | instid1(VALU_DEP_1)
	v_fmaak_f64 v[10:11], v[8:9], v[10:11], 0xbf8c6ea4a57d9582
	;; [unrolled: 3-line block ×9, first 2 shown]
	v_dual_mul_f64 v[8:9], v[8:9], v[10:11] :: v_dual_ashrrev_i32 v10, 31, v53
	s_delay_alu instid0(VALU_DEP_1) | instskip(SKIP_1) | instid1(VALU_DEP_3)
	v_and_b32_e32 v4, 0x400921fb, v10
	v_and_b32_e32 v12, 0x54442d18, v10
	v_fmac_f64_e32 v[6:7], v[6:7], v[8:9]
	s_delay_alu instid0(VALU_DEP_1) | instskip(NEXT) | instid1(VALU_DEP_1)
	v_add_f64_e64 v[8:9], -v[6:7], s[26:27]
	v_dual_cndmask_b32 v7, v7, v9 :: v_dual_cndmask_b32 v6, v6, v8
	v_cmp_gt_i32_e32 vcc_lo, 0, v53
	s_delay_alu instid0(VALU_DEP_2) | instskip(SKIP_1) | instid1(VALU_DEP_2)
	v_add_f64_e64 v[8:9], -v[6:7], s[28:29]
	v_cndmask_b32_e32 v11, 0x54442d18, v60, vcc_lo
	v_dual_cndmask_b32 v6, v6, v8 :: v_dual_cndmask_b32 v7, v7, v9
	v_cndmask_b32_e32 v8, 0x3fe921fb, v61, vcc_lo
	s_and_b32 vcc_lo, s40, s41
	s_delay_alu instid0(VALU_DEP_2) | instskip(NEXT) | instid1(VALU_DEP_1)
	v_cndmask_b32_e64 v6, v6, v12, s0
	v_dual_cndmask_b32 v4, v7, v4, s0 :: v_dual_cndmask_b32 v6, v6, v11, vcc_lo
	s_delay_alu instid0(VALU_DEP_1) | instskip(NEXT) | instid1(VALU_DEP_1)
	v_cndmask_b32_e32 v4, v4, v8, vcc_lo
	v_cndmask_b32_e64 v7, v4, 0x7ff80000, s6
	s_delay_alu instid0(VALU_DEP_3) | instskip(NEXT) | instid1(VALU_DEP_2)
	v_cndmask_b32_e64 v4, v6, 0, s6
	v_bfi_b32 v5, 0x7fffffff, v7, v5
	v_lshl_add_u64 v[6:7], v[26:27], 4, s[16:17]
	global_store_b128 v[6:7], v[2:5], off
	s_branch .LBB203_32
.LBB203_73:
	s_sendmsg sendmsg(MSG_DEALLOC_VGPRS)
	s_endpgm
	.section	.rodata,"a",@progbits
	.p2align	6, 0x0
	.amdhsa_kernel _ZN2at6native12_GLOBAL__N_125multi_tensor_apply_kernelINS1_18TensorListMetadataILi2EEENS1_14UnaryOpFunctorIN3c107complexIdEELi2ELi1ELi1EEEJNS0_5Log1pIS8_EEEEEvT_T0_DpT1_
		.amdhsa_group_segment_fixed_size 0
		.amdhsa_private_segment_fixed_size 0
		.amdhsa_kernarg_size 3408
		.amdhsa_user_sgpr_count 2
		.amdhsa_user_sgpr_dispatch_ptr 0
		.amdhsa_user_sgpr_queue_ptr 0
		.amdhsa_user_sgpr_kernarg_segment_ptr 1
		.amdhsa_user_sgpr_dispatch_id 0
		.amdhsa_user_sgpr_kernarg_preload_length 0
		.amdhsa_user_sgpr_kernarg_preload_offset 0
		.amdhsa_user_sgpr_private_segment_size 0
		.amdhsa_wavefront_size32 1
		.amdhsa_uses_dynamic_stack 0
		.amdhsa_enable_private_segment 0
		.amdhsa_system_sgpr_workgroup_id_x 1
		.amdhsa_system_sgpr_workgroup_id_y 0
		.amdhsa_system_sgpr_workgroup_id_z 0
		.amdhsa_system_sgpr_workgroup_info 0
		.amdhsa_system_vgpr_workitem_id 0
		.amdhsa_next_free_vgpr 86
		.amdhsa_next_free_sgpr 47
		.amdhsa_named_barrier_count 0
		.amdhsa_reserve_vcc 1
		.amdhsa_float_round_mode_32 0
		.amdhsa_float_round_mode_16_64 0
		.amdhsa_float_denorm_mode_32 3
		.amdhsa_float_denorm_mode_16_64 3
		.amdhsa_fp16_overflow 0
		.amdhsa_memory_ordered 1
		.amdhsa_forward_progress 1
		.amdhsa_inst_pref_size 179
		.amdhsa_round_robin_scheduling 0
		.amdhsa_exception_fp_ieee_invalid_op 0
		.amdhsa_exception_fp_denorm_src 0
		.amdhsa_exception_fp_ieee_div_zero 0
		.amdhsa_exception_fp_ieee_overflow 0
		.amdhsa_exception_fp_ieee_underflow 0
		.amdhsa_exception_fp_ieee_inexact 0
		.amdhsa_exception_int_div_zero 0
	.end_amdhsa_kernel
	.section	.text._ZN2at6native12_GLOBAL__N_125multi_tensor_apply_kernelINS1_18TensorListMetadataILi2EEENS1_14UnaryOpFunctorIN3c107complexIdEELi2ELi1ELi1EEEJNS0_5Log1pIS8_EEEEEvT_T0_DpT1_,"axG",@progbits,_ZN2at6native12_GLOBAL__N_125multi_tensor_apply_kernelINS1_18TensorListMetadataILi2EEENS1_14UnaryOpFunctorIN3c107complexIdEELi2ELi1ELi1EEEJNS0_5Log1pIS8_EEEEEvT_T0_DpT1_,comdat
.Lfunc_end203:
	.size	_ZN2at6native12_GLOBAL__N_125multi_tensor_apply_kernelINS1_18TensorListMetadataILi2EEENS1_14UnaryOpFunctorIN3c107complexIdEELi2ELi1ELi1EEEJNS0_5Log1pIS8_EEEEEvT_T0_DpT1_, .Lfunc_end203-_ZN2at6native12_GLOBAL__N_125multi_tensor_apply_kernelINS1_18TensorListMetadataILi2EEENS1_14UnaryOpFunctorIN3c107complexIdEELi2ELi1ELi1EEEJNS0_5Log1pIS8_EEEEEvT_T0_DpT1_
                                        ; -- End function
	.set _ZN2at6native12_GLOBAL__N_125multi_tensor_apply_kernelINS1_18TensorListMetadataILi2EEENS1_14UnaryOpFunctorIN3c107complexIdEELi2ELi1ELi1EEEJNS0_5Log1pIS8_EEEEEvT_T0_DpT1_.num_vgpr, 86
	.set _ZN2at6native12_GLOBAL__N_125multi_tensor_apply_kernelINS1_18TensorListMetadataILi2EEENS1_14UnaryOpFunctorIN3c107complexIdEELi2ELi1ELi1EEEJNS0_5Log1pIS8_EEEEEvT_T0_DpT1_.num_agpr, 0
	.set _ZN2at6native12_GLOBAL__N_125multi_tensor_apply_kernelINS1_18TensorListMetadataILi2EEENS1_14UnaryOpFunctorIN3c107complexIdEELi2ELi1ELi1EEEJNS0_5Log1pIS8_EEEEEvT_T0_DpT1_.numbered_sgpr, 47
	.set _ZN2at6native12_GLOBAL__N_125multi_tensor_apply_kernelINS1_18TensorListMetadataILi2EEENS1_14UnaryOpFunctorIN3c107complexIdEELi2ELi1ELi1EEEJNS0_5Log1pIS8_EEEEEvT_T0_DpT1_.num_named_barrier, 0
	.set _ZN2at6native12_GLOBAL__N_125multi_tensor_apply_kernelINS1_18TensorListMetadataILi2EEENS1_14UnaryOpFunctorIN3c107complexIdEELi2ELi1ELi1EEEJNS0_5Log1pIS8_EEEEEvT_T0_DpT1_.private_seg_size, 0
	.set _ZN2at6native12_GLOBAL__N_125multi_tensor_apply_kernelINS1_18TensorListMetadataILi2EEENS1_14UnaryOpFunctorIN3c107complexIdEELi2ELi1ELi1EEEJNS0_5Log1pIS8_EEEEEvT_T0_DpT1_.uses_vcc, 1
	.set _ZN2at6native12_GLOBAL__N_125multi_tensor_apply_kernelINS1_18TensorListMetadataILi2EEENS1_14UnaryOpFunctorIN3c107complexIdEELi2ELi1ELi1EEEJNS0_5Log1pIS8_EEEEEvT_T0_DpT1_.uses_flat_scratch, 0
	.set _ZN2at6native12_GLOBAL__N_125multi_tensor_apply_kernelINS1_18TensorListMetadataILi2EEENS1_14UnaryOpFunctorIN3c107complexIdEELi2ELi1ELi1EEEJNS0_5Log1pIS8_EEEEEvT_T0_DpT1_.has_dyn_sized_stack, 0
	.set _ZN2at6native12_GLOBAL__N_125multi_tensor_apply_kernelINS1_18TensorListMetadataILi2EEENS1_14UnaryOpFunctorIN3c107complexIdEELi2ELi1ELi1EEEJNS0_5Log1pIS8_EEEEEvT_T0_DpT1_.has_recursion, 0
	.set _ZN2at6native12_GLOBAL__N_125multi_tensor_apply_kernelINS1_18TensorListMetadataILi2EEENS1_14UnaryOpFunctorIN3c107complexIdEELi2ELi1ELi1EEEJNS0_5Log1pIS8_EEEEEvT_T0_DpT1_.has_indirect_call, 0
	.section	.AMDGPU.csdata,"",@progbits
; Kernel info:
; codeLenInByte = 22884
; TotalNumSgprs: 49
; NumVgprs: 86
; ScratchSize: 0
; MemoryBound: 1
; FloatMode: 240
; IeeeMode: 1
; LDSByteSize: 0 bytes/workgroup (compile time only)
; SGPRBlocks: 0
; VGPRBlocks: 5
; NumSGPRsForWavesPerEU: 49
; NumVGPRsForWavesPerEU: 86
; NamedBarCnt: 0
; Occupancy: 10
; WaveLimiterHint : 0
; COMPUTE_PGM_RSRC2:SCRATCH_EN: 0
; COMPUTE_PGM_RSRC2:USER_SGPR: 2
; COMPUTE_PGM_RSRC2:TRAP_HANDLER: 0
; COMPUTE_PGM_RSRC2:TGID_X_EN: 1
; COMPUTE_PGM_RSRC2:TGID_Y_EN: 0
; COMPUTE_PGM_RSRC2:TGID_Z_EN: 0
; COMPUTE_PGM_RSRC2:TIDIG_COMP_CNT: 0
	.section	.text._ZN2at6native12_GLOBAL__N_125multi_tensor_apply_kernelINS1_18TensorListMetadataILi2EEENS1_14UnaryOpFunctorIN3c107complexIfEELi2ELi1ELi1EEEJNS0_5Log1pIS8_EEEEEvT_T0_DpT1_,"axG",@progbits,_ZN2at6native12_GLOBAL__N_125multi_tensor_apply_kernelINS1_18TensorListMetadataILi2EEENS1_14UnaryOpFunctorIN3c107complexIfEELi2ELi1ELi1EEEJNS0_5Log1pIS8_EEEEEvT_T0_DpT1_,comdat
	.globl	_ZN2at6native12_GLOBAL__N_125multi_tensor_apply_kernelINS1_18TensorListMetadataILi2EEENS1_14UnaryOpFunctorIN3c107complexIfEELi2ELi1ELi1EEEJNS0_5Log1pIS8_EEEEEvT_T0_DpT1_ ; -- Begin function _ZN2at6native12_GLOBAL__N_125multi_tensor_apply_kernelINS1_18TensorListMetadataILi2EEENS1_14UnaryOpFunctorIN3c107complexIfEELi2ELi1ELi1EEEJNS0_5Log1pIS8_EEEEEvT_T0_DpT1_
	.p2align	8
	.type	_ZN2at6native12_GLOBAL__N_125multi_tensor_apply_kernelINS1_18TensorListMetadataILi2EEENS1_14UnaryOpFunctorIN3c107complexIfEELi2ELi1ELi1EEEJNS0_5Log1pIS8_EEEEEvT_T0_DpT1_,@function
_ZN2at6native12_GLOBAL__N_125multi_tensor_apply_kernelINS1_18TensorListMetadataILi2EEENS1_14UnaryOpFunctorIN3c107complexIfEELi2ELi1ELi1EEEJNS0_5Log1pIS8_EEEEEvT_T0_DpT1_: ; @_ZN2at6native12_GLOBAL__N_125multi_tensor_apply_kernelINS1_18TensorListMetadataILi2EEENS1_14UnaryOpFunctorIN3c107complexIfEELi2ELi1ELi1EEEJNS0_5Log1pIS8_EEEEEvT_T0_DpT1_
; %bb.0:
	s_bfe_u32 s2, ttmp6, 0x4000c
	s_and_b32 s3, ttmp6, 15
	s_add_co_i32 s2, s2, 1
	s_getreg_b32 s4, hwreg(HW_REG_IB_STS2, 6, 4)
	s_mul_i32 s2, ttmp9, s2
	s_mov_b32 s5, 0
	s_add_co_i32 s3, s3, s2
	s_cmp_eq_u32 s4, 0
	s_mov_b32 s19, s5
	s_cselect_b32 s4, ttmp9, s3
	s_load_u8 s8, s[0:1], s4 offset:0x600
	s_add_nc_u64 s[2:3], s[0:1], s[4:5]
	s_mul_u64 s[6:7], s[4:5], 3
	s_delay_alu instid0(SALU_CYCLE_1)
	s_add_nc_u64 s[2:3], s[2:3], s[6:7]
	s_load_b32 s14, s[2:3], 0x740
	s_wait_kmcnt 0x0
	s_clause 0x2
	s_load_b64 s[10:11], s[0:1], s8 offset:0x0 scale_offset
	s_load_b64 s[12:13], s[0:1], s8 offset:0x200 scale_offset
	;; [unrolled: 1-line block ×3, first 2 shown]
	s_ashr_i32 s15, s14, 31
	s_delay_alu instid0(SALU_CYCLE_1)
	s_lshl_b64 s[2:3], s[14:15], 19
	s_wait_kmcnt 0x0
	s_and_b32 s18, s16, 3
	s_add_nc_u64 s[8:9], s[12:13], s[2:3]
	s_add_nc_u64 s[6:7], s[10:11], s[2:3]
	s_and_b64 s[20:21], s[8:9], 31
	s_and_b32 s4, s6, 31
	s_or_b64 s[18:19], s[20:21], s[18:19]
	s_lshl_b64 s[14:15], s[14:15], 16
	s_or_b64 s[18:19], s[18:19], s[4:5]
	s_sub_nc_u64 s[4:5], s[16:17], s[14:15]
	s_cmp_eq_u64 s[18:19], 0
	s_mov_b32 s14, -1
	s_cbranch_scc0 .LBB204_29
; %bb.1:
	v_min_i64 v[18:19], 0x10000, s[4:5]
	v_dual_mov_b32 v3, 0 :: v_dual_lshlrev_b32 v2, 2, v0
	s_mov_b32 s18, exec_lo
	s_delay_alu instid0(VALU_DEP_1)
	v_cmpx_lt_i64_e64 v[2:3], v[18:19]
	s_cbranch_execz .LBB204_28
; %bb.2:
	s_load_b32 s14, s[0:1], 0xc5c
	v_dual_mov_b32 v1, v3 :: v_dual_lshlrev_b32 v2, 5, v0
	v_mov_b32_e32 v20, 0x3f317218
	v_mov_b32_e32 v26, 0x4016cbe4
	s_mov_b32 s15, 0
	s_delay_alu instid0(VALU_DEP_3)
	v_mov_b64_e32 v[24:25], v[0:1]
	v_add_nc_u64_e32 v[22:23], s[2:3], v[2:3]
	s_mov_b32 s19, 0x3e9b6dac
	s_mov_b32 s20, 0x3b2d2a58
	;; [unrolled: 1-line block ×4, first 2 shown]
	s_wait_kmcnt 0x0
	s_and_b32 s14, s14, 0xffff
	s_delay_alu instid0(SALU_CYCLE_1)
	s_lshl_b32 s16, s14, 5
	s_branch .LBB204_5
.LBB204_3:                              ;   in Loop: Header=BB204_5 Depth=1
	s_or_b32 exec_lo, exec_lo, s3
	s_delay_alu instid0(VALU_DEP_1)
	v_mov_b32_e32 v16, v4
.LBB204_4:                              ;   in Loop: Header=BB204_5 Depth=1
	s_or_b32 exec_lo, exec_lo, s2
	v_max_num_f32_e64 v4, |v8|, |v8|
	v_frexp_mant_f32_e32 v21, v28
	v_max_num_f32_e64 v31, |v6|, |v6|
	v_cmp_gt_f32_e32 vcc_lo, 0, v8
	v_cmp_gt_i32_e64 s2, 0, v8
	v_cmp_gt_f32_e64 s3, |v9|, |v6|
	v_rcp_f32_e32 v21, v21
	v_min_num_f32_e32 v4, v4, v27
	v_frexp_exp_i32_f32_e32 v27, v28
	v_frexp_mant_f32_e32 v28, v17
	v_frexp_exp_i32_f32_e32 v17, v17
	v_cmp_class_f32_e64 s22, v3, 0x204
	v_cmp_class_f32_e64 s23, v8, 0x204
	;; [unrolled: 1-line block ×3, first 2 shown]
	v_rcp_f32_e32 v28, v28
	v_min_num_f32_e32 v15, v31, v15
	v_frexp_mant_f32_e32 v31, v4
	v_cmp_class_f32_e64 s25, v6, 0x204
	v_add_nc_u64_e32 v[24:25], s[14:15], v[24:25]
	s_delay_alu instid0(VALU_DEP_4) | instskip(NEXT) | instid1(VALU_DEP_4)
	v_frexp_mant_f32_e32 v32, v15
	v_mul_f32_e32 v21, v31, v21
	v_frexp_exp_i32_f32_e32 v4, v4
	s_delay_alu instid0(VALU_DEP_3) | instskip(SKIP_1) | instid1(VALU_DEP_3)
	v_mul_f32_e32 v28, v32, v28
	v_frexp_exp_i32_f32_e32 v15, v15
	v_sub_nc_u32_e32 v4, v4, v27
	v_max_num_f32_e64 v27, |v1|, |v1|
	s_delay_alu instid0(VALU_DEP_3) | instskip(NEXT) | instid1(VALU_DEP_3)
	v_sub_nc_u32_e32 v15, v15, v17
	v_ldexp_f32 v4, v21, v4
	v_max_num_f32_e64 v21, |v2|, |v2|
	s_delay_alu instid0(VALU_DEP_4)
	v_min_num_f32_e32 v11, v27, v11
	v_frexp_exp_i32_f32_e32 v17, v13
	v_ldexp_f32 v15, v28, v15
	v_mul_f32_e32 v31, v4, v4
	v_frexp_exp_i32_f32_e32 v28, v30
	v_frexp_mant_f32_e32 v30, v30
	s_delay_alu instid0(VALU_DEP_4) | instskip(NEXT) | instid1(VALU_DEP_4)
	v_dual_min_num_f32 v21, v21, v29 :: v_dual_mul_f32 v32, v15, v15
	v_fmaak_f32 v27, s20, v31, 0xbc7a590c
	v_frexp_mant_f32_e32 v13, v13
	s_delay_alu instid0(VALU_DEP_4)
	v_rcp_f32_e32 v29, v30
	v_frexp_exp_i32_f32_e32 v33, v11
	v_fmaak_f32 v30, s20, v32, 0xbc7a590c
	v_fmaak_f32 v27, v31, v27, 0x3d29fb3f
	v_rcp_f32_e32 v13, v13
	v_frexp_mant_f32_e32 v11, v11
	v_frexp_exp_i32_f32_e32 v34, v21
	v_fmaak_f32 v30, v32, v30, 0x3d29fb3f
	v_fmaak_f32 v27, v31, v27, 0xbd97d4d7
	v_frexp_mant_f32_e32 v21, v21
	s_delay_alu instid0(TRANS32_DEP_1) | instskip(SKIP_1) | instid1(VALU_DEP_4)
	v_mul_f32_e32 v11, v11, v13
	v_dual_sub_nc_u32 v13, v33, v17 :: v_dual_sub_nc_u32 v28, v34, v28
	v_fmaak_f32 v17, v31, v27, 0x3dd931b2
	s_delay_alu instid0(VALU_DEP_4) | instskip(SKIP_2) | instid1(VALU_DEP_3)
	v_mul_f32_e32 v21, v21, v29
	v_cndmask_b32_e64 v33, 0, 0x40490fdb, s2
	v_cmp_gt_f32_e64 s2, |v3|, |v8|
	v_ldexp_f32 v21, v21, v28
	v_cndmask_b32_e32 v28, 0x3f490fdb, v26, vcc_lo
	v_ldexp_f32 v11, v11, v13
	v_fmaak_f32 v13, v31, v17, 0xbe1160e6
	s_delay_alu instid0(VALU_DEP_4) | instskip(NEXT) | instid1(VALU_DEP_2)
	v_mul_f32_e32 v29, v21, v21
	v_fmaak_f32 v13, v31, v13, 0x3e4cb8bf
	s_delay_alu instid0(VALU_DEP_1) | instskip(NEXT) | instid1(VALU_DEP_1)
	v_fmaak_f32 v13, v31, v13, 0xbeaaaa62
	v_mul_f32_e32 v13, v31, v13
	s_delay_alu instid0(VALU_DEP_4) | instskip(NEXT) | instid1(VALU_DEP_1)
	v_fmaak_f32 v31, s20, v29, 0xbc7a590c
	v_dual_fmac_f32 v4, v4, v13 :: v_dual_fmaak_f32 v13, v29, v31, 0x3d29fb3f
	s_delay_alu instid0(VALU_DEP_1) | instskip(NEXT) | instid1(VALU_DEP_2)
	v_sub_f32_e32 v31, 0x3fc90fdb, v4
	v_fmaak_f32 v13, v29, v13, 0xbd97d4d7
	s_delay_alu instid0(VALU_DEP_2) | instskip(NEXT) | instid1(VALU_DEP_2)
	v_cndmask_b32_e64 v4, v4, v31, s2
	v_fmaak_f32 v13, v29, v13, 0x3dd931b2
	v_cmp_gt_f32_e64 s2, 0, v6
	s_delay_alu instid0(VALU_DEP_2) | instskip(NEXT) | instid1(VALU_DEP_1)
	v_fmaak_f32 v13, v29, v13, 0xbe1160e6
	v_fmaak_f32 v13, v29, v13, 0x3e4cb8bf
	s_delay_alu instid0(VALU_DEP_1) | instskip(SKIP_1) | instid1(VALU_DEP_1)
	v_fmaak_f32 v13, v29, v13, 0xbeaaaa62
	v_fmaak_f32 v27, v32, v30, 0xbd97d4d7
	;; [unrolled: 1-line block ×3, first 2 shown]
	v_mul_f32_e32 v27, v11, v11
	s_delay_alu instid0(VALU_DEP_1) | instskip(NEXT) | instid1(VALU_DEP_1)
	v_fmaak_f32 v30, s20, v27, 0xbc7a590c
	v_fmaak_f32 v30, v27, v30, 0x3d29fb3f
	s_delay_alu instid0(VALU_DEP_1) | instskip(NEXT) | instid1(VALU_DEP_1)
	v_fmaak_f32 v30, v27, v30, 0xbd97d4d7
	v_fmaak_f32 v30, v27, v30, 0x3dd931b2
	s_delay_alu instid0(VALU_DEP_1) | instskip(NEXT) | instid1(VALU_DEP_1)
	v_dual_fmaak_f32 v17, v32, v17, 0xbe1160e6 :: v_dual_fmaak_f32 v30, v27, v30, 0xbe1160e6
	v_dual_fmaak_f32 v17, v32, v17, 0x3e4cb8bf :: v_dual_fmaak_f32 v30, v27, v30, 0x3e4cb8bf
	s_delay_alu instid0(VALU_DEP_1) | instskip(NEXT) | instid1(VALU_DEP_1)
	v_dual_fmaak_f32 v17, v32, v17, 0xbeaaaa62 :: v_dual_fmaak_f32 v30, v27, v30, 0xbeaaaa62
	v_dual_mul_f32 v17, v32, v17 :: v_dual_sub_f32 v32, 0x40490fdb, v4
	s_delay_alu instid0(VALU_DEP_2) | instskip(NEXT) | instid1(VALU_DEP_2)
	v_mul_f32_e32 v27, v27, v30
	v_dual_fmac_f32 v15, v15, v17 :: v_dual_cndmask_b32 v4, v4, v32
	v_cmp_eq_f32_e32 vcc_lo, 0, v3
	v_cndmask_b32_e64 v17, 0x3f490fdb, v26, s2
	s_delay_alu instid0(VALU_DEP_4) | instskip(NEXT) | instid1(VALU_DEP_4)
	v_fmac_f32_e32 v11, v11, v27
	v_dual_sub_f32 v31, 0x3fc90fdb, v15 :: v_dual_cndmask_b32 v4, v4, v33
	s_and_b32 vcc_lo, s22, s23
	v_cmp_class_f32_e64 s22, v1, 0x204
	s_delay_alu instid0(VALU_DEP_2)
	v_cndmask_b32_e64 v15, v15, v31, s3
	v_cmp_gt_i32_e64 s3, 0, v6
	v_cndmask_b32_e32 v4, v4, v28, vcc_lo
	v_cmp_eq_f32_e32 vcc_lo, 0, v9
	v_cmp_class_f32_e64 s23, v2, 0x204
	v_sub_f32_e32 v32, 0x40490fdb, v15
	v_cndmask_b32_e64 v31, 0, 0x40490fdb, s3
	v_cmp_class_f32_e64 s3, v7, 0x204
	s_delay_alu instid0(VALU_DEP_3) | instskip(SKIP_1) | instid1(VALU_DEP_2)
	v_cndmask_b32_e64 v15, v15, v32, s2
	v_cmp_gt_f32_e64 s2, |v5|, |v2|
	v_cndmask_b32_e32 v15, v15, v31, vcc_lo
	v_cmp_o_f32_e32 vcc_lo, v8, v3
	v_mul_f32_e32 v8, v29, v13
	v_lshlrev_b64_e32 v[28:29], 2, v[24:25]
	v_cndmask_b32_e32 v4, 0x7fc00000, v4, vcc_lo
	s_and_b32 vcc_lo, s24, s25
	s_delay_alu instid0(VALU_DEP_3) | instid1(SALU_CYCLE_1)
	v_dual_fmac_f32 v21, v21, v8 :: v_dual_cndmask_b32 v13, v15, v17, vcc_lo
	v_cmp_o_f32_e32 vcc_lo, v6, v9
	s_delay_alu instid0(VALU_DEP_3) | instskip(NEXT) | instid1(VALU_DEP_3)
	v_bfi_b32 v15, 0x7fffffff, v4, v3
	v_dual_sub_f32 v3, 0x3fc90fdb, v11 :: v_dual_sub_f32 v6, 0x3fc90fdb, v21
	s_delay_alu instid0(VALU_DEP_4) | instskip(SKIP_1) | instid1(VALU_DEP_3)
	v_cndmask_b32_e32 v4, 0x7fc00000, v13, vcc_lo
	v_cmp_gt_f32_e64 vcc_lo, |v7|, |v1|
	v_cndmask_b32_e64 v6, v21, v6, s2
	v_cmp_gt_i32_e64 s2, 0, v1
	v_cndmask_b32_e32 v3, v11, v3, vcc_lo
	v_cmp_gt_f32_e32 vcc_lo, 0, v1
	s_delay_alu instid0(VALU_DEP_3) | instskip(SKIP_1) | instid1(VALU_DEP_4)
	v_cndmask_b32_e64 v13, 0, 0x40490fdb, s2
	v_cmp_eq_f32_e64 s2, 0, v7
	v_sub_f32_e32 v11, 0x40490fdb, v3
	v_cndmask_b32_e32 v8, 0x3f490fdb, v26, vcc_lo
	s_delay_alu instid0(VALU_DEP_2) | instskip(SKIP_2) | instid1(VALU_DEP_3)
	v_cndmask_b32_e32 v3, v3, v11, vcc_lo
	v_cmp_gt_f32_e32 vcc_lo, 0, v2
	v_sub_f32_e32 v11, 0x40490fdb, v6
	v_cndmask_b32_e64 v3, v3, v13, s2
	v_cmp_gt_i32_e64 s2, 0, v2
	v_cndmask_b32_e32 v13, 0x3f490fdb, v26, vcc_lo
	s_delay_alu instid0(VALU_DEP_4) | instskip(SKIP_1) | instid1(VALU_DEP_4)
	v_cndmask_b32_e32 v6, v6, v11, vcc_lo
	v_cmp_eq_f32_e32 vcc_lo, 0, v5
	v_cndmask_b32_e64 v17, 0, 0x40490fdb, s2
	v_cmp_class_f32_e64 s2, v5, 0x204
	s_delay_alu instid0(VALU_DEP_2) | instskip(SKIP_3) | instid1(VALU_DEP_2)
	v_cndmask_b32_e32 v6, v6, v17, vcc_lo
	s_and_b32 vcc_lo, s3, s22
	v_cndmask_b32_e32 v3, v3, v8, vcc_lo
	s_and_b32 vcc_lo, s2, s23
	v_cndmask_b32_e32 v6, v6, v13, vcc_lo
	v_cmp_o_f32_e32 vcc_lo, v1, v7
	v_bfi_b32 v13, 0x7fffffff, v4, v9
	v_cndmask_b32_e32 v1, 0x7fc00000, v3, vcc_lo
	v_cmp_o_f32_e32 vcc_lo, v2, v5
	v_add_nc_u64_e32 v[2:3], s[12:13], v[22:23]
	v_add_nc_u64_e32 v[22:23], s[16:17], v[22:23]
	s_delay_alu instid0(VALU_DEP_4) | instskip(SKIP_2) | instid1(VALU_DEP_2)
	v_bfi_b32 v11, 0x7fffffff, v1, v7
	v_cndmask_b32_e32 v4, 0x7fc00000, v6, vcc_lo
	v_cmp_ge_i64_e32 vcc_lo, v[28:29], v[18:19]
	v_bfi_b32 v17, 0x7fffffff, v4, v5
	s_clause 0x1
	global_store_b128 v[2:3], v[10:13], off
	global_store_b128 v[2:3], v[14:17], off offset:16
	s_or_b32 s21, vcc_lo, s21
	s_wait_xcnt 0x0
	s_and_not1_b32 exec_lo, exec_lo, s21
	s_cbranch_execz .LBB204_28
.LBB204_5:                              ; =>This Inner Loop Header: Depth=1
	v_add_nc_u64_e32 v[10:11], s[10:11], v[22:23]
	s_clause 0x1
	global_load_b128 v[6:9], v[10:11], off
	global_load_b128 v[2:5], v[10:11], off offset:16
	s_wait_loadcnt 0x1
	v_max_num_f32_e64 v1, |v6|, |v6|
	s_wait_xcnt 0x0
	v_max_num_f32_e64 v11, |v7|, |v7|
	s_delay_alu instid0(VALU_DEP_1) | instskip(NEXT) | instid1(VALU_DEP_1)
	v_max_num_f32_e32 v10, v1, v11
	v_cvt_f64_f32_e32 v[12:13], v10
	s_delay_alu instid0(VALU_DEP_1) | instskip(NEXT) | instid1(VALU_DEP_1)
	v_frexp_exp_i32_f64_e32 v1, v[12:13]
	v_sub_nc_u32_e32 v12, 0, v1
	v_cmp_eq_f32_e32 vcc_lo, 0x7f800000, v10
                                        ; implicit-def: $vgpr10
	s_delay_alu instid0(VALU_DEP_2) | instskip(SKIP_1) | instid1(VALU_DEP_2)
	v_ldexp_f32 v13, |v7|, v12
	v_ldexp_f32 v12, |v6|, v12
	v_mul_f32_e32 v13, v13, v13
	s_delay_alu instid0(VALU_DEP_1) | instskip(NEXT) | instid1(VALU_DEP_1)
	v_fmac_f32_e32 v13, v12, v12
	v_sqrt_f32_e32 v12, v13
	v_nop
	s_delay_alu instid0(TRANS32_DEP_1) | instskip(SKIP_1) | instid1(VALU_DEP_2)
	v_ldexp_f32 v12, v12, v1
	v_add_f32_e32 v1, 1.0, v6
	v_cmp_ngt_f32_e64 s2, 0.5, v12
	s_delay_alu instid0(VALU_DEP_2) | instskip(SKIP_1) | instid1(SALU_CYCLE_1)
	v_max_num_f32_e64 v13, |v1|, v11
	s_or_b32 s2, vcc_lo, s2
	s_and_saveexec_b32 s3, s2
	s_delay_alu instid0(SALU_CYCLE_1)
	s_xor_b32 s3, exec_lo, s3
	s_cbranch_execz .LBB204_7
; %bb.6:                                ;   in Loop: Header=BB204_5 Depth=1
	v_cvt_f64_f32_e32 v[14:15], v13
	v_cmp_neq_f32_e32 vcc_lo, 0x7f800000, v13
	s_delay_alu instid0(VALU_DEP_2) | instskip(NEXT) | instid1(VALU_DEP_1)
	v_frexp_exp_i32_f64_e32 v10, v[14:15]
	v_sub_nc_u32_e32 v12, 0, v10
	s_delay_alu instid0(VALU_DEP_1) | instskip(SKIP_1) | instid1(VALU_DEP_2)
	v_ldexp_f32 v14, |v7|, v12
	v_ldexp_f32 v12, |v1|, v12
	v_mul_f32_e32 v14, v14, v14
	s_delay_alu instid0(VALU_DEP_1) | instskip(NEXT) | instid1(VALU_DEP_1)
	v_fmac_f32_e32 v14, v12, v12
	v_sqrt_f32_e32 v12, v14
	v_nop
	s_delay_alu instid0(TRANS32_DEP_1) | instskip(NEXT) | instid1(VALU_DEP_1)
	v_ldexp_f32 v10, v12, v10
	v_cndmask_b32_e32 v10, 0x7f800000, v10, vcc_lo
	s_delay_alu instid0(VALU_DEP_1) | instskip(SKIP_1) | instid1(VALU_DEP_1)
	v_cmp_gt_f32_e32 vcc_lo, 0x800000, v10
	v_cndmask_b32_e64 v12, 0, 32, vcc_lo
	v_ldexp_f32 v10, v10, v12
	s_delay_alu instid0(VALU_DEP_1) | instskip(SKIP_1) | instid1(TRANS32_DEP_1)
	v_log_f32_e32 v10, v10
	v_nop
	v_mul_f32_e32 v12, 0x3f317217, v10
	v_cmp_gt_f32_e64 s2, 0x7f800000, |v10|
	s_delay_alu instid0(VALU_DEP_2) | instskip(NEXT) | instid1(VALU_DEP_1)
	v_fma_f32 v12, 0x3f317217, v10, -v12
	v_fmac_f32_e32 v12, 0x3377d1cf, v10
	s_delay_alu instid0(VALU_DEP_1) | instskip(NEXT) | instid1(VALU_DEP_1)
	v_fmac_f32_e32 v12, 0x3f317217, v10
	v_cndmask_b32_e64 v10, v10, v12, s2
	v_cndmask_b32_e64 v12, 0, 0x41b17218, vcc_lo
	s_delay_alu instid0(VALU_DEP_1)
	v_sub_f32_e32 v10, v10, v12
.LBB204_7:                              ;   in Loop: Header=BB204_5 Depth=1
	s_and_not1_saveexec_b32 s2, s3
	s_cbranch_execz .LBB204_11
; %bb.8:                                ;   in Loop: Header=BB204_5 Depth=1
	v_dual_add_f32 v14, 2.0, v6 :: v_dual_mov_b32 v15, v7
	s_mov_b32 s3, exec_lo
	s_delay_alu instid0(VALU_DEP_1) | instskip(NEXT) | instid1(VALU_DEP_1)
	v_pk_mul_f32 v[14:15], v[6:7], v[14:15]
	v_add_f32_e32 v10, v15, v14
	s_delay_alu instid0(VALU_DEP_1)
	v_cmpx_neq_f32_e32 0, v10
	s_cbranch_execz .LBB204_10
; %bb.9:                                ;   in Loop: Header=BB204_5 Depth=1
	v_add_f32_e32 v6, 1.0, v10
	s_delay_alu instid0(VALU_DEP_1) | instskip(NEXT) | instid1(VALU_DEP_1)
	v_cvt_f64_f32_e32 v[14:15], v6
	v_frexp_exp_i32_f64_e32 v12, v[14:15]
	v_frexp_mant_f32_e32 v14, v6
	s_delay_alu instid0(VALU_DEP_1) | instskip(NEXT) | instid1(VALU_DEP_3)
	v_cmp_gt_f32_e32 vcc_lo, 0x3f2aaaab, v14
	v_subrev_co_ci_u32_e64 v12, null, 0, v12, vcc_lo
	v_cmp_neq_f32_e32 vcc_lo, 0x7f800000, v10
	s_delay_alu instid0(VALU_DEP_2) | instskip(NEXT) | instid1(VALU_DEP_1)
	v_dual_add_f32 v14, -1.0, v6 :: v_dual_sub_nc_u32 v15, 0, v12
	v_sub_f32_e32 v16, v14, v6
	s_delay_alu instid0(VALU_DEP_2) | instskip(NEXT) | instid1(VALU_DEP_1)
	v_ldexp_f32 v6, v6, v15
	v_dual_add_f32 v17, 1.0, v6 :: v_dual_add_f32 v16, 1.0, v16
	v_sub_f32_e32 v14, v10, v14
	s_delay_alu instid0(VALU_DEP_1) | instskip(NEXT) | instid1(VALU_DEP_3)
	v_dual_add_f32 v21, -1.0, v6 :: v_dual_add_f32 v14, v14, v16
	v_add_f32_e32 v16, -1.0, v17
	s_delay_alu instid0(VALU_DEP_2) | instskip(NEXT) | instid1(VALU_DEP_2)
	v_ldexp_f32 v14, v14, v15
	v_dual_sub_f32 v15, v6, v16 :: v_dual_add_f32 v16, 1.0, v21
	s_delay_alu instid0(VALU_DEP_1) | instskip(NEXT) | instid1(VALU_DEP_1)
	v_sub_f32_e32 v6, v6, v16
	v_dual_add_f32 v27, v14, v15 :: v_dual_add_f32 v6, v14, v6
	s_delay_alu instid0(VALU_DEP_1) | instskip(NEXT) | instid1(VALU_DEP_1)
	v_add_f32_e32 v30, v17, v27
	v_dual_add_f32 v15, v21, v6 :: v_dual_sub_f32 v14, v30, v17
	v_rcp_f32_e32 v31, v30
	s_delay_alu instid0(VALU_DEP_1) | instskip(NEXT) | instid1(VALU_DEP_2)
	v_sub_f32_e32 v21, v15, v21
	v_sub_f32_e32 v27, v27, v14
	s_delay_alu instid0(TRANS32_DEP_1) | instid1(VALU_DEP_2)
	v_dual_mul_f32 v32, v15, v31 :: v_dual_sub_f32 v6, v6, v21
	s_delay_alu instid0(VALU_DEP_1) | instskip(NEXT) | instid1(VALU_DEP_1)
	v_mul_f32_e32 v16, v30, v32
	v_fma_f32 v28, v32, v30, -v16
	s_delay_alu instid0(VALU_DEP_1) | instskip(NEXT) | instid1(VALU_DEP_1)
	v_fmac_f32_e32 v28, v32, v27
	v_add_f32_e32 v14, v16, v28
	s_delay_alu instid0(VALU_DEP_1) | instskip(NEXT) | instid1(VALU_DEP_1)
	v_dual_sub_f32 v17, v15, v14 :: v_dual_mov_b32 v29, v14
	v_pk_add_f32 v[14:15], v[14:15], v[16:17] neg_lo:[0,1] neg_hi:[0,1]
	s_delay_alu instid0(VALU_DEP_1) | instskip(NEXT) | instid1(VALU_DEP_1)
	v_pk_add_f32 v[14:15], v[14:15], v[28:29] neg_lo:[0,1] neg_hi:[0,1]
	v_add_f32_e32 v6, v6, v15
	s_delay_alu instid0(VALU_DEP_1) | instskip(NEXT) | instid1(VALU_DEP_1)
	v_add_f32_e32 v6, v14, v6
	v_add_f32_e32 v15, v17, v6
	s_delay_alu instid0(VALU_DEP_1) | instskip(NEXT) | instid1(VALU_DEP_1)
	v_mul_f32_e32 v21, v31, v15
	v_mul_f32_e32 v28, v30, v21
	s_delay_alu instid0(VALU_DEP_1) | instskip(NEXT) | instid1(VALU_DEP_1)
	v_fma_f32 v16, v21, v30, -v28
	v_fmac_f32_e32 v16, v21, v27
	s_delay_alu instid0(VALU_DEP_1) | instskip(NEXT) | instid1(VALU_DEP_1)
	v_dual_sub_f32 v27, v17, v15 :: v_dual_add_f32 v14, v28, v16
	v_dual_add_f32 v6, v6, v27 :: v_dual_add_f32 v27, v32, v21
	s_delay_alu instid0(VALU_DEP_2) | instskip(NEXT) | instid1(VALU_DEP_1)
	v_dual_mov_b32 v17, v14 :: v_dual_sub_f32 v29, v15, v14
	v_pk_add_f32 v[14:15], v[14:15], v[28:29] neg_lo:[0,1] neg_hi:[0,1]
	s_delay_alu instid0(VALU_DEP_1) | instskip(NEXT) | instid1(VALU_DEP_1)
	v_pk_add_f32 v[14:15], v[14:15], v[16:17] neg_lo:[0,1] neg_hi:[0,1]
	v_add_f32_e32 v6, v6, v15
	s_delay_alu instid0(VALU_DEP_1) | instskip(NEXT) | instid1(VALU_DEP_1)
	v_dual_add_f32 v6, v14, v6 :: v_dual_sub_f32 v14, v27, v32
	v_add_f32_e32 v6, v29, v6
	s_delay_alu instid0(VALU_DEP_2) | instskip(NEXT) | instid1(VALU_DEP_2)
	v_sub_f32_e32 v14, v21, v14
	v_mul_f32_e32 v6, v31, v6
	s_delay_alu instid0(VALU_DEP_1) | instskip(SKIP_1) | instid1(VALU_DEP_2)
	v_add_f32_e32 v6, v14, v6
	v_cvt_f32_i32_e32 v14, v12
	v_add_f32_e32 v30, v27, v6
	s_delay_alu instid0(VALU_DEP_1) | instskip(NEXT) | instid1(VALU_DEP_1)
	v_sub_f32_e32 v12, v30, v27
	v_sub_f32_e32 v6, v6, v12
	v_mul_f32_e32 v16, v30, v30
	v_ldexp_f32 v29, v30, 1
	s_delay_alu instid0(VALU_DEP_3) | instskip(NEXT) | instid1(VALU_DEP_3)
	v_ldexp_f32 v6, v6, 1
	v_fmaak_f32 v17, s19, v16, 0x3ecc95a3
	v_mul_f32_e32 v15, v30, v16
	s_delay_alu instid0(VALU_DEP_2) | instskip(NEXT) | instid1(VALU_DEP_1)
	v_fmaak_f32 v21, v16, v17, 0x3f2aaada
	v_pk_mul_f32 v[16:17], v[14:15], v[20:21]
	s_delay_alu instid0(VALU_DEP_1) | instskip(SKIP_1) | instid1(VALU_DEP_2)
	v_fma_f32 v28, 0x3f317218, v14, -v16
	v_mov_b32_e32 v30, v16
	v_fmac_f32_e32 v28, 0xb102e308, v14
	s_delay_alu instid0(VALU_DEP_1) | instskip(NEXT) | instid1(VALU_DEP_1)
	v_pk_add_f32 v[14:15], v[16:17], v[28:29]
	v_dual_sub_f32 v12, v15, v29 :: v_dual_mov_b32 v38, v15
	s_delay_alu instid0(VALU_DEP_1) | instskip(NEXT) | instid1(VALU_DEP_3)
	v_sub_f32_e32 v12, v17, v12
	v_pk_add_f32 v[16:17], v[14:15], v[16:17] neg_lo:[0,1] neg_hi:[0,1]
	s_delay_alu instid0(VALU_DEP_2) | instskip(NEXT) | instid1(VALU_DEP_1)
	v_add_f32_e32 v31, v6, v12
	v_pk_add_f32 v[32:33], v[14:15], v[30:31]
	s_delay_alu instid0(VALU_DEP_1) | instskip(NEXT) | instid1(VALU_DEP_1)
	v_dual_mov_b32 v29, v14 :: v_dual_mov_b32 v17, v33
	v_pk_add_f32 v[34:35], v[28:29], v[16:17]
	v_pk_add_f32 v[16:17], v[28:29], v[16:17] neg_lo:[0,1] neg_hi:[0,1]
	s_delay_alu instid0(VALU_DEP_2) | instskip(NEXT) | instid1(VALU_DEP_1)
	v_dual_mov_b32 v6, v35 :: v_dual_mov_b32 v17, v35
	v_pk_add_f32 v[36:37], v[6:7], v[14:15] neg_lo:[0,1] neg_hi:[0,1]
	v_dual_mov_b32 v34, v33 :: v_dual_mov_b32 v15, v14
	s_delay_alu instid0(VALU_DEP_2) | instskip(SKIP_1) | instid1(VALU_DEP_2)
	v_dual_mov_b32 v14, v31 :: v_dual_mov_b32 v39, v36
	v_mov_b32_e32 v21, v36
	v_pk_add_f32 v[30:31], v[34:35], v[38:39] neg_lo:[0,1] neg_hi:[0,1]
	s_delay_alu instid0(VALU_DEP_2) | instskip(SKIP_1) | instid1(VALU_DEP_3)
	v_pk_add_f32 v[28:29], v[32:33], v[20:21] neg_lo:[0,1] neg_hi:[0,1]
	v_mov_b32_e32 v28, v16
	v_pk_add_f32 v[14:15], v[14:15], v[30:31] neg_lo:[0,1] neg_hi:[0,1]
	s_delay_alu instid0(VALU_DEP_1) | instskip(NEXT) | instid1(VALU_DEP_1)
	v_pk_add_f32 v[28:29], v[28:29], v[14:15]
	v_mov_b32_e32 v12, v29
	s_delay_alu instid0(VALU_DEP_1) | instskip(NEXT) | instid1(VALU_DEP_1)
	v_pk_add_f32 v[30:31], v[28:29], v[12:13]
	v_pk_add_f32 v[32:33], v[6:7], v[30:31]
	s_delay_alu instid0(VALU_DEP_1) | instskip(NEXT) | instid1(VALU_DEP_1)
	v_dual_mov_b32 v15, v30 :: v_dual_mov_b32 v29, v32
	v_pk_add_f32 v[34:35], v[28:29], v[16:17] neg_lo:[0,1] neg_hi:[0,1]
	s_delay_alu instid0(VALU_DEP_1) | instskip(NEXT) | instid1(VALU_DEP_2)
	v_sub_f32_e32 v6, v28, v34
	v_pk_add_f32 v[14:15], v[14:15], v[34:35] neg_lo:[0,1] neg_hi:[0,1]
	s_delay_alu instid0(VALU_DEP_2) | instskip(NEXT) | instid1(VALU_DEP_1)
	v_sub_f32_e32 v6, v16, v6
	v_add_f32_e32 v6, v14, v6
	s_delay_alu instid0(VALU_DEP_1) | instskip(NEXT) | instid1(VALU_DEP_1)
	v_add_f32_e32 v6, v6, v15
	v_add_f32_e32 v6, v32, v6
	s_delay_alu instid0(VALU_DEP_1) | instskip(SKIP_1) | instid1(VALU_DEP_2)
	v_cndmask_b32_e32 v6, 0x7f800000, v6, vcc_lo
	v_cmp_ngt_f32_e32 vcc_lo, -1.0, v10
	v_cndmask_b32_e32 v6, 0x7fc00000, v6, vcc_lo
	v_cmp_neq_f32_e32 vcc_lo, -1.0, v10
	s_delay_alu instid0(VALU_DEP_2) | instskip(SKIP_1) | instid1(VALU_DEP_2)
	v_cndmask_b32_e32 v6, 0xff800000, v6, vcc_lo
	v_cmp_gt_f32_e64 vcc_lo, 0x33800000, |v10|
	v_cndmask_b32_e32 v6, v6, v10, vcc_lo
	s_delay_alu instid0(VALU_DEP_1)
	v_mul_f32_e32 v6, 0.5, v6
.LBB204_10:                             ;   in Loop: Header=BB204_5 Depth=1
	s_or_b32 exec_lo, exec_lo, s3
	s_delay_alu instid0(VALU_DEP_1)
	v_mov_b32_e32 v10, v6
.LBB204_11:                             ;   in Loop: Header=BB204_5 Depth=1
	s_or_b32 exec_lo, exec_lo, s2
	v_max_num_f32_e64 v6, |v8|, |v8|
	v_max_num_f32_e64 v15, |v9|, |v9|
	s_delay_alu instid0(VALU_DEP_1) | instskip(NEXT) | instid1(VALU_DEP_1)
	v_max_num_f32_e32 v12, v6, v15
	v_cvt_f64_f32_e32 v[16:17], v12
	s_delay_alu instid0(VALU_DEP_1) | instskip(NEXT) | instid1(VALU_DEP_1)
	v_frexp_exp_i32_f64_e32 v6, v[16:17]
	v_sub_nc_u32_e32 v14, 0, v6
	v_cmp_eq_f32_e32 vcc_lo, 0x7f800000, v12
	s_delay_alu instid0(VALU_DEP_2) | instskip(SKIP_1) | instid1(VALU_DEP_2)
	v_ldexp_f32 v16, |v9|, v14
	v_ldexp_f32 v14, |v8|, v14
	v_mul_f32_e32 v16, v16, v16
	s_delay_alu instid0(VALU_DEP_1) | instskip(NEXT) | instid1(VALU_DEP_1)
	v_fmac_f32_e32 v16, v14, v14
	v_sqrt_f32_e32 v14, v16
	v_nop
	s_delay_alu instid0(TRANS32_DEP_1) | instskip(SKIP_1) | instid1(VALU_DEP_2)
	v_ldexp_f32 v14, v14, v6
	v_add_f32_e32 v6, 1.0, v8
	v_cmp_ngt_f32_e64 s2, 0.5, v14
	s_delay_alu instid0(VALU_DEP_2) | instskip(SKIP_1) | instid1(SALU_CYCLE_1)
	v_max_num_f32_e64 v17, |v6|, v15
	s_or_b32 s2, vcc_lo, s2
	s_and_saveexec_b32 s3, s2
	s_delay_alu instid0(SALU_CYCLE_1)
	s_xor_b32 s3, exec_lo, s3
	s_cbranch_execz .LBB204_13
; %bb.12:                               ;   in Loop: Header=BB204_5 Depth=1
	v_cvt_f64_f32_e32 v[28:29], v17
	v_cmp_neq_f32_e32 vcc_lo, 0x7f800000, v17
	s_delay_alu instid0(VALU_DEP_2) | instskip(NEXT) | instid1(VALU_DEP_1)
	v_frexp_exp_i32_f64_e32 v12, v[28:29]
	v_sub_nc_u32_e32 v14, 0, v12
	s_delay_alu instid0(VALU_DEP_1) | instskip(SKIP_1) | instid1(VALU_DEP_2)
	v_ldexp_f32 v16, |v9|, v14
	v_ldexp_f32 v14, |v6|, v14
	v_mul_f32_e32 v16, v16, v16
	s_delay_alu instid0(VALU_DEP_1) | instskip(NEXT) | instid1(VALU_DEP_1)
	v_fmac_f32_e32 v16, v14, v14
	v_sqrt_f32_e32 v14, v16
	v_nop
	s_delay_alu instid0(TRANS32_DEP_1) | instskip(NEXT) | instid1(VALU_DEP_1)
	v_ldexp_f32 v12, v14, v12
	v_cndmask_b32_e32 v12, 0x7f800000, v12, vcc_lo
	s_delay_alu instid0(VALU_DEP_1) | instskip(SKIP_1) | instid1(VALU_DEP_1)
	v_cmp_gt_f32_e32 vcc_lo, 0x800000, v12
	v_cndmask_b32_e64 v14, 0, 32, vcc_lo
	v_ldexp_f32 v12, v12, v14
	s_delay_alu instid0(VALU_DEP_1) | instskip(SKIP_1) | instid1(TRANS32_DEP_1)
	v_log_f32_e32 v12, v12
	v_nop
	v_mul_f32_e32 v14, 0x3f317217, v12
	v_cmp_gt_f32_e64 s2, 0x7f800000, |v12|
	s_delay_alu instid0(VALU_DEP_2) | instskip(NEXT) | instid1(VALU_DEP_1)
	v_fma_f32 v14, 0x3f317217, v12, -v14
	v_fmac_f32_e32 v14, 0x3377d1cf, v12
	s_delay_alu instid0(VALU_DEP_1) | instskip(NEXT) | instid1(VALU_DEP_1)
	v_fmac_f32_e32 v14, 0x3f317217, v12
	v_cndmask_b32_e64 v12, v12, v14, s2
	v_cndmask_b32_e64 v14, 0, 0x41b17218, vcc_lo
	s_delay_alu instid0(VALU_DEP_1)
	v_sub_f32_e32 v12, v12, v14
.LBB204_13:                             ;   in Loop: Header=BB204_5 Depth=1
	s_and_not1_saveexec_b32 s2, s3
	s_cbranch_execz .LBB204_17
; %bb.14:                               ;   in Loop: Header=BB204_5 Depth=1
	v_dual_add_f32 v28, 2.0, v8 :: v_dual_mov_b32 v29, v9
	s_mov_b32 s3, exec_lo
	s_delay_alu instid0(VALU_DEP_1) | instskip(NEXT) | instid1(VALU_DEP_1)
	v_pk_mul_f32 v[28:29], v[8:9], v[28:29]
	v_add_f32_e32 v12, v29, v28
	s_delay_alu instid0(VALU_DEP_1)
	v_cmpx_neq_f32_e32 0, v12
	s_cbranch_execz .LBB204_16
; %bb.15:                               ;   in Loop: Header=BB204_5 Depth=1
	v_add_f32_e32 v8, 1.0, v12
	s_delay_alu instid0(VALU_DEP_1) | instskip(SKIP_1) | instid1(VALU_DEP_1)
	v_cvt_f64_f32_e32 v[28:29], v8
	v_frexp_mant_f32_e32 v16, v8
	v_cmp_gt_f32_e32 vcc_lo, 0x3f2aaaab, v16
	s_delay_alu instid0(VALU_DEP_3) | instskip(NEXT) | instid1(VALU_DEP_1)
	v_frexp_exp_i32_f64_e32 v14, v[28:29]
	v_subrev_co_ci_u32_e64 v14, null, 0, v14, vcc_lo
	v_cmp_neq_f32_e32 vcc_lo, 0x7f800000, v12
	s_delay_alu instid0(VALU_DEP_2) | instskip(NEXT) | instid1(VALU_DEP_1)
	v_dual_add_f32 v16, -1.0, v8 :: v_dual_sub_nc_u32 v21, 0, v14
	v_sub_f32_e32 v27, v16, v8
	s_delay_alu instid0(VALU_DEP_2) | instskip(NEXT) | instid1(VALU_DEP_1)
	v_ldexp_f32 v8, v8, v21
	v_dual_add_f32 v28, 1.0, v8 :: v_dual_add_f32 v27, 1.0, v27
	v_add_f32_e32 v33, -1.0, v8
	v_sub_f32_e32 v16, v12, v16
	s_delay_alu instid0(VALU_DEP_1) | instskip(NEXT) | instid1(VALU_DEP_1)
	v_dual_add_f32 v16, v16, v27 :: v_dual_add_f32 v27, -1.0, v28
	v_ldexp_f32 v16, v16, v21
	s_delay_alu instid0(VALU_DEP_2) | instskip(NEXT) | instid1(VALU_DEP_1)
	v_dual_sub_f32 v21, v8, v27 :: v_dual_add_f32 v27, 1.0, v33
	v_sub_f32_e32 v8, v8, v27
	s_delay_alu instid0(VALU_DEP_1) | instskip(NEXT) | instid1(VALU_DEP_1)
	v_dual_add_f32 v21, v16, v21 :: v_dual_add_f32 v8, v16, v8
	v_dual_add_f32 v27, v28, v21 :: v_dual_add_f32 v29, v33, v8
	s_delay_alu instid0(VALU_DEP_1) | instskip(SKIP_1) | instid1(TRANS32_DEP_1)
	v_rcp_f32_e32 v16, v27
	v_nop
	v_dual_sub_f32 v35, v29, v33 :: v_dual_mul_f32 v34, v29, v16
	s_delay_alu instid0(VALU_DEP_1) | instskip(NEXT) | instid1(VALU_DEP_1)
	v_dual_sub_f32 v28, v27, v28 :: v_dual_sub_f32 v8, v8, v35
	v_dual_mul_f32 v30, v27, v34 :: v_dual_sub_f32 v21, v21, v28
	s_delay_alu instid0(VALU_DEP_1) | instskip(NEXT) | instid1(VALU_DEP_1)
	v_fma_f32 v32, v34, v27, -v30
	v_fmac_f32_e32 v32, v34, v21
	s_delay_alu instid0(VALU_DEP_1) | instskip(NEXT) | instid1(VALU_DEP_1)
	v_add_f32_e32 v28, v30, v32
	v_dual_sub_f32 v31, v29, v28 :: v_dual_mov_b32 v33, v28
	s_delay_alu instid0(VALU_DEP_1) | instskip(NEXT) | instid1(VALU_DEP_1)
	v_pk_add_f32 v[28:29], v[28:29], v[30:31] neg_lo:[0,1] neg_hi:[0,1]
	v_pk_add_f32 v[28:29], v[28:29], v[32:33] neg_lo:[0,1] neg_hi:[0,1]
	s_delay_alu instid0(VALU_DEP_1) | instskip(NEXT) | instid1(VALU_DEP_1)
	v_add_f32_e32 v8, v8, v29
	v_add_f32_e32 v8, v28, v8
	s_delay_alu instid0(VALU_DEP_1) | instskip(NEXT) | instid1(VALU_DEP_1)
	v_add_f32_e32 v29, v31, v8
	v_mul_f32_e32 v35, v16, v29
	s_delay_alu instid0(VALU_DEP_1) | instskip(NEXT) | instid1(VALU_DEP_1)
	v_mul_f32_e32 v32, v27, v35
	v_fma_f32 v30, v35, v27, -v32
	s_delay_alu instid0(VALU_DEP_1) | instskip(NEXT) | instid1(VALU_DEP_1)
	v_fmac_f32_e32 v30, v35, v21
	v_dual_add_f32 v28, v32, v30 :: v_dual_sub_f32 v21, v31, v29
	s_delay_alu instid0(VALU_DEP_1) | instskip(NEXT) | instid1(VALU_DEP_2)
	v_dual_sub_f32 v33, v29, v28 :: v_dual_mov_b32 v31, v28
	v_dual_add_f32 v8, v8, v21 :: v_dual_add_f32 v27, v34, v35
	s_delay_alu instid0(VALU_DEP_2) | instskip(NEXT) | instid1(VALU_DEP_2)
	v_pk_add_f32 v[28:29], v[28:29], v[32:33] neg_lo:[0,1] neg_hi:[0,1]
	v_sub_f32_e32 v21, v27, v34
	s_delay_alu instid0(VALU_DEP_2) | instskip(NEXT) | instid1(VALU_DEP_2)
	v_pk_add_f32 v[28:29], v[28:29], v[30:31] neg_lo:[0,1] neg_hi:[0,1]
	v_sub_f32_e32 v21, v35, v21
	s_delay_alu instid0(VALU_DEP_2) | instskip(NEXT) | instid1(VALU_DEP_1)
	v_add_f32_e32 v8, v8, v29
	v_add_f32_e32 v8, v28, v8
	v_cvt_f32_i32_e32 v28, v14
	s_delay_alu instid0(VALU_DEP_2) | instskip(NEXT) | instid1(VALU_DEP_1)
	v_add_f32_e32 v8, v33, v8
	v_mul_f32_e32 v8, v16, v8
	s_delay_alu instid0(VALU_DEP_1) | instskip(NEXT) | instid1(VALU_DEP_1)
	v_add_f32_e32 v8, v21, v8
	v_add_f32_e32 v16, v27, v8
	s_delay_alu instid0(VALU_DEP_1) | instskip(NEXT) | instid1(VALU_DEP_1)
	v_dual_mul_f32 v21, v16, v16 :: v_dual_sub_f32 v14, v16, v27
	v_dual_fmaak_f32 v30, s19, v21, 0x3ecc95a3 :: v_dual_mul_f32 v29, v16, v21
	s_delay_alu instid0(VALU_DEP_1) | instskip(NEXT) | instid1(VALU_DEP_3)
	v_fmaak_f32 v21, v21, v30, 0x3f2aaada
	v_sub_f32_e32 v8, v8, v14
	v_ldexp_f32 v33, v16, 1
	s_delay_alu instid0(VALU_DEP_3) | instskip(NEXT) | instid1(VALU_DEP_3)
	v_pk_mul_f32 v[30:31], v[28:29], v[20:21]
	v_ldexp_f32 v8, v8, 1
	s_delay_alu instid0(VALU_DEP_2) | instskip(SKIP_1) | instid1(VALU_DEP_2)
	v_fma_f32 v32, 0x3f317218, v28, -v30
	v_mov_b32_e32 v34, v30
	v_fmac_f32_e32 v32, 0xb102e308, v28
	s_delay_alu instid0(VALU_DEP_1) | instskip(NEXT) | instid1(VALU_DEP_1)
	v_pk_add_f32 v[28:29], v[30:31], v[32:33]
	v_dual_sub_f32 v14, v29, v33 :: v_dual_mov_b32 v33, v28
	s_delay_alu instid0(VALU_DEP_1) | instskip(SKIP_1) | instid1(VALU_DEP_2)
	v_dual_mov_b32 v42, v29 :: v_dual_sub_f32 v14, v31, v14
	v_pk_add_f32 v[30:31], v[28:29], v[30:31] neg_lo:[0,1] neg_hi:[0,1]
	v_add_f32_e32 v35, v8, v14
	s_delay_alu instid0(VALU_DEP_1) | instskip(NEXT) | instid1(VALU_DEP_1)
	v_pk_add_f32 v[36:37], v[28:29], v[34:35]
	v_mov_b32_e32 v31, v37
	s_delay_alu instid0(VALU_DEP_1) | instskip(SKIP_1) | instid1(VALU_DEP_2)
	v_pk_add_f32 v[38:39], v[32:33], v[30:31]
	v_pk_add_f32 v[30:31], v[32:33], v[30:31] neg_lo:[0,1] neg_hi:[0,1]
	v_dual_mov_b32 v8, v39 :: v_dual_mov_b32 v31, v39
	s_delay_alu instid0(VALU_DEP_1) | instskip(SKIP_1) | instid1(VALU_DEP_2)
	v_pk_add_f32 v[40:41], v[8:9], v[28:29] neg_lo:[0,1] neg_hi:[0,1]
	v_dual_mov_b32 v38, v37 :: v_dual_mov_b32 v29, v28
	v_dual_mov_b32 v28, v35 :: v_dual_mov_b32 v43, v40
	v_mov_b32_e32 v21, v40
	s_delay_alu instid0(VALU_DEP_2) | instskip(NEXT) | instid1(VALU_DEP_2)
	v_pk_add_f32 v[34:35], v[38:39], v[42:43] neg_lo:[0,1] neg_hi:[0,1]
	v_pk_add_f32 v[32:33], v[36:37], v[20:21] neg_lo:[0,1] neg_hi:[0,1]
	v_mov_b32_e32 v32, v30
	s_delay_alu instid0(VALU_DEP_3) | instskip(NEXT) | instid1(VALU_DEP_1)
	v_pk_add_f32 v[28:29], v[28:29], v[34:35] neg_lo:[0,1] neg_hi:[0,1]
	v_pk_add_f32 v[32:33], v[32:33], v[28:29]
	s_delay_alu instid0(VALU_DEP_1) | instskip(NEXT) | instid1(VALU_DEP_1)
	v_mov_b32_e32 v14, v33
	v_pk_add_f32 v[34:35], v[32:33], v[14:15]
	s_delay_alu instid0(VALU_DEP_1) | instskip(NEXT) | instid1(VALU_DEP_1)
	v_pk_add_f32 v[36:37], v[8:9], v[34:35]
	v_dual_mov_b32 v29, v34 :: v_dual_mov_b32 v33, v36
	s_delay_alu instid0(VALU_DEP_1) | instskip(NEXT) | instid1(VALU_DEP_1)
	v_pk_add_f32 v[38:39], v[32:33], v[30:31] neg_lo:[0,1] neg_hi:[0,1]
	v_sub_f32_e32 v8, v32, v38
	s_delay_alu instid0(VALU_DEP_2) | instskip(NEXT) | instid1(VALU_DEP_2)
	v_pk_add_f32 v[28:29], v[28:29], v[38:39] neg_lo:[0,1] neg_hi:[0,1]
	v_sub_f32_e32 v8, v30, v8
	s_delay_alu instid0(VALU_DEP_1) | instskip(NEXT) | instid1(VALU_DEP_1)
	v_add_f32_e32 v8, v28, v8
	v_add_f32_e32 v8, v8, v29
	s_delay_alu instid0(VALU_DEP_1) | instskip(NEXT) | instid1(VALU_DEP_1)
	v_add_f32_e32 v8, v36, v8
	v_cndmask_b32_e32 v8, 0x7f800000, v8, vcc_lo
	v_cmp_ngt_f32_e32 vcc_lo, -1.0, v12
	s_delay_alu instid0(VALU_DEP_2) | instskip(SKIP_1) | instid1(VALU_DEP_2)
	v_cndmask_b32_e32 v8, 0x7fc00000, v8, vcc_lo
	v_cmp_neq_f32_e32 vcc_lo, -1.0, v12
	v_cndmask_b32_e32 v8, 0xff800000, v8, vcc_lo
	v_cmp_gt_f32_e64 vcc_lo, 0x33800000, |v12|
	s_delay_alu instid0(VALU_DEP_2) | instskip(NEXT) | instid1(VALU_DEP_1)
	v_cndmask_b32_e32 v8, v8, v12, vcc_lo
	v_mul_f32_e32 v8, 0.5, v8
.LBB204_16:                             ;   in Loop: Header=BB204_5 Depth=1
	s_or_b32 exec_lo, exec_lo, s3
	s_delay_alu instid0(VALU_DEP_1)
	v_mov_b32_e32 v12, v8
.LBB204_17:                             ;   in Loop: Header=BB204_5 Depth=1
	s_or_b32 exec_lo, exec_lo, s2
	s_wait_loadcnt 0x0
	v_max_num_f32_e64 v8, |v2|, |v2|
	v_max_num_f32_e64 v27, |v3|, |v3|
	s_delay_alu instid0(VALU_DEP_1) | instskip(NEXT) | instid1(VALU_DEP_1)
	v_max_num_f32_e32 v14, v8, v27
	v_cvt_f64_f32_e32 v[28:29], v14
	s_delay_alu instid0(VALU_DEP_1) | instskip(NEXT) | instid1(VALU_DEP_1)
	v_frexp_exp_i32_f64_e32 v8, v[28:29]
	v_sub_nc_u32_e32 v16, 0, v8
	v_cmp_eq_f32_e32 vcc_lo, 0x7f800000, v14
                                        ; implicit-def: $vgpr14
	s_delay_alu instid0(VALU_DEP_2) | instskip(SKIP_1) | instid1(VALU_DEP_2)
	v_ldexp_f32 v21, |v3|, v16
	v_ldexp_f32 v16, |v2|, v16
	v_mul_f32_e32 v21, v21, v21
	s_delay_alu instid0(VALU_DEP_1) | instskip(NEXT) | instid1(VALU_DEP_1)
	v_fmac_f32_e32 v21, v16, v16
	v_sqrt_f32_e32 v16, v21
	v_nop
	s_delay_alu instid0(TRANS32_DEP_1) | instskip(SKIP_1) | instid1(VALU_DEP_2)
	v_ldexp_f32 v16, v16, v8
	v_add_f32_e32 v8, 1.0, v2
	v_cmp_ngt_f32_e64 s2, 0.5, v16
	s_delay_alu instid0(VALU_DEP_2) | instskip(SKIP_1) | instid1(SALU_CYCLE_1)
	v_max_num_f32_e64 v28, |v8|, v27
	s_or_b32 s2, vcc_lo, s2
	s_and_saveexec_b32 s3, s2
	s_delay_alu instid0(SALU_CYCLE_1)
	s_xor_b32 s3, exec_lo, s3
	s_cbranch_execz .LBB204_19
; %bb.18:                               ;   in Loop: Header=BB204_5 Depth=1
	v_cvt_f64_f32_e32 v[30:31], v28
	v_cmp_neq_f32_e32 vcc_lo, 0x7f800000, v28
	s_delay_alu instid0(VALU_DEP_2) | instskip(NEXT) | instid1(VALU_DEP_1)
	v_frexp_exp_i32_f64_e32 v14, v[30:31]
	v_sub_nc_u32_e32 v16, 0, v14
	s_delay_alu instid0(VALU_DEP_1) | instskip(NEXT) | instid1(VALU_DEP_1)
	v_ldexp_f32 v21, |v3|, v16
	v_mul_f32_e32 v21, v21, v21
	v_ldexp_f32 v16, |v8|, v16
	s_delay_alu instid0(VALU_DEP_1) | instskip(NEXT) | instid1(VALU_DEP_1)
	v_fmac_f32_e32 v21, v16, v16
	v_sqrt_f32_e32 v16, v21
	v_nop
	s_delay_alu instid0(TRANS32_DEP_1) | instskip(NEXT) | instid1(VALU_DEP_1)
	v_ldexp_f32 v14, v16, v14
	v_cndmask_b32_e32 v14, 0x7f800000, v14, vcc_lo
	s_delay_alu instid0(VALU_DEP_1) | instskip(SKIP_1) | instid1(VALU_DEP_1)
	v_cmp_gt_f32_e32 vcc_lo, 0x800000, v14
	v_cndmask_b32_e64 v16, 0, 32, vcc_lo
	v_ldexp_f32 v14, v14, v16
	s_delay_alu instid0(VALU_DEP_1) | instskip(SKIP_1) | instid1(TRANS32_DEP_1)
	v_log_f32_e32 v14, v14
	v_nop
	v_mul_f32_e32 v16, 0x3f317217, v14
	v_cmp_gt_f32_e64 s2, 0x7f800000, |v14|
	s_delay_alu instid0(VALU_DEP_2) | instskip(NEXT) | instid1(VALU_DEP_1)
	v_fma_f32 v16, 0x3f317217, v14, -v16
	v_fmac_f32_e32 v16, 0x3377d1cf, v14
	s_delay_alu instid0(VALU_DEP_1) | instskip(NEXT) | instid1(VALU_DEP_1)
	v_fmac_f32_e32 v16, 0x3f317217, v14
	v_cndmask_b32_e64 v14, v14, v16, s2
	v_cndmask_b32_e64 v16, 0, 0x41b17218, vcc_lo
	s_delay_alu instid0(VALU_DEP_1)
	v_sub_f32_e32 v14, v14, v16
.LBB204_19:                             ;   in Loop: Header=BB204_5 Depth=1
	s_and_not1_saveexec_b32 s2, s3
	s_cbranch_execz .LBB204_23
; %bb.20:                               ;   in Loop: Header=BB204_5 Depth=1
	v_dual_add_f32 v30, 2.0, v2 :: v_dual_mov_b32 v31, v3
	s_mov_b32 s3, exec_lo
	s_delay_alu instid0(VALU_DEP_1) | instskip(NEXT) | instid1(VALU_DEP_1)
	v_pk_mul_f32 v[30:31], v[2:3], v[30:31]
	v_add_f32_e32 v14, v31, v30
	s_delay_alu instid0(VALU_DEP_1)
	v_cmpx_neq_f32_e32 0, v14
	s_cbranch_execz .LBB204_22
; %bb.21:                               ;   in Loop: Header=BB204_5 Depth=1
	v_add_f32_e32 v2, 1.0, v14
	s_delay_alu instid0(VALU_DEP_1) | instskip(SKIP_1) | instid1(VALU_DEP_1)
	v_cvt_f64_f32_e32 v[30:31], v2
	v_frexp_mant_f32_e32 v21, v2
	v_cmp_gt_f32_e32 vcc_lo, 0x3f2aaaab, v21
	s_delay_alu instid0(VALU_DEP_3) | instskip(NEXT) | instid1(VALU_DEP_1)
	v_frexp_exp_i32_f64_e32 v16, v[30:31]
	v_subrev_co_ci_u32_e64 v16, null, 0, v16, vcc_lo
	v_cmp_neq_f32_e32 vcc_lo, 0x7f800000, v14
	s_delay_alu instid0(VALU_DEP_2) | instskip(NEXT) | instid1(VALU_DEP_1)
	v_dual_sub_nc_u32 v29, 0, v16 :: v_dual_add_f32 v21, -1.0, v2
	v_sub_f32_e32 v30, v21, v2
	s_delay_alu instid0(VALU_DEP_2) | instskip(NEXT) | instid1(VALU_DEP_1)
	v_ldexp_f32 v2, v2, v29
	v_dual_add_f32 v32, 1.0, v2 :: v_dual_sub_f32 v21, v14, v21
	s_delay_alu instid0(VALU_DEP_3) | instskip(NEXT) | instid1(VALU_DEP_1)
	v_add_f32_e32 v30, 1.0, v30
	v_dual_add_f32 v21, v21, v30 :: v_dual_add_f32 v30, -1.0, v32
	s_delay_alu instid0(VALU_DEP_1) | instskip(NEXT) | instid1(VALU_DEP_2)
	v_ldexp_f32 v21, v21, v29
	v_sub_f32_e32 v29, v2, v30
	s_delay_alu instid0(VALU_DEP_1) | instskip(NEXT) | instid1(VALU_DEP_1)
	v_dual_add_f32 v29, v21, v29 :: v_dual_add_f32 v35, -1.0, v2
	v_dual_add_f32 v36, v32, v29 :: v_dual_add_f32 v30, 1.0, v35
	s_delay_alu instid0(VALU_DEP_1) | instskip(NEXT) | instid1(VALU_DEP_1)
	v_dual_sub_f32 v2, v2, v30 :: v_dual_sub_f32 v30, v36, v32
	v_add_f32_e32 v2, v21, v2
	v_rcp_f32_e32 v21, v36
	s_delay_alu instid0(VALU_DEP_1)
	v_add_f32_e32 v31, v35, v2
	s_delay_alu instid0(TRANS32_DEP_1) | instid1(VALU_DEP_1)
	v_mul_f32_e32 v37, v31, v21
	s_delay_alu instid0(VALU_DEP_1) | instskip(NEXT) | instid1(VALU_DEP_1)
	v_dual_mul_f32 v32, v36, v37 :: v_dual_sub_f32 v29, v29, v30
	v_dual_sub_f32 v38, v31, v35 :: v_dual_fma_f32 v34, v37, v36, -v32
	s_delay_alu instid0(VALU_DEP_1) | instskip(NEXT) | instid1(VALU_DEP_1)
	v_dual_sub_f32 v2, v2, v38 :: v_dual_fmac_f32 v34, v37, v29
	v_add_f32_e32 v30, v32, v34
	s_delay_alu instid0(VALU_DEP_1) | instskip(NEXT) | instid1(VALU_DEP_1)
	v_dual_sub_f32 v33, v31, v30 :: v_dual_mov_b32 v35, v30
	v_pk_add_f32 v[30:31], v[30:31], v[32:33] neg_lo:[0,1] neg_hi:[0,1]
	s_delay_alu instid0(VALU_DEP_1) | instskip(NEXT) | instid1(VALU_DEP_1)
	v_pk_add_f32 v[30:31], v[30:31], v[34:35] neg_lo:[0,1] neg_hi:[0,1]
	v_add_f32_e32 v2, v2, v31
	s_delay_alu instid0(VALU_DEP_1) | instskip(NEXT) | instid1(VALU_DEP_1)
	v_add_f32_e32 v2, v30, v2
	v_add_f32_e32 v31, v33, v2
	s_delay_alu instid0(VALU_DEP_1) | instskip(NEXT) | instid1(VALU_DEP_1)
	v_mul_f32_e32 v38, v21, v31
	v_mul_f32_e32 v34, v36, v38
	s_delay_alu instid0(VALU_DEP_1) | instskip(NEXT) | instid1(VALU_DEP_1)
	v_fma_f32 v32, v38, v36, -v34
	v_dual_fmac_f32 v32, v38, v29 :: v_dual_sub_f32 v29, v33, v31
	s_delay_alu instid0(VALU_DEP_1) | instskip(NEXT) | instid1(VALU_DEP_2)
	v_add_f32_e32 v30, v34, v32
	v_dual_add_f32 v2, v2, v29 :: v_dual_add_f32 v29, v37, v38
	s_delay_alu instid0(VALU_DEP_2) | instskip(NEXT) | instid1(VALU_DEP_1)
	v_dual_sub_f32 v35, v31, v30 :: v_dual_mov_b32 v33, v30
	v_pk_add_f32 v[30:31], v[30:31], v[34:35] neg_lo:[0,1] neg_hi:[0,1]
	s_delay_alu instid0(VALU_DEP_1) | instskip(NEXT) | instid1(VALU_DEP_1)
	v_pk_add_f32 v[30:31], v[30:31], v[32:33] neg_lo:[0,1] neg_hi:[0,1]
	v_add_f32_e32 v2, v2, v31
	s_delay_alu instid0(VALU_DEP_1) | instskip(NEXT) | instid1(VALU_DEP_1)
	v_dual_add_f32 v2, v30, v2 :: v_dual_sub_f32 v30, v29, v37
	v_add_f32_e32 v2, v35, v2
	s_delay_alu instid0(VALU_DEP_2) | instskip(NEXT) | instid1(VALU_DEP_2)
	v_sub_f32_e32 v30, v38, v30
	v_mul_f32_e32 v2, v21, v2
	s_delay_alu instid0(VALU_DEP_1) | instskip(SKIP_1) | instid1(VALU_DEP_2)
	v_add_f32_e32 v2, v30, v2
	v_cvt_f32_i32_e32 v30, v16
	v_add_f32_e32 v36, v29, v2
	s_delay_alu instid0(VALU_DEP_1) | instskip(NEXT) | instid1(VALU_DEP_1)
	v_sub_f32_e32 v16, v36, v29
	v_sub_f32_e32 v2, v2, v16
	v_mul_f32_e32 v21, v36, v36
	v_ldexp_f32 v35, v36, 1
	s_delay_alu instid0(VALU_DEP_3) | instskip(NEXT) | instid1(VALU_DEP_3)
	v_ldexp_f32 v2, v2, 1
	v_dual_fmaak_f32 v32, s19, v21, 0x3ecc95a3 :: v_dual_mul_f32 v31, v36, v21
	s_delay_alu instid0(VALU_DEP_1) | instskip(NEXT) | instid1(VALU_DEP_1)
	v_fmaak_f32 v21, v21, v32, 0x3f2aaada
	v_pk_mul_f32 v[32:33], v[30:31], v[20:21]
	s_delay_alu instid0(VALU_DEP_1) | instskip(SKIP_1) | instid1(VALU_DEP_2)
	v_fma_f32 v34, 0x3f317218, v30, -v32
	v_mov_b32_e32 v36, v32
	v_fmac_f32_e32 v34, 0xb102e308, v30
	s_delay_alu instid0(VALU_DEP_1) | instskip(NEXT) | instid1(VALU_DEP_1)
	v_pk_add_f32 v[30:31], v[32:33], v[34:35]
	v_dual_sub_f32 v16, v31, v35 :: v_dual_mov_b32 v35, v30
	s_delay_alu instid0(VALU_DEP_1) | instskip(SKIP_1) | instid1(VALU_DEP_2)
	v_dual_mov_b32 v44, v31 :: v_dual_sub_f32 v16, v33, v16
	v_pk_add_f32 v[32:33], v[30:31], v[32:33] neg_lo:[0,1] neg_hi:[0,1]
	v_add_f32_e32 v37, v2, v16
	s_delay_alu instid0(VALU_DEP_1) | instskip(NEXT) | instid1(VALU_DEP_1)
	v_pk_add_f32 v[38:39], v[30:31], v[36:37]
	v_mov_b32_e32 v33, v39
	s_delay_alu instid0(VALU_DEP_1) | instskip(SKIP_1) | instid1(VALU_DEP_2)
	v_pk_add_f32 v[40:41], v[34:35], v[32:33]
	v_pk_add_f32 v[32:33], v[34:35], v[32:33] neg_lo:[0,1] neg_hi:[0,1]
	v_dual_mov_b32 v2, v41 :: v_dual_mov_b32 v33, v41
	s_delay_alu instid0(VALU_DEP_1) | instskip(SKIP_1) | instid1(VALU_DEP_2)
	v_pk_add_f32 v[42:43], v[2:3], v[30:31] neg_lo:[0,1] neg_hi:[0,1]
	v_dual_mov_b32 v40, v39 :: v_dual_mov_b32 v31, v30
	v_dual_mov_b32 v30, v37 :: v_dual_mov_b32 v45, v42
	v_mov_b32_e32 v21, v42
	s_delay_alu instid0(VALU_DEP_2) | instskip(NEXT) | instid1(VALU_DEP_2)
	v_pk_add_f32 v[36:37], v[40:41], v[44:45] neg_lo:[0,1] neg_hi:[0,1]
	v_pk_add_f32 v[34:35], v[38:39], v[20:21] neg_lo:[0,1] neg_hi:[0,1]
	v_mov_b32_e32 v34, v32
	s_delay_alu instid0(VALU_DEP_3) | instskip(NEXT) | instid1(VALU_DEP_1)
	v_pk_add_f32 v[30:31], v[30:31], v[36:37] neg_lo:[0,1] neg_hi:[0,1]
	v_pk_add_f32 v[34:35], v[34:35], v[30:31]
	s_delay_alu instid0(VALU_DEP_1) | instskip(NEXT) | instid1(VALU_DEP_1)
	v_mov_b32_e32 v16, v35
	v_pk_add_f32 v[36:37], v[34:35], v[16:17]
	s_delay_alu instid0(VALU_DEP_1) | instskip(NEXT) | instid1(VALU_DEP_1)
	v_pk_add_f32 v[38:39], v[2:3], v[36:37]
	v_dual_mov_b32 v31, v36 :: v_dual_mov_b32 v35, v38
	s_delay_alu instid0(VALU_DEP_1) | instskip(NEXT) | instid1(VALU_DEP_1)
	v_pk_add_f32 v[40:41], v[34:35], v[32:33] neg_lo:[0,1] neg_hi:[0,1]
	v_sub_f32_e32 v2, v34, v40
	s_delay_alu instid0(VALU_DEP_2) | instskip(NEXT) | instid1(VALU_DEP_2)
	v_pk_add_f32 v[30:31], v[30:31], v[40:41] neg_lo:[0,1] neg_hi:[0,1]
	v_sub_f32_e32 v2, v32, v2
	s_delay_alu instid0(VALU_DEP_1) | instskip(NEXT) | instid1(VALU_DEP_1)
	v_add_f32_e32 v2, v30, v2
	v_add_f32_e32 v2, v2, v31
	s_delay_alu instid0(VALU_DEP_1) | instskip(NEXT) | instid1(VALU_DEP_1)
	v_add_f32_e32 v2, v38, v2
	v_cndmask_b32_e32 v2, 0x7f800000, v2, vcc_lo
	v_cmp_ngt_f32_e32 vcc_lo, -1.0, v14
	s_delay_alu instid0(VALU_DEP_2) | instskip(SKIP_1) | instid1(VALU_DEP_2)
	v_cndmask_b32_e32 v2, 0x7fc00000, v2, vcc_lo
	v_cmp_neq_f32_e32 vcc_lo, -1.0, v14
	v_cndmask_b32_e32 v2, 0xff800000, v2, vcc_lo
	v_cmp_gt_f32_e64 vcc_lo, 0x33800000, |v14|
	s_delay_alu instid0(VALU_DEP_2) | instskip(NEXT) | instid1(VALU_DEP_1)
	v_cndmask_b32_e32 v2, v2, v14, vcc_lo
	v_mul_f32_e32 v2, 0.5, v2
.LBB204_22:                             ;   in Loop: Header=BB204_5 Depth=1
	s_or_b32 exec_lo, exec_lo, s3
	s_delay_alu instid0(VALU_DEP_1)
	v_mov_b32_e32 v14, v2
.LBB204_23:                             ;   in Loop: Header=BB204_5 Depth=1
	s_or_b32 exec_lo, exec_lo, s2
	v_max_num_f32_e64 v2, |v4|, |v4|
	v_max_num_f32_e64 v29, |v5|, |v5|
	s_delay_alu instid0(VALU_DEP_1) | instskip(NEXT) | instid1(VALU_DEP_1)
	v_max_num_f32_e32 v16, v2, v29
	v_cvt_f64_f32_e32 v[30:31], v16
	s_delay_alu instid0(VALU_DEP_1) | instskip(NEXT) | instid1(VALU_DEP_1)
	v_frexp_exp_i32_f64_e32 v2, v[30:31]
	v_sub_nc_u32_e32 v21, 0, v2
	v_cmp_eq_f32_e32 vcc_lo, 0x7f800000, v16
	s_delay_alu instid0(VALU_DEP_2) | instskip(SKIP_1) | instid1(VALU_DEP_2)
	v_ldexp_f32 v30, |v5|, v21
	v_ldexp_f32 v21, |v4|, v21
	v_mul_f32_e32 v30, v30, v30
	s_delay_alu instid0(VALU_DEP_1) | instskip(NEXT) | instid1(VALU_DEP_1)
	v_fmac_f32_e32 v30, v21, v21
	v_sqrt_f32_e32 v21, v30
	v_nop
	s_delay_alu instid0(TRANS32_DEP_1) | instskip(SKIP_1) | instid1(VALU_DEP_2)
	v_ldexp_f32 v21, v21, v2
	v_add_f32_e32 v2, 1.0, v4
	v_cmp_ngt_f32_e64 s2, 0.5, v21
	s_delay_alu instid0(VALU_DEP_2) | instskip(SKIP_1) | instid1(SALU_CYCLE_1)
	v_max_num_f32_e64 v30, |v2|, v29
	s_or_b32 s2, vcc_lo, s2
	s_and_saveexec_b32 s3, s2
	s_delay_alu instid0(SALU_CYCLE_1)
	s_xor_b32 s3, exec_lo, s3
	s_cbranch_execz .LBB204_25
; %bb.24:                               ;   in Loop: Header=BB204_5 Depth=1
	v_cvt_f64_f32_e32 v[32:33], v30
	v_cmp_neq_f32_e32 vcc_lo, 0x7f800000, v30
	s_delay_alu instid0(VALU_DEP_2) | instskip(NEXT) | instid1(VALU_DEP_1)
	v_frexp_exp_i32_f64_e32 v16, v[32:33]
	v_sub_nc_u32_e32 v21, 0, v16
	s_delay_alu instid0(VALU_DEP_1) | instskip(NEXT) | instid1(VALU_DEP_1)
	v_ldexp_f32 v31, |v5|, v21
	v_mul_f32_e32 v31, v31, v31
	v_ldexp_f32 v21, |v2|, v21
	s_delay_alu instid0(VALU_DEP_1) | instskip(NEXT) | instid1(VALU_DEP_1)
	v_fmac_f32_e32 v31, v21, v21
	v_sqrt_f32_e32 v21, v31
	v_nop
	s_delay_alu instid0(TRANS32_DEP_1) | instskip(NEXT) | instid1(VALU_DEP_1)
	v_ldexp_f32 v16, v21, v16
	v_cndmask_b32_e32 v16, 0x7f800000, v16, vcc_lo
	s_delay_alu instid0(VALU_DEP_1) | instskip(SKIP_1) | instid1(VALU_DEP_1)
	v_cmp_gt_f32_e32 vcc_lo, 0x800000, v16
	v_cndmask_b32_e64 v21, 0, 32, vcc_lo
	v_ldexp_f32 v16, v16, v21
	s_delay_alu instid0(VALU_DEP_1) | instskip(SKIP_1) | instid1(TRANS32_DEP_1)
	v_log_f32_e32 v16, v16
	v_nop
	v_mul_f32_e32 v21, 0x3f317217, v16
	v_cmp_gt_f32_e64 s2, 0x7f800000, |v16|
	s_delay_alu instid0(VALU_DEP_2) | instskip(NEXT) | instid1(VALU_DEP_1)
	v_fma_f32 v21, 0x3f317217, v16, -v21
	v_fmac_f32_e32 v21, 0x3377d1cf, v16
	s_delay_alu instid0(VALU_DEP_1) | instskip(NEXT) | instid1(VALU_DEP_1)
	v_fmac_f32_e32 v21, 0x3f317217, v16
	v_cndmask_b32_e64 v16, v16, v21, s2
	v_cndmask_b32_e64 v21, 0, 0x41b17218, vcc_lo
	s_delay_alu instid0(VALU_DEP_1)
	v_sub_f32_e32 v16, v16, v21
.LBB204_25:                             ;   in Loop: Header=BB204_5 Depth=1
	s_and_not1_saveexec_b32 s2, s3
	s_cbranch_execz .LBB204_4
; %bb.26:                               ;   in Loop: Header=BB204_5 Depth=1
	v_dual_add_f32 v32, 2.0, v4 :: v_dual_mov_b32 v33, v5
	s_mov_b32 s3, exec_lo
	s_delay_alu instid0(VALU_DEP_1) | instskip(NEXT) | instid1(VALU_DEP_1)
	v_pk_mul_f32 v[32:33], v[4:5], v[32:33]
	v_add_f32_e32 v16, v33, v32
	s_delay_alu instid0(VALU_DEP_1)
	v_cmpx_neq_f32_e32 0, v16
	s_cbranch_execz .LBB204_3
; %bb.27:                               ;   in Loop: Header=BB204_5 Depth=1
	v_add_f32_e32 v4, 1.0, v16
	s_delay_alu instid0(VALU_DEP_1) | instskip(SKIP_1) | instid1(VALU_DEP_1)
	v_cvt_f64_f32_e32 v[32:33], v4
	v_frexp_mant_f32_e32 v31, v4
	v_cmp_gt_f32_e32 vcc_lo, 0x3f2aaaab, v31
	s_delay_alu instid0(VALU_DEP_3) | instskip(NEXT) | instid1(VALU_DEP_1)
	v_frexp_exp_i32_f64_e32 v21, v[32:33]
	v_subrev_co_ci_u32_e64 v21, null, 0, v21, vcc_lo
	v_cmp_neq_f32_e32 vcc_lo, 0x7f800000, v16
	s_delay_alu instid0(VALU_DEP_2) | instskip(NEXT) | instid1(VALU_DEP_1)
	v_dual_add_f32 v31, -1.0, v4 :: v_dual_sub_nc_u32 v32, 0, v21
	v_sub_f32_e32 v33, v31, v4
	s_delay_alu instid0(VALU_DEP_2) | instskip(NEXT) | instid1(VALU_DEP_2)
	v_ldexp_f32 v4, v4, v32
	v_dual_add_f32 v33, 1.0, v33 :: v_dual_sub_f32 v31, v16, v31
	s_delay_alu instid0(VALU_DEP_2) | instskip(NEXT) | instid1(VALU_DEP_1)
	v_dual_add_f32 v34, 1.0, v4 :: v_dual_add_f32 v37, -1.0, v4
	v_dual_add_f32 v31, v31, v33 :: v_dual_add_f32 v33, -1.0, v34
	s_delay_alu instid0(VALU_DEP_1) | instskip(NEXT) | instid1(VALU_DEP_2)
	v_ldexp_f32 v31, v31, v32
	v_sub_f32_e32 v32, v4, v33
	s_delay_alu instid0(VALU_DEP_4) | instskip(NEXT) | instid1(VALU_DEP_1)
	v_add_f32_e32 v33, 1.0, v37
	v_dual_sub_f32 v4, v4, v33 :: v_dual_add_f32 v32, v31, v32
	s_delay_alu instid0(VALU_DEP_1) | instskip(NEXT) | instid1(VALU_DEP_1)
	v_add_f32_e32 v4, v31, v4
	v_add_f32_e32 v33, v37, v4
	s_delay_alu instid0(VALU_DEP_3) | instskip(NEXT) | instid1(VALU_DEP_1)
	v_add_f32_e32 v38, v34, v32
	v_rcp_f32_e32 v31, v38
	v_nop
	s_delay_alu instid0(TRANS32_DEP_1) | instskip(NEXT) | instid1(VALU_DEP_1)
	v_dual_mul_f32 v39, v33, v31 :: v_dual_sub_f32 v35, v38, v34
	v_mul_f32_e32 v34, v38, v39
	s_delay_alu instid0(VALU_DEP_2) | instskip(NEXT) | instid1(VALU_DEP_1)
	v_dual_sub_f32 v40, v32, v35 :: v_dual_sub_f32 v41, v33, v37
	v_dual_fma_f32 v36, v39, v38, -v34 :: v_dual_sub_f32 v4, v4, v41
	s_delay_alu instid0(VALU_DEP_1) | instskip(NEXT) | instid1(VALU_DEP_1)
	v_fmac_f32_e32 v36, v39, v40
	v_add_f32_e32 v32, v34, v36
	s_delay_alu instid0(VALU_DEP_1) | instskip(NEXT) | instid1(VALU_DEP_1)
	v_dual_sub_f32 v35, v33, v32 :: v_dual_mov_b32 v37, v32
	v_pk_add_f32 v[32:33], v[32:33], v[34:35] neg_lo:[0,1] neg_hi:[0,1]
	s_delay_alu instid0(VALU_DEP_1) | instskip(NEXT) | instid1(VALU_DEP_1)
	v_pk_add_f32 v[32:33], v[32:33], v[36:37] neg_lo:[0,1] neg_hi:[0,1]
	v_add_f32_e32 v4, v4, v33
	s_delay_alu instid0(VALU_DEP_1) | instskip(NEXT) | instid1(VALU_DEP_1)
	v_add_f32_e32 v4, v32, v4
	v_add_f32_e32 v33, v35, v4
	s_delay_alu instid0(VALU_DEP_1) | instskip(NEXT) | instid1(VALU_DEP_1)
	v_mul_f32_e32 v41, v31, v33
	v_mul_f32_e32 v36, v38, v41
	s_delay_alu instid0(VALU_DEP_1) | instskip(NEXT) | instid1(VALU_DEP_1)
	v_dual_fma_f32 v34, v41, v38, -v36 :: v_dual_sub_f32 v38, v35, v33
	v_dual_fmac_f32 v34, v41, v40 :: v_dual_add_f32 v4, v4, v38
	s_delay_alu instid0(VALU_DEP_1) | instskip(NEXT) | instid1(VALU_DEP_1)
	v_dual_add_f32 v38, v39, v41 :: v_dual_add_f32 v32, v36, v34
	v_dual_sub_f32 v37, v33, v32 :: v_dual_mov_b32 v35, v32
	s_delay_alu instid0(VALU_DEP_1) | instskip(NEXT) | instid1(VALU_DEP_1)
	v_pk_add_f32 v[32:33], v[32:33], v[36:37] neg_lo:[0,1] neg_hi:[0,1]
	v_pk_add_f32 v[32:33], v[32:33], v[34:35] neg_lo:[0,1] neg_hi:[0,1]
	s_delay_alu instid0(VALU_DEP_1) | instskip(NEXT) | instid1(VALU_DEP_1)
	v_add_f32_e32 v4, v4, v33
	v_dual_add_f32 v4, v32, v4 :: v_dual_sub_f32 v32, v38, v39
	s_delay_alu instid0(VALU_DEP_1) | instskip(NEXT) | instid1(VALU_DEP_2)
	v_add_f32_e32 v4, v37, v4
	v_sub_f32_e32 v32, v41, v32
	s_delay_alu instid0(VALU_DEP_2) | instskip(NEXT) | instid1(VALU_DEP_1)
	v_mul_f32_e32 v4, v31, v4
	v_add_f32_e32 v4, v32, v4
	v_cvt_f32_i32_e32 v32, v21
	s_delay_alu instid0(VALU_DEP_2) | instskip(NEXT) | instid1(VALU_DEP_1)
	v_add_f32_e32 v31, v38, v4
	v_mul_f32_e32 v34, v31, v31
	s_delay_alu instid0(VALU_DEP_1) | instskip(SKIP_1) | instid1(VALU_DEP_2)
	v_fmaak_f32 v35, s19, v34, 0x3ecc95a3
	v_mul_f32_e32 v33, v31, v34
	v_fmaak_f32 v21, v34, v35, 0x3f2aaada
	s_delay_alu instid0(VALU_DEP_1) | instskip(SKIP_1) | instid1(VALU_DEP_2)
	v_pk_mul_f32 v[34:35], v[32:33], v[20:21]
	v_sub_f32_e32 v21, v31, v38
	v_fma_f32 v36, 0x3f317218, v32, -v34
	s_delay_alu instid0(VALU_DEP_2) | instskip(SKIP_2) | instid1(VALU_DEP_4)
	v_sub_f32_e32 v4, v4, v21
	v_ldexp_f32 v37, v31, 1
	v_mov_b32_e32 v38, v34
	v_fmac_f32_e32 v36, 0xb102e308, v32
	s_delay_alu instid0(VALU_DEP_4) | instskip(NEXT) | instid1(VALU_DEP_2)
	v_ldexp_f32 v4, v4, 1
	v_pk_add_f32 v[32:33], v[34:35], v[36:37]
	s_delay_alu instid0(VALU_DEP_1) | instskip(NEXT) | instid1(VALU_DEP_1)
	v_dual_sub_f32 v21, v33, v37 :: v_dual_mov_b32 v37, v32
	v_dual_mov_b32 v46, v33 :: v_dual_sub_f32 v21, v35, v21
	v_pk_add_f32 v[34:35], v[32:33], v[34:35] neg_lo:[0,1] neg_hi:[0,1]
	s_delay_alu instid0(VALU_DEP_2) | instskip(NEXT) | instid1(VALU_DEP_1)
	v_add_f32_e32 v39, v4, v21
	v_pk_add_f32 v[40:41], v[32:33], v[38:39]
	s_delay_alu instid0(VALU_DEP_1) | instskip(NEXT) | instid1(VALU_DEP_1)
	v_mov_b32_e32 v35, v41
	v_pk_add_f32 v[42:43], v[36:37], v[34:35]
	v_pk_add_f32 v[34:35], v[36:37], v[34:35] neg_lo:[0,1] neg_hi:[0,1]
	s_delay_alu instid0(VALU_DEP_2) | instskip(NEXT) | instid1(VALU_DEP_1)
	v_dual_mov_b32 v4, v43 :: v_dual_mov_b32 v35, v43
	v_pk_add_f32 v[44:45], v[4:5], v[32:33] neg_lo:[0,1] neg_hi:[0,1]
	v_dual_mov_b32 v42, v41 :: v_dual_mov_b32 v33, v32
	s_delay_alu instid0(VALU_DEP_2) | instskip(SKIP_1) | instid1(VALU_DEP_2)
	v_dual_mov_b32 v32, v39 :: v_dual_mov_b32 v47, v44
	v_mov_b32_e32 v21, v44
	v_pk_add_f32 v[38:39], v[42:43], v[46:47] neg_lo:[0,1] neg_hi:[0,1]
	s_delay_alu instid0(VALU_DEP_2) | instskip(SKIP_1) | instid1(VALU_DEP_3)
	v_pk_add_f32 v[36:37], v[40:41], v[20:21] neg_lo:[0,1] neg_hi:[0,1]
	v_mov_b32_e32 v36, v34
	v_pk_add_f32 v[32:33], v[32:33], v[38:39] neg_lo:[0,1] neg_hi:[0,1]
	s_delay_alu instid0(VALU_DEP_1) | instskip(NEXT) | instid1(VALU_DEP_1)
	v_pk_add_f32 v[36:37], v[36:37], v[32:33]
	v_mov_b32_e32 v38, v37
	s_delay_alu instid0(VALU_DEP_1) | instskip(NEXT) | instid1(VALU_DEP_1)
	v_pk_add_f32 v[38:39], v[36:37], v[38:39]
	v_pk_add_f32 v[40:41], v[4:5], v[38:39]
	s_delay_alu instid0(VALU_DEP_1) | instskip(NEXT) | instid1(VALU_DEP_1)
	v_dual_mov_b32 v33, v38 :: v_dual_mov_b32 v37, v40
	v_pk_add_f32 v[42:43], v[36:37], v[34:35] neg_lo:[0,1] neg_hi:[0,1]
	s_delay_alu instid0(VALU_DEP_1) | instskip(NEXT) | instid1(VALU_DEP_2)
	v_sub_f32_e32 v4, v36, v42
	v_pk_add_f32 v[32:33], v[32:33], v[42:43] neg_lo:[0,1] neg_hi:[0,1]
	s_delay_alu instid0(VALU_DEP_2) | instskip(NEXT) | instid1(VALU_DEP_1)
	v_sub_f32_e32 v4, v34, v4
	v_add_f32_e32 v4, v32, v4
	s_delay_alu instid0(VALU_DEP_1) | instskip(NEXT) | instid1(VALU_DEP_1)
	v_add_f32_e32 v4, v4, v33
	v_add_f32_e32 v4, v40, v4
	s_delay_alu instid0(VALU_DEP_1) | instskip(SKIP_1) | instid1(VALU_DEP_2)
	v_cndmask_b32_e32 v4, 0x7f800000, v4, vcc_lo
	v_cmp_ngt_f32_e32 vcc_lo, -1.0, v16
	v_cndmask_b32_e32 v4, 0x7fc00000, v4, vcc_lo
	v_cmp_neq_f32_e32 vcc_lo, -1.0, v16
	s_delay_alu instid0(VALU_DEP_2) | instskip(SKIP_1) | instid1(VALU_DEP_2)
	v_cndmask_b32_e32 v4, 0xff800000, v4, vcc_lo
	v_cmp_gt_f32_e64 vcc_lo, 0x33800000, |v16|
	v_cndmask_b32_e32 v4, v4, v16, vcc_lo
	s_delay_alu instid0(VALU_DEP_1)
	v_mul_f32_e32 v4, 0.5, v4
	s_branch .LBB204_3
.LBB204_28:
	s_or_b32 exec_lo, exec_lo, s18
	s_mov_b32 s14, 0
.LBB204_29:
	s_delay_alu instid0(SALU_CYCLE_1)
	s_and_not1_b32 vcc_lo, exec_lo, s14
	s_cbranch_vccnz .LBB204_73
; %bb.30:
	v_cmp_lt_i64_e64 s2, s[4:5], 1
	s_and_b32 vcc_lo, exec_lo, s2
	s_cbranch_vccnz .LBB204_73
; %bb.31:
	v_min_i64 v[2:3], 0x10000, s[4:5]
	v_min_u64 v[4:5], 0x10000, s[4:5]
	s_load_b32 s0, s[0:1], 0xc5c
	v_dual_mov_b32 v1, 0 :: v_dual_mov_b32 v6, 0x3f317218
	v_mov_b32_e32 v24, 0x4016cbe4
	s_mov_b32 s11, 0
	s_mov_b64 s[18:19], 0
	s_mov_b32 s13, s11
	s_mov_b32 s15, s11
	;; [unrolled: 1-line block ×5, first 2 shown]
	s_wait_kmcnt 0x0
	s_and_b32 s10, s0, 0xffff
	s_delay_alu instid0(SALU_CYCLE_1)
	s_lshl_b32 s12, s10, 1
	s_mul_i32 s14, s10, 3
	s_lshl_b32 s16, s10, 2
	s_branch .LBB204_33
.LBB204_32:                             ;   in Loop: Header=BB204_33 Depth=1
	s_wait_xcnt 0x0
	s_or_b32 exec_lo, exec_lo, s1
	s_add_nc_u64 s[18:19], s[18:19], s[16:17]
	s_delay_alu instid0(SALU_CYCLE_1)
	v_cmp_ge_i64_e32 vcc_lo, s[18:19], v[2:3]
	s_cbranch_vccnz .LBB204_73
.LBB204_33:                             ; =>This Inner Loop Header: Depth=1
	v_add_nc_u64_e32 v[20:21], s[18:19], v[0:1]
	v_dual_mov_b32 v22, 0 :: v_dual_mov_b32 v23, 0
	s_delay_alu instid0(VALU_DEP_2)
	v_cmp_lt_u64_e64 s2, v[20:21], v[4:5]
	s_and_saveexec_b32 s0, s2
	s_cbranch_execz .LBB204_35
; %bb.34:                               ;   in Loop: Header=BB204_33 Depth=1
	v_lshl_add_u64 v[8:9], v[20:21], 3, s[6:7]
	global_load_b64 v[22:23], v[8:9], off
.LBB204_35:                             ;   in Loop: Header=BB204_33 Depth=1
	s_wait_xcnt 0x0
	s_or_b32 exec_lo, exec_lo, s0
	v_add_nc_u64_e32 v[16:17], s[10:11], v[20:21]
	v_dual_mov_b32 v12, 0 :: v_dual_mov_b32 v18, 0
	v_mov_b32_e32 v19, 0
	s_delay_alu instid0(VALU_DEP_3)
	v_cmp_lt_u64_e64 s1, v[16:17], v[4:5]
	s_and_saveexec_b32 s0, s1
	s_cbranch_execz .LBB204_37
; %bb.36:                               ;   in Loop: Header=BB204_33 Depth=1
	v_lshl_add_u64 v[8:9], v[16:17], 3, s[6:7]
	global_load_b64 v[18:19], v[8:9], off
.LBB204_37:                             ;   in Loop: Header=BB204_33 Depth=1
	s_wait_xcnt 0x0
	s_or_b32 exec_lo, exec_lo, s0
	v_add_nc_u64_e32 v[14:15], s[12:13], v[20:21]
	v_mov_b32_e32 v13, 0
	s_delay_alu instid0(VALU_DEP_2)
	v_cmp_lt_u64_e64 s0, v[14:15], v[4:5]
	s_and_saveexec_b32 s3, s0
	s_cbranch_execz .LBB204_39
; %bb.38:                               ;   in Loop: Header=BB204_33 Depth=1
	v_lshl_add_u64 v[8:9], v[14:15], 3, s[6:7]
	global_load_b64 v[12:13], v[8:9], off
.LBB204_39:                             ;   in Loop: Header=BB204_33 Depth=1
	s_wait_xcnt 0x0
	s_or_b32 exec_lo, exec_lo, s3
	v_add_nc_u64_e32 v[8:9], s[14:15], v[20:21]
	v_dual_mov_b32 v10, 0 :: v_dual_mov_b32 v11, 0
	s_delay_alu instid0(VALU_DEP_2)
	v_cmp_lt_u64_e32 vcc_lo, v[8:9], v[4:5]
	s_and_saveexec_b32 s3, vcc_lo
	s_cbranch_execz .LBB204_41
; %bb.40:                               ;   in Loop: Header=BB204_33 Depth=1
	v_lshl_add_u64 v[10:11], v[8:9], 3, s[6:7]
	global_load_b64 v[10:11], v[10:11], off
.LBB204_41:                             ;   in Loop: Header=BB204_33 Depth=1
	s_wait_xcnt 0x0
	s_or_b32 exec_lo, exec_lo, s3
	s_wait_loadcnt 0x0
	v_max_num_f32_e64 v7, |v22|, |v22|
	v_max_num_f32_e64 v26, |v23|, |v23|
	s_delay_alu instid0(VALU_DEP_1) | instskip(NEXT) | instid1(VALU_DEP_1)
	v_max_num_f32_e32 v7, v7, v26
	v_cvt_f64_f32_e32 v[28:29], v7
	s_delay_alu instid0(VALU_DEP_1) | instskip(NEXT) | instid1(VALU_DEP_1)
	v_frexp_exp_i32_f64_e32 v25, v[28:29]
	v_sub_nc_u32_e32 v27, 0, v25
	v_cmp_eq_f32_e64 s3, 0x7f800000, v7
	s_delay_alu instid0(VALU_DEP_2) | instskip(SKIP_1) | instid1(VALU_DEP_2)
	v_ldexp_f32 v28, |v23|, v27
	v_ldexp_f32 v27, |v22|, v27
	v_mul_f32_e32 v28, v28, v28
	s_delay_alu instid0(VALU_DEP_1) | instskip(NEXT) | instid1(VALU_DEP_1)
	v_fmac_f32_e32 v28, v27, v27
	v_sqrt_f32_e32 v27, v28
	v_nop
	s_delay_alu instid0(TRANS32_DEP_1) | instskip(SKIP_1) | instid1(VALU_DEP_2)
	v_ldexp_f32 v27, v27, v25
	v_add_f32_e32 v25, 1.0, v22
	v_cmp_ngt_f32_e64 s4, 0.5, v27
	s_delay_alu instid0(VALU_DEP_2) | instskip(SKIP_1) | instid1(SALU_CYCLE_1)
	v_max_num_f32_e64 v27, |v25|, v26
	s_or_b32 s3, s3, s4
	s_and_saveexec_b32 s4, s3
	s_delay_alu instid0(SALU_CYCLE_1)
	s_xor_b32 s21, exec_lo, s4
	s_cbranch_execz .LBB204_43
; %bb.42:                               ;   in Loop: Header=BB204_33 Depth=1
	v_cvt_f64_f32_e32 v[28:29], v27
	v_cmp_neq_f32_e64 s3, 0x7f800000, v27
	s_delay_alu instid0(VALU_DEP_2) | instskip(NEXT) | instid1(VALU_DEP_1)
	v_frexp_exp_i32_f64_e32 v7, v[28:29]
	v_sub_nc_u32_e32 v22, 0, v7
	s_delay_alu instid0(VALU_DEP_1) | instskip(NEXT) | instid1(VALU_DEP_1)
	v_ldexp_f32 v28, |v23|, v22
	v_mul_f32_e32 v28, v28, v28
	v_ldexp_f32 v22, |v25|, v22
	s_delay_alu instid0(VALU_DEP_1) | instskip(NEXT) | instid1(VALU_DEP_1)
	v_fmac_f32_e32 v28, v22, v22
	v_sqrt_f32_e32 v22, v28
	v_nop
	s_delay_alu instid0(TRANS32_DEP_1) | instskip(NEXT) | instid1(VALU_DEP_1)
	v_ldexp_f32 v7, v22, v7
	v_cndmask_b32_e64 v7, 0x7f800000, v7, s3
	s_delay_alu instid0(VALU_DEP_1) | instskip(NEXT) | instid1(VALU_DEP_1)
	v_cmp_gt_f32_e64 s3, 0x800000, v7
	v_cndmask_b32_e64 v22, 0, 32, s3
	s_delay_alu instid0(VALU_DEP_1) | instskip(NEXT) | instid1(VALU_DEP_1)
	v_ldexp_f32 v7, v7, v22
	v_log_f32_e32 v7, v7
	v_nop
	s_delay_alu instid0(TRANS32_DEP_1) | instskip(SKIP_1) | instid1(VALU_DEP_2)
	v_mul_f32_e32 v22, 0x3f317217, v7
	v_cmp_gt_f32_e64 s4, 0x7f800000, |v7|
	v_fma_f32 v22, 0x3f317217, v7, -v22
	s_delay_alu instid0(VALU_DEP_1) | instskip(NEXT) | instid1(VALU_DEP_1)
	v_fmac_f32_e32 v22, 0x3377d1cf, v7
	v_fmac_f32_e32 v22, 0x3f317217, v7
	s_delay_alu instid0(VALU_DEP_1) | instskip(SKIP_1) | instid1(VALU_DEP_1)
	v_cndmask_b32_e64 v7, v7, v22, s4
	v_cndmask_b32_e64 v22, 0, 0x41b17218, s3
	v_sub_f32_e32 v22, v7, v22
.LBB204_43:                             ;   in Loop: Header=BB204_33 Depth=1
	s_and_not1_saveexec_b32 s4, s21
	s_cbranch_execz .LBB204_47
; %bb.44:                               ;   in Loop: Header=BB204_33 Depth=1
	s_delay_alu instid0(VALU_DEP_1) | instskip(SKIP_1) | instid1(VALU_DEP_1)
	v_dual_add_f32 v28, 2.0, v22 :: v_dual_mov_b32 v29, v23
	s_mov_b32 s21, exec_lo
	v_pk_mul_f32 v[28:29], v[22:23], v[28:29]
	s_delay_alu instid0(VALU_DEP_1) | instskip(NEXT) | instid1(VALU_DEP_1)
	v_add_f32_e32 v28, v29, v28
	v_cmpx_neq_f32_e32 0, v28
	s_cbranch_execz .LBB204_46
; %bb.45:                               ;   in Loop: Header=BB204_33 Depth=1
	v_add_f32_e32 v7, 1.0, v28
	s_delay_alu instid0(VALU_DEP_1) | instskip(SKIP_1) | instid1(VALU_DEP_1)
	v_cvt_f64_f32_e32 v[30:31], v7
	v_frexp_mant_f32_e32 v29, v7
	v_cmp_gt_f32_e64 s3, 0x3f2aaaab, v29
	s_delay_alu instid0(VALU_DEP_3) | instskip(NEXT) | instid1(VALU_DEP_1)
	v_frexp_exp_i32_f64_e32 v22, v[30:31]
	v_subrev_co_ci_u32_e64 v22, null, 0, v22, s3
	v_cmp_neq_f32_e64 s3, 0x7f800000, v28
	s_delay_alu instid0(VALU_DEP_2) | instskip(NEXT) | instid1(VALU_DEP_1)
	v_dual_add_f32 v29, -1.0, v7 :: v_dual_sub_nc_u32 v30, 0, v22
	v_sub_f32_e32 v31, v29, v7
	s_delay_alu instid0(VALU_DEP_2) | instskip(NEXT) | instid1(VALU_DEP_1)
	v_ldexp_f32 v7, v7, v30
	v_dual_add_f32 v32, 1.0, v7 :: v_dual_sub_f32 v29, v28, v29
	s_delay_alu instid0(VALU_DEP_3) | instskip(NEXT) | instid1(VALU_DEP_1)
	v_add_f32_e32 v31, 1.0, v31
	v_dual_add_f32 v29, v29, v31 :: v_dual_add_f32 v31, -1.0, v32
	s_delay_alu instid0(VALU_DEP_1) | instskip(NEXT) | instid1(VALU_DEP_2)
	v_ldexp_f32 v29, v29, v30
	v_sub_f32_e32 v30, v7, v31
	s_delay_alu instid0(VALU_DEP_1) | instskip(NEXT) | instid1(VALU_DEP_1)
	v_dual_add_f32 v30, v29, v30 :: v_dual_add_f32 v35, -1.0, v7
	v_dual_add_f32 v36, v32, v30 :: v_dual_add_f32 v31, 1.0, v35
	s_delay_alu instid0(VALU_DEP_1) | instskip(NEXT) | instid1(VALU_DEP_1)
	v_dual_sub_f32 v33, v36, v32 :: v_dual_sub_f32 v7, v7, v31
	v_add_f32_e32 v7, v29, v7
	v_rcp_f32_e32 v29, v36
	s_delay_alu instid0(VALU_DEP_1)
	v_add_f32_e32 v31, v35, v7
	s_delay_alu instid0(TRANS32_DEP_1) | instid1(VALU_DEP_1)
	v_mul_f32_e32 v37, v31, v29
	s_delay_alu instid0(VALU_DEP_1) | instskip(SKIP_1) | instid1(VALU_DEP_1)
	v_mul_f32_e32 v32, v36, v37
	v_dual_sub_f32 v38, v30, v33 :: v_dual_sub_f32 v39, v31, v35
	v_dual_fma_f32 v34, v37, v36, -v32 :: v_dual_sub_f32 v7, v7, v39
	s_delay_alu instid0(VALU_DEP_1) | instskip(NEXT) | instid1(VALU_DEP_1)
	v_fmac_f32_e32 v34, v37, v38
	v_add_f32_e32 v30, v32, v34
	s_delay_alu instid0(VALU_DEP_1) | instskip(NEXT) | instid1(VALU_DEP_1)
	v_dual_sub_f32 v33, v31, v30 :: v_dual_mov_b32 v35, v30
	v_pk_add_f32 v[30:31], v[30:31], v[32:33] neg_lo:[0,1] neg_hi:[0,1]
	s_delay_alu instid0(VALU_DEP_1) | instskip(NEXT) | instid1(VALU_DEP_1)
	v_pk_add_f32 v[30:31], v[30:31], v[34:35] neg_lo:[0,1] neg_hi:[0,1]
	v_add_f32_e32 v7, v7, v31
	s_delay_alu instid0(VALU_DEP_1) | instskip(NEXT) | instid1(VALU_DEP_1)
	v_add_f32_e32 v7, v30, v7
	v_add_f32_e32 v31, v33, v7
	s_delay_alu instid0(VALU_DEP_1) | instskip(NEXT) | instid1(VALU_DEP_1)
	v_mul_f32_e32 v39, v29, v31
	v_mul_f32_e32 v34, v36, v39
	s_delay_alu instid0(VALU_DEP_1) | instskip(NEXT) | instid1(VALU_DEP_1)
	v_fma_f32 v32, v39, v36, -v34
	v_dual_fmac_f32 v32, v39, v38 :: v_dual_sub_f32 v36, v33, v31
	s_delay_alu instid0(VALU_DEP_1) | instskip(NEXT) | instid1(VALU_DEP_2)
	v_add_f32_e32 v30, v34, v32
	v_dual_add_f32 v7, v7, v36 :: v_dual_add_f32 v36, v37, v39
	s_delay_alu instid0(VALU_DEP_2) | instskip(NEXT) | instid1(VALU_DEP_1)
	v_dual_sub_f32 v35, v31, v30 :: v_dual_mov_b32 v33, v30
	v_pk_add_f32 v[30:31], v[30:31], v[34:35] neg_lo:[0,1] neg_hi:[0,1]
	s_delay_alu instid0(VALU_DEP_1) | instskip(NEXT) | instid1(VALU_DEP_1)
	v_pk_add_f32 v[30:31], v[30:31], v[32:33] neg_lo:[0,1] neg_hi:[0,1]
	v_add_f32_e32 v7, v7, v31
	s_delay_alu instid0(VALU_DEP_1) | instskip(NEXT) | instid1(VALU_DEP_1)
	v_dual_add_f32 v7, v30, v7 :: v_dual_sub_f32 v30, v36, v37
	v_add_f32_e32 v7, v35, v7
	s_delay_alu instid0(VALU_DEP_1) | instskip(NEXT) | instid1(VALU_DEP_1)
	v_dual_sub_f32 v30, v39, v30 :: v_dual_mul_f32 v7, v29, v7
	v_add_f32_e32 v29, v30, v7
	v_cvt_f32_i32_e32 v30, v22
	s_delay_alu instid0(VALU_DEP_2) | instskip(NEXT) | instid1(VALU_DEP_1)
	v_add_f32_e32 v37, v36, v29
	v_mul_f32_e32 v7, v37, v37
	v_ldexp_f32 v35, v37, 1
	s_delay_alu instid0(VALU_DEP_2) | instskip(NEXT) | instid1(VALU_DEP_1)
	v_dual_fmaak_f32 v32, s5, v7, 0x3ecc95a3 :: v_dual_mul_f32 v31, v37, v7
	v_fmaak_f32 v7, v7, v32, 0x3f2aaada
	s_delay_alu instid0(VALU_DEP_1) | instskip(NEXT) | instid1(VALU_DEP_1)
	v_pk_mul_f32 v[32:33], v[30:31], v[6:7]
	v_fma_f32 v34, 0x3f317218, v30, -v32
	s_delay_alu instid0(VALU_DEP_1) | instskip(NEXT) | instid1(VALU_DEP_1)
	v_fmac_f32_e32 v34, 0xb102e308, v30
	v_pk_add_f32 v[30:31], v[32:33], v[34:35]
	v_dual_sub_f32 v7, v37, v36 :: v_dual_mov_b32 v36, v32
	s_delay_alu instid0(VALU_DEP_2) | instskip(NEXT) | instid1(VALU_DEP_2)
	v_sub_f32_e32 v22, v31, v35
	v_dual_sub_f32 v7, v29, v7 :: v_dual_mov_b32 v35, v30
	s_delay_alu instid0(VALU_DEP_2) | instskip(NEXT) | instid1(VALU_DEP_2)
	v_dual_mov_b32 v44, v31 :: v_dual_sub_f32 v22, v33, v22
	v_ldexp_f32 v7, v7, 1
	v_pk_add_f32 v[32:33], v[30:31], v[32:33] neg_lo:[0,1] neg_hi:[0,1]
	s_delay_alu instid0(VALU_DEP_2) | instskip(NEXT) | instid1(VALU_DEP_1)
	v_add_f32_e32 v37, v7, v22
	v_pk_add_f32 v[38:39], v[30:31], v[36:37]
	s_delay_alu instid0(VALU_DEP_1) | instskip(NEXT) | instid1(VALU_DEP_1)
	v_mov_b32_e32 v33, v39
	v_pk_add_f32 v[40:41], v[34:35], v[32:33]
	v_pk_add_f32 v[32:33], v[34:35], v[32:33] neg_lo:[0,1] neg_hi:[0,1]
	s_delay_alu instid0(VALU_DEP_2) | instskip(NEXT) | instid1(VALU_DEP_1)
	v_dual_mov_b32 v22, v41 :: v_dual_mov_b32 v33, v41
	v_pk_add_f32 v[42:43], v[22:23], v[30:31] neg_lo:[0,1] neg_hi:[0,1]
	v_dual_mov_b32 v40, v39 :: v_dual_mov_b32 v31, v30
	s_delay_alu instid0(VALU_DEP_2) | instskip(SKIP_1) | instid1(VALU_DEP_2)
	v_dual_mov_b32 v30, v37 :: v_dual_mov_b32 v45, v42
	v_mov_b32_e32 v7, v42
	v_pk_add_f32 v[36:37], v[40:41], v[44:45] neg_lo:[0,1] neg_hi:[0,1]
	s_delay_alu instid0(VALU_DEP_2) | instskip(SKIP_1) | instid1(VALU_DEP_3)
	v_pk_add_f32 v[34:35], v[38:39], v[6:7] neg_lo:[0,1] neg_hi:[0,1]
	v_mov_b32_e32 v34, v32
	v_pk_add_f32 v[30:31], v[30:31], v[36:37] neg_lo:[0,1] neg_hi:[0,1]
	s_delay_alu instid0(VALU_DEP_1) | instskip(NEXT) | instid1(VALU_DEP_1)
	v_pk_add_f32 v[34:35], v[34:35], v[30:31]
	v_mov_b32_e32 v36, v35
	s_delay_alu instid0(VALU_DEP_1) | instskip(NEXT) | instid1(VALU_DEP_1)
	v_pk_add_f32 v[36:37], v[34:35], v[36:37]
	v_pk_add_f32 v[38:39], v[22:23], v[36:37]
	s_delay_alu instid0(VALU_DEP_1) | instskip(NEXT) | instid1(VALU_DEP_1)
	v_dual_mov_b32 v31, v36 :: v_dual_mov_b32 v35, v38
	v_pk_add_f32 v[40:41], v[34:35], v[32:33] neg_lo:[0,1] neg_hi:[0,1]
	s_delay_alu instid0(VALU_DEP_1) | instskip(NEXT) | instid1(VALU_DEP_2)
	v_sub_f32_e32 v7, v34, v40
	v_pk_add_f32 v[30:31], v[30:31], v[40:41] neg_lo:[0,1] neg_hi:[0,1]
	s_delay_alu instid0(VALU_DEP_2) | instskip(NEXT) | instid1(VALU_DEP_1)
	v_sub_f32_e32 v7, v32, v7
	v_add_f32_e32 v7, v30, v7
	s_delay_alu instid0(VALU_DEP_1) | instskip(NEXT) | instid1(VALU_DEP_1)
	v_add_f32_e32 v7, v7, v31
	v_add_f32_e32 v7, v38, v7
	s_delay_alu instid0(VALU_DEP_1) | instskip(SKIP_1) | instid1(VALU_DEP_1)
	v_cndmask_b32_e64 v7, 0x7f800000, v7, s3
	v_cmp_ngt_f32_e64 s3, -1.0, v28
	v_cndmask_b32_e64 v7, 0x7fc00000, v7, s3
	v_cmp_neq_f32_e64 s3, -1.0, v28
	s_delay_alu instid0(VALU_DEP_1) | instskip(SKIP_1) | instid1(VALU_DEP_1)
	v_cndmask_b32_e64 v7, 0xff800000, v7, s3
	v_cmp_gt_f32_e64 s3, 0x33800000, |v28|
	v_cndmask_b32_e64 v7, v7, v28, s3
	s_delay_alu instid0(VALU_DEP_1)
	v_mul_f32_e32 v22, 0.5, v7
.LBB204_46:                             ;   in Loop: Header=BB204_33 Depth=1
	s_or_b32 exec_lo, exec_lo, s21
.LBB204_47:                             ;   in Loop: Header=BB204_33 Depth=1
	s_delay_alu instid0(SALU_CYCLE_1) | instskip(SKIP_2) | instid1(VALU_DEP_1)
	s_or_b32 exec_lo, exec_lo, s4
	v_max_num_f32_e64 v7, |v18|, |v18|
	v_max_num_f32_e64 v29, |v19|, |v19|
	v_max_num_f32_e32 v7, v7, v29
	s_delay_alu instid0(VALU_DEP_1) | instskip(NEXT) | instid1(VALU_DEP_1)
	v_cvt_f64_f32_e32 v[30:31], v7
	v_frexp_exp_i32_f64_e32 v28, v[30:31]
	s_delay_alu instid0(VALU_DEP_1) | instskip(SKIP_1) | instid1(VALU_DEP_2)
	v_sub_nc_u32_e32 v30, 0, v28
	v_cmp_eq_f32_e64 s3, 0x7f800000, v7
	v_ldexp_f32 v31, |v19|, v30
	v_ldexp_f32 v30, |v18|, v30
	s_delay_alu instid0(VALU_DEP_2) | instskip(NEXT) | instid1(VALU_DEP_1)
	v_mul_f32_e32 v31, v31, v31
	v_fmac_f32_e32 v31, v30, v30
	s_delay_alu instid0(VALU_DEP_1) | instskip(SKIP_1) | instid1(TRANS32_DEP_1)
	v_sqrt_f32_e32 v30, v31
	v_nop
	v_ldexp_f32 v30, v30, v28
	v_add_f32_e32 v28, 1.0, v18
	s_delay_alu instid0(VALU_DEP_2) | instskip(NEXT) | instid1(VALU_DEP_2)
	v_cmp_ngt_f32_e64 s4, 0.5, v30
	v_max_num_f32_e64 v30, |v28|, v29
	s_or_b32 s3, s3, s4
	s_delay_alu instid0(SALU_CYCLE_1) | instskip(NEXT) | instid1(SALU_CYCLE_1)
	s_and_saveexec_b32 s4, s3
	s_xor_b32 s21, exec_lo, s4
	s_cbranch_execz .LBB204_49
; %bb.48:                               ;   in Loop: Header=BB204_33 Depth=1
	v_cvt_f64_f32_e32 v[32:33], v30
	v_cmp_neq_f32_e64 s3, 0x7f800000, v30
	s_delay_alu instid0(VALU_DEP_2) | instskip(NEXT) | instid1(VALU_DEP_1)
	v_frexp_exp_i32_f64_e32 v7, v[32:33]
	v_sub_nc_u32_e32 v18, 0, v7
	s_delay_alu instid0(VALU_DEP_1) | instskip(SKIP_1) | instid1(VALU_DEP_2)
	v_ldexp_f32 v31, |v19|, v18
	v_ldexp_f32 v18, |v28|, v18
	v_mul_f32_e32 v31, v31, v31
	s_delay_alu instid0(VALU_DEP_1) | instskip(NEXT) | instid1(VALU_DEP_1)
	v_fmac_f32_e32 v31, v18, v18
	v_sqrt_f32_e32 v18, v31
	v_nop
	s_delay_alu instid0(TRANS32_DEP_1) | instskip(NEXT) | instid1(VALU_DEP_1)
	v_ldexp_f32 v7, v18, v7
	v_cndmask_b32_e64 v7, 0x7f800000, v7, s3
	s_delay_alu instid0(VALU_DEP_1) | instskip(NEXT) | instid1(VALU_DEP_1)
	v_cmp_gt_f32_e64 s3, 0x800000, v7
	v_cndmask_b32_e64 v18, 0, 32, s3
	s_delay_alu instid0(VALU_DEP_1) | instskip(NEXT) | instid1(VALU_DEP_1)
	v_ldexp_f32 v7, v7, v18
	v_log_f32_e32 v7, v7
	v_nop
	s_delay_alu instid0(TRANS32_DEP_1) | instskip(SKIP_1) | instid1(VALU_DEP_2)
	v_mul_f32_e32 v18, 0x3f317217, v7
	v_cmp_gt_f32_e64 s4, 0x7f800000, |v7|
	v_fma_f32 v18, 0x3f317217, v7, -v18
	s_delay_alu instid0(VALU_DEP_1) | instskip(NEXT) | instid1(VALU_DEP_1)
	v_fmac_f32_e32 v18, 0x3377d1cf, v7
	v_fmac_f32_e32 v18, 0x3f317217, v7
	s_delay_alu instid0(VALU_DEP_1) | instskip(SKIP_1) | instid1(VALU_DEP_1)
	v_cndmask_b32_e64 v7, v7, v18, s4
	v_cndmask_b32_e64 v18, 0, 0x41b17218, s3
	v_sub_f32_e32 v18, v7, v18
.LBB204_49:                             ;   in Loop: Header=BB204_33 Depth=1
	s_and_not1_saveexec_b32 s4, s21
	s_cbranch_execz .LBB204_53
; %bb.50:                               ;   in Loop: Header=BB204_33 Depth=1
	s_delay_alu instid0(VALU_DEP_1) | instskip(SKIP_1) | instid1(VALU_DEP_1)
	v_dual_add_f32 v32, 2.0, v18 :: v_dual_mov_b32 v33, v19
	s_mov_b32 s21, exec_lo
	v_pk_mul_f32 v[32:33], v[18:19], v[32:33]
	s_delay_alu instid0(VALU_DEP_1) | instskip(NEXT) | instid1(VALU_DEP_1)
	v_add_f32_e32 v31, v33, v32
	v_cmpx_neq_f32_e32 0, v31
	s_cbranch_execz .LBB204_52
; %bb.51:                               ;   in Loop: Header=BB204_33 Depth=1
	v_add_f32_e32 v7, 1.0, v31
	s_delay_alu instid0(VALU_DEP_1) | instskip(NEXT) | instid1(VALU_DEP_1)
	v_cvt_f64_f32_e32 v[32:33], v7
	v_frexp_exp_i32_f64_e32 v18, v[32:33]
	v_frexp_mant_f32_e32 v32, v7
	s_delay_alu instid0(VALU_DEP_1) | instskip(NEXT) | instid1(VALU_DEP_1)
	v_cmp_gt_f32_e64 s3, 0x3f2aaaab, v32
	v_subrev_co_ci_u32_e64 v18, null, 0, v18, s3
	v_cmp_neq_f32_e64 s3, 0x7f800000, v31
	s_delay_alu instid0(VALU_DEP_2) | instskip(NEXT) | instid1(VALU_DEP_1)
	v_dual_add_f32 v32, -1.0, v7 :: v_dual_sub_nc_u32 v33, 0, v18
	v_sub_f32_e32 v34, v32, v7
	s_delay_alu instid0(VALU_DEP_2) | instskip(NEXT) | instid1(VALU_DEP_2)
	v_ldexp_f32 v7, v7, v33
	v_dual_add_f32 v34, 1.0, v34 :: v_dual_sub_f32 v32, v31, v32
	s_delay_alu instid0(VALU_DEP_1) | instskip(NEXT) | instid1(VALU_DEP_1)
	v_dual_add_f32 v35, 1.0, v7 :: v_dual_add_f32 v32, v32, v34
	v_ldexp_f32 v32, v32, v33
	s_delay_alu instid0(VALU_DEP_2) | instskip(NEXT) | instid1(VALU_DEP_1)
	v_add_f32_e32 v34, -1.0, v35
	v_dual_add_f32 v37, -1.0, v7 :: v_dual_sub_f32 v33, v7, v34
	s_delay_alu instid0(VALU_DEP_1) | instskip(NEXT) | instid1(VALU_DEP_1)
	v_add_f32_e32 v36, v32, v33
	v_dual_add_f32 v34, 1.0, v37 :: v_dual_add_f32 v38, v35, v36
	s_delay_alu instid0(VALU_DEP_1) | instskip(NEXT) | instid1(VALU_DEP_1)
	v_rcp_f32_e32 v39, v38
	v_sub_f32_e32 v7, v7, v34
	s_delay_alu instid0(VALU_DEP_1) | instskip(SKIP_1) | instid1(VALU_DEP_1)
	v_add_f32_e32 v7, v32, v7
	v_sub_f32_e32 v32, v38, v35
	v_dual_add_f32 v33, v37, v7 :: v_dual_sub_f32 v41, v36, v32
	s_delay_alu instid0(TRANS32_DEP_1) | instid1(VALU_DEP_1)
	v_dual_mul_f32 v40, v33, v39 :: v_dual_sub_f32 v42, v33, v37
	s_delay_alu instid0(VALU_DEP_1) | instskip(NEXT) | instid1(VALU_DEP_1)
	v_dual_mul_f32 v34, v38, v40 :: v_dual_sub_f32 v7, v7, v42
	v_fma_f32 v36, v40, v38, -v34
	s_delay_alu instid0(VALU_DEP_1) | instskip(NEXT) | instid1(VALU_DEP_1)
	v_fmac_f32_e32 v36, v40, v41
	v_add_f32_e32 v32, v34, v36
	s_delay_alu instid0(VALU_DEP_1) | instskip(NEXT) | instid1(VALU_DEP_1)
	v_dual_sub_f32 v35, v33, v32 :: v_dual_mov_b32 v37, v32
	v_pk_add_f32 v[32:33], v[32:33], v[34:35] neg_lo:[0,1] neg_hi:[0,1]
	s_delay_alu instid0(VALU_DEP_1) | instskip(NEXT) | instid1(VALU_DEP_1)
	v_pk_add_f32 v[32:33], v[32:33], v[36:37] neg_lo:[0,1] neg_hi:[0,1]
	v_add_f32_e32 v7, v7, v33
	s_delay_alu instid0(VALU_DEP_1) | instskip(NEXT) | instid1(VALU_DEP_1)
	v_add_f32_e32 v7, v32, v7
	v_add_f32_e32 v33, v35, v7
	s_delay_alu instid0(VALU_DEP_1) | instskip(NEXT) | instid1(VALU_DEP_1)
	v_mul_f32_e32 v42, v39, v33
	v_mul_f32_e32 v36, v38, v42
	s_delay_alu instid0(VALU_DEP_1) | instskip(NEXT) | instid1(VALU_DEP_1)
	v_dual_fma_f32 v34, v42, v38, -v36 :: v_dual_sub_f32 v38, v35, v33
	v_dual_fmac_f32 v34, v42, v41 :: v_dual_add_f32 v7, v7, v38
	v_add_f32_e32 v38, v40, v42
	s_delay_alu instid0(VALU_DEP_2) | instskip(NEXT) | instid1(VALU_DEP_1)
	v_add_f32_e32 v32, v36, v34
	v_dual_sub_f32 v37, v33, v32 :: v_dual_mov_b32 v35, v32
	s_delay_alu instid0(VALU_DEP_1) | instskip(NEXT) | instid1(VALU_DEP_1)
	v_pk_add_f32 v[32:33], v[32:33], v[36:37] neg_lo:[0,1] neg_hi:[0,1]
	v_pk_add_f32 v[32:33], v[32:33], v[34:35] neg_lo:[0,1] neg_hi:[0,1]
	s_delay_alu instid0(VALU_DEP_1) | instskip(NEXT) | instid1(VALU_DEP_1)
	v_add_f32_e32 v7, v7, v33
	v_dual_add_f32 v7, v32, v7 :: v_dual_sub_f32 v32, v38, v40
	s_delay_alu instid0(VALU_DEP_1) | instskip(NEXT) | instid1(VALU_DEP_1)
	v_dual_add_f32 v7, v37, v7 :: v_dual_sub_f32 v32, v42, v32
	v_mul_f32_e32 v7, v39, v7
	s_delay_alu instid0(VALU_DEP_1) | instskip(SKIP_1) | instid1(VALU_DEP_2)
	v_add_f32_e32 v39, v32, v7
	v_cvt_f32_i32_e32 v32, v18
	v_add_f32_e32 v40, v38, v39
	s_delay_alu instid0(VALU_DEP_1) | instskip(NEXT) | instid1(VALU_DEP_1)
	v_mul_f32_e32 v7, v40, v40
	v_dual_fmaak_f32 v34, s5, v7, 0x3ecc95a3 :: v_dual_mul_f32 v33, v40, v7
	s_delay_alu instid0(VALU_DEP_1) | instskip(SKIP_1) | instid1(VALU_DEP_2)
	v_fmaak_f32 v7, v7, v34, 0x3f2aaada
	v_ldexp_f32 v37, v40, 1
	v_pk_mul_f32 v[34:35], v[32:33], v[6:7]
	v_sub_f32_e32 v7, v40, v38
	s_delay_alu instid0(VALU_DEP_2) | instskip(NEXT) | instid1(VALU_DEP_2)
	v_fma_f32 v36, 0x3f317218, v32, -v34
	v_dual_sub_f32 v7, v39, v7 :: v_dual_mov_b32 v38, v34
	s_delay_alu instid0(VALU_DEP_2) | instskip(NEXT) | instid1(VALU_DEP_2)
	v_fmac_f32_e32 v36, 0xb102e308, v32
	v_ldexp_f32 v7, v7, 1
	s_delay_alu instid0(VALU_DEP_2) | instskip(NEXT) | instid1(VALU_DEP_1)
	v_pk_add_f32 v[32:33], v[34:35], v[36:37]
	v_dual_sub_f32 v18, v33, v37 :: v_dual_mov_b32 v37, v32
	s_delay_alu instid0(VALU_DEP_1) | instskip(SKIP_1) | instid1(VALU_DEP_2)
	v_dual_mov_b32 v46, v33 :: v_dual_sub_f32 v18, v35, v18
	v_pk_add_f32 v[34:35], v[32:33], v[34:35] neg_lo:[0,1] neg_hi:[0,1]
	v_add_f32_e32 v39, v7, v18
	s_delay_alu instid0(VALU_DEP_1) | instskip(NEXT) | instid1(VALU_DEP_1)
	v_pk_add_f32 v[40:41], v[32:33], v[38:39]
	v_mov_b32_e32 v35, v41
	s_delay_alu instid0(VALU_DEP_1) | instskip(SKIP_1) | instid1(VALU_DEP_2)
	v_pk_add_f32 v[42:43], v[36:37], v[34:35]
	v_pk_add_f32 v[34:35], v[36:37], v[34:35] neg_lo:[0,1] neg_hi:[0,1]
	v_dual_mov_b32 v18, v43 :: v_dual_mov_b32 v35, v43
	s_delay_alu instid0(VALU_DEP_1) | instskip(SKIP_1) | instid1(VALU_DEP_2)
	v_pk_add_f32 v[44:45], v[18:19], v[32:33] neg_lo:[0,1] neg_hi:[0,1]
	v_dual_mov_b32 v42, v41 :: v_dual_mov_b32 v33, v32
	v_dual_mov_b32 v32, v39 :: v_dual_mov_b32 v47, v44
	v_mov_b32_e32 v7, v44
	s_delay_alu instid0(VALU_DEP_2) | instskip(NEXT) | instid1(VALU_DEP_2)
	v_pk_add_f32 v[38:39], v[42:43], v[46:47] neg_lo:[0,1] neg_hi:[0,1]
	v_pk_add_f32 v[36:37], v[40:41], v[6:7] neg_lo:[0,1] neg_hi:[0,1]
	v_mov_b32_e32 v36, v34
	s_delay_alu instid0(VALU_DEP_3) | instskip(NEXT) | instid1(VALU_DEP_1)
	v_pk_add_f32 v[32:33], v[32:33], v[38:39] neg_lo:[0,1] neg_hi:[0,1]
	v_pk_add_f32 v[36:37], v[36:37], v[32:33]
	s_delay_alu instid0(VALU_DEP_1) | instskip(NEXT) | instid1(VALU_DEP_1)
	v_mov_b32_e32 v38, v37
	v_pk_add_f32 v[38:39], v[36:37], v[38:39]
	s_delay_alu instid0(VALU_DEP_1) | instskip(NEXT) | instid1(VALU_DEP_1)
	v_pk_add_f32 v[40:41], v[18:19], v[38:39]
	v_dual_mov_b32 v33, v38 :: v_dual_mov_b32 v37, v40
	s_delay_alu instid0(VALU_DEP_1) | instskip(NEXT) | instid1(VALU_DEP_1)
	v_pk_add_f32 v[42:43], v[36:37], v[34:35] neg_lo:[0,1] neg_hi:[0,1]
	v_sub_f32_e32 v7, v36, v42
	s_delay_alu instid0(VALU_DEP_2) | instskip(NEXT) | instid1(VALU_DEP_2)
	v_pk_add_f32 v[32:33], v[32:33], v[42:43] neg_lo:[0,1] neg_hi:[0,1]
	v_sub_f32_e32 v7, v34, v7
	s_delay_alu instid0(VALU_DEP_1) | instskip(NEXT) | instid1(VALU_DEP_1)
	v_add_f32_e32 v7, v32, v7
	v_add_f32_e32 v7, v7, v33
	s_delay_alu instid0(VALU_DEP_1) | instskip(NEXT) | instid1(VALU_DEP_1)
	v_add_f32_e32 v7, v40, v7
	v_cndmask_b32_e64 v7, 0x7f800000, v7, s3
	v_cmp_ngt_f32_e64 s3, -1.0, v31
	s_delay_alu instid0(VALU_DEP_1) | instskip(SKIP_1) | instid1(VALU_DEP_1)
	v_cndmask_b32_e64 v7, 0x7fc00000, v7, s3
	v_cmp_neq_f32_e64 s3, -1.0, v31
	v_cndmask_b32_e64 v7, 0xff800000, v7, s3
	v_cmp_gt_f32_e64 s3, 0x33800000, |v31|
	s_delay_alu instid0(VALU_DEP_1) | instskip(NEXT) | instid1(VALU_DEP_1)
	v_cndmask_b32_e64 v7, v7, v31, s3
	v_mul_f32_e32 v18, 0.5, v7
.LBB204_52:                             ;   in Loop: Header=BB204_33 Depth=1
	s_or_b32 exec_lo, exec_lo, s21
.LBB204_53:                             ;   in Loop: Header=BB204_33 Depth=1
	s_delay_alu instid0(SALU_CYCLE_1) | instskip(SKIP_2) | instid1(VALU_DEP_1)
	s_or_b32 exec_lo, exec_lo, s4
	v_max_num_f32_e64 v7, |v12|, |v12|
	v_max_num_f32_e64 v32, |v13|, |v13|
	v_max_num_f32_e32 v7, v7, v32
	s_delay_alu instid0(VALU_DEP_1) | instskip(NEXT) | instid1(VALU_DEP_1)
	v_cvt_f64_f32_e32 v[34:35], v7
	v_frexp_exp_i32_f64_e32 v31, v[34:35]
	s_delay_alu instid0(VALU_DEP_1) | instskip(SKIP_1) | instid1(VALU_DEP_2)
	v_sub_nc_u32_e32 v33, 0, v31
	v_cmp_eq_f32_e64 s3, 0x7f800000, v7
	v_ldexp_f32 v34, |v13|, v33
	v_ldexp_f32 v33, |v12|, v33
	s_delay_alu instid0(VALU_DEP_2) | instskip(NEXT) | instid1(VALU_DEP_1)
	v_mul_f32_e32 v34, v34, v34
	v_fmac_f32_e32 v34, v33, v33
	s_delay_alu instid0(VALU_DEP_1) | instskip(SKIP_1) | instid1(TRANS32_DEP_1)
	v_sqrt_f32_e32 v33, v34
	v_nop
	v_ldexp_f32 v33, v33, v31
	v_add_f32_e32 v31, 1.0, v12
	s_delay_alu instid0(VALU_DEP_2) | instskip(NEXT) | instid1(VALU_DEP_2)
	v_cmp_ngt_f32_e64 s4, 0.5, v33
	v_max_num_f32_e64 v33, |v31|, v32
	s_or_b32 s3, s3, s4
	s_delay_alu instid0(SALU_CYCLE_1) | instskip(NEXT) | instid1(SALU_CYCLE_1)
	s_and_saveexec_b32 s4, s3
	s_xor_b32 s21, exec_lo, s4
	s_cbranch_execz .LBB204_55
; %bb.54:                               ;   in Loop: Header=BB204_33 Depth=1
	v_cvt_f64_f32_e32 v[34:35], v33
	v_cmp_neq_f32_e64 s3, 0x7f800000, v33
	s_delay_alu instid0(VALU_DEP_2) | instskip(NEXT) | instid1(VALU_DEP_1)
	v_frexp_exp_i32_f64_e32 v7, v[34:35]
	v_sub_nc_u32_e32 v12, 0, v7
	s_delay_alu instid0(VALU_DEP_1) | instskip(NEXT) | instid1(VALU_DEP_1)
	v_ldexp_f32 v34, |v13|, v12
	v_mul_f32_e32 v34, v34, v34
	v_ldexp_f32 v12, |v31|, v12
	s_delay_alu instid0(VALU_DEP_1) | instskip(NEXT) | instid1(VALU_DEP_1)
	v_fmac_f32_e32 v34, v12, v12
	v_sqrt_f32_e32 v12, v34
	v_nop
	s_delay_alu instid0(TRANS32_DEP_1) | instskip(NEXT) | instid1(VALU_DEP_1)
	v_ldexp_f32 v7, v12, v7
	v_cndmask_b32_e64 v7, 0x7f800000, v7, s3
	s_delay_alu instid0(VALU_DEP_1) | instskip(NEXT) | instid1(VALU_DEP_1)
	v_cmp_gt_f32_e64 s3, 0x800000, v7
	v_cndmask_b32_e64 v12, 0, 32, s3
	s_delay_alu instid0(VALU_DEP_1) | instskip(NEXT) | instid1(VALU_DEP_1)
	v_ldexp_f32 v7, v7, v12
	v_log_f32_e32 v7, v7
	v_nop
	s_delay_alu instid0(TRANS32_DEP_1) | instskip(SKIP_1) | instid1(VALU_DEP_2)
	v_mul_f32_e32 v12, 0x3f317217, v7
	v_cmp_gt_f32_e64 s4, 0x7f800000, |v7|
	v_fma_f32 v12, 0x3f317217, v7, -v12
	s_delay_alu instid0(VALU_DEP_1) | instskip(NEXT) | instid1(VALU_DEP_1)
	v_fmac_f32_e32 v12, 0x3377d1cf, v7
	v_fmac_f32_e32 v12, 0x3f317217, v7
	s_delay_alu instid0(VALU_DEP_1) | instskip(SKIP_1) | instid1(VALU_DEP_1)
	v_cndmask_b32_e64 v7, v7, v12, s4
	v_cndmask_b32_e64 v12, 0, 0x41b17218, s3
	v_sub_f32_e32 v12, v7, v12
.LBB204_55:                             ;   in Loop: Header=BB204_33 Depth=1
	s_and_not1_saveexec_b32 s4, s21
	s_cbranch_execz .LBB204_59
; %bb.56:                               ;   in Loop: Header=BB204_33 Depth=1
	s_delay_alu instid0(VALU_DEP_1) | instskip(SKIP_1) | instid1(VALU_DEP_1)
	v_dual_add_f32 v34, 2.0, v12 :: v_dual_mov_b32 v35, v13
	s_mov_b32 s21, exec_lo
	v_pk_mul_f32 v[34:35], v[12:13], v[34:35]
	s_delay_alu instid0(VALU_DEP_1) | instskip(NEXT) | instid1(VALU_DEP_1)
	v_add_f32_e32 v34, v35, v34
	v_cmpx_neq_f32_e32 0, v34
	s_cbranch_execz .LBB204_58
; %bb.57:                               ;   in Loop: Header=BB204_33 Depth=1
	v_add_f32_e32 v7, 1.0, v34
	s_delay_alu instid0(VALU_DEP_1) | instskip(SKIP_1) | instid1(VALU_DEP_1)
	v_cvt_f64_f32_e32 v[36:37], v7
	v_frexp_mant_f32_e32 v35, v7
	v_cmp_gt_f32_e64 s3, 0x3f2aaaab, v35
	s_delay_alu instid0(VALU_DEP_3) | instskip(NEXT) | instid1(VALU_DEP_1)
	v_frexp_exp_i32_f64_e32 v12, v[36:37]
	v_subrev_co_ci_u32_e64 v12, null, 0, v12, s3
	v_cmp_neq_f32_e64 s3, 0x7f800000, v34
	s_delay_alu instid0(VALU_DEP_2) | instskip(NEXT) | instid1(VALU_DEP_1)
	v_dual_add_f32 v35, -1.0, v7 :: v_dual_sub_nc_u32 v36, 0, v12
	v_sub_f32_e32 v37, v35, v7
	s_delay_alu instid0(VALU_DEP_2) | instskip(NEXT) | instid1(VALU_DEP_1)
	v_ldexp_f32 v7, v7, v36
	v_dual_add_f32 v38, 1.0, v7 :: v_dual_add_f32 v37, 1.0, v37
	v_sub_f32_e32 v35, v34, v35
	s_delay_alu instid0(VALU_DEP_1) | instskip(NEXT) | instid1(VALU_DEP_3)
	v_dual_add_f32 v41, -1.0, v7 :: v_dual_add_f32 v35, v35, v37
	v_add_f32_e32 v37, -1.0, v38
	s_delay_alu instid0(VALU_DEP_2) | instskip(NEXT) | instid1(VALU_DEP_2)
	v_ldexp_f32 v35, v35, v36
	v_sub_f32_e32 v36, v7, v37
	s_delay_alu instid0(VALU_DEP_4) | instskip(NEXT) | instid1(VALU_DEP_1)
	v_add_f32_e32 v37, 1.0, v41
	v_sub_f32_e32 v7, v7, v37
	s_delay_alu instid0(VALU_DEP_1) | instskip(NEXT) | instid1(VALU_DEP_1)
	v_dual_add_f32 v36, v35, v36 :: v_dual_add_f32 v7, v35, v7
	v_dual_add_f32 v42, v38, v36 :: v_dual_add_f32 v37, v41, v7
	s_delay_alu instid0(VALU_DEP_1) | instskip(SKIP_2) | instid1(TRANS32_DEP_1)
	v_sub_f32_e32 v39, v42, v38
	v_rcp_f32_e32 v35, v42
	v_nop
	v_dual_sub_f32 v45, v37, v41 :: v_dual_mul_f32 v43, v37, v35
	s_delay_alu instid0(VALU_DEP_1) | instskip(NEXT) | instid1(VALU_DEP_2)
	v_dual_sub_f32 v44, v36, v39 :: v_dual_sub_f32 v7, v7, v45
	v_mul_f32_e32 v38, v42, v43
	s_delay_alu instid0(VALU_DEP_1) | instskip(NEXT) | instid1(VALU_DEP_1)
	v_fma_f32 v40, v43, v42, -v38
	v_fmac_f32_e32 v40, v43, v44
	s_delay_alu instid0(VALU_DEP_1) | instskip(NEXT) | instid1(VALU_DEP_1)
	v_add_f32_e32 v36, v38, v40
	v_dual_sub_f32 v39, v37, v36 :: v_dual_mov_b32 v41, v36
	s_delay_alu instid0(VALU_DEP_1) | instskip(NEXT) | instid1(VALU_DEP_1)
	v_pk_add_f32 v[36:37], v[36:37], v[38:39] neg_lo:[0,1] neg_hi:[0,1]
	v_pk_add_f32 v[36:37], v[36:37], v[40:41] neg_lo:[0,1] neg_hi:[0,1]
	s_delay_alu instid0(VALU_DEP_1) | instskip(NEXT) | instid1(VALU_DEP_1)
	v_add_f32_e32 v7, v7, v37
	v_add_f32_e32 v7, v36, v7
	s_delay_alu instid0(VALU_DEP_1) | instskip(NEXT) | instid1(VALU_DEP_1)
	v_add_f32_e32 v37, v39, v7
	v_mul_f32_e32 v45, v35, v37
	s_delay_alu instid0(VALU_DEP_1) | instskip(NEXT) | instid1(VALU_DEP_1)
	v_mul_f32_e32 v40, v42, v45
	v_dual_fma_f32 v38, v45, v42, -v40 :: v_dual_sub_f32 v42, v39, v37
	s_delay_alu instid0(VALU_DEP_1) | instskip(NEXT) | instid1(VALU_DEP_1)
	v_dual_fmac_f32 v38, v45, v44 :: v_dual_add_f32 v7, v7, v42
	v_add_f32_e32 v36, v40, v38
	s_delay_alu instid0(VALU_DEP_1) | instskip(NEXT) | instid1(VALU_DEP_1)
	v_dual_sub_f32 v41, v37, v36 :: v_dual_mov_b32 v39, v36
	v_pk_add_f32 v[36:37], v[36:37], v[40:41] neg_lo:[0,1] neg_hi:[0,1]
	s_delay_alu instid0(VALU_DEP_1) | instskip(NEXT) | instid1(VALU_DEP_1)
	v_pk_add_f32 v[36:37], v[36:37], v[38:39] neg_lo:[0,1] neg_hi:[0,1]
	v_add_f32_e32 v7, v7, v37
	s_delay_alu instid0(VALU_DEP_1) | instskip(NEXT) | instid1(VALU_DEP_1)
	v_dual_add_f32 v42, v43, v45 :: v_dual_add_f32 v7, v36, v7
	v_sub_f32_e32 v36, v42, v43
	s_delay_alu instid0(VALU_DEP_2) | instskip(NEXT) | instid1(VALU_DEP_1)
	v_add_f32_e32 v7, v41, v7
	v_dual_sub_f32 v36, v45, v36 :: v_dual_mul_f32 v7, v35, v7
	s_delay_alu instid0(VALU_DEP_1) | instskip(SKIP_1) | instid1(VALU_DEP_2)
	v_add_f32_e32 v35, v36, v7
	v_cvt_f32_i32_e32 v36, v12
	v_add_f32_e32 v43, v42, v35
	s_delay_alu instid0(VALU_DEP_1) | instskip(SKIP_1) | instid1(VALU_DEP_2)
	v_mul_f32_e32 v7, v43, v43
	v_ldexp_f32 v41, v43, 1
	v_dual_fmaak_f32 v38, s5, v7, 0x3ecc95a3 :: v_dual_mul_f32 v37, v43, v7
	s_delay_alu instid0(VALU_DEP_1) | instskip(NEXT) | instid1(VALU_DEP_1)
	v_fmaak_f32 v7, v7, v38, 0x3f2aaada
	v_pk_mul_f32 v[38:39], v[36:37], v[6:7]
	s_delay_alu instid0(VALU_DEP_1) | instskip(NEXT) | instid1(VALU_DEP_1)
	v_fma_f32 v40, 0x3f317218, v36, -v38
	v_fmac_f32_e32 v40, 0xb102e308, v36
	s_delay_alu instid0(VALU_DEP_1) | instskip(NEXT) | instid1(VALU_DEP_1)
	v_pk_add_f32 v[36:37], v[38:39], v[40:41]
	v_dual_sub_f32 v12, v37, v41 :: v_dual_sub_f32 v7, v43, v42
	s_delay_alu instid0(VALU_DEP_2) | instskip(NEXT) | instid1(VALU_DEP_2)
	v_dual_mov_b32 v41, v36 :: v_dual_mov_b32 v42, v38
	v_dual_mov_b32 v50, v37 :: v_dual_sub_f32 v12, v39, v12
	s_delay_alu instid0(VALU_DEP_3) | instskip(SKIP_1) | instid1(VALU_DEP_2)
	v_sub_f32_e32 v7, v35, v7
	v_pk_add_f32 v[38:39], v[36:37], v[38:39] neg_lo:[0,1] neg_hi:[0,1]
	v_ldexp_f32 v7, v7, 1
	s_delay_alu instid0(VALU_DEP_1) | instskip(NEXT) | instid1(VALU_DEP_1)
	v_add_f32_e32 v43, v7, v12
	v_pk_add_f32 v[44:45], v[36:37], v[42:43]
	s_delay_alu instid0(VALU_DEP_1) | instskip(NEXT) | instid1(VALU_DEP_1)
	v_mov_b32_e32 v39, v45
	v_pk_add_f32 v[46:47], v[40:41], v[38:39]
	v_mov_b32_e32 v46, v45
	v_pk_add_f32 v[38:39], v[40:41], v[38:39] neg_lo:[0,1] neg_hi:[0,1]
	s_delay_alu instid0(VALU_DEP_3) | instskip(NEXT) | instid1(VALU_DEP_1)
	v_dual_mov_b32 v12, v47 :: v_dual_mov_b32 v39, v47
	v_pk_add_f32 v[48:49], v[12:13], v[36:37] neg_lo:[0,1] neg_hi:[0,1]
	v_dual_mov_b32 v37, v36 :: v_dual_mov_b32 v36, v43
	s_delay_alu instid0(VALU_DEP_2) | instskip(NEXT) | instid1(VALU_DEP_1)
	v_dual_mov_b32 v51, v48 :: v_dual_mov_b32 v7, v48
	v_pk_add_f32 v[42:43], v[46:47], v[50:51] neg_lo:[0,1] neg_hi:[0,1]
	s_delay_alu instid0(VALU_DEP_2) | instskip(SKIP_1) | instid1(VALU_DEP_3)
	v_pk_add_f32 v[40:41], v[44:45], v[6:7] neg_lo:[0,1] neg_hi:[0,1]
	v_mov_b32_e32 v40, v38
	v_pk_add_f32 v[36:37], v[36:37], v[42:43] neg_lo:[0,1] neg_hi:[0,1]
	s_delay_alu instid0(VALU_DEP_1) | instskip(NEXT) | instid1(VALU_DEP_1)
	v_pk_add_f32 v[40:41], v[40:41], v[36:37]
	v_mov_b32_e32 v42, v41
	s_delay_alu instid0(VALU_DEP_1) | instskip(NEXT) | instid1(VALU_DEP_1)
	v_pk_add_f32 v[42:43], v[40:41], v[42:43]
	v_pk_add_f32 v[44:45], v[12:13], v[42:43]
	s_delay_alu instid0(VALU_DEP_1) | instskip(NEXT) | instid1(VALU_DEP_1)
	v_dual_mov_b32 v37, v42 :: v_dual_mov_b32 v41, v44
	v_pk_add_f32 v[46:47], v[40:41], v[38:39] neg_lo:[0,1] neg_hi:[0,1]
	s_delay_alu instid0(VALU_DEP_1) | instskip(NEXT) | instid1(VALU_DEP_2)
	v_sub_f32_e32 v7, v40, v46
	v_pk_add_f32 v[36:37], v[36:37], v[46:47] neg_lo:[0,1] neg_hi:[0,1]
	s_delay_alu instid0(VALU_DEP_2) | instskip(NEXT) | instid1(VALU_DEP_1)
	v_sub_f32_e32 v7, v38, v7
	v_add_f32_e32 v7, v36, v7
	s_delay_alu instid0(VALU_DEP_1) | instskip(NEXT) | instid1(VALU_DEP_1)
	v_add_f32_e32 v7, v7, v37
	v_add_f32_e32 v7, v44, v7
	s_delay_alu instid0(VALU_DEP_1) | instskip(SKIP_1) | instid1(VALU_DEP_1)
	v_cndmask_b32_e64 v7, 0x7f800000, v7, s3
	v_cmp_ngt_f32_e64 s3, -1.0, v34
	v_cndmask_b32_e64 v7, 0x7fc00000, v7, s3
	v_cmp_neq_f32_e64 s3, -1.0, v34
	s_delay_alu instid0(VALU_DEP_1) | instskip(SKIP_1) | instid1(VALU_DEP_1)
	v_cndmask_b32_e64 v7, 0xff800000, v7, s3
	v_cmp_gt_f32_e64 s3, 0x33800000, |v34|
	v_cndmask_b32_e64 v7, v7, v34, s3
	s_delay_alu instid0(VALU_DEP_1)
	v_mul_f32_e32 v12, 0.5, v7
.LBB204_58:                             ;   in Loop: Header=BB204_33 Depth=1
	s_or_b32 exec_lo, exec_lo, s21
.LBB204_59:                             ;   in Loop: Header=BB204_33 Depth=1
	s_delay_alu instid0(SALU_CYCLE_1) | instskip(SKIP_2) | instid1(VALU_DEP_1)
	s_or_b32 exec_lo, exec_lo, s4
	v_max_num_f32_e64 v7, |v10|, |v10|
	v_max_num_f32_e64 v35, |v11|, |v11|
	v_max_num_f32_e32 v7, v7, v35
	s_delay_alu instid0(VALU_DEP_1) | instskip(NEXT) | instid1(VALU_DEP_1)
	v_cvt_f64_f32_e32 v[36:37], v7
	v_frexp_exp_i32_f64_e32 v34, v[36:37]
	s_delay_alu instid0(VALU_DEP_1) | instskip(SKIP_1) | instid1(VALU_DEP_2)
	v_sub_nc_u32_e32 v36, 0, v34
	v_cmp_eq_f32_e64 s3, 0x7f800000, v7
	v_ldexp_f32 v37, |v11|, v36
	v_ldexp_f32 v36, |v10|, v36
	s_delay_alu instid0(VALU_DEP_2) | instskip(NEXT) | instid1(VALU_DEP_1)
	v_mul_f32_e32 v37, v37, v37
	v_fmac_f32_e32 v37, v36, v36
	s_delay_alu instid0(VALU_DEP_1) | instskip(SKIP_1) | instid1(TRANS32_DEP_1)
	v_sqrt_f32_e32 v36, v37
	v_nop
	v_ldexp_f32 v36, v36, v34
	v_add_f32_e32 v34, 1.0, v10
	s_delay_alu instid0(VALU_DEP_2) | instskip(NEXT) | instid1(VALU_DEP_2)
	v_cmp_ngt_f32_e64 s4, 0.5, v36
	v_max_num_f32_e64 v36, |v34|, v35
	s_or_b32 s3, s3, s4
	s_delay_alu instid0(SALU_CYCLE_1) | instskip(NEXT) | instid1(SALU_CYCLE_1)
	s_and_saveexec_b32 s4, s3
	s_xor_b32 s21, exec_lo, s4
	s_cbranch_execnz .LBB204_65
; %bb.60:                               ;   in Loop: Header=BB204_33 Depth=1
	s_and_not1_saveexec_b32 s4, s21
	s_cbranch_execnz .LBB204_66
.LBB204_61:                             ;   in Loop: Header=BB204_33 Depth=1
	s_or_b32 exec_lo, exec_lo, s4
	s_and_saveexec_b32 s3, s2
	s_delay_alu instid0(SALU_CYCLE_1)
	s_xor_b32 s4, exec_lo, s3
	s_cbranch_execnz .LBB204_69
.LBB204_62:                             ;   in Loop: Header=BB204_33 Depth=1
	s_or_b32 exec_lo, exec_lo, s4
	s_and_saveexec_b32 s3, s1
	s_cbranch_execnz .LBB204_70
.LBB204_63:                             ;   in Loop: Header=BB204_33 Depth=1
	s_or_b32 exec_lo, exec_lo, s3
	s_and_saveexec_b32 s2, s0
	s_cbranch_execnz .LBB204_71
.LBB204_64:                             ;   in Loop: Header=BB204_33 Depth=1
	s_or_b32 exec_lo, exec_lo, s2
	s_and_saveexec_b32 s1, vcc_lo
	s_cbranch_execz .LBB204_32
	s_branch .LBB204_72
.LBB204_65:                             ;   in Loop: Header=BB204_33 Depth=1
	v_cvt_f64_f32_e32 v[38:39], v36
	v_cmp_neq_f32_e64 s3, 0x7f800000, v36
	s_delay_alu instid0(VALU_DEP_2) | instskip(NEXT) | instid1(VALU_DEP_1)
	v_frexp_exp_i32_f64_e32 v7, v[38:39]
	v_sub_nc_u32_e32 v10, 0, v7
	s_delay_alu instid0(VALU_DEP_1) | instskip(NEXT) | instid1(VALU_DEP_1)
	v_ldexp_f32 v37, |v11|, v10
	v_mul_f32_e32 v37, v37, v37
	v_ldexp_f32 v10, |v34|, v10
	s_delay_alu instid0(VALU_DEP_1) | instskip(NEXT) | instid1(VALU_DEP_1)
	v_fmac_f32_e32 v37, v10, v10
	v_sqrt_f32_e32 v10, v37
	v_nop
	s_delay_alu instid0(TRANS32_DEP_1) | instskip(NEXT) | instid1(VALU_DEP_1)
	v_ldexp_f32 v7, v10, v7
	v_cndmask_b32_e64 v7, 0x7f800000, v7, s3
	s_delay_alu instid0(VALU_DEP_1) | instskip(NEXT) | instid1(VALU_DEP_1)
	v_cmp_gt_f32_e64 s3, 0x800000, v7
	v_cndmask_b32_e64 v10, 0, 32, s3
	s_delay_alu instid0(VALU_DEP_1) | instskip(NEXT) | instid1(VALU_DEP_1)
	v_ldexp_f32 v7, v7, v10
	v_log_f32_e32 v7, v7
	v_nop
	s_delay_alu instid0(TRANS32_DEP_1) | instskip(SKIP_1) | instid1(VALU_DEP_2)
	v_mul_f32_e32 v10, 0x3f317217, v7
	v_cmp_gt_f32_e64 s4, 0x7f800000, |v7|
	v_fma_f32 v10, 0x3f317217, v7, -v10
	s_delay_alu instid0(VALU_DEP_1) | instskip(NEXT) | instid1(VALU_DEP_1)
	v_fmac_f32_e32 v10, 0x3377d1cf, v7
	v_fmac_f32_e32 v10, 0x3f317217, v7
	s_delay_alu instid0(VALU_DEP_1) | instskip(SKIP_1) | instid1(VALU_DEP_1)
	v_cndmask_b32_e64 v7, v7, v10, s4
	v_cndmask_b32_e64 v10, 0, 0x41b17218, s3
	v_sub_f32_e32 v10, v7, v10
	s_and_not1_saveexec_b32 s4, s21
	s_cbranch_execz .LBB204_61
.LBB204_66:                             ;   in Loop: Header=BB204_33 Depth=1
	s_delay_alu instid0(VALU_DEP_1) | instskip(SKIP_1) | instid1(VALU_DEP_1)
	v_dual_add_f32 v38, 2.0, v10 :: v_dual_mov_b32 v39, v11
	s_mov_b32 s21, exec_lo
	v_pk_mul_f32 v[38:39], v[10:11], v[38:39]
	s_delay_alu instid0(VALU_DEP_1) | instskip(NEXT) | instid1(VALU_DEP_1)
	v_add_f32_e32 v37, v39, v38
	v_cmpx_neq_f32_e32 0, v37
	s_cbranch_execz .LBB204_68
; %bb.67:                               ;   in Loop: Header=BB204_33 Depth=1
	v_add_f32_e32 v7, 1.0, v37
	s_delay_alu instid0(VALU_DEP_1) | instskip(NEXT) | instid1(VALU_DEP_1)
	v_cvt_f64_f32_e32 v[38:39], v7
	v_frexp_exp_i32_f64_e32 v10, v[38:39]
	v_frexp_mant_f32_e32 v38, v7
	s_delay_alu instid0(VALU_DEP_1) | instskip(NEXT) | instid1(VALU_DEP_1)
	v_cmp_gt_f32_e64 s3, 0x3f2aaaab, v38
	v_subrev_co_ci_u32_e64 v10, null, 0, v10, s3
	v_cmp_neq_f32_e64 s3, 0x7f800000, v37
	s_delay_alu instid0(VALU_DEP_2) | instskip(NEXT) | instid1(VALU_DEP_1)
	v_dual_add_f32 v38, -1.0, v7 :: v_dual_sub_nc_u32 v39, 0, v10
	v_sub_f32_e32 v40, v38, v7
	s_delay_alu instid0(VALU_DEP_2) | instskip(NEXT) | instid1(VALU_DEP_2)
	v_ldexp_f32 v7, v7, v39
	v_dual_add_f32 v40, 1.0, v40 :: v_dual_sub_f32 v38, v37, v38
	s_delay_alu instid0(VALU_DEP_2) | instskip(NEXT) | instid1(VALU_DEP_1)
	v_dual_add_f32 v41, 1.0, v7 :: v_dual_add_f32 v43, -1.0, v7
	v_dual_add_f32 v38, v38, v40 :: v_dual_add_f32 v40, -1.0, v41
	s_delay_alu instid0(VALU_DEP_1) | instskip(NEXT) | instid1(VALU_DEP_2)
	v_ldexp_f32 v38, v38, v39
	v_dual_sub_f32 v39, v7, v40 :: v_dual_add_f32 v40, 1.0, v43
	s_delay_alu instid0(VALU_DEP_1) | instskip(NEXT) | instid1(VALU_DEP_1)
	v_dual_add_f32 v42, v38, v39 :: v_dual_sub_f32 v7, v7, v40
	v_dual_add_f32 v44, v41, v42 :: v_dual_add_f32 v7, v38, v7
	s_delay_alu instid0(VALU_DEP_1) | instskip(NEXT) | instid1(VALU_DEP_1)
	v_rcp_f32_e32 v45, v44
	v_dual_add_f32 v39, v43, v7 :: v_dual_sub_f32 v38, v44, v41
	s_delay_alu instid0(TRANS32_DEP_1) | instid1(VALU_DEP_1)
	v_dual_sub_f32 v48, v39, v43 :: v_dual_mul_f32 v46, v39, v45
	s_delay_alu instid0(VALU_DEP_1) | instskip(NEXT) | instid1(VALU_DEP_2)
	v_dual_sub_f32 v47, v42, v38 :: v_dual_sub_f32 v7, v7, v48
	v_mul_f32_e32 v40, v44, v46
	s_delay_alu instid0(VALU_DEP_1) | instskip(NEXT) | instid1(VALU_DEP_1)
	v_fma_f32 v42, v46, v44, -v40
	v_fmac_f32_e32 v42, v46, v47
	s_delay_alu instid0(VALU_DEP_1) | instskip(NEXT) | instid1(VALU_DEP_1)
	v_add_f32_e32 v38, v40, v42
	v_dual_sub_f32 v41, v39, v38 :: v_dual_mov_b32 v43, v38
	s_delay_alu instid0(VALU_DEP_1) | instskip(NEXT) | instid1(VALU_DEP_1)
	v_pk_add_f32 v[38:39], v[38:39], v[40:41] neg_lo:[0,1] neg_hi:[0,1]
	v_pk_add_f32 v[38:39], v[38:39], v[42:43] neg_lo:[0,1] neg_hi:[0,1]
	s_delay_alu instid0(VALU_DEP_1) | instskip(NEXT) | instid1(VALU_DEP_1)
	v_add_f32_e32 v7, v7, v39
	v_add_f32_e32 v7, v38, v7
	s_delay_alu instid0(VALU_DEP_1) | instskip(NEXT) | instid1(VALU_DEP_1)
	v_add_f32_e32 v39, v41, v7
	v_mul_f32_e32 v48, v45, v39
	s_delay_alu instid0(VALU_DEP_1) | instskip(NEXT) | instid1(VALU_DEP_1)
	v_mul_f32_e32 v42, v44, v48
	v_dual_fma_f32 v40, v48, v44, -v42 :: v_dual_sub_f32 v44, v41, v39
	s_delay_alu instid0(VALU_DEP_1) | instskip(SKIP_1) | instid1(VALU_DEP_2)
	v_dual_fmac_f32 v40, v48, v47 :: v_dual_add_f32 v7, v7, v44
	v_add_f32_e32 v44, v46, v48
	v_add_f32_e32 v38, v42, v40
	s_delay_alu instid0(VALU_DEP_1) | instskip(NEXT) | instid1(VALU_DEP_1)
	v_dual_sub_f32 v43, v39, v38 :: v_dual_mov_b32 v41, v38
	v_pk_add_f32 v[38:39], v[38:39], v[42:43] neg_lo:[0,1] neg_hi:[0,1]
	s_delay_alu instid0(VALU_DEP_1) | instskip(NEXT) | instid1(VALU_DEP_1)
	v_pk_add_f32 v[38:39], v[38:39], v[40:41] neg_lo:[0,1] neg_hi:[0,1]
	v_add_f32_e32 v7, v7, v39
	s_delay_alu instid0(VALU_DEP_1) | instskip(NEXT) | instid1(VALU_DEP_1)
	v_dual_add_f32 v7, v38, v7 :: v_dual_sub_f32 v38, v44, v46
	v_dual_add_f32 v7, v43, v7 :: v_dual_sub_f32 v38, v48, v38
	s_delay_alu instid0(VALU_DEP_1) | instskip(NEXT) | instid1(VALU_DEP_1)
	v_mul_f32_e32 v7, v45, v7
	v_add_f32_e32 v45, v38, v7
	v_cvt_f32_i32_e32 v38, v10
	s_delay_alu instid0(VALU_DEP_2) | instskip(NEXT) | instid1(VALU_DEP_1)
	v_add_f32_e32 v46, v44, v45
	v_ldexp_f32 v43, v46, 1
	v_mul_f32_e32 v7, v46, v46
	s_delay_alu instid0(VALU_DEP_1) | instskip(NEXT) | instid1(VALU_DEP_1)
	v_dual_fmaak_f32 v40, s5, v7, 0x3ecc95a3 :: v_dual_mul_f32 v39, v46, v7
	v_fmaak_f32 v7, v7, v40, 0x3f2aaada
	s_delay_alu instid0(VALU_DEP_1) | instskip(NEXT) | instid1(VALU_DEP_1)
	v_pk_mul_f32 v[40:41], v[38:39], v[6:7]
	v_dual_sub_f32 v7, v46, v44 :: v_dual_mov_b32 v44, v40
	v_fma_f32 v42, 0x3f317218, v38, -v40
	s_delay_alu instid0(VALU_DEP_1) | instskip(NEXT) | instid1(VALU_DEP_1)
	v_fmac_f32_e32 v42, 0xb102e308, v38
	v_pk_add_f32 v[38:39], v[40:41], v[42:43]
	s_delay_alu instid0(VALU_DEP_4) | instskip(NEXT) | instid1(VALU_DEP_2)
	v_sub_f32_e32 v7, v45, v7
	v_dual_sub_f32 v10, v39, v43 :: v_dual_mov_b32 v43, v38
	s_delay_alu instid0(VALU_DEP_2) | instskip(NEXT) | instid1(VALU_DEP_2)
	v_ldexp_f32 v7, v7, 1
	v_dual_mov_b32 v52, v39 :: v_dual_sub_f32 v10, v41, v10
	v_pk_add_f32 v[40:41], v[38:39], v[40:41] neg_lo:[0,1] neg_hi:[0,1]
	s_delay_alu instid0(VALU_DEP_2) | instskip(NEXT) | instid1(VALU_DEP_1)
	v_add_f32_e32 v45, v7, v10
	v_pk_add_f32 v[46:47], v[38:39], v[44:45]
	s_delay_alu instid0(VALU_DEP_1) | instskip(NEXT) | instid1(VALU_DEP_1)
	v_mov_b32_e32 v41, v47
	v_pk_add_f32 v[48:49], v[42:43], v[40:41]
	v_pk_add_f32 v[40:41], v[42:43], v[40:41] neg_lo:[0,1] neg_hi:[0,1]
	s_delay_alu instid0(VALU_DEP_2) | instskip(NEXT) | instid1(VALU_DEP_1)
	v_dual_mov_b32 v10, v49 :: v_dual_mov_b32 v41, v49
	v_pk_add_f32 v[50:51], v[10:11], v[38:39] neg_lo:[0,1] neg_hi:[0,1]
	v_dual_mov_b32 v48, v47 :: v_dual_mov_b32 v39, v38
	s_delay_alu instid0(VALU_DEP_2) | instskip(SKIP_1) | instid1(VALU_DEP_2)
	v_dual_mov_b32 v38, v45 :: v_dual_mov_b32 v53, v50
	v_mov_b32_e32 v7, v50
	v_pk_add_f32 v[44:45], v[48:49], v[52:53] neg_lo:[0,1] neg_hi:[0,1]
	s_delay_alu instid0(VALU_DEP_2) | instskip(SKIP_1) | instid1(VALU_DEP_3)
	v_pk_add_f32 v[42:43], v[46:47], v[6:7] neg_lo:[0,1] neg_hi:[0,1]
	v_mov_b32_e32 v42, v40
	v_pk_add_f32 v[38:39], v[38:39], v[44:45] neg_lo:[0,1] neg_hi:[0,1]
	s_delay_alu instid0(VALU_DEP_1) | instskip(NEXT) | instid1(VALU_DEP_1)
	v_pk_add_f32 v[42:43], v[42:43], v[38:39]
	v_mov_b32_e32 v44, v43
	s_delay_alu instid0(VALU_DEP_1) | instskip(NEXT) | instid1(VALU_DEP_1)
	v_pk_add_f32 v[44:45], v[42:43], v[44:45]
	v_pk_add_f32 v[46:47], v[10:11], v[44:45]
	s_delay_alu instid0(VALU_DEP_1) | instskip(NEXT) | instid1(VALU_DEP_1)
	v_dual_mov_b32 v39, v44 :: v_dual_mov_b32 v43, v46
	v_pk_add_f32 v[48:49], v[42:43], v[40:41] neg_lo:[0,1] neg_hi:[0,1]
	s_delay_alu instid0(VALU_DEP_1) | instskip(NEXT) | instid1(VALU_DEP_2)
	v_sub_f32_e32 v7, v42, v48
	v_pk_add_f32 v[38:39], v[38:39], v[48:49] neg_lo:[0,1] neg_hi:[0,1]
	s_delay_alu instid0(VALU_DEP_2) | instskip(NEXT) | instid1(VALU_DEP_1)
	v_sub_f32_e32 v7, v40, v7
	v_add_f32_e32 v7, v38, v7
	s_delay_alu instid0(VALU_DEP_1) | instskip(NEXT) | instid1(VALU_DEP_1)
	v_add_f32_e32 v7, v7, v39
	v_add_f32_e32 v7, v46, v7
	s_delay_alu instid0(VALU_DEP_1) | instskip(SKIP_1) | instid1(VALU_DEP_1)
	v_cndmask_b32_e64 v7, 0x7f800000, v7, s3
	v_cmp_ngt_f32_e64 s3, -1.0, v37
	v_cndmask_b32_e64 v7, 0x7fc00000, v7, s3
	v_cmp_neq_f32_e64 s3, -1.0, v37
	s_delay_alu instid0(VALU_DEP_1) | instskip(SKIP_1) | instid1(VALU_DEP_1)
	v_cndmask_b32_e64 v7, 0xff800000, v7, s3
	v_cmp_gt_f32_e64 s3, 0x33800000, |v37|
	v_cndmask_b32_e64 v7, v7, v37, s3
	s_delay_alu instid0(VALU_DEP_1)
	v_mul_f32_e32 v10, 0.5, v7
.LBB204_68:                             ;   in Loop: Header=BB204_33 Depth=1
	s_or_b32 exec_lo, exec_lo, s21
	s_delay_alu instid0(SALU_CYCLE_1) | instskip(SKIP_1) | instid1(SALU_CYCLE_1)
	s_or_b32 exec_lo, exec_lo, s4
	s_and_saveexec_b32 s3, s2
	s_xor_b32 s4, exec_lo, s3
	s_cbranch_execz .LBB204_62
.LBB204_69:                             ;   in Loop: Header=BB204_33 Depth=1
	v_max_num_f32_e64 v7, |v25|, |v25|
	v_frexp_mant_f32_e32 v37, v27
	v_frexp_exp_i32_f32_e32 v27, v27
	v_cmp_gt_i32_e64 s3, 0, v25
	v_cmp_gt_f32_e64 s2, |v23|, |v25|
	v_min_num_f32_e32 v7, v7, v26
	v_rcp_f32_e32 v26, v37
	v_cmp_class_f32_e64 s21, v25, 0x204
	v_lshl_add_u64 v[20:21], v[20:21], 3, s[8:9]
	s_delay_alu instid0(VALU_DEP_3)
	v_frexp_mant_f32_e32 v37, v7
	s_delay_alu instid0(TRANS32_DEP_1) | instid1(VALU_DEP_1)
	v_mul_f32_e32 v26, v37, v26
	v_frexp_exp_i32_f32_e32 v7, v7
	v_cndmask_b32_e64 v37, 0, 0x40490fdb, s3
	v_cmp_class_f32_e64 s3, v23, 0x204
	s_delay_alu instid0(VALU_DEP_3) | instskip(NEXT) | instid1(VALU_DEP_1)
	v_sub_nc_u32_e32 v7, v7, v27
	v_ldexp_f32 v7, v26, v7
	s_delay_alu instid0(VALU_DEP_1) | instskip(NEXT) | instid1(VALU_DEP_1)
	v_mul_f32_e32 v26, v7, v7
	v_fmaak_f32 v27, s20, v26, 0xbc7a590c
	s_delay_alu instid0(VALU_DEP_1) | instskip(NEXT) | instid1(VALU_DEP_1)
	v_fmaak_f32 v27, v26, v27, 0x3d29fb3f
	v_fmaak_f32 v27, v26, v27, 0xbd97d4d7
	s_delay_alu instid0(VALU_DEP_1) | instskip(NEXT) | instid1(VALU_DEP_1)
	v_fmaak_f32 v27, v26, v27, 0x3dd931b2
	;; [unrolled: 3-line block ×3, first 2 shown]
	v_fmaak_f32 v27, v26, v27, 0xbeaaaa62
	s_delay_alu instid0(VALU_DEP_1) | instskip(NEXT) | instid1(VALU_DEP_1)
	v_mul_f32_e32 v26, v26, v27
	v_fmac_f32_e32 v7, v7, v26
	s_delay_alu instid0(VALU_DEP_1) | instskip(NEXT) | instid1(VALU_DEP_1)
	v_sub_f32_e32 v26, 0x3fc90fdb, v7
	v_cndmask_b32_e64 v7, v7, v26, s2
	v_cmp_gt_f32_e64 s2, 0, v25
	s_delay_alu instid0(VALU_DEP_2) | instskip(NEXT) | instid1(VALU_DEP_2)
	v_sub_f32_e32 v26, 0x40490fdb, v7
	v_cndmask_b32_e64 v27, 0x3f490fdb, v24, s2
	s_delay_alu instid0(VALU_DEP_2) | instskip(SKIP_1) | instid1(VALU_DEP_1)
	v_cndmask_b32_e64 v7, v7, v26, s2
	v_cmp_eq_f32_e64 s2, 0, v23
	v_cndmask_b32_e64 v7, v7, v37, s2
	s_and_b32 s2, s3, s21
	s_delay_alu instid0(VALU_DEP_1) | instid1(SALU_CYCLE_1)
	v_cndmask_b32_e64 v7, v7, v27, s2
	v_cmp_o_f32_e64 s2, v25, v23
	s_delay_alu instid0(VALU_DEP_1) | instskip(NEXT) | instid1(VALU_DEP_1)
	v_cndmask_b32_e64 v7, 0x7fc00000, v7, s2
	v_bfi_b32 v23, 0x7fffffff, v7, v23
	global_store_b64 v[20:21], v[22:23], off
	s_wait_xcnt 0x0
	s_or_b32 exec_lo, exec_lo, s4
	s_and_saveexec_b32 s3, s1
	s_cbranch_execz .LBB204_63
.LBB204_70:                             ;   in Loop: Header=BB204_33 Depth=1
	v_max_num_f32_e64 v7, |v28|, |v28|
	v_frexp_mant_f32_e32 v20, v30
	v_frexp_exp_i32_f32_e32 v21, v30
	v_cmp_gt_i32_e64 s2, 0, v28
	v_cmp_gt_f32_e64 s1, |v19|, |v28|
	v_cmp_class_f32_e64 s4, v28, 0x204
	v_rcp_f32_e32 v20, v20
	v_min_num_f32_e32 v7, v7, v29
	v_lshl_add_u64 v[16:17], v[16:17], 3, s[8:9]
	s_delay_alu instid0(VALU_DEP_2)
	v_frexp_mant_f32_e32 v22, v7
	s_delay_alu instid0(TRANS32_DEP_1) | instid1(VALU_DEP_1)
	v_mul_f32_e32 v20, v22, v20
	v_frexp_exp_i32_f32_e32 v7, v7
	v_cndmask_b32_e64 v22, 0, 0x40490fdb, s2
	v_cmp_class_f32_e64 s2, v19, 0x204
	s_delay_alu instid0(VALU_DEP_3) | instskip(NEXT) | instid1(VALU_DEP_1)
	v_sub_nc_u32_e32 v7, v7, v21
	v_ldexp_f32 v7, v20, v7
	s_delay_alu instid0(VALU_DEP_1) | instskip(NEXT) | instid1(VALU_DEP_1)
	v_mul_f32_e32 v20, v7, v7
	v_fmaak_f32 v21, s20, v20, 0xbc7a590c
	s_delay_alu instid0(VALU_DEP_1) | instskip(NEXT) | instid1(VALU_DEP_1)
	v_fmaak_f32 v21, v20, v21, 0x3d29fb3f
	v_fmaak_f32 v21, v20, v21, 0xbd97d4d7
	s_delay_alu instid0(VALU_DEP_1) | instskip(NEXT) | instid1(VALU_DEP_1)
	v_fmaak_f32 v21, v20, v21, 0x3dd931b2
	;; [unrolled: 3-line block ×3, first 2 shown]
	v_fmaak_f32 v21, v20, v21, 0xbeaaaa62
	s_delay_alu instid0(VALU_DEP_1) | instskip(NEXT) | instid1(VALU_DEP_1)
	v_mul_f32_e32 v20, v20, v21
	v_fmac_f32_e32 v7, v7, v20
	s_delay_alu instid0(VALU_DEP_1) | instskip(NEXT) | instid1(VALU_DEP_1)
	v_sub_f32_e32 v20, 0x3fc90fdb, v7
	v_cndmask_b32_e64 v7, v7, v20, s1
	v_cmp_gt_f32_e64 s1, 0, v28
	s_delay_alu instid0(VALU_DEP_2) | instskip(NEXT) | instid1(VALU_DEP_2)
	v_sub_f32_e32 v20, 0x40490fdb, v7
	v_cndmask_b32_e64 v21, 0x3f490fdb, v24, s1
	s_delay_alu instid0(VALU_DEP_2) | instskip(SKIP_1) | instid1(VALU_DEP_1)
	v_cndmask_b32_e64 v7, v7, v20, s1
	v_cmp_eq_f32_e64 s1, 0, v19
	v_cndmask_b32_e64 v7, v7, v22, s1
	s_and_b32 s1, s2, s4
	s_delay_alu instid0(VALU_DEP_1) | instid1(SALU_CYCLE_1)
	v_cndmask_b32_e64 v7, v7, v21, s1
	v_cmp_o_f32_e64 s1, v28, v19
	s_delay_alu instid0(VALU_DEP_1) | instskip(NEXT) | instid1(VALU_DEP_1)
	v_cndmask_b32_e64 v7, 0x7fc00000, v7, s1
	v_bfi_b32 v19, 0x7fffffff, v7, v19
	global_store_b64 v[16:17], v[18:19], off
	s_wait_xcnt 0x0
	s_or_b32 exec_lo, exec_lo, s3
	s_and_saveexec_b32 s2, s0
	s_cbranch_execz .LBB204_64
.LBB204_71:                             ;   in Loop: Header=BB204_33 Depth=1
	v_max_num_f32_e64 v7, |v31|, |v31|
	v_frexp_mant_f32_e32 v16, v33
	v_frexp_exp_i32_f32_e32 v17, v33
	v_cmp_gt_i32_e64 s1, 0, v31
	v_cmp_gt_f32_e64 s0, |v13|, |v31|
	v_min_num_f32_e32 v7, v7, v32
	v_rcp_f32_e32 v16, v16
	v_cmp_class_f32_e64 s3, v31, 0x204
	v_lshl_add_u64 v[14:15], v[14:15], 3, s[8:9]
	s_delay_alu instid0(VALU_DEP_3)
	v_frexp_mant_f32_e32 v18, v7
	v_frexp_exp_i32_f32_e32 v7, v7
	s_delay_alu instid0(TRANS32_DEP_1) | instid1(VALU_DEP_1)
	v_dual_mul_f32 v16, v18, v16 :: v_dual_sub_nc_u32 v7, v7, v17
	v_cndmask_b32_e64 v18, 0, 0x40490fdb, s1
	v_cmp_class_f32_e64 s1, v13, 0x204
	s_delay_alu instid0(VALU_DEP_3) | instskip(NEXT) | instid1(VALU_DEP_1)
	v_ldexp_f32 v7, v16, v7
	v_mul_f32_e32 v16, v7, v7
	s_delay_alu instid0(VALU_DEP_1) | instskip(NEXT) | instid1(VALU_DEP_1)
	v_fmaak_f32 v17, s20, v16, 0xbc7a590c
	v_fmaak_f32 v17, v16, v17, 0x3d29fb3f
	s_delay_alu instid0(VALU_DEP_1) | instskip(NEXT) | instid1(VALU_DEP_1)
	v_fmaak_f32 v17, v16, v17, 0xbd97d4d7
	v_fmaak_f32 v17, v16, v17, 0x3dd931b2
	s_delay_alu instid0(VALU_DEP_1) | instskip(NEXT) | instid1(VALU_DEP_1)
	v_fmaak_f32 v17, v16, v17, 0xbe1160e6
	v_fmaak_f32 v17, v16, v17, 0x3e4cb8bf
	s_delay_alu instid0(VALU_DEP_1) | instskip(NEXT) | instid1(VALU_DEP_1)
	v_fmaak_f32 v17, v16, v17, 0xbeaaaa62
	v_mul_f32_e32 v16, v16, v17
	s_delay_alu instid0(VALU_DEP_1) | instskip(NEXT) | instid1(VALU_DEP_1)
	v_fmac_f32_e32 v7, v7, v16
	v_sub_f32_e32 v16, 0x3fc90fdb, v7
	s_delay_alu instid0(VALU_DEP_1) | instskip(SKIP_1) | instid1(VALU_DEP_2)
	v_cndmask_b32_e64 v7, v7, v16, s0
	v_cmp_gt_f32_e64 s0, 0, v31
	v_sub_f32_e32 v16, 0x40490fdb, v7
	s_delay_alu instid0(VALU_DEP_2) | instskip(NEXT) | instid1(VALU_DEP_2)
	v_cndmask_b32_e64 v17, 0x3f490fdb, v24, s0
	v_cndmask_b32_e64 v7, v7, v16, s0
	v_cmp_eq_f32_e64 s0, 0, v13
	s_delay_alu instid0(VALU_DEP_1)
	v_cndmask_b32_e64 v7, v7, v18, s0
	s_and_b32 s0, s1, s3
	s_delay_alu instid0(VALU_DEP_1) | instid1(SALU_CYCLE_1)
	v_cndmask_b32_e64 v7, v7, v17, s0
	v_cmp_o_f32_e64 s0, v31, v13
	s_delay_alu instid0(VALU_DEP_1) | instskip(NEXT) | instid1(VALU_DEP_1)
	v_cndmask_b32_e64 v7, 0x7fc00000, v7, s0
	v_bfi_b32 v13, 0x7fffffff, v7, v13
	global_store_b64 v[14:15], v[12:13], off
	s_wait_xcnt 0x0
	s_or_b32 exec_lo, exec_lo, s2
	s_and_saveexec_b32 s1, vcc_lo
	s_cbranch_execz .LBB204_32
.LBB204_72:                             ;   in Loop: Header=BB204_33 Depth=1
	v_max_num_f32_e64 v7, |v34|, |v34|
	v_frexp_mant_f32_e32 v12, v36
	v_frexp_exp_i32_f32_e32 v13, v36
	v_cmp_gt_i32_e64 s0, 0, v34
	v_cmp_gt_f32_e64 vcc_lo, |v11|, |v34|
	v_cmp_class_f32_e64 s2, v34, 0x204
	v_rcp_f32_e32 v12, v12
	v_min_num_f32_e32 v7, v7, v35
	v_lshl_add_u64 v[8:9], v[8:9], 3, s[8:9]
	s_delay_alu instid0(VALU_DEP_2)
	v_frexp_mant_f32_e32 v14, v7
	s_delay_alu instid0(TRANS32_DEP_1) | instid1(VALU_DEP_1)
	v_mul_f32_e32 v12, v14, v12
	v_frexp_exp_i32_f32_e32 v7, v7
	v_cndmask_b32_e64 v14, 0, 0x40490fdb, s0
	v_cmp_class_f32_e64 s0, v11, 0x204
	s_delay_alu instid0(VALU_DEP_3) | instskip(NEXT) | instid1(VALU_DEP_1)
	v_sub_nc_u32_e32 v7, v7, v13
	v_ldexp_f32 v7, v12, v7
	s_delay_alu instid0(VALU_DEP_1) | instskip(NEXT) | instid1(VALU_DEP_1)
	v_mul_f32_e32 v12, v7, v7
	v_fmaak_f32 v13, s20, v12, 0xbc7a590c
	s_delay_alu instid0(VALU_DEP_1) | instskip(NEXT) | instid1(VALU_DEP_1)
	v_fmaak_f32 v13, v12, v13, 0x3d29fb3f
	v_fmaak_f32 v13, v12, v13, 0xbd97d4d7
	s_delay_alu instid0(VALU_DEP_1) | instskip(NEXT) | instid1(VALU_DEP_1)
	v_fmaak_f32 v13, v12, v13, 0x3dd931b2
	;; [unrolled: 3-line block ×3, first 2 shown]
	v_fmaak_f32 v13, v12, v13, 0xbeaaaa62
	s_delay_alu instid0(VALU_DEP_1) | instskip(NEXT) | instid1(VALU_DEP_1)
	v_mul_f32_e32 v12, v12, v13
	v_fmac_f32_e32 v7, v7, v12
	s_delay_alu instid0(VALU_DEP_1) | instskip(NEXT) | instid1(VALU_DEP_1)
	v_sub_f32_e32 v12, 0x3fc90fdb, v7
	v_cndmask_b32_e32 v7, v7, v12, vcc_lo
	v_cmp_gt_f32_e32 vcc_lo, 0, v34
	v_cndmask_b32_e32 v13, 0x3f490fdb, v24, vcc_lo
	s_delay_alu instid0(VALU_DEP_3) | instskip(NEXT) | instid1(VALU_DEP_1)
	v_sub_f32_e32 v12, 0x40490fdb, v7
	v_cndmask_b32_e32 v7, v7, v12, vcc_lo
	v_cmp_eq_f32_e32 vcc_lo, 0, v11
	s_delay_alu instid0(VALU_DEP_2) | instskip(SKIP_1) | instid1(VALU_DEP_1)
	v_cndmask_b32_e32 v7, v7, v14, vcc_lo
	s_and_b32 vcc_lo, s0, s2
	v_cndmask_b32_e32 v7, v7, v13, vcc_lo
	v_cmp_o_f32_e32 vcc_lo, v34, v11
	s_delay_alu instid0(VALU_DEP_2) | instskip(NEXT) | instid1(VALU_DEP_1)
	v_cndmask_b32_e32 v7, 0x7fc00000, v7, vcc_lo
	v_bfi_b32 v11, 0x7fffffff, v7, v11
	global_store_b64 v[8:9], v[10:11], off
	s_branch .LBB204_32
.LBB204_73:
	s_endpgm
	.section	.rodata,"a",@progbits
	.p2align	6, 0x0
	.amdhsa_kernel _ZN2at6native12_GLOBAL__N_125multi_tensor_apply_kernelINS1_18TensorListMetadataILi2EEENS1_14UnaryOpFunctorIN3c107complexIfEELi2ELi1ELi1EEEJNS0_5Log1pIS8_EEEEEvT_T0_DpT1_
		.amdhsa_group_segment_fixed_size 0
		.amdhsa_private_segment_fixed_size 0
		.amdhsa_kernarg_size 3408
		.amdhsa_user_sgpr_count 2
		.amdhsa_user_sgpr_dispatch_ptr 0
		.amdhsa_user_sgpr_queue_ptr 0
		.amdhsa_user_sgpr_kernarg_segment_ptr 1
		.amdhsa_user_sgpr_dispatch_id 0
		.amdhsa_user_sgpr_kernarg_preload_length 0
		.amdhsa_user_sgpr_kernarg_preload_offset 0
		.amdhsa_user_sgpr_private_segment_size 0
		.amdhsa_wavefront_size32 1
		.amdhsa_uses_dynamic_stack 0
		.amdhsa_enable_private_segment 0
		.amdhsa_system_sgpr_workgroup_id_x 1
		.amdhsa_system_sgpr_workgroup_id_y 0
		.amdhsa_system_sgpr_workgroup_id_z 0
		.amdhsa_system_sgpr_workgroup_info 0
		.amdhsa_system_vgpr_workitem_id 0
		.amdhsa_next_free_vgpr 54
		.amdhsa_next_free_sgpr 26
		.amdhsa_named_barrier_count 0
		.amdhsa_reserve_vcc 1
		.amdhsa_float_round_mode_32 0
		.amdhsa_float_round_mode_16_64 0
		.amdhsa_float_denorm_mode_32 3
		.amdhsa_float_denorm_mode_16_64 3
		.amdhsa_fp16_overflow 0
		.amdhsa_memory_ordered 1
		.amdhsa_forward_progress 1
		.amdhsa_inst_pref_size 107
		.amdhsa_round_robin_scheduling 0
		.amdhsa_exception_fp_ieee_invalid_op 0
		.amdhsa_exception_fp_denorm_src 0
		.amdhsa_exception_fp_ieee_div_zero 0
		.amdhsa_exception_fp_ieee_overflow 0
		.amdhsa_exception_fp_ieee_underflow 0
		.amdhsa_exception_fp_ieee_inexact 0
		.amdhsa_exception_int_div_zero 0
	.end_amdhsa_kernel
	.section	.text._ZN2at6native12_GLOBAL__N_125multi_tensor_apply_kernelINS1_18TensorListMetadataILi2EEENS1_14UnaryOpFunctorIN3c107complexIfEELi2ELi1ELi1EEEJNS0_5Log1pIS8_EEEEEvT_T0_DpT1_,"axG",@progbits,_ZN2at6native12_GLOBAL__N_125multi_tensor_apply_kernelINS1_18TensorListMetadataILi2EEENS1_14UnaryOpFunctorIN3c107complexIfEELi2ELi1ELi1EEEJNS0_5Log1pIS8_EEEEEvT_T0_DpT1_,comdat
.Lfunc_end204:
	.size	_ZN2at6native12_GLOBAL__N_125multi_tensor_apply_kernelINS1_18TensorListMetadataILi2EEENS1_14UnaryOpFunctorIN3c107complexIfEELi2ELi1ELi1EEEJNS0_5Log1pIS8_EEEEEvT_T0_DpT1_, .Lfunc_end204-_ZN2at6native12_GLOBAL__N_125multi_tensor_apply_kernelINS1_18TensorListMetadataILi2EEENS1_14UnaryOpFunctorIN3c107complexIfEELi2ELi1ELi1EEEJNS0_5Log1pIS8_EEEEEvT_T0_DpT1_
                                        ; -- End function
	.set _ZN2at6native12_GLOBAL__N_125multi_tensor_apply_kernelINS1_18TensorListMetadataILi2EEENS1_14UnaryOpFunctorIN3c107complexIfEELi2ELi1ELi1EEEJNS0_5Log1pIS8_EEEEEvT_T0_DpT1_.num_vgpr, 54
	.set _ZN2at6native12_GLOBAL__N_125multi_tensor_apply_kernelINS1_18TensorListMetadataILi2EEENS1_14UnaryOpFunctorIN3c107complexIfEELi2ELi1ELi1EEEJNS0_5Log1pIS8_EEEEEvT_T0_DpT1_.num_agpr, 0
	.set _ZN2at6native12_GLOBAL__N_125multi_tensor_apply_kernelINS1_18TensorListMetadataILi2EEENS1_14UnaryOpFunctorIN3c107complexIfEELi2ELi1ELi1EEEJNS0_5Log1pIS8_EEEEEvT_T0_DpT1_.numbered_sgpr, 26
	.set _ZN2at6native12_GLOBAL__N_125multi_tensor_apply_kernelINS1_18TensorListMetadataILi2EEENS1_14UnaryOpFunctorIN3c107complexIfEELi2ELi1ELi1EEEJNS0_5Log1pIS8_EEEEEvT_T0_DpT1_.num_named_barrier, 0
	.set _ZN2at6native12_GLOBAL__N_125multi_tensor_apply_kernelINS1_18TensorListMetadataILi2EEENS1_14UnaryOpFunctorIN3c107complexIfEELi2ELi1ELi1EEEJNS0_5Log1pIS8_EEEEEvT_T0_DpT1_.private_seg_size, 0
	.set _ZN2at6native12_GLOBAL__N_125multi_tensor_apply_kernelINS1_18TensorListMetadataILi2EEENS1_14UnaryOpFunctorIN3c107complexIfEELi2ELi1ELi1EEEJNS0_5Log1pIS8_EEEEEvT_T0_DpT1_.uses_vcc, 1
	.set _ZN2at6native12_GLOBAL__N_125multi_tensor_apply_kernelINS1_18TensorListMetadataILi2EEENS1_14UnaryOpFunctorIN3c107complexIfEELi2ELi1ELi1EEEJNS0_5Log1pIS8_EEEEEvT_T0_DpT1_.uses_flat_scratch, 0
	.set _ZN2at6native12_GLOBAL__N_125multi_tensor_apply_kernelINS1_18TensorListMetadataILi2EEENS1_14UnaryOpFunctorIN3c107complexIfEELi2ELi1ELi1EEEJNS0_5Log1pIS8_EEEEEvT_T0_DpT1_.has_dyn_sized_stack, 0
	.set _ZN2at6native12_GLOBAL__N_125multi_tensor_apply_kernelINS1_18TensorListMetadataILi2EEENS1_14UnaryOpFunctorIN3c107complexIfEELi2ELi1ELi1EEEJNS0_5Log1pIS8_EEEEEvT_T0_DpT1_.has_recursion, 0
	.set _ZN2at6native12_GLOBAL__N_125multi_tensor_apply_kernelINS1_18TensorListMetadataILi2EEENS1_14UnaryOpFunctorIN3c107complexIfEELi2ELi1ELi1EEEJNS0_5Log1pIS8_EEEEEvT_T0_DpT1_.has_indirect_call, 0
	.section	.AMDGPU.csdata,"",@progbits
; Kernel info:
; codeLenInByte = 13608
; TotalNumSgprs: 28
; NumVgprs: 54
; ScratchSize: 0
; MemoryBound: 0
; FloatMode: 240
; IeeeMode: 1
; LDSByteSize: 0 bytes/workgroup (compile time only)
; SGPRBlocks: 0
; VGPRBlocks: 3
; NumSGPRsForWavesPerEU: 28
; NumVGPRsForWavesPerEU: 54
; NamedBarCnt: 0
; Occupancy: 16
; WaveLimiterHint : 0
; COMPUTE_PGM_RSRC2:SCRATCH_EN: 0
; COMPUTE_PGM_RSRC2:USER_SGPR: 2
; COMPUTE_PGM_RSRC2:TRAP_HANDLER: 0
; COMPUTE_PGM_RSRC2:TGID_X_EN: 1
; COMPUTE_PGM_RSRC2:TGID_Y_EN: 0
; COMPUTE_PGM_RSRC2:TGID_Z_EN: 0
; COMPUTE_PGM_RSRC2:TIDIG_COMP_CNT: 0
	.section	.text._ZN2at6native12_GLOBAL__N_125multi_tensor_apply_kernelINS1_18TensorListMetadataILi2EEENS1_14UnaryOpFunctorIN3c104HalfELi2ELi1ELi1EEEJNS0_5Log1pIfEEEEEvT_T0_DpT1_,"axG",@progbits,_ZN2at6native12_GLOBAL__N_125multi_tensor_apply_kernelINS1_18TensorListMetadataILi2EEENS1_14UnaryOpFunctorIN3c104HalfELi2ELi1ELi1EEEJNS0_5Log1pIfEEEEEvT_T0_DpT1_,comdat
	.globl	_ZN2at6native12_GLOBAL__N_125multi_tensor_apply_kernelINS1_18TensorListMetadataILi2EEENS1_14UnaryOpFunctorIN3c104HalfELi2ELi1ELi1EEEJNS0_5Log1pIfEEEEEvT_T0_DpT1_ ; -- Begin function _ZN2at6native12_GLOBAL__N_125multi_tensor_apply_kernelINS1_18TensorListMetadataILi2EEENS1_14UnaryOpFunctorIN3c104HalfELi2ELi1ELi1EEEJNS0_5Log1pIfEEEEEvT_T0_DpT1_
	.p2align	8
	.type	_ZN2at6native12_GLOBAL__N_125multi_tensor_apply_kernelINS1_18TensorListMetadataILi2EEENS1_14UnaryOpFunctorIN3c104HalfELi2ELi1ELi1EEEJNS0_5Log1pIfEEEEEvT_T0_DpT1_,@function
_ZN2at6native12_GLOBAL__N_125multi_tensor_apply_kernelINS1_18TensorListMetadataILi2EEENS1_14UnaryOpFunctorIN3c104HalfELi2ELi1ELi1EEEJNS0_5Log1pIfEEEEEvT_T0_DpT1_: ; @_ZN2at6native12_GLOBAL__N_125multi_tensor_apply_kernelINS1_18TensorListMetadataILi2EEENS1_14UnaryOpFunctorIN3c104HalfELi2ELi1ELi1EEEJNS0_5Log1pIfEEEEEvT_T0_DpT1_
; %bb.0:
	s_bfe_u32 s2, ttmp6, 0x4000c
	s_and_b32 s3, ttmp6, 15
	s_add_co_i32 s2, s2, 1
	s_getreg_b32 s4, hwreg(HW_REG_IB_STS2, 6, 4)
	s_mul_i32 s2, ttmp9, s2
	s_delay_alu instid0(SALU_CYCLE_1)
	s_add_co_i32 s3, s3, s2
	s_cmp_eq_u32 s4, 0
	s_cselect_b32 s2, ttmp9, s3
	s_mov_b32 s3, 0
	s_load_u8 s13, s[0:1], s2 offset:0x600
	s_add_nc_u64 s[4:5], s[0:1], s[2:3]
	s_mul_u64 s[6:7], s[2:3], 3
	s_delay_alu instid0(SALU_CYCLE_1)
	s_add_nc_u64 s[4:5], s[4:5], s[6:7]
	s_load_b32 s12, s[4:5], 0x740
	s_wait_kmcnt 0x0
	s_clause 0x2
	s_load_b64 s[8:9], s[0:1], s13 offset:0x0 scale_offset
	s_load_b64 s[10:11], s[0:1], s13 offset:0x200 scale_offset
	s_load_b64 s[14:15], s[0:1], s13 offset:0x400 scale_offset
	s_mov_b32 s5, s3
	s_wait_xcnt 0x0
	s_ashr_i32 s13, s12, 31
	s_delay_alu instid0(SALU_CYCLE_1)
	s_lshl_b64 s[6:7], s[12:13], 17
	s_wait_kmcnt 0x0
	s_and_b64 s[18:19], s[10:11], 7
	s_add_nc_u64 s[16:17], s[8:9], s[6:7]
	s_and_b32 s4, s14, 3
	s_and_b32 s2, s16, 7
	s_or_b64 s[4:5], s[18:19], s[4:5]
	s_lshl_b64 s[12:13], s[12:13], 16
	s_or_b64 s[2:3], s[4:5], s[2:3]
	s_sub_nc_u64 s[12:13], s[14:15], s[12:13]
	s_cmp_eq_u64 s[2:3], 0
	s_mov_b32 s2, -1
	s_cbranch_scc0 .LBB205_5
; %bb.1:
	v_min_i64 v[2:3], 0x10000, s[12:13]
	v_dual_mov_b32 v5, 0 :: v_dual_lshlrev_b32 v4, 2, v0
	s_mov_b32 s5, exec_lo
	s_delay_alu instid0(VALU_DEP_1)
	v_cmpx_lt_i64_e64 v[4:5], v[2:3]
	s_cbranch_execz .LBB205_4
; %bb.2:
	s_load_b32 s2, s[0:1], 0xc5c
	v_dual_mov_b32 v1, v5 :: v_dual_lshlrev_b32 v4, 3, v0
	s_mov_b32 s15, 0
	s_mov_b32 s16, 0x3f317218
	;; [unrolled: 1-line block ×3, first 2 shown]
	s_delay_alu instid0(VALU_DEP_1)
	v_mov_b64_e32 v[6:7], v[0:1]
	v_add_nc_u64_e32 v[4:5], s[6:7], v[4:5]
	s_mov_b32 s20, 0x3e9b6dac
	s_mov_b32 s22, 0x3f2aaada
	;; [unrolled: 1-line block ×5, first 2 shown]
	s_wait_kmcnt 0x0
	s_and_b32 s14, s2, 0xffff
	s_delay_alu instid0(SALU_CYCLE_1)
	s_lshl_b32 s26, s14, 3
.LBB205_3:                              ; =>This Inner Loop Header: Depth=1
	v_add_nc_u64_e32 v[8:9], s[8:9], v[4:5]
	v_add_nc_u64_e32 v[6:7], s[14:15], v[6:7]
	global_load_b64 v[8:9], v[8:9], off
	v_lshlrev_b64_e32 v[10:11], 2, v[6:7]
	s_wait_loadcnt 0x0
	v_dual_lshrrev_b32 v56, 16, v9 :: v_dual_lshrrev_b32 v57, 16, v8
	v_cvt_f32_f16_e32 v1, v8
	v_cvt_f32_f16_e32 v58, v9
	s_delay_alu instid0(VALU_DEP_3) | instskip(NEXT) | instid1(VALU_DEP_4)
	v_cvt_f32_f16_e32 v59, v56
	v_cvt_f32_f16_e32 v60, v57
	s_delay_alu instid0(VALU_DEP_3) | instskip(NEXT) | instid1(VALU_DEP_2)
	v_dual_add_f32 v20, 1.0, v1 :: v_dual_add_f32 v21, 1.0, v58
	v_dual_add_f32 v28, 1.0, v59 :: v_dual_add_f32 v26, 1.0, v60
	s_delay_alu instid0(VALU_DEP_2) | instskip(NEXT) | instid1(VALU_DEP_3)
	v_cvt_f64_f32_e32 v[12:13], v20
	v_cvt_f64_f32_e32 v[14:15], v21
	v_dual_add_f32 v25, -1.0, v21 :: v_dual_add_f32 v22, -1.0, v20
	s_delay_alu instid0(VALU_DEP_4)
	v_cvt_f64_f32_e32 v[16:17], v26
	v_cvt_f64_f32_e32 v[18:19], v28
	v_frexp_mant_f32_e32 v23, v20
	v_frexp_mant_f32_e32 v24, v21
	;; [unrolled: 1-line block ×3, first 2 shown]
	v_dual_sub_f32 v27, v22, v20 :: v_dual_sub_f32 v22, v1, v22
	s_delay_alu instid0(VALU_DEP_4) | instskip(NEXT) | instid1(VALU_DEP_4)
	v_cmp_gt_f32_e32 vcc_lo, 0x3f2aaaab, v23
	v_cmp_gt_f32_e64 s2, 0x3f2aaaab, v24
	s_delay_alu instid0(VALU_DEP_4) | instskip(SKIP_3) | instid1(VALU_DEP_3)
	v_cmp_gt_f32_e64 s3, 0x3f2aaaab, v29
	v_dual_add_f32 v31, -1.0, v26 :: v_dual_add_f32 v32, -1.0, v28
	v_dual_sub_f32 v33, v25, v21 :: v_dual_add_f32 v27, 1.0, v27
	v_frexp_mant_f32_e32 v30, v28
	v_dual_sub_f32 v25, v58, v25 :: v_dual_sub_f32 v34, v31, v26
	s_delay_alu instid0(VALU_DEP_3) | instskip(NEXT) | instid1(VALU_DEP_4)
	v_dual_sub_f32 v35, v32, v28 :: v_dual_add_f32 v33, 1.0, v33
	v_add_f32_e32 v22, v22, v27
	s_delay_alu instid0(VALU_DEP_4) | instskip(SKIP_1) | instid1(VALU_DEP_4)
	v_cmp_gt_f32_e64 s4, 0x3f2aaaab, v30
	v_dual_sub_f32 v31, v60, v31 :: v_dual_sub_f32 v32, v59, v32
	v_dual_add_f32 v25, v25, v33 :: v_dual_add_f32 v34, 1.0, v34
	v_add_f32_e32 v35, 1.0, v35
	v_frexp_exp_i32_f64_e32 v12, v[12:13]
	v_frexp_exp_i32_f64_e32 v13, v[14:15]
	s_delay_alu instid0(VALU_DEP_3) | instskip(SKIP_4) | instid1(VALU_DEP_4)
	v_dual_add_f32 v31, v31, v34 :: v_dual_add_f32 v32, v32, v35
	v_frexp_exp_i32_f64_e32 v14, v[16:17]
	v_frexp_exp_i32_f64_e32 v15, v[18:19]
	v_subrev_co_ci_u32_e64 v12, null, 0, v12, vcc_lo
	v_subrev_co_ci_u32_e64 v13, null, 0, v13, s2
	v_subrev_co_ci_u32_e64 v19, null, 0, v14, s3
	s_delay_alu instid0(VALU_DEP_2) | instskip(SKIP_2) | instid1(VALU_DEP_4)
	v_dual_sub_nc_u32 v17, 0, v12 :: v_dual_sub_nc_u32 v24, 0, v13
	v_cvt_f32_i32_e32 v12, v12
	v_cvt_f32_i32_e32 v14, v13
	;; [unrolled: 1-line block ×3, first 2 shown]
	v_sub_nc_u32_e32 v19, 0, v19
	v_ldexp_f32 v16, v20, v17
	v_ldexp_f32 v18, v22, v17
	v_subrev_co_ci_u32_e64 v23, null, 0, v15, s4
	s_delay_alu instid0(VALU_DEP_4) | instskip(SKIP_2) | instid1(VALU_DEP_4)
	v_ldexp_f32 v17, v26, v19
	v_pk_mul_f32 v[26:27], v[12:13], s[16:17] op_sel_hi:[1,0]
	v_ldexp_f32 v20, v21, v24
	v_cvt_f32_i32_e32 v15, v23
	v_ldexp_f32 v22, v25, v24
	v_cmp_neq_f16_e32 vcc_lo, 0x7c00, v8
	v_pk_fma_f32 v[36:37], v[12:13], s[16:17], v[26:27] op_sel_hi:[1,0,1] neg_lo:[0,0,1] neg_hi:[0,0,1]
	v_cmp_ngt_f16_e64 s2, -1.0, v8
	v_pk_mul_f32 v[24:25], v[14:15], s[16:17] op_sel_hi:[1,0]
	v_cmp_neq_f16_e64 s3, -1.0, v8
	v_cmp_neq_f16_e64 s4, 0x7c00, v56
	v_pk_fma_f32 v[12:13], v[12:13], s[24:25], v[36:37] op_sel_hi:[1,0,1]
	v_sub_nc_u32_e32 v23, 0, v23
	v_pk_fma_f32 v[38:39], v[14:15], s[16:17], v[24:25] op_sel_hi:[1,0,1] neg_lo:[0,0,1] neg_hi:[0,0,1]
	s_delay_alu instid0(VALU_DEP_2) | instskip(SKIP_2) | instid1(VALU_DEP_4)
	v_ldexp_f32 v21, v28, v23
	v_pk_add_f32 v[28:29], v[16:17], 1.0 op_sel_hi:[1,0]
	v_ldexp_f32 v23, v32, v23
	v_pk_fma_f32 v[14:15], v[14:15], s[24:25], v[38:39] op_sel_hi:[1,0,1]
	s_delay_alu instid0(VALU_DEP_4) | instskip(SKIP_2) | instid1(VALU_DEP_3)
	v_pk_add_f32 v[32:33], v[20:21], 1.0 op_sel_hi:[1,0]
	v_pk_add_f32 v[34:35], v[20:21], -1.0 op_sel_hi:[1,0]
	v_pk_add_f32 v[40:41], v[28:29], -1.0 op_sel_hi:[1,0]
	;; [unrolled: 1-line block ×3, first 2 shown]
	s_delay_alu instid0(VALU_DEP_3) | instskip(NEXT) | instid1(VALU_DEP_3)
	v_pk_add_f32 v[46:47], v[34:35], 1.0 op_sel_hi:[1,0]
	v_pk_add_f32 v[36:37], v[16:17], v[40:41] neg_lo:[0,1] neg_hi:[0,1]
	v_pk_add_f32 v[40:41], v[26:27], v[12:13]
	s_delay_alu instid0(VALU_DEP_4) | instskip(NEXT) | instid1(VALU_DEP_4)
	v_pk_add_f32 v[38:39], v[20:21], v[44:45] neg_lo:[0,1] neg_hi:[0,1]
	v_pk_add_f32 v[20:21], v[20:21], v[46:47] neg_lo:[0,1] neg_hi:[0,1]
	s_delay_alu instid0(VALU_DEP_3) | instskip(SKIP_2) | instid1(VALU_DEP_4)
	v_sub_f32_e32 v46, v40, v26
	v_ldexp_f32 v19, v31, v19
	v_pk_add_f32 v[30:31], v[16:17], -1.0 op_sel_hi:[1,0]
	v_pk_add_f32 v[20:21], v[22:23], v[20:21]
	s_delay_alu instid0(VALU_DEP_4) | instskip(NEXT) | instid1(VALU_DEP_4)
	v_sub_f32_e32 v12, v12, v46
	v_pk_add_f32 v[36:37], v[18:19], v[36:37]
	s_delay_alu instid0(VALU_DEP_4) | instskip(NEXT) | instid1(VALU_DEP_4)
	v_pk_add_f32 v[42:43], v[30:31], 1.0 op_sel_hi:[1,0]
	v_pk_add_f32 v[44:45], v[34:35], v[20:21]
	s_delay_alu instid0(VALU_DEP_2) | instskip(SKIP_2) | instid1(VALU_DEP_4)
	v_pk_add_f32 v[16:17], v[16:17], v[42:43] neg_lo:[0,1] neg_hi:[0,1]
	v_pk_add_f32 v[42:43], v[24:25], v[14:15]
	v_sub_f32_e32 v47, v41, v27
	v_pk_add_f32 v[34:35], v[44:45], v[34:35] neg_lo:[0,1] neg_hi:[0,1]
	s_delay_alu instid0(VALU_DEP_4) | instskip(SKIP_3) | instid1(VALU_DEP_4)
	v_pk_add_f32 v[16:17], v[18:19], v[16:17]
	v_pk_add_f32 v[18:19], v[22:23], v[38:39]
	;; [unrolled: 1-line block ×3, first 2 shown]
	v_dual_sub_f32 v25, v43, v25 :: v_dual_sub_f32 v13, v13, v47
	v_pk_add_f32 v[26:27], v[30:31], v[16:17]
	s_delay_alu instid0(VALU_DEP_4) | instskip(NEXT) | instid1(VALU_DEP_4)
	v_pk_add_f32 v[38:39], v[32:33], v[18:19]
	v_rcp_f32_e32 v46, v22
	v_rcp_f32_e32 v47, v23
	v_pk_add_f32 v[28:29], v[22:23], v[28:29] neg_lo:[0,1] neg_hi:[0,1]
	v_pk_add_f32 v[30:31], v[26:27], v[30:31] neg_lo:[0,1] neg_hi:[0,1]
	v_rcp_f32_e32 v48, v38
	v_rcp_f32_e32 v49, v39
	v_pk_add_f32 v[32:33], v[38:39], v[32:33] neg_lo:[0,1] neg_hi:[0,1]
	v_pk_add_f32 v[20:21], v[20:21], v[34:35] neg_lo:[0,1] neg_hi:[0,1]
	;; [unrolled: 1-line block ×3, first 2 shown]
	v_pk_mul_f32 v[30:31], v[26:27], v[46:47]
	v_pk_add_f32 v[28:29], v[36:37], v[28:29] neg_lo:[0,1] neg_hi:[0,1]
	v_pk_add_f32 v[18:19], v[18:19], v[32:33] neg_lo:[0,1] neg_hi:[0,1]
	v_pk_mul_f32 v[32:33], v[44:45], v[48:49]
	s_delay_alu instid0(VALU_DEP_4) | instskip(NEXT) | instid1(VALU_DEP_2)
	v_pk_mul_f32 v[34:35], v[22:23], v[30:31]
	v_pk_mul_f32 v[36:37], v[38:39], v[32:33]
	s_delay_alu instid0(VALU_DEP_2) | instskip(NEXT) | instid1(VALU_DEP_2)
	v_pk_fma_f32 v[50:51], v[30:31], v[22:23], v[34:35] neg_lo:[0,0,1] neg_hi:[0,0,1]
	v_pk_fma_f32 v[52:53], v[32:33], v[38:39], v[36:37] neg_lo:[0,0,1] neg_hi:[0,0,1]
	s_delay_alu instid0(VALU_DEP_2) | instskip(NEXT) | instid1(VALU_DEP_2)
	v_pk_fma_f32 v[50:51], v[30:31], v[28:29], v[50:51]
	v_pk_fma_f32 v[52:53], v[32:33], v[18:19], v[52:53]
	s_delay_alu instid0(VALU_DEP_2) | instskip(NEXT) | instid1(VALU_DEP_1)
	v_pk_add_f32 v[54:55], v[34:35], v[50:51]
	v_pk_add_f32 v[34:35], v[54:55], v[34:35] neg_lo:[0,1] neg_hi:[0,1]
	s_delay_alu instid0(VALU_DEP_1) | instskip(NEXT) | instid1(VALU_DEP_4)
	v_pk_add_f32 v[34:35], v[34:35], v[50:51] neg_lo:[0,1] neg_hi:[0,1]
	v_pk_add_f32 v[50:51], v[36:37], v[52:53]
	s_delay_alu instid0(VALU_DEP_1) | instskip(NEXT) | instid1(VALU_DEP_1)
	v_pk_add_f32 v[36:37], v[50:51], v[36:37] neg_lo:[0,1] neg_hi:[0,1]
	v_pk_add_f32 v[36:37], v[36:37], v[52:53] neg_lo:[0,1] neg_hi:[0,1]
	;; [unrolled: 1-line block ×3, first 2 shown]
	s_delay_alu instid0(VALU_DEP_1) | instskip(NEXT) | instid1(VALU_DEP_1)
	v_pk_add_f32 v[26:27], v[26:27], v[52:53] neg_lo:[0,1] neg_hi:[0,1]
	v_pk_add_f32 v[26:27], v[26:27], v[54:55] neg_lo:[0,1] neg_hi:[0,1]
	;; [unrolled: 1-line block ×3, first 2 shown]
	s_delay_alu instid0(VALU_DEP_2) | instskip(NEXT) | instid1(VALU_DEP_2)
	v_pk_add_f32 v[16:17], v[16:17], v[26:27]
	v_pk_add_f32 v[44:45], v[44:45], v[54:55] neg_lo:[0,1] neg_hi:[0,1]
	s_delay_alu instid0(VALU_DEP_2) | instskip(NEXT) | instid1(VALU_DEP_2)
	v_pk_add_f32 v[16:17], v[34:35], v[16:17]
	v_pk_add_f32 v[44:45], v[44:45], v[50:51] neg_lo:[0,1] neg_hi:[0,1]
	v_dual_sub_f32 v50, v42, v24 :: v_dual_sub_f32 v15, v15, v25
	s_delay_alu instid0(VALU_DEP_3) | instskip(NEXT) | instid1(VALU_DEP_3)
	v_pk_add_f32 v[34:35], v[52:53], v[16:17]
	v_pk_add_f32 v[20:21], v[20:21], v[44:45]
	s_delay_alu instid0(VALU_DEP_3) | instskip(NEXT) | instid1(VALU_DEP_3)
	v_sub_f32_e32 v26, v14, v50
	v_pk_add_f32 v[44:45], v[52:53], v[34:35] neg_lo:[0,1] neg_hi:[0,1]
	s_delay_alu instid0(VALU_DEP_3) | instskip(NEXT) | instid1(VALU_DEP_2)
	v_pk_add_f32 v[20:21], v[36:37], v[20:21]
	v_pk_add_f32 v[16:17], v[16:17], v[44:45]
	s_delay_alu instid0(VALU_DEP_2) | instskip(NEXT) | instid1(VALU_DEP_1)
	v_pk_add_f32 v[36:37], v[54:55], v[20:21]
	v_pk_add_f32 v[52:53], v[54:55], v[36:37] neg_lo:[0,1] neg_hi:[0,1]
	v_pk_mul_f32 v[54:55], v[46:47], v[34:35]
	v_pk_mul_f32 v[44:45], v[48:49], v[36:37]
	s_delay_alu instid0(VALU_DEP_3) | instskip(NEXT) | instid1(VALU_DEP_3)
	v_pk_add_f32 v[20:21], v[20:21], v[52:53]
	v_pk_mul_f32 v[52:53], v[22:23], v[54:55]
	s_delay_alu instid0(VALU_DEP_1) | instskip(NEXT) | instid1(VALU_DEP_1)
	v_pk_fma_f32 v[22:23], v[54:55], v[22:23], v[52:53] neg_lo:[0,0,1] neg_hi:[0,0,1]
	v_pk_fma_f32 v[22:23], v[54:55], v[28:29], v[22:23]
	v_pk_add_f32 v[28:29], v[30:31], v[54:55]
	s_delay_alu instid0(VALU_DEP_1) | instskip(NEXT) | instid1(VALU_DEP_1)
	v_pk_add_f32 v[30:31], v[28:29], v[30:31] neg_lo:[0,1] neg_hi:[0,1]
	v_pk_add_f32 v[30:31], v[54:55], v[30:31] neg_lo:[0,1] neg_hi:[0,1]
	v_pk_mul_f32 v[54:55], v[38:39], v[44:45]
	s_delay_alu instid0(VALU_DEP_1) | instskip(NEXT) | instid1(VALU_DEP_1)
	v_pk_fma_f32 v[38:39], v[44:45], v[38:39], v[54:55] neg_lo:[0,0,1] neg_hi:[0,0,1]
	v_pk_fma_f32 v[18:19], v[44:45], v[18:19], v[38:39]
	v_pk_add_f32 v[38:39], v[32:33], v[44:45]
	s_delay_alu instid0(VALU_DEP_1) | instskip(NEXT) | instid1(VALU_DEP_1)
	v_pk_add_f32 v[32:33], v[38:39], v[32:33] neg_lo:[0,1] neg_hi:[0,1]
	v_pk_add_f32 v[32:33], v[44:45], v[32:33] neg_lo:[0,1] neg_hi:[0,1]
	v_pk_add_f32 v[44:45], v[52:53], v[22:23]
	s_delay_alu instid0(VALU_DEP_1) | instskip(NEXT) | instid1(VALU_DEP_1)
	v_pk_add_f32 v[52:53], v[44:45], v[52:53] neg_lo:[0,1] neg_hi:[0,1]
	v_pk_add_f32 v[22:23], v[52:53], v[22:23] neg_lo:[0,1] neg_hi:[0,1]
	;; [unrolled: 4-line block ×3, first 2 shown]
	v_pk_add_f32 v[54:55], v[34:35], v[44:45] neg_lo:[0,1] neg_hi:[0,1]
	s_delay_alu instid0(VALU_DEP_1) | instskip(NEXT) | instid1(VALU_DEP_1)
	v_pk_add_f32 v[34:35], v[34:35], v[54:55] neg_lo:[0,1] neg_hi:[0,1]
	v_pk_add_f32 v[34:35], v[34:35], v[44:45] neg_lo:[0,1] neg_hi:[0,1]
	;; [unrolled: 1-line block ×3, first 2 shown]
	s_delay_alu instid0(VALU_DEP_2) | instskip(NEXT) | instid1(VALU_DEP_2)
	v_pk_add_f32 v[16:17], v[16:17], v[34:35]
	v_pk_add_f32 v[36:37], v[36:37], v[44:45] neg_lo:[0,1] neg_hi:[0,1]
	s_delay_alu instid0(VALU_DEP_2) | instskip(NEXT) | instid1(VALU_DEP_2)
	v_pk_add_f32 v[16:17], v[22:23], v[16:17]
	v_pk_add_f32 v[36:37], v[36:37], v[52:53] neg_lo:[0,1] neg_hi:[0,1]
	s_delay_alu instid0(VALU_DEP_2) | instskip(NEXT) | instid1(VALU_DEP_2)
	v_pk_add_f32 v[16:17], v[54:55], v[16:17]
	v_pk_add_f32 v[20:21], v[20:21], v[36:37]
	s_delay_alu instid0(VALU_DEP_2) | instskip(NEXT) | instid1(VALU_DEP_2)
	v_pk_mul_f32 v[16:17], v[46:47], v[16:17]
	v_pk_add_f32 v[18:19], v[18:19], v[20:21]
	s_delay_alu instid0(VALU_DEP_2) | instskip(NEXT) | instid1(VALU_DEP_2)
	v_pk_add_f32 v[16:17], v[30:31], v[16:17]
	v_pk_add_f32 v[18:19], v[44:45], v[18:19]
	s_delay_alu instid0(VALU_DEP_2) | instskip(NEXT) | instid1(VALU_DEP_2)
	v_pk_add_f32 v[20:21], v[28:29], v[16:17]
	v_pk_mul_f32 v[18:19], v[48:49], v[18:19]
	s_delay_alu instid0(VALU_DEP_2) | instskip(NEXT) | instid1(VALU_DEP_2)
	v_pk_add_f32 v[28:29], v[20:21], v[28:29] neg_lo:[0,1] neg_hi:[0,1]
	v_pk_add_f32 v[18:19], v[32:33], v[18:19]
	v_pk_mul_f32 v[32:33], v[20:21], v[20:21]
	v_ldexp_f32 v30, v20, 1
	v_ldexp_f32 v31, v21, 1
	v_pk_add_f32 v[16:17], v[16:17], v[28:29] neg_lo:[0,1] neg_hi:[0,1]
	v_pk_add_f32 v[22:23], v[38:39], v[18:19]
	v_pk_fma_f32 v[44:45], v[32:33], s[20:21], s[18:19] op_sel_hi:[1,0,0]
	v_pk_mul_f32 v[20:21], v[20:21], v[32:33]
	s_delay_alu instid0(VALU_DEP_4) | instskip(NEXT) | instid1(VALU_DEP_4)
	v_ldexp_f32 v16, v16, 1
	v_pk_mul_f32 v[36:37], v[22:23], v[22:23]
	v_ldexp_f32 v34, v22, 1
	v_ldexp_f32 v35, v23, 1
	v_pk_add_f32 v[38:39], v[22:23], v[38:39] neg_lo:[0,1] neg_hi:[0,1]
	v_pk_fma_f32 v[32:33], v[32:33], v[44:45], s[22:23] op_sel_hi:[1,1,0]
	v_pk_fma_f32 v[28:29], v[36:37], s[20:21], s[18:19] op_sel_hi:[1,0,0]
	v_pk_mul_f32 v[22:23], v[22:23], v[36:37]
	v_ldexp_f32 v17, v17, 1
	v_pk_add_f32 v[18:19], v[18:19], v[38:39] neg_lo:[0,1] neg_hi:[0,1]
	v_pk_mul_f32 v[20:21], v[20:21], v[32:33]
	v_pk_fma_f32 v[28:29], v[36:37], v[28:29], s[22:23] op_sel_hi:[1,1,0]
	s_delay_alu instid0(VALU_DEP_3) | instskip(NEXT) | instid1(VALU_DEP_3)
	v_ldexp_f32 v51, v19, 1
	v_pk_add_f32 v[32:33], v[30:31], v[20:21]
	s_delay_alu instid0(VALU_DEP_3) | instskip(SKIP_2) | instid1(VALU_DEP_4)
	v_pk_mul_f32 v[22:23], v[22:23], v[28:29]
	v_mov_b32_e32 v50, v14
	v_ldexp_f32 v18, v18, 1
	v_dual_mov_b32 v19, v51 :: v_dual_sub_f32 v30, v32, v30
	s_delay_alu instid0(VALU_DEP_4) | instskip(NEXT) | instid1(VALU_DEP_1)
	v_pk_add_f32 v[28:29], v[34:35], v[22:23]
	v_dual_sub_f32 v27, v33, v31 :: v_dual_sub_f32 v31, v28, v34
	s_delay_alu instid0(VALU_DEP_2) | instskip(NEXT) | instid1(VALU_DEP_2)
	v_sub_f32_e32 v14, v29, v35
	v_dual_sub_f32 v21, v21, v27 :: v_dual_sub_f32 v20, v20, v30
	s_delay_alu instid0(VALU_DEP_2) | instskip(NEXT) | instid1(VALU_DEP_2)
	v_dual_sub_f32 v22, v22, v31 :: v_dual_sub_f32 v25, v23, v14
	v_pk_add_f32 v[16:17], v[16:17], v[20:21]
	s_delay_alu instid0(VALU_DEP_2) | instskip(SKIP_1) | instid1(VALU_DEP_3)
	v_mov_b32_e32 v23, v25
	v_pk_add_f32 v[20:21], v[50:51], v[24:25]
	v_pk_add_f32 v[30:31], v[32:33], v[16:17]
	s_delay_alu instid0(VALU_DEP_3) | instskip(NEXT) | instid1(VALU_DEP_2)
	v_pk_add_f32 v[24:25], v[18:19], v[22:23]
	v_dual_mov_b32 v23, v29 :: v_dual_sub_f32 v14, v30, v32
	s_delay_alu instid0(VALU_DEP_3) | instskip(NEXT) | instid1(VALU_DEP_3)
	v_pk_add_f32 v[36:37], v[40:41], v[30:31]
	v_dual_sub_f32 v27, v31, v33 :: v_dual_mov_b32 v19, v25
	s_delay_alu instid0(VALU_DEP_4) | instskip(NEXT) | instid1(VALU_DEP_3)
	v_pk_add_f32 v[34:35], v[28:29], v[24:25]
	v_dual_sub_f32 v32, v36, v40 :: v_dual_sub_f32 v33, v37, v41
	s_delay_alu instid0(VALU_DEP_3) | instskip(NEXT) | instid1(VALU_DEP_3)
	v_pk_add_f32 v[18:19], v[22:23], v[18:19]
	v_pk_add_f32 v[22:23], v[42:43], v[34:35]
	v_dual_sub_f32 v38, v34, v28 :: v_dual_sub_f32 v35, v35, v29
	v_dual_sub_f32 v17, v17, v27 :: v_dual_sub_f32 v16, v16, v14
	s_delay_alu instid0(VALU_DEP_3) | instskip(NEXT) | instid1(VALU_DEP_4)
	v_dual_sub_f32 v29, v31, v33 :: v_dual_sub_f32 v27, v22, v42
	v_dual_sub_f32 v39, v23, v43 :: v_dual_sub_f32 v28, v30, v32
	;; [unrolled: 1-line block ×5, first 2 shown]
	s_delay_alu instid0(VALU_DEP_3) | instskip(SKIP_2) | instid1(VALU_DEP_2)
	v_sub_f32_e32 v30, v40, v30
	v_pk_add_f32 v[24:25], v[12:13], v[16:17]
	v_sub_f32_e32 v14, v34, v27
	v_dual_sub_f32 v32, v23, v39 :: v_dual_sub_f32 v34, v25, v13
	s_delay_alu instid0(VALU_DEP_3) | instskip(SKIP_1) | instid1(VALU_DEP_3)
	v_dual_sub_f32 v31, v41, v31 :: v_dual_sub_f32 v33, v24, v12
	v_sub_f32_e32 v27, v22, v27
	v_dual_sub_f32 v19, v19, v39 :: v_dual_sub_f32 v38, v25, v34
	s_delay_alu instid0(VALU_DEP_3) | instskip(NEXT) | instid1(VALU_DEP_3)
	v_dual_sub_f32 v17, v17, v34 :: v_dual_sub_f32 v16, v16, v33
	v_dual_sub_f32 v20, v20, v27 :: v_dual_sub_f32 v27, v43, v32
	v_pk_add_f32 v[28:29], v[28:29], v[30:31]
	s_delay_alu instid0(VALU_DEP_4) | instskip(NEXT) | instid1(VALU_DEP_3)
	v_dual_sub_f32 v32, v24, v33 :: v_dual_sub_f32 v13, v13, v38
	v_pk_add_f32 v[30:31], v[18:19], v[26:27]
	v_dual_mov_b32 v19, v21 :: v_dual_mov_b32 v27, v15
	s_delay_alu instid0(VALU_DEP_4) | instskip(SKIP_1) | instid1(VALU_DEP_3)
	v_pk_add_f32 v[24:25], v[28:29], v[24:25]
	v_pk_add_f32 v[20:21], v[14:15], v[20:21]
	;; [unrolled: 1-line block ×3, first 2 shown]
	v_sub_f32_e32 v12, v12, v32
	s_delay_alu instid0(VALU_DEP_4) | instskip(NEXT) | instid1(VALU_DEP_4)
	v_pk_add_f32 v[32:33], v[36:37], v[24:25]
	v_pk_add_f32 v[28:29], v[20:21], v[30:31]
	s_delay_alu instid0(VALU_DEP_4) | instskip(NEXT) | instid1(VALU_DEP_3)
	v_dual_sub_f32 v14, v18, v26 :: v_dual_sub_f32 v18, v19, v15
	v_dual_sub_f32 v20, v32, v36 :: v_dual_sub_f32 v27, v33, v37
	v_pk_add_f32 v[12:13], v[16:17], v[12:13]
	s_delay_alu instid0(VALU_DEP_4) | instskip(NEXT) | instid1(VALU_DEP_4)
	v_pk_add_f32 v[16:17], v[22:23], v[28:29]
	v_sub_f32_e32 v30, v30, v14
	v_dual_sub_f32 v31, v21, v18 :: v_dual_sub_f32 v19, v35, v18
	v_dual_sub_f32 v18, v42, v14 :: v_dual_sub_f32 v21, v25, v27
	s_delay_alu instid0(VALU_DEP_4) | instskip(NEXT) | instid1(VALU_DEP_3)
	v_dual_sub_f32 v20, v24, v20 :: v_dual_sub_f32 v23, v17, v23
	v_dual_sub_f32 v22, v16, v22 :: v_dual_sub_f32 v15, v15, v31
	v_sub_f32_e32 v14, v26, v30
	s_delay_alu instid0(VALU_DEP_3) | instskip(NEXT) | instid1(VALU_DEP_3)
	v_pk_add_f32 v[12:13], v[12:13], v[20:21]
	v_dual_sub_f32 v21, v29, v23 :: v_dual_sub_f32 v20, v28, v22
	s_delay_alu instid0(VALU_DEP_3) | instskip(NEXT) | instid1(VALU_DEP_3)
	v_pk_add_f32 v[14:15], v[18:19], v[14:15]
	v_pk_add_f32 v[12:13], v[32:33], v[12:13]
	s_delay_alu instid0(VALU_DEP_2) | instskip(NEXT) | instid1(VALU_DEP_2)
	v_pk_add_f32 v[14:15], v[14:15], v[20:21]
	v_cvt_pk_f16_f32 v18, v12, v13
	s_delay_alu instid0(VALU_DEP_2) | instskip(NEXT) | instid1(VALU_DEP_2)
	v_pk_add_f32 v[12:13], v[16:17], v[14:15]
	v_dual_cndmask_b32 v14, 0x7c00, v18 :: v_dual_lshrrev_b32 v15, 16, v18
	v_cmp_neq_f16_e32 vcc_lo, 0x7c00, v57
	s_delay_alu instid0(VALU_DEP_3) | instskip(NEXT) | instid1(VALU_DEP_3)
	v_cvt_pk_f16_f32 v12, v12, v13
	v_cndmask_b32_e64 v13, 0x7e00, v14, s2
	v_cmp_ngt_f16_e64 s2, -1.0, v57
	v_cndmask_b32_e32 v14, 0x7c00, v15, vcc_lo
	v_cmp_neq_f16_e32 vcc_lo, 0x7c00, v9
	s_delay_alu instid0(VALU_DEP_4)
	v_cndmask_b32_e64 v13, 0xfc00, v13, s3
	v_cmp_gt_f32_e64 s3, 0x33800000, |v1|
	v_dual_cndmask_b32 v12, 0x7c00, v12 :: v_dual_lshrrev_b32 v1, 16, v12
	v_cmp_ngt_f16_e32 vcc_lo, -1.0, v9
	v_cndmask_b32_e64 v14, 0x7e00, v14, s2
	v_cmp_neq_f16_e64 s2, -1.0, v57
	s_delay_alu instid0(VALU_DEP_4) | instskip(SKIP_2) | instid1(VALU_DEP_4)
	v_cndmask_b32_e64 v1, 0x7c00, v1, s4
	v_cndmask_b32_e32 v12, 0x7e00, v12, vcc_lo
	v_cmp_ngt_f16_e32 vcc_lo, -1.0, v56
	v_cndmask_b32_e64 v14, 0xfc00, v14, s2
	v_cmp_gt_f32_e64 s2, 0x33800000, |v60|
	v_cndmask_b32_e64 v13, v13, v8, s3
	v_cndmask_b32_e32 v1, 0x7e00, v1, vcc_lo
	v_cmp_neq_f16_e32 vcc_lo, -1.0, v9
	s_wait_xcnt 0x0
	v_cndmask_b32_e32 v8, 0xfc00, v12, vcc_lo
	v_cmp_neq_f16_e32 vcc_lo, -1.0, v56
	v_cndmask_b32_e64 v12, v14, v57, s2
	v_cndmask_b32_e32 v1, 0xfc00, v1, vcc_lo
	v_cmp_gt_f32_e64 vcc_lo, 0x33800000, |v58|
	v_cndmask_b32_e32 v14, v8, v9, vcc_lo
	v_cmp_gt_f32_e64 vcc_lo, 0x33800000, |v59|
	v_add_nc_u64_e32 v[8:9], s[10:11], v[4:5]
	v_add_nc_u64_e32 v[4:5], s[26:27], v[4:5]
	v_cndmask_b32_e32 v1, v1, v56, vcc_lo
	v_cmp_ge_i64_e32 vcc_lo, v[10:11], v[2:3]
	v_perm_b32 v10, v12, v13, 0x5040100
	s_delay_alu instid0(VALU_DEP_3)
	v_perm_b32 v11, v1, v14, 0x5040100
	s_or_b32 s17, vcc_lo, s17
	global_store_b64 v[8:9], v[10:11], off
	s_wait_xcnt 0x0
	s_and_not1_b32 exec_lo, exec_lo, s17
	s_cbranch_execnz .LBB205_3
.LBB205_4:
	s_or_b32 exec_lo, exec_lo, s5
	s_mov_b32 s2, 0
.LBB205_5:
	s_delay_alu instid0(SALU_CYCLE_1)
	s_and_not1_b32 vcc_lo, exec_lo, s2
	s_cbranch_vccnz .LBB205_25
; %bb.6:
	v_cmp_lt_i64_e64 s2, s[12:13], 1
	s_and_b32 vcc_lo, exec_lo, s2
	s_cbranch_vccnz .LBB205_25
; %bb.7:
	s_load_b32 s0, s[0:1], 0xc5c
	v_min_i64 v[2:3], 0x10000, s[12:13]
	v_min_u64 v[4:5], 0x10000, s[12:13]
	v_dual_mov_b32 v1, 0 :: v_dual_lshlrev_b32 v10, 1, v0
	s_wait_xcnt 0x0
	s_mov_b32 s1, 0
	v_mov_b32_e32 v28, 0x3f317218
	s_mov_b32 s5, s1
	v_dual_mov_b32 v11, v1 :: v_dual_mov_b32 v27, v1
	s_mov_b32 s3, s1
	s_mov_b32 s13, s1
	s_delay_alu instid0(VALU_DEP_1) | instskip(SKIP_2) | instid1(SALU_CYCLE_1)
	v_add_nc_u64_e32 v[6:7], s[8:9], v[10:11]
	s_wait_kmcnt 0x0
	s_and_b32 s0, s0, 0xffff
	v_add_nc_u64_e32 v[8:9], s[0:1], v[0:1]
	v_mad_nc_u64_u32 v[22:23], s0, 6, v[10:11]
	s_lshl_b32 s4, s0, 2
	s_mul_i32 s12, s0, 3
	v_add_nc_u64_e32 v[18:19], s[4:5], v[10:11]
	s_lshl_b32 s2, s0, 1
	v_add_nc_u64_e32 v[10:11], s[10:11], v[10:11]
	v_lshlrev_b32_e32 v26, 1, v8
	v_add_nc_u64_e32 v[12:13], s[12:13], v[0:1]
	v_add_nc_u64_e32 v[14:15], s[2:3], v[0:1]
	s_mov_b32 s3, 0x3e9b6dac
	v_add_nc_u64_e32 v[16:17], s[8:9], v[18:19]
	v_add_nc_u64_e32 v[18:19], s[10:11], v[18:19]
	;; [unrolled: 1-line block ×6, first 2 shown]
	s_lshl_b32 s8, s0, 3
	s_mov_b32 s9, s1
	s_mov_b64 s[10:11], 0
	s_branch .LBB205_9
.LBB205_8:                              ;   in Loop: Header=BB205_9 Depth=1
	s_wait_xcnt 0x0
	s_or_b32 exec_lo, exec_lo, s0
	s_add_nc_u64 s[10:11], s[10:11], s[4:5]
	v_add_nc_u64_e32 v[6:7], s[8:9], v[6:7]
	v_cmp_ge_i64_e32 vcc_lo, s[10:11], v[2:3]
	v_add_nc_u64_e32 v[10:11], s[8:9], v[10:11]
	v_add_nc_u64_e32 v[20:21], s[8:9], v[20:21]
	;; [unrolled: 1-line block ×7, first 2 shown]
	s_cbranch_vccnz .LBB205_25
.LBB205_9:                              ; =>This Inner Loop Header: Depth=1
	s_wait_loadcnt 0x0
	v_add_nc_u64_e32 v[30:31], s[10:11], v[0:1]
	v_mov_b32_e32 v33, 0
	s_delay_alu instid0(VALU_DEP_2)
	v_cmp_lt_u64_e64 s2, v[30:31], v[4:5]
	s_and_saveexec_b32 s0, s2
	s_cbranch_execz .LBB205_11
; %bb.10:                               ;   in Loop: Header=BB205_9 Depth=1
	v_add_nc_u64_e32 v[30:31], s[6:7], v[6:7]
	global_load_u16 v33, v[30:31], off
.LBB205_11:                             ;   in Loop: Header=BB205_9 Depth=1
	s_wait_xcnt 0x0
	s_or_b32 exec_lo, exec_lo, s0
	v_add_nc_u64_e32 v[30:31], s[10:11], v[8:9]
	v_mov_b32_e32 v32, 0
	s_delay_alu instid0(VALU_DEP_2)
	v_cmp_lt_u64_e64 s1, v[30:31], v[4:5]
	v_mov_b32_e32 v31, 0
	s_and_saveexec_b32 s0, s1
	s_cbranch_execz .LBB205_13
; %bb.12:                               ;   in Loop: Header=BB205_9 Depth=1
	v_add_nc_u64_e32 v[34:35], s[6:7], v[24:25]
	global_load_u16 v32, v[34:35], off
.LBB205_13:                             ;   in Loop: Header=BB205_9 Depth=1
	s_wait_xcnt 0x0
	s_or_b32 exec_lo, exec_lo, s0
	v_add_nc_u64_e32 v[34:35], s[10:11], v[14:15]
	s_delay_alu instid0(VALU_DEP_1)
	v_cmp_lt_u64_e64 s0, v[34:35], v[4:5]
	s_and_saveexec_b32 s12, s0
	s_cbranch_execz .LBB205_15
; %bb.14:                               ;   in Loop: Header=BB205_9 Depth=1
	v_add_nc_u64_e32 v[30:31], s[6:7], v[16:17]
	global_load_u16 v31, v[30:31], off
.LBB205_15:                             ;   in Loop: Header=BB205_9 Depth=1
	s_wait_xcnt 0x0
	s_or_b32 exec_lo, exec_lo, s12
	v_add_nc_u64_e32 v[34:35], s[10:11], v[12:13]
	v_mov_b32_e32 v30, 0
	s_delay_alu instid0(VALU_DEP_2)
	v_cmp_lt_u64_e32 vcc_lo, v[34:35], v[4:5]
	s_and_saveexec_b32 s12, vcc_lo
	s_cbranch_execnz .LBB205_20
; %bb.16:                               ;   in Loop: Header=BB205_9 Depth=1
	s_or_b32 exec_lo, exec_lo, s12
	s_and_saveexec_b32 s12, s2
	s_cbranch_execnz .LBB205_21
.LBB205_17:                             ;   in Loop: Header=BB205_9 Depth=1
	s_or_b32 exec_lo, exec_lo, s12
	s_and_saveexec_b32 s2, s1
	s_cbranch_execnz .LBB205_22
.LBB205_18:                             ;   in Loop: Header=BB205_9 Depth=1
	s_or_b32 exec_lo, exec_lo, s2
	s_and_saveexec_b32 s1, s0
	s_cbranch_execnz .LBB205_23
.LBB205_19:                             ;   in Loop: Header=BB205_9 Depth=1
	s_or_b32 exec_lo, exec_lo, s1
	s_and_saveexec_b32 s0, vcc_lo
	s_cbranch_execz .LBB205_8
	s_branch .LBB205_24
.LBB205_20:                             ;   in Loop: Header=BB205_9 Depth=1
	v_add_nc_u64_e32 v[34:35], s[6:7], v[20:21]
	global_load_u16 v30, v[34:35], off
	s_wait_xcnt 0x0
	s_or_b32 exec_lo, exec_lo, s12
	s_and_saveexec_b32 s12, s2
	s_cbranch_execz .LBB205_17
.LBB205_21:                             ;   in Loop: Header=BB205_9 Depth=1
	s_wait_loadcnt 0x0
	v_cvt_f32_f16_e32 v50, v33
	s_delay_alu instid0(VALU_DEP_1) | instskip(NEXT) | instid1(VALU_DEP_1)
	v_add_f32_e32 v29, 1.0, v50
	v_cvt_f64_f32_e32 v[34:35], v29
	s_delay_alu instid0(VALU_DEP_1) | instskip(SKIP_1) | instid1(VALU_DEP_1)
	v_frexp_exp_i32_f64_e32 v34, v[34:35]
	v_frexp_mant_f32_e32 v35, v29
	v_cmp_gt_f32_e64 s2, 0x3f2aaaab, v35
	s_delay_alu instid0(VALU_DEP_1) | instskip(SKIP_1) | instid1(VALU_DEP_2)
	v_subrev_co_ci_u32_e64 v40, null, 0, v34, s2
	v_cmp_neq_f16_e64 s2, 0x7c00, v33
	v_dual_add_f32 v34, -1.0, v29 :: v_dual_sub_nc_u32 v35, 0, v40
	s_delay_alu instid0(VALU_DEP_1) | instskip(NEXT) | instid1(VALU_DEP_2)
	v_sub_f32_e32 v36, v34, v29
	v_ldexp_f32 v29, v29, v35
	s_delay_alu instid0(VALU_DEP_1) | instskip(SKIP_1) | instid1(VALU_DEP_1)
	v_dual_add_f32 v37, 1.0, v29 :: v_dual_add_f32 v36, 1.0, v36
	v_dual_sub_f32 v34, v50, v34 :: v_dual_add_f32 v39, -1.0, v29
	v_dual_add_f32 v34, v34, v36 :: v_dual_add_f32 v36, -1.0, v37
	s_delay_alu instid0(VALU_DEP_1) | instskip(NEXT) | instid1(VALU_DEP_2)
	v_ldexp_f32 v34, v34, v35
	v_dual_sub_f32 v35, v29, v36 :: v_dual_add_f32 v36, 1.0, v39
	s_delay_alu instid0(VALU_DEP_1) | instskip(NEXT) | instid1(VALU_DEP_1)
	v_dual_add_f32 v38, v34, v35 :: v_dual_sub_f32 v29, v29, v36
	v_dual_add_f32 v41, v37, v38 :: v_dual_add_f32 v29, v34, v29
	s_delay_alu instid0(VALU_DEP_1) | instskip(NEXT) | instid1(VALU_DEP_1)
	v_rcp_f32_e32 v42, v41
	v_add_f32_e32 v35, v39, v29
	s_delay_alu instid0(TRANS32_DEP_1) | instid1(VALU_DEP_1)
	v_dual_sub_f32 v34, v41, v37 :: v_dual_mul_f32 v43, v35, v42
	s_delay_alu instid0(VALU_DEP_1) | instskip(SKIP_1) | instid1(VALU_DEP_2)
	v_dual_mul_f32 v36, v41, v43 :: v_dual_sub_f32 v44, v38, v34
	v_sub_f32_e32 v45, v35, v39
	v_fma_f32 v38, v43, v41, -v36
	s_delay_alu instid0(VALU_DEP_1) | instskip(NEXT) | instid1(VALU_DEP_1)
	v_dual_sub_f32 v29, v29, v45 :: v_dual_fmac_f32 v38, v43, v44
	v_add_f32_e32 v34, v36, v38
	s_delay_alu instid0(VALU_DEP_1) | instskip(NEXT) | instid1(VALU_DEP_1)
	v_dual_sub_f32 v37, v35, v34 :: v_dual_mov_b32 v39, v34
	v_pk_add_f32 v[34:35], v[34:35], v[36:37] neg_lo:[0,1] neg_hi:[0,1]
	s_delay_alu instid0(VALU_DEP_1) | instskip(NEXT) | instid1(VALU_DEP_1)
	v_pk_add_f32 v[34:35], v[34:35], v[38:39] neg_lo:[0,1] neg_hi:[0,1]
	v_add_f32_e32 v29, v29, v35
	s_delay_alu instid0(VALU_DEP_1) | instskip(NEXT) | instid1(VALU_DEP_1)
	v_add_f32_e32 v29, v34, v29
	v_add_f32_e32 v35, v37, v29
	s_delay_alu instid0(VALU_DEP_1) | instskip(NEXT) | instid1(VALU_DEP_1)
	v_mul_f32_e32 v45, v42, v35
	v_mul_f32_e32 v38, v41, v45
	s_delay_alu instid0(VALU_DEP_1) | instskip(NEXT) | instid1(VALU_DEP_1)
	v_fma_f32 v36, v45, v41, -v38
	v_fmac_f32_e32 v36, v45, v44
	s_delay_alu instid0(VALU_DEP_1) | instskip(NEXT) | instid1(VALU_DEP_1)
	v_dual_add_f32 v34, v38, v36 :: v_dual_sub_f32 v41, v37, v35
	v_dual_sub_f32 v39, v35, v34 :: v_dual_mov_b32 v37, v34
	s_delay_alu instid0(VALU_DEP_2) | instskip(SKIP_1) | instid1(VALU_DEP_3)
	v_add_f32_e32 v29, v29, v41
	v_add_f32_e32 v41, v43, v45
	v_pk_add_f32 v[34:35], v[34:35], v[38:39] neg_lo:[0,1] neg_hi:[0,1]
	s_delay_alu instid0(VALU_DEP_1) | instskip(NEXT) | instid1(VALU_DEP_1)
	v_pk_add_f32 v[34:35], v[34:35], v[36:37] neg_lo:[0,1] neg_hi:[0,1]
	v_add_f32_e32 v29, v29, v35
	s_delay_alu instid0(VALU_DEP_1) | instskip(NEXT) | instid1(VALU_DEP_1)
	v_dual_add_f32 v29, v34, v29 :: v_dual_sub_f32 v34, v41, v43
	v_dual_add_f32 v29, v39, v29 :: v_dual_sub_f32 v34, v45, v34
	s_delay_alu instid0(VALU_DEP_1) | instskip(NEXT) | instid1(VALU_DEP_1)
	v_mul_f32_e32 v29, v42, v29
	v_add_f32_e32 v42, v34, v29
	v_cvt_f32_i32_e32 v34, v40
	s_delay_alu instid0(VALU_DEP_2) | instskip(NEXT) | instid1(VALU_DEP_1)
	v_add_f32_e32 v43, v41, v42
	v_mul_f32_e32 v29, v43, v43
	s_delay_alu instid0(VALU_DEP_1) | instskip(SKIP_1) | instid1(VALU_DEP_2)
	v_dual_fmaak_f32 v36, s3, v29, 0x3ecc95a3 :: v_dual_mul_f32 v35, v43, v29
	v_ldexp_f32 v39, v43, 1
	v_fmaak_f32 v29, v29, v36, 0x3f2aaada
	s_delay_alu instid0(VALU_DEP_1) | instskip(NEXT) | instid1(VALU_DEP_1)
	v_pk_mul_f32 v[36:37], v[34:35], v[28:29]
	v_fma_f32 v38, 0x3f317218, v34, -v36
	v_mov_b32_e32 v40, v36
	s_delay_alu instid0(VALU_DEP_2) | instskip(NEXT) | instid1(VALU_DEP_1)
	v_fmac_f32_e32 v38, 0xb102e308, v34
	v_pk_add_f32 v[34:35], v[36:37], v[38:39]
	s_delay_alu instid0(VALU_DEP_1) | instskip(SKIP_1) | instid1(VALU_DEP_2)
	v_sub_f32_e32 v39, v35, v39
	v_sub_f32_e32 v29, v43, v41
	v_dual_mov_b32 v48, v35 :: v_dual_sub_f32 v39, v37, v39
	s_delay_alu instid0(VALU_DEP_2) | instskip(SKIP_1) | instid1(VALU_DEP_2)
	v_sub_f32_e32 v29, v42, v29
	v_pk_add_f32 v[36:37], v[34:35], v[36:37] neg_lo:[0,1] neg_hi:[0,1]
	v_ldexp_f32 v29, v29, 1
	s_delay_alu instid0(VALU_DEP_1) | instskip(NEXT) | instid1(VALU_DEP_1)
	v_dual_add_f32 v41, v29, v39 :: v_dual_mov_b32 v39, v34
	v_pk_add_f32 v[42:43], v[34:35], v[40:41]
	s_delay_alu instid0(VALU_DEP_1) | instskip(NEXT) | instid1(VALU_DEP_1)
	v_mov_b32_e32 v37, v43
	v_pk_add_f32 v[44:45], v[38:39], v[36:37]
	v_pk_add_f32 v[36:37], v[38:39], v[36:37] neg_lo:[0,1] neg_hi:[0,1]
	s_delay_alu instid0(VALU_DEP_2) | instskip(NEXT) | instid1(VALU_DEP_1)
	v_dual_mov_b32 v40, v45 :: v_dual_mov_b32 v37, v45
	v_pk_add_f32 v[46:47], v[40:41], v[34:35] neg_lo:[0,1] neg_hi:[0,1]
	v_dual_mov_b32 v44, v43 :: v_dual_mov_b32 v35, v34
	s_delay_alu instid0(VALU_DEP_2) | instskip(SKIP_1) | instid1(VALU_DEP_2)
	v_dual_mov_b32 v34, v41 :: v_dual_mov_b32 v49, v46
	v_mov_b32_e32 v29, v46
	v_pk_add_f32 v[46:47], v[44:45], v[48:49] neg_lo:[0,1] neg_hi:[0,1]
	s_delay_alu instid0(VALU_DEP_2) | instskip(SKIP_1) | instid1(VALU_DEP_3)
	v_pk_add_f32 v[38:39], v[42:43], v[28:29] neg_lo:[0,1] neg_hi:[0,1]
	v_mov_b32_e32 v38, v36
	v_pk_add_f32 v[34:35], v[34:35], v[46:47] neg_lo:[0,1] neg_hi:[0,1]
	s_delay_alu instid0(VALU_DEP_1) | instskip(NEXT) | instid1(VALU_DEP_1)
	v_pk_add_f32 v[38:39], v[38:39], v[34:35]
	v_mov_b32_e32 v42, v39
	s_delay_alu instid0(VALU_DEP_1) | instskip(NEXT) | instid1(VALU_DEP_1)
	v_pk_add_f32 v[42:43], v[38:39], v[42:43]
	v_pk_add_f32 v[40:41], v[40:41], v[42:43]
	s_delay_alu instid0(VALU_DEP_1) | instskip(NEXT) | instid1(VALU_DEP_1)
	v_dual_mov_b32 v35, v42 :: v_dual_mov_b32 v39, v40
	v_pk_add_f32 v[44:45], v[38:39], v[36:37] neg_lo:[0,1] neg_hi:[0,1]
	s_delay_alu instid0(VALU_DEP_1) | instskip(NEXT) | instid1(VALU_DEP_2)
	v_sub_f32_e32 v29, v38, v44
	v_pk_add_f32 v[34:35], v[34:35], v[44:45] neg_lo:[0,1] neg_hi:[0,1]
	s_delay_alu instid0(VALU_DEP_2) | instskip(NEXT) | instid1(VALU_DEP_1)
	v_sub_f32_e32 v29, v36, v29
	v_add_f32_e32 v29, v34, v29
	s_delay_alu instid0(VALU_DEP_1) | instskip(SKIP_1) | instid1(VALU_DEP_2)
	v_add_f32_e32 v29, v29, v35
	v_add_nc_u64_e32 v[34:35], s[6:7], v[10:11]
	v_add_f32_e32 v29, v40, v29
	s_delay_alu instid0(VALU_DEP_1) | instskip(NEXT) | instid1(VALU_DEP_1)
	v_cvt_f16_f32_e32 v29, v29
	v_cndmask_b32_e64 v29, 0x7c00, v29, s2
	v_cmp_ngt_f16_e64 s2, -1.0, v33
	s_delay_alu instid0(VALU_DEP_1) | instskip(SKIP_1) | instid1(VALU_DEP_1)
	v_cndmask_b32_e64 v29, 0x7e00, v29, s2
	v_cmp_neq_f16_e64 s2, -1.0, v33
	v_cndmask_b32_e64 v29, 0xfc00, v29, s2
	v_cmp_gt_f32_e64 s2, 0x33800000, |v50|
	s_delay_alu instid0(VALU_DEP_1)
	v_cndmask_b32_e64 v29, v29, v33, s2
	global_store_b16 v[34:35], v29, off
	s_wait_xcnt 0x0
	s_or_b32 exec_lo, exec_lo, s12
	s_and_saveexec_b32 s2, s1
	s_cbranch_execz .LBB205_18
.LBB205_22:                             ;   in Loop: Header=BB205_9 Depth=1
	s_wait_loadcnt 0x0
	v_cvt_f32_f16_e32 v29, v32
	s_delay_alu instid0(VALU_DEP_1) | instskip(NEXT) | instid1(VALU_DEP_1)
	v_add_f32_e32 v33, 1.0, v29
	v_cvt_f64_f32_e32 v[34:35], v33
	s_delay_alu instid0(VALU_DEP_1) | instskip(SKIP_1) | instid1(VALU_DEP_1)
	v_frexp_exp_i32_f64_e32 v34, v[34:35]
	v_frexp_mant_f32_e32 v35, v33
	v_cmp_gt_f32_e64 s1, 0x3f2aaaab, v35
	s_delay_alu instid0(VALU_DEP_1) | instskip(SKIP_1) | instid1(VALU_DEP_2)
	v_subrev_co_ci_u32_e64 v34, null, 0, v34, s1
	v_cmp_neq_f16_e64 s1, 0x7c00, v32
	v_dual_add_f32 v35, -1.0, v33 :: v_dual_sub_nc_u32 v36, 0, v34
	v_cvt_f32_i32_e32 v34, v34
	s_delay_alu instid0(VALU_DEP_2) | instskip(NEXT) | instid1(VALU_DEP_3)
	v_sub_f32_e32 v37, v35, v33
	v_ldexp_f32 v33, v33, v36
	s_delay_alu instid0(VALU_DEP_1) | instskip(NEXT) | instid1(VALU_DEP_3)
	v_dual_add_f32 v38, 1.0, v33 :: v_dual_sub_f32 v35, v29, v35
	v_add_f32_e32 v37, 1.0, v37
	s_delay_alu instid0(VALU_DEP_1) | instskip(NEXT) | instid1(VALU_DEP_1)
	v_dual_add_f32 v35, v35, v37 :: v_dual_add_f32 v37, -1.0, v38
	v_ldexp_f32 v35, v35, v36
	s_delay_alu instid0(VALU_DEP_2) | instskip(NEXT) | instid1(VALU_DEP_1)
	v_sub_f32_e32 v36, v33, v37
	v_dual_add_f32 v36, v35, v36 :: v_dual_add_f32 v39, -1.0, v33
	s_delay_alu instid0(VALU_DEP_1) | instskip(NEXT) | instid1(VALU_DEP_1)
	v_add_f32_e32 v37, 1.0, v39
	v_dual_sub_f32 v33, v33, v37 :: v_dual_add_f32 v37, v38, v36
	s_delay_alu instid0(VALU_DEP_1) | instskip(SKIP_1) | instid1(VALU_DEP_1)
	v_dual_add_f32 v33, v35, v33 :: v_dual_sub_f32 v38, v37, v38
	v_rcp_f32_e32 v35, v37
	v_dual_add_f32 v40, v39, v33 :: v_dual_sub_f32 v36, v36, v38
	s_delay_alu instid0(TRANS32_DEP_1) | instid1(VALU_DEP_1)
	v_mul_f32_e32 v41, v40, v35
	s_delay_alu instid0(VALU_DEP_1) | instskip(NEXT) | instid1(VALU_DEP_1)
	v_dual_sub_f32 v39, v40, v39 :: v_dual_mul_f32 v42, v37, v41
	v_fma_f32 v38, v41, v37, -v42
	s_delay_alu instid0(VALU_DEP_1) | instskip(NEXT) | instid1(VALU_DEP_1)
	v_fmac_f32_e32 v38, v41, v36
	v_dual_sub_f32 v33, v33, v39 :: v_dual_add_f32 v43, v42, v38
	s_delay_alu instid0(VALU_DEP_1) | instskip(NEXT) | instid1(VALU_DEP_1)
	v_sub_f32_e32 v44, v40, v43
	v_dual_sub_f32 v40, v40, v44 :: v_dual_sub_f32 v39, v43, v42
	s_delay_alu instid0(VALU_DEP_1) | instskip(NEXT) | instid1(VALU_DEP_1)
	v_dual_sub_f32 v38, v39, v38 :: v_dual_sub_f32 v40, v40, v43
	v_add_f32_e32 v33, v33, v40
	s_delay_alu instid0(VALU_DEP_1) | instskip(NEXT) | instid1(VALU_DEP_1)
	v_add_f32_e32 v33, v38, v33
	v_add_f32_e32 v38, v44, v33
	s_delay_alu instid0(VALU_DEP_1) | instskip(NEXT) | instid1(VALU_DEP_1)
	v_mul_f32_e32 v39, v35, v38
	v_dual_mul_f32 v40, v37, v39 :: v_dual_sub_f32 v43, v44, v38
	s_delay_alu instid0(VALU_DEP_1) | instskip(NEXT) | instid1(VALU_DEP_1)
	v_fma_f32 v37, v39, v37, -v40
	v_fmac_f32_e32 v37, v39, v36
	s_delay_alu instid0(VALU_DEP_1) | instskip(NEXT) | instid1(VALU_DEP_1)
	v_add_f32_e32 v36, v40, v37
	v_sub_f32_e32 v42, v38, v36
	s_delay_alu instid0(VALU_DEP_1) | instskip(SKIP_1) | instid1(VALU_DEP_1)
	v_dual_sub_f32 v38, v38, v42 :: v_dual_add_f32 v33, v33, v43
	v_sub_f32_e32 v40, v36, v40
	v_dual_sub_f32 v36, v38, v36 :: v_dual_sub_f32 v37, v40, v37
	s_delay_alu instid0(VALU_DEP_1) | instskip(NEXT) | instid1(VALU_DEP_1)
	v_add_f32_e32 v33, v33, v36
	v_add_f32_e32 v33, v37, v33
	s_delay_alu instid0(VALU_DEP_1) | instskip(NEXT) | instid1(VALU_DEP_1)
	v_dual_add_f32 v36, v41, v39 :: v_dual_add_f32 v33, v42, v33
	v_sub_f32_e32 v37, v36, v41
	s_delay_alu instid0(VALU_DEP_2) | instskip(NEXT) | instid1(VALU_DEP_2)
	v_mul_f32_e32 v33, v35, v33
	v_sub_f32_e32 v37, v39, v37
	s_delay_alu instid0(VALU_DEP_1) | instskip(NEXT) | instid1(VALU_DEP_1)
	v_add_f32_e32 v33, v37, v33
	v_add_f32_e32 v35, v36, v33
	s_delay_alu instid0(VALU_DEP_1) | instskip(NEXT) | instid1(VALU_DEP_1)
	v_mul_f32_e32 v37, v35, v35
	v_dual_fmaak_f32 v38, s3, v37, 0x3ecc95a3 :: v_dual_mul_f32 v39, v35, v37
	s_delay_alu instid0(VALU_DEP_1) | instskip(SKIP_2) | instid1(VALU_DEP_1)
	v_fmaak_f32 v37, v37, v38, 0x3f2aaada
	v_ldexp_f32 v38, v35, 1
	v_sub_f32_e32 v35, v35, v36
	v_sub_f32_e32 v33, v33, v35
	s_delay_alu instid0(VALU_DEP_1) | instskip(SKIP_1) | instid1(VALU_DEP_1)
	v_ldexp_f32 v33, v33, 1
	v_mul_f32_e32 v37, v39, v37
	v_dual_mul_f32 v39, 0x3f317218, v34 :: v_dual_add_f32 v36, v38, v37
	s_delay_alu instid0(VALU_DEP_1) | instskip(NEXT) | instid1(VALU_DEP_2)
	v_sub_f32_e32 v35, v36, v38
	v_fma_f32 v38, 0x3f317218, v34, -v39
	s_delay_alu instid0(VALU_DEP_1) | instskip(NEXT) | instid1(VALU_DEP_1)
	v_fmac_f32_e32 v38, 0xb102e308, v34
	v_dual_add_f32 v34, v39, v38 :: v_dual_sub_f32 v35, v37, v35
	s_delay_alu instid0(VALU_DEP_1) | instskip(NEXT) | instid1(VALU_DEP_2)
	v_sub_f32_e32 v39, v34, v39
	v_add_f32_e32 v33, v33, v35
	s_delay_alu instid0(VALU_DEP_1) | instskip(NEXT) | instid1(VALU_DEP_1)
	v_dual_sub_f32 v38, v38, v39 :: v_dual_add_f32 v35, v36, v33
	v_dual_add_f32 v37, v34, v35 :: v_dual_sub_f32 v36, v35, v36
	s_delay_alu instid0(VALU_DEP_1) | instskip(NEXT) | instid1(VALU_DEP_1)
	v_sub_f32_e32 v40, v37, v34
	v_sub_f32_e32 v41, v37, v40
	s_delay_alu instid0(VALU_DEP_1) | instskip(NEXT) | instid1(VALU_DEP_1)
	v_dual_sub_f32 v33, v33, v36 :: v_dual_sub_f32 v34, v34, v41
	v_dual_sub_f32 v35, v35, v40 :: v_dual_add_f32 v36, v38, v33
	s_delay_alu instid0(VALU_DEP_1) | instskip(NEXT) | instid1(VALU_DEP_2)
	v_add_f32_e32 v34, v35, v34
	v_sub_f32_e32 v35, v36, v38
	s_delay_alu instid0(VALU_DEP_1) | instskip(NEXT) | instid1(VALU_DEP_1)
	v_dual_add_f32 v34, v36, v34 :: v_dual_sub_f32 v36, v36, v35
	v_dual_sub_f32 v36, v38, v36 :: v_dual_sub_f32 v33, v33, v35
	s_delay_alu instid0(VALU_DEP_2) | instskip(NEXT) | instid1(VALU_DEP_1)
	v_add_f32_e32 v39, v37, v34
	v_dual_add_f32 v33, v33, v36 :: v_dual_sub_f32 v35, v39, v37
	s_delay_alu instid0(VALU_DEP_1) | instskip(NEXT) | instid1(VALU_DEP_1)
	v_sub_f32_e32 v34, v34, v35
	v_add_f32_e32 v33, v33, v34
	v_add_nc_u64_e32 v[34:35], s[6:7], v[26:27]
	s_delay_alu instid0(VALU_DEP_2) | instskip(NEXT) | instid1(VALU_DEP_1)
	v_add_f32_e32 v33, v39, v33
	v_cvt_f16_f32_e32 v33, v33
	s_delay_alu instid0(VALU_DEP_1) | instskip(SKIP_1) | instid1(VALU_DEP_1)
	v_cndmask_b32_e64 v33, 0x7c00, v33, s1
	v_cmp_ngt_f16_e64 s1, -1.0, v32
	v_cndmask_b32_e64 v33, 0x7e00, v33, s1
	v_cmp_neq_f16_e64 s1, -1.0, v32
	s_delay_alu instid0(VALU_DEP_1) | instskip(SKIP_1) | instid1(VALU_DEP_1)
	v_cndmask_b32_e64 v33, 0xfc00, v33, s1
	v_cmp_gt_f32_e64 s1, 0x33800000, |v29|
	v_cndmask_b32_e64 v29, v33, v32, s1
	global_store_b16 v[34:35], v29, off
	s_wait_xcnt 0x0
	s_or_b32 exec_lo, exec_lo, s2
	s_and_saveexec_b32 s1, s0
	s_cbranch_execz .LBB205_19
.LBB205_23:                             ;   in Loop: Header=BB205_9 Depth=1
	s_wait_loadcnt 0x0
	v_cvt_f32_f16_e32 v29, v31
	s_delay_alu instid0(VALU_DEP_1) | instskip(NEXT) | instid1(VALU_DEP_1)
	v_add_f32_e32 v34, 1.0, v29
	v_cvt_f64_f32_e32 v[32:33], v34
	s_delay_alu instid0(VALU_DEP_1) | instskip(SKIP_1) | instid1(VALU_DEP_1)
	v_frexp_exp_i32_f64_e32 v32, v[32:33]
	v_frexp_mant_f32_e32 v33, v34
	v_cmp_gt_f32_e64 s0, 0x3f2aaaab, v33
	s_delay_alu instid0(VALU_DEP_1) | instskip(SKIP_1) | instid1(VALU_DEP_2)
	v_subrev_co_ci_u32_e64 v32, null, 0, v32, s0
	v_cmp_neq_f16_e64 s0, 0x7c00, v31
	v_dual_sub_nc_u32 v35, 0, v32 :: v_dual_add_f32 v33, -1.0, v34
	v_cvt_f32_i32_e32 v32, v32
	s_delay_alu instid0(VALU_DEP_2) | instskip(NEXT) | instid1(VALU_DEP_3)
	v_sub_f32_e32 v36, v33, v34
	v_ldexp_f32 v34, v34, v35
	s_delay_alu instid0(VALU_DEP_1) | instskip(SKIP_1) | instid1(VALU_DEP_1)
	v_dual_add_f32 v37, 1.0, v34 :: v_dual_add_f32 v36, 1.0, v36
	v_dual_sub_f32 v33, v29, v33 :: v_dual_add_f32 v38, -1.0, v34
	v_dual_add_f32 v33, v33, v36 :: v_dual_add_f32 v36, -1.0, v37
	s_delay_alu instid0(VALU_DEP_1) | instskip(NEXT) | instid1(VALU_DEP_2)
	v_ldexp_f32 v33, v33, v35
	v_dual_sub_f32 v35, v34, v36 :: v_dual_add_f32 v36, 1.0, v38
	s_delay_alu instid0(VALU_DEP_1) | instskip(NEXT) | instid1(VALU_DEP_1)
	v_dual_add_f32 v35, v33, v35 :: v_dual_sub_f32 v34, v34, v36
	v_add_f32_e32 v33, v33, v34
	s_delay_alu instid0(VALU_DEP_1) | instskip(NEXT) | instid1(VALU_DEP_1)
	v_dual_add_f32 v36, v37, v35 :: v_dual_add_f32 v39, v38, v33
	v_rcp_f32_e32 v34, v36
	s_delay_alu instid0(VALU_DEP_1) | instskip(NEXT) | instid1(TRANS32_DEP_1)
	v_sub_f32_e32 v38, v39, v38
	v_dual_mul_f32 v40, v39, v34 :: v_dual_sub_f32 v37, v36, v37
	s_delay_alu instid0(VALU_DEP_1) | instskip(NEXT) | instid1(VALU_DEP_1)
	v_dual_sub_f32 v33, v33, v38 :: v_dual_mul_f32 v41, v36, v40
	v_dual_sub_f32 v35, v35, v37 :: v_dual_fma_f32 v37, v40, v36, -v41
	s_delay_alu instid0(VALU_DEP_1) | instskip(NEXT) | instid1(VALU_DEP_1)
	v_fmac_f32_e32 v37, v40, v35
	v_add_f32_e32 v42, v41, v37
	s_delay_alu instid0(VALU_DEP_1) | instskip(NEXT) | instid1(VALU_DEP_1)
	v_sub_f32_e32 v43, v39, v42
	v_dual_sub_f32 v39, v39, v43 :: v_dual_sub_f32 v38, v42, v41
	s_delay_alu instid0(VALU_DEP_1) | instskip(NEXT) | instid1(VALU_DEP_1)
	v_dual_sub_f32 v39, v39, v42 :: v_dual_sub_f32 v37, v38, v37
	v_add_f32_e32 v33, v33, v39
	s_delay_alu instid0(VALU_DEP_1) | instskip(NEXT) | instid1(VALU_DEP_1)
	v_add_f32_e32 v33, v37, v33
	v_add_f32_e32 v37, v43, v33
	s_delay_alu instid0(VALU_DEP_1) | instskip(NEXT) | instid1(VALU_DEP_1)
	v_mul_f32_e32 v38, v34, v37
	v_mul_f32_e32 v39, v36, v38
	s_delay_alu instid0(VALU_DEP_1) | instskip(NEXT) | instid1(VALU_DEP_1)
	v_fma_f32 v36, v38, v36, -v39
	v_fmac_f32_e32 v36, v38, v35
	s_delay_alu instid0(VALU_DEP_1) | instskip(NEXT) | instid1(VALU_DEP_1)
	v_add_f32_e32 v35, v39, v36
	v_dual_sub_f32 v42, v43, v37 :: v_dual_sub_f32 v41, v37, v35
	s_delay_alu instid0(VALU_DEP_1) | instskip(NEXT) | instid1(VALU_DEP_1)
	v_dual_sub_f32 v39, v35, v39 :: v_dual_sub_f32 v37, v37, v41
	v_dual_sub_f32 v36, v39, v36 :: v_dual_sub_f32 v35, v37, v35
	s_delay_alu instid0(VALU_DEP_3) | instskip(NEXT) | instid1(VALU_DEP_1)
	v_add_f32_e32 v33, v33, v42
	v_dual_add_f32 v33, v33, v35 :: v_dual_add_f32 v35, v40, v38
	s_delay_alu instid0(VALU_DEP_1) | instskip(NEXT) | instid1(VALU_DEP_1)
	v_dual_add_f32 v33, v36, v33 :: v_dual_sub_f32 v36, v35, v40
	v_dual_add_f32 v33, v41, v33 :: v_dual_sub_f32 v36, v38, v36
	s_delay_alu instid0(VALU_DEP_1) | instskip(NEXT) | instid1(VALU_DEP_1)
	v_mul_f32_e32 v33, v34, v33
	v_add_f32_e32 v33, v36, v33
	s_delay_alu instid0(VALU_DEP_1) | instskip(NEXT) | instid1(VALU_DEP_1)
	v_add_f32_e32 v34, v35, v33
	v_mul_f32_e32 v36, v34, v34
	s_delay_alu instid0(VALU_DEP_1) | instskip(NEXT) | instid1(VALU_DEP_1)
	v_dual_fmaak_f32 v37, s3, v36, 0x3ecc95a3 :: v_dual_mul_f32 v38, v34, v36
	v_fmaak_f32 v36, v36, v37, 0x3f2aaada
	v_ldexp_f32 v37, v34, 1
	v_sub_f32_e32 v34, v34, v35
	s_delay_alu instid0(VALU_DEP_1) | instskip(SKIP_1) | instid1(VALU_DEP_2)
	v_dual_sub_f32 v33, v33, v34 :: v_dual_mul_f32 v36, v38, v36
	v_mul_f32_e32 v38, 0x3f317218, v32
	v_ldexp_f32 v33, v33, 1
	s_delay_alu instid0(VALU_DEP_3) | instskip(NEXT) | instid1(VALU_DEP_1)
	v_add_f32_e32 v35, v37, v36
	v_sub_f32_e32 v34, v35, v37
	s_delay_alu instid0(VALU_DEP_4) | instskip(NEXT) | instid1(VALU_DEP_1)
	v_fma_f32 v37, 0x3f317218, v32, -v38
	v_dual_sub_f32 v34, v36, v34 :: v_dual_fmac_f32 v37, 0xb102e308, v32
	s_delay_alu instid0(VALU_DEP_1) | instskip(NEXT) | instid1(VALU_DEP_1)
	v_dual_add_f32 v32, v33, v34 :: v_dual_add_f32 v33, v38, v37
	v_add_f32_e32 v34, v35, v32
	s_delay_alu instid0(VALU_DEP_1) | instskip(NEXT) | instid1(VALU_DEP_1)
	v_add_f32_e32 v36, v33, v34
	v_dual_sub_f32 v39, v36, v33 :: v_dual_sub_f32 v38, v33, v38
	v_sub_f32_e32 v35, v34, v35
	s_delay_alu instid0(VALU_DEP_2) | instskip(NEXT) | instid1(VALU_DEP_1)
	v_dual_sub_f32 v40, v36, v39 :: v_dual_sub_f32 v37, v37, v38
	v_dual_sub_f32 v32, v32, v35 :: v_dual_sub_f32 v33, v33, v40
	s_delay_alu instid0(VALU_DEP_1) | instskip(NEXT) | instid1(VALU_DEP_1)
	v_dual_sub_f32 v34, v34, v39 :: v_dual_add_f32 v35, v37, v32
	v_add_f32_e32 v33, v34, v33
	s_delay_alu instid0(VALU_DEP_2) | instskip(NEXT) | instid1(VALU_DEP_1)
	v_sub_f32_e32 v34, v35, v37
	v_dual_add_f32 v33, v35, v33 :: v_dual_sub_f32 v35, v35, v34
	s_delay_alu instid0(VALU_DEP_1) | instskip(NEXT) | instid1(VALU_DEP_2)
	v_dual_sub_f32 v35, v37, v35 :: v_dual_sub_f32 v32, v32, v34
	v_add_f32_e32 v38, v36, v33
	s_delay_alu instid0(VALU_DEP_1) | instskip(NEXT) | instid1(VALU_DEP_1)
	v_dual_add_f32 v32, v32, v35 :: v_dual_sub_f32 v34, v38, v36
	v_sub_f32_e32 v33, v33, v34
	s_delay_alu instid0(VALU_DEP_1) | instskip(NEXT) | instid1(VALU_DEP_1)
	v_add_f32_e32 v32, v32, v33
	v_add_f32_e32 v32, v38, v32
	s_delay_alu instid0(VALU_DEP_1) | instskip(NEXT) | instid1(VALU_DEP_1)
	v_cvt_f16_f32_e32 v32, v32
	v_cndmask_b32_e64 v32, 0x7c00, v32, s0
	v_cmp_ngt_f16_e64 s0, -1.0, v31
	s_delay_alu instid0(VALU_DEP_1) | instskip(SKIP_1) | instid1(VALU_DEP_1)
	v_cndmask_b32_e64 v32, 0x7e00, v32, s0
	v_cmp_neq_f16_e64 s0, -1.0, v31
	v_cndmask_b32_e64 v34, 0xfc00, v32, s0
	v_cmp_gt_f32_e64 s0, 0x33800000, |v29|
	v_add_nc_u64_e32 v[32:33], s[6:7], v[18:19]
	s_delay_alu instid0(VALU_DEP_2)
	v_cndmask_b32_e64 v29, v34, v31, s0
	global_store_b16 v[32:33], v29, off
	s_wait_xcnt 0x0
	s_or_b32 exec_lo, exec_lo, s1
	s_and_saveexec_b32 s0, vcc_lo
	s_cbranch_execz .LBB205_8
.LBB205_24:                             ;   in Loop: Header=BB205_9 Depth=1
	s_wait_loadcnt 0x0
	v_cvt_f32_f16_e32 v29, v30
	s_delay_alu instid0(VALU_DEP_1) | instskip(NEXT) | instid1(VALU_DEP_1)
	v_add_f32_e32 v31, 1.0, v29
	v_cvt_f64_f32_e32 v[32:33], v31
	s_delay_alu instid0(VALU_DEP_1) | instskip(SKIP_1) | instid1(VALU_DEP_1)
	v_frexp_exp_i32_f64_e32 v32, v[32:33]
	v_frexp_mant_f32_e32 v33, v31
	v_cmp_gt_f32_e32 vcc_lo, 0x3f2aaaab, v33
	s_delay_alu instid0(VALU_DEP_3) | instskip(SKIP_1) | instid1(VALU_DEP_2)
	v_subrev_co_ci_u32_e64 v32, null, 0, v32, vcc_lo
	v_cmp_neq_f16_e32 vcc_lo, 0x7c00, v30
	v_dual_add_f32 v33, -1.0, v31 :: v_dual_sub_nc_u32 v34, 0, v32
	v_cvt_f32_i32_e32 v32, v32
	s_delay_alu instid0(VALU_DEP_2) | instskip(NEXT) | instid1(VALU_DEP_3)
	v_sub_f32_e32 v35, v33, v31
	v_ldexp_f32 v31, v31, v34
	s_delay_alu instid0(VALU_DEP_1) | instskip(NEXT) | instid1(VALU_DEP_3)
	v_dual_add_f32 v36, 1.0, v31 :: v_dual_add_f32 v37, -1.0, v31
	v_dual_sub_f32 v33, v29, v33 :: v_dual_add_f32 v35, 1.0, v35
	s_delay_alu instid0(VALU_DEP_1) | instskip(NEXT) | instid1(VALU_DEP_1)
	v_dual_add_f32 v33, v33, v35 :: v_dual_add_f32 v35, -1.0, v36
	v_ldexp_f32 v33, v33, v34
	s_delay_alu instid0(VALU_DEP_2) | instskip(NEXT) | instid1(VALU_DEP_1)
	v_dual_sub_f32 v34, v31, v35 :: v_dual_add_f32 v35, 1.0, v37
	v_dual_add_f32 v34, v33, v34 :: v_dual_sub_f32 v31, v31, v35
	s_delay_alu instid0(VALU_DEP_1) | instskip(NEXT) | instid1(VALU_DEP_1)
	v_dual_add_f32 v35, v36, v34 :: v_dual_add_f32 v31, v33, v31
	v_rcp_f32_e32 v33, v35
	s_delay_alu instid0(VALU_DEP_1) | instskip(NEXT) | instid1(VALU_DEP_1)
	v_dual_add_f32 v38, v37, v31 :: v_dual_sub_f32 v36, v35, v36
	v_sub_f32_e32 v37, v38, v37
	s_delay_alu instid0(TRANS32_DEP_1) | instskip(NEXT) | instid1(VALU_DEP_2)
	v_mul_f32_e32 v39, v38, v33
	v_dual_sub_f32 v34, v34, v36 :: v_dual_sub_f32 v31, v31, v37
	s_delay_alu instid0(VALU_DEP_2) | instskip(NEXT) | instid1(VALU_DEP_1)
	v_mul_f32_e32 v40, v35, v39
	v_fma_f32 v36, v39, v35, -v40
	s_delay_alu instid0(VALU_DEP_1) | instskip(NEXT) | instid1(VALU_DEP_1)
	v_fmac_f32_e32 v36, v39, v34
	v_add_f32_e32 v41, v40, v36
	s_delay_alu instid0(VALU_DEP_1) | instskip(NEXT) | instid1(VALU_DEP_1)
	v_sub_f32_e32 v42, v38, v41
	v_dual_sub_f32 v38, v38, v42 :: v_dual_sub_f32 v37, v41, v40
	s_delay_alu instid0(VALU_DEP_1) | instskip(NEXT) | instid1(VALU_DEP_1)
	v_dual_sub_f32 v38, v38, v41 :: v_dual_sub_f32 v36, v37, v36
	v_add_f32_e32 v31, v31, v38
	s_delay_alu instid0(VALU_DEP_1) | instskip(NEXT) | instid1(VALU_DEP_1)
	v_add_f32_e32 v31, v36, v31
	v_add_f32_e32 v36, v42, v31
	s_delay_alu instid0(VALU_DEP_1) | instskip(NEXT) | instid1(VALU_DEP_1)
	v_mul_f32_e32 v37, v33, v36
	v_dual_mul_f32 v38, v35, v37 :: v_dual_sub_f32 v41, v42, v36
	s_delay_alu instid0(VALU_DEP_1) | instskip(NEXT) | instid1(VALU_DEP_1)
	v_fma_f32 v35, v37, v35, -v38
	v_fmac_f32_e32 v35, v37, v34
	s_delay_alu instid0(VALU_DEP_1) | instskip(NEXT) | instid1(VALU_DEP_1)
	v_add_f32_e32 v34, v38, v35
	v_sub_f32_e32 v40, v36, v34
	s_delay_alu instid0(VALU_DEP_1) | instskip(SKIP_1) | instid1(VALU_DEP_1)
	v_dual_sub_f32 v36, v36, v40 :: v_dual_add_f32 v31, v31, v41
	v_sub_f32_e32 v38, v34, v38
	v_dual_sub_f32 v34, v36, v34 :: v_dual_sub_f32 v35, v38, v35
	s_delay_alu instid0(VALU_DEP_1) | instskip(NEXT) | instid1(VALU_DEP_1)
	v_add_f32_e32 v31, v31, v34
	v_add_f32_e32 v31, v35, v31
	s_delay_alu instid0(VALU_DEP_1) | instskip(NEXT) | instid1(VALU_DEP_1)
	v_dual_add_f32 v34, v39, v37 :: v_dual_add_f32 v31, v40, v31
	v_sub_f32_e32 v35, v34, v39
	s_delay_alu instid0(VALU_DEP_2) | instskip(NEXT) | instid1(VALU_DEP_2)
	v_mul_f32_e32 v31, v33, v31
	v_sub_f32_e32 v35, v37, v35
	s_delay_alu instid0(VALU_DEP_1) | instskip(NEXT) | instid1(VALU_DEP_1)
	v_add_f32_e32 v31, v35, v31
	v_add_f32_e32 v33, v34, v31
	s_delay_alu instid0(VALU_DEP_1) | instskip(NEXT) | instid1(VALU_DEP_1)
	v_mul_f32_e32 v35, v33, v33
	v_dual_fmaak_f32 v36, s3, v35, 0x3ecc95a3 :: v_dual_mul_f32 v37, v33, v35
	s_delay_alu instid0(VALU_DEP_1) | instskip(SKIP_2) | instid1(VALU_DEP_1)
	v_fmaak_f32 v35, v35, v36, 0x3f2aaada
	v_ldexp_f32 v36, v33, 1
	v_sub_f32_e32 v33, v33, v34
	v_sub_f32_e32 v31, v31, v33
	s_delay_alu instid0(VALU_DEP_1) | instskip(SKIP_1) | instid1(VALU_DEP_1)
	v_ldexp_f32 v31, v31, 1
	v_mul_f32_e32 v35, v37, v35
	v_dual_mul_f32 v37, 0x3f317218, v32 :: v_dual_add_f32 v34, v36, v35
	s_delay_alu instid0(VALU_DEP_1) | instskip(NEXT) | instid1(VALU_DEP_2)
	v_sub_f32_e32 v33, v34, v36
	v_fma_f32 v36, 0x3f317218, v32, -v37
	s_delay_alu instid0(VALU_DEP_1) | instskip(NEXT) | instid1(VALU_DEP_1)
	v_fmac_f32_e32 v36, 0xb102e308, v32
	v_dual_add_f32 v32, v37, v36 :: v_dual_sub_f32 v33, v35, v33
	s_delay_alu instid0(VALU_DEP_1) | instskip(NEXT) | instid1(VALU_DEP_2)
	v_sub_f32_e32 v37, v32, v37
	v_add_f32_e32 v31, v31, v33
	s_delay_alu instid0(VALU_DEP_1) | instskip(NEXT) | instid1(VALU_DEP_1)
	v_dual_sub_f32 v36, v36, v37 :: v_dual_add_f32 v33, v34, v31
	v_dual_add_f32 v35, v32, v33 :: v_dual_sub_f32 v34, v33, v34
	s_delay_alu instid0(VALU_DEP_1) | instskip(NEXT) | instid1(VALU_DEP_1)
	v_sub_f32_e32 v38, v35, v32
	v_sub_f32_e32 v39, v35, v38
	s_delay_alu instid0(VALU_DEP_1) | instskip(NEXT) | instid1(VALU_DEP_1)
	v_dual_sub_f32 v31, v31, v34 :: v_dual_sub_f32 v32, v32, v39
	v_dual_sub_f32 v33, v33, v38 :: v_dual_add_f32 v34, v36, v31
	s_delay_alu instid0(VALU_DEP_1) | instskip(NEXT) | instid1(VALU_DEP_2)
	v_add_f32_e32 v32, v33, v32
	v_sub_f32_e32 v33, v34, v36
	s_delay_alu instid0(VALU_DEP_1) | instskip(NEXT) | instid1(VALU_DEP_1)
	v_dual_add_f32 v32, v34, v32 :: v_dual_sub_f32 v34, v34, v33
	v_dual_sub_f32 v34, v36, v34 :: v_dual_sub_f32 v31, v31, v33
	s_delay_alu instid0(VALU_DEP_2) | instskip(NEXT) | instid1(VALU_DEP_1)
	v_add_f32_e32 v37, v35, v32
	v_dual_add_f32 v31, v31, v34 :: v_dual_sub_f32 v33, v37, v35
	s_delay_alu instid0(VALU_DEP_1) | instskip(NEXT) | instid1(VALU_DEP_1)
	v_sub_f32_e32 v32, v32, v33
	v_add_f32_e32 v31, v31, v32
	v_add_nc_u64_e32 v[32:33], s[6:7], v[22:23]
	s_delay_alu instid0(VALU_DEP_2) | instskip(NEXT) | instid1(VALU_DEP_1)
	v_add_f32_e32 v31, v37, v31
	v_cvt_f16_f32_e32 v31, v31
	s_delay_alu instid0(VALU_DEP_1) | instskip(SKIP_1) | instid1(VALU_DEP_2)
	v_cndmask_b32_e32 v31, 0x7c00, v31, vcc_lo
	v_cmp_ngt_f16_e32 vcc_lo, -1.0, v30
	v_cndmask_b32_e32 v31, 0x7e00, v31, vcc_lo
	v_cmp_neq_f16_e32 vcc_lo, -1.0, v30
	s_delay_alu instid0(VALU_DEP_2) | instskip(SKIP_1) | instid1(VALU_DEP_2)
	v_cndmask_b32_e32 v31, 0xfc00, v31, vcc_lo
	v_cmp_gt_f32_e64 vcc_lo, 0x33800000, |v29|
	v_cndmask_b32_e32 v29, v31, v30, vcc_lo
	global_store_b16 v[32:33], v29, off
	s_branch .LBB205_8
.LBB205_25:
	s_endpgm
	.section	.rodata,"a",@progbits
	.p2align	6, 0x0
	.amdhsa_kernel _ZN2at6native12_GLOBAL__N_125multi_tensor_apply_kernelINS1_18TensorListMetadataILi2EEENS1_14UnaryOpFunctorIN3c104HalfELi2ELi1ELi1EEEJNS0_5Log1pIfEEEEEvT_T0_DpT1_
		.amdhsa_group_segment_fixed_size 0
		.amdhsa_private_segment_fixed_size 0
		.amdhsa_kernarg_size 3408
		.amdhsa_user_sgpr_count 2
		.amdhsa_user_sgpr_dispatch_ptr 0
		.amdhsa_user_sgpr_queue_ptr 0
		.amdhsa_user_sgpr_kernarg_segment_ptr 1
		.amdhsa_user_sgpr_dispatch_id 0
		.amdhsa_user_sgpr_kernarg_preload_length 0
		.amdhsa_user_sgpr_kernarg_preload_offset 0
		.amdhsa_user_sgpr_private_segment_size 0
		.amdhsa_wavefront_size32 1
		.amdhsa_uses_dynamic_stack 0
		.amdhsa_enable_private_segment 0
		.amdhsa_system_sgpr_workgroup_id_x 1
		.amdhsa_system_sgpr_workgroup_id_y 0
		.amdhsa_system_sgpr_workgroup_id_z 0
		.amdhsa_system_sgpr_workgroup_info 0
		.amdhsa_system_vgpr_workitem_id 0
		.amdhsa_next_free_vgpr 61
		.amdhsa_next_free_sgpr 28
		.amdhsa_named_barrier_count 0
		.amdhsa_reserve_vcc 1
		.amdhsa_float_round_mode_32 0
		.amdhsa_float_round_mode_16_64 0
		.amdhsa_float_denorm_mode_32 3
		.amdhsa_float_denorm_mode_16_64 3
		.amdhsa_fp16_overflow 0
		.amdhsa_memory_ordered 1
		.amdhsa_forward_progress 1
		.amdhsa_inst_pref_size 53
		.amdhsa_round_robin_scheduling 0
		.amdhsa_exception_fp_ieee_invalid_op 0
		.amdhsa_exception_fp_denorm_src 0
		.amdhsa_exception_fp_ieee_div_zero 0
		.amdhsa_exception_fp_ieee_overflow 0
		.amdhsa_exception_fp_ieee_underflow 0
		.amdhsa_exception_fp_ieee_inexact 0
		.amdhsa_exception_int_div_zero 0
	.end_amdhsa_kernel
	.section	.text._ZN2at6native12_GLOBAL__N_125multi_tensor_apply_kernelINS1_18TensorListMetadataILi2EEENS1_14UnaryOpFunctorIN3c104HalfELi2ELi1ELi1EEEJNS0_5Log1pIfEEEEEvT_T0_DpT1_,"axG",@progbits,_ZN2at6native12_GLOBAL__N_125multi_tensor_apply_kernelINS1_18TensorListMetadataILi2EEENS1_14UnaryOpFunctorIN3c104HalfELi2ELi1ELi1EEEJNS0_5Log1pIfEEEEEvT_T0_DpT1_,comdat
.Lfunc_end205:
	.size	_ZN2at6native12_GLOBAL__N_125multi_tensor_apply_kernelINS1_18TensorListMetadataILi2EEENS1_14UnaryOpFunctorIN3c104HalfELi2ELi1ELi1EEEJNS0_5Log1pIfEEEEEvT_T0_DpT1_, .Lfunc_end205-_ZN2at6native12_GLOBAL__N_125multi_tensor_apply_kernelINS1_18TensorListMetadataILi2EEENS1_14UnaryOpFunctorIN3c104HalfELi2ELi1ELi1EEEJNS0_5Log1pIfEEEEEvT_T0_DpT1_
                                        ; -- End function
	.set _ZN2at6native12_GLOBAL__N_125multi_tensor_apply_kernelINS1_18TensorListMetadataILi2EEENS1_14UnaryOpFunctorIN3c104HalfELi2ELi1ELi1EEEJNS0_5Log1pIfEEEEEvT_T0_DpT1_.num_vgpr, 61
	.set _ZN2at6native12_GLOBAL__N_125multi_tensor_apply_kernelINS1_18TensorListMetadataILi2EEENS1_14UnaryOpFunctorIN3c104HalfELi2ELi1ELi1EEEJNS0_5Log1pIfEEEEEvT_T0_DpT1_.num_agpr, 0
	.set _ZN2at6native12_GLOBAL__N_125multi_tensor_apply_kernelINS1_18TensorListMetadataILi2EEENS1_14UnaryOpFunctorIN3c104HalfELi2ELi1ELi1EEEJNS0_5Log1pIfEEEEEvT_T0_DpT1_.numbered_sgpr, 28
	.set _ZN2at6native12_GLOBAL__N_125multi_tensor_apply_kernelINS1_18TensorListMetadataILi2EEENS1_14UnaryOpFunctorIN3c104HalfELi2ELi1ELi1EEEJNS0_5Log1pIfEEEEEvT_T0_DpT1_.num_named_barrier, 0
	.set _ZN2at6native12_GLOBAL__N_125multi_tensor_apply_kernelINS1_18TensorListMetadataILi2EEENS1_14UnaryOpFunctorIN3c104HalfELi2ELi1ELi1EEEJNS0_5Log1pIfEEEEEvT_T0_DpT1_.private_seg_size, 0
	.set _ZN2at6native12_GLOBAL__N_125multi_tensor_apply_kernelINS1_18TensorListMetadataILi2EEENS1_14UnaryOpFunctorIN3c104HalfELi2ELi1ELi1EEEJNS0_5Log1pIfEEEEEvT_T0_DpT1_.uses_vcc, 1
	.set _ZN2at6native12_GLOBAL__N_125multi_tensor_apply_kernelINS1_18TensorListMetadataILi2EEENS1_14UnaryOpFunctorIN3c104HalfELi2ELi1ELi1EEEJNS0_5Log1pIfEEEEEvT_T0_DpT1_.uses_flat_scratch, 0
	.set _ZN2at6native12_GLOBAL__N_125multi_tensor_apply_kernelINS1_18TensorListMetadataILi2EEENS1_14UnaryOpFunctorIN3c104HalfELi2ELi1ELi1EEEJNS0_5Log1pIfEEEEEvT_T0_DpT1_.has_dyn_sized_stack, 0
	.set _ZN2at6native12_GLOBAL__N_125multi_tensor_apply_kernelINS1_18TensorListMetadataILi2EEENS1_14UnaryOpFunctorIN3c104HalfELi2ELi1ELi1EEEJNS0_5Log1pIfEEEEEvT_T0_DpT1_.has_recursion, 0
	.set _ZN2at6native12_GLOBAL__N_125multi_tensor_apply_kernelINS1_18TensorListMetadataILi2EEENS1_14UnaryOpFunctorIN3c104HalfELi2ELi1ELi1EEEJNS0_5Log1pIfEEEEEvT_T0_DpT1_.has_indirect_call, 0
	.section	.AMDGPU.csdata,"",@progbits
; Kernel info:
; codeLenInByte = 6688
; TotalNumSgprs: 30
; NumVgprs: 61
; ScratchSize: 0
; MemoryBound: 0
; FloatMode: 240
; IeeeMode: 1
; LDSByteSize: 0 bytes/workgroup (compile time only)
; SGPRBlocks: 0
; VGPRBlocks: 3
; NumSGPRsForWavesPerEU: 30
; NumVGPRsForWavesPerEU: 61
; NamedBarCnt: 0
; Occupancy: 16
; WaveLimiterHint : 0
; COMPUTE_PGM_RSRC2:SCRATCH_EN: 0
; COMPUTE_PGM_RSRC2:USER_SGPR: 2
; COMPUTE_PGM_RSRC2:TRAP_HANDLER: 0
; COMPUTE_PGM_RSRC2:TGID_X_EN: 1
; COMPUTE_PGM_RSRC2:TGID_Y_EN: 0
; COMPUTE_PGM_RSRC2:TGID_Z_EN: 0
; COMPUTE_PGM_RSRC2:TIDIG_COMP_CNT: 0
	.section	.text._ZN2at6native12_GLOBAL__N_125multi_tensor_apply_kernelINS1_18TensorListMetadataILi2EEENS1_14UnaryOpFunctorIN3c108BFloat16ELi2ELi1ELi1EEEJNS0_5Log1pIfEEEEEvT_T0_DpT1_,"axG",@progbits,_ZN2at6native12_GLOBAL__N_125multi_tensor_apply_kernelINS1_18TensorListMetadataILi2EEENS1_14UnaryOpFunctorIN3c108BFloat16ELi2ELi1ELi1EEEJNS0_5Log1pIfEEEEEvT_T0_DpT1_,comdat
	.globl	_ZN2at6native12_GLOBAL__N_125multi_tensor_apply_kernelINS1_18TensorListMetadataILi2EEENS1_14UnaryOpFunctorIN3c108BFloat16ELi2ELi1ELi1EEEJNS0_5Log1pIfEEEEEvT_T0_DpT1_ ; -- Begin function _ZN2at6native12_GLOBAL__N_125multi_tensor_apply_kernelINS1_18TensorListMetadataILi2EEENS1_14UnaryOpFunctorIN3c108BFloat16ELi2ELi1ELi1EEEJNS0_5Log1pIfEEEEEvT_T0_DpT1_
	.p2align	8
	.type	_ZN2at6native12_GLOBAL__N_125multi_tensor_apply_kernelINS1_18TensorListMetadataILi2EEENS1_14UnaryOpFunctorIN3c108BFloat16ELi2ELi1ELi1EEEJNS0_5Log1pIfEEEEEvT_T0_DpT1_,@function
_ZN2at6native12_GLOBAL__N_125multi_tensor_apply_kernelINS1_18TensorListMetadataILi2EEENS1_14UnaryOpFunctorIN3c108BFloat16ELi2ELi1ELi1EEEJNS0_5Log1pIfEEEEEvT_T0_DpT1_: ; @_ZN2at6native12_GLOBAL__N_125multi_tensor_apply_kernelINS1_18TensorListMetadataILi2EEENS1_14UnaryOpFunctorIN3c108BFloat16ELi2ELi1ELi1EEEJNS0_5Log1pIfEEEEEvT_T0_DpT1_
; %bb.0:
	s_bfe_u32 s2, ttmp6, 0x4000c
	s_and_b32 s3, ttmp6, 15
	s_add_co_i32 s2, s2, 1
	s_getreg_b32 s4, hwreg(HW_REG_IB_STS2, 6, 4)
	s_mul_i32 s2, ttmp9, s2
	s_delay_alu instid0(SALU_CYCLE_1)
	s_add_co_i32 s3, s3, s2
	s_cmp_eq_u32 s4, 0
	s_cselect_b32 s2, ttmp9, s3
	s_mov_b32 s3, 0
	s_load_u8 s13, s[0:1], s2 offset:0x600
	s_add_nc_u64 s[4:5], s[0:1], s[2:3]
	s_mul_u64 s[6:7], s[2:3], 3
	s_delay_alu instid0(SALU_CYCLE_1)
	s_add_nc_u64 s[4:5], s[4:5], s[6:7]
	s_load_b32 s12, s[4:5], 0x740
	s_wait_kmcnt 0x0
	s_clause 0x2
	s_load_b64 s[8:9], s[0:1], s13 offset:0x0 scale_offset
	s_load_b64 s[10:11], s[0:1], s13 offset:0x200 scale_offset
	;; [unrolled: 1-line block ×3, first 2 shown]
	s_mov_b32 s5, s3
	s_wait_xcnt 0x0
	s_ashr_i32 s13, s12, 31
	s_delay_alu instid0(SALU_CYCLE_1)
	s_lshl_b64 s[6:7], s[12:13], 17
	s_wait_kmcnt 0x0
	s_and_b64 s[18:19], s[10:11], 7
	s_add_nc_u64 s[16:17], s[8:9], s[6:7]
	s_and_b32 s4, s14, 3
	s_and_b32 s2, s16, 7
	s_or_b64 s[4:5], s[18:19], s[4:5]
	s_lshl_b64 s[12:13], s[12:13], 16
	s_or_b64 s[2:3], s[4:5], s[2:3]
	s_sub_nc_u64 s[12:13], s[14:15], s[12:13]
	s_cmp_eq_u64 s[2:3], 0
	s_mov_b32 s2, -1
	s_cbranch_scc0 .LBB206_5
; %bb.1:
	v_min_i64 v[2:3], 0x10000, s[12:13]
	v_dual_mov_b32 v5, 0 :: v_dual_lshlrev_b32 v4, 2, v0
	s_mov_b32 s5, exec_lo
	s_delay_alu instid0(VALU_DEP_1)
	v_cmpx_lt_i64_e64 v[4:5], v[2:3]
	s_cbranch_execz .LBB206_4
; %bb.2:
	s_load_b32 s2, s[0:1], 0xc5c
	v_dual_mov_b32 v1, v5 :: v_dual_lshlrev_b32 v4, 3, v0
	s_mov_b32 s15, 0
	s_mov_b32 s16, 0x3f317218
	;; [unrolled: 1-line block ×3, first 2 shown]
	s_delay_alu instid0(VALU_DEP_1)
	v_mov_b64_e32 v[6:7], v[0:1]
	v_add_nc_u64_e32 v[4:5], s[6:7], v[4:5]
	s_mov_b32 s20, 0x3e9b6dac
	s_mov_b32 s22, 0x3f2aaada
	;; [unrolled: 1-line block ×5, first 2 shown]
	s_wait_kmcnt 0x0
	s_and_b32 s14, s2, 0xffff
	s_delay_alu instid0(SALU_CYCLE_1)
	s_lshl_b32 s26, s14, 3
.LBB206_3:                              ; =>This Inner Loop Header: Depth=1
	v_add_nc_u64_e32 v[8:9], s[8:9], v[4:5]
	v_add_nc_u64_e32 v[6:7], s[14:15], v[6:7]
	global_load_b64 v[8:9], v[8:9], off
	v_lshlrev_b64_e32 v[10:11], 2, v[6:7]
	s_wait_loadcnt 0x0
	v_alignbit_b32 v12, v9, v8, 16
	v_and_b32_e32 v58, 0xffff0000, v8
	v_lshlrev_b32_e32 v1, 16, v8
	v_and_b32_e32 v59, 0xffff0000, v9
	s_delay_alu instid0(VALU_DEP_4) | instskip(NEXT) | instid1(VALU_DEP_3)
	v_and_b32_e32 v60, 0xffff0000, v12
	v_dual_add_f32 v20, 1.0, v58 :: v_dual_add_f32 v18, 1.0, v1
	s_delay_alu instid0(VALU_DEP_2) | instskip(NEXT) | instid1(VALU_DEP_2)
	v_dual_add_f32 v21, 1.0, v59 :: v_dual_add_f32 v30, 1.0, v60
	v_cvt_f64_f32_e32 v[12:13], v20
	s_delay_alu instid0(VALU_DEP_3)
	v_add_f32_e32 v19, -1.0, v18
	s_wait_xcnt 0x0
	v_cvt_f64_f32_e32 v[8:9], v18
	v_cvt_f64_f32_e32 v[14:15], v21
	;; [unrolled: 1-line block ×3, first 2 shown]
	v_frexp_mant_f32_e32 v22, v18
	v_frexp_mant_f32_e32 v23, v20
	v_dual_add_f32 v25, -1.0, v20 :: v_dual_add_f32 v26, -1.0, v21
	v_add_f32_e32 v29, -1.0, v30
	v_frexp_mant_f32_e32 v24, v21
	v_frexp_mant_f32_e32 v28, v30
	v_dual_sub_f32 v27, v19, v18 :: v_dual_sub_f32 v19, v1, v19
	v_dual_sub_f32 v31, v25, v20 :: v_dual_sub_f32 v32, v26, v21
	v_sub_f32_e32 v33, v29, v30
	v_cmp_gt_f32_e32 vcc_lo, 0x3f2aaaab, v22
	v_cmp_gt_f32_e64 s2, 0x3f2aaaab, v23
	v_cmp_gt_f32_e64 s3, 0x3f2aaaab, v24
	;; [unrolled: 1-line block ×3, first 2 shown]
	v_dual_sub_f32 v25, v58, v25 :: v_dual_sub_f32 v26, v59, v26
	v_dual_add_f32 v27, 1.0, v27 :: v_dual_sub_f32 v29, v60, v29
	v_dual_add_f32 v31, 1.0, v31 :: v_dual_add_f32 v32, 1.0, v32
	s_delay_alu instid0(VALU_DEP_2) | instskip(NEXT) | instid1(VALU_DEP_2)
	v_dual_add_f32 v33, 1.0, v33 :: v_dual_add_f32 v19, v19, v27
	v_dual_add_f32 v25, v25, v31 :: v_dual_add_f32 v26, v26, v32
	v_frexp_exp_i32_f64_e32 v8, v[8:9]
	v_frexp_exp_i32_f64_e32 v9, v[12:13]
	;; [unrolled: 1-line block ×4, first 2 shown]
	s_delay_alu instid0(VALU_DEP_4) | instskip(NEXT) | instid1(VALU_DEP_4)
	v_subrev_co_ci_u32_e64 v8, null, 0, v8, vcc_lo
	v_subrev_co_ci_u32_e64 v14, null, 0, v9, s2
	s_delay_alu instid0(VALU_DEP_4) | instskip(NEXT) | instid1(VALU_DEP_4)
	v_subrev_co_ci_u32_e64 v12, null, 0, v12, s3
	v_subrev_co_ci_u32_e64 v22, null, 0, v13, s4
	s_delay_alu instid0(VALU_DEP_4) | instskip(NEXT) | instid1(VALU_DEP_3)
	v_dual_add_f32 v31, v29, v33 :: v_dual_sub_nc_u32 v15, 0, v8
	v_dual_sub_nc_u32 v17, 0, v14 :: v_dual_sub_nc_u32 v23, 0, v12
	v_cvt_f32_i32_e32 v13, v12
	s_delay_alu instid0(VALU_DEP_4)
	v_cvt_f32_i32_e32 v12, v22
	v_cvt_f32_i32_e32 v9, v14
	;; [unrolled: 1-line block ×3, first 2 shown]
	v_ldexp_f32 v14, v18, v15
	v_ldexp_f32 v16, v19, v15
	;; [unrolled: 1-line block ×4, first 2 shown]
	v_pk_mul_f32 v[24:25], v[12:13], s[16:17] op_sel_hi:[1,0]
	v_sub_nc_u32_e32 v22, 0, v22
	v_pk_mul_f32 v[18:19], v[8:9], s[16:17] op_sel_hi:[1,0]
	v_ldexp_f32 v21, v21, v23
	v_ldexp_f32 v23, v26, v23
	v_pk_add_f32 v[26:27], v[14:15], 1.0 op_sel_hi:[1,0]
	v_pk_add_f32 v[28:29], v[14:15], -1.0 op_sel_hi:[1,0]
	v_ldexp_f32 v20, v30, v22
	v_ldexp_f32 v22, v31, v22
	v_pk_fma_f32 v[30:31], v[8:9], s[16:17], v[18:19] op_sel_hi:[1,0,1] neg_lo:[0,0,1] neg_hi:[0,0,1]
	v_pk_add_f32 v[32:33], v[26:27], -1.0 op_sel_hi:[1,0]
	v_pk_add_f32 v[34:35], v[28:29], 1.0 op_sel_hi:[1,0]
	v_pk_add_f32 v[36:37], v[20:21], 1.0 op_sel_hi:[1,0]
	v_pk_add_f32 v[38:39], v[20:21], -1.0 op_sel_hi:[1,0]
	v_pk_fma_f32 v[40:41], v[12:13], s[16:17], v[24:25] op_sel_hi:[1,0,1] neg_lo:[0,0,1] neg_hi:[0,0,1]
	v_pk_fma_f32 v[8:9], v[8:9], s[24:25], v[30:31] op_sel_hi:[1,0,1]
	v_pk_add_f32 v[32:33], v[14:15], v[32:33] neg_lo:[0,1] neg_hi:[0,1]
	v_pk_add_f32 v[14:15], v[14:15], v[34:35] neg_lo:[0,1] neg_hi:[0,1]
	v_pk_add_f32 v[34:35], v[36:37], -1.0 op_sel_hi:[1,0]
	v_pk_add_f32 v[42:43], v[38:39], 1.0 op_sel_hi:[1,0]
	v_pk_fma_f32 v[12:13], v[12:13], s[24:25], v[40:41] op_sel_hi:[1,0,1]
	v_pk_add_f32 v[40:41], v[18:19], v[8:9]
	v_pk_add_f32 v[32:33], v[16:17], v[32:33]
	;; [unrolled: 1-line block ×3, first 2 shown]
	v_pk_add_f32 v[16:17], v[20:21], v[34:35] neg_lo:[0,1] neg_hi:[0,1]
	v_pk_add_f32 v[20:21], v[20:21], v[42:43] neg_lo:[0,1] neg_hi:[0,1]
	v_pk_add_f32 v[34:35], v[24:25], v[12:13]
	v_dual_mov_b32 v42, v12 :: v_dual_sub_f32 v43, v41, v19
	v_sub_f32_e32 v31, v40, v18
	v_pk_add_f32 v[18:19], v[26:27], v[32:33]
	v_pk_add_f32 v[44:45], v[28:29], v[14:15]
	;; [unrolled: 1-line block ×4, first 2 shown]
	v_mov_b32_e32 v30, v24
	v_rcp_f32_e32 v22, v18
	v_rcp_f32_e32 v23, v19
	v_dual_sub_f32 v48, v35, v25 :: v_dual_sub_f32 v49, v34, v24
	v_sub_f32_e32 v9, v9, v43
	v_pk_add_f32 v[24:25], v[44:45], v[28:29] neg_lo:[0,1] neg_hi:[0,1]
	v_pk_add_f32 v[26:27], v[18:19], v[26:27] neg_lo:[0,1] neg_hi:[0,1]
	v_pk_add_f32 v[46:47], v[38:39], v[20:21]
	v_pk_add_f32 v[28:29], v[36:37], v[16:17]
	v_dual_sub_f32 v8, v8, v31 :: v_dual_sub_f32 v13, v13, v48
	v_pk_add_f32 v[14:15], v[14:15], v[24:25] neg_lo:[0,1] neg_hi:[0,1]
	v_pk_add_f32 v[24:25], v[32:33], v[26:27] neg_lo:[0,1] neg_hi:[0,1]
	;; [unrolled: 1-line block ×3, first 2 shown]
	v_pk_mul_f32 v[38:39], v[44:45], v[22:23]
	v_rcp_f32_e32 v26, v28
	v_rcp_f32_e32 v27, v29
	v_pk_add_f32 v[36:37], v[28:29], v[36:37] neg_lo:[0,1] neg_hi:[0,1]
	v_pk_add_f32 v[20:21], v[20:21], v[32:33] neg_lo:[0,1] neg_hi:[0,1]
	v_pk_mul_f32 v[32:33], v[18:19], v[38:39]
	v_cmp_neq_f32_e32 vcc_lo, 0x7f800000, v58
	v_cmp_neq_f32_e64 s2, 0x7f800000, v1
	v_pk_add_f32 v[16:17], v[16:17], v[36:37] neg_lo:[0,1] neg_hi:[0,1]
	v_pk_mul_f32 v[36:37], v[46:47], v[26:27]
	v_pk_fma_f32 v[50:51], v[38:39], v[18:19], v[32:33] neg_lo:[0,0,1] neg_hi:[0,0,1]
	v_cmp_neq_f32_e64 s4, 0x7f800000, v60
	v_cmp_neq_f32_e64 s3, 0x7f800000, v59
	s_delay_alu instid0(VALU_DEP_4) | instskip(NEXT) | instid1(VALU_DEP_4)
	v_pk_mul_f32 v[52:53], v[28:29], v[36:37]
	v_pk_fma_f32 v[50:51], v[38:39], v[24:25], v[50:51]
	s_delay_alu instid0(VALU_DEP_2) | instskip(NEXT) | instid1(VALU_DEP_2)
	v_pk_fma_f32 v[54:55], v[36:37], v[28:29], v[52:53] neg_lo:[0,0,1] neg_hi:[0,0,1]
	v_pk_add_f32 v[56:57], v[32:33], v[50:51]
	s_delay_alu instid0(VALU_DEP_2) | instskip(NEXT) | instid1(VALU_DEP_2)
	v_pk_fma_f32 v[54:55], v[36:37], v[16:17], v[54:55]
	v_pk_add_f32 v[32:33], v[56:57], v[32:33] neg_lo:[0,1] neg_hi:[0,1]
	s_delay_alu instid0(VALU_DEP_1) | instskip(SKIP_1) | instid1(VALU_DEP_1)
	v_pk_add_f32 v[32:33], v[32:33], v[50:51] neg_lo:[0,1] neg_hi:[0,1]
	v_pk_add_f32 v[50:51], v[44:45], v[56:57] neg_lo:[0,1] neg_hi:[0,1]
	;; [unrolled: 1-line block ×3, first 2 shown]
	s_delay_alu instid0(VALU_DEP_1) | instskip(SKIP_1) | instid1(VALU_DEP_2)
	v_pk_add_f32 v[44:45], v[44:45], v[56:57] neg_lo:[0,1] neg_hi:[0,1]
	v_pk_add_f32 v[56:57], v[52:53], v[54:55]
	v_pk_add_f32 v[14:15], v[14:15], v[44:45]
	s_delay_alu instid0(VALU_DEP_2) | instskip(NEXT) | instid1(VALU_DEP_2)
	v_pk_add_f32 v[52:53], v[56:57], v[52:53] neg_lo:[0,1] neg_hi:[0,1]
	v_pk_add_f32 v[14:15], v[32:33], v[14:15]
	s_delay_alu instid0(VALU_DEP_2) | instskip(SKIP_1) | instid1(VALU_DEP_3)
	v_pk_add_f32 v[52:53], v[52:53], v[54:55] neg_lo:[0,1] neg_hi:[0,1]
	v_pk_add_f32 v[54:55], v[46:47], v[56:57] neg_lo:[0,1] neg_hi:[0,1]
	v_pk_add_f32 v[32:33], v[50:51], v[14:15]
	s_delay_alu instid0(VALU_DEP_2) | instskip(NEXT) | instid1(VALU_DEP_1)
	v_pk_add_f32 v[46:47], v[46:47], v[54:55] neg_lo:[0,1] neg_hi:[0,1]
	v_pk_add_f32 v[44:45], v[46:47], v[56:57] neg_lo:[0,1] neg_hi:[0,1]
	s_delay_alu instid0(VALU_DEP_3) | instskip(NEXT) | instid1(VALU_DEP_2)
	v_pk_add_f32 v[46:47], v[50:51], v[32:33] neg_lo:[0,1] neg_hi:[0,1]
	v_pk_add_f32 v[20:21], v[20:21], v[44:45]
	v_pk_mul_f32 v[44:45], v[22:23], v[32:33]
	s_delay_alu instid0(VALU_DEP_3) | instskip(NEXT) | instid1(VALU_DEP_3)
	v_pk_add_f32 v[14:15], v[14:15], v[46:47]
	v_pk_add_f32 v[20:21], v[52:53], v[20:21]
	s_delay_alu instid0(VALU_DEP_3) | instskip(SKIP_1) | instid1(VALU_DEP_3)
	v_pk_mul_f32 v[52:53], v[18:19], v[44:45]
	v_pk_add_f32 v[46:47], v[38:39], v[44:45]
	v_pk_add_f32 v[50:51], v[54:55], v[20:21]
	s_delay_alu instid0(VALU_DEP_3) | instskip(NEXT) | instid1(VALU_DEP_3)
	v_pk_fma_f32 v[18:19], v[44:45], v[18:19], v[52:53] neg_lo:[0,0,1] neg_hi:[0,0,1]
	v_pk_add_f32 v[38:39], v[46:47], v[38:39] neg_lo:[0,1] neg_hi:[0,1]
	s_delay_alu instid0(VALU_DEP_3) | instskip(SKIP_1) | instid1(VALU_DEP_4)
	v_pk_add_f32 v[54:55], v[54:55], v[50:51] neg_lo:[0,1] neg_hi:[0,1]
	v_pk_mul_f32 v[56:57], v[26:27], v[50:51]
	v_pk_fma_f32 v[18:19], v[44:45], v[24:25], v[18:19]
	s_delay_alu instid0(VALU_DEP_4) | instskip(NEXT) | instid1(VALU_DEP_4)
	v_pk_add_f32 v[38:39], v[44:45], v[38:39] neg_lo:[0,1] neg_hi:[0,1]
	v_pk_add_f32 v[20:21], v[20:21], v[54:55]
	s_delay_alu instid0(VALU_DEP_4) | instskip(SKIP_2) | instid1(VALU_DEP_3)
	v_pk_mul_f32 v[54:55], v[28:29], v[56:57]
	v_pk_add_f32 v[24:25], v[36:37], v[56:57]
	v_pk_add_f32 v[44:45], v[52:53], v[18:19]
	v_pk_fma_f32 v[28:29], v[56:57], v[28:29], v[54:55] neg_lo:[0,0,1] neg_hi:[0,0,1]
	s_delay_alu instid0(VALU_DEP_3) | instskip(NEXT) | instid1(VALU_DEP_3)
	v_pk_add_f32 v[36:37], v[24:25], v[36:37] neg_lo:[0,1] neg_hi:[0,1]
	v_pk_add_f32 v[52:53], v[44:45], v[52:53] neg_lo:[0,1] neg_hi:[0,1]
	s_delay_alu instid0(VALU_DEP_3) | instskip(NEXT) | instid1(VALU_DEP_3)
	v_pk_fma_f32 v[16:17], v[56:57], v[16:17], v[28:29]
	v_pk_add_f32 v[28:29], v[56:57], v[36:37] neg_lo:[0,1] neg_hi:[0,1]
	v_pk_add_f32 v[36:37], v[32:33], v[44:45] neg_lo:[0,1] neg_hi:[0,1]
	s_delay_alu instid0(VALU_DEP_4) | instskip(NEXT) | instid1(VALU_DEP_4)
	v_pk_add_f32 v[18:19], v[52:53], v[18:19] neg_lo:[0,1] neg_hi:[0,1]
	v_pk_add_f32 v[56:57], v[54:55], v[16:17]
	s_delay_alu instid0(VALU_DEP_3) | instskip(NEXT) | instid1(VALU_DEP_2)
	v_pk_add_f32 v[32:33], v[32:33], v[36:37] neg_lo:[0,1] neg_hi:[0,1]
	v_pk_add_f32 v[52:53], v[50:51], v[56:57] neg_lo:[0,1] neg_hi:[0,1]
	v_pk_add_f32 v[54:55], v[56:57], v[54:55] neg_lo:[0,1] neg_hi:[0,1]
	s_delay_alu instid0(VALU_DEP_3) | instskip(NEXT) | instid1(VALU_DEP_3)
	v_pk_add_f32 v[32:33], v[32:33], v[44:45] neg_lo:[0,1] neg_hi:[0,1]
	v_pk_add_f32 v[44:45], v[50:51], v[52:53] neg_lo:[0,1] neg_hi:[0,1]
	s_delay_alu instid0(VALU_DEP_3) | instskip(NEXT) | instid1(VALU_DEP_3)
	v_pk_add_f32 v[16:17], v[54:55], v[16:17] neg_lo:[0,1] neg_hi:[0,1]
	v_pk_add_f32 v[14:15], v[14:15], v[32:33]
	s_delay_alu instid0(VALU_DEP_3) | instskip(NEXT) | instid1(VALU_DEP_2)
	v_pk_add_f32 v[32:33], v[44:45], v[56:57] neg_lo:[0,1] neg_hi:[0,1]
	v_pk_add_f32 v[14:15], v[18:19], v[14:15]
	s_delay_alu instid0(VALU_DEP_2) | instskip(NEXT) | instid1(VALU_DEP_2)
	v_pk_add_f32 v[18:19], v[20:21], v[32:33]
	v_pk_add_f32 v[14:15], v[36:37], v[14:15]
	s_delay_alu instid0(VALU_DEP_2) | instskip(NEXT) | instid1(VALU_DEP_2)
	v_pk_add_f32 v[16:17], v[16:17], v[18:19]
	v_pk_mul_f32 v[14:15], v[22:23], v[14:15]
	s_delay_alu instid0(VALU_DEP_2) | instskip(NEXT) | instid1(VALU_DEP_2)
	v_pk_add_f32 v[16:17], v[52:53], v[16:17]
	v_pk_add_f32 v[14:15], v[38:39], v[14:15]
	s_delay_alu instid0(VALU_DEP_2) | instskip(NEXT) | instid1(VALU_DEP_2)
	v_pk_mul_f32 v[16:17], v[26:27], v[16:17]
	v_pk_add_f32 v[18:19], v[46:47], v[14:15]
	s_delay_alu instid0(VALU_DEP_2) | instskip(NEXT) | instid1(VALU_DEP_2)
	v_pk_add_f32 v[16:17], v[28:29], v[16:17]
	v_pk_mul_f32 v[28:29], v[18:19], v[18:19]
	v_pk_add_f32 v[20:21], v[18:19], v[46:47] neg_lo:[0,1] neg_hi:[0,1]
	v_ldexp_f32 v26, v18, 1
	s_delay_alu instid0(VALU_DEP_4)
	v_pk_add_f32 v[22:23], v[24:25], v[16:17]
	v_ldexp_f32 v27, v19, 1
	v_pk_fma_f32 v[36:37], v[28:29], s[20:21], s[18:19] op_sel_hi:[1,0,0]
	v_pk_mul_f32 v[18:19], v[18:19], v[28:29]
	v_pk_add_f32 v[14:15], v[14:15], v[20:21] neg_lo:[0,1] neg_hi:[0,1]
	v_pk_mul_f32 v[32:33], v[22:23], v[22:23]
	v_pk_add_f32 v[24:25], v[22:23], v[24:25] neg_lo:[0,1] neg_hi:[0,1]
	v_pk_fma_f32 v[28:29], v[28:29], v[36:37], s[22:23] op_sel_hi:[1,1,0]
	v_ldexp_f32 v20, v22, 1
	v_ldexp_f32 v21, v23, 1
	v_pk_fma_f32 v[38:39], v[32:33], s[20:21], s[18:19] op_sel_hi:[1,0,0]
	v_pk_mul_f32 v[22:23], v[22:23], v[32:33]
	v_pk_add_f32 v[16:17], v[16:17], v[24:25] neg_lo:[0,1] neg_hi:[0,1]
	v_pk_mul_f32 v[18:19], v[18:19], v[28:29]
	v_ldexp_f32 v14, v14, 1
	v_pk_fma_f32 v[24:25], v[32:33], v[38:39], s[22:23] op_sel_hi:[1,1,0]
	v_ldexp_f32 v15, v15, 1
	v_ldexp_f32 v43, v17, 1
	v_sub_f32_e32 v48, v12, v49
	v_ldexp_f32 v16, v16, 1
	v_pk_mul_f32 v[22:23], v[22:23], v[24:25]
	v_pk_add_f32 v[24:25], v[26:27], v[18:19]
	v_mov_b32_e32 v17, v43
	s_delay_alu instid0(VALU_DEP_3) | instskip(NEXT) | instid1(VALU_DEP_3)
	v_pk_add_f32 v[28:29], v[20:21], v[22:23]
	v_dual_sub_f32 v12, v25, v27 :: v_dual_sub_f32 v26, v24, v26
	s_delay_alu instid0(VALU_DEP_1) | instskip(NEXT) | instid1(VALU_DEP_2)
	v_dual_sub_f32 v21, v29, v21 :: v_dual_sub_f32 v19, v19, v12
	v_dual_sub_f32 v18, v18, v26 :: v_dual_sub_f32 v12, v28, v20
	s_delay_alu instid0(VALU_DEP_2) | instskip(NEXT) | instid1(VALU_DEP_2)
	v_sub_f32_e32 v31, v23, v21
	v_pk_add_f32 v[14:15], v[14:15], v[18:19]
	s_delay_alu instid0(VALU_DEP_3) | instskip(NEXT) | instid1(VALU_DEP_3)
	v_sub_f32_e32 v18, v22, v12
	v_pk_add_f32 v[22:23], v[42:43], v[30:31]
	s_delay_alu instid0(VALU_DEP_3) | instskip(NEXT) | instid1(VALU_DEP_1)
	v_pk_add_f32 v[20:21], v[24:25], v[14:15]
	v_dual_mov_b32 v19, v31 :: v_dual_sub_f32 v12, v20, v24
	s_delay_alu instid0(VALU_DEP_1) | instskip(NEXT) | instid1(VALU_DEP_3)
	v_pk_add_f32 v[26:27], v[16:17], v[18:19]
	v_pk_add_f32 v[30:31], v[40:41], v[20:21]
	v_mov_b32_e32 v19, v29
	s_delay_alu instid0(VALU_DEP_4) | instskip(NEXT) | instid1(VALU_DEP_4)
	v_dual_sub_f32 v32, v21, v25 :: v_dual_sub_f32 v14, v14, v12
	v_mov_b32_e32 v17, v27
	v_pk_add_f32 v[24:25], v[28:29], v[26:27]
	v_dual_sub_f32 v33, v30, v40 :: v_dual_sub_f32 v36, v31, v41
	s_delay_alu instid0(VALU_DEP_4) | instskip(NEXT) | instid1(VALU_DEP_4)
	v_sub_f32_e32 v15, v15, v32
	v_pk_add_f32 v[16:17], v[18:19], v[16:17]
	s_delay_alu instid0(VALU_DEP_4) | instskip(NEXT) | instid1(VALU_DEP_4)
	v_pk_add_f32 v[18:19], v[34:35], v[24:25]
	v_dual_sub_f32 v12, v30, v33 :: v_dual_sub_f32 v21, v21, v36
	v_dual_sub_f32 v32, v31, v36 :: v_dual_sub_f32 v25, v25, v29
	v_sub_f32_e32 v20, v20, v33
	s_delay_alu instid0(VALU_DEP_4) | instskip(SKIP_1) | instid1(VALU_DEP_4)
	v_dual_sub_f32 v36, v24, v28 :: v_dual_sub_f32 v34, v18, v34
	v_pk_add_f32 v[28:29], v[8:9], v[14:15]
	v_dual_sub_f32 v37, v19, v35 :: v_dual_sub_f32 v33, v41, v32
	v_dual_sub_f32 v32, v40, v12 :: v_dual_sub_f32 v23, v23, v25
	s_delay_alu instid0(VALU_DEP_4) | instskip(NEXT) | instid1(VALU_DEP_4)
	v_dual_sub_f32 v38, v26, v36 :: v_dual_sub_f32 v39, v27, v25
	v_dual_sub_f32 v16, v16, v36 :: v_dual_sub_f32 v25, v29, v9
	v_sub_f32_e32 v26, v28, v8
	v_dual_sub_f32 v12, v24, v34 :: v_dual_sub_f32 v27, v18, v34
	v_sub_f32_e32 v24, v19, v37
	v_pk_add_f32 v[20:21], v[20:21], v[32:33]
	s_delay_alu instid0(VALU_DEP_4) | instskip(SKIP_1) | instid1(VALU_DEP_4)
	v_dual_sub_f32 v17, v17, v37 :: v_dual_sub_f32 v32, v28, v26
	v_dual_sub_f32 v33, v29, v25 :: v_dual_sub_f32 v15, v15, v25
	;; [unrolled: 1-line block ×3, first 2 shown]
	s_delay_alu instid0(VALU_DEP_2) | instskip(SKIP_2) | instid1(VALU_DEP_4)
	v_dual_sub_f32 v22, v22, v27 :: v_dual_sub_f32 v9, v9, v33
	v_pk_add_f32 v[20:21], v[20:21], v[28:29]
	v_sub_f32_e32 v8, v8, v32
	v_pk_add_f32 v[24:25], v[16:17], v[48:49]
	v_mov_b32_e32 v17, v23
	v_pk_add_f32 v[22:23], v[12:13], v[22:23]
	v_pk_add_f32 v[26:27], v[30:31], v[20:21]
	v_mov_b32_e32 v49, v13
	v_pk_add_f32 v[8:9], v[14:15], v[8:9]
	s_delay_alu instid0(VALU_DEP_3) | instskip(NEXT) | instid1(VALU_DEP_3)
	v_sub_f32_e32 v12, v27, v31
	v_pk_add_f32 v[14:15], v[48:49], v[16:17]
	v_pk_add_f32 v[16:17], v[22:23], v[24:25]
	s_delay_alu instid0(VALU_DEP_2) | instskip(NEXT) | instid1(VALU_DEP_1)
	v_dual_sub_f32 v22, v26, v30 :: v_dual_sub_f32 v28, v15, v13
	v_dual_sub_f32 v25, v14, v48 :: v_dual_sub_f32 v20, v20, v22
	v_sub_f32_e32 v21, v21, v12
	s_delay_alu instid0(VALU_DEP_4) | instskip(NEXT) | instid1(VALU_DEP_3)
	v_pk_add_f32 v[14:15], v[18:19], v[16:17]
	v_dual_sub_f32 v12, v24, v25 :: v_dual_sub_f32 v24, v23, v28
	v_sub_f32_e32 v22, v38, v25
	s_delay_alu instid0(VALU_DEP_4) | instskip(NEXT) | instid1(VALU_DEP_4)
	v_pk_add_f32 v[8:9], v[8:9], v[20:21]
	v_dual_sub_f32 v23, v39, v28 :: v_dual_sub_f32 v18, v14, v18
	s_delay_alu instid0(VALU_DEP_4) | instskip(SKIP_1) | instid1(VALU_DEP_4)
	v_dual_sub_f32 v19, v15, v19 :: v_dual_sub_f32 v13, v13, v24
	v_sub_f32_e32 v12, v48, v12
	v_pk_add_f32 v[8:9], v[26:27], v[8:9]
	s_delay_alu instid0(VALU_DEP_3) | instskip(NEXT) | instid1(VALU_DEP_3)
	v_dual_sub_f32 v16, v16, v18 :: v_dual_sub_f32 v17, v17, v19
	v_pk_add_f32 v[12:13], v[22:23], v[12:13]
	s_delay_alu instid0(VALU_DEP_3) | instskip(NEXT) | instid1(VALU_DEP_4)
	v_cndmask_b32_e64 v18, 0x7f800000, v8, s2
	v_cndmask_b32_e32 v19, 0x7f800000, v9, vcc_lo
	v_cmp_ngt_f32_e32 vcc_lo, -1.0, v1
	v_cmp_ngt_f32_e64 s2, -1.0, v58
	v_pk_add_f32 v[8:9], v[12:13], v[16:17]
	v_cndmask_b32_e32 v12, 0x7fc00000, v18, vcc_lo
	s_delay_alu instid0(VALU_DEP_3) | instskip(SKIP_1) | instid1(VALU_DEP_4)
	v_cndmask_b32_e64 v13, 0x7fc00000, v19, s2
	v_cmp_neq_f32_e64 s2, -1.0, v1
	v_pk_add_f32 v[8:9], v[14:15], v[8:9]
	v_cmp_neq_f32_e32 vcc_lo, -1.0, v58
	s_delay_alu instid0(VALU_DEP_3) | instskip(SKIP_1) | instid1(VALU_DEP_4)
	v_cndmask_b32_e64 v12, 0xff800000, v12, s2
	v_cmp_gt_f32_e64 s2, 0x33800000, |v1|
	v_cndmask_b32_e64 v8, 0x7f800000, v8, s4
	v_cndmask_b32_e64 v9, 0x7f800000, v9, s3
	s_delay_alu instid0(VALU_DEP_3) | instskip(NEXT) | instid1(VALU_DEP_1)
	v_cndmask_b32_e64 v1, v12, v1, s2
	v_lshrrev_b32_e32 v14, 16, v1
	s_delay_alu instid0(VALU_DEP_1) | instskip(NEXT) | instid1(VALU_DEP_1)
	v_and_b32_e32 v14, 1, v14
	v_add3_u32 v14, v1, v14, 0x7fff
	v_cndmask_b32_e32 v13, 0xff800000, v13, vcc_lo
	v_cmp_gt_f32_e64 vcc_lo, 0x33800000, |v58|
	s_delay_alu instid0(VALU_DEP_3) | instskip(NEXT) | instid1(VALU_DEP_3)
	v_lshrrev_b32_e32 v14, 16, v14
	v_cndmask_b32_e32 v12, v13, v58, vcc_lo
	v_cmp_ngt_f32_e32 vcc_lo, -1.0, v60
	v_cmp_o_f32_e64 s2, v1, v1
	v_cndmask_b32_e32 v8, 0x7fc00000, v8, vcc_lo
	v_cmp_ngt_f32_e32 vcc_lo, -1.0, v59
	s_delay_alu instid0(VALU_DEP_3) | instskip(SKIP_4) | instid1(VALU_DEP_4)
	v_cndmask_b32_e64 v1, 0x7fc0, v14, s2
	v_cndmask_b32_e32 v9, 0x7fc00000, v9, vcc_lo
	v_cmp_neq_f32_e32 vcc_lo, -1.0, v60
	v_cndmask_b32_e32 v8, 0xff800000, v8, vcc_lo
	v_cmp_neq_f32_e32 vcc_lo, -1.0, v59
	v_cndmask_b32_e32 v9, 0xff800000, v9, vcc_lo
	v_cmp_gt_f32_e64 vcc_lo, 0x33800000, |v60|
	s_delay_alu instid0(VALU_DEP_4) | instskip(SKIP_2) | instid1(VALU_DEP_2)
	v_cndmask_b32_e32 v8, v8, v60, vcc_lo
	v_cmp_gt_f32_e64 vcc_lo, 0x33800000, |v59|
	v_lshrrev_b32_e32 v13, 16, v12
	v_dual_lshrrev_b32 v15, 16, v8 :: v_dual_cndmask_b32 v9, v9, v59, vcc_lo
	s_delay_alu instid0(VALU_DEP_2) | instskip(SKIP_1) | instid1(VALU_DEP_3)
	v_and_b32_e32 v13, 1, v13
	v_cmp_o_f32_e32 vcc_lo, v12, v12
	v_dual_lshrrev_b32 v16, 16, v9 :: v_dual_bitop2_b32 v15, 1, v15 bitop3:0x40
	s_delay_alu instid0(VALU_DEP_3) | instskip(NEXT) | instid1(VALU_DEP_2)
	v_add3_u32 v13, v12, v13, 0x7fff
	v_add3_u32 v15, v8, v15, 0x7fff
	s_delay_alu instid0(VALU_DEP_3) | instskip(NEXT) | instid1(VALU_DEP_3)
	v_and_b32_e32 v16, 1, v16
	v_and_b32_e32 v13, 0xffff0000, v13
	s_delay_alu instid0(VALU_DEP_3) | instskip(NEXT) | instid1(VALU_DEP_3)
	v_lshrrev_b32_e32 v15, 16, v15
	v_add3_u32 v12, v9, v16, 0x7fff
	s_delay_alu instid0(VALU_DEP_3) | instskip(SKIP_1) | instid1(VALU_DEP_4)
	v_cndmask_b32_e32 v13, 0x7fc00000, v13, vcc_lo
	v_cmp_o_f32_e32 vcc_lo, v9, v9
	v_and_b32_e32 v14, 0xffff, v15
	s_delay_alu instid0(VALU_DEP_4) | instskip(NEXT) | instid1(VALU_DEP_1)
	v_and_b32_e32 v12, 0xffff0000, v12
	v_cndmask_b32_e32 v12, 0x7fc00000, v12, vcc_lo
	v_cmp_o_f32_e32 vcc_lo, v8, v8
	v_add_nc_u64_e32 v[8:9], s[10:11], v[4:5]
	v_add_nc_u64_e32 v[4:5], s[26:27], v[4:5]
	v_cndmask_b32_e32 v14, 0x7fc0, v14, vcc_lo
	v_cmp_ge_i64_e32 vcc_lo, v[10:11], v[2:3]
	v_or3_b32 v10, v1, 0, v13
	s_delay_alu instid0(VALU_DEP_3)
	v_or3_b32 v11, 0, v14, v12
	s_or_b32 s17, vcc_lo, s17
	global_store_b64 v[8:9], v[10:11], off
	s_wait_xcnt 0x0
	s_and_not1_b32 exec_lo, exec_lo, s17
	s_cbranch_execnz .LBB206_3
.LBB206_4:
	s_or_b32 exec_lo, exec_lo, s5
	s_mov_b32 s2, 0
.LBB206_5:
	s_delay_alu instid0(SALU_CYCLE_1)
	s_and_not1_b32 vcc_lo, exec_lo, s2
	s_cbranch_vccnz .LBB206_25
; %bb.6:
	v_cmp_lt_i64_e64 s2, s[12:13], 1
	s_and_b32 vcc_lo, exec_lo, s2
	s_cbranch_vccnz .LBB206_25
; %bb.7:
	s_load_b32 s0, s[0:1], 0xc5c
	v_min_i64 v[2:3], 0x10000, s[12:13]
	v_min_u64 v[4:5], 0x10000, s[12:13]
	v_dual_mov_b32 v1, 0 :: v_dual_lshlrev_b32 v10, 1, v0
	s_wait_xcnt 0x0
	s_mov_b32 s1, 0
	v_mov_b32_e32 v28, 0x3f317218
	s_mov_b32 s5, s1
	v_dual_mov_b32 v11, v1 :: v_dual_mov_b32 v27, v1
	s_mov_b32 s3, s1
	s_mov_b32 s13, s1
	s_delay_alu instid0(VALU_DEP_1) | instskip(SKIP_2) | instid1(SALU_CYCLE_1)
	v_add_nc_u64_e32 v[6:7], s[8:9], v[10:11]
	s_wait_kmcnt 0x0
	s_and_b32 s0, s0, 0xffff
	v_add_nc_u64_e32 v[8:9], s[0:1], v[0:1]
	v_mad_nc_u64_u32 v[22:23], s0, 6, v[10:11]
	s_lshl_b32 s4, s0, 2
	s_mul_i32 s12, s0, 3
	v_add_nc_u64_e32 v[18:19], s[4:5], v[10:11]
	s_lshl_b32 s2, s0, 1
	v_add_nc_u64_e32 v[10:11], s[10:11], v[10:11]
	v_lshlrev_b32_e32 v26, 1, v8
	v_add_nc_u64_e32 v[12:13], s[12:13], v[0:1]
	v_add_nc_u64_e32 v[14:15], s[2:3], v[0:1]
	s_mov_b32 s3, 0x3e9b6dac
	v_add_nc_u64_e32 v[16:17], s[8:9], v[18:19]
	v_add_nc_u64_e32 v[18:19], s[10:11], v[18:19]
	;; [unrolled: 1-line block ×6, first 2 shown]
	s_lshl_b32 s8, s0, 3
	s_mov_b32 s9, s1
	s_mov_b64 s[10:11], 0
	s_branch .LBB206_9
.LBB206_8:                              ;   in Loop: Header=BB206_9 Depth=1
	s_wait_xcnt 0x0
	s_or_b32 exec_lo, exec_lo, s2
	s_add_nc_u64 s[10:11], s[10:11], s[4:5]
	v_add_nc_u64_e32 v[6:7], s[8:9], v[6:7]
	v_cmp_ge_i64_e32 vcc_lo, s[10:11], v[2:3]
	v_add_nc_u64_e32 v[10:11], s[8:9], v[10:11]
	v_add_nc_u64_e32 v[20:21], s[8:9], v[20:21]
	;; [unrolled: 1-line block ×7, first 2 shown]
	s_cbranch_vccnz .LBB206_25
.LBB206_9:                              ; =>This Inner Loop Header: Depth=1
	v_add_nc_u64_e32 v[30:31], s[10:11], v[0:1]
	v_mov_b32_e32 v33, 0
	s_delay_alu instid0(VALU_DEP_2)
	v_cmp_lt_u64_e64 s2, v[30:31], v[4:5]
	s_and_saveexec_b32 s0, s2
	s_cbranch_execz .LBB206_11
; %bb.10:                               ;   in Loop: Header=BB206_9 Depth=1
	v_add_nc_u64_e32 v[30:31], s[6:7], v[6:7]
	global_load_u16 v29, v[30:31], off
	s_wait_loadcnt 0x0
	v_lshlrev_b32_e32 v33, 16, v29
.LBB206_11:                             ;   in Loop: Header=BB206_9 Depth=1
	s_wait_xcnt 0x0
	s_or_b32 exec_lo, exec_lo, s0
	v_add_nc_u64_e32 v[30:31], s[10:11], v[8:9]
	v_mov_b32_e32 v32, 0
	s_delay_alu instid0(VALU_DEP_2)
	v_cmp_lt_u64_e64 s1, v[30:31], v[4:5]
	v_mov_b32_e32 v30, 0
	s_and_saveexec_b32 s0, s1
	s_cbranch_execz .LBB206_13
; %bb.12:                               ;   in Loop: Header=BB206_9 Depth=1
	v_add_nc_u64_e32 v[34:35], s[6:7], v[24:25]
	global_load_u16 v29, v[34:35], off
	s_wait_loadcnt 0x0
	v_lshlrev_b32_e32 v32, 16, v29
.LBB206_13:                             ;   in Loop: Header=BB206_9 Depth=1
	s_wait_xcnt 0x0
	s_or_b32 exec_lo, exec_lo, s0
	v_add_nc_u64_e32 v[34:35], s[10:11], v[14:15]
	s_delay_alu instid0(VALU_DEP_1)
	v_cmp_lt_u64_e32 vcc_lo, v[34:35], v[4:5]
	s_and_saveexec_b32 s0, vcc_lo
	s_cbranch_execz .LBB206_15
; %bb.14:                               ;   in Loop: Header=BB206_9 Depth=1
	v_add_nc_u64_e32 v[30:31], s[6:7], v[16:17]
	global_load_u16 v29, v[30:31], off
	s_wait_loadcnt 0x0
	v_lshlrev_b32_e32 v30, 16, v29
.LBB206_15:                             ;   in Loop: Header=BB206_9 Depth=1
	s_or_b32 exec_lo, exec_lo, s0
	v_add_nc_u64_e32 v[34:35], s[10:11], v[12:13]
	v_mov_b32_e32 v31, 0
	s_delay_alu instid0(VALU_DEP_2)
	v_cmp_lt_u64_e64 s0, v[34:35], v[4:5]
	s_and_saveexec_b32 s12, s0
	s_cbranch_execnz .LBB206_23
; %bb.16:                               ;   in Loop: Header=BB206_9 Depth=1
	s_or_b32 exec_lo, exec_lo, s12
	s_and_saveexec_b32 s12, s2
	s_cbranch_execnz .LBB206_24
.LBB206_17:                             ;   in Loop: Header=BB206_9 Depth=1
	s_or_b32 exec_lo, exec_lo, s12
	s_and_saveexec_b32 s2, s1
	s_cbranch_execz .LBB206_19
.LBB206_18:                             ;   in Loop: Header=BB206_9 Depth=1
	v_add_f32_e32 v29, 1.0, v32
	s_delay_alu instid0(VALU_DEP_1) | instskip(NEXT) | instid1(VALU_DEP_1)
	v_cvt_f64_f32_e32 v[34:35], v29
	v_frexp_exp_i32_f64_e32 v33, v[34:35]
	v_frexp_mant_f32_e32 v34, v29
	s_delay_alu instid0(VALU_DEP_1) | instskip(NEXT) | instid1(VALU_DEP_1)
	v_cmp_gt_f32_e64 s1, 0x3f2aaaab, v34
	v_subrev_co_ci_u32_e64 v33, null, 0, v33, s1
	v_cmp_neq_f32_e64 s1, 0x7f800000, v32
	s_delay_alu instid0(VALU_DEP_2) | instskip(SKIP_1) | instid1(VALU_DEP_1)
	v_sub_nc_u32_e32 v35, 0, v33
	v_add_f32_e32 v34, -1.0, v29
	v_sub_f32_e32 v36, v34, v29
	s_delay_alu instid0(VALU_DEP_3) | instskip(NEXT) | instid1(VALU_DEP_2)
	v_ldexp_f32 v29, v29, v35
	v_dual_add_f32 v36, 1.0, v36 :: v_dual_sub_f32 v34, v32, v34
	s_delay_alu instid0(VALU_DEP_1) | instskip(NEXT) | instid1(VALU_DEP_1)
	v_dual_add_f32 v37, 1.0, v29 :: v_dual_add_f32 v34, v34, v36
	v_ldexp_f32 v34, v34, v35
	s_delay_alu instid0(VALU_DEP_2) | instskip(NEXT) | instid1(VALU_DEP_1)
	v_add_f32_e32 v36, -1.0, v37
	v_dual_add_f32 v39, -1.0, v29 :: v_dual_sub_f32 v35, v29, v36
	s_delay_alu instid0(VALU_DEP_1) | instskip(NEXT) | instid1(VALU_DEP_1)
	v_add_f32_e32 v38, v34, v35
	v_dual_add_f32 v36, 1.0, v39 :: v_dual_add_f32 v40, v37, v38
	s_delay_alu instid0(VALU_DEP_1) | instskip(NEXT) | instid1(VALU_DEP_1)
	v_rcp_f32_e32 v41, v40
	v_sub_f32_e32 v29, v29, v36
	s_delay_alu instid0(VALU_DEP_1) | instskip(SKIP_1) | instid1(VALU_DEP_1)
	v_add_f32_e32 v29, v34, v29
	v_sub_f32_e32 v34, v40, v37
	v_dual_add_f32 v35, v39, v29 :: v_dual_sub_f32 v43, v38, v34
	s_delay_alu instid0(TRANS32_DEP_1) | instid1(VALU_DEP_1)
	v_dual_mul_f32 v42, v35, v41 :: v_dual_sub_f32 v44, v35, v39
	s_delay_alu instid0(VALU_DEP_1) | instskip(NEXT) | instid1(VALU_DEP_1)
	v_dual_mul_f32 v36, v40, v42 :: v_dual_sub_f32 v29, v29, v44
	v_fma_f32 v38, v42, v40, -v36
	s_delay_alu instid0(VALU_DEP_1) | instskip(NEXT) | instid1(VALU_DEP_1)
	v_fmac_f32_e32 v38, v42, v43
	v_add_f32_e32 v34, v36, v38
	s_delay_alu instid0(VALU_DEP_1) | instskip(NEXT) | instid1(VALU_DEP_1)
	v_dual_sub_f32 v37, v35, v34 :: v_dual_mov_b32 v39, v34
	v_pk_add_f32 v[34:35], v[34:35], v[36:37] neg_lo:[0,1] neg_hi:[0,1]
	s_delay_alu instid0(VALU_DEP_1) | instskip(NEXT) | instid1(VALU_DEP_1)
	v_pk_add_f32 v[34:35], v[34:35], v[38:39] neg_lo:[0,1] neg_hi:[0,1]
	v_add_f32_e32 v29, v29, v35
	s_delay_alu instid0(VALU_DEP_1) | instskip(NEXT) | instid1(VALU_DEP_1)
	v_add_f32_e32 v29, v34, v29
	v_add_f32_e32 v35, v37, v29
	s_delay_alu instid0(VALU_DEP_1) | instskip(NEXT) | instid1(VALU_DEP_1)
	v_mul_f32_e32 v44, v41, v35
	v_mul_f32_e32 v38, v40, v44
	s_delay_alu instid0(VALU_DEP_1) | instskip(NEXT) | instid1(VALU_DEP_1)
	v_dual_fma_f32 v36, v44, v40, -v38 :: v_dual_sub_f32 v40, v37, v35
	v_dual_fmac_f32 v36, v44, v43 :: v_dual_add_f32 v29, v29, v40
	v_add_f32_e32 v40, v42, v44
	s_delay_alu instid0(VALU_DEP_2) | instskip(NEXT) | instid1(VALU_DEP_1)
	v_add_f32_e32 v34, v38, v36
	v_dual_sub_f32 v39, v35, v34 :: v_dual_mov_b32 v37, v34
	s_delay_alu instid0(VALU_DEP_1) | instskip(NEXT) | instid1(VALU_DEP_1)
	v_pk_add_f32 v[34:35], v[34:35], v[38:39] neg_lo:[0,1] neg_hi:[0,1]
	v_pk_add_f32 v[34:35], v[34:35], v[36:37] neg_lo:[0,1] neg_hi:[0,1]
	s_delay_alu instid0(VALU_DEP_1) | instskip(NEXT) | instid1(VALU_DEP_1)
	v_add_f32_e32 v29, v29, v35
	v_dual_add_f32 v29, v34, v29 :: v_dual_sub_f32 v34, v40, v42
	s_delay_alu instid0(VALU_DEP_1) | instskip(NEXT) | instid1(VALU_DEP_1)
	v_dual_add_f32 v29, v39, v29 :: v_dual_sub_f32 v34, v44, v34
	v_mul_f32_e32 v29, v41, v29
	s_delay_alu instid0(VALU_DEP_1) | instskip(SKIP_1) | instid1(VALU_DEP_2)
	v_add_f32_e32 v41, v34, v29
	v_cvt_f32_i32_e32 v34, v33
	v_add_f32_e32 v42, v40, v41
	s_delay_alu instid0(VALU_DEP_1) | instskip(NEXT) | instid1(VALU_DEP_1)
	v_mul_f32_e32 v29, v42, v42
	v_dual_fmaak_f32 v36, s3, v29, 0x3ecc95a3 :: v_dual_mul_f32 v35, v42, v29
	s_delay_alu instid0(VALU_DEP_1) | instskip(SKIP_1) | instid1(VALU_DEP_2)
	v_fmaak_f32 v29, v29, v36, 0x3f2aaada
	v_ldexp_f32 v39, v42, 1
	v_pk_mul_f32 v[36:37], v[34:35], v[28:29]
	v_sub_f32_e32 v29, v42, v40
	s_delay_alu instid0(VALU_DEP_2) | instskip(NEXT) | instid1(VALU_DEP_2)
	v_fma_f32 v38, 0x3f317218, v34, -v36
	v_dual_sub_f32 v29, v41, v29 :: v_dual_mov_b32 v40, v36
	s_delay_alu instid0(VALU_DEP_2) | instskip(NEXT) | instid1(VALU_DEP_2)
	v_fmac_f32_e32 v38, 0xb102e308, v34
	v_ldexp_f32 v29, v29, 1
	s_delay_alu instid0(VALU_DEP_2) | instskip(NEXT) | instid1(VALU_DEP_1)
	v_pk_add_f32 v[34:35], v[36:37], v[38:39]
	v_dual_sub_f32 v33, v35, v39 :: v_dual_mov_b32 v39, v34
	s_delay_alu instid0(VALU_DEP_1) | instskip(SKIP_1) | instid1(VALU_DEP_2)
	v_dual_mov_b32 v48, v35 :: v_dual_sub_f32 v33, v37, v33
	v_pk_add_f32 v[36:37], v[34:35], v[36:37] neg_lo:[0,1] neg_hi:[0,1]
	v_add_f32_e32 v41, v29, v33
	s_delay_alu instid0(VALU_DEP_1) | instskip(NEXT) | instid1(VALU_DEP_1)
	v_pk_add_f32 v[42:43], v[34:35], v[40:41]
	v_mov_b32_e32 v37, v43
	s_delay_alu instid0(VALU_DEP_1) | instskip(SKIP_1) | instid1(VALU_DEP_2)
	v_pk_add_f32 v[44:45], v[38:39], v[36:37]
	v_pk_add_f32 v[36:37], v[38:39], v[36:37] neg_lo:[0,1] neg_hi:[0,1]
	v_dual_mov_b32 v40, v45 :: v_dual_mov_b32 v37, v45
	s_delay_alu instid0(VALU_DEP_1) | instskip(SKIP_1) | instid1(VALU_DEP_2)
	v_pk_add_f32 v[46:47], v[40:41], v[34:35] neg_lo:[0,1] neg_hi:[0,1]
	v_dual_mov_b32 v44, v43 :: v_dual_mov_b32 v35, v34
	v_dual_mov_b32 v34, v41 :: v_dual_mov_b32 v49, v46
	v_mov_b32_e32 v29, v46
	s_delay_alu instid0(VALU_DEP_2) | instskip(NEXT) | instid1(VALU_DEP_2)
	v_pk_add_f32 v[46:47], v[44:45], v[48:49] neg_lo:[0,1] neg_hi:[0,1]
	v_pk_add_f32 v[38:39], v[42:43], v[28:29] neg_lo:[0,1] neg_hi:[0,1]
	v_mov_b32_e32 v38, v36
	s_delay_alu instid0(VALU_DEP_3) | instskip(NEXT) | instid1(VALU_DEP_1)
	v_pk_add_f32 v[34:35], v[34:35], v[46:47] neg_lo:[0,1] neg_hi:[0,1]
	v_pk_add_f32 v[38:39], v[38:39], v[34:35]
	s_delay_alu instid0(VALU_DEP_1) | instskip(NEXT) | instid1(VALU_DEP_1)
	v_mov_b32_e32 v42, v39
	v_pk_add_f32 v[42:43], v[38:39], v[42:43]
	s_delay_alu instid0(VALU_DEP_1) | instskip(NEXT) | instid1(VALU_DEP_1)
	v_pk_add_f32 v[40:41], v[40:41], v[42:43]
	v_dual_mov_b32 v35, v42 :: v_dual_mov_b32 v39, v40
	s_delay_alu instid0(VALU_DEP_1) | instskip(NEXT) | instid1(VALU_DEP_1)
	v_pk_add_f32 v[44:45], v[38:39], v[36:37] neg_lo:[0,1] neg_hi:[0,1]
	v_sub_f32_e32 v29, v38, v44
	s_delay_alu instid0(VALU_DEP_2) | instskip(NEXT) | instid1(VALU_DEP_2)
	v_pk_add_f32 v[34:35], v[34:35], v[44:45] neg_lo:[0,1] neg_hi:[0,1]
	v_sub_f32_e32 v29, v36, v29
	s_delay_alu instid0(VALU_DEP_1) | instskip(NEXT) | instid1(VALU_DEP_1)
	v_add_f32_e32 v29, v34, v29
	v_add_f32_e32 v29, v29, v35
	s_delay_alu instid0(VALU_DEP_1) | instskip(NEXT) | instid1(VALU_DEP_1)
	v_add_f32_e32 v29, v40, v29
	v_cndmask_b32_e64 v29, 0x7f800000, v29, s1
	v_cmp_ngt_f32_e64 s1, -1.0, v32
	s_delay_alu instid0(VALU_DEP_1) | instskip(SKIP_1) | instid1(VALU_DEP_1)
	v_cndmask_b32_e64 v29, 0x7fc00000, v29, s1
	v_cmp_neq_f32_e64 s1, -1.0, v32
	v_cndmask_b32_e64 v29, 0xff800000, v29, s1
	v_cmp_gt_f32_e64 s1, 0x33800000, |v32|
	s_delay_alu instid0(VALU_DEP_1) | instskip(NEXT) | instid1(VALU_DEP_1)
	v_cndmask_b32_e64 v29, v29, v32, s1
	v_bfe_u32 v32, v29, 16, 1
	v_cmp_o_f32_e64 s1, v29, v29
	s_delay_alu instid0(VALU_DEP_2) | instskip(NEXT) | instid1(VALU_DEP_1)
	v_add3_u32 v32, v29, v32, 0x7fff
	v_lshrrev_b32_e32 v34, 16, v32
	v_add_nc_u64_e32 v[32:33], s[6:7], v[26:27]
	s_delay_alu instid0(VALU_DEP_2)
	v_cndmask_b32_e64 v29, 0x7fc0, v34, s1
	global_store_b16 v[32:33], v29, off
.LBB206_19:                             ;   in Loop: Header=BB206_9 Depth=1
	s_wait_xcnt 0x0
	s_or_b32 exec_lo, exec_lo, s2
	v_dual_add_f32 v29, 1.0, v30 :: v_dual_add_f32 v36, 1.0, v31
	s_delay_alu instid0(VALU_DEP_1) | instskip(NEXT) | instid1(VALU_DEP_2)
	v_cvt_f64_f32_e32 v[32:33], v29
	v_cvt_f64_f32_e32 v[34:35], v36
	s_delay_alu instid0(VALU_DEP_2) | instskip(NEXT) | instid1(VALU_DEP_2)
	v_frexp_exp_i32_f64_e32 v32, v[32:33]
	v_frexp_exp_i32_f64_e32 v33, v[34:35]
	v_frexp_mant_f32_e32 v34, v29
	s_delay_alu instid0(VALU_DEP_1) | instskip(NEXT) | instid1(VALU_DEP_1)
	v_cmp_gt_f32_e64 s1, 0x3f2aaaab, v34
	v_subrev_co_ci_u32_e64 v44, null, 0, v32, s1
	v_frexp_mant_f32_e32 v32, v36
	s_delay_alu instid0(VALU_DEP_2) | instskip(NEXT) | instid1(VALU_DEP_2)
	v_dual_add_f32 v34, -1.0, v29 :: v_dual_sub_nc_u32 v35, 0, v44
	v_cmp_gt_f32_e64 s1, 0x3f2aaaab, v32
	v_add_f32_e32 v32, -1.0, v36
	s_delay_alu instid0(VALU_DEP_2) | instskip(NEXT) | instid1(VALU_DEP_4)
	v_subrev_co_ci_u32_e64 v45, null, 0, v33, s1
	v_sub_f32_e32 v33, v34, v29
	v_ldexp_f32 v29, v29, v35
	s_delay_alu instid0(VALU_DEP_3) | instskip(NEXT) | instid1(VALU_DEP_3)
	v_dual_sub_f32 v34, v30, v34 :: v_dual_sub_nc_u32 v37, 0, v45
	v_dual_sub_f32 v38, v32, v36 :: v_dual_add_f32 v33, 1.0, v33
	s_delay_alu instid0(VALU_DEP_3) | instskip(NEXT) | instid1(VALU_DEP_3)
	v_dual_add_f32 v39, 1.0, v29 :: v_dual_sub_f32 v32, v31, v32
	v_ldexp_f32 v36, v36, v37
	s_delay_alu instid0(VALU_DEP_3) | instskip(NEXT) | instid1(VALU_DEP_3)
	v_dual_add_f32 v38, 1.0, v38 :: v_dual_add_f32 v33, v34, v33
	v_dual_add_f32 v34, -1.0, v39 :: v_dual_add_f32 v41, -1.0, v29
	s_delay_alu instid0(VALU_DEP_2) | instskip(NEXT) | instid1(VALU_DEP_3)
	v_dual_add_f32 v40, 1.0, v36 :: v_dual_add_f32 v32, v32, v38
	v_ldexp_f32 v33, v33, v35
	s_delay_alu instid0(VALU_DEP_3) | instskip(SKIP_1) | instid1(VALU_DEP_4)
	v_dual_sub_f32 v34, v29, v34 :: v_dual_add_f32 v38, 1.0, v41
	v_add_f32_e32 v43, -1.0, v36
	v_add_f32_e32 v35, -1.0, v40
	v_ldexp_f32 v32, v32, v37
	s_delay_alu instid0(VALU_DEP_4) | instskip(NEXT) | instid1(VALU_DEP_4)
	v_add_f32_e32 v34, v33, v34
	v_dual_sub_f32 v29, v29, v38 :: v_dual_add_f32 v37, 1.0, v43
	s_delay_alu instid0(VALU_DEP_4) | instskip(SKIP_1) | instid1(VALU_DEP_2)
	v_sub_f32_e32 v35, v36, v35
	v_cmp_neq_f32_e64 s1, 0x7f800000, v30
	v_dual_add_f32 v46, v39, v34 :: v_dual_add_f32 v42, v32, v35
	s_delay_alu instid0(VALU_DEP_4) | instskip(NEXT) | instid1(VALU_DEP_2)
	v_add_f32_e32 v29, v33, v29
	v_rcp_f32_e32 v47, v46
	s_delay_alu instid0(VALU_DEP_1) | instskip(SKIP_1) | instid1(VALU_DEP_2)
	v_dual_add_f32 v48, v40, v42 :: v_dual_add_f32 v33, v41, v29
	v_sub_f32_e32 v35, v36, v37
	v_rcp_f32_e32 v50, v48
	s_delay_alu instid0(TRANS32_DEP_2) | instid1(VALU_DEP_2)
	v_mul_f32_e32 v51, v33, v47
	s_delay_alu instid0(VALU_DEP_2) | instskip(SKIP_1) | instid1(VALU_DEP_2)
	v_add_f32_e32 v49, v32, v35
	v_dual_sub_f32 v32, v46, v39 :: v_dual_sub_f32 v55, v33, v41
	v_dual_add_f32 v35, v43, v49 :: v_dual_mul_f32 v36, v46, v51
	s_delay_alu instid0(TRANS32_DEP_1) | instid1(VALU_DEP_1)
	v_dual_mul_f32 v52, v35, v50 :: v_dual_sub_f32 v37, v48, v40
	s_delay_alu instid0(VALU_DEP_2) | instskip(NEXT) | instid1(VALU_DEP_2)
	v_dual_fma_f32 v38, v51, v46, -v36 :: v_dual_sub_f32 v53, v34, v32
	v_dual_mul_f32 v40, v48, v52 :: v_dual_sub_f32 v54, v42, v37
	s_delay_alu instid0(VALU_DEP_1) | instskip(NEXT) | instid1(VALU_DEP_1)
	v_dual_fmac_f32 v38, v51, v53 :: v_dual_fma_f32 v42, v52, v48, -v40
	v_add_f32_e32 v32, v36, v38
	s_delay_alu instid0(VALU_DEP_1) | instskip(NEXT) | instid1(VALU_DEP_1)
	v_dual_fmac_f32 v42, v52, v54 :: v_dual_sub_f32 v37, v33, v32
	v_add_f32_e32 v34, v40, v42
	v_mov_b32_e32 v39, v32
	s_delay_alu instid0(VALU_DEP_3) | instskip(NEXT) | instid1(VALU_DEP_3)
	v_pk_add_f32 v[32:33], v[32:33], v[36:37] neg_lo:[0,1] neg_hi:[0,1]
	v_dual_sub_f32 v36, v35, v43 :: v_dual_mov_b32 v43, v34
	v_sub_f32_e32 v41, v35, v34
	s_delay_alu instid0(VALU_DEP_3) | instskip(NEXT) | instid1(VALU_DEP_2)
	v_pk_add_f32 v[32:33], v[32:33], v[38:39] neg_lo:[0,1] neg_hi:[0,1]
	v_pk_add_f32 v[34:35], v[34:35], v[40:41] neg_lo:[0,1] neg_hi:[0,1]
	s_delay_alu instid0(VALU_DEP_1) | instskip(SKIP_1) | instid1(VALU_DEP_1)
	v_pk_add_f32 v[34:35], v[34:35], v[42:43] neg_lo:[0,1] neg_hi:[0,1]
	v_sub_f32_e32 v29, v29, v55
	v_add_f32_e32 v29, v29, v33
	s_delay_alu instid0(VALU_DEP_1) | instskip(NEXT) | instid1(VALU_DEP_1)
	v_dual_sub_f32 v36, v49, v36 :: v_dual_add_f32 v29, v32, v29
	v_dual_add_f32 v32, v36, v35 :: v_dual_add_f32 v33, v37, v29
	s_delay_alu instid0(VALU_DEP_1) | instskip(NEXT) | instid1(VALU_DEP_1)
	v_add_f32_e32 v49, v34, v32
	v_add_f32_e32 v35, v41, v49
	s_delay_alu instid0(VALU_DEP_1) | instskip(NEXT) | instid1(VALU_DEP_1)
	v_dual_mul_f32 v55, v47, v33 :: v_dual_mul_f32 v56, v50, v35
	v_mul_f32_e32 v38, v46, v55
	s_delay_alu instid0(VALU_DEP_1) | instskip(SKIP_1) | instid1(VALU_DEP_2)
	v_dual_fma_f32 v36, v55, v46, -v38 :: v_dual_mul_f32 v42, v48, v56
	v_sub_f32_e32 v46, v37, v33
	v_dual_fmac_f32 v36, v55, v53 :: v_dual_fma_f32 v40, v56, v48, -v42
	s_delay_alu instid0(VALU_DEP_2) | instskip(SKIP_1) | instid1(VALU_DEP_3)
	v_dual_add_f32 v29, v29, v46 :: v_dual_add_f32 v46, v51, v55
	v_add_f32_e32 v48, v52, v56
	v_dual_add_f32 v32, v38, v36 :: v_dual_fmac_f32 v40, v56, v54
	s_delay_alu instid0(VALU_DEP_1) | instskip(NEXT) | instid1(VALU_DEP_2)
	v_dual_sub_f32 v39, v33, v32 :: v_dual_mov_b32 v37, v32
	v_add_f32_e32 v34, v42, v40
	s_delay_alu instid0(VALU_DEP_2) | instskip(NEXT) | instid1(VALU_DEP_2)
	v_pk_add_f32 v[32:33], v[32:33], v[38:39] neg_lo:[0,1] neg_hi:[0,1]
	v_dual_sub_f32 v38, v41, v35 :: v_dual_sub_f32 v43, v35, v34
	v_mov_b32_e32 v41, v34
	s_delay_alu instid0(VALU_DEP_3) | instskip(NEXT) | instid1(VALU_DEP_3)
	v_pk_add_f32 v[32:33], v[32:33], v[36:37] neg_lo:[0,1] neg_hi:[0,1]
	v_pk_add_f32 v[34:35], v[34:35], v[42:43] neg_lo:[0,1] neg_hi:[0,1]
	s_delay_alu instid0(VALU_DEP_1) | instskip(NEXT) | instid1(VALU_DEP_3)
	v_pk_add_f32 v[34:35], v[34:35], v[40:41] neg_lo:[0,1] neg_hi:[0,1]
	v_add_f32_e32 v29, v29, v33
	v_dual_add_f32 v36, v49, v38 :: v_dual_sub_f32 v33, v46, v51
	s_delay_alu instid0(VALU_DEP_2) | instskip(NEXT) | instid1(VALU_DEP_2)
	v_add_f32_e32 v29, v32, v29
	v_dual_add_f32 v32, v36, v35 :: v_dual_sub_f32 v33, v55, v33
	s_delay_alu instid0(VALU_DEP_1) | instskip(NEXT) | instid1(VALU_DEP_1)
	v_dual_add_f32 v29, v39, v29 :: v_dual_add_f32 v32, v34, v32
	v_dual_sub_f32 v34, v48, v52 :: v_dual_mul_f32 v29, v47, v29
	s_delay_alu instid0(VALU_DEP_1) | instskip(NEXT) | instid1(VALU_DEP_1)
	v_dual_sub_f32 v34, v56, v34 :: v_dual_add_f32 v32, v43, v32
	v_dual_add_f32 v47, v33, v29 :: v_dual_mul_f32 v29, v50, v32
	v_cvt_f32_i32_e32 v32, v44
	s_delay_alu instid0(VALU_DEP_2) | instskip(NEXT) | instid1(VALU_DEP_3)
	v_add_f32_e32 v49, v46, v47
	v_add_f32_e32 v50, v34, v29
	s_delay_alu instid0(VALU_DEP_1) | instskip(NEXT) | instid1(VALU_DEP_1)
	v_add_f32_e32 v51, v48, v50
	v_dual_mul_f32 v38, v51, v51 :: v_dual_mul_f32 v29, v49, v49
	v_sub_f32_e32 v44, v51, v48
	v_ldexp_f32 v43, v51, 1
	s_delay_alu instid0(VALU_DEP_3) | instskip(SKIP_1) | instid1(VALU_DEP_4)
	v_dual_mul_f32 v35, v51, v38 :: v_dual_fmaak_f32 v34, s3, v29, 0x3ecc95a3
	v_mul_f32_e32 v33, v49, v29
	v_dual_fmaak_f32 v39, s3, v38, 0x3ecc95a3 :: v_dual_sub_f32 v44, v50, v44
	v_ldexp_f32 v41, v49, 1
	s_delay_alu instid0(VALU_DEP_4) | instskip(SKIP_1) | instid1(VALU_DEP_2)
	v_fmaak_f32 v29, v29, v34, 0x3f2aaada
	v_cvt_f32_i32_e32 v34, v45
	v_pk_mul_f32 v[36:37], v[32:33], v[28:29]
	v_fmaak_f32 v29, v38, v39, 0x3f2aaada
	s_delay_alu instid0(VALU_DEP_2) | instskip(NEXT) | instid1(VALU_DEP_2)
	v_fma_f32 v40, 0x3f317218, v32, -v36
	v_pk_mul_f32 v[38:39], v[34:35], v[28:29]
	s_delay_alu instid0(VALU_DEP_2) | instskip(NEXT) | instid1(VALU_DEP_2)
	v_dual_sub_f32 v29, v49, v46 :: v_dual_fmac_f32 v40, 0xb102e308, v32
	v_fma_f32 v42, 0x3f317218, v34, -v38
	s_delay_alu instid0(VALU_DEP_2)
	v_sub_f32_e32 v29, v47, v29
	v_ldexp_f32 v47, v44, 1
	v_mov_b32_e32 v44, v36
	v_pk_add_f32 v[32:33], v[36:37], v[40:41]
	v_fmac_f32_e32 v42, 0xb102e308, v34
	v_ldexp_f32 v29, v29, 1
	s_delay_alu instid0(VALU_DEP_3) | instskip(NEXT) | instid1(VALU_DEP_3)
	v_dual_mov_b32 v46, v38 :: v_dual_mov_b32 v57, v32
	v_pk_add_f32 v[34:35], v[38:39], v[42:43]
	s_delay_alu instid0(VALU_DEP_1) | instskip(SKIP_1) | instid1(VALU_DEP_2)
	v_dual_sub_f32 v43, v35, v43 :: v_dual_sub_f32 v41, v33, v41
	v_mov_b32_e32 v58, v35
	v_dual_sub_f32 v43, v39, v43 :: v_dual_sub_f32 v41, v37, v41
	v_pk_add_f32 v[36:37], v[32:33], v[36:37] neg_lo:[0,1] neg_hi:[0,1]
	v_pk_add_f32 v[38:39], v[34:35], v[38:39] neg_lo:[0,1] neg_hi:[0,1]
	s_delay_alu instid0(VALU_DEP_3) | instskip(NEXT) | instid1(VALU_DEP_1)
	v_dual_add_f32 v47, v47, v43 :: v_dual_add_f32 v45, v29, v41
	v_pk_add_f32 v[50:51], v[34:35], v[46:47]
	s_delay_alu instid0(VALU_DEP_2) | instskip(SKIP_1) | instid1(VALU_DEP_3)
	v_pk_add_f32 v[48:49], v[32:33], v[44:45]
	v_dual_mov_b32 v41, v32 :: v_dual_mov_b32 v43, v34
	v_dual_mov_b32 v44, v33 :: v_dual_mov_b32 v39, v51
	s_delay_alu instid0(VALU_DEP_3) | instskip(SKIP_1) | instid1(VALU_DEP_3)
	v_dual_mov_b32 v37, v49 :: v_dual_mov_b32 v56, v45
	v_mov_b32_e32 v60, v47
	v_pk_add_f32 v[54:55], v[42:43], v[38:39]
	s_delay_alu instid0(VALU_DEP_3) | instskip(SKIP_2) | instid1(VALU_DEP_3)
	v_pk_add_f32 v[52:53], v[40:41], v[36:37]
	v_mov_b32_e32 v61, v34
	v_pk_add_f32 v[36:37], v[40:41], v[36:37] neg_lo:[0,1] neg_hi:[0,1]
	v_dual_mov_b32 v52, v55 :: v_dual_mov_b32 v46, v53
	v_mov_b32_e32 v37, v53
	s_delay_alu instid0(VALU_DEP_2) | instskip(NEXT) | instid1(VALU_DEP_3)
	v_pk_add_f32 v[34:35], v[52:53], v[34:35] neg_lo:[0,1] neg_hi:[0,1]
	v_pk_add_f32 v[32:33], v[46:47], v[32:33] neg_lo:[0,1] neg_hi:[0,1]
	v_dual_mov_b32 v52, v49 :: v_dual_mov_b32 v54, v51
	s_delay_alu instid0(VALU_DEP_2) | instskip(SKIP_3) | instid1(VALU_DEP_4)
	v_dual_mov_b32 v59, v34 :: v_dual_mov_b32 v45, v32
	v_mov_b32_e32 v29, v32
	v_pk_add_f32 v[32:33], v[42:43], v[38:39] neg_lo:[0,1] neg_hi:[0,1]
	v_mov_b32_e32 v33, v34
	v_pk_add_f32 v[40:41], v[54:55], v[58:59] neg_lo:[0,1] neg_hi:[0,1]
	v_pk_add_f32 v[38:39], v[52:53], v[44:45] neg_lo:[0,1] neg_hi:[0,1]
	;; [unrolled: 1-line block ×3, first 2 shown]
	v_mov_b32_e32 v34, v36
	v_pk_add_f32 v[42:43], v[50:51], v[32:33] neg_lo:[0,1] neg_hi:[0,1]
	v_mov_b32_e32 v42, v32
	v_pk_add_f32 v[38:39], v[56:57], v[38:39] neg_lo:[0,1] neg_hi:[0,1]
	v_pk_add_f32 v[40:41], v[60:61], v[40:41] neg_lo:[0,1] neg_hi:[0,1]
	v_mov_b32_e32 v52, v55
	s_delay_alu instid0(VALU_DEP_3) | instskip(NEXT) | instid1(VALU_DEP_3)
	v_pk_add_f32 v[34:35], v[34:35], v[38:39]
	v_pk_add_f32 v[42:43], v[42:43], v[40:41]
	s_delay_alu instid0(VALU_DEP_2) | instskip(NEXT) | instid1(VALU_DEP_2)
	v_dual_mov_b32 v45, v34 :: v_dual_mov_b32 v47, v35
	v_dual_mov_b32 v44, v42 :: v_dual_mov_b32 v46, v43
	s_delay_alu instid0(VALU_DEP_1) | instskip(NEXT) | instid1(VALU_DEP_1)
	v_pk_add_f32 v[46:47], v[44:45], v[46:47]
	v_pk_add_f32 v[48:49], v[52:53], v[46:47]
	v_dual_mov_b32 v33, v55 :: v_dual_mov_b32 v39, v47
	s_delay_alu instid0(VALU_DEP_2) | instskip(NEXT) | instid1(VALU_DEP_1)
	v_dual_mov_b32 v35, v49 :: v_dual_mov_b32 v43, v48
	v_pk_add_f32 v[34:35], v[34:35], v[36:37] neg_lo:[0,1] neg_hi:[0,1]
	s_delay_alu instid0(VALU_DEP_2) | instskip(SKIP_1) | instid1(VALU_DEP_2)
	v_pk_add_f32 v[42:43], v[42:43], v[32:33] neg_lo:[0,1] neg_hi:[0,1]
	v_dual_mov_b32 v41, v46 :: v_dual_mov_b32 v33, v36
	v_dual_mov_b32 v47, v34 :: v_dual_mov_b32 v46, v42
	s_delay_alu instid0(VALU_DEP_2) | instskip(SKIP_1) | instid1(VALU_DEP_3)
	v_pk_add_f32 v[36:37], v[40:41], v[42:43] neg_lo:[0,1] neg_hi:[0,1]
	v_pk_add_f32 v[34:35], v[38:39], v[34:35] neg_lo:[0,1] neg_hi:[0,1]
	;; [unrolled: 1-line block ×3, first 2 shown]
	s_delay_alu instid0(VALU_DEP_2) | instskip(NEXT) | instid1(VALU_DEP_4)
	v_dual_mov_b32 v40, v36 :: v_dual_mov_b32 v41, v34
	v_mov_b32_e32 v34, v37
	s_delay_alu instid0(VALU_DEP_3) | instskip(NEXT) | instid1(VALU_DEP_1)
	v_pk_add_f32 v[32:33], v[32:33], v[38:39] neg_lo:[0,1] neg_hi:[0,1]
	v_pk_add_f32 v[32:33], v[40:41], v[32:33]
	s_delay_alu instid0(VALU_DEP_1) | instskip(NEXT) | instid1(VALU_DEP_1)
	v_pk_add_f32 v[32:33], v[32:33], v[34:35]
	v_pk_add_f32 v[32:33], v[48:49], v[32:33]
	s_delay_alu instid0(VALU_DEP_1) | instskip(SKIP_1) | instid1(VALU_DEP_1)
	v_cndmask_b32_e64 v29, 0x7f800000, v33, s1
	v_cmp_neq_f32_e64 s1, 0x7f800000, v31
	v_cndmask_b32_e64 v32, 0x7f800000, v32, s1
	v_cmp_ngt_f32_e64 s1, -1.0, v30
	s_delay_alu instid0(VALU_DEP_1) | instskip(SKIP_1) | instid1(VALU_DEP_1)
	v_cndmask_b32_e64 v29, 0x7fc00000, v29, s1
	v_cmp_ngt_f32_e64 s1, -1.0, v31
	v_cndmask_b32_e64 v32, 0x7fc00000, v32, s1
	v_cmp_neq_f32_e64 s1, -1.0, v30
	s_delay_alu instid0(VALU_DEP_1) | instskip(SKIP_1) | instid1(VALU_DEP_1)
	v_cndmask_b32_e64 v29, 0xff800000, v29, s1
	v_cmp_neq_f32_e64 s1, -1.0, v31
	v_cndmask_b32_e64 v32, 0xff800000, v32, s1
	v_cmp_gt_f32_e64 s1, 0x33800000, |v30|
	s_delay_alu instid0(VALU_DEP_1) | instskip(SKIP_1) | instid1(VALU_DEP_2)
	v_cndmask_b32_e64 v30, v29, v30, s1
	v_cmp_gt_f32_e64 s1, 0x33800000, |v31|
	v_cmp_u_f32_e64 s2, v30, v30
	s_delay_alu instid0(VALU_DEP_2) | instskip(NEXT) | instid1(VALU_DEP_1)
	v_cndmask_b32_e64 v29, v32, v31, s1
	v_cmp_u_f32_e64 s1, v29, v29
	s_and_saveexec_b32 s12, vcc_lo
	s_cbranch_execz .LBB206_21
; %bb.20:                               ;   in Loop: Header=BB206_9 Depth=1
	v_bfe_u32 v31, v30, 16, 1
	s_delay_alu instid0(VALU_DEP_1) | instskip(NEXT) | instid1(VALU_DEP_1)
	v_add3_u32 v30, v30, v31, 0x7fff
	v_lshrrev_b32_e32 v32, 16, v30
	v_add_nc_u64_e32 v[30:31], s[6:7], v[18:19]
	s_delay_alu instid0(VALU_DEP_2)
	v_cndmask_b32_e64 v32, v32, 0x7fc0, s2
	global_store_b16 v[30:31], v32, off
.LBB206_21:                             ;   in Loop: Header=BB206_9 Depth=1
	s_wait_xcnt 0x0
	s_or_b32 exec_lo, exec_lo, s12
	s_and_saveexec_b32 s2, s0
	s_cbranch_execz .LBB206_8
; %bb.22:                               ;   in Loop: Header=BB206_9 Depth=1
	v_bfe_u32 v30, v29, 16, 1
	s_delay_alu instid0(VALU_DEP_1) | instskip(SKIP_1) | instid1(VALU_DEP_2)
	v_add3_u32 v29, v29, v30, 0x7fff
	v_add_nc_u64_e32 v[30:31], s[6:7], v[22:23]
	v_lshrrev_b32_e32 v29, 16, v29
	s_delay_alu instid0(VALU_DEP_1)
	v_cndmask_b32_e64 v29, v29, 0x7fc0, s1
	global_store_b16 v[30:31], v29, off
	s_branch .LBB206_8
.LBB206_23:                             ;   in Loop: Header=BB206_9 Depth=1
	v_add_nc_u64_e32 v[34:35], s[6:7], v[20:21]
	global_load_u16 v29, v[34:35], off
	s_wait_loadcnt 0x0
	v_lshlrev_b32_e32 v31, 16, v29
	s_wait_xcnt 0x0
	s_or_b32 exec_lo, exec_lo, s12
	s_and_saveexec_b32 s12, s2
	s_cbranch_execz .LBB206_17
.LBB206_24:                             ;   in Loop: Header=BB206_9 Depth=1
	v_add_f32_e32 v29, 1.0, v33
	s_delay_alu instid0(VALU_DEP_1) | instskip(NEXT) | instid1(VALU_DEP_1)
	v_cvt_f64_f32_e32 v[34:35], v29
	v_frexp_exp_i32_f64_e32 v34, v[34:35]
	v_frexp_mant_f32_e32 v35, v29
	s_delay_alu instid0(VALU_DEP_1) | instskip(NEXT) | instid1(VALU_DEP_1)
	v_cmp_gt_f32_e64 s2, 0x3f2aaaab, v35
	v_subrev_co_ci_u32_e64 v40, null, 0, v34, s2
	v_cmp_neq_f32_e64 s2, 0x7f800000, v33
	s_delay_alu instid0(VALU_DEP_2) | instskip(NEXT) | instid1(VALU_DEP_1)
	v_dual_add_f32 v34, -1.0, v29 :: v_dual_sub_nc_u32 v35, 0, v40
	v_sub_f32_e32 v36, v34, v29
	s_delay_alu instid0(VALU_DEP_2) | instskip(NEXT) | instid1(VALU_DEP_2)
	v_ldexp_f32 v29, v29, v35
	v_dual_add_f32 v36, 1.0, v36 :: v_dual_sub_f32 v34, v33, v34
	s_delay_alu instid0(VALU_DEP_1) | instskip(NEXT) | instid1(VALU_DEP_1)
	v_dual_add_f32 v37, 1.0, v29 :: v_dual_add_f32 v34, v34, v36
	v_ldexp_f32 v34, v34, v35
	s_delay_alu instid0(VALU_DEP_2) | instskip(NEXT) | instid1(VALU_DEP_1)
	v_add_f32_e32 v36, -1.0, v37
	v_dual_add_f32 v39, -1.0, v29 :: v_dual_sub_f32 v35, v29, v36
	s_delay_alu instid0(VALU_DEP_1) | instskip(NEXT) | instid1(VALU_DEP_1)
	v_add_f32_e32 v38, v34, v35
	v_dual_add_f32 v36, 1.0, v39 :: v_dual_add_f32 v41, v37, v38
	s_delay_alu instid0(VALU_DEP_1) | instskip(NEXT) | instid1(VALU_DEP_1)
	v_rcp_f32_e32 v42, v41
	v_sub_f32_e32 v29, v29, v36
	s_delay_alu instid0(VALU_DEP_1) | instskip(SKIP_1) | instid1(VALU_DEP_1)
	v_add_f32_e32 v29, v34, v29
	v_sub_f32_e32 v34, v41, v37
	v_dual_add_f32 v35, v39, v29 :: v_dual_sub_f32 v44, v38, v34
	s_delay_alu instid0(TRANS32_DEP_1) | instid1(VALU_DEP_1)
	v_dual_mul_f32 v43, v35, v42 :: v_dual_sub_f32 v45, v35, v39
	s_delay_alu instid0(VALU_DEP_1) | instskip(NEXT) | instid1(VALU_DEP_2)
	v_mul_f32_e32 v36, v41, v43
	v_sub_f32_e32 v29, v29, v45
	s_delay_alu instid0(VALU_DEP_2) | instskip(NEXT) | instid1(VALU_DEP_1)
	v_fma_f32 v38, v43, v41, -v36
	v_fmac_f32_e32 v38, v43, v44
	s_delay_alu instid0(VALU_DEP_1) | instskip(NEXT) | instid1(VALU_DEP_1)
	v_add_f32_e32 v34, v36, v38
	v_dual_sub_f32 v37, v35, v34 :: v_dual_mov_b32 v39, v34
	s_delay_alu instid0(VALU_DEP_1) | instskip(NEXT) | instid1(VALU_DEP_1)
	v_pk_add_f32 v[34:35], v[34:35], v[36:37] neg_lo:[0,1] neg_hi:[0,1]
	v_pk_add_f32 v[34:35], v[34:35], v[38:39] neg_lo:[0,1] neg_hi:[0,1]
	s_delay_alu instid0(VALU_DEP_1) | instskip(NEXT) | instid1(VALU_DEP_1)
	v_add_f32_e32 v29, v29, v35
	v_add_f32_e32 v29, v34, v29
	s_delay_alu instid0(VALU_DEP_1) | instskip(NEXT) | instid1(VALU_DEP_1)
	v_add_f32_e32 v35, v37, v29
	v_mul_f32_e32 v45, v42, v35
	s_delay_alu instid0(VALU_DEP_1) | instskip(NEXT) | instid1(VALU_DEP_1)
	v_mul_f32_e32 v38, v41, v45
	v_fma_f32 v36, v45, v41, -v38
	s_delay_alu instid0(VALU_DEP_1) | instskip(NEXT) | instid1(VALU_DEP_1)
	v_fmac_f32_e32 v36, v45, v44
	v_dual_add_f32 v34, v38, v36 :: v_dual_sub_f32 v41, v37, v35
	s_delay_alu instid0(VALU_DEP_1) | instskip(NEXT) | instid1(VALU_DEP_2)
	v_dual_sub_f32 v39, v35, v34 :: v_dual_mov_b32 v37, v34
	v_add_f32_e32 v29, v29, v41
	v_add_f32_e32 v41, v43, v45
	s_delay_alu instid0(VALU_DEP_3) | instskip(NEXT) | instid1(VALU_DEP_1)
	v_pk_add_f32 v[34:35], v[34:35], v[38:39] neg_lo:[0,1] neg_hi:[0,1]
	v_pk_add_f32 v[34:35], v[34:35], v[36:37] neg_lo:[0,1] neg_hi:[0,1]
	s_delay_alu instid0(VALU_DEP_1) | instskip(NEXT) | instid1(VALU_DEP_1)
	v_add_f32_e32 v29, v29, v35
	v_dual_add_f32 v29, v34, v29 :: v_dual_sub_f32 v34, v41, v43
	s_delay_alu instid0(VALU_DEP_1) | instskip(NEXT) | instid1(VALU_DEP_1)
	v_dual_add_f32 v29, v39, v29 :: v_dual_sub_f32 v34, v45, v34
	v_mul_f32_e32 v29, v42, v29
	s_delay_alu instid0(VALU_DEP_1) | instskip(SKIP_1) | instid1(VALU_DEP_2)
	v_add_f32_e32 v42, v34, v29
	v_cvt_f32_i32_e32 v34, v40
	v_add_f32_e32 v43, v41, v42
	s_delay_alu instid0(VALU_DEP_1) | instskip(NEXT) | instid1(VALU_DEP_1)
	v_mul_f32_e32 v29, v43, v43
	v_dual_fmaak_f32 v36, s3, v29, 0x3ecc95a3 :: v_dual_mul_f32 v35, v43, v29
	v_ldexp_f32 v39, v43, 1
	s_delay_alu instid0(VALU_DEP_2) | instskip(NEXT) | instid1(VALU_DEP_1)
	v_fmaak_f32 v29, v29, v36, 0x3f2aaada
	v_pk_mul_f32 v[36:37], v[34:35], v[28:29]
	s_delay_alu instid0(VALU_DEP_1) | instskip(SKIP_1) | instid1(VALU_DEP_2)
	v_fma_f32 v38, 0x3f317218, v34, -v36
	v_mov_b32_e32 v40, v36
	v_fmac_f32_e32 v38, 0xb102e308, v34
	s_delay_alu instid0(VALU_DEP_1) | instskip(NEXT) | instid1(VALU_DEP_1)
	v_pk_add_f32 v[34:35], v[36:37], v[38:39]
	v_sub_f32_e32 v39, v35, v39
	v_sub_f32_e32 v29, v43, v41
	s_delay_alu instid0(VALU_DEP_2) | instskip(NEXT) | instid1(VALU_DEP_2)
	v_dual_mov_b32 v48, v35 :: v_dual_sub_f32 v39, v37, v39
	v_sub_f32_e32 v29, v42, v29
	v_pk_add_f32 v[36:37], v[34:35], v[36:37] neg_lo:[0,1] neg_hi:[0,1]
	s_delay_alu instid0(VALU_DEP_2) | instskip(NEXT) | instid1(VALU_DEP_1)
	v_ldexp_f32 v29, v29, 1
	v_dual_add_f32 v41, v29, v39 :: v_dual_mov_b32 v39, v34
	s_delay_alu instid0(VALU_DEP_1) | instskip(NEXT) | instid1(VALU_DEP_1)
	v_pk_add_f32 v[42:43], v[34:35], v[40:41]
	v_mov_b32_e32 v37, v43
	s_delay_alu instid0(VALU_DEP_1) | instskip(SKIP_1) | instid1(VALU_DEP_2)
	v_pk_add_f32 v[44:45], v[38:39], v[36:37]
	v_pk_add_f32 v[36:37], v[38:39], v[36:37] neg_lo:[0,1] neg_hi:[0,1]
	v_dual_mov_b32 v40, v45 :: v_dual_mov_b32 v37, v45
	s_delay_alu instid0(VALU_DEP_1) | instskip(SKIP_1) | instid1(VALU_DEP_2)
	v_pk_add_f32 v[46:47], v[40:41], v[34:35] neg_lo:[0,1] neg_hi:[0,1]
	v_dual_mov_b32 v44, v43 :: v_dual_mov_b32 v35, v34
	v_dual_mov_b32 v34, v41 :: v_dual_mov_b32 v49, v46
	v_mov_b32_e32 v29, v46
	s_delay_alu instid0(VALU_DEP_2) | instskip(NEXT) | instid1(VALU_DEP_2)
	v_pk_add_f32 v[46:47], v[44:45], v[48:49] neg_lo:[0,1] neg_hi:[0,1]
	v_pk_add_f32 v[38:39], v[42:43], v[28:29] neg_lo:[0,1] neg_hi:[0,1]
	v_mov_b32_e32 v38, v36
	s_delay_alu instid0(VALU_DEP_3) | instskip(NEXT) | instid1(VALU_DEP_1)
	v_pk_add_f32 v[34:35], v[34:35], v[46:47] neg_lo:[0,1] neg_hi:[0,1]
	v_pk_add_f32 v[38:39], v[38:39], v[34:35]
	s_delay_alu instid0(VALU_DEP_1) | instskip(NEXT) | instid1(VALU_DEP_1)
	v_mov_b32_e32 v42, v39
	v_pk_add_f32 v[42:43], v[38:39], v[42:43]
	s_delay_alu instid0(VALU_DEP_1) | instskip(NEXT) | instid1(VALU_DEP_1)
	v_pk_add_f32 v[40:41], v[40:41], v[42:43]
	v_dual_mov_b32 v35, v42 :: v_dual_mov_b32 v39, v40
	s_delay_alu instid0(VALU_DEP_1) | instskip(NEXT) | instid1(VALU_DEP_1)
	v_pk_add_f32 v[44:45], v[38:39], v[36:37] neg_lo:[0,1] neg_hi:[0,1]
	v_sub_f32_e32 v29, v38, v44
	s_delay_alu instid0(VALU_DEP_2) | instskip(NEXT) | instid1(VALU_DEP_2)
	v_pk_add_f32 v[34:35], v[34:35], v[44:45] neg_lo:[0,1] neg_hi:[0,1]
	v_sub_f32_e32 v29, v36, v29
	s_delay_alu instid0(VALU_DEP_1) | instskip(NEXT) | instid1(VALU_DEP_1)
	v_add_f32_e32 v29, v34, v29
	v_add_f32_e32 v29, v29, v35
	v_add_nc_u64_e32 v[34:35], s[6:7], v[10:11]
	s_delay_alu instid0(VALU_DEP_2) | instskip(NEXT) | instid1(VALU_DEP_1)
	v_add_f32_e32 v29, v40, v29
	v_cndmask_b32_e64 v29, 0x7f800000, v29, s2
	v_cmp_ngt_f32_e64 s2, -1.0, v33
	s_delay_alu instid0(VALU_DEP_1) | instskip(SKIP_1) | instid1(VALU_DEP_1)
	v_cndmask_b32_e64 v29, 0x7fc00000, v29, s2
	v_cmp_neq_f32_e64 s2, -1.0, v33
	v_cndmask_b32_e64 v29, 0xff800000, v29, s2
	v_cmp_gt_f32_e64 s2, 0x33800000, |v33|
	s_delay_alu instid0(VALU_DEP_1) | instskip(NEXT) | instid1(VALU_DEP_1)
	v_cndmask_b32_e64 v29, v29, v33, s2
	v_bfe_u32 v33, v29, 16, 1
	v_cmp_o_f32_e64 s2, v29, v29
	s_delay_alu instid0(VALU_DEP_2) | instskip(NEXT) | instid1(VALU_DEP_1)
	v_add3_u32 v33, v29, v33, 0x7fff
	v_lshrrev_b32_e32 v33, 16, v33
	s_delay_alu instid0(VALU_DEP_1)
	v_cndmask_b32_e64 v29, 0x7fc0, v33, s2
	global_store_b16 v[34:35], v29, off
	s_wait_xcnt 0x0
	s_or_b32 exec_lo, exec_lo, s12
	s_and_saveexec_b32 s2, s1
	s_cbranch_execnz .LBB206_18
	s_branch .LBB206_19
.LBB206_25:
	s_endpgm
	.section	.rodata,"a",@progbits
	.p2align	6, 0x0
	.amdhsa_kernel _ZN2at6native12_GLOBAL__N_125multi_tensor_apply_kernelINS1_18TensorListMetadataILi2EEENS1_14UnaryOpFunctorIN3c108BFloat16ELi2ELi1ELi1EEEJNS0_5Log1pIfEEEEEvT_T0_DpT1_
		.amdhsa_group_segment_fixed_size 0
		.amdhsa_private_segment_fixed_size 0
		.amdhsa_kernarg_size 3408
		.amdhsa_user_sgpr_count 2
		.amdhsa_user_sgpr_dispatch_ptr 0
		.amdhsa_user_sgpr_queue_ptr 0
		.amdhsa_user_sgpr_kernarg_segment_ptr 1
		.amdhsa_user_sgpr_dispatch_id 0
		.amdhsa_user_sgpr_kernarg_preload_length 0
		.amdhsa_user_sgpr_kernarg_preload_offset 0
		.amdhsa_user_sgpr_private_segment_size 0
		.amdhsa_wavefront_size32 1
		.amdhsa_uses_dynamic_stack 0
		.amdhsa_enable_private_segment 0
		.amdhsa_system_sgpr_workgroup_id_x 1
		.amdhsa_system_sgpr_workgroup_id_y 0
		.amdhsa_system_sgpr_workgroup_id_z 0
		.amdhsa_system_sgpr_workgroup_info 0
		.amdhsa_system_vgpr_workitem_id 0
		.amdhsa_next_free_vgpr 62
		.amdhsa_next_free_sgpr 28
		.amdhsa_named_barrier_count 0
		.amdhsa_reserve_vcc 1
		.amdhsa_float_round_mode_32 0
		.amdhsa_float_round_mode_16_64 0
		.amdhsa_float_denorm_mode_32 3
		.amdhsa_float_denorm_mode_16_64 3
		.amdhsa_fp16_overflow 0
		.amdhsa_memory_ordered 1
		.amdhsa_forward_progress 1
		.amdhsa_inst_pref_size 58
		.amdhsa_round_robin_scheduling 0
		.amdhsa_exception_fp_ieee_invalid_op 0
		.amdhsa_exception_fp_denorm_src 0
		.amdhsa_exception_fp_ieee_div_zero 0
		.amdhsa_exception_fp_ieee_overflow 0
		.amdhsa_exception_fp_ieee_underflow 0
		.amdhsa_exception_fp_ieee_inexact 0
		.amdhsa_exception_int_div_zero 0
	.end_amdhsa_kernel
	.section	.text._ZN2at6native12_GLOBAL__N_125multi_tensor_apply_kernelINS1_18TensorListMetadataILi2EEENS1_14UnaryOpFunctorIN3c108BFloat16ELi2ELi1ELi1EEEJNS0_5Log1pIfEEEEEvT_T0_DpT1_,"axG",@progbits,_ZN2at6native12_GLOBAL__N_125multi_tensor_apply_kernelINS1_18TensorListMetadataILi2EEENS1_14UnaryOpFunctorIN3c108BFloat16ELi2ELi1ELi1EEEJNS0_5Log1pIfEEEEEvT_T0_DpT1_,comdat
.Lfunc_end206:
	.size	_ZN2at6native12_GLOBAL__N_125multi_tensor_apply_kernelINS1_18TensorListMetadataILi2EEENS1_14UnaryOpFunctorIN3c108BFloat16ELi2ELi1ELi1EEEJNS0_5Log1pIfEEEEEvT_T0_DpT1_, .Lfunc_end206-_ZN2at6native12_GLOBAL__N_125multi_tensor_apply_kernelINS1_18TensorListMetadataILi2EEENS1_14UnaryOpFunctorIN3c108BFloat16ELi2ELi1ELi1EEEJNS0_5Log1pIfEEEEEvT_T0_DpT1_
                                        ; -- End function
	.set _ZN2at6native12_GLOBAL__N_125multi_tensor_apply_kernelINS1_18TensorListMetadataILi2EEENS1_14UnaryOpFunctorIN3c108BFloat16ELi2ELi1ELi1EEEJNS0_5Log1pIfEEEEEvT_T0_DpT1_.num_vgpr, 62
	.set _ZN2at6native12_GLOBAL__N_125multi_tensor_apply_kernelINS1_18TensorListMetadataILi2EEENS1_14UnaryOpFunctorIN3c108BFloat16ELi2ELi1ELi1EEEJNS0_5Log1pIfEEEEEvT_T0_DpT1_.num_agpr, 0
	.set _ZN2at6native12_GLOBAL__N_125multi_tensor_apply_kernelINS1_18TensorListMetadataILi2EEENS1_14UnaryOpFunctorIN3c108BFloat16ELi2ELi1ELi1EEEJNS0_5Log1pIfEEEEEvT_T0_DpT1_.numbered_sgpr, 28
	.set _ZN2at6native12_GLOBAL__N_125multi_tensor_apply_kernelINS1_18TensorListMetadataILi2EEENS1_14UnaryOpFunctorIN3c108BFloat16ELi2ELi1ELi1EEEJNS0_5Log1pIfEEEEEvT_T0_DpT1_.num_named_barrier, 0
	.set _ZN2at6native12_GLOBAL__N_125multi_tensor_apply_kernelINS1_18TensorListMetadataILi2EEENS1_14UnaryOpFunctorIN3c108BFloat16ELi2ELi1ELi1EEEJNS0_5Log1pIfEEEEEvT_T0_DpT1_.private_seg_size, 0
	.set _ZN2at6native12_GLOBAL__N_125multi_tensor_apply_kernelINS1_18TensorListMetadataILi2EEENS1_14UnaryOpFunctorIN3c108BFloat16ELi2ELi1ELi1EEEJNS0_5Log1pIfEEEEEvT_T0_DpT1_.uses_vcc, 1
	.set _ZN2at6native12_GLOBAL__N_125multi_tensor_apply_kernelINS1_18TensorListMetadataILi2EEENS1_14UnaryOpFunctorIN3c108BFloat16ELi2ELi1ELi1EEEJNS0_5Log1pIfEEEEEvT_T0_DpT1_.uses_flat_scratch, 0
	.set _ZN2at6native12_GLOBAL__N_125multi_tensor_apply_kernelINS1_18TensorListMetadataILi2EEENS1_14UnaryOpFunctorIN3c108BFloat16ELi2ELi1ELi1EEEJNS0_5Log1pIfEEEEEvT_T0_DpT1_.has_dyn_sized_stack, 0
	.set _ZN2at6native12_GLOBAL__N_125multi_tensor_apply_kernelINS1_18TensorListMetadataILi2EEENS1_14UnaryOpFunctorIN3c108BFloat16ELi2ELi1ELi1EEEJNS0_5Log1pIfEEEEEvT_T0_DpT1_.has_recursion, 0
	.set _ZN2at6native12_GLOBAL__N_125multi_tensor_apply_kernelINS1_18TensorListMetadataILi2EEENS1_14UnaryOpFunctorIN3c108BFloat16ELi2ELi1ELi1EEEJNS0_5Log1pIfEEEEEvT_T0_DpT1_.has_indirect_call, 0
	.section	.AMDGPU.csdata,"",@progbits
; Kernel info:
; codeLenInByte = 7320
; TotalNumSgprs: 30
; NumVgprs: 62
; ScratchSize: 0
; MemoryBound: 0
; FloatMode: 240
; IeeeMode: 1
; LDSByteSize: 0 bytes/workgroup (compile time only)
; SGPRBlocks: 0
; VGPRBlocks: 3
; NumSGPRsForWavesPerEU: 30
; NumVGPRsForWavesPerEU: 62
; NamedBarCnt: 0
; Occupancy: 16
; WaveLimiterHint : 0
; COMPUTE_PGM_RSRC2:SCRATCH_EN: 0
; COMPUTE_PGM_RSRC2:USER_SGPR: 2
; COMPUTE_PGM_RSRC2:TRAP_HANDLER: 0
; COMPUTE_PGM_RSRC2:TGID_X_EN: 1
; COMPUTE_PGM_RSRC2:TGID_Y_EN: 0
; COMPUTE_PGM_RSRC2:TGID_Z_EN: 0
; COMPUTE_PGM_RSRC2:TIDIG_COMP_CNT: 0
	.section	.text._ZN2at6native12_GLOBAL__N_125multi_tensor_apply_kernelINS1_18TensorListMetadataILi1EEENS1_14UnaryOpFunctorIdLi1ELi1ELi0EEEJNS0_5Log1pIdEEEEEvT_T0_DpT1_,"axG",@progbits,_ZN2at6native12_GLOBAL__N_125multi_tensor_apply_kernelINS1_18TensorListMetadataILi1EEENS1_14UnaryOpFunctorIdLi1ELi1ELi0EEEJNS0_5Log1pIdEEEEEvT_T0_DpT1_,comdat
	.globl	_ZN2at6native12_GLOBAL__N_125multi_tensor_apply_kernelINS1_18TensorListMetadataILi1EEENS1_14UnaryOpFunctorIdLi1ELi1ELi0EEEJNS0_5Log1pIdEEEEEvT_T0_DpT1_ ; -- Begin function _ZN2at6native12_GLOBAL__N_125multi_tensor_apply_kernelINS1_18TensorListMetadataILi1EEENS1_14UnaryOpFunctorIdLi1ELi1ELi0EEEJNS0_5Log1pIdEEEEEvT_T0_DpT1_
	.p2align	8
	.type	_ZN2at6native12_GLOBAL__N_125multi_tensor_apply_kernelINS1_18TensorListMetadataILi1EEENS1_14UnaryOpFunctorIdLi1ELi1ELi0EEEJNS0_5Log1pIdEEEEEvT_T0_DpT1_,@function
_ZN2at6native12_GLOBAL__N_125multi_tensor_apply_kernelINS1_18TensorListMetadataILi1EEENS1_14UnaryOpFunctorIdLi1ELi1ELi0EEEJNS0_5Log1pIdEEEEEvT_T0_DpT1_: ; @_ZN2at6native12_GLOBAL__N_125multi_tensor_apply_kernelINS1_18TensorListMetadataILi1EEENS1_14UnaryOpFunctorIdLi1ELi1ELi0EEEJNS0_5Log1pIdEEEEEvT_T0_DpT1_
; %bb.0:
	s_bfe_u32 s2, ttmp6, 0x4000c
	s_and_b32 s3, ttmp6, 15
	s_add_co_i32 s2, s2, 1
	s_getreg_b32 s4, hwreg(HW_REG_IB_STS2, 6, 4)
	s_mul_i32 s2, ttmp9, s2
	s_delay_alu instid0(SALU_CYCLE_1)
	s_add_co_i32 s3, s3, s2
	s_cmp_eq_u32 s4, 0
	s_cselect_b32 s2, ttmp9, s3
	s_mov_b32 s3, 0
	s_load_u8 s10, s[0:1], s2 offset:0x6e0
	s_add_nc_u64 s[4:5], s[0:1], s[2:3]
	s_mul_u64 s[6:7], s[2:3], 3
	s_delay_alu instid0(SALU_CYCLE_1)
	s_add_nc_u64 s[4:5], s[4:5], s[6:7]
	s_load_b32 s6, s[4:5], 0x820
	s_wait_kmcnt 0x0
	s_clause 0x1
	s_load_b64 s[8:9], s[0:1], s10 offset:0x0 scale_offset
	s_load_b64 s[12:13], s[0:1], s10 offset:0x370 scale_offset
	s_ashr_i32 s7, s6, 31
	s_wait_kmcnt 0x0
	s_and_b64 s[4:5], s[8:9], 31
	s_and_b32 s2, s12, 3
	s_lshl_b64 s[10:11], s[6:7], 19
	s_or_b64 s[2:3], s[4:5], s[2:3]
	s_lshl_b64 s[4:5], s[6:7], 16
	s_cmp_eq_u64 s[2:3], 0
	s_sub_nc_u64 s[12:13], s[12:13], s[4:5]
	s_cbranch_scc1 .LBB207_21
; %bb.1:
	v_cmp_lt_i64_e64 s2, s[12:13], 1
	s_and_b32 vcc_lo, exec_lo, s2
	s_cbranch_vccnz .LBB207_20
; %bb.2:
	s_load_b32 s4, s[0:1], 0xd3c
	v_min_i64 v[2:3], 0x10000, s[12:13]
	v_min_u64 v[4:5], 0x10000, s[12:13]
	v_dual_mov_b32 v1, 0 :: v_dual_lshlrev_b32 v8, 3, v0
	s_mov_b32 s25, 0
	s_add_nc_u64 s[2:3], s[8:9], s[10:11]
	s_mov_b32 s5, s25
	s_delay_alu instid0(VALU_DEP_1) | instskip(SKIP_3) | instid1(VALU_DEP_2)
	v_dual_mov_b32 v9, v1 :: v_dual_mov_b32 v15, v1
	s_mov_b32 s7, s25
	v_mov_b64_e32 v[16:17], 0x3fc385386b47b09a
	s_mov_b64 s[14:15], 0x3fe5555555555555
	v_add_nc_u64_e32 v[8:9], s[2:3], v[8:9]
	s_mov_b64 s[16:17], 0x3fe62e42fefa39ef
	s_mov_b32 s19, s25
	s_mov_b32 s21, s25
	s_mov_b64 s[26:27], 0
                                        ; implicit-def: $vgpr18_vgpr19
                                        ; implicit-def: $vgpr18_vgpr19
	;; [unrolled: 1-line block ×5, first 2 shown]
	s_wait_kmcnt 0x0
	s_and_b32 s24, s4, 0xffff
	s_delay_alu instid0(SALU_CYCLE_1)
	v_add_nc_u64_e32 v[6:7], s[24:25], v[0:1]
	s_lshl_b32 s4, s24, 1
	s_mul_i32 s6, s24, 3
	v_add_nc_u64_e32 v[12:13], s[4:5], v[0:1]
	v_add_nc_u64_e32 v[10:11], s[6:7], v[0:1]
	s_lshl_b32 s18, s24, 2
	s_lshl_b32 s20, s24, 5
	v_lshlrev_b32_e32 v14, 3, v6
	s_mul_u64 s[22:23], s[24:25], 24
	s_lshl_b32 s24, s24, 4
	s_delay_alu instid0(VALU_DEP_1)
	v_add_nc_u64_e32 v[14:15], s[2:3], v[14:15]
	s_branch .LBB207_4
.LBB207_3:                              ;   in Loop: Header=BB207_4 Depth=1
	s_wait_xcnt 0x0
	s_or_b32 exec_lo, exec_lo, s4
	s_add_nc_u64 s[26:27], s[26:27], s[18:19]
	v_add_nc_u64_e32 v[8:9], s[20:21], v[8:9]
	v_cmp_lt_i64_e32 vcc_lo, s[26:27], v[2:3]
	v_add_nc_u64_e32 v[14:15], s[20:21], v[14:15]
	s_cbranch_vccz .LBB207_20
.LBB207_4:                              ; =>This Inner Loop Header: Depth=1
	s_wait_loadcnt 0x0
	v_add_nc_u64_e32 v[18:19], s[26:27], v[0:1]
	v_mov_b64_e32 v[26:27], 0
	v_mov_b64_e32 v[28:29], 0
	s_delay_alu instid0(VALU_DEP_3)
	v_cmp_lt_u64_e64 s4, v[18:19], v[4:5]
	s_and_saveexec_b32 s2, s4
	s_cbranch_execz .LBB207_6
; %bb.5:                                ;   in Loop: Header=BB207_4 Depth=1
	global_load_b64 v[28:29], v[8:9], off
.LBB207_6:                              ;   in Loop: Header=BB207_4 Depth=1
	s_wait_xcnt 0x0
	s_or_b32 exec_lo, exec_lo, s2
	v_add_nc_u64_e32 v[18:19], s[26:27], v[6:7]
	s_delay_alu instid0(VALU_DEP_1)
	v_cmp_lt_u64_e64 s3, v[18:19], v[4:5]
	s_and_saveexec_b32 s2, s3
	s_cbranch_execz .LBB207_8
; %bb.7:                                ;   in Loop: Header=BB207_4 Depth=1
	global_load_b64 v[26:27], v[14:15], off
.LBB207_8:                              ;   in Loop: Header=BB207_4 Depth=1
	s_wait_xcnt 0x0
	s_or_b32 exec_lo, exec_lo, s2
	v_add_nc_u64_e32 v[20:21], s[26:27], v[12:13]
	v_mov_b64_e32 v[18:19], 0
	v_add_nc_u64_e32 v[22:23], s[24:25], v[8:9]
	v_mov_b64_e32 v[24:25], 0
	s_delay_alu instid0(VALU_DEP_4)
	v_cmp_lt_u64_e64 s2, v[20:21], v[4:5]
	s_and_saveexec_b32 s5, s2
	s_cbranch_execz .LBB207_10
; %bb.9:                                ;   in Loop: Header=BB207_4 Depth=1
	global_load_b64 v[24:25], v[22:23], off
.LBB207_10:                             ;   in Loop: Header=BB207_4 Depth=1
	s_wait_xcnt 0x0
	s_or_b32 exec_lo, exec_lo, s5
	v_add_nc_u64_e32 v[20:21], s[26:27], v[10:11]
	s_delay_alu instid0(VALU_DEP_1)
	v_cmp_lt_u64_e32 vcc_lo, v[20:21], v[4:5]
	v_add_nc_u64_e32 v[20:21], s[22:23], v[8:9]
	s_and_saveexec_b32 s5, vcc_lo
	s_cbranch_execnz .LBB207_15
; %bb.11:                               ;   in Loop: Header=BB207_4 Depth=1
	s_or_b32 exec_lo, exec_lo, s5
	s_and_saveexec_b32 s7, s4
	s_cbranch_execnz .LBB207_16
.LBB207_12:                             ;   in Loop: Header=BB207_4 Depth=1
	s_or_b32 exec_lo, exec_lo, s7
	s_and_saveexec_b32 s6, s3
	s_cbranch_execnz .LBB207_17
.LBB207_13:                             ;   in Loop: Header=BB207_4 Depth=1
	s_or_b32 exec_lo, exec_lo, s6
	s_and_saveexec_b32 s5, s2
	s_cbranch_execnz .LBB207_18
.LBB207_14:                             ;   in Loop: Header=BB207_4 Depth=1
	s_or_b32 exec_lo, exec_lo, s5
	s_and_saveexec_b32 s4, vcc_lo
	s_cbranch_execz .LBB207_3
	s_branch .LBB207_19
.LBB207_15:                             ;   in Loop: Header=BB207_4 Depth=1
	global_load_b64 v[18:19], v[20:21], off
	s_wait_xcnt 0x0
	s_or_b32 exec_lo, exec_lo, s5
	s_and_saveexec_b32 s7, s4
	s_cbranch_execz .LBB207_12
.LBB207_16:                             ;   in Loop: Header=BB207_4 Depth=1
	s_wait_loadcnt 0x0
	v_add_f64_e32 v[30:31], 1.0, v[28:29]
	v_cmp_neq_f64_e64 s5, 0x7ff00000, v[28:29]
	v_cmp_ngt_f64_e64 s6, -1.0, v[28:29]
	s_delay_alu instid0(VALU_DEP_3) | instskip(SKIP_1) | instid1(VALU_DEP_2)
	v_frexp_mant_f64_e32 v[32:33], v[30:31]
	v_frexp_exp_i32_f64_e32 v36, v[30:31]
	v_cmp_gt_f64_e64 s4, s[14:15], v[32:33]
	s_delay_alu instid0(VALU_DEP_1) | instskip(SKIP_2) | instid1(VALU_DEP_2)
	v_subrev_co_ci_u32_e64 v52, null, 0, v36, s4
	v_add_f64_e32 v[34:35], -1.0, v[30:31]
	v_cmp_nge_f64_e64 s4, -1.0, v[28:29]
	v_dual_add_f64 v[32:33], v[34:35], -v[30:31] :: v_dual_sub_nc_u32 v38, 0, v52
	s_delay_alu instid0(VALU_DEP_1) | instskip(SKIP_2) | instid1(VALU_DEP_3)
	v_ldexp_f64 v[30:31], v[30:31], v38
	v_add_f64_e64 v[34:35], v[28:29], -v[34:35]
	s_and_b32 s4, s4, s5
	v_add_f64_e32 v[32:33], 1.0, v[32:33]
	s_delay_alu instid0(VALU_DEP_3) | instskip(SKIP_1) | instid1(VALU_DEP_3)
	v_add_f64_e32 v[36:37], 1.0, v[30:31]
	v_add_f64_e32 v[42:43], -1.0, v[30:31]
	v_add_f64_e32 v[32:33], v[34:35], v[32:33]
	s_delay_alu instid0(VALU_DEP_3) | instskip(NEXT) | instid1(VALU_DEP_3)
	v_add_f64_e32 v[34:35], -1.0, v[36:37]
	v_add_f64_e32 v[44:45], 1.0, v[42:43]
	s_delay_alu instid0(VALU_DEP_3) | instskip(NEXT) | instid1(VALU_DEP_3)
	v_ldexp_f64 v[32:33], v[32:33], v38
	v_add_f64_e64 v[34:35], v[30:31], -v[34:35]
	s_delay_alu instid0(VALU_DEP_3) | instskip(NEXT) | instid1(VALU_DEP_2)
	v_add_f64_e64 v[30:31], v[30:31], -v[44:45]
	v_add_f64_e32 v[34:35], v[32:33], v[34:35]
	s_delay_alu instid0(VALU_DEP_2) | instskip(NEXT) | instid1(VALU_DEP_2)
	v_add_f64_e32 v[30:31], v[32:33], v[30:31]
	v_add_f64_e32 v[38:39], v[36:37], v[34:35]
	s_delay_alu instid0(VALU_DEP_2) | instskip(NEXT) | instid1(VALU_DEP_2)
	v_add_f64_e32 v[44:45], v[42:43], v[30:31]
	v_rcp_f64_e32 v[40:41], v[38:39]
	v_add_f64_e64 v[36:37], v[38:39], -v[36:37]
	s_delay_alu instid0(VALU_DEP_2) | instskip(NEXT) | instid1(VALU_DEP_2)
	v_add_f64_e64 v[42:43], v[44:45], -v[42:43]
	v_add_f64_e64 v[34:35], v[34:35], -v[36:37]
	s_delay_alu instid0(VALU_DEP_2) | instskip(NEXT) | instid1(TRANS32_DEP_1)
	v_add_f64_e64 v[30:31], v[30:31], -v[42:43]
	v_fma_f64 v[46:47], -v[38:39], v[40:41], 1.0
	s_delay_alu instid0(VALU_DEP_1) | instskip(NEXT) | instid1(VALU_DEP_1)
	v_fmac_f64_e32 v[40:41], v[46:47], v[40:41]
	v_fma_f64 v[32:33], -v[38:39], v[40:41], 1.0
	s_delay_alu instid0(VALU_DEP_1) | instskip(NEXT) | instid1(VALU_DEP_1)
	v_fmac_f64_e32 v[40:41], v[32:33], v[40:41]
	v_mul_f64_e32 v[32:33], v[44:45], v[40:41]
	s_delay_alu instid0(VALU_DEP_1) | instskip(NEXT) | instid1(VALU_DEP_1)
	v_mul_f64_e32 v[46:47], v[38:39], v[32:33]
	v_fma_f64 v[36:37], v[32:33], v[38:39], -v[46:47]
	s_delay_alu instid0(VALU_DEP_1) | instskip(NEXT) | instid1(VALU_DEP_1)
	v_fmac_f64_e32 v[36:37], v[32:33], v[34:35]
	v_add_f64_e32 v[48:49], v[46:47], v[36:37]
	s_delay_alu instid0(VALU_DEP_1) | instskip(SKIP_1) | instid1(VALU_DEP_2)
	v_add_f64_e64 v[50:51], v[44:45], -v[48:49]
	v_add_f64_e64 v[46:47], v[48:49], -v[46:47]
	;; [unrolled: 1-line block ×3, first 2 shown]
	s_delay_alu instid0(VALU_DEP_2) | instskip(NEXT) | instid1(VALU_DEP_2)
	v_add_f64_e64 v[36:37], v[46:47], -v[36:37]
	v_add_f64_e64 v[42:43], v[44:45], -v[48:49]
	s_delay_alu instid0(VALU_DEP_1) | instskip(NEXT) | instid1(VALU_DEP_1)
	v_add_f64_e32 v[30:31], v[30:31], v[42:43]
	v_add_f64_e32 v[30:31], v[36:37], v[30:31]
	s_delay_alu instid0(VALU_DEP_1) | instskip(NEXT) | instid1(VALU_DEP_1)
	v_add_f64_e32 v[36:37], v[50:51], v[30:31]
	v_mul_f64_e32 v[42:43], v[40:41], v[36:37]
	v_add_f64_e64 v[48:49], v[50:51], -v[36:37]
	s_delay_alu instid0(VALU_DEP_2) | instskip(NEXT) | instid1(VALU_DEP_2)
	v_mul_f64_e32 v[44:45], v[38:39], v[42:43]
	v_add_f64_e32 v[30:31], v[30:31], v[48:49]
	s_delay_alu instid0(VALU_DEP_2) | instskip(NEXT) | instid1(VALU_DEP_1)
	v_fma_f64 v[38:39], v[42:43], v[38:39], -v[44:45]
	v_fmac_f64_e32 v[38:39], v[42:43], v[34:35]
	s_delay_alu instid0(VALU_DEP_1) | instskip(NEXT) | instid1(VALU_DEP_1)
	v_add_f64_e32 v[34:35], v[44:45], v[38:39]
	v_add_f64_e64 v[46:47], v[36:37], -v[34:35]
	v_add_f64_e64 v[44:45], v[34:35], -v[44:45]
	s_delay_alu instid0(VALU_DEP_2) | instskip(NEXT) | instid1(VALU_DEP_1)
	v_add_f64_e64 v[36:37], v[36:37], -v[46:47]
	v_add_f64_e64 v[34:35], v[36:37], -v[34:35]
	s_delay_alu instid0(VALU_DEP_3) | instskip(NEXT) | instid1(VALU_DEP_2)
	v_add_f64_e64 v[36:37], v[44:45], -v[38:39]
	v_add_f64_e32 v[30:31], v[30:31], v[34:35]
	v_add_f64_e32 v[34:35], v[32:33], v[42:43]
	s_delay_alu instid0(VALU_DEP_2) | instskip(NEXT) | instid1(VALU_DEP_2)
	v_add_f64_e32 v[30:31], v[36:37], v[30:31]
	v_add_f64_e64 v[32:33], v[34:35], -v[32:33]
	s_delay_alu instid0(VALU_DEP_2) | instskip(NEXT) | instid1(VALU_DEP_2)
	v_add_f64_e32 v[30:31], v[46:47], v[30:31]
	v_add_f64_e64 v[32:33], v[42:43], -v[32:33]
	s_delay_alu instid0(VALU_DEP_2) | instskip(NEXT) | instid1(VALU_DEP_1)
	v_mul_f64_e32 v[30:31], v[40:41], v[30:31]
	v_add_f64_e32 v[30:31], v[32:33], v[30:31]
	s_delay_alu instid0(VALU_DEP_1) | instskip(NEXT) | instid1(VALU_DEP_1)
	v_add_f64_e32 v[32:33], v[34:35], v[30:31]
	v_mul_f64_e32 v[36:37], v[32:33], v[32:33]
	s_delay_alu instid0(VALU_DEP_1) | instskip(SKIP_1) | instid1(VALU_DEP_2)
	v_fmamk_f64 v[38:39], v[36:37], 0x3fc3ab76bf559e2b, v[16:17]
	v_mul_f64_e32 v[40:41], v[32:33], v[36:37]
	v_fmaak_f64 v[38:39], v[36:37], v[38:39], 0x3fc7474dd7f4df2e
	s_delay_alu instid0(VALU_DEP_1) | instskip(NEXT) | instid1(VALU_DEP_1)
	v_fmaak_f64 v[38:39], v[36:37], v[38:39], 0x3fcc71c016291751
	v_fmaak_f64 v[38:39], v[36:37], v[38:39], 0x3fd249249b27acf1
	s_delay_alu instid0(VALU_DEP_1) | instskip(NEXT) | instid1(VALU_DEP_1)
	v_fmaak_f64 v[38:39], v[36:37], v[38:39], 0x3fd99999998ef7b6
	v_fmaak_f64 v[36:37], v[36:37], v[38:39], 0x3fe5555555555780
	v_ldexp_f64 v[38:39], v[32:33], 1
	v_add_f64_e64 v[32:33], v[32:33], -v[34:35]
	s_delay_alu instid0(VALU_DEP_3) | instskip(SKIP_1) | instid1(VALU_DEP_3)
	v_mul_f64_e32 v[36:37], v[40:41], v[36:37]
	v_cvt_f64_i32_e32 v[40:41], v52
	v_add_f64_e64 v[30:31], v[30:31], -v[32:33]
	s_delay_alu instid0(VALU_DEP_3) | instskip(NEXT) | instid1(VALU_DEP_3)
	v_add_f64_e32 v[34:35], v[38:39], v[36:37]
	v_mul_f64_e32 v[42:43], 0x3fe62e42fefa39ef, v[40:41]
	s_delay_alu instid0(VALU_DEP_3) | instskip(NEXT) | instid1(VALU_DEP_3)
	v_ldexp_f64 v[30:31], v[30:31], 1
	v_add_f64_e64 v[32:33], v[34:35], -v[38:39]
	s_delay_alu instid0(VALU_DEP_3) | instskip(NEXT) | instid1(VALU_DEP_2)
	v_fma_f64 v[38:39], v[40:41], s[16:17], -v[42:43]
	v_add_f64_e64 v[32:33], v[36:37], -v[32:33]
	s_delay_alu instid0(VALU_DEP_2) | instskip(NEXT) | instid1(VALU_DEP_2)
	v_fmac_f64_e32 v[38:39], 0x3c7abc9e3b39803f, v[40:41]
	v_add_f64_e32 v[30:31], v[30:31], v[32:33]
	s_delay_alu instid0(VALU_DEP_2) | instskip(NEXT) | instid1(VALU_DEP_2)
	v_add_f64_e32 v[32:33], v[42:43], v[38:39]
	v_add_f64_e32 v[36:37], v[34:35], v[30:31]
	s_delay_alu instid0(VALU_DEP_2) | instskip(NEXT) | instid1(VALU_DEP_2)
	v_add_f64_e64 v[42:43], v[32:33], -v[42:43]
	v_add_f64_e32 v[40:41], v[32:33], v[36:37]
	v_add_f64_e64 v[34:35], v[36:37], -v[34:35]
	s_delay_alu instid0(VALU_DEP_3) | instskip(NEXT) | instid1(VALU_DEP_3)
	v_add_f64_e64 v[38:39], v[38:39], -v[42:43]
	v_add_f64_e64 v[44:45], v[40:41], -v[32:33]
	s_delay_alu instid0(VALU_DEP_3) | instskip(NEXT) | instid1(VALU_DEP_2)
	v_add_f64_e64 v[30:31], v[30:31], -v[34:35]
	v_add_f64_e64 v[46:47], v[40:41], -v[44:45]
	;; [unrolled: 1-line block ×3, first 2 shown]
	s_delay_alu instid0(VALU_DEP_3) | instskip(NEXT) | instid1(VALU_DEP_3)
	v_add_f64_e32 v[36:37], v[38:39], v[30:31]
	v_add_f64_e64 v[32:33], v[32:33], -v[46:47]
	s_delay_alu instid0(VALU_DEP_1) | instskip(NEXT) | instid1(VALU_DEP_3)
	v_add_f64_e32 v[32:33], v[34:35], v[32:33]
	v_add_f64_e64 v[34:35], v[36:37], -v[38:39]
	s_delay_alu instid0(VALU_DEP_2) | instskip(NEXT) | instid1(VALU_DEP_2)
	v_add_f64_e32 v[32:33], v[36:37], v[32:33]
	v_add_f64_e64 v[36:37], v[36:37], -v[34:35]
	v_add_f64_e64 v[30:31], v[30:31], -v[34:35]
	s_delay_alu instid0(VALU_DEP_3) | instskip(NEXT) | instid1(VALU_DEP_3)
	v_add_f64_e32 v[42:43], v[40:41], v[32:33]
	v_add_f64_e64 v[34:35], v[38:39], -v[36:37]
	s_delay_alu instid0(VALU_DEP_2) | instskip(NEXT) | instid1(VALU_DEP_2)
	v_add_f64_e64 v[36:37], v[42:43], -v[40:41]
	v_add_f64_e32 v[30:31], v[30:31], v[34:35]
	s_delay_alu instid0(VALU_DEP_2) | instskip(NEXT) | instid1(VALU_DEP_1)
	v_add_f64_e64 v[32:33], v[32:33], -v[36:37]
	v_add_f64_e32 v[30:31], v[30:31], v[32:33]
	s_delay_alu instid0(VALU_DEP_1) | instskip(NEXT) | instid1(VALU_DEP_1)
	v_add_f64_e32 v[30:31], v[42:43], v[30:31]
	v_cndmask_b32_e64 v30, 0, v30, s4
	v_cmp_neq_f64_e64 s4, -1.0, v[28:29]
	s_delay_alu instid0(VALU_DEP_3) | instskip(NEXT) | instid1(VALU_DEP_1)
	v_cndmask_b32_e64 v31, 0x7ff00000, v31, s5
	v_cndmask_b32_e64 v31, 0x7ff80000, v31, s6
	s_delay_alu instid0(VALU_DEP_1)
	v_cndmask_b32_e64 v31, 0xfff00000, v31, s4
	global_store_b64 v[8:9], v[30:31], off
	s_wait_xcnt 0x0
	s_or_b32 exec_lo, exec_lo, s7
	s_and_saveexec_b32 s6, s3
	s_cbranch_execz .LBB207_13
.LBB207_17:                             ;   in Loop: Header=BB207_4 Depth=1
	s_wait_loadcnt 0x0
	v_add_f64_e32 v[28:29], 1.0, v[26:27]
	v_cmp_neq_f64_e64 s4, 0x7ff00000, v[26:27]
	v_cmp_ngt_f64_e64 s5, -1.0, v[26:27]
	s_delay_alu instid0(VALU_DEP_3) | instskip(SKIP_1) | instid1(VALU_DEP_2)
	v_frexp_mant_f64_e32 v[30:31], v[28:29]
	v_frexp_exp_i32_f64_e32 v34, v[28:29]
	v_cmp_gt_f64_e64 s3, s[14:15], v[30:31]
	s_delay_alu instid0(VALU_DEP_1) | instskip(SKIP_2) | instid1(VALU_DEP_2)
	v_subrev_co_ci_u32_e64 v50, null, 0, v34, s3
	v_add_f64_e32 v[32:33], -1.0, v[28:29]
	v_cmp_nge_f64_e64 s3, -1.0, v[26:27]
	v_dual_add_f64 v[30:31], v[32:33], -v[28:29] :: v_dual_sub_nc_u32 v36, 0, v50
	s_delay_alu instid0(VALU_DEP_1) | instskip(SKIP_2) | instid1(VALU_DEP_3)
	v_ldexp_f64 v[28:29], v[28:29], v36
	v_add_f64_e64 v[32:33], v[26:27], -v[32:33]
	s_and_b32 s3, s3, s4
	v_add_f64_e32 v[30:31], 1.0, v[30:31]
	s_delay_alu instid0(VALU_DEP_3) | instskip(SKIP_1) | instid1(VALU_DEP_3)
	v_add_f64_e32 v[34:35], 1.0, v[28:29]
	v_add_f64_e32 v[40:41], -1.0, v[28:29]
	v_add_f64_e32 v[30:31], v[32:33], v[30:31]
	s_delay_alu instid0(VALU_DEP_3) | instskip(NEXT) | instid1(VALU_DEP_3)
	v_add_f64_e32 v[32:33], -1.0, v[34:35]
	v_add_f64_e32 v[42:43], 1.0, v[40:41]
	s_delay_alu instid0(VALU_DEP_3) | instskip(NEXT) | instid1(VALU_DEP_3)
	v_ldexp_f64 v[30:31], v[30:31], v36
	v_add_f64_e64 v[32:33], v[28:29], -v[32:33]
	s_delay_alu instid0(VALU_DEP_3) | instskip(NEXT) | instid1(VALU_DEP_2)
	v_add_f64_e64 v[28:29], v[28:29], -v[42:43]
	v_add_f64_e32 v[32:33], v[30:31], v[32:33]
	s_delay_alu instid0(VALU_DEP_2) | instskip(NEXT) | instid1(VALU_DEP_2)
	v_add_f64_e32 v[28:29], v[30:31], v[28:29]
	v_add_f64_e32 v[36:37], v[34:35], v[32:33]
	s_delay_alu instid0(VALU_DEP_2) | instskip(NEXT) | instid1(VALU_DEP_2)
	v_add_f64_e32 v[42:43], v[40:41], v[28:29]
	v_rcp_f64_e32 v[38:39], v[36:37]
	v_add_f64_e64 v[34:35], v[36:37], -v[34:35]
	s_delay_alu instid0(VALU_DEP_2) | instskip(NEXT) | instid1(VALU_DEP_2)
	v_add_f64_e64 v[40:41], v[42:43], -v[40:41]
	v_add_f64_e64 v[32:33], v[32:33], -v[34:35]
	s_delay_alu instid0(VALU_DEP_2) | instskip(NEXT) | instid1(TRANS32_DEP_1)
	v_add_f64_e64 v[28:29], v[28:29], -v[40:41]
	v_fma_f64 v[44:45], -v[36:37], v[38:39], 1.0
	s_delay_alu instid0(VALU_DEP_1) | instskip(NEXT) | instid1(VALU_DEP_1)
	v_fmac_f64_e32 v[38:39], v[44:45], v[38:39]
	v_fma_f64 v[30:31], -v[36:37], v[38:39], 1.0
	s_delay_alu instid0(VALU_DEP_1) | instskip(NEXT) | instid1(VALU_DEP_1)
	v_fmac_f64_e32 v[38:39], v[30:31], v[38:39]
	v_mul_f64_e32 v[30:31], v[42:43], v[38:39]
	s_delay_alu instid0(VALU_DEP_1) | instskip(NEXT) | instid1(VALU_DEP_1)
	v_mul_f64_e32 v[44:45], v[36:37], v[30:31]
	v_fma_f64 v[34:35], v[30:31], v[36:37], -v[44:45]
	s_delay_alu instid0(VALU_DEP_1) | instskip(NEXT) | instid1(VALU_DEP_1)
	v_fmac_f64_e32 v[34:35], v[30:31], v[32:33]
	v_add_f64_e32 v[46:47], v[44:45], v[34:35]
	s_delay_alu instid0(VALU_DEP_1) | instskip(SKIP_1) | instid1(VALU_DEP_2)
	v_add_f64_e64 v[48:49], v[42:43], -v[46:47]
	v_add_f64_e64 v[40:41], v[46:47], -v[44:45]
	;; [unrolled: 1-line block ×3, first 2 shown]
	s_delay_alu instid0(VALU_DEP_2) | instskip(NEXT) | instid1(VALU_DEP_2)
	v_add_f64_e64 v[34:35], v[40:41], -v[34:35]
	v_add_f64_e64 v[42:43], v[42:43], -v[46:47]
	s_delay_alu instid0(VALU_DEP_1) | instskip(NEXT) | instid1(VALU_DEP_1)
	v_add_f64_e32 v[28:29], v[28:29], v[42:43]
	v_add_f64_e32 v[28:29], v[34:35], v[28:29]
	s_delay_alu instid0(VALU_DEP_1) | instskip(NEXT) | instid1(VALU_DEP_1)
	v_add_f64_e32 v[34:35], v[48:49], v[28:29]
	v_mul_f64_e32 v[40:41], v[38:39], v[34:35]
	v_add_f64_e64 v[46:47], v[48:49], -v[34:35]
	s_delay_alu instid0(VALU_DEP_2) | instskip(NEXT) | instid1(VALU_DEP_2)
	v_mul_f64_e32 v[42:43], v[36:37], v[40:41]
	v_add_f64_e32 v[28:29], v[28:29], v[46:47]
	s_delay_alu instid0(VALU_DEP_2) | instskip(NEXT) | instid1(VALU_DEP_1)
	v_fma_f64 v[36:37], v[40:41], v[36:37], -v[42:43]
	v_fmac_f64_e32 v[36:37], v[40:41], v[32:33]
	s_delay_alu instid0(VALU_DEP_1) | instskip(NEXT) | instid1(VALU_DEP_1)
	v_add_f64_e32 v[32:33], v[42:43], v[36:37]
	v_add_f64_e64 v[44:45], v[34:35], -v[32:33]
	v_add_f64_e64 v[42:43], v[32:33], -v[42:43]
	s_delay_alu instid0(VALU_DEP_2) | instskip(NEXT) | instid1(VALU_DEP_1)
	v_add_f64_e64 v[34:35], v[34:35], -v[44:45]
	v_add_f64_e64 v[32:33], v[34:35], -v[32:33]
	s_delay_alu instid0(VALU_DEP_3) | instskip(NEXT) | instid1(VALU_DEP_2)
	v_add_f64_e64 v[34:35], v[42:43], -v[36:37]
	v_add_f64_e32 v[28:29], v[28:29], v[32:33]
	v_add_f64_e32 v[32:33], v[30:31], v[40:41]
	s_delay_alu instid0(VALU_DEP_2) | instskip(NEXT) | instid1(VALU_DEP_2)
	v_add_f64_e32 v[28:29], v[34:35], v[28:29]
	v_add_f64_e64 v[30:31], v[32:33], -v[30:31]
	s_delay_alu instid0(VALU_DEP_2) | instskip(NEXT) | instid1(VALU_DEP_2)
	v_add_f64_e32 v[28:29], v[44:45], v[28:29]
	v_add_f64_e64 v[30:31], v[40:41], -v[30:31]
	s_delay_alu instid0(VALU_DEP_2) | instskip(NEXT) | instid1(VALU_DEP_1)
	v_mul_f64_e32 v[28:29], v[38:39], v[28:29]
	v_add_f64_e32 v[28:29], v[30:31], v[28:29]
	s_delay_alu instid0(VALU_DEP_1) | instskip(NEXT) | instid1(VALU_DEP_1)
	v_add_f64_e32 v[30:31], v[32:33], v[28:29]
	v_mul_f64_e32 v[34:35], v[30:31], v[30:31]
	s_delay_alu instid0(VALU_DEP_1) | instskip(SKIP_1) | instid1(VALU_DEP_2)
	v_fmamk_f64 v[36:37], v[34:35], 0x3fc3ab76bf559e2b, v[16:17]
	v_mul_f64_e32 v[38:39], v[30:31], v[34:35]
	v_fmaak_f64 v[36:37], v[34:35], v[36:37], 0x3fc7474dd7f4df2e
	s_delay_alu instid0(VALU_DEP_1) | instskip(NEXT) | instid1(VALU_DEP_1)
	v_fmaak_f64 v[36:37], v[34:35], v[36:37], 0x3fcc71c016291751
	v_fmaak_f64 v[36:37], v[34:35], v[36:37], 0x3fd249249b27acf1
	s_delay_alu instid0(VALU_DEP_1) | instskip(NEXT) | instid1(VALU_DEP_1)
	v_fmaak_f64 v[36:37], v[34:35], v[36:37], 0x3fd99999998ef7b6
	v_fmaak_f64 v[34:35], v[34:35], v[36:37], 0x3fe5555555555780
	v_ldexp_f64 v[36:37], v[30:31], 1
	v_add_f64_e64 v[30:31], v[30:31], -v[32:33]
	s_delay_alu instid0(VALU_DEP_3) | instskip(SKIP_1) | instid1(VALU_DEP_3)
	v_mul_f64_e32 v[34:35], v[38:39], v[34:35]
	v_cvt_f64_i32_e32 v[38:39], v50
	v_add_f64_e64 v[28:29], v[28:29], -v[30:31]
	s_delay_alu instid0(VALU_DEP_3) | instskip(NEXT) | instid1(VALU_DEP_3)
	v_add_f64_e32 v[32:33], v[36:37], v[34:35]
	v_mul_f64_e32 v[40:41], 0x3fe62e42fefa39ef, v[38:39]
	s_delay_alu instid0(VALU_DEP_3) | instskip(NEXT) | instid1(VALU_DEP_3)
	v_ldexp_f64 v[28:29], v[28:29], 1
	v_add_f64_e64 v[30:31], v[32:33], -v[36:37]
	s_delay_alu instid0(VALU_DEP_3) | instskip(NEXT) | instid1(VALU_DEP_2)
	v_fma_f64 v[36:37], v[38:39], s[16:17], -v[40:41]
	v_add_f64_e64 v[30:31], v[34:35], -v[30:31]
	s_delay_alu instid0(VALU_DEP_2) | instskip(NEXT) | instid1(VALU_DEP_2)
	v_fmac_f64_e32 v[36:37], 0x3c7abc9e3b39803f, v[38:39]
	v_add_f64_e32 v[28:29], v[28:29], v[30:31]
	s_delay_alu instid0(VALU_DEP_2) | instskip(NEXT) | instid1(VALU_DEP_2)
	v_add_f64_e32 v[30:31], v[40:41], v[36:37]
	v_add_f64_e32 v[34:35], v[32:33], v[28:29]
	s_delay_alu instid0(VALU_DEP_2) | instskip(NEXT) | instid1(VALU_DEP_2)
	v_add_f64_e64 v[40:41], v[30:31], -v[40:41]
	v_add_f64_e32 v[38:39], v[30:31], v[34:35]
	v_add_f64_e64 v[32:33], v[34:35], -v[32:33]
	s_delay_alu instid0(VALU_DEP_3) | instskip(NEXT) | instid1(VALU_DEP_3)
	v_add_f64_e64 v[36:37], v[36:37], -v[40:41]
	v_add_f64_e64 v[42:43], v[38:39], -v[30:31]
	s_delay_alu instid0(VALU_DEP_3) | instskip(NEXT) | instid1(VALU_DEP_2)
	v_add_f64_e64 v[28:29], v[28:29], -v[32:33]
	v_add_f64_e64 v[44:45], v[38:39], -v[42:43]
	v_add_f64_e64 v[32:33], v[34:35], -v[42:43]
	s_delay_alu instid0(VALU_DEP_3) | instskip(NEXT) | instid1(VALU_DEP_3)
	v_add_f64_e32 v[34:35], v[36:37], v[28:29]
	v_add_f64_e64 v[30:31], v[30:31], -v[44:45]
	s_delay_alu instid0(VALU_DEP_1) | instskip(NEXT) | instid1(VALU_DEP_3)
	v_add_f64_e32 v[30:31], v[32:33], v[30:31]
	v_add_f64_e64 v[32:33], v[34:35], -v[36:37]
	s_delay_alu instid0(VALU_DEP_2) | instskip(NEXT) | instid1(VALU_DEP_2)
	v_add_f64_e32 v[30:31], v[34:35], v[30:31]
	v_add_f64_e64 v[34:35], v[34:35], -v[32:33]
	v_add_f64_e64 v[28:29], v[28:29], -v[32:33]
	s_delay_alu instid0(VALU_DEP_3) | instskip(NEXT) | instid1(VALU_DEP_3)
	v_add_f64_e32 v[40:41], v[38:39], v[30:31]
	v_add_f64_e64 v[34:35], v[36:37], -v[34:35]
	s_delay_alu instid0(VALU_DEP_2) | instskip(NEXT) | instid1(VALU_DEP_2)
	v_add_f64_e64 v[32:33], v[40:41], -v[38:39]
	v_add_f64_e32 v[28:29], v[28:29], v[34:35]
	s_delay_alu instid0(VALU_DEP_2) | instskip(NEXT) | instid1(VALU_DEP_1)
	v_add_f64_e64 v[30:31], v[30:31], -v[32:33]
	v_add_f64_e32 v[28:29], v[28:29], v[30:31]
	s_delay_alu instid0(VALU_DEP_1) | instskip(NEXT) | instid1(VALU_DEP_1)
	v_add_f64_e32 v[28:29], v[40:41], v[28:29]
	v_cndmask_b32_e64 v28, 0, v28, s3
	v_cmp_neq_f64_e64 s3, -1.0, v[26:27]
	s_delay_alu instid0(VALU_DEP_3) | instskip(NEXT) | instid1(VALU_DEP_1)
	v_cndmask_b32_e64 v29, 0x7ff00000, v29, s4
	v_cndmask_b32_e64 v29, 0x7ff80000, v29, s5
	s_delay_alu instid0(VALU_DEP_1)
	v_cndmask_b32_e64 v29, 0xfff00000, v29, s3
	global_store_b64 v[14:15], v[28:29], off
	s_wait_xcnt 0x0
	s_or_b32 exec_lo, exec_lo, s6
	s_and_saveexec_b32 s5, s2
	s_cbranch_execz .LBB207_14
.LBB207_18:                             ;   in Loop: Header=BB207_4 Depth=1
	s_wait_loadcnt 0x0
	v_add_f64_e32 v[26:27], 1.0, v[24:25]
	v_cmp_neq_f64_e64 s3, 0x7ff00000, v[24:25]
	v_cmp_ngt_f64_e64 s4, -1.0, v[24:25]
	s_delay_alu instid0(VALU_DEP_3) | instskip(SKIP_1) | instid1(VALU_DEP_2)
	v_frexp_mant_f64_e32 v[28:29], v[26:27]
	v_frexp_exp_i32_f64_e32 v32, v[26:27]
	v_cmp_gt_f64_e64 s2, s[14:15], v[28:29]
	s_delay_alu instid0(VALU_DEP_1) | instskip(SKIP_2) | instid1(VALU_DEP_2)
	v_subrev_co_ci_u32_e64 v48, null, 0, v32, s2
	v_add_f64_e32 v[30:31], -1.0, v[26:27]
	v_cmp_nge_f64_e64 s2, -1.0, v[24:25]
	v_dual_add_f64 v[28:29], v[30:31], -v[26:27] :: v_dual_sub_nc_u32 v34, 0, v48
	s_delay_alu instid0(VALU_DEP_1) | instskip(SKIP_2) | instid1(VALU_DEP_3)
	v_ldexp_f64 v[26:27], v[26:27], v34
	v_add_f64_e64 v[30:31], v[24:25], -v[30:31]
	s_and_b32 s2, s2, s3
	v_add_f64_e32 v[28:29], 1.0, v[28:29]
	s_delay_alu instid0(VALU_DEP_3) | instskip(SKIP_1) | instid1(VALU_DEP_3)
	v_add_f64_e32 v[32:33], 1.0, v[26:27]
	v_add_f64_e32 v[38:39], -1.0, v[26:27]
	v_add_f64_e32 v[28:29], v[30:31], v[28:29]
	s_delay_alu instid0(VALU_DEP_3) | instskip(NEXT) | instid1(VALU_DEP_3)
	v_add_f64_e32 v[30:31], -1.0, v[32:33]
	v_add_f64_e32 v[40:41], 1.0, v[38:39]
	s_delay_alu instid0(VALU_DEP_3) | instskip(NEXT) | instid1(VALU_DEP_3)
	v_ldexp_f64 v[28:29], v[28:29], v34
	v_add_f64_e64 v[30:31], v[26:27], -v[30:31]
	s_delay_alu instid0(VALU_DEP_3) | instskip(NEXT) | instid1(VALU_DEP_2)
	v_add_f64_e64 v[26:27], v[26:27], -v[40:41]
	v_add_f64_e32 v[30:31], v[28:29], v[30:31]
	s_delay_alu instid0(VALU_DEP_2) | instskip(NEXT) | instid1(VALU_DEP_2)
	v_add_f64_e32 v[26:27], v[28:29], v[26:27]
	v_add_f64_e32 v[34:35], v[32:33], v[30:31]
	s_delay_alu instid0(VALU_DEP_2) | instskip(NEXT) | instid1(VALU_DEP_2)
	v_add_f64_e32 v[40:41], v[38:39], v[26:27]
	v_rcp_f64_e32 v[36:37], v[34:35]
	v_add_f64_e64 v[32:33], v[34:35], -v[32:33]
	s_delay_alu instid0(VALU_DEP_2) | instskip(NEXT) | instid1(VALU_DEP_2)
	v_add_f64_e64 v[38:39], v[40:41], -v[38:39]
	v_add_f64_e64 v[30:31], v[30:31], -v[32:33]
	s_delay_alu instid0(VALU_DEP_2) | instskip(NEXT) | instid1(TRANS32_DEP_1)
	v_add_f64_e64 v[26:27], v[26:27], -v[38:39]
	v_fma_f64 v[42:43], -v[34:35], v[36:37], 1.0
	s_delay_alu instid0(VALU_DEP_1) | instskip(NEXT) | instid1(VALU_DEP_1)
	v_fmac_f64_e32 v[36:37], v[42:43], v[36:37]
	v_fma_f64 v[28:29], -v[34:35], v[36:37], 1.0
	s_delay_alu instid0(VALU_DEP_1) | instskip(NEXT) | instid1(VALU_DEP_1)
	v_fmac_f64_e32 v[36:37], v[28:29], v[36:37]
	v_mul_f64_e32 v[28:29], v[40:41], v[36:37]
	s_delay_alu instid0(VALU_DEP_1) | instskip(NEXT) | instid1(VALU_DEP_1)
	v_mul_f64_e32 v[42:43], v[34:35], v[28:29]
	v_fma_f64 v[32:33], v[28:29], v[34:35], -v[42:43]
	s_delay_alu instid0(VALU_DEP_1) | instskip(NEXT) | instid1(VALU_DEP_1)
	v_fmac_f64_e32 v[32:33], v[28:29], v[30:31]
	v_add_f64_e32 v[44:45], v[42:43], v[32:33]
	s_delay_alu instid0(VALU_DEP_1) | instskip(SKIP_1) | instid1(VALU_DEP_2)
	v_add_f64_e64 v[46:47], v[40:41], -v[44:45]
	v_add_f64_e64 v[38:39], v[44:45], -v[42:43]
	;; [unrolled: 1-line block ×3, first 2 shown]
	s_delay_alu instid0(VALU_DEP_2) | instskip(NEXT) | instid1(VALU_DEP_2)
	v_add_f64_e64 v[32:33], v[38:39], -v[32:33]
	v_add_f64_e64 v[40:41], v[40:41], -v[44:45]
	s_delay_alu instid0(VALU_DEP_1) | instskip(NEXT) | instid1(VALU_DEP_1)
	v_add_f64_e32 v[26:27], v[26:27], v[40:41]
	v_add_f64_e32 v[26:27], v[32:33], v[26:27]
	s_delay_alu instid0(VALU_DEP_1) | instskip(NEXT) | instid1(VALU_DEP_1)
	v_add_f64_e32 v[32:33], v[46:47], v[26:27]
	v_mul_f64_e32 v[38:39], v[36:37], v[32:33]
	v_add_f64_e64 v[44:45], v[46:47], -v[32:33]
	s_delay_alu instid0(VALU_DEP_2) | instskip(NEXT) | instid1(VALU_DEP_2)
	v_mul_f64_e32 v[40:41], v[34:35], v[38:39]
	v_add_f64_e32 v[26:27], v[26:27], v[44:45]
	s_delay_alu instid0(VALU_DEP_2) | instskip(NEXT) | instid1(VALU_DEP_1)
	v_fma_f64 v[34:35], v[38:39], v[34:35], -v[40:41]
	v_fmac_f64_e32 v[34:35], v[38:39], v[30:31]
	s_delay_alu instid0(VALU_DEP_1) | instskip(NEXT) | instid1(VALU_DEP_1)
	v_add_f64_e32 v[30:31], v[40:41], v[34:35]
	v_add_f64_e64 v[42:43], v[32:33], -v[30:31]
	v_add_f64_e64 v[40:41], v[30:31], -v[40:41]
	s_delay_alu instid0(VALU_DEP_2) | instskip(NEXT) | instid1(VALU_DEP_1)
	v_add_f64_e64 v[32:33], v[32:33], -v[42:43]
	v_add_f64_e64 v[30:31], v[32:33], -v[30:31]
	s_delay_alu instid0(VALU_DEP_3) | instskip(NEXT) | instid1(VALU_DEP_2)
	v_add_f64_e64 v[32:33], v[40:41], -v[34:35]
	v_add_f64_e32 v[26:27], v[26:27], v[30:31]
	v_add_f64_e32 v[30:31], v[28:29], v[38:39]
	s_delay_alu instid0(VALU_DEP_2) | instskip(NEXT) | instid1(VALU_DEP_2)
	v_add_f64_e32 v[26:27], v[32:33], v[26:27]
	v_add_f64_e64 v[28:29], v[30:31], -v[28:29]
	s_delay_alu instid0(VALU_DEP_2) | instskip(NEXT) | instid1(VALU_DEP_2)
	v_add_f64_e32 v[26:27], v[42:43], v[26:27]
	v_add_f64_e64 v[28:29], v[38:39], -v[28:29]
	s_delay_alu instid0(VALU_DEP_2) | instskip(NEXT) | instid1(VALU_DEP_1)
	v_mul_f64_e32 v[26:27], v[36:37], v[26:27]
	v_add_f64_e32 v[26:27], v[28:29], v[26:27]
	s_delay_alu instid0(VALU_DEP_1) | instskip(NEXT) | instid1(VALU_DEP_1)
	v_add_f64_e32 v[28:29], v[30:31], v[26:27]
	v_mul_f64_e32 v[32:33], v[28:29], v[28:29]
	s_delay_alu instid0(VALU_DEP_1) | instskip(SKIP_1) | instid1(VALU_DEP_2)
	v_fmamk_f64 v[34:35], v[32:33], 0x3fc3ab76bf559e2b, v[16:17]
	v_mul_f64_e32 v[36:37], v[28:29], v[32:33]
	v_fmaak_f64 v[34:35], v[32:33], v[34:35], 0x3fc7474dd7f4df2e
	s_delay_alu instid0(VALU_DEP_1) | instskip(NEXT) | instid1(VALU_DEP_1)
	v_fmaak_f64 v[34:35], v[32:33], v[34:35], 0x3fcc71c016291751
	v_fmaak_f64 v[34:35], v[32:33], v[34:35], 0x3fd249249b27acf1
	s_delay_alu instid0(VALU_DEP_1) | instskip(NEXT) | instid1(VALU_DEP_1)
	v_fmaak_f64 v[34:35], v[32:33], v[34:35], 0x3fd99999998ef7b6
	v_fmaak_f64 v[32:33], v[32:33], v[34:35], 0x3fe5555555555780
	v_ldexp_f64 v[34:35], v[28:29], 1
	v_add_f64_e64 v[28:29], v[28:29], -v[30:31]
	s_delay_alu instid0(VALU_DEP_3) | instskip(SKIP_1) | instid1(VALU_DEP_3)
	v_mul_f64_e32 v[32:33], v[36:37], v[32:33]
	v_cvt_f64_i32_e32 v[36:37], v48
	v_add_f64_e64 v[26:27], v[26:27], -v[28:29]
	s_delay_alu instid0(VALU_DEP_3) | instskip(NEXT) | instid1(VALU_DEP_3)
	v_add_f64_e32 v[30:31], v[34:35], v[32:33]
	v_mul_f64_e32 v[38:39], 0x3fe62e42fefa39ef, v[36:37]
	s_delay_alu instid0(VALU_DEP_3) | instskip(NEXT) | instid1(VALU_DEP_3)
	v_ldexp_f64 v[26:27], v[26:27], 1
	v_add_f64_e64 v[28:29], v[30:31], -v[34:35]
	s_delay_alu instid0(VALU_DEP_3) | instskip(NEXT) | instid1(VALU_DEP_2)
	v_fma_f64 v[34:35], v[36:37], s[16:17], -v[38:39]
	v_add_f64_e64 v[28:29], v[32:33], -v[28:29]
	s_delay_alu instid0(VALU_DEP_2) | instskip(NEXT) | instid1(VALU_DEP_2)
	v_fmac_f64_e32 v[34:35], 0x3c7abc9e3b39803f, v[36:37]
	v_add_f64_e32 v[26:27], v[26:27], v[28:29]
	s_delay_alu instid0(VALU_DEP_2) | instskip(NEXT) | instid1(VALU_DEP_2)
	v_add_f64_e32 v[28:29], v[38:39], v[34:35]
	v_add_f64_e32 v[32:33], v[30:31], v[26:27]
	s_delay_alu instid0(VALU_DEP_2) | instskip(NEXT) | instid1(VALU_DEP_2)
	v_add_f64_e64 v[38:39], v[28:29], -v[38:39]
	v_add_f64_e32 v[36:37], v[28:29], v[32:33]
	v_add_f64_e64 v[30:31], v[32:33], -v[30:31]
	s_delay_alu instid0(VALU_DEP_3) | instskip(NEXT) | instid1(VALU_DEP_3)
	v_add_f64_e64 v[34:35], v[34:35], -v[38:39]
	v_add_f64_e64 v[40:41], v[36:37], -v[28:29]
	s_delay_alu instid0(VALU_DEP_3) | instskip(NEXT) | instid1(VALU_DEP_2)
	v_add_f64_e64 v[26:27], v[26:27], -v[30:31]
	v_add_f64_e64 v[42:43], v[36:37], -v[40:41]
	v_add_f64_e64 v[30:31], v[32:33], -v[40:41]
	s_delay_alu instid0(VALU_DEP_3) | instskip(NEXT) | instid1(VALU_DEP_3)
	v_add_f64_e32 v[32:33], v[34:35], v[26:27]
	v_add_f64_e64 v[28:29], v[28:29], -v[42:43]
	s_delay_alu instid0(VALU_DEP_1) | instskip(NEXT) | instid1(VALU_DEP_3)
	v_add_f64_e32 v[28:29], v[30:31], v[28:29]
	v_add_f64_e64 v[30:31], v[32:33], -v[34:35]
	s_delay_alu instid0(VALU_DEP_2) | instskip(NEXT) | instid1(VALU_DEP_2)
	v_add_f64_e32 v[28:29], v[32:33], v[28:29]
	v_add_f64_e64 v[32:33], v[32:33], -v[30:31]
	v_add_f64_e64 v[26:27], v[26:27], -v[30:31]
	s_delay_alu instid0(VALU_DEP_3) | instskip(NEXT) | instid1(VALU_DEP_3)
	v_add_f64_e32 v[38:39], v[36:37], v[28:29]
	v_add_f64_e64 v[32:33], v[34:35], -v[32:33]
	s_delay_alu instid0(VALU_DEP_2) | instskip(NEXT) | instid1(VALU_DEP_2)
	v_add_f64_e64 v[30:31], v[38:39], -v[36:37]
	v_add_f64_e32 v[26:27], v[26:27], v[32:33]
	s_delay_alu instid0(VALU_DEP_2) | instskip(NEXT) | instid1(VALU_DEP_1)
	v_add_f64_e64 v[28:29], v[28:29], -v[30:31]
	v_add_f64_e32 v[26:27], v[26:27], v[28:29]
	s_delay_alu instid0(VALU_DEP_1) | instskip(NEXT) | instid1(VALU_DEP_1)
	v_add_f64_e32 v[26:27], v[38:39], v[26:27]
	v_cndmask_b32_e64 v26, 0, v26, s2
	v_cmp_neq_f64_e64 s2, -1.0, v[24:25]
	s_delay_alu instid0(VALU_DEP_3) | instskip(NEXT) | instid1(VALU_DEP_1)
	v_cndmask_b32_e64 v27, 0x7ff00000, v27, s3
	v_cndmask_b32_e64 v27, 0x7ff80000, v27, s4
	s_delay_alu instid0(VALU_DEP_1)
	v_cndmask_b32_e64 v27, 0xfff00000, v27, s2
	global_store_b64 v[22:23], v[26:27], off
	s_wait_xcnt 0x0
	s_or_b32 exec_lo, exec_lo, s5
	s_and_saveexec_b32 s4, vcc_lo
	s_cbranch_execz .LBB207_3
.LBB207_19:                             ;   in Loop: Header=BB207_4 Depth=1
	s_wait_loadcnt 0x0
	v_add_f64_e32 v[22:23], 1.0, v[18:19]
	v_cmp_neq_f64_e64 s2, 0x7ff00000, v[18:19]
	v_cmp_ngt_f64_e64 s3, -1.0, v[18:19]
	s_delay_alu instid0(VALU_DEP_3) | instskip(SKIP_1) | instid1(VALU_DEP_2)
	v_frexp_mant_f64_e32 v[24:25], v[22:23]
	v_frexp_exp_i32_f64_e32 v28, v[22:23]
	v_cmp_gt_f64_e32 vcc_lo, s[14:15], v[24:25]
	s_delay_alu instid0(VALU_DEP_2) | instskip(SKIP_1) | instid1(VALU_DEP_2)
	v_subrev_co_ci_u32_e64 v44, null, 0, v28, vcc_lo
	v_cmp_nge_f64_e32 vcc_lo, -1.0, v[18:19]
	v_dual_add_f64 v[26:27], -1.0, v[22:23] :: v_dual_sub_nc_u32 v30, 0, v44
	s_and_b32 vcc_lo, vcc_lo, s2
	s_delay_alu instid0(VALU_DEP_1) | instskip(NEXT) | instid1(VALU_DEP_2)
	v_add_f64_e64 v[24:25], v[26:27], -v[22:23]
	v_ldexp_f64 v[22:23], v[22:23], v30
	v_add_f64_e64 v[26:27], v[18:19], -v[26:27]
	s_delay_alu instid0(VALU_DEP_3) | instskip(NEXT) | instid1(VALU_DEP_3)
	v_add_f64_e32 v[24:25], 1.0, v[24:25]
	v_add_f64_e32 v[28:29], 1.0, v[22:23]
	v_add_f64_e32 v[34:35], -1.0, v[22:23]
	s_delay_alu instid0(VALU_DEP_3) | instskip(NEXT) | instid1(VALU_DEP_3)
	v_add_f64_e32 v[24:25], v[26:27], v[24:25]
	v_add_f64_e32 v[26:27], -1.0, v[28:29]
	s_delay_alu instid0(VALU_DEP_3) | instskip(NEXT) | instid1(VALU_DEP_3)
	v_add_f64_e32 v[36:37], 1.0, v[34:35]
	v_ldexp_f64 v[24:25], v[24:25], v30
	s_delay_alu instid0(VALU_DEP_3) | instskip(NEXT) | instid1(VALU_DEP_3)
	v_add_f64_e64 v[26:27], v[22:23], -v[26:27]
	v_add_f64_e64 v[22:23], v[22:23], -v[36:37]
	s_delay_alu instid0(VALU_DEP_2) | instskip(NEXT) | instid1(VALU_DEP_2)
	v_add_f64_e32 v[26:27], v[24:25], v[26:27]
	v_add_f64_e32 v[22:23], v[24:25], v[22:23]
	s_delay_alu instid0(VALU_DEP_2) | instskip(NEXT) | instid1(VALU_DEP_2)
	v_add_f64_e32 v[30:31], v[28:29], v[26:27]
	v_add_f64_e32 v[36:37], v[34:35], v[22:23]
	s_delay_alu instid0(VALU_DEP_2) | instskip(SKIP_1) | instid1(VALU_DEP_2)
	v_rcp_f64_e32 v[32:33], v[30:31]
	v_add_f64_e64 v[28:29], v[30:31], -v[28:29]
	v_add_f64_e64 v[34:35], v[36:37], -v[34:35]
	s_delay_alu instid0(VALU_DEP_2) | instskip(NEXT) | instid1(VALU_DEP_2)
	v_add_f64_e64 v[26:27], v[26:27], -v[28:29]
	v_add_f64_e64 v[22:23], v[22:23], -v[34:35]
	s_delay_alu instid0(TRANS32_DEP_1) | instskip(NEXT) | instid1(VALU_DEP_1)
	v_fma_f64 v[38:39], -v[30:31], v[32:33], 1.0
	v_fmac_f64_e32 v[32:33], v[38:39], v[32:33]
	s_delay_alu instid0(VALU_DEP_1) | instskip(NEXT) | instid1(VALU_DEP_1)
	v_fma_f64 v[24:25], -v[30:31], v[32:33], 1.0
	v_fmac_f64_e32 v[32:33], v[24:25], v[32:33]
	s_delay_alu instid0(VALU_DEP_1) | instskip(NEXT) | instid1(VALU_DEP_1)
	v_mul_f64_e32 v[24:25], v[36:37], v[32:33]
	v_mul_f64_e32 v[38:39], v[30:31], v[24:25]
	s_delay_alu instid0(VALU_DEP_1) | instskip(NEXT) | instid1(VALU_DEP_1)
	v_fma_f64 v[28:29], v[24:25], v[30:31], -v[38:39]
	v_fmac_f64_e32 v[28:29], v[24:25], v[26:27]
	s_delay_alu instid0(VALU_DEP_1) | instskip(NEXT) | instid1(VALU_DEP_1)
	v_add_f64_e32 v[40:41], v[38:39], v[28:29]
	v_add_f64_e64 v[42:43], v[36:37], -v[40:41]
	v_add_f64_e64 v[34:35], v[40:41], -v[38:39]
	s_delay_alu instid0(VALU_DEP_2) | instskip(NEXT) | instid1(VALU_DEP_2)
	v_add_f64_e64 v[36:37], v[36:37], -v[42:43]
	v_add_f64_e64 v[28:29], v[34:35], -v[28:29]
	s_delay_alu instid0(VALU_DEP_2) | instskip(NEXT) | instid1(VALU_DEP_1)
	v_add_f64_e64 v[36:37], v[36:37], -v[40:41]
	v_add_f64_e32 v[22:23], v[22:23], v[36:37]
	s_delay_alu instid0(VALU_DEP_1) | instskip(NEXT) | instid1(VALU_DEP_1)
	v_add_f64_e32 v[22:23], v[28:29], v[22:23]
	v_add_f64_e32 v[28:29], v[42:43], v[22:23]
	s_delay_alu instid0(VALU_DEP_1) | instskip(SKIP_1) | instid1(VALU_DEP_2)
	v_mul_f64_e32 v[34:35], v[32:33], v[28:29]
	v_add_f64_e64 v[40:41], v[42:43], -v[28:29]
	v_mul_f64_e32 v[36:37], v[30:31], v[34:35]
	s_delay_alu instid0(VALU_DEP_2) | instskip(NEXT) | instid1(VALU_DEP_2)
	v_add_f64_e32 v[22:23], v[22:23], v[40:41]
	v_fma_f64 v[30:31], v[34:35], v[30:31], -v[36:37]
	s_delay_alu instid0(VALU_DEP_1) | instskip(NEXT) | instid1(VALU_DEP_1)
	v_fmac_f64_e32 v[30:31], v[34:35], v[26:27]
	v_add_f64_e32 v[26:27], v[36:37], v[30:31]
	s_delay_alu instid0(VALU_DEP_1) | instskip(SKIP_1) | instid1(VALU_DEP_2)
	v_add_f64_e64 v[38:39], v[28:29], -v[26:27]
	v_add_f64_e64 v[36:37], v[26:27], -v[36:37]
	;; [unrolled: 1-line block ×3, first 2 shown]
	s_delay_alu instid0(VALU_DEP_1) | instskip(NEXT) | instid1(VALU_DEP_3)
	v_add_f64_e64 v[26:27], v[28:29], -v[26:27]
	v_add_f64_e64 v[28:29], v[36:37], -v[30:31]
	s_delay_alu instid0(VALU_DEP_2) | instskip(SKIP_1) | instid1(VALU_DEP_2)
	v_add_f64_e32 v[22:23], v[22:23], v[26:27]
	v_add_f64_e32 v[26:27], v[24:25], v[34:35]
	;; [unrolled: 1-line block ×3, first 2 shown]
	s_delay_alu instid0(VALU_DEP_2) | instskip(NEXT) | instid1(VALU_DEP_2)
	v_add_f64_e64 v[24:25], v[26:27], -v[24:25]
	v_add_f64_e32 v[22:23], v[38:39], v[22:23]
	s_delay_alu instid0(VALU_DEP_2) | instskip(NEXT) | instid1(VALU_DEP_2)
	v_add_f64_e64 v[24:25], v[34:35], -v[24:25]
	v_mul_f64_e32 v[22:23], v[32:33], v[22:23]
	s_delay_alu instid0(VALU_DEP_1) | instskip(NEXT) | instid1(VALU_DEP_1)
	v_add_f64_e32 v[22:23], v[24:25], v[22:23]
	v_add_f64_e32 v[24:25], v[26:27], v[22:23]
	s_delay_alu instid0(VALU_DEP_1) | instskip(NEXT) | instid1(VALU_DEP_1)
	v_mul_f64_e32 v[28:29], v[24:25], v[24:25]
	v_fmamk_f64 v[30:31], v[28:29], 0x3fc3ab76bf559e2b, v[16:17]
	v_mul_f64_e32 v[32:33], v[24:25], v[28:29]
	s_delay_alu instid0(VALU_DEP_2) | instskip(NEXT) | instid1(VALU_DEP_1)
	v_fmaak_f64 v[30:31], v[28:29], v[30:31], 0x3fc7474dd7f4df2e
	v_fmaak_f64 v[30:31], v[28:29], v[30:31], 0x3fcc71c016291751
	s_delay_alu instid0(VALU_DEP_1) | instskip(NEXT) | instid1(VALU_DEP_1)
	v_fmaak_f64 v[30:31], v[28:29], v[30:31], 0x3fd249249b27acf1
	v_fmaak_f64 v[30:31], v[28:29], v[30:31], 0x3fd99999998ef7b6
	s_delay_alu instid0(VALU_DEP_1) | instskip(SKIP_2) | instid1(VALU_DEP_3)
	v_fmaak_f64 v[28:29], v[28:29], v[30:31], 0x3fe5555555555780
	v_ldexp_f64 v[30:31], v[24:25], 1
	v_add_f64_e64 v[24:25], v[24:25], -v[26:27]
	v_mul_f64_e32 v[28:29], v[32:33], v[28:29]
	v_cvt_f64_i32_e32 v[32:33], v44
	s_delay_alu instid0(VALU_DEP_3) | instskip(NEXT) | instid1(VALU_DEP_3)
	v_add_f64_e64 v[22:23], v[22:23], -v[24:25]
	v_add_f64_e32 v[26:27], v[30:31], v[28:29]
	s_delay_alu instid0(VALU_DEP_3) | instskip(NEXT) | instid1(VALU_DEP_3)
	v_mul_f64_e32 v[34:35], 0x3fe62e42fefa39ef, v[32:33]
	v_ldexp_f64 v[22:23], v[22:23], 1
	s_delay_alu instid0(VALU_DEP_3) | instskip(NEXT) | instid1(VALU_DEP_3)
	v_add_f64_e64 v[24:25], v[26:27], -v[30:31]
	v_fma_f64 v[30:31], v[32:33], s[16:17], -v[34:35]
	s_delay_alu instid0(VALU_DEP_2) | instskip(NEXT) | instid1(VALU_DEP_2)
	v_add_f64_e64 v[24:25], v[28:29], -v[24:25]
	v_fmac_f64_e32 v[30:31], 0x3c7abc9e3b39803f, v[32:33]
	s_delay_alu instid0(VALU_DEP_2) | instskip(NEXT) | instid1(VALU_DEP_2)
	v_add_f64_e32 v[22:23], v[22:23], v[24:25]
	v_add_f64_e32 v[24:25], v[34:35], v[30:31]
	s_delay_alu instid0(VALU_DEP_2) | instskip(NEXT) | instid1(VALU_DEP_2)
	v_add_f64_e32 v[28:29], v[26:27], v[22:23]
	v_add_f64_e64 v[34:35], v[24:25], -v[34:35]
	s_delay_alu instid0(VALU_DEP_2) | instskip(SKIP_1) | instid1(VALU_DEP_3)
	v_add_f64_e32 v[32:33], v[24:25], v[28:29]
	v_add_f64_e64 v[26:27], v[28:29], -v[26:27]
	v_add_f64_e64 v[30:31], v[30:31], -v[34:35]
	s_delay_alu instid0(VALU_DEP_3) | instskip(NEXT) | instid1(VALU_DEP_3)
	v_add_f64_e64 v[36:37], v[32:33], -v[24:25]
	v_add_f64_e64 v[22:23], v[22:23], -v[26:27]
	s_delay_alu instid0(VALU_DEP_2) | instskip(SKIP_1) | instid1(VALU_DEP_3)
	v_add_f64_e64 v[38:39], v[32:33], -v[36:37]
	v_add_f64_e64 v[26:27], v[28:29], -v[36:37]
	v_add_f64_e32 v[28:29], v[30:31], v[22:23]
	s_delay_alu instid0(VALU_DEP_3) | instskip(NEXT) | instid1(VALU_DEP_1)
	v_add_f64_e64 v[24:25], v[24:25], -v[38:39]
	v_add_f64_e32 v[24:25], v[26:27], v[24:25]
	s_delay_alu instid0(VALU_DEP_3) | instskip(NEXT) | instid1(VALU_DEP_2)
	v_add_f64_e64 v[26:27], v[28:29], -v[30:31]
	v_add_f64_e32 v[24:25], v[28:29], v[24:25]
	s_delay_alu instid0(VALU_DEP_2) | instskip(SKIP_1) | instid1(VALU_DEP_3)
	v_add_f64_e64 v[28:29], v[28:29], -v[26:27]
	v_add_f64_e64 v[22:23], v[22:23], -v[26:27]
	v_add_f64_e32 v[34:35], v[32:33], v[24:25]
	s_delay_alu instid0(VALU_DEP_3) | instskip(NEXT) | instid1(VALU_DEP_2)
	v_add_f64_e64 v[28:29], v[30:31], -v[28:29]
	v_add_f64_e64 v[26:27], v[34:35], -v[32:33]
	s_delay_alu instid0(VALU_DEP_2) | instskip(NEXT) | instid1(VALU_DEP_2)
	v_add_f64_e32 v[22:23], v[22:23], v[28:29]
	v_add_f64_e64 v[24:25], v[24:25], -v[26:27]
	s_delay_alu instid0(VALU_DEP_1) | instskip(NEXT) | instid1(VALU_DEP_1)
	v_add_f64_e32 v[22:23], v[22:23], v[24:25]
	v_add_f64_e32 v[22:23], v[34:35], v[22:23]
	s_delay_alu instid0(VALU_DEP_1) | instskip(SKIP_1) | instid1(VALU_DEP_3)
	v_cndmask_b32_e32 v22, 0, v22, vcc_lo
	v_cmp_neq_f64_e32 vcc_lo, -1.0, v[18:19]
	v_cndmask_b32_e64 v23, 0x7ff00000, v23, s2
	s_delay_alu instid0(VALU_DEP_1) | instskip(NEXT) | instid1(VALU_DEP_1)
	v_cndmask_b32_e64 v23, 0x7ff80000, v23, s3
	v_cndmask_b32_e32 v23, 0xfff00000, v23, vcc_lo
	global_store_b64 v[20:21], v[22:23], off
	s_branch .LBB207_3
.LBB207_20:
	s_cbranch_execz .LBB207_22
	s_branch .LBB207_25
.LBB207_21:
.LBB207_22:
	v_min_i64 v[14:15], 0x10000, s[12:13]
	v_dual_mov_b32 v3, 0 :: v_dual_lshlrev_b32 v2, 2, v0
	s_mov_b32 s2, exec_lo
	s_delay_alu instid0(VALU_DEP_1)
	v_cmpx_lt_i64_e64 v[2:3], v[14:15]
	s_cbranch_execz .LBB207_25
; %bb.23:
	s_load_b32 s6, s[0:1], 0xd3c
	v_dual_mov_b32 v1, v3 :: v_dual_lshlrev_b32 v2, 5, v0
	s_wait_xcnt 0x0
	s_add_nc_u64 s[0:1], s[8:9], s[10:11]
	v_mov_b64_e32 v[16:17], 0x3fc385386b47b09a
	s_mov_b32 s7, 0
	v_add_nc_u64_e32 v[4:5], s[0:1], v[2:3]
	s_mov_b64 s[2:3], 0x3fe5555555555555
	s_mov_b64 s[4:5], 0x3fe62e42fefa39ef
	s_mov_b32 s9, s7
	s_mov_b32 s1, s7
                                        ; implicit-def: $vgpr2_vgpr3
                                        ; implicit-def: $vgpr2_vgpr3
	;; [unrolled: 1-line block ×5, first 2 shown]
	s_wait_loadcnt 0x0
	s_delay_alu instid0(VALU_DEP_1) | instskip(SKIP_2) | instid1(SALU_CYCLE_1)
	v_add_nc_u64_e32 v[18:19], 16, v[4:5]
	s_wait_kmcnt 0x0
	s_and_b32 s6, s6, 0xffff
	s_lshl_b32 s8, s6, 5
.LBB207_24:                             ; =>This Inner Loop Header: Depth=1
	s_clause 0x1
	global_load_b128 v[2:5], v[18:19], off
	global_load_b128 v[8:11], v[18:19], off offset:-16
	v_add_nc_u64_e32 v[0:1], s[6:7], v[0:1]
	s_wait_loadcnt 0x0
	v_add_f64_e32 v[6:7], 1.0, v[8:9]
	v_cmp_ngt_f64_e64 s0, -1.0, v[8:9]
	s_delay_alu instid0(VALU_DEP_2) | instskip(SKIP_1) | instid1(VALU_DEP_2)
	v_add_f64_e32 v[12:13], -1.0, v[6:7]
	v_frexp_exp_i32_f64_e32 v22, v[6:7]
	v_add_f64_e64 v[20:21], v[12:13], -v[6:7]
	v_add_f64_e64 v[12:13], v[8:9], -v[12:13]
	s_delay_alu instid0(VALU_DEP_2) | instskip(NEXT) | instid1(VALU_DEP_1)
	v_add_f64_e32 v[20:21], 1.0, v[20:21]
	v_add_f64_e32 v[12:13], v[12:13], v[20:21]
	v_frexp_mant_f64_e32 v[20:21], v[6:7]
	s_delay_alu instid0(VALU_DEP_1) | instskip(SKIP_2) | instid1(VALU_DEP_2)
	v_cmp_gt_f64_e32 vcc_lo, s[2:3], v[20:21]
	v_subrev_co_ci_u32_e64 v36, null, 0, v22, vcc_lo
	v_cmp_neq_f64_e32 vcc_lo, 0x7ff00000, v[8:9]
	v_sub_nc_u32_e32 v20, 0, v36
	s_delay_alu instid0(VALU_DEP_1) | instskip(SKIP_1) | instid1(VALU_DEP_2)
	v_ldexp_f64 v[6:7], v[6:7], v20
	v_ldexp_f64 v[12:13], v[12:13], v20
	v_add_f64_e32 v[20:21], -1.0, v[6:7]
	s_delay_alu instid0(VALU_DEP_1) | instskip(NEXT) | instid1(VALU_DEP_1)
	v_add_f64_e32 v[22:23], 1.0, v[20:21]
	v_add_f64_e64 v[22:23], v[6:7], -v[22:23]
	s_delay_alu instid0(VALU_DEP_1) | instskip(NEXT) | instid1(VALU_DEP_1)
	v_add_f64_e32 v[22:23], v[12:13], v[22:23]
	v_add_f64_e32 v[24:25], v[20:21], v[22:23]
	s_delay_alu instid0(VALU_DEP_1) | instskip(NEXT) | instid1(VALU_DEP_1)
	v_add_f64_e64 v[20:21], v[24:25], -v[20:21]
	v_add_f64_e64 v[20:21], v[22:23], -v[20:21]
	v_add_f64_e32 v[22:23], 1.0, v[6:7]
	s_delay_alu instid0(VALU_DEP_1) | instskip(NEXT) | instid1(VALU_DEP_1)
	v_add_f64_e32 v[26:27], -1.0, v[22:23]
	v_add_f64_e64 v[6:7], v[6:7], -v[26:27]
	s_delay_alu instid0(VALU_DEP_1) | instskip(NEXT) | instid1(VALU_DEP_1)
	v_add_f64_e32 v[6:7], v[12:13], v[6:7]
	v_add_f64_e32 v[12:13], v[22:23], v[6:7]
	s_delay_alu instid0(VALU_DEP_1) | instskip(NEXT) | instid1(VALU_DEP_1)
	v_add_f64_e64 v[22:23], v[12:13], -v[22:23]
	v_add_f64_e64 v[6:7], v[6:7], -v[22:23]
	v_rcp_f64_e32 v[22:23], v[12:13]
	v_nop
	s_delay_alu instid0(TRANS32_DEP_1) | instskip(NEXT) | instid1(VALU_DEP_1)
	v_fma_f64 v[26:27], -v[12:13], v[22:23], 1.0
	v_fmac_f64_e32 v[22:23], v[26:27], v[22:23]
	s_delay_alu instid0(VALU_DEP_1) | instskip(NEXT) | instid1(VALU_DEP_1)
	v_fma_f64 v[26:27], -v[12:13], v[22:23], 1.0
	v_fmac_f64_e32 v[22:23], v[26:27], v[22:23]
	s_delay_alu instid0(VALU_DEP_1) | instskip(NEXT) | instid1(VALU_DEP_1)
	v_mul_f64_e32 v[26:27], v[24:25], v[22:23]
	v_mul_f64_e32 v[28:29], v[12:13], v[26:27]
	s_delay_alu instid0(VALU_DEP_1) | instskip(NEXT) | instid1(VALU_DEP_1)
	v_fma_f64 v[30:31], v[26:27], v[12:13], -v[28:29]
	v_fmac_f64_e32 v[30:31], v[26:27], v[6:7]
	s_delay_alu instid0(VALU_DEP_1) | instskip(NEXT) | instid1(VALU_DEP_1)
	v_add_f64_e32 v[32:33], v[28:29], v[30:31]
	v_add_f64_e64 v[34:35], v[24:25], -v[32:33]
	v_add_f64_e64 v[28:29], v[32:33], -v[28:29]
	s_delay_alu instid0(VALU_DEP_2) | instskip(NEXT) | instid1(VALU_DEP_1)
	v_add_f64_e64 v[24:25], v[24:25], -v[34:35]
	v_add_f64_e64 v[24:25], v[24:25], -v[32:33]
	s_delay_alu instid0(VALU_DEP_1) | instskip(NEXT) | instid1(VALU_DEP_4)
	v_add_f64_e32 v[20:21], v[20:21], v[24:25]
	v_add_f64_e64 v[24:25], v[28:29], -v[30:31]
	s_delay_alu instid0(VALU_DEP_1) | instskip(NEXT) | instid1(VALU_DEP_1)
	v_add_f64_e32 v[20:21], v[24:25], v[20:21]
	v_add_f64_e32 v[24:25], v[34:35], v[20:21]
	s_delay_alu instid0(VALU_DEP_1) | instskip(NEXT) | instid1(VALU_DEP_1)
	v_add_f64_e64 v[28:29], v[34:35], -v[24:25]
	v_add_f64_e32 v[20:21], v[20:21], v[28:29]
	v_mul_f64_e32 v[28:29], v[22:23], v[24:25]
	s_delay_alu instid0(VALU_DEP_1) | instskip(NEXT) | instid1(VALU_DEP_1)
	v_mul_f64_e32 v[30:31], v[12:13], v[28:29]
	v_fma_f64 v[12:13], v[28:29], v[12:13], -v[30:31]
	s_delay_alu instid0(VALU_DEP_1) | instskip(NEXT) | instid1(VALU_DEP_1)
	v_fmac_f64_e32 v[12:13], v[28:29], v[6:7]
	v_add_f64_e32 v[6:7], v[30:31], v[12:13]
	s_delay_alu instid0(VALU_DEP_1) | instskip(SKIP_1) | instid1(VALU_DEP_2)
	v_add_f64_e64 v[32:33], v[24:25], -v[6:7]
	v_add_f64_e64 v[30:31], v[6:7], -v[30:31]
	;; [unrolled: 1-line block ×3, first 2 shown]
	s_delay_alu instid0(VALU_DEP_2) | instskip(NEXT) | instid1(VALU_DEP_2)
	v_add_f64_e64 v[12:13], v[30:31], -v[12:13]
	v_add_f64_e64 v[6:7], v[24:25], -v[6:7]
	v_cvt_f64_i32_e32 v[24:25], v36
	s_delay_alu instid0(VALU_DEP_2) | instskip(NEXT) | instid1(VALU_DEP_1)
	v_add_f64_e32 v[6:7], v[20:21], v[6:7]
	v_add_f64_e32 v[6:7], v[12:13], v[6:7]
	v_add_f64_e32 v[12:13], v[26:27], v[28:29]
	s_delay_alu instid0(VALU_DEP_2) | instskip(NEXT) | instid1(VALU_DEP_2)
	v_add_f64_e32 v[6:7], v[32:33], v[6:7]
	v_add_f64_e64 v[20:21], v[12:13], -v[26:27]
	v_mul_f64_e32 v[26:27], 0x3fe62e42fefa39ef, v[24:25]
	s_delay_alu instid0(VALU_DEP_3) | instskip(NEXT) | instid1(VALU_DEP_3)
	v_mul_f64_e32 v[6:7], v[22:23], v[6:7]
	v_add_f64_e64 v[20:21], v[28:29], -v[20:21]
	s_delay_alu instid0(VALU_DEP_3) | instskip(NEXT) | instid1(VALU_DEP_2)
	v_fma_f64 v[28:29], v[24:25], s[4:5], -v[26:27]
	v_add_f64_e32 v[6:7], v[20:21], v[6:7]
	s_delay_alu instid0(VALU_DEP_2) | instskip(NEXT) | instid1(VALU_DEP_2)
	v_fmac_f64_e32 v[28:29], 0x3c7abc9e3b39803f, v[24:25]
	v_add_f64_e32 v[20:21], v[12:13], v[6:7]
	s_delay_alu instid0(VALU_DEP_2) | instskip(NEXT) | instid1(VALU_DEP_2)
	v_add_f64_e32 v[24:25], v[26:27], v[28:29]
	v_add_f64_e64 v[12:13], v[20:21], -v[12:13]
	s_delay_alu instid0(VALU_DEP_2) | instskip(NEXT) | instid1(VALU_DEP_2)
	v_add_f64_e64 v[26:27], v[24:25], -v[26:27]
	v_add_f64_e64 v[6:7], v[6:7], -v[12:13]
	v_mul_f64_e32 v[12:13], v[20:21], v[20:21]
	s_delay_alu instid0(VALU_DEP_3) | instskip(SKIP_1) | instid1(VALU_DEP_4)
	v_add_f64_e64 v[26:27], v[28:29], -v[26:27]
	v_ldexp_f64 v[28:29], v[20:21], 1
	v_ldexp_f64 v[6:7], v[6:7], 1
	s_delay_alu instid0(VALU_DEP_4) | instskip(NEXT) | instid1(VALU_DEP_1)
	v_fmamk_f64 v[22:23], v[12:13], 0x3fc3ab76bf559e2b, v[16:17]
	v_fmaak_f64 v[22:23], v[12:13], v[22:23], 0x3fc7474dd7f4df2e
	s_delay_alu instid0(VALU_DEP_1) | instskip(NEXT) | instid1(VALU_DEP_1)
	v_fmaak_f64 v[22:23], v[12:13], v[22:23], 0x3fcc71c016291751
	v_fmaak_f64 v[22:23], v[12:13], v[22:23], 0x3fd249249b27acf1
	s_delay_alu instid0(VALU_DEP_1) | instskip(NEXT) | instid1(VALU_DEP_1)
	v_fmaak_f64 v[22:23], v[12:13], v[22:23], 0x3fd99999998ef7b6
	v_fmaak_f64 v[22:23], v[12:13], v[22:23], 0x3fe5555555555780
	v_mul_f64_e32 v[12:13], v[20:21], v[12:13]
	s_delay_alu instid0(VALU_DEP_1) | instskip(NEXT) | instid1(VALU_DEP_1)
	v_mul_f64_e32 v[12:13], v[12:13], v[22:23]
	v_add_f64_e32 v[20:21], v[28:29], v[12:13]
	s_delay_alu instid0(VALU_DEP_1) | instskip(NEXT) | instid1(VALU_DEP_1)
	v_add_f64_e64 v[22:23], v[20:21], -v[28:29]
	v_add_f64_e64 v[12:13], v[12:13], -v[22:23]
	s_delay_alu instid0(VALU_DEP_1) | instskip(NEXT) | instid1(VALU_DEP_1)
	v_add_f64_e32 v[6:7], v[6:7], v[12:13]
	v_add_f64_e32 v[12:13], v[20:21], v[6:7]
	s_delay_alu instid0(VALU_DEP_1) | instskip(NEXT) | instid1(VALU_DEP_1)
	v_add_f64_e64 v[20:21], v[12:13], -v[20:21]
	v_add_f64_e64 v[6:7], v[6:7], -v[20:21]
	v_add_f64_e32 v[20:21], v[24:25], v[12:13]
	s_delay_alu instid0(VALU_DEP_1) | instskip(NEXT) | instid1(VALU_DEP_1)
	v_add_f64_e64 v[22:23], v[20:21], -v[24:25]
	v_add_f64_e64 v[28:29], v[20:21], -v[22:23]
	;; [unrolled: 1-line block ×3, first 2 shown]
	v_add_f64_e32 v[22:23], v[26:27], v[6:7]
	s_delay_alu instid0(VALU_DEP_3) | instskip(NEXT) | instid1(VALU_DEP_1)
	v_add_f64_e64 v[24:25], v[24:25], -v[28:29]
	v_add_f64_e32 v[12:13], v[12:13], v[24:25]
	s_delay_alu instid0(VALU_DEP_3) | instskip(NEXT) | instid1(VALU_DEP_2)
	v_add_f64_e64 v[24:25], v[22:23], -v[26:27]
	v_add_f64_e32 v[12:13], v[22:23], v[12:13]
	s_delay_alu instid0(VALU_DEP_2) | instskip(SKIP_1) | instid1(VALU_DEP_3)
	v_add_f64_e64 v[28:29], v[22:23], -v[24:25]
	v_add_f64_e64 v[6:7], v[6:7], -v[24:25]
	v_add_f64_e32 v[22:23], v[20:21], v[12:13]
	s_delay_alu instid0(VALU_DEP_3) | instskip(NEXT) | instid1(VALU_DEP_2)
	v_add_f64_e64 v[26:27], v[26:27], -v[28:29]
	v_add_f64_e64 v[20:21], v[22:23], -v[20:21]
	s_delay_alu instid0(VALU_DEP_2) | instskip(NEXT) | instid1(VALU_DEP_2)
	v_add_f64_e32 v[6:7], v[6:7], v[26:27]
	v_add_f64_e64 v[12:13], v[12:13], -v[20:21]
	s_delay_alu instid0(VALU_DEP_1) | instskip(NEXT) | instid1(VALU_DEP_1)
	v_add_f64_e32 v[6:7], v[6:7], v[12:13]
	v_add_f64_e32 v[6:7], v[22:23], v[6:7]
	s_delay_alu instid0(VALU_DEP_1) | instskip(NEXT) | instid1(VALU_DEP_1)
	v_cndmask_b32_e32 v7, 0x7ff00000, v7, vcc_lo
	v_cndmask_b32_e64 v7, 0x7ff80000, v7, s0
	v_cmp_nge_f64_e64 s0, -1.0, v[8:9]
	s_and_b32 vcc_lo, s0, vcc_lo
	v_cmp_ngt_f64_e64 s0, -1.0, v[10:11]
	v_cndmask_b32_e32 v6, 0, v6, vcc_lo
	v_cmp_neq_f64_e32 vcc_lo, -1.0, v[8:9]
	v_add_f64_e32 v[8:9], 1.0, v[10:11]
	v_cndmask_b32_e32 v7, 0xfff00000, v7, vcc_lo
	s_delay_alu instid0(VALU_DEP_2) | instskip(SKIP_1) | instid1(VALU_DEP_2)
	v_add_f64_e32 v[12:13], -1.0, v[8:9]
	v_frexp_exp_i32_f64_e32 v22, v[8:9]
	v_add_f64_e64 v[20:21], v[12:13], -v[8:9]
	v_add_f64_e64 v[12:13], v[10:11], -v[12:13]
	s_delay_alu instid0(VALU_DEP_2) | instskip(NEXT) | instid1(VALU_DEP_1)
	v_add_f64_e32 v[20:21], 1.0, v[20:21]
	v_add_f64_e32 v[12:13], v[12:13], v[20:21]
	v_frexp_mant_f64_e32 v[20:21], v[8:9]
	s_delay_alu instid0(VALU_DEP_1) | instskip(SKIP_2) | instid1(VALU_DEP_2)
	v_cmp_gt_f64_e32 vcc_lo, s[2:3], v[20:21]
	v_subrev_co_ci_u32_e64 v36, null, 0, v22, vcc_lo
	v_cmp_neq_f64_e32 vcc_lo, 0x7ff00000, v[10:11]
	v_sub_nc_u32_e32 v20, 0, v36
	s_delay_alu instid0(VALU_DEP_1) | instskip(SKIP_1) | instid1(VALU_DEP_2)
	v_ldexp_f64 v[8:9], v[8:9], v20
	v_ldexp_f64 v[12:13], v[12:13], v20
	v_add_f64_e32 v[20:21], -1.0, v[8:9]
	s_delay_alu instid0(VALU_DEP_1) | instskip(NEXT) | instid1(VALU_DEP_1)
	v_add_f64_e32 v[22:23], 1.0, v[20:21]
	v_add_f64_e64 v[22:23], v[8:9], -v[22:23]
	s_delay_alu instid0(VALU_DEP_1) | instskip(NEXT) | instid1(VALU_DEP_1)
	v_add_f64_e32 v[22:23], v[12:13], v[22:23]
	v_add_f64_e32 v[24:25], v[20:21], v[22:23]
	s_delay_alu instid0(VALU_DEP_1) | instskip(NEXT) | instid1(VALU_DEP_1)
	v_add_f64_e64 v[20:21], v[24:25], -v[20:21]
	v_add_f64_e64 v[20:21], v[22:23], -v[20:21]
	v_add_f64_e32 v[22:23], 1.0, v[8:9]
	s_delay_alu instid0(VALU_DEP_1) | instskip(NEXT) | instid1(VALU_DEP_1)
	v_add_f64_e32 v[26:27], -1.0, v[22:23]
	v_add_f64_e64 v[8:9], v[8:9], -v[26:27]
	s_delay_alu instid0(VALU_DEP_1) | instskip(NEXT) | instid1(VALU_DEP_1)
	v_add_f64_e32 v[8:9], v[12:13], v[8:9]
	v_add_f64_e32 v[12:13], v[22:23], v[8:9]
	s_delay_alu instid0(VALU_DEP_1) | instskip(NEXT) | instid1(VALU_DEP_1)
	v_add_f64_e64 v[22:23], v[12:13], -v[22:23]
	v_add_f64_e64 v[8:9], v[8:9], -v[22:23]
	v_rcp_f64_e32 v[22:23], v[12:13]
	v_nop
	s_delay_alu instid0(TRANS32_DEP_1) | instskip(NEXT) | instid1(VALU_DEP_1)
	v_fma_f64 v[26:27], -v[12:13], v[22:23], 1.0
	v_fmac_f64_e32 v[22:23], v[26:27], v[22:23]
	s_delay_alu instid0(VALU_DEP_1) | instskip(NEXT) | instid1(VALU_DEP_1)
	v_fma_f64 v[26:27], -v[12:13], v[22:23], 1.0
	v_fmac_f64_e32 v[22:23], v[26:27], v[22:23]
	s_delay_alu instid0(VALU_DEP_1) | instskip(NEXT) | instid1(VALU_DEP_1)
	v_mul_f64_e32 v[26:27], v[24:25], v[22:23]
	v_mul_f64_e32 v[28:29], v[12:13], v[26:27]
	s_delay_alu instid0(VALU_DEP_1) | instskip(NEXT) | instid1(VALU_DEP_1)
	v_fma_f64 v[30:31], v[26:27], v[12:13], -v[28:29]
	v_fmac_f64_e32 v[30:31], v[26:27], v[8:9]
	s_delay_alu instid0(VALU_DEP_1) | instskip(NEXT) | instid1(VALU_DEP_1)
	v_add_f64_e32 v[32:33], v[28:29], v[30:31]
	v_add_f64_e64 v[34:35], v[24:25], -v[32:33]
	v_add_f64_e64 v[28:29], v[32:33], -v[28:29]
	s_delay_alu instid0(VALU_DEP_2) | instskip(NEXT) | instid1(VALU_DEP_1)
	v_add_f64_e64 v[24:25], v[24:25], -v[34:35]
	v_add_f64_e64 v[24:25], v[24:25], -v[32:33]
	s_delay_alu instid0(VALU_DEP_1) | instskip(NEXT) | instid1(VALU_DEP_4)
	v_add_f64_e32 v[20:21], v[20:21], v[24:25]
	v_add_f64_e64 v[24:25], v[28:29], -v[30:31]
	s_delay_alu instid0(VALU_DEP_1) | instskip(NEXT) | instid1(VALU_DEP_1)
	v_add_f64_e32 v[20:21], v[24:25], v[20:21]
	v_add_f64_e32 v[24:25], v[34:35], v[20:21]
	s_delay_alu instid0(VALU_DEP_1) | instskip(NEXT) | instid1(VALU_DEP_1)
	v_add_f64_e64 v[28:29], v[34:35], -v[24:25]
	v_add_f64_e32 v[20:21], v[20:21], v[28:29]
	v_mul_f64_e32 v[28:29], v[22:23], v[24:25]
	s_delay_alu instid0(VALU_DEP_1) | instskip(NEXT) | instid1(VALU_DEP_1)
	v_mul_f64_e32 v[30:31], v[12:13], v[28:29]
	v_fma_f64 v[12:13], v[28:29], v[12:13], -v[30:31]
	s_delay_alu instid0(VALU_DEP_1) | instskip(NEXT) | instid1(VALU_DEP_1)
	v_fmac_f64_e32 v[12:13], v[28:29], v[8:9]
	v_add_f64_e32 v[8:9], v[30:31], v[12:13]
	s_delay_alu instid0(VALU_DEP_1) | instskip(SKIP_1) | instid1(VALU_DEP_2)
	v_add_f64_e64 v[32:33], v[24:25], -v[8:9]
	v_add_f64_e64 v[30:31], v[8:9], -v[30:31]
	;; [unrolled: 1-line block ×3, first 2 shown]
	s_delay_alu instid0(VALU_DEP_2) | instskip(NEXT) | instid1(VALU_DEP_2)
	v_add_f64_e64 v[12:13], v[30:31], -v[12:13]
	v_add_f64_e64 v[8:9], v[24:25], -v[8:9]
	v_cvt_f64_i32_e32 v[24:25], v36
	s_delay_alu instid0(VALU_DEP_2) | instskip(NEXT) | instid1(VALU_DEP_1)
	v_add_f64_e32 v[8:9], v[20:21], v[8:9]
	v_add_f64_e32 v[8:9], v[12:13], v[8:9]
	;; [unrolled: 1-line block ×3, first 2 shown]
	s_delay_alu instid0(VALU_DEP_2) | instskip(NEXT) | instid1(VALU_DEP_2)
	v_add_f64_e32 v[8:9], v[32:33], v[8:9]
	v_add_f64_e64 v[20:21], v[12:13], -v[26:27]
	v_mul_f64_e32 v[26:27], 0x3fe62e42fefa39ef, v[24:25]
	s_delay_alu instid0(VALU_DEP_3) | instskip(NEXT) | instid1(VALU_DEP_3)
	v_mul_f64_e32 v[8:9], v[22:23], v[8:9]
	v_add_f64_e64 v[20:21], v[28:29], -v[20:21]
	s_delay_alu instid0(VALU_DEP_3) | instskip(NEXT) | instid1(VALU_DEP_2)
	v_fma_f64 v[28:29], v[24:25], s[4:5], -v[26:27]
	v_add_f64_e32 v[8:9], v[20:21], v[8:9]
	s_delay_alu instid0(VALU_DEP_2) | instskip(NEXT) | instid1(VALU_DEP_2)
	v_fmac_f64_e32 v[28:29], 0x3c7abc9e3b39803f, v[24:25]
	v_add_f64_e32 v[20:21], v[12:13], v[8:9]
	s_delay_alu instid0(VALU_DEP_2) | instskip(NEXT) | instid1(VALU_DEP_2)
	v_add_f64_e32 v[24:25], v[26:27], v[28:29]
	v_add_f64_e64 v[12:13], v[20:21], -v[12:13]
	s_delay_alu instid0(VALU_DEP_2) | instskip(NEXT) | instid1(VALU_DEP_2)
	v_add_f64_e64 v[26:27], v[24:25], -v[26:27]
	v_add_f64_e64 v[8:9], v[8:9], -v[12:13]
	v_mul_f64_e32 v[12:13], v[20:21], v[20:21]
	s_delay_alu instid0(VALU_DEP_3) | instskip(SKIP_1) | instid1(VALU_DEP_4)
	v_add_f64_e64 v[26:27], v[28:29], -v[26:27]
	v_ldexp_f64 v[28:29], v[20:21], 1
	v_ldexp_f64 v[8:9], v[8:9], 1
	s_delay_alu instid0(VALU_DEP_4) | instskip(NEXT) | instid1(VALU_DEP_1)
	v_fmamk_f64 v[22:23], v[12:13], 0x3fc3ab76bf559e2b, v[16:17]
	v_fmaak_f64 v[22:23], v[12:13], v[22:23], 0x3fc7474dd7f4df2e
	s_delay_alu instid0(VALU_DEP_1) | instskip(NEXT) | instid1(VALU_DEP_1)
	v_fmaak_f64 v[22:23], v[12:13], v[22:23], 0x3fcc71c016291751
	v_fmaak_f64 v[22:23], v[12:13], v[22:23], 0x3fd249249b27acf1
	s_delay_alu instid0(VALU_DEP_1) | instskip(NEXT) | instid1(VALU_DEP_1)
	v_fmaak_f64 v[22:23], v[12:13], v[22:23], 0x3fd99999998ef7b6
	v_fmaak_f64 v[22:23], v[12:13], v[22:23], 0x3fe5555555555780
	v_mul_f64_e32 v[12:13], v[20:21], v[12:13]
	s_delay_alu instid0(VALU_DEP_1) | instskip(NEXT) | instid1(VALU_DEP_1)
	v_mul_f64_e32 v[12:13], v[12:13], v[22:23]
	v_add_f64_e32 v[20:21], v[28:29], v[12:13]
	s_delay_alu instid0(VALU_DEP_1) | instskip(NEXT) | instid1(VALU_DEP_1)
	v_add_f64_e64 v[22:23], v[20:21], -v[28:29]
	v_add_f64_e64 v[12:13], v[12:13], -v[22:23]
	s_delay_alu instid0(VALU_DEP_1) | instskip(NEXT) | instid1(VALU_DEP_1)
	v_add_f64_e32 v[8:9], v[8:9], v[12:13]
	v_add_f64_e32 v[12:13], v[20:21], v[8:9]
	s_delay_alu instid0(VALU_DEP_1) | instskip(NEXT) | instid1(VALU_DEP_1)
	v_add_f64_e64 v[20:21], v[12:13], -v[20:21]
	v_add_f64_e64 v[8:9], v[8:9], -v[20:21]
	v_add_f64_e32 v[20:21], v[24:25], v[12:13]
	s_delay_alu instid0(VALU_DEP_1) | instskip(NEXT) | instid1(VALU_DEP_1)
	v_add_f64_e64 v[22:23], v[20:21], -v[24:25]
	v_add_f64_e64 v[28:29], v[20:21], -v[22:23]
	;; [unrolled: 1-line block ×3, first 2 shown]
	v_add_f64_e32 v[22:23], v[26:27], v[8:9]
	s_delay_alu instid0(VALU_DEP_3) | instskip(NEXT) | instid1(VALU_DEP_1)
	v_add_f64_e64 v[24:25], v[24:25], -v[28:29]
	v_add_f64_e32 v[12:13], v[12:13], v[24:25]
	s_delay_alu instid0(VALU_DEP_3) | instskip(NEXT) | instid1(VALU_DEP_2)
	v_add_f64_e64 v[24:25], v[22:23], -v[26:27]
	v_add_f64_e32 v[12:13], v[22:23], v[12:13]
	s_delay_alu instid0(VALU_DEP_2) | instskip(SKIP_1) | instid1(VALU_DEP_3)
	v_add_f64_e64 v[28:29], v[22:23], -v[24:25]
	v_add_f64_e64 v[8:9], v[8:9], -v[24:25]
	v_add_f64_e32 v[22:23], v[20:21], v[12:13]
	s_delay_alu instid0(VALU_DEP_3) | instskip(NEXT) | instid1(VALU_DEP_2)
	v_add_f64_e64 v[26:27], v[26:27], -v[28:29]
	v_add_f64_e64 v[20:21], v[22:23], -v[20:21]
	s_delay_alu instid0(VALU_DEP_2) | instskip(NEXT) | instid1(VALU_DEP_2)
	v_add_f64_e32 v[8:9], v[8:9], v[26:27]
	v_add_f64_e64 v[12:13], v[12:13], -v[20:21]
	s_delay_alu instid0(VALU_DEP_1) | instskip(NEXT) | instid1(VALU_DEP_1)
	v_add_f64_e32 v[8:9], v[8:9], v[12:13]
	v_add_f64_e32 v[8:9], v[22:23], v[8:9]
	s_delay_alu instid0(VALU_DEP_1) | instskip(NEXT) | instid1(VALU_DEP_1)
	v_cndmask_b32_e32 v9, 0x7ff00000, v9, vcc_lo
	v_cndmask_b32_e64 v9, 0x7ff80000, v9, s0
	v_cmp_nge_f64_e64 s0, -1.0, v[10:11]
	s_and_b32 vcc_lo, s0, vcc_lo
	v_cmp_ngt_f64_e64 s0, -1.0, v[2:3]
	v_cndmask_b32_e32 v8, 0, v8, vcc_lo
	v_cmp_neq_f64_e32 vcc_lo, -1.0, v[10:11]
	v_add_f64_e32 v[10:11], 1.0, v[2:3]
	v_cndmask_b32_e32 v9, 0xfff00000, v9, vcc_lo
	s_delay_alu instid0(VALU_DEP_2) | instskip(SKIP_1) | instid1(VALU_DEP_2)
	v_add_f64_e32 v[12:13], -1.0, v[10:11]
	v_frexp_exp_i32_f64_e32 v22, v[10:11]
	v_add_f64_e64 v[20:21], v[12:13], -v[10:11]
	v_add_f64_e64 v[12:13], v[2:3], -v[12:13]
	s_delay_alu instid0(VALU_DEP_2) | instskip(NEXT) | instid1(VALU_DEP_1)
	v_add_f64_e32 v[20:21], 1.0, v[20:21]
	v_add_f64_e32 v[12:13], v[12:13], v[20:21]
	v_frexp_mant_f64_e32 v[20:21], v[10:11]
	s_delay_alu instid0(VALU_DEP_1) | instskip(SKIP_2) | instid1(VALU_DEP_2)
	v_cmp_gt_f64_e32 vcc_lo, s[2:3], v[20:21]
	v_subrev_co_ci_u32_e64 v36, null, 0, v22, vcc_lo
	v_cmp_neq_f64_e32 vcc_lo, 0x7ff00000, v[2:3]
	v_sub_nc_u32_e32 v20, 0, v36
	s_delay_alu instid0(VALU_DEP_1) | instskip(SKIP_1) | instid1(VALU_DEP_2)
	v_ldexp_f64 v[10:11], v[10:11], v20
	v_ldexp_f64 v[12:13], v[12:13], v20
	v_add_f64_e32 v[20:21], -1.0, v[10:11]
	s_delay_alu instid0(VALU_DEP_1) | instskip(NEXT) | instid1(VALU_DEP_1)
	v_add_f64_e32 v[22:23], 1.0, v[20:21]
	v_add_f64_e64 v[22:23], v[10:11], -v[22:23]
	s_delay_alu instid0(VALU_DEP_1) | instskip(NEXT) | instid1(VALU_DEP_1)
	v_add_f64_e32 v[22:23], v[12:13], v[22:23]
	v_add_f64_e32 v[24:25], v[20:21], v[22:23]
	s_delay_alu instid0(VALU_DEP_1) | instskip(NEXT) | instid1(VALU_DEP_1)
	v_add_f64_e64 v[20:21], v[24:25], -v[20:21]
	v_add_f64_e64 v[20:21], v[22:23], -v[20:21]
	v_add_f64_e32 v[22:23], 1.0, v[10:11]
	s_delay_alu instid0(VALU_DEP_1) | instskip(NEXT) | instid1(VALU_DEP_1)
	v_add_f64_e32 v[26:27], -1.0, v[22:23]
	v_add_f64_e64 v[10:11], v[10:11], -v[26:27]
	s_delay_alu instid0(VALU_DEP_1) | instskip(NEXT) | instid1(VALU_DEP_1)
	v_add_f64_e32 v[10:11], v[12:13], v[10:11]
	v_add_f64_e32 v[12:13], v[22:23], v[10:11]
	s_delay_alu instid0(VALU_DEP_1) | instskip(NEXT) | instid1(VALU_DEP_1)
	v_add_f64_e64 v[22:23], v[12:13], -v[22:23]
	v_add_f64_e64 v[10:11], v[10:11], -v[22:23]
	v_rcp_f64_e32 v[22:23], v[12:13]
	v_nop
	s_delay_alu instid0(TRANS32_DEP_1) | instskip(NEXT) | instid1(VALU_DEP_1)
	v_fma_f64 v[26:27], -v[12:13], v[22:23], 1.0
	v_fmac_f64_e32 v[22:23], v[26:27], v[22:23]
	s_delay_alu instid0(VALU_DEP_1) | instskip(NEXT) | instid1(VALU_DEP_1)
	v_fma_f64 v[26:27], -v[12:13], v[22:23], 1.0
	v_fmac_f64_e32 v[22:23], v[26:27], v[22:23]
	s_delay_alu instid0(VALU_DEP_1) | instskip(NEXT) | instid1(VALU_DEP_1)
	v_mul_f64_e32 v[26:27], v[24:25], v[22:23]
	v_mul_f64_e32 v[28:29], v[12:13], v[26:27]
	s_delay_alu instid0(VALU_DEP_1) | instskip(NEXT) | instid1(VALU_DEP_1)
	v_fma_f64 v[30:31], v[26:27], v[12:13], -v[28:29]
	v_fmac_f64_e32 v[30:31], v[26:27], v[10:11]
	s_delay_alu instid0(VALU_DEP_1) | instskip(NEXT) | instid1(VALU_DEP_1)
	v_add_f64_e32 v[32:33], v[28:29], v[30:31]
	v_add_f64_e64 v[34:35], v[24:25], -v[32:33]
	v_add_f64_e64 v[28:29], v[32:33], -v[28:29]
	s_delay_alu instid0(VALU_DEP_2) | instskip(NEXT) | instid1(VALU_DEP_1)
	v_add_f64_e64 v[24:25], v[24:25], -v[34:35]
	v_add_f64_e64 v[24:25], v[24:25], -v[32:33]
	s_delay_alu instid0(VALU_DEP_1) | instskip(NEXT) | instid1(VALU_DEP_4)
	v_add_f64_e32 v[20:21], v[20:21], v[24:25]
	v_add_f64_e64 v[24:25], v[28:29], -v[30:31]
	s_delay_alu instid0(VALU_DEP_1) | instskip(NEXT) | instid1(VALU_DEP_1)
	v_add_f64_e32 v[20:21], v[24:25], v[20:21]
	v_add_f64_e32 v[24:25], v[34:35], v[20:21]
	s_delay_alu instid0(VALU_DEP_1) | instskip(NEXT) | instid1(VALU_DEP_1)
	v_add_f64_e64 v[28:29], v[34:35], -v[24:25]
	v_add_f64_e32 v[20:21], v[20:21], v[28:29]
	v_mul_f64_e32 v[28:29], v[22:23], v[24:25]
	s_delay_alu instid0(VALU_DEP_1) | instskip(NEXT) | instid1(VALU_DEP_1)
	v_mul_f64_e32 v[30:31], v[12:13], v[28:29]
	v_fma_f64 v[12:13], v[28:29], v[12:13], -v[30:31]
	s_delay_alu instid0(VALU_DEP_1) | instskip(NEXT) | instid1(VALU_DEP_1)
	v_fmac_f64_e32 v[12:13], v[28:29], v[10:11]
	v_add_f64_e32 v[10:11], v[30:31], v[12:13]
	s_delay_alu instid0(VALU_DEP_1) | instskip(SKIP_1) | instid1(VALU_DEP_2)
	v_add_f64_e64 v[32:33], v[24:25], -v[10:11]
	v_add_f64_e64 v[30:31], v[10:11], -v[30:31]
	;; [unrolled: 1-line block ×3, first 2 shown]
	s_delay_alu instid0(VALU_DEP_2) | instskip(NEXT) | instid1(VALU_DEP_2)
	v_add_f64_e64 v[12:13], v[30:31], -v[12:13]
	v_add_f64_e64 v[10:11], v[24:25], -v[10:11]
	v_cvt_f64_i32_e32 v[24:25], v36
	s_delay_alu instid0(VALU_DEP_2) | instskip(NEXT) | instid1(VALU_DEP_1)
	v_add_f64_e32 v[10:11], v[20:21], v[10:11]
	v_add_f64_e32 v[10:11], v[12:13], v[10:11]
	;; [unrolled: 1-line block ×3, first 2 shown]
	s_delay_alu instid0(VALU_DEP_2) | instskip(NEXT) | instid1(VALU_DEP_2)
	v_add_f64_e32 v[10:11], v[32:33], v[10:11]
	v_add_f64_e64 v[20:21], v[12:13], -v[26:27]
	v_mul_f64_e32 v[26:27], 0x3fe62e42fefa39ef, v[24:25]
	s_delay_alu instid0(VALU_DEP_3) | instskip(NEXT) | instid1(VALU_DEP_3)
	v_mul_f64_e32 v[10:11], v[22:23], v[10:11]
	v_add_f64_e64 v[20:21], v[28:29], -v[20:21]
	s_delay_alu instid0(VALU_DEP_3) | instskip(NEXT) | instid1(VALU_DEP_2)
	v_fma_f64 v[28:29], v[24:25], s[4:5], -v[26:27]
	v_add_f64_e32 v[10:11], v[20:21], v[10:11]
	s_delay_alu instid0(VALU_DEP_2) | instskip(NEXT) | instid1(VALU_DEP_2)
	v_fmac_f64_e32 v[28:29], 0x3c7abc9e3b39803f, v[24:25]
	v_add_f64_e32 v[20:21], v[12:13], v[10:11]
	s_delay_alu instid0(VALU_DEP_2) | instskip(NEXT) | instid1(VALU_DEP_2)
	v_add_f64_e32 v[24:25], v[26:27], v[28:29]
	v_add_f64_e64 v[12:13], v[20:21], -v[12:13]
	s_delay_alu instid0(VALU_DEP_2) | instskip(NEXT) | instid1(VALU_DEP_2)
	v_add_f64_e64 v[26:27], v[24:25], -v[26:27]
	v_add_f64_e64 v[10:11], v[10:11], -v[12:13]
	v_mul_f64_e32 v[12:13], v[20:21], v[20:21]
	s_delay_alu instid0(VALU_DEP_3) | instskip(SKIP_1) | instid1(VALU_DEP_4)
	v_add_f64_e64 v[26:27], v[28:29], -v[26:27]
	v_ldexp_f64 v[28:29], v[20:21], 1
	v_ldexp_f64 v[10:11], v[10:11], 1
	s_delay_alu instid0(VALU_DEP_4) | instskip(NEXT) | instid1(VALU_DEP_1)
	v_fmamk_f64 v[22:23], v[12:13], 0x3fc3ab76bf559e2b, v[16:17]
	v_fmaak_f64 v[22:23], v[12:13], v[22:23], 0x3fc7474dd7f4df2e
	s_delay_alu instid0(VALU_DEP_1) | instskip(NEXT) | instid1(VALU_DEP_1)
	v_fmaak_f64 v[22:23], v[12:13], v[22:23], 0x3fcc71c016291751
	v_fmaak_f64 v[22:23], v[12:13], v[22:23], 0x3fd249249b27acf1
	s_delay_alu instid0(VALU_DEP_1) | instskip(NEXT) | instid1(VALU_DEP_1)
	v_fmaak_f64 v[22:23], v[12:13], v[22:23], 0x3fd99999998ef7b6
	v_fmaak_f64 v[22:23], v[12:13], v[22:23], 0x3fe5555555555780
	v_mul_f64_e32 v[12:13], v[20:21], v[12:13]
	s_delay_alu instid0(VALU_DEP_1) | instskip(NEXT) | instid1(VALU_DEP_1)
	v_mul_f64_e32 v[12:13], v[12:13], v[22:23]
	v_add_f64_e32 v[20:21], v[28:29], v[12:13]
	s_delay_alu instid0(VALU_DEP_1) | instskip(NEXT) | instid1(VALU_DEP_1)
	v_add_f64_e64 v[22:23], v[20:21], -v[28:29]
	v_add_f64_e64 v[12:13], v[12:13], -v[22:23]
	s_delay_alu instid0(VALU_DEP_1) | instskip(NEXT) | instid1(VALU_DEP_1)
	v_add_f64_e32 v[10:11], v[10:11], v[12:13]
	v_add_f64_e32 v[12:13], v[20:21], v[10:11]
	s_delay_alu instid0(VALU_DEP_1) | instskip(NEXT) | instid1(VALU_DEP_1)
	v_add_f64_e64 v[20:21], v[12:13], -v[20:21]
	v_add_f64_e64 v[10:11], v[10:11], -v[20:21]
	v_add_f64_e32 v[20:21], v[24:25], v[12:13]
	s_delay_alu instid0(VALU_DEP_1) | instskip(NEXT) | instid1(VALU_DEP_1)
	v_add_f64_e64 v[22:23], v[20:21], -v[24:25]
	v_add_f64_e64 v[28:29], v[20:21], -v[22:23]
	;; [unrolled: 1-line block ×3, first 2 shown]
	v_add_f64_e32 v[22:23], v[26:27], v[10:11]
	s_delay_alu instid0(VALU_DEP_3) | instskip(NEXT) | instid1(VALU_DEP_1)
	v_add_f64_e64 v[24:25], v[24:25], -v[28:29]
	v_add_f64_e32 v[12:13], v[12:13], v[24:25]
	s_delay_alu instid0(VALU_DEP_3) | instskip(NEXT) | instid1(VALU_DEP_2)
	v_add_f64_e64 v[24:25], v[22:23], -v[26:27]
	v_add_f64_e32 v[12:13], v[22:23], v[12:13]
	s_delay_alu instid0(VALU_DEP_2) | instskip(SKIP_1) | instid1(VALU_DEP_3)
	v_add_f64_e64 v[28:29], v[22:23], -v[24:25]
	v_add_f64_e64 v[10:11], v[10:11], -v[24:25]
	v_add_f64_e32 v[22:23], v[20:21], v[12:13]
	s_delay_alu instid0(VALU_DEP_3) | instskip(NEXT) | instid1(VALU_DEP_2)
	v_add_f64_e64 v[26:27], v[26:27], -v[28:29]
	v_add_f64_e64 v[20:21], v[22:23], -v[20:21]
	s_delay_alu instid0(VALU_DEP_2) | instskip(NEXT) | instid1(VALU_DEP_2)
	v_add_f64_e32 v[10:11], v[10:11], v[26:27]
	v_add_f64_e64 v[12:13], v[12:13], -v[20:21]
	s_delay_alu instid0(VALU_DEP_1) | instskip(NEXT) | instid1(VALU_DEP_1)
	v_add_f64_e32 v[10:11], v[10:11], v[12:13]
	v_add_f64_e32 v[10:11], v[22:23], v[10:11]
	s_delay_alu instid0(VALU_DEP_1) | instskip(NEXT) | instid1(VALU_DEP_1)
	v_cndmask_b32_e32 v11, 0x7ff00000, v11, vcc_lo
	v_cndmask_b32_e64 v11, 0x7ff80000, v11, s0
	v_cmp_nge_f64_e64 s0, -1.0, v[2:3]
	s_and_b32 vcc_lo, s0, vcc_lo
	v_cmp_ngt_f64_e64 s0, -1.0, v[4:5]
	v_cndmask_b32_e32 v10, 0, v10, vcc_lo
	v_cmp_neq_f64_e32 vcc_lo, -1.0, v[2:3]
	v_add_f64_e32 v[2:3], 1.0, v[4:5]
	v_cndmask_b32_e32 v11, 0xfff00000, v11, vcc_lo
	s_delay_alu instid0(VALU_DEP_2) | instskip(SKIP_1) | instid1(VALU_DEP_2)
	v_add_f64_e32 v[12:13], -1.0, v[2:3]
	v_frexp_exp_i32_f64_e32 v22, v[2:3]
	v_add_f64_e64 v[20:21], v[12:13], -v[2:3]
	v_add_f64_e64 v[12:13], v[4:5], -v[12:13]
	s_delay_alu instid0(VALU_DEP_2) | instskip(NEXT) | instid1(VALU_DEP_1)
	v_add_f64_e32 v[20:21], 1.0, v[20:21]
	v_add_f64_e32 v[12:13], v[12:13], v[20:21]
	v_frexp_mant_f64_e32 v[20:21], v[2:3]
	s_delay_alu instid0(VALU_DEP_1) | instskip(SKIP_2) | instid1(VALU_DEP_2)
	v_cmp_gt_f64_e32 vcc_lo, s[2:3], v[20:21]
	v_subrev_co_ci_u32_e64 v36, null, 0, v22, vcc_lo
	v_cmp_neq_f64_e32 vcc_lo, 0x7ff00000, v[4:5]
	v_sub_nc_u32_e32 v20, 0, v36
	s_delay_alu instid0(VALU_DEP_1) | instskip(SKIP_1) | instid1(VALU_DEP_2)
	v_ldexp_f64 v[2:3], v[2:3], v20
	v_ldexp_f64 v[12:13], v[12:13], v20
	v_add_f64_e32 v[20:21], -1.0, v[2:3]
	s_delay_alu instid0(VALU_DEP_1) | instskip(NEXT) | instid1(VALU_DEP_1)
	v_add_f64_e32 v[22:23], 1.0, v[20:21]
	v_add_f64_e64 v[22:23], v[2:3], -v[22:23]
	s_delay_alu instid0(VALU_DEP_1) | instskip(NEXT) | instid1(VALU_DEP_1)
	v_add_f64_e32 v[22:23], v[12:13], v[22:23]
	v_add_f64_e32 v[24:25], v[20:21], v[22:23]
	s_delay_alu instid0(VALU_DEP_1) | instskip(NEXT) | instid1(VALU_DEP_1)
	v_add_f64_e64 v[20:21], v[24:25], -v[20:21]
	v_add_f64_e64 v[20:21], v[22:23], -v[20:21]
	v_add_f64_e32 v[22:23], 1.0, v[2:3]
	s_delay_alu instid0(VALU_DEP_1) | instskip(NEXT) | instid1(VALU_DEP_1)
	v_add_f64_e32 v[26:27], -1.0, v[22:23]
	v_add_f64_e64 v[2:3], v[2:3], -v[26:27]
	s_delay_alu instid0(VALU_DEP_1) | instskip(NEXT) | instid1(VALU_DEP_1)
	v_add_f64_e32 v[2:3], v[12:13], v[2:3]
	v_add_f64_e32 v[12:13], v[22:23], v[2:3]
	s_delay_alu instid0(VALU_DEP_1) | instskip(NEXT) | instid1(VALU_DEP_1)
	v_add_f64_e64 v[22:23], v[12:13], -v[22:23]
	v_add_f64_e64 v[2:3], v[2:3], -v[22:23]
	v_rcp_f64_e32 v[22:23], v[12:13]
	v_nop
	s_delay_alu instid0(TRANS32_DEP_1) | instskip(NEXT) | instid1(VALU_DEP_1)
	v_fma_f64 v[26:27], -v[12:13], v[22:23], 1.0
	v_fmac_f64_e32 v[22:23], v[26:27], v[22:23]
	s_delay_alu instid0(VALU_DEP_1) | instskip(NEXT) | instid1(VALU_DEP_1)
	v_fma_f64 v[26:27], -v[12:13], v[22:23], 1.0
	v_fmac_f64_e32 v[22:23], v[26:27], v[22:23]
	s_delay_alu instid0(VALU_DEP_1) | instskip(NEXT) | instid1(VALU_DEP_1)
	v_mul_f64_e32 v[26:27], v[24:25], v[22:23]
	v_mul_f64_e32 v[28:29], v[12:13], v[26:27]
	s_delay_alu instid0(VALU_DEP_1) | instskip(NEXT) | instid1(VALU_DEP_1)
	v_fma_f64 v[30:31], v[26:27], v[12:13], -v[28:29]
	v_fmac_f64_e32 v[30:31], v[26:27], v[2:3]
	s_delay_alu instid0(VALU_DEP_1) | instskip(NEXT) | instid1(VALU_DEP_1)
	v_add_f64_e32 v[32:33], v[28:29], v[30:31]
	v_add_f64_e64 v[34:35], v[24:25], -v[32:33]
	v_add_f64_e64 v[28:29], v[32:33], -v[28:29]
	s_delay_alu instid0(VALU_DEP_2) | instskip(NEXT) | instid1(VALU_DEP_1)
	v_add_f64_e64 v[24:25], v[24:25], -v[34:35]
	v_add_f64_e64 v[24:25], v[24:25], -v[32:33]
	s_delay_alu instid0(VALU_DEP_1) | instskip(NEXT) | instid1(VALU_DEP_4)
	v_add_f64_e32 v[20:21], v[20:21], v[24:25]
	v_add_f64_e64 v[24:25], v[28:29], -v[30:31]
	s_delay_alu instid0(VALU_DEP_1) | instskip(NEXT) | instid1(VALU_DEP_1)
	v_add_f64_e32 v[20:21], v[24:25], v[20:21]
	v_add_f64_e32 v[24:25], v[34:35], v[20:21]
	s_delay_alu instid0(VALU_DEP_1) | instskip(NEXT) | instid1(VALU_DEP_1)
	v_add_f64_e64 v[28:29], v[34:35], -v[24:25]
	v_add_f64_e32 v[20:21], v[20:21], v[28:29]
	v_mul_f64_e32 v[28:29], v[22:23], v[24:25]
	s_delay_alu instid0(VALU_DEP_1) | instskip(NEXT) | instid1(VALU_DEP_1)
	v_mul_f64_e32 v[30:31], v[12:13], v[28:29]
	v_fma_f64 v[12:13], v[28:29], v[12:13], -v[30:31]
	s_delay_alu instid0(VALU_DEP_1) | instskip(NEXT) | instid1(VALU_DEP_1)
	v_fmac_f64_e32 v[12:13], v[28:29], v[2:3]
	v_add_f64_e32 v[2:3], v[30:31], v[12:13]
	s_delay_alu instid0(VALU_DEP_1) | instskip(SKIP_1) | instid1(VALU_DEP_2)
	v_add_f64_e64 v[32:33], v[24:25], -v[2:3]
	v_add_f64_e64 v[30:31], v[2:3], -v[30:31]
	;; [unrolled: 1-line block ×3, first 2 shown]
	s_delay_alu instid0(VALU_DEP_2) | instskip(NEXT) | instid1(VALU_DEP_2)
	v_add_f64_e64 v[12:13], v[30:31], -v[12:13]
	v_add_f64_e64 v[2:3], v[24:25], -v[2:3]
	v_cvt_f64_i32_e32 v[24:25], v36
	s_delay_alu instid0(VALU_DEP_2) | instskip(NEXT) | instid1(VALU_DEP_1)
	v_add_f64_e32 v[2:3], v[20:21], v[2:3]
	v_add_f64_e32 v[2:3], v[12:13], v[2:3]
	;; [unrolled: 1-line block ×3, first 2 shown]
	s_delay_alu instid0(VALU_DEP_2) | instskip(NEXT) | instid1(VALU_DEP_2)
	v_add_f64_e32 v[2:3], v[32:33], v[2:3]
	v_add_f64_e64 v[20:21], v[12:13], -v[26:27]
	v_mul_f64_e32 v[26:27], 0x3fe62e42fefa39ef, v[24:25]
	s_delay_alu instid0(VALU_DEP_3) | instskip(NEXT) | instid1(VALU_DEP_3)
	v_mul_f64_e32 v[2:3], v[22:23], v[2:3]
	v_add_f64_e64 v[20:21], v[28:29], -v[20:21]
	s_delay_alu instid0(VALU_DEP_3) | instskip(NEXT) | instid1(VALU_DEP_2)
	v_fma_f64 v[28:29], v[24:25], s[4:5], -v[26:27]
	v_add_f64_e32 v[2:3], v[20:21], v[2:3]
	s_delay_alu instid0(VALU_DEP_2) | instskip(NEXT) | instid1(VALU_DEP_2)
	v_fmac_f64_e32 v[28:29], 0x3c7abc9e3b39803f, v[24:25]
	v_add_f64_e32 v[20:21], v[12:13], v[2:3]
	s_delay_alu instid0(VALU_DEP_2) | instskip(NEXT) | instid1(VALU_DEP_2)
	v_add_f64_e32 v[24:25], v[26:27], v[28:29]
	v_add_f64_e64 v[12:13], v[20:21], -v[12:13]
	s_delay_alu instid0(VALU_DEP_2) | instskip(NEXT) | instid1(VALU_DEP_2)
	v_add_f64_e64 v[26:27], v[24:25], -v[26:27]
	v_add_f64_e64 v[2:3], v[2:3], -v[12:13]
	v_mul_f64_e32 v[12:13], v[20:21], v[20:21]
	s_delay_alu instid0(VALU_DEP_3) | instskip(SKIP_1) | instid1(VALU_DEP_4)
	v_add_f64_e64 v[26:27], v[28:29], -v[26:27]
	v_ldexp_f64 v[28:29], v[20:21], 1
	v_ldexp_f64 v[2:3], v[2:3], 1
	s_delay_alu instid0(VALU_DEP_4) | instskip(NEXT) | instid1(VALU_DEP_1)
	v_fmamk_f64 v[22:23], v[12:13], 0x3fc3ab76bf559e2b, v[16:17]
	v_fmaak_f64 v[22:23], v[12:13], v[22:23], 0x3fc7474dd7f4df2e
	s_delay_alu instid0(VALU_DEP_1) | instskip(NEXT) | instid1(VALU_DEP_1)
	v_fmaak_f64 v[22:23], v[12:13], v[22:23], 0x3fcc71c016291751
	v_fmaak_f64 v[22:23], v[12:13], v[22:23], 0x3fd249249b27acf1
	s_delay_alu instid0(VALU_DEP_1) | instskip(NEXT) | instid1(VALU_DEP_1)
	v_fmaak_f64 v[22:23], v[12:13], v[22:23], 0x3fd99999998ef7b6
	v_fmaak_f64 v[22:23], v[12:13], v[22:23], 0x3fe5555555555780
	v_mul_f64_e32 v[12:13], v[20:21], v[12:13]
	s_delay_alu instid0(VALU_DEP_1) | instskip(NEXT) | instid1(VALU_DEP_1)
	v_mul_f64_e32 v[12:13], v[12:13], v[22:23]
	v_add_f64_e32 v[20:21], v[28:29], v[12:13]
	s_delay_alu instid0(VALU_DEP_1) | instskip(NEXT) | instid1(VALU_DEP_1)
	v_add_f64_e64 v[22:23], v[20:21], -v[28:29]
	v_add_f64_e64 v[12:13], v[12:13], -v[22:23]
	s_delay_alu instid0(VALU_DEP_1) | instskip(NEXT) | instid1(VALU_DEP_1)
	v_add_f64_e32 v[2:3], v[2:3], v[12:13]
	v_add_f64_e32 v[12:13], v[20:21], v[2:3]
	s_delay_alu instid0(VALU_DEP_1) | instskip(NEXT) | instid1(VALU_DEP_1)
	v_add_f64_e64 v[20:21], v[12:13], -v[20:21]
	v_add_f64_e64 v[2:3], v[2:3], -v[20:21]
	v_add_f64_e32 v[20:21], v[24:25], v[12:13]
	s_delay_alu instid0(VALU_DEP_1) | instskip(NEXT) | instid1(VALU_DEP_1)
	v_add_f64_e64 v[22:23], v[20:21], -v[24:25]
	v_add_f64_e64 v[28:29], v[20:21], -v[22:23]
	;; [unrolled: 1-line block ×3, first 2 shown]
	v_add_f64_e32 v[22:23], v[26:27], v[2:3]
	s_delay_alu instid0(VALU_DEP_3) | instskip(NEXT) | instid1(VALU_DEP_1)
	v_add_f64_e64 v[24:25], v[24:25], -v[28:29]
	v_add_f64_e32 v[12:13], v[12:13], v[24:25]
	s_delay_alu instid0(VALU_DEP_3) | instskip(NEXT) | instid1(VALU_DEP_2)
	v_add_f64_e64 v[24:25], v[22:23], -v[26:27]
	v_add_f64_e32 v[12:13], v[22:23], v[12:13]
	s_delay_alu instid0(VALU_DEP_2) | instskip(SKIP_1) | instid1(VALU_DEP_3)
	v_add_f64_e64 v[28:29], v[22:23], -v[24:25]
	v_add_f64_e64 v[2:3], v[2:3], -v[24:25]
	v_add_f64_e32 v[22:23], v[20:21], v[12:13]
	s_delay_alu instid0(VALU_DEP_3) | instskip(NEXT) | instid1(VALU_DEP_2)
	v_add_f64_e64 v[26:27], v[26:27], -v[28:29]
	v_add_f64_e64 v[20:21], v[22:23], -v[20:21]
	s_delay_alu instid0(VALU_DEP_2) | instskip(NEXT) | instid1(VALU_DEP_2)
	v_add_f64_e32 v[2:3], v[2:3], v[26:27]
	v_add_f64_e64 v[12:13], v[12:13], -v[20:21]
	s_delay_alu instid0(VALU_DEP_1) | instskip(NEXT) | instid1(VALU_DEP_1)
	v_add_f64_e32 v[2:3], v[2:3], v[12:13]
	v_add_f64_e32 v[2:3], v[22:23], v[2:3]
	s_delay_alu instid0(VALU_DEP_1) | instskip(NEXT) | instid1(VALU_DEP_1)
	v_cndmask_b32_e32 v3, 0x7ff00000, v3, vcc_lo
	v_cndmask_b32_e64 v3, 0x7ff80000, v3, s0
	v_cmp_nge_f64_e64 s0, -1.0, v[4:5]
	s_and_b32 vcc_lo, s0, vcc_lo
	v_cndmask_b32_e32 v12, 0, v2, vcc_lo
	v_cmp_neq_f64_e32 vcc_lo, -1.0, v[4:5]
	v_cndmask_b32_e32 v13, 0xfff00000, v3, vcc_lo
	v_lshlrev_b64_e32 v[2:3], 2, v[0:1]
	s_clause 0x1
	global_store_b128 v[18:19], v[6:9], off offset:-16
	global_store_b128 v[18:19], v[10:13], off
	s_wait_xcnt 0x0
	v_add_nc_u64_e32 v[18:19], s[8:9], v[18:19]
	v_cmp_ge_i64_e32 vcc_lo, v[2:3], v[14:15]
	s_or_b32 s1, vcc_lo, s1
	s_delay_alu instid0(SALU_CYCLE_1)
	s_and_not1_b32 exec_lo, exec_lo, s1
	s_cbranch_execnz .LBB207_24
.LBB207_25:
	s_endpgm
	.section	.rodata,"a",@progbits
	.p2align	6, 0x0
	.amdhsa_kernel _ZN2at6native12_GLOBAL__N_125multi_tensor_apply_kernelINS1_18TensorListMetadataILi1EEENS1_14UnaryOpFunctorIdLi1ELi1ELi0EEEJNS0_5Log1pIdEEEEEvT_T0_DpT1_
		.amdhsa_group_segment_fixed_size 0
		.amdhsa_private_segment_fixed_size 0
		.amdhsa_kernarg_size 3632
		.amdhsa_user_sgpr_count 2
		.amdhsa_user_sgpr_dispatch_ptr 0
		.amdhsa_user_sgpr_queue_ptr 0
		.amdhsa_user_sgpr_kernarg_segment_ptr 1
		.amdhsa_user_sgpr_dispatch_id 0
		.amdhsa_user_sgpr_kernarg_preload_length 0
		.amdhsa_user_sgpr_kernarg_preload_offset 0
		.amdhsa_user_sgpr_private_segment_size 0
		.amdhsa_wavefront_size32 1
		.amdhsa_uses_dynamic_stack 0
		.amdhsa_enable_private_segment 0
		.amdhsa_system_sgpr_workgroup_id_x 1
		.amdhsa_system_sgpr_workgroup_id_y 0
		.amdhsa_system_sgpr_workgroup_id_z 0
		.amdhsa_system_sgpr_workgroup_info 0
		.amdhsa_system_vgpr_workitem_id 0
		.amdhsa_next_free_vgpr 53
		.amdhsa_next_free_sgpr 28
		.amdhsa_named_barrier_count 0
		.amdhsa_reserve_vcc 1
		.amdhsa_float_round_mode_32 0
		.amdhsa_float_round_mode_16_64 0
		.amdhsa_float_denorm_mode_32 3
		.amdhsa_float_denorm_mode_16_64 3
		.amdhsa_fp16_overflow 0
		.amdhsa_memory_ordered 1
		.amdhsa_forward_progress 1
		.amdhsa_inst_pref_size 69
		.amdhsa_round_robin_scheduling 0
		.amdhsa_exception_fp_ieee_invalid_op 0
		.amdhsa_exception_fp_denorm_src 0
		.amdhsa_exception_fp_ieee_div_zero 0
		.amdhsa_exception_fp_ieee_overflow 0
		.amdhsa_exception_fp_ieee_underflow 0
		.amdhsa_exception_fp_ieee_inexact 0
		.amdhsa_exception_int_div_zero 0
	.end_amdhsa_kernel
	.section	.text._ZN2at6native12_GLOBAL__N_125multi_tensor_apply_kernelINS1_18TensorListMetadataILi1EEENS1_14UnaryOpFunctorIdLi1ELi1ELi0EEEJNS0_5Log1pIdEEEEEvT_T0_DpT1_,"axG",@progbits,_ZN2at6native12_GLOBAL__N_125multi_tensor_apply_kernelINS1_18TensorListMetadataILi1EEENS1_14UnaryOpFunctorIdLi1ELi1ELi0EEEJNS0_5Log1pIdEEEEEvT_T0_DpT1_,comdat
.Lfunc_end207:
	.size	_ZN2at6native12_GLOBAL__N_125multi_tensor_apply_kernelINS1_18TensorListMetadataILi1EEENS1_14UnaryOpFunctorIdLi1ELi1ELi0EEEJNS0_5Log1pIdEEEEEvT_T0_DpT1_, .Lfunc_end207-_ZN2at6native12_GLOBAL__N_125multi_tensor_apply_kernelINS1_18TensorListMetadataILi1EEENS1_14UnaryOpFunctorIdLi1ELi1ELi0EEEJNS0_5Log1pIdEEEEEvT_T0_DpT1_
                                        ; -- End function
	.set _ZN2at6native12_GLOBAL__N_125multi_tensor_apply_kernelINS1_18TensorListMetadataILi1EEENS1_14UnaryOpFunctorIdLi1ELi1ELi0EEEJNS0_5Log1pIdEEEEEvT_T0_DpT1_.num_vgpr, 53
	.set _ZN2at6native12_GLOBAL__N_125multi_tensor_apply_kernelINS1_18TensorListMetadataILi1EEENS1_14UnaryOpFunctorIdLi1ELi1ELi0EEEJNS0_5Log1pIdEEEEEvT_T0_DpT1_.num_agpr, 0
	.set _ZN2at6native12_GLOBAL__N_125multi_tensor_apply_kernelINS1_18TensorListMetadataILi1EEENS1_14UnaryOpFunctorIdLi1ELi1ELi0EEEJNS0_5Log1pIdEEEEEvT_T0_DpT1_.numbered_sgpr, 28
	.set _ZN2at6native12_GLOBAL__N_125multi_tensor_apply_kernelINS1_18TensorListMetadataILi1EEENS1_14UnaryOpFunctorIdLi1ELi1ELi0EEEJNS0_5Log1pIdEEEEEvT_T0_DpT1_.num_named_barrier, 0
	.set _ZN2at6native12_GLOBAL__N_125multi_tensor_apply_kernelINS1_18TensorListMetadataILi1EEENS1_14UnaryOpFunctorIdLi1ELi1ELi0EEEJNS0_5Log1pIdEEEEEvT_T0_DpT1_.private_seg_size, 0
	.set _ZN2at6native12_GLOBAL__N_125multi_tensor_apply_kernelINS1_18TensorListMetadataILi1EEENS1_14UnaryOpFunctorIdLi1ELi1ELi0EEEJNS0_5Log1pIdEEEEEvT_T0_DpT1_.uses_vcc, 1
	.set _ZN2at6native12_GLOBAL__N_125multi_tensor_apply_kernelINS1_18TensorListMetadataILi1EEENS1_14UnaryOpFunctorIdLi1ELi1ELi0EEEJNS0_5Log1pIdEEEEEvT_T0_DpT1_.uses_flat_scratch, 0
	.set _ZN2at6native12_GLOBAL__N_125multi_tensor_apply_kernelINS1_18TensorListMetadataILi1EEENS1_14UnaryOpFunctorIdLi1ELi1ELi0EEEJNS0_5Log1pIdEEEEEvT_T0_DpT1_.has_dyn_sized_stack, 0
	.set _ZN2at6native12_GLOBAL__N_125multi_tensor_apply_kernelINS1_18TensorListMetadataILi1EEENS1_14UnaryOpFunctorIdLi1ELi1ELi0EEEJNS0_5Log1pIdEEEEEvT_T0_DpT1_.has_recursion, 0
	.set _ZN2at6native12_GLOBAL__N_125multi_tensor_apply_kernelINS1_18TensorListMetadataILi1EEENS1_14UnaryOpFunctorIdLi1ELi1ELi0EEEJNS0_5Log1pIdEEEEEvT_T0_DpT1_.has_indirect_call, 0
	.section	.AMDGPU.csdata,"",@progbits
; Kernel info:
; codeLenInByte = 8764
; TotalNumSgprs: 30
; NumVgprs: 53
; ScratchSize: 0
; MemoryBound: 0
; FloatMode: 240
; IeeeMode: 1
; LDSByteSize: 0 bytes/workgroup (compile time only)
; SGPRBlocks: 0
; VGPRBlocks: 3
; NumSGPRsForWavesPerEU: 30
; NumVGPRsForWavesPerEU: 53
; NamedBarCnt: 0
; Occupancy: 16
; WaveLimiterHint : 0
; COMPUTE_PGM_RSRC2:SCRATCH_EN: 0
; COMPUTE_PGM_RSRC2:USER_SGPR: 2
; COMPUTE_PGM_RSRC2:TRAP_HANDLER: 0
; COMPUTE_PGM_RSRC2:TGID_X_EN: 1
; COMPUTE_PGM_RSRC2:TGID_Y_EN: 0
; COMPUTE_PGM_RSRC2:TGID_Z_EN: 0
; COMPUTE_PGM_RSRC2:TIDIG_COMP_CNT: 0
	.section	.text._ZN2at6native12_GLOBAL__N_125multi_tensor_apply_kernelINS1_18TensorListMetadataILi1EEENS1_14UnaryOpFunctorIfLi1ELi1ELi0EEEJNS0_5Log1pIfEEEEEvT_T0_DpT1_,"axG",@progbits,_ZN2at6native12_GLOBAL__N_125multi_tensor_apply_kernelINS1_18TensorListMetadataILi1EEENS1_14UnaryOpFunctorIfLi1ELi1ELi0EEEJNS0_5Log1pIfEEEEEvT_T0_DpT1_,comdat
	.globl	_ZN2at6native12_GLOBAL__N_125multi_tensor_apply_kernelINS1_18TensorListMetadataILi1EEENS1_14UnaryOpFunctorIfLi1ELi1ELi0EEEJNS0_5Log1pIfEEEEEvT_T0_DpT1_ ; -- Begin function _ZN2at6native12_GLOBAL__N_125multi_tensor_apply_kernelINS1_18TensorListMetadataILi1EEENS1_14UnaryOpFunctorIfLi1ELi1ELi0EEEJNS0_5Log1pIfEEEEEvT_T0_DpT1_
	.p2align	8
	.type	_ZN2at6native12_GLOBAL__N_125multi_tensor_apply_kernelINS1_18TensorListMetadataILi1EEENS1_14UnaryOpFunctorIfLi1ELi1ELi0EEEJNS0_5Log1pIfEEEEEvT_T0_DpT1_,@function
_ZN2at6native12_GLOBAL__N_125multi_tensor_apply_kernelINS1_18TensorListMetadataILi1EEENS1_14UnaryOpFunctorIfLi1ELi1ELi0EEEJNS0_5Log1pIfEEEEEvT_T0_DpT1_: ; @_ZN2at6native12_GLOBAL__N_125multi_tensor_apply_kernelINS1_18TensorListMetadataILi1EEENS1_14UnaryOpFunctorIfLi1ELi1ELi0EEEJNS0_5Log1pIfEEEEEvT_T0_DpT1_
; %bb.0:
	s_bfe_u32 s2, ttmp6, 0x4000c
	s_and_b32 s3, ttmp6, 15
	s_add_co_i32 s2, s2, 1
	s_getreg_b32 s4, hwreg(HW_REG_IB_STS2, 6, 4)
	s_mul_i32 s2, ttmp9, s2
	s_delay_alu instid0(SALU_CYCLE_1)
	s_add_co_i32 s3, s3, s2
	s_cmp_eq_u32 s4, 0
	s_cselect_b32 s2, ttmp9, s3
	s_mov_b32 s3, 0
	s_load_u8 s8, s[0:1], s2 offset:0x6e0
	s_add_nc_u64 s[4:5], s[0:1], s[2:3]
	s_mul_u64 s[6:7], s[2:3], 3
	s_delay_alu instid0(SALU_CYCLE_1)
	s_add_nc_u64 s[4:5], s[4:5], s[6:7]
	s_load_b32 s10, s[4:5], 0x820
	s_wait_kmcnt 0x0
	s_clause 0x1
	s_load_b64 s[6:7], s[0:1], s8 offset:0x0 scale_offset
	s_load_b64 s[12:13], s[0:1], s8 offset:0x370 scale_offset
	s_ashr_i32 s11, s10, 31
	s_wait_kmcnt 0x0
	s_and_b64 s[4:5], s[6:7], 15
	s_and_b32 s2, s12, 3
	s_lshl_b64 s[8:9], s[10:11], 18
	s_or_b64 s[2:3], s[4:5], s[2:3]
	s_lshl_b64 s[4:5], s[10:11], 16
	s_cmp_eq_u64 s[2:3], 0
	s_sub_nc_u64 s[10:11], s[12:13], s[4:5]
	s_cbranch_scc1 .LBB208_21
; %bb.1:
	v_cmp_lt_i64_e64 s2, s[10:11], 1
	s_and_b32 vcc_lo, exec_lo, s2
	s_cbranch_vccnz .LBB208_20
; %bb.2:
	s_load_b32 s4, s[0:1], 0xd3c
	v_min_i64 v[2:3], 0x10000, s[10:11]
	v_min_u64 v[4:5], 0x10000, s[10:11]
	v_dual_mov_b32 v1, 0 :: v_dual_lshlrev_b32 v8, 2, v0
	s_mov_b32 s19, 0
	s_add_nc_u64 s[2:3], s[6:7], s[8:9]
	s_mov_b32 s5, s19
	s_delay_alu instid0(VALU_DEP_1)
	v_dual_mov_b32 v15, v1 :: v_dual_mov_b32 v16, 0x3f317218
	s_mov_b32 s21, s19
	s_mov_b32 s13, s19
	s_mov_b32 s15, s19
	s_wait_kmcnt 0x0
	s_and_b32 s18, s4, 0xffff
	s_delay_alu instid0(SALU_CYCLE_1)
	v_add_nc_u64_e32 v[6:7], s[18:19], v[0:1]
	v_mov_b32_e32 v9, v1
	s_lshl_b32 s4, s18, 1
	s_mul_i32 s20, s18, 3
	v_add_nc_u64_e32 v[12:13], s[4:5], v[0:1]
	v_add_nc_u64_e32 v[10:11], s[20:21], v[0:1]
	s_lshl_b32 s12, s18, 2
	v_lshlrev_b32_e32 v14, 2, v6
	v_add_nc_u64_e32 v[8:9], s[2:3], v[8:9]
	s_lshl_b32 s14, s18, 4
	s_mul_u64 s[16:17], s[18:19], 12
	s_lshl_b32 s18, s18, 3
	v_add_nc_u64_e32 v[14:15], s[2:3], v[14:15]
	s_mov_b64 s[20:21], 0
	s_mov_b32 s5, 0x3e9b6dac
	s_branch .LBB208_4
.LBB208_3:                              ;   in Loop: Header=BB208_4 Depth=1
	s_wait_xcnt 0x0
	s_or_b32 exec_lo, exec_lo, s2
	s_add_nc_u64 s[20:21], s[20:21], s[12:13]
	v_add_nc_u64_e32 v[8:9], s[14:15], v[8:9]
	v_cmp_lt_i64_e32 vcc_lo, s[20:21], v[2:3]
	v_add_nc_u64_e32 v[14:15], s[14:15], v[14:15]
	s_cbranch_vccz .LBB208_20
.LBB208_4:                              ; =>This Inner Loop Header: Depth=1
	v_add_nc_u64_e32 v[18:19], s[20:21], v[0:1]
	s_wait_loadcnt 0x0
	v_mov_b32_e32 v25, 0
	s_delay_alu instid0(VALU_DEP_2)
	v_cmp_lt_u64_e64 s4, v[18:19], v[4:5]
	s_and_saveexec_b32 s2, s4
	s_cbranch_execz .LBB208_6
; %bb.5:                                ;   in Loop: Header=BB208_4 Depth=1
	global_load_b32 v25, v[8:9], off
.LBB208_6:                              ;   in Loop: Header=BB208_4 Depth=1
	s_wait_xcnt 0x0
	s_or_b32 exec_lo, exec_lo, s2
	v_add_nc_u64_e32 v[18:19], s[20:21], v[6:7]
	v_dual_mov_b32 v23, 0 :: v_dual_mov_b32 v24, 0
	s_delay_alu instid0(VALU_DEP_2)
	v_cmp_lt_u64_e64 s3, v[18:19], v[4:5]
	s_and_saveexec_b32 s2, s3
	s_cbranch_execz .LBB208_8
; %bb.7:                                ;   in Loop: Header=BB208_4 Depth=1
	global_load_b32 v24, v[14:15], off
.LBB208_8:                              ;   in Loop: Header=BB208_4 Depth=1
	s_wait_xcnt 0x0
	s_or_b32 exec_lo, exec_lo, s2
	v_add_nc_u64_e32 v[18:19], s[20:21], v[12:13]
	v_add_nc_u64_e32 v[20:21], s[18:19], v[8:9]
	s_delay_alu instid0(VALU_DEP_2)
	v_cmp_lt_u64_e64 s2, v[18:19], v[4:5]
	s_and_saveexec_b32 s22, s2
	s_cbranch_execz .LBB208_10
; %bb.9:                                ;   in Loop: Header=BB208_4 Depth=1
	global_load_b32 v23, v[20:21], off
.LBB208_10:                             ;   in Loop: Header=BB208_4 Depth=1
	s_wait_xcnt 0x0
	s_or_b32 exec_lo, exec_lo, s22
	v_add_nc_u64_e32 v[18:19], s[20:21], v[10:11]
	v_mov_b32_e32 v22, 0
	s_delay_alu instid0(VALU_DEP_2)
	v_cmp_lt_u64_e32 vcc_lo, v[18:19], v[4:5]
	v_add_nc_u64_e32 v[18:19], s[16:17], v[8:9]
	s_and_saveexec_b32 s22, vcc_lo
	s_cbranch_execnz .LBB208_15
; %bb.11:                               ;   in Loop: Header=BB208_4 Depth=1
	s_or_b32 exec_lo, exec_lo, s22
	s_and_saveexec_b32 s22, s4
	s_cbranch_execnz .LBB208_16
.LBB208_12:                             ;   in Loop: Header=BB208_4 Depth=1
	s_or_b32 exec_lo, exec_lo, s22
	s_and_saveexec_b32 s4, s3
	s_cbranch_execnz .LBB208_17
.LBB208_13:                             ;   in Loop: Header=BB208_4 Depth=1
	s_or_b32 exec_lo, exec_lo, s4
	s_and_saveexec_b32 s3, s2
	s_cbranch_execnz .LBB208_18
.LBB208_14:                             ;   in Loop: Header=BB208_4 Depth=1
	s_or_b32 exec_lo, exec_lo, s3
	s_and_saveexec_b32 s2, vcc_lo
	s_cbranch_execz .LBB208_3
	s_branch .LBB208_19
.LBB208_15:                             ;   in Loop: Header=BB208_4 Depth=1
	global_load_b32 v22, v[18:19], off
	s_wait_xcnt 0x0
	s_or_b32 exec_lo, exec_lo, s22
	s_and_saveexec_b32 s22, s4
	s_cbranch_execz .LBB208_12
.LBB208_16:                             ;   in Loop: Header=BB208_4 Depth=1
	s_wait_loadcnt 0x0
	v_add_f32_e32 v17, 1.0, v25
	s_delay_alu instid0(VALU_DEP_1) | instskip(NEXT) | instid1(VALU_DEP_1)
	v_cvt_f64_f32_e32 v[26:27], v17
	v_frexp_exp_i32_f64_e32 v26, v[26:27]
	v_frexp_mant_f32_e32 v27, v17
	s_delay_alu instid0(VALU_DEP_1) | instskip(NEXT) | instid1(VALU_DEP_1)
	v_cmp_gt_f32_e64 s4, 0x3f2aaaab, v27
	v_subrev_co_ci_u32_e64 v32, null, 0, v26, s4
	v_cmp_neq_f32_e64 s4, 0x7f800000, v25
	s_delay_alu instid0(VALU_DEP_2) | instskip(NEXT) | instid1(VALU_DEP_1)
	v_dual_add_f32 v26, -1.0, v17 :: v_dual_sub_nc_u32 v27, 0, v32
	v_sub_f32_e32 v28, v26, v17
	s_delay_alu instid0(VALU_DEP_2) | instskip(NEXT) | instid1(VALU_DEP_2)
	v_ldexp_f32 v17, v17, v27
	v_dual_add_f32 v28, 1.0, v28 :: v_dual_sub_f32 v26, v25, v26
	s_delay_alu instid0(VALU_DEP_1) | instskip(NEXT) | instid1(VALU_DEP_1)
	v_dual_add_f32 v29, 1.0, v17 :: v_dual_add_f32 v26, v26, v28
	v_ldexp_f32 v26, v26, v27
	s_delay_alu instid0(VALU_DEP_2) | instskip(NEXT) | instid1(VALU_DEP_1)
	v_add_f32_e32 v28, -1.0, v29
	v_dual_add_f32 v31, -1.0, v17 :: v_dual_sub_f32 v27, v17, v28
	s_delay_alu instid0(VALU_DEP_1) | instskip(NEXT) | instid1(VALU_DEP_1)
	v_add_f32_e32 v30, v26, v27
	v_dual_add_f32 v28, 1.0, v31 :: v_dual_add_f32 v33, v29, v30
	s_delay_alu instid0(VALU_DEP_1) | instskip(NEXT) | instid1(VALU_DEP_1)
	v_rcp_f32_e32 v34, v33
	v_sub_f32_e32 v17, v17, v28
	s_delay_alu instid0(VALU_DEP_1) | instskip(SKIP_1) | instid1(VALU_DEP_1)
	v_add_f32_e32 v17, v26, v17
	v_sub_f32_e32 v26, v33, v29
	v_dual_add_f32 v27, v31, v17 :: v_dual_sub_f32 v36, v30, v26
	s_delay_alu instid0(TRANS32_DEP_1) | instid1(VALU_DEP_1)
	v_dual_mul_f32 v35, v27, v34 :: v_dual_sub_f32 v37, v27, v31
	s_delay_alu instid0(VALU_DEP_1) | instskip(NEXT) | instid1(VALU_DEP_2)
	v_mul_f32_e32 v28, v33, v35
	v_sub_f32_e32 v17, v17, v37
	s_delay_alu instid0(VALU_DEP_2) | instskip(NEXT) | instid1(VALU_DEP_1)
	v_fma_f32 v30, v35, v33, -v28
	v_fmac_f32_e32 v30, v35, v36
	s_delay_alu instid0(VALU_DEP_1) | instskip(NEXT) | instid1(VALU_DEP_1)
	v_add_f32_e32 v26, v28, v30
	v_dual_sub_f32 v29, v27, v26 :: v_dual_mov_b32 v31, v26
	s_delay_alu instid0(VALU_DEP_1) | instskip(NEXT) | instid1(VALU_DEP_1)
	v_pk_add_f32 v[26:27], v[26:27], v[28:29] neg_lo:[0,1] neg_hi:[0,1]
	v_pk_add_f32 v[26:27], v[26:27], v[30:31] neg_lo:[0,1] neg_hi:[0,1]
	s_delay_alu instid0(VALU_DEP_1) | instskip(NEXT) | instid1(VALU_DEP_1)
	v_add_f32_e32 v17, v17, v27
	v_add_f32_e32 v17, v26, v17
	s_delay_alu instid0(VALU_DEP_1) | instskip(NEXT) | instid1(VALU_DEP_1)
	v_add_f32_e32 v27, v29, v17
	v_mul_f32_e32 v37, v34, v27
	s_delay_alu instid0(VALU_DEP_1) | instskip(NEXT) | instid1(VALU_DEP_1)
	v_mul_f32_e32 v30, v33, v37
	v_fma_f32 v28, v37, v33, -v30
	s_delay_alu instid0(VALU_DEP_1) | instskip(NEXT) | instid1(VALU_DEP_1)
	v_fmac_f32_e32 v28, v37, v36
	v_dual_add_f32 v26, v30, v28 :: v_dual_sub_f32 v33, v29, v27
	s_delay_alu instid0(VALU_DEP_1) | instskip(NEXT) | instid1(VALU_DEP_2)
	v_dual_sub_f32 v31, v27, v26 :: v_dual_mov_b32 v29, v26
	v_add_f32_e32 v17, v17, v33
	v_add_f32_e32 v33, v35, v37
	s_delay_alu instid0(VALU_DEP_3) | instskip(NEXT) | instid1(VALU_DEP_1)
	v_pk_add_f32 v[26:27], v[26:27], v[30:31] neg_lo:[0,1] neg_hi:[0,1]
	v_pk_add_f32 v[26:27], v[26:27], v[28:29] neg_lo:[0,1] neg_hi:[0,1]
	s_delay_alu instid0(VALU_DEP_1) | instskip(NEXT) | instid1(VALU_DEP_1)
	v_add_f32_e32 v17, v17, v27
	v_dual_add_f32 v17, v26, v17 :: v_dual_sub_f32 v26, v33, v35
	s_delay_alu instid0(VALU_DEP_1) | instskip(NEXT) | instid1(VALU_DEP_1)
	v_dual_add_f32 v17, v31, v17 :: v_dual_sub_f32 v26, v37, v26
	v_mul_f32_e32 v17, v34, v17
	s_delay_alu instid0(VALU_DEP_1) | instskip(SKIP_1) | instid1(VALU_DEP_2)
	v_add_f32_e32 v34, v26, v17
	v_cvt_f32_i32_e32 v26, v32
	v_add_f32_e32 v35, v33, v34
	s_delay_alu instid0(VALU_DEP_1) | instskip(NEXT) | instid1(VALU_DEP_1)
	v_mul_f32_e32 v17, v35, v35
	v_dual_fmaak_f32 v28, s5, v17, 0x3ecc95a3 :: v_dual_mul_f32 v27, v35, v17
	v_ldexp_f32 v31, v35, 1
	s_delay_alu instid0(VALU_DEP_2) | instskip(NEXT) | instid1(VALU_DEP_1)
	v_fmaak_f32 v17, v17, v28, 0x3f2aaada
	v_pk_mul_f32 v[28:29], v[26:27], v[16:17]
	s_delay_alu instid0(VALU_DEP_1) | instskip(SKIP_1) | instid1(VALU_DEP_2)
	v_fma_f32 v30, 0x3f317218, v26, -v28
	v_mov_b32_e32 v32, v28
	v_fmac_f32_e32 v30, 0xb102e308, v26
	s_delay_alu instid0(VALU_DEP_1) | instskip(NEXT) | instid1(VALU_DEP_1)
	v_pk_add_f32 v[26:27], v[28:29], v[30:31]
	v_sub_f32_e32 v31, v27, v31
	v_sub_f32_e32 v17, v35, v33
	s_delay_alu instid0(VALU_DEP_2) | instskip(NEXT) | instid1(VALU_DEP_2)
	v_dual_mov_b32 v40, v27 :: v_dual_sub_f32 v31, v29, v31
	v_sub_f32_e32 v17, v34, v17
	v_pk_add_f32 v[28:29], v[26:27], v[28:29] neg_lo:[0,1] neg_hi:[0,1]
	s_delay_alu instid0(VALU_DEP_2) | instskip(NEXT) | instid1(VALU_DEP_1)
	v_ldexp_f32 v17, v17, 1
	v_dual_add_f32 v33, v17, v31 :: v_dual_mov_b32 v31, v26
	s_delay_alu instid0(VALU_DEP_1) | instskip(NEXT) | instid1(VALU_DEP_1)
	v_pk_add_f32 v[34:35], v[26:27], v[32:33]
	v_mov_b32_e32 v29, v35
	s_delay_alu instid0(VALU_DEP_1) | instskip(SKIP_1) | instid1(VALU_DEP_2)
	v_pk_add_f32 v[36:37], v[30:31], v[28:29]
	v_pk_add_f32 v[28:29], v[30:31], v[28:29] neg_lo:[0,1] neg_hi:[0,1]
	v_dual_mov_b32 v32, v37 :: v_dual_mov_b32 v29, v37
	s_delay_alu instid0(VALU_DEP_1) | instskip(SKIP_1) | instid1(VALU_DEP_2)
	v_pk_add_f32 v[38:39], v[32:33], v[26:27] neg_lo:[0,1] neg_hi:[0,1]
	v_dual_mov_b32 v36, v35 :: v_dual_mov_b32 v27, v26
	v_dual_mov_b32 v26, v33 :: v_dual_mov_b32 v41, v38
	v_mov_b32_e32 v17, v38
	s_delay_alu instid0(VALU_DEP_2) | instskip(NEXT) | instid1(VALU_DEP_2)
	v_pk_add_f32 v[38:39], v[36:37], v[40:41] neg_lo:[0,1] neg_hi:[0,1]
	v_pk_add_f32 v[30:31], v[34:35], v[16:17] neg_lo:[0,1] neg_hi:[0,1]
	v_mov_b32_e32 v30, v28
	s_delay_alu instid0(VALU_DEP_3) | instskip(NEXT) | instid1(VALU_DEP_1)
	v_pk_add_f32 v[26:27], v[26:27], v[38:39] neg_lo:[0,1] neg_hi:[0,1]
	v_pk_add_f32 v[30:31], v[30:31], v[26:27]
	s_delay_alu instid0(VALU_DEP_1) | instskip(NEXT) | instid1(VALU_DEP_1)
	v_mov_b32_e32 v34, v31
	v_pk_add_f32 v[34:35], v[30:31], v[34:35]
	s_delay_alu instid0(VALU_DEP_1) | instskip(NEXT) | instid1(VALU_DEP_1)
	v_pk_add_f32 v[32:33], v[32:33], v[34:35]
	v_dual_mov_b32 v27, v34 :: v_dual_mov_b32 v31, v32
	s_delay_alu instid0(VALU_DEP_1) | instskip(NEXT) | instid1(VALU_DEP_1)
	v_pk_add_f32 v[36:37], v[30:31], v[28:29] neg_lo:[0,1] neg_hi:[0,1]
	v_sub_f32_e32 v17, v30, v36
	s_delay_alu instid0(VALU_DEP_2) | instskip(NEXT) | instid1(VALU_DEP_2)
	v_pk_add_f32 v[26:27], v[26:27], v[36:37] neg_lo:[0,1] neg_hi:[0,1]
	v_sub_f32_e32 v17, v28, v17
	s_delay_alu instid0(VALU_DEP_1) | instskip(NEXT) | instid1(VALU_DEP_1)
	v_add_f32_e32 v17, v26, v17
	v_add_f32_e32 v17, v17, v27
	s_delay_alu instid0(VALU_DEP_1) | instskip(NEXT) | instid1(VALU_DEP_1)
	v_add_f32_e32 v17, v32, v17
	v_cndmask_b32_e64 v17, 0x7f800000, v17, s4
	v_cmp_ngt_f32_e64 s4, -1.0, v25
	s_delay_alu instid0(VALU_DEP_1) | instskip(SKIP_1) | instid1(VALU_DEP_1)
	v_cndmask_b32_e64 v17, 0x7fc00000, v17, s4
	v_cmp_neq_f32_e64 s4, -1.0, v25
	v_cndmask_b32_e64 v17, 0xff800000, v17, s4
	v_cmp_gt_f32_e64 s4, 0x33800000, |v25|
	s_delay_alu instid0(VALU_DEP_1)
	v_cndmask_b32_e64 v17, v17, v25, s4
	global_store_b32 v[8:9], v17, off
	s_wait_xcnt 0x0
	s_or_b32 exec_lo, exec_lo, s22
	s_and_saveexec_b32 s4, s3
	s_cbranch_execz .LBB208_13
.LBB208_17:                             ;   in Loop: Header=BB208_4 Depth=1
	s_wait_loadcnt 0x0
	v_add_f32_e32 v17, 1.0, v24
	s_delay_alu instid0(VALU_DEP_1) | instskip(NEXT) | instid1(VALU_DEP_1)
	v_cvt_f64_f32_e32 v[26:27], v17
	v_frexp_exp_i32_f64_e32 v25, v[26:27]
	v_frexp_mant_f32_e32 v26, v17
	s_delay_alu instid0(VALU_DEP_1) | instskip(NEXT) | instid1(VALU_DEP_1)
	v_cmp_gt_f32_e64 s3, 0x3f2aaaab, v26
	v_subrev_co_ci_u32_e64 v25, null, 0, v25, s3
	v_cmp_neq_f32_e64 s3, 0x7f800000, v24
	s_delay_alu instid0(VALU_DEP_2) | instskip(SKIP_2) | instid1(VALU_DEP_2)
	v_sub_nc_u32_e32 v27, 0, v25
	v_add_f32_e32 v26, -1.0, v17
	v_cvt_f32_i32_e32 v25, v25
	v_sub_f32_e32 v28, v26, v17
	s_delay_alu instid0(VALU_DEP_4) | instskip(NEXT) | instid1(VALU_DEP_2)
	v_ldexp_f32 v17, v17, v27
	v_dual_add_f32 v28, 1.0, v28 :: v_dual_sub_f32 v26, v24, v26
	s_delay_alu instid0(VALU_DEP_1) | instskip(NEXT) | instid1(VALU_DEP_1)
	v_dual_add_f32 v29, 1.0, v17 :: v_dual_add_f32 v26, v26, v28
	v_ldexp_f32 v26, v26, v27
	s_delay_alu instid0(VALU_DEP_2) | instskip(NEXT) | instid1(VALU_DEP_1)
	v_add_f32_e32 v28, -1.0, v29
	v_dual_add_f32 v30, -1.0, v17 :: v_dual_sub_f32 v27, v17, v28
	s_delay_alu instid0(VALU_DEP_1) | instskip(NEXT) | instid1(VALU_DEP_1)
	v_dual_add_f32 v28, 1.0, v30 :: v_dual_add_f32 v27, v26, v27
	v_sub_f32_e32 v17, v17, v28
	s_delay_alu instid0(VALU_DEP_1) | instskip(NEXT) | instid1(VALU_DEP_1)
	v_dual_add_f32 v17, v26, v17 :: v_dual_add_f32 v28, v29, v27
	v_add_f32_e32 v31, v30, v17
	s_delay_alu instid0(VALU_DEP_2) | instskip(NEXT) | instid1(VALU_DEP_1)
	v_rcp_f32_e32 v26, v28
	v_sub_f32_e32 v30, v31, v30
	s_delay_alu instid0(TRANS32_DEP_1) | instskip(NEXT) | instid1(VALU_DEP_1)
	v_dual_mul_f32 v32, v31, v26 :: v_dual_sub_f32 v29, v28, v29
	v_dual_sub_f32 v17, v17, v30 :: v_dual_mul_f32 v33, v28, v32
	s_delay_alu instid0(VALU_DEP_1) | instskip(NEXT) | instid1(VALU_DEP_1)
	v_dual_sub_f32 v27, v27, v29 :: v_dual_fma_f32 v29, v32, v28, -v33
	v_fmac_f32_e32 v29, v32, v27
	s_delay_alu instid0(VALU_DEP_1) | instskip(NEXT) | instid1(VALU_DEP_1)
	v_add_f32_e32 v34, v33, v29
	v_sub_f32_e32 v35, v31, v34
	s_delay_alu instid0(VALU_DEP_1) | instskip(NEXT) | instid1(VALU_DEP_1)
	v_dual_sub_f32 v31, v31, v35 :: v_dual_sub_f32 v30, v34, v33
	v_dual_sub_f32 v31, v31, v34 :: v_dual_sub_f32 v29, v30, v29
	s_delay_alu instid0(VALU_DEP_1) | instskip(NEXT) | instid1(VALU_DEP_1)
	v_add_f32_e32 v17, v17, v31
	v_add_f32_e32 v17, v29, v17
	s_delay_alu instid0(VALU_DEP_1) | instskip(NEXT) | instid1(VALU_DEP_1)
	v_add_f32_e32 v29, v35, v17
	v_mul_f32_e32 v30, v26, v29
	s_delay_alu instid0(VALU_DEP_1) | instskip(NEXT) | instid1(VALU_DEP_1)
	v_mul_f32_e32 v31, v28, v30
	v_fma_f32 v28, v30, v28, -v31
	s_delay_alu instid0(VALU_DEP_1) | instskip(NEXT) | instid1(VALU_DEP_1)
	v_fmac_f32_e32 v28, v30, v27
	v_add_f32_e32 v27, v31, v28
	s_delay_alu instid0(VALU_DEP_1) | instskip(NEXT) | instid1(VALU_DEP_1)
	v_dual_sub_f32 v34, v35, v29 :: v_dual_sub_f32 v33, v29, v27
	v_dual_sub_f32 v31, v27, v31 :: v_dual_sub_f32 v29, v29, v33
	s_delay_alu instid0(VALU_DEP_1) | instskip(NEXT) | instid1(VALU_DEP_3)
	v_dual_sub_f32 v28, v31, v28 :: v_dual_sub_f32 v27, v29, v27
	v_add_f32_e32 v17, v17, v34
	s_delay_alu instid0(VALU_DEP_1) | instskip(NEXT) | instid1(VALU_DEP_1)
	v_dual_add_f32 v17, v17, v27 :: v_dual_add_f32 v27, v32, v30
	v_dual_add_f32 v17, v28, v17 :: v_dual_sub_f32 v28, v27, v32
	s_delay_alu instid0(VALU_DEP_1) | instskip(NEXT) | instid1(VALU_DEP_1)
	v_dual_add_f32 v17, v33, v17 :: v_dual_sub_f32 v28, v30, v28
	v_mul_f32_e32 v17, v26, v17
	s_delay_alu instid0(VALU_DEP_1) | instskip(NEXT) | instid1(VALU_DEP_1)
	v_add_f32_e32 v17, v28, v17
	v_add_f32_e32 v26, v27, v17
	s_delay_alu instid0(VALU_DEP_1) | instskip(NEXT) | instid1(VALU_DEP_1)
	v_mul_f32_e32 v28, v26, v26
	v_dual_fmaak_f32 v29, s5, v28, 0x3ecc95a3 :: v_dual_mul_f32 v30, v26, v28
	s_delay_alu instid0(VALU_DEP_1) | instskip(SKIP_2) | instid1(VALU_DEP_1)
	v_fmaak_f32 v28, v28, v29, 0x3f2aaada
	v_ldexp_f32 v29, v26, 1
	v_sub_f32_e32 v26, v26, v27
	v_dual_sub_f32 v17, v17, v26 :: v_dual_mul_f32 v28, v30, v28
	s_delay_alu instid0(VALU_DEP_1) | instskip(NEXT) | instid1(VALU_DEP_2)
	v_ldexp_f32 v17, v17, 1
	v_add_f32_e32 v27, v29, v28
	s_delay_alu instid0(VALU_DEP_1) | instskip(NEXT) | instid1(VALU_DEP_1)
	v_sub_f32_e32 v26, v27, v29
	v_sub_f32_e32 v26, v28, v26
	s_delay_alu instid0(VALU_DEP_1) | instskip(NEXT) | instid1(VALU_DEP_1)
	v_dual_mul_f32 v30, 0x3f317218, v25 :: v_dual_add_f32 v17, v17, v26
	v_fma_f32 v29, 0x3f317218, v25, -v30
	s_delay_alu instid0(VALU_DEP_1) | instskip(NEXT) | instid1(VALU_DEP_1)
	v_fmac_f32_e32 v29, 0xb102e308, v25
	v_add_f32_e32 v25, v30, v29
	s_delay_alu instid0(VALU_DEP_4) | instskip(NEXT) | instid1(VALU_DEP_1)
	v_add_f32_e32 v26, v27, v17
	v_add_f32_e32 v28, v25, v26
	s_delay_alu instid0(VALU_DEP_1) | instskip(NEXT) | instid1(VALU_DEP_1)
	v_sub_f32_e32 v31, v28, v25
	v_dual_sub_f32 v32, v28, v31 :: v_dual_sub_f32 v30, v25, v30
	s_delay_alu instid0(VALU_DEP_1) | instskip(NEXT) | instid1(VALU_DEP_2)
	v_dual_sub_f32 v27, v26, v27 :: v_dual_sub_f32 v29, v29, v30
	v_dual_sub_f32 v25, v25, v32 :: v_dual_sub_f32 v26, v26, v31
	s_delay_alu instid0(VALU_DEP_1) | instskip(NEXT) | instid1(VALU_DEP_1)
	v_dual_sub_f32 v17, v17, v27 :: v_dual_add_f32 v25, v26, v25
	v_add_f32_e32 v27, v29, v17
	s_delay_alu instid0(VALU_DEP_1) | instskip(NEXT) | instid1(VALU_DEP_1)
	v_sub_f32_e32 v26, v27, v29
	v_dual_add_f32 v25, v27, v25 :: v_dual_sub_f32 v27, v27, v26
	s_delay_alu instid0(VALU_DEP_1) | instskip(NEXT) | instid1(VALU_DEP_1)
	v_dual_sub_f32 v27, v29, v27 :: v_dual_add_f32 v30, v28, v25
	v_dual_sub_f32 v17, v17, v26 :: v_dual_sub_f32 v26, v30, v28
	s_delay_alu instid0(VALU_DEP_1) | instskip(NEXT) | instid1(VALU_DEP_2)
	v_add_f32_e32 v17, v17, v27
	v_sub_f32_e32 v25, v25, v26
	s_delay_alu instid0(VALU_DEP_1) | instskip(NEXT) | instid1(VALU_DEP_1)
	v_add_f32_e32 v17, v17, v25
	v_add_f32_e32 v17, v30, v17
	s_delay_alu instid0(VALU_DEP_1) | instskip(SKIP_1) | instid1(VALU_DEP_1)
	v_cndmask_b32_e64 v17, 0x7f800000, v17, s3
	v_cmp_ngt_f32_e64 s3, -1.0, v24
	v_cndmask_b32_e64 v17, 0x7fc00000, v17, s3
	v_cmp_neq_f32_e64 s3, -1.0, v24
	s_delay_alu instid0(VALU_DEP_1) | instskip(SKIP_1) | instid1(VALU_DEP_1)
	v_cndmask_b32_e64 v17, 0xff800000, v17, s3
	v_cmp_gt_f32_e64 s3, 0x33800000, |v24|
	v_cndmask_b32_e64 v17, v17, v24, s3
	global_store_b32 v[14:15], v17, off
	s_wait_xcnt 0x0
	s_or_b32 exec_lo, exec_lo, s4
	s_and_saveexec_b32 s3, s2
	s_cbranch_execz .LBB208_14
.LBB208_18:                             ;   in Loop: Header=BB208_4 Depth=1
	s_wait_loadcnt 0x0
	v_add_f32_e32 v17, 1.0, v23
	s_delay_alu instid0(VALU_DEP_1) | instskip(NEXT) | instid1(VALU_DEP_1)
	v_cvt_f64_f32_e32 v[24:25], v17
	v_frexp_exp_i32_f64_e32 v24, v[24:25]
	v_frexp_mant_f32_e32 v25, v17
	s_delay_alu instid0(VALU_DEP_1) | instskip(NEXT) | instid1(VALU_DEP_1)
	v_cmp_gt_f32_e64 s2, 0x3f2aaaab, v25
	v_subrev_co_ci_u32_e64 v24, null, 0, v24, s2
	v_cmp_neq_f32_e64 s2, 0x7f800000, v23
	s_delay_alu instid0(VALU_DEP_2) | instskip(SKIP_1) | instid1(VALU_DEP_2)
	v_dual_add_f32 v25, -1.0, v17 :: v_dual_sub_nc_u32 v26, 0, v24
	v_cvt_f32_i32_e32 v24, v24
	v_sub_f32_e32 v27, v25, v17
	s_delay_alu instid0(VALU_DEP_3) | instskip(NEXT) | instid1(VALU_DEP_1)
	v_ldexp_f32 v17, v17, v26
	v_dual_add_f32 v28, 1.0, v17 :: v_dual_add_f32 v27, 1.0, v27
	v_sub_f32_e32 v25, v23, v25
	s_delay_alu instid0(VALU_DEP_1) | instskip(NEXT) | instid1(VALU_DEP_3)
	v_dual_add_f32 v29, -1.0, v17 :: v_dual_add_f32 v25, v25, v27
	v_add_f32_e32 v27, -1.0, v28
	s_delay_alu instid0(VALU_DEP_2) | instskip(NEXT) | instid1(VALU_DEP_2)
	v_ldexp_f32 v25, v25, v26
	v_dual_sub_f32 v26, v17, v27 :: v_dual_add_f32 v27, 1.0, v29
	s_delay_alu instid0(VALU_DEP_1) | instskip(NEXT) | instid1(VALU_DEP_1)
	v_sub_f32_e32 v17, v17, v27
	v_dual_add_f32 v26, v25, v26 :: v_dual_add_f32 v17, v25, v17
	s_delay_alu instid0(VALU_DEP_1) | instskip(NEXT) | instid1(VALU_DEP_1)
	v_dual_add_f32 v27, v28, v26 :: v_dual_add_f32 v30, v29, v17
	v_sub_f32_e32 v28, v27, v28
	v_rcp_f32_e32 v25, v27
	s_delay_alu instid0(VALU_DEP_2) | instskip(NEXT) | instid1(VALU_DEP_2)
	v_sub_f32_e32 v29, v30, v29
	v_sub_f32_e32 v26, v26, v28
	s_delay_alu instid0(TRANS32_DEP_1) | instskip(NEXT) | instid1(VALU_DEP_1)
	v_mul_f32_e32 v31, v30, v25
	v_dual_sub_f32 v17, v17, v29 :: v_dual_mul_f32 v32, v27, v31
	s_delay_alu instid0(VALU_DEP_1) | instskip(NEXT) | instid1(VALU_DEP_1)
	v_fma_f32 v28, v31, v27, -v32
	v_fmac_f32_e32 v28, v31, v26
	s_delay_alu instid0(VALU_DEP_1) | instskip(NEXT) | instid1(VALU_DEP_1)
	v_add_f32_e32 v33, v32, v28
	v_sub_f32_e32 v34, v30, v33
	s_delay_alu instid0(VALU_DEP_1) | instskip(NEXT) | instid1(VALU_DEP_1)
	v_dual_sub_f32 v30, v30, v34 :: v_dual_sub_f32 v29, v33, v32
	v_dual_sub_f32 v30, v30, v33 :: v_dual_sub_f32 v28, v29, v28
	s_delay_alu instid0(VALU_DEP_1) | instskip(NEXT) | instid1(VALU_DEP_1)
	v_add_f32_e32 v17, v17, v30
	v_add_f32_e32 v17, v28, v17
	s_delay_alu instid0(VALU_DEP_1) | instskip(NEXT) | instid1(VALU_DEP_1)
	v_add_f32_e32 v28, v34, v17
	v_mul_f32_e32 v29, v25, v28
	s_delay_alu instid0(VALU_DEP_1) | instskip(NEXT) | instid1(VALU_DEP_1)
	v_mul_f32_e32 v30, v27, v29
	v_fma_f32 v27, v29, v27, -v30
	s_delay_alu instid0(VALU_DEP_1) | instskip(NEXT) | instid1(VALU_DEP_1)
	v_fmac_f32_e32 v27, v29, v26
	v_add_f32_e32 v26, v30, v27
	s_delay_alu instid0(VALU_DEP_1) | instskip(NEXT) | instid1(VALU_DEP_1)
	v_dual_sub_f32 v33, v34, v28 :: v_dual_sub_f32 v32, v28, v26
	v_dual_sub_f32 v30, v26, v30 :: v_dual_sub_f32 v28, v28, v32
	s_delay_alu instid0(VALU_DEP_1) | instskip(NEXT) | instid1(VALU_DEP_1)
	v_dual_sub_f32 v26, v28, v26 :: v_dual_add_f32 v17, v17, v33
	v_dual_add_f32 v17, v17, v26 :: v_dual_add_f32 v26, v31, v29
	s_delay_alu instid0(VALU_DEP_3) | instskip(NEXT) | instid1(VALU_DEP_1)
	v_sub_f32_e32 v27, v30, v27
	v_dual_add_f32 v17, v27, v17 :: v_dual_sub_f32 v27, v26, v31
	s_delay_alu instid0(VALU_DEP_1) | instskip(NEXT) | instid1(VALU_DEP_1)
	v_dual_sub_f32 v27, v29, v27 :: v_dual_add_f32 v17, v32, v17
	v_mul_f32_e32 v17, v25, v17
	s_delay_alu instid0(VALU_DEP_1) | instskip(NEXT) | instid1(VALU_DEP_1)
	v_add_f32_e32 v17, v27, v17
	v_add_f32_e32 v25, v26, v17
	s_delay_alu instid0(VALU_DEP_1) | instskip(NEXT) | instid1(VALU_DEP_1)
	v_mul_f32_e32 v27, v25, v25
	v_dual_fmaak_f32 v28, s5, v27, 0x3ecc95a3 :: v_dual_mul_f32 v29, v25, v27
	s_delay_alu instid0(VALU_DEP_1) | instskip(NEXT) | instid1(VALU_DEP_1)
	v_fmaak_f32 v27, v27, v28, 0x3f2aaada
	v_mul_f32_e32 v27, v29, v27
	v_ldexp_f32 v28, v25, 1
	v_sub_f32_e32 v25, v25, v26
	s_delay_alu instid0(VALU_DEP_2) | instskip(NEXT) | instid1(VALU_DEP_1)
	v_dual_mul_f32 v29, 0x3f317218, v24 :: v_dual_add_f32 v26, v28, v27
	v_dual_sub_f32 v17, v17, v25 :: v_dual_sub_f32 v25, v26, v28
	s_delay_alu instid0(VALU_DEP_2) | instskip(NEXT) | instid1(VALU_DEP_2)
	v_fma_f32 v28, 0x3f317218, v24, -v29
	v_ldexp_f32 v17, v17, 1
	s_delay_alu instid0(VALU_DEP_2) | instskip(NEXT) | instid1(VALU_DEP_1)
	v_dual_sub_f32 v25, v27, v25 :: v_dual_fmac_f32 v28, 0xb102e308, v24
	v_add_f32_e32 v24, v29, v28
	s_delay_alu instid0(VALU_DEP_2) | instskip(NEXT) | instid1(VALU_DEP_1)
	v_add_f32_e32 v17, v17, v25
	v_add_f32_e32 v25, v26, v17
	s_delay_alu instid0(VALU_DEP_1) | instskip(NEXT) | instid1(VALU_DEP_1)
	v_add_f32_e32 v27, v24, v25
	v_dual_sub_f32 v30, v27, v24 :: v_dual_sub_f32 v29, v24, v29
	v_sub_f32_e32 v26, v25, v26
	s_delay_alu instid0(VALU_DEP_2) | instskip(NEXT) | instid1(VALU_DEP_1)
	v_dual_sub_f32 v31, v27, v30 :: v_dual_sub_f32 v28, v28, v29
	v_dual_sub_f32 v17, v17, v26 :: v_dual_sub_f32 v24, v24, v31
	s_delay_alu instid0(VALU_DEP_1) | instskip(NEXT) | instid1(VALU_DEP_1)
	v_dual_sub_f32 v25, v25, v30 :: v_dual_add_f32 v26, v28, v17
	v_add_f32_e32 v24, v25, v24
	s_delay_alu instid0(VALU_DEP_2) | instskip(NEXT) | instid1(VALU_DEP_1)
	v_sub_f32_e32 v25, v26, v28
	v_dual_add_f32 v24, v26, v24 :: v_dual_sub_f32 v26, v26, v25
	s_delay_alu instid0(VALU_DEP_1) | instskip(NEXT) | instid1(VALU_DEP_1)
	v_dual_sub_f32 v26, v28, v26 :: v_dual_sub_f32 v17, v17, v25
	v_dual_add_f32 v29, v27, v24 :: v_dual_add_f32 v17, v17, v26
	s_delay_alu instid0(VALU_DEP_1) | instskip(NEXT) | instid1(VALU_DEP_1)
	v_sub_f32_e32 v25, v29, v27
	v_sub_f32_e32 v24, v24, v25
	s_delay_alu instid0(VALU_DEP_1) | instskip(NEXT) | instid1(VALU_DEP_1)
	v_add_f32_e32 v17, v17, v24
	v_add_f32_e32 v17, v29, v17
	s_delay_alu instid0(VALU_DEP_1) | instskip(SKIP_1) | instid1(VALU_DEP_1)
	v_cndmask_b32_e64 v17, 0x7f800000, v17, s2
	v_cmp_ngt_f32_e64 s2, -1.0, v23
	v_cndmask_b32_e64 v17, 0x7fc00000, v17, s2
	v_cmp_neq_f32_e64 s2, -1.0, v23
	s_delay_alu instid0(VALU_DEP_1) | instskip(SKIP_1) | instid1(VALU_DEP_1)
	v_cndmask_b32_e64 v17, 0xff800000, v17, s2
	v_cmp_gt_f32_e64 s2, 0x33800000, |v23|
	v_cndmask_b32_e64 v17, v17, v23, s2
	global_store_b32 v[20:21], v17, off
	s_wait_xcnt 0x0
	s_or_b32 exec_lo, exec_lo, s3
	s_and_saveexec_b32 s2, vcc_lo
	s_cbranch_execz .LBB208_3
.LBB208_19:                             ;   in Loop: Header=BB208_4 Depth=1
	s_wait_loadcnt 0x0
	v_add_f32_e32 v17, 1.0, v22
	s_delay_alu instid0(VALU_DEP_1) | instskip(NEXT) | instid1(VALU_DEP_1)
	v_cvt_f64_f32_e32 v[20:21], v17
	v_frexp_exp_i32_f64_e32 v20, v[20:21]
	v_frexp_mant_f32_e32 v21, v17
	s_delay_alu instid0(VALU_DEP_1) | instskip(NEXT) | instid1(VALU_DEP_3)
	v_cmp_gt_f32_e32 vcc_lo, 0x3f2aaaab, v21
	v_subrev_co_ci_u32_e64 v20, null, 0, v20, vcc_lo
	v_cmp_neq_f32_e32 vcc_lo, 0x7f800000, v22
	s_delay_alu instid0(VALU_DEP_2) | instskip(SKIP_1) | instid1(VALU_DEP_2)
	v_dual_sub_nc_u32 v23, 0, v20 :: v_dual_add_f32 v21, -1.0, v17
	v_cvt_f32_i32_e32 v20, v20
	v_sub_f32_e32 v24, v21, v17
	s_delay_alu instid0(VALU_DEP_3) | instskip(NEXT) | instid1(VALU_DEP_1)
	v_ldexp_f32 v17, v17, v23
	v_dual_add_f32 v25, 1.0, v17 :: v_dual_add_f32 v24, 1.0, v24
	v_sub_f32_e32 v21, v22, v21
	s_delay_alu instid0(VALU_DEP_1) | instskip(NEXT) | instid1(VALU_DEP_1)
	v_dual_add_f32 v21, v21, v24 :: v_dual_add_f32 v24, -1.0, v25
	v_ldexp_f32 v21, v21, v23
	s_delay_alu instid0(VALU_DEP_2) | instskip(NEXT) | instid1(VALU_DEP_1)
	v_dual_sub_f32 v23, v17, v24 :: v_dual_add_f32 v26, -1.0, v17
	v_dual_add_f32 v23, v21, v23 :: v_dual_add_f32 v24, 1.0, v26
	s_delay_alu instid0(VALU_DEP_1) | instskip(NEXT) | instid1(VALU_DEP_1)
	v_sub_f32_e32 v17, v17, v24
	v_add_f32_e32 v17, v21, v17
	s_delay_alu instid0(VALU_DEP_1) | instskip(NEXT) | instid1(VALU_DEP_1)
	v_dual_add_f32 v24, v25, v23 :: v_dual_add_f32 v27, v26, v17
	v_rcp_f32_e32 v21, v24
	v_nop
	s_delay_alu instid0(TRANS32_DEP_1) | instskip(NEXT) | instid1(VALU_DEP_1)
	v_dual_sub_f32 v26, v27, v26 :: v_dual_mul_f32 v28, v27, v21
	v_dual_sub_f32 v25, v24, v25 :: v_dual_sub_f32 v17, v17, v26
	s_delay_alu instid0(VALU_DEP_1) | instskip(NEXT) | instid1(VALU_DEP_1)
	v_dual_mul_f32 v29, v24, v28 :: v_dual_sub_f32 v23, v23, v25
	v_fma_f32 v25, v28, v24, -v29
	s_delay_alu instid0(VALU_DEP_1) | instskip(NEXT) | instid1(VALU_DEP_1)
	v_fmac_f32_e32 v25, v28, v23
	v_add_f32_e32 v30, v29, v25
	s_delay_alu instid0(VALU_DEP_1) | instskip(NEXT) | instid1(VALU_DEP_1)
	v_sub_f32_e32 v31, v27, v30
	v_dual_sub_f32 v27, v27, v31 :: v_dual_sub_f32 v26, v30, v29
	s_delay_alu instid0(VALU_DEP_1) | instskip(NEXT) | instid1(VALU_DEP_1)
	v_dual_sub_f32 v27, v27, v30 :: v_dual_sub_f32 v25, v26, v25
	v_add_f32_e32 v17, v17, v27
	s_delay_alu instid0(VALU_DEP_1) | instskip(NEXT) | instid1(VALU_DEP_1)
	v_add_f32_e32 v17, v25, v17
	v_add_f32_e32 v25, v31, v17
	s_delay_alu instid0(VALU_DEP_1) | instskip(NEXT) | instid1(VALU_DEP_1)
	v_mul_f32_e32 v26, v21, v25
	v_mul_f32_e32 v27, v24, v26
	s_delay_alu instid0(VALU_DEP_1) | instskip(NEXT) | instid1(VALU_DEP_1)
	v_fma_f32 v24, v26, v24, -v27
	v_fmac_f32_e32 v24, v26, v23
	s_delay_alu instid0(VALU_DEP_1) | instskip(NEXT) | instid1(VALU_DEP_1)
	v_add_f32_e32 v23, v27, v24
	v_dual_sub_f32 v30, v31, v25 :: v_dual_sub_f32 v29, v25, v23
	s_delay_alu instid0(VALU_DEP_1) | instskip(NEXT) | instid1(VALU_DEP_1)
	v_dual_sub_f32 v27, v23, v27 :: v_dual_sub_f32 v25, v25, v29
	v_dual_sub_f32 v24, v27, v24 :: v_dual_sub_f32 v23, v25, v23
	s_delay_alu instid0(VALU_DEP_3) | instskip(NEXT) | instid1(VALU_DEP_1)
	v_add_f32_e32 v17, v17, v30
	v_dual_add_f32 v17, v17, v23 :: v_dual_add_f32 v23, v28, v26
	s_delay_alu instid0(VALU_DEP_1) | instskip(NEXT) | instid1(VALU_DEP_1)
	v_dual_add_f32 v17, v24, v17 :: v_dual_sub_f32 v24, v23, v28
	v_dual_add_f32 v17, v29, v17 :: v_dual_sub_f32 v24, v26, v24
	s_delay_alu instid0(VALU_DEP_1) | instskip(NEXT) | instid1(VALU_DEP_1)
	v_mul_f32_e32 v17, v21, v17
	v_add_f32_e32 v17, v24, v17
	s_delay_alu instid0(VALU_DEP_1) | instskip(NEXT) | instid1(VALU_DEP_1)
	v_add_f32_e32 v21, v23, v17
	v_mul_f32_e32 v24, v21, v21
	s_delay_alu instid0(VALU_DEP_1) | instskip(NEXT) | instid1(VALU_DEP_1)
	v_dual_fmaak_f32 v25, s5, v24, 0x3ecc95a3 :: v_dual_mul_f32 v26, v21, v24
	v_fmaak_f32 v24, v24, v25, 0x3f2aaada
	v_ldexp_f32 v25, v21, 1
	s_delay_alu instid0(VALU_DEP_2) | instskip(NEXT) | instid1(VALU_DEP_1)
	v_dual_sub_f32 v21, v21, v23 :: v_dual_mul_f32 v24, v26, v24
	v_dual_mul_f32 v26, 0x3f317218, v20 :: v_dual_sub_f32 v17, v17, v21
	s_delay_alu instid0(VALU_DEP_2) | instskip(NEXT) | instid1(VALU_DEP_2)
	v_add_f32_e32 v23, v25, v24
	v_ldexp_f32 v17, v17, 1
	s_delay_alu instid0(VALU_DEP_2) | instskip(NEXT) | instid1(VALU_DEP_4)
	v_sub_f32_e32 v21, v23, v25
	v_fma_f32 v25, 0x3f317218, v20, -v26
	s_delay_alu instid0(VALU_DEP_1) | instskip(NEXT) | instid1(VALU_DEP_1)
	v_fmac_f32_e32 v25, 0xb102e308, v20
	v_add_f32_e32 v20, v26, v25
	s_delay_alu instid0(VALU_DEP_4) | instskip(NEXT) | instid1(VALU_DEP_1)
	v_sub_f32_e32 v21, v24, v21
	v_add_f32_e32 v17, v17, v21
	s_delay_alu instid0(VALU_DEP_1) | instskip(NEXT) | instid1(VALU_DEP_1)
	v_add_f32_e32 v21, v23, v17
	v_dual_sub_f32 v23, v21, v23 :: v_dual_sub_f32 v26, v20, v26
	s_delay_alu instid0(VALU_DEP_1) | instskip(NEXT) | instid1(VALU_DEP_1)
	v_dual_sub_f32 v25, v25, v26 :: v_dual_add_f32 v24, v20, v21
	v_sub_f32_e32 v27, v24, v20
	s_delay_alu instid0(VALU_DEP_1) | instskip(NEXT) | instid1(VALU_DEP_1)
	v_sub_f32_e32 v28, v24, v27
	v_dual_sub_f32 v17, v17, v23 :: v_dual_sub_f32 v20, v20, v28
	s_delay_alu instid0(VALU_DEP_1) | instskip(SKIP_1) | instid1(VALU_DEP_1)
	v_add_f32_e32 v23, v25, v17
	v_sub_f32_e32 v21, v21, v27
	v_add_f32_e32 v20, v21, v20
	s_delay_alu instid0(VALU_DEP_1) | instskip(NEXT) | instid1(VALU_DEP_1)
	v_add_f32_e32 v20, v23, v20
	v_dual_add_f32 v26, v24, v20 :: v_dual_sub_f32 v21, v23, v25
	s_delay_alu instid0(VALU_DEP_1) | instskip(NEXT) | instid1(VALU_DEP_1)
	v_dual_sub_f32 v23, v23, v21 :: v_dual_sub_f32 v17, v17, v21
	v_dual_sub_f32 v21, v26, v24 :: v_dual_sub_f32 v23, v25, v23
	s_delay_alu instid0(VALU_DEP_1) | instskip(NEXT) | instid1(VALU_DEP_1)
	v_dual_sub_f32 v20, v20, v21 :: v_dual_add_f32 v17, v17, v23
	v_add_f32_e32 v17, v17, v20
	s_delay_alu instid0(VALU_DEP_1) | instskip(NEXT) | instid1(VALU_DEP_1)
	v_add_f32_e32 v17, v26, v17
	v_cndmask_b32_e32 v17, 0x7f800000, v17, vcc_lo
	v_cmp_ngt_f32_e32 vcc_lo, -1.0, v22
	s_delay_alu instid0(VALU_DEP_2) | instskip(SKIP_1) | instid1(VALU_DEP_2)
	v_cndmask_b32_e32 v17, 0x7fc00000, v17, vcc_lo
	v_cmp_neq_f32_e32 vcc_lo, -1.0, v22
	v_cndmask_b32_e32 v17, 0xff800000, v17, vcc_lo
	v_cmp_gt_f32_e64 vcc_lo, 0x33800000, |v22|
	s_delay_alu instid0(VALU_DEP_2)
	v_cndmask_b32_e32 v17, v17, v22, vcc_lo
	global_store_b32 v[18:19], v17, off
	s_branch .LBB208_3
.LBB208_20:
	s_cbranch_execz .LBB208_22
	s_branch .LBB208_25
.LBB208_21:
.LBB208_22:
	v_min_i64 v[6:7], 0x10000, s[10:11]
	v_dual_mov_b32 v3, 0 :: v_dual_lshlrev_b32 v2, 2, v0
	s_mov_b32 s2, exec_lo
	s_delay_alu instid0(VALU_DEP_1)
	v_cmpx_lt_i64_e64 v[2:3], v[6:7]
	s_cbranch_execz .LBB208_25
; %bb.23:
	s_load_b32 s3, s[0:1], 0xd3c
	v_dual_mov_b32 v1, v3 :: v_dual_lshlrev_b32 v2, 4, v0
	s_wait_xcnt 0x0
	s_add_nc_u64 s[0:1], s[6:7], s[8:9]
	s_mov_b32 s2, 0x3ecc95a3
	s_mov_b32 s4, 0x3e9b6dac
	v_add_nc_u64_e32 v[4:5], s[0:1], v[2:3]
	s_mov_b32 s1, 0
	s_mov_b32 s6, 0x3f2aaada
	;; [unrolled: 1-line block ×5, first 2 shown]
	s_delay_alu instid0(VALU_DEP_1)
	v_add_nc_u64_e32 v[8:9], 8, v[4:5]
	s_wait_kmcnt 0x0
	s_and_b32 s0, s3, 0xffff
	s_mov_b32 s3, s1
	s_lshl_b32 s12, s0, 4
.LBB208_24:                             ; =>This Inner Loop Header: Depth=1
	global_load_b128 v[2:5], v[8:9], off offset:-8
	v_add_nc_u64_e32 v[0:1], s[0:1], v[0:1]
	s_wait_loadcnt 0x0
	v_dual_add_f32 v18, 1.0, v3 :: v_dual_add_f32 v19, 1.0, v2
	v_dual_add_f32 v20, 1.0, v4 :: v_dual_add_f32 v21, 1.0, v5
	s_delay_alu instid0(VALU_DEP_2) | instskip(NEXT) | instid1(VALU_DEP_3)
	v_cvt_f64_f32_e32 v[10:11], v18
	v_cvt_f64_f32_e32 v[12:13], v19
	s_delay_alu instid0(VALU_DEP_3) | instskip(NEXT) | instid1(VALU_DEP_4)
	v_cvt_f64_f32_e32 v[14:15], v20
	v_cvt_f64_f32_e32 v[16:17], v21
	v_frexp_mant_f32_e32 v23, v20
	v_frexp_mant_f32_e32 v24, v21
	v_dual_add_f32 v22, -1.0, v20 :: v_dual_add_f32 v25, -1.0, v21
	s_delay_alu instid0(VALU_DEP_1)
	v_dual_sub_f32 v28, v22, v20 :: v_dual_sub_f32 v22, v4, v22
	v_frexp_exp_i32_f64_e32 v10, v[10:11]
	v_frexp_exp_i32_f64_e32 v11, v[12:13]
	;; [unrolled: 1-line block ×4, first 2 shown]
	v_frexp_mant_f32_e32 v16, v18
	v_frexp_mant_f32_e32 v15, v19
	v_dual_add_f32 v14, -1.0, v19 :: v_dual_add_f32 v17, -1.0, v18
	s_delay_alu instid0(VALU_DEP_3) | instskip(NEXT) | instid1(VALU_DEP_2)
	v_cmp_gt_f32_e32 vcc_lo, 0x3f2aaaab, v16
	v_dual_sub_f32 v26, v14, v19 :: v_dual_sub_f32 v27, v17, v18
	v_dual_sub_f32 v14, v2, v14 :: v_dual_sub_f32 v17, v3, v17
	s_delay_alu instid0(VALU_DEP_2) | instskip(NEXT) | instid1(VALU_DEP_3)
	v_dual_sub_f32 v29, v25, v21 :: v_dual_add_f32 v26, 1.0, v26
	v_dual_sub_f32 v25, v5, v25 :: v_dual_add_f32 v27, 1.0, v27
	s_delay_alu instid0(VALU_DEP_2) | instskip(NEXT) | instid1(VALU_DEP_1)
	v_dual_add_f32 v28, 1.0, v28 :: v_dual_add_f32 v29, 1.0, v29
	v_dual_add_f32 v17, v17, v27 :: v_dual_add_f32 v22, v22, v28
	s_delay_alu instid0(VALU_DEP_2) | instskip(SKIP_4) | instid1(VALU_DEP_2)
	v_add_f32_e32 v31, v25, v29
	v_subrev_co_ci_u32_e64 v54, null, 0, v10, vcc_lo
	v_cmp_gt_f32_e32 vcc_lo, 0x3f2aaaab, v15
	v_subrev_co_ci_u32_e64 v55, null, 0, v11, vcc_lo
	v_cmp_gt_f32_e32 vcc_lo, 0x3f2aaaab, v23
	v_dual_sub_nc_u32 v23, 0, v54 :: v_dual_sub_nc_u32 v16, 0, v55
	v_subrev_co_ci_u32_e64 v56, null, 0, v12, vcc_lo
	v_cmp_gt_f32_e32 vcc_lo, 0x3f2aaaab, v24
	v_add_f32_e32 v24, v14, v26
	s_delay_alu instid0(VALU_DEP_4) | instskip(NEXT) | instid1(VALU_DEP_4)
	v_ldexp_f32 v10, v19, v16
	v_sub_nc_u32_e32 v26, 0, v56
	v_ldexp_f32 v11, v18, v23
	v_subrev_co_ci_u32_e64 v57, null, 0, v13, vcc_lo
	v_ldexp_f32 v16, v24, v16
	s_delay_alu instid0(VALU_DEP_4) | instskip(NEXT) | instid1(VALU_DEP_4)
	v_ldexp_f32 v12, v20, v26
	v_pk_add_f32 v[14:15], v[10:11], 1.0 op_sel_hi:[1,0]
	s_delay_alu instid0(VALU_DEP_4)
	v_sub_nc_u32_e32 v30, 0, v57
	v_ldexp_f32 v22, v22, v26
	v_pk_add_f32 v[24:25], v[10:11], -1.0 op_sel_hi:[1,0]
	v_ldexp_f32 v17, v17, v23
	v_cmp_neq_f32_e32 vcc_lo, 0x7f800000, v2
	v_ldexp_f32 v13, v21, v30
	v_pk_add_f32 v[20:21], v[14:15], -1.0 op_sel_hi:[1,0]
	v_ldexp_f32 v23, v31, v30
	v_pk_add_f32 v[30:31], v[24:25], 1.0 op_sel_hi:[1,0]
	s_delay_alu instid0(VALU_DEP_4) | instskip(SKIP_2) | instid1(VALU_DEP_4)
	v_pk_add_f32 v[18:19], v[12:13], 1.0 op_sel_hi:[1,0]
	v_pk_add_f32 v[28:29], v[12:13], -1.0 op_sel_hi:[1,0]
	v_pk_add_f32 v[20:21], v[10:11], v[20:21] neg_lo:[0,1] neg_hi:[0,1]
	v_pk_add_f32 v[10:11], v[10:11], v[30:31] neg_lo:[0,1] neg_hi:[0,1]
	s_delay_alu instid0(VALU_DEP_4) | instskip(NEXT) | instid1(VALU_DEP_4)
	v_pk_add_f32 v[26:27], v[18:19], -1.0 op_sel_hi:[1,0]
	v_pk_add_f32 v[32:33], v[28:29], 1.0 op_sel_hi:[1,0]
	s_delay_alu instid0(VALU_DEP_4) | instskip(NEXT) | instid1(VALU_DEP_4)
	v_pk_add_f32 v[20:21], v[16:17], v[20:21]
	v_pk_add_f32 v[10:11], v[16:17], v[10:11]
	s_delay_alu instid0(VALU_DEP_4) | instskip(NEXT) | instid1(VALU_DEP_4)
	v_pk_add_f32 v[26:27], v[12:13], v[26:27] neg_lo:[0,1] neg_hi:[0,1]
	v_pk_add_f32 v[12:13], v[12:13], v[32:33] neg_lo:[0,1] neg_hi:[0,1]
	s_delay_alu instid0(VALU_DEP_4) | instskip(NEXT) | instid1(VALU_DEP_4)
	v_pk_add_f32 v[30:31], v[14:15], v[20:21]
	v_pk_add_f32 v[32:33], v[24:25], v[10:11]
	s_delay_alu instid0(VALU_DEP_4) | instskip(NEXT) | instid1(VALU_DEP_4)
	v_pk_add_f32 v[26:27], v[22:23], v[26:27]
	v_pk_add_f32 v[12:13], v[22:23], v[12:13]
	s_delay_alu instid0(VALU_DEP_4)
	v_rcp_f32_e32 v22, v30
	v_rcp_f32_e32 v23, v31
	v_pk_add_f32 v[14:15], v[30:31], v[14:15] neg_lo:[0,1] neg_hi:[0,1]
	v_pk_add_f32 v[16:17], v[18:19], v[26:27]
	v_pk_add_f32 v[36:37], v[28:29], v[12:13]
	v_pk_add_f32 v[24:25], v[32:33], v[24:25] neg_lo:[0,1] neg_hi:[0,1]
	s_delay_alu instid0(VALU_DEP_4) | instskip(NEXT) | instid1(VALU_DEP_4)
	v_pk_add_f32 v[14:15], v[20:21], v[14:15] neg_lo:[0,1] neg_hi:[0,1]
	v_rcp_f32_e32 v34, v16
	v_rcp_f32_e32 v35, v17
	v_pk_mul_f32 v[38:39], v[32:33], v[22:23]
	v_pk_add_f32 v[18:19], v[16:17], v[18:19] neg_lo:[0,1] neg_hi:[0,1]
	v_pk_add_f32 v[28:29], v[36:37], v[28:29] neg_lo:[0,1] neg_hi:[0,1]
	;; [unrolled: 1-line block ×3, first 2 shown]
	s_delay_alu instid0(VALU_DEP_4) | instskip(NEXT) | instid1(TRANS32_DEP_1)
	v_pk_mul_f32 v[42:43], v[30:31], v[38:39]
	v_pk_mul_f32 v[40:41], v[36:37], v[34:35]
	v_pk_add_f32 v[18:19], v[26:27], v[18:19] neg_lo:[0,1] neg_hi:[0,1]
	v_pk_add_f32 v[12:13], v[12:13], v[28:29] neg_lo:[0,1] neg_hi:[0,1]
	s_delay_alu instid0(VALU_DEP_4) | instskip(NEXT) | instid1(VALU_DEP_4)
	v_pk_fma_f32 v[20:21], v[38:39], v[30:31], v[42:43] neg_lo:[0,0,1] neg_hi:[0,0,1]
	v_pk_mul_f32 v[44:45], v[16:17], v[40:41]
	s_delay_alu instid0(VALU_DEP_2) | instskip(NEXT) | instid1(VALU_DEP_2)
	v_pk_fma_f32 v[20:21], v[38:39], v[14:15], v[20:21]
	v_pk_fma_f32 v[26:27], v[40:41], v[16:17], v[44:45] neg_lo:[0,0,1] neg_hi:[0,0,1]
	s_delay_alu instid0(VALU_DEP_2) | instskip(NEXT) | instid1(VALU_DEP_2)
	v_pk_add_f32 v[46:47], v[42:43], v[20:21]
	v_pk_fma_f32 v[26:27], v[40:41], v[18:19], v[26:27]
	s_delay_alu instid0(VALU_DEP_2) | instskip(NEXT) | instid1(VALU_DEP_2)
	v_pk_add_f32 v[50:51], v[32:33], v[46:47] neg_lo:[0,1] neg_hi:[0,1]
	v_pk_add_f32 v[48:49], v[44:45], v[26:27]
	s_delay_alu instid0(VALU_DEP_2) | instskip(NEXT) | instid1(VALU_DEP_2)
	v_pk_add_f32 v[32:33], v[32:33], v[50:51] neg_lo:[0,1] neg_hi:[0,1]
	v_pk_add_f32 v[52:53], v[36:37], v[48:49] neg_lo:[0,1] neg_hi:[0,1]
	;; [unrolled: 1-line block ×3, first 2 shown]
	s_delay_alu instid0(VALU_DEP_3) | instskip(NEXT) | instid1(VALU_DEP_3)
	v_pk_add_f32 v[32:33], v[32:33], v[46:47] neg_lo:[0,1] neg_hi:[0,1]
	v_pk_add_f32 v[24:25], v[36:37], v[52:53] neg_lo:[0,1] neg_hi:[0,1]
	;; [unrolled: 1-line block ×3, first 2 shown]
	s_delay_alu instid0(VALU_DEP_4)
	v_pk_add_f32 v[26:27], v[28:29], v[26:27] neg_lo:[0,1] neg_hi:[0,1]
	v_cvt_f32_i32_e32 v43, v54
	v_pk_add_f32 v[10:11], v[10:11], v[32:33]
	v_pk_add_f32 v[24:25], v[24:25], v[48:49] neg_lo:[0,1] neg_hi:[0,1]
	v_pk_add_f32 v[20:21], v[36:37], v[20:21] neg_lo:[0,1] neg_hi:[0,1]
	v_cvt_f32_i32_e32 v42, v55
	s_delay_alu instid0(VALU_DEP_3) | instskip(NEXT) | instid1(VALU_DEP_3)
	v_pk_add_f32 v[12:13], v[12:13], v[24:25]
	v_pk_add_f32 v[10:11], v[20:21], v[10:11]
	s_delay_alu instid0(VALU_DEP_3) | instskip(NEXT) | instid1(VALU_DEP_3)
	v_pk_mul_f32 v[44:45], v[42:43], s[8:9] op_sel_hi:[1,0]
	v_pk_add_f32 v[12:13], v[26:27], v[12:13]
	s_delay_alu instid0(VALU_DEP_3) | instskip(NEXT) | instid1(VALU_DEP_2)
	v_pk_add_f32 v[20:21], v[50:51], v[10:11]
	v_pk_add_f32 v[24:25], v[52:53], v[12:13]
	s_delay_alu instid0(VALU_DEP_2) | instskip(SKIP_1) | instid1(VALU_DEP_3)
	v_pk_mul_f32 v[26:27], v[22:23], v[20:21]
	v_pk_add_f32 v[50:51], v[50:51], v[20:21] neg_lo:[0,1] neg_hi:[0,1]
	v_pk_mul_f32 v[28:29], v[34:35], v[24:25]
	s_delay_alu instid0(VALU_DEP_3) | instskip(SKIP_1) | instid1(VALU_DEP_4)
	v_pk_mul_f32 v[32:33], v[30:31], v[26:27]
	v_pk_add_f32 v[52:53], v[52:53], v[24:25] neg_lo:[0,1] neg_hi:[0,1]
	v_pk_add_f32 v[10:11], v[10:11], v[50:51]
	v_mov_b32_e32 v50, v44
	v_pk_mul_f32 v[36:37], v[16:17], v[28:29]
	v_pk_fma_f32 v[30:31], v[26:27], v[30:31], v[32:33] neg_lo:[0,0,1] neg_hi:[0,0,1]
	v_pk_add_f32 v[12:13], v[12:13], v[52:53]
	s_delay_alu instid0(VALU_DEP_3) | instskip(NEXT) | instid1(VALU_DEP_3)
	v_pk_fma_f32 v[16:17], v[28:29], v[16:17], v[36:37] neg_lo:[0,0,1] neg_hi:[0,0,1]
	v_pk_fma_f32 v[14:15], v[26:27], v[14:15], v[30:31]
	v_cvt_f32_i32_e32 v31, v57
	v_cvt_f32_i32_e32 v30, v56
	v_pk_fma_f32 v[56:57], v[42:43], s[8:9], v[44:45] op_sel_hi:[1,0,1] neg_lo:[0,0,1] neg_hi:[0,0,1]
	v_pk_fma_f32 v[16:17], v[28:29], v[18:19], v[16:17]
	v_pk_add_f32 v[18:19], v[32:33], v[14:15]
	s_delay_alu instid0(VALU_DEP_4) | instskip(NEXT) | instid1(VALU_DEP_3)
	v_pk_mul_f32 v[48:49], v[30:31], s[8:9] op_sel_hi:[1,0]
	v_pk_add_f32 v[46:47], v[36:37], v[16:17]
	s_delay_alu instid0(VALU_DEP_3) | instskip(SKIP_1) | instid1(VALU_DEP_3)
	v_pk_add_f32 v[54:55], v[20:21], v[18:19] neg_lo:[0,1] neg_hi:[0,1]
	v_pk_add_f32 v[32:33], v[18:19], v[32:33] neg_lo:[0,1] neg_hi:[0,1]
	;; [unrolled: 1-line block ×3, first 2 shown]
	s_delay_alu instid0(VALU_DEP_3) | instskip(NEXT) | instid1(VALU_DEP_3)
	v_pk_add_f32 v[20:21], v[20:21], v[54:55] neg_lo:[0,1] neg_hi:[0,1]
	v_pk_add_f32 v[14:15], v[32:33], v[14:15] neg_lo:[0,1] neg_hi:[0,1]
	v_mov_b32_e32 v32, v48
	s_delay_alu instid0(VALU_DEP_4) | instskip(NEXT) | instid1(VALU_DEP_4)
	v_pk_add_f32 v[24:25], v[24:25], v[58:59] neg_lo:[0,1] neg_hi:[0,1]
	v_pk_add_f32 v[18:19], v[20:21], v[18:19] neg_lo:[0,1] neg_hi:[0,1]
	;; [unrolled: 1-line block ×3, first 2 shown]
	s_delay_alu instid0(VALU_DEP_3) | instskip(NEXT) | instid1(VALU_DEP_3)
	v_pk_add_f32 v[24:25], v[24:25], v[46:47] neg_lo:[0,1] neg_hi:[0,1]
	v_pk_add_f32 v[10:11], v[10:11], v[18:19]
	s_delay_alu instid0(VALU_DEP_3)
	v_pk_add_f32 v[16:17], v[20:21], v[16:17] neg_lo:[0,1] neg_hi:[0,1]
	v_pk_add_f32 v[20:21], v[38:39], v[26:27]
	v_mov_b32_e32 v19, v45
	v_pk_add_f32 v[12:13], v[12:13], v[24:25]
	v_pk_add_f32 v[10:11], v[14:15], v[10:11]
	v_pk_add_f32 v[24:25], v[40:41], v[28:29]
	v_pk_fma_f32 v[14:15], v[30:31], s[8:9], v[48:49] op_sel_hi:[1,0,1] neg_lo:[0,0,1] neg_hi:[0,0,1]
	s_delay_alu instid0(VALU_DEP_4)
	v_pk_add_f32 v[12:13], v[16:17], v[12:13]
	v_pk_add_f32 v[16:17], v[20:21], v[38:39] neg_lo:[0,1] neg_hi:[0,1]
	v_pk_add_f32 v[10:11], v[54:55], v[10:11]
	v_pk_add_f32 v[36:37], v[24:25], v[40:41] neg_lo:[0,1] neg_hi:[0,1]
	v_pk_fma_f32 v[14:15], v[30:31], s[10:11], v[14:15] op_sel_hi:[1,0,1]
	v_pk_add_f32 v[12:13], v[58:59], v[12:13]
	v_pk_add_f32 v[16:17], v[26:27], v[16:17] neg_lo:[0,1] neg_hi:[0,1]
	v_pk_mul_f32 v[10:11], v[22:23], v[10:11]
	v_pk_add_f32 v[26:27], v[28:29], v[36:37] neg_lo:[0,1] neg_hi:[0,1]
	v_pk_fma_f32 v[22:23], v[42:43], s[10:11], v[56:57] op_sel_hi:[1,0,1]
	v_pk_mul_f32 v[12:13], v[34:35], v[12:13]
	v_dual_mov_b32 v40, v14 :: v_dual_mov_b32 v47, v15
	v_pk_add_f32 v[10:11], v[16:17], v[10:11]
	s_delay_alu instid0(VALU_DEP_4) | instskip(NEXT) | instid1(VALU_DEP_4)
	v_pk_add_f32 v[16:17], v[44:45], v[22:23]
	v_pk_add_f32 v[12:13], v[26:27], v[12:13]
	v_dual_mov_b32 v26, v22 :: v_dual_mov_b32 v35, v23
	s_delay_alu instid0(VALU_DEP_4) | instskip(SKIP_1) | instid1(VALU_DEP_4)
	v_pk_add_f32 v[30:31], v[20:21], v[10:11]
	v_mov_b32_e32 v29, v49
	v_pk_add_f32 v[38:39], v[24:25], v[12:13]
	v_pk_add_f32 v[36:37], v[48:49], v[14:15]
	v_mov_b32_e32 v18, v16
	v_pk_mul_f32 v[42:43], v[30:31], v[30:31]
	v_pk_add_f32 v[20:21], v[30:31], v[20:21] neg_lo:[0,1] neg_hi:[0,1]
	v_pk_mul_f32 v[52:53], v[38:39], v[38:39]
	v_ldexp_f32 v56, v30, 1
	v_ldexp_f32 v57, v31, 1
	v_pk_fma_f32 v[54:55], v[42:43], s[4:5], s[2:3] op_sel_hi:[1,0,0]
	v_pk_mul_f32 v[30:31], v[30:31], v[42:43]
	v_pk_fma_f32 v[58:59], v[52:53], s[4:5], s[2:3] op_sel_hi:[1,0,0]
	v_pk_add_f32 v[24:25], v[38:39], v[24:25] neg_lo:[0,1] neg_hi:[0,1]
	v_pk_add_f32 v[10:11], v[10:11], v[20:21] neg_lo:[0,1] neg_hi:[0,1]
	v_pk_fma_f32 v[42:43], v[42:43], v[54:55], s[6:7] op_sel_hi:[1,1,0]
	v_mov_b32_e32 v54, v16
	v_pk_fma_f32 v[58:59], v[52:53], v[58:59], s[6:7] op_sel_hi:[1,1,0]
	v_pk_mul_f32 v[52:53], v[38:39], v[52:53]
	v_ldexp_f32 v38, v38, 1
	v_pk_mul_f32 v[30:31], v[30:31], v[42:43]
	v_ldexp_f32 v39, v39, 1
	v_pk_add_f32 v[12:13], v[12:13], v[24:25] neg_lo:[0,1] neg_hi:[0,1]
	v_pk_mul_f32 v[52:53], v[52:53], v[58:59]
	v_ldexp_f32 v27, v11, 1
	v_pk_add_f32 v[20:21], v[56:57], v[30:31]
	v_ldexp_f32 v10, v10, 1
	v_ldexp_f32 v41, v13, 1
	v_pk_add_f32 v[24:25], v[38:39], v[52:53]
	v_ldexp_f32 v12, v12, 1
	v_pk_add_f32 v[56:57], v[20:21], v[56:57] neg_lo:[0,1] neg_hi:[0,1]
	s_delay_alu instid0(VALU_DEP_4) | instskip(NEXT) | instid1(VALU_DEP_4)
	v_dual_mov_b32 v11, v27 :: v_dual_mov_b32 v13, v41
	v_pk_add_f32 v[38:39], v[24:25], v[38:39] neg_lo:[0,1] neg_hi:[0,1]
	v_dual_mov_b32 v43, v17 :: v_dual_mov_b32 v58, v36
	s_delay_alu instid0(VALU_DEP_4) | instskip(SKIP_1) | instid1(VALU_DEP_4)
	v_pk_add_f32 v[30:31], v[30:31], v[56:57] neg_lo:[0,1] neg_hi:[0,1]
	v_mov_b32_e32 v55, v21
	v_pk_add_f32 v[38:39], v[52:53], v[38:39] neg_lo:[0,1] neg_hi:[0,1]
	v_dual_mov_b32 v59, v25 :: v_dual_mov_b32 v28, v36
	s_delay_alu instid0(VALU_DEP_4) | instskip(SKIP_1) | instid1(VALU_DEP_4)
	v_mov_b32_e32 v51, v31
	v_pk_add_f32 v[52:53], v[10:11], v[30:31]
	v_pk_add_f32 v[56:57], v[12:13], v[38:39]
	v_dual_mov_b32 v31, v21 :: v_dual_mov_b32 v33, v39
	s_delay_alu instid0(VALU_DEP_3)
	v_dual_mov_b32 v39, v25 :: v_dual_mov_b32 v11, v53
	v_pk_add_f32 v[26:27], v[50:51], v[26:27]
	v_pk_add_f32 v[50:51], v[20:21], v[52:53]
	v_mov_b32_e32 v13, v57
	v_pk_add_f32 v[32:33], v[32:33], v[40:41]
	v_mov_b32_e32 v41, v53
	;; [unrolled: 2-line block ×3, first 2 shown]
	v_pk_add_f32 v[30:31], v[24:25], v[56:57]
	v_pk_add_f32 v[12:13], v[12:13], v[38:39]
	v_pk_add_f32 v[38:39], v[50:51], v[20:21] neg_lo:[0,1] neg_hi:[0,1]
	v_mov_b32_e32 v34, v50
	v_pk_add_f32 v[40:41], v[54:55], v[40:41]
	v_dual_mov_b32 v55, v57 :: v_dual_mov_b32 v54, v30
	s_delay_alu instid0(VALU_DEP_4) | instskip(SKIP_2) | instid1(VALU_DEP_4)
	v_pk_add_f32 v[38:39], v[52:53], v[38:39] neg_lo:[0,1] neg_hi:[0,1]
	v_pk_add_f32 v[52:53], v[30:31], v[24:25] neg_lo:[0,1] neg_hi:[0,1]
	v_dual_mov_b32 v46, v30 :: v_dual_mov_b32 v42, v20
	v_pk_add_f32 v[54:55], v[58:59], v[54:55]
	v_pk_add_f32 v[58:59], v[16:17], v[50:51]
	s_delay_alu instid0(VALU_DEP_4) | instskip(SKIP_1) | instid1(VALU_DEP_3)
	v_pk_add_f32 v[52:53], v[56:57], v[52:53] neg_lo:[0,1] neg_hi:[0,1]
	v_pk_add_f32 v[56:57], v[18:19], v[34:35]
	v_mov_b32_e32 v51, v59
	s_delay_alu instid0(VALU_DEP_2) | instskip(SKIP_1) | instid1(VALU_DEP_2)
	v_pk_add_f32 v[18:19], v[56:57], v[18:19] neg_lo:[0,1] neg_hi:[0,1]
	v_pk_add_f32 v[56:57], v[28:29], v[46:47]
	v_pk_add_f32 v[34:35], v[34:35], v[18:19] neg_lo:[0,1] neg_hi:[0,1]
	s_delay_alu instid0(VALU_DEP_2) | instskip(SKIP_4) | instid1(VALU_DEP_2)
	v_pk_add_f32 v[28:29], v[56:57], v[28:29] neg_lo:[0,1] neg_hi:[0,1]
	v_mov_b32_e32 v57, v37
	v_pk_add_f32 v[42:43], v[50:51], v[42:43] neg_lo:[0,1] neg_hi:[0,1]
	v_pk_add_f32 v[50:51], v[36:37], v[30:31]
	v_dual_mov_b32 v56, v24 :: v_dual_mov_b32 v24, v16
	v_dual_mov_b32 v45, v43 :: v_dual_mov_b32 v31, v51
	s_delay_alu instid0(VALU_DEP_4) | instskip(NEXT) | instid1(VALU_DEP_2)
	v_pk_add_f32 v[10:11], v[10:11], v[42:43] neg_lo:[0,1] neg_hi:[0,1]
	v_pk_add_f32 v[30:31], v[30:31], v[56:57] neg_lo:[0,1] neg_hi:[0,1]
	v_dual_mov_b32 v57, v19 :: v_dual_mov_b32 v19, v21
	v_pk_add_f32 v[20:21], v[46:47], v[28:29] neg_lo:[0,1] neg_hi:[0,1]
	v_dual_mov_b32 v47, v29 :: v_dual_mov_b32 v29, v25
	s_delay_alu instid0(VALU_DEP_4) | instskip(NEXT) | instid1(VALU_DEP_4)
	v_dual_mov_b32 v25, v59 :: v_dual_mov_b32 v49, v31
	v_pk_add_f32 v[18:19], v[40:41], v[18:19] neg_lo:[0,1] neg_hi:[0,1]
	v_pk_add_f32 v[12:13], v[12:13], v[30:31] neg_lo:[0,1] neg_hi:[0,1]
	s_delay_alu instid0(VALU_DEP_4) | instskip(NEXT) | instid1(VALU_DEP_4)
	v_pk_add_f32 v[28:29], v[54:55], v[28:29] neg_lo:[0,1] neg_hi:[0,1]
	v_pk_add_f32 v[24:25], v[24:25], v[44:45] neg_lo:[0,1] neg_hi:[0,1]
	v_dual_mov_b32 v44, v36 :: v_dual_mov_b32 v45, v51
	v_pk_add_f32 v[18:19], v[26:27], v[18:19] neg_lo:[0,1] neg_hi:[0,1]
	s_delay_alu instid0(VALU_DEP_2) | instskip(NEXT) | instid1(VALU_DEP_1)
	v_pk_add_f32 v[44:45], v[44:45], v[48:49] neg_lo:[0,1] neg_hi:[0,1]
	v_dual_mov_b32 v56, v24 :: v_dual_mov_b32 v46, v44
	s_delay_alu instid0(VALU_DEP_1)
	v_pk_add_f32 v[26:27], v[22:23], v[56:57] neg_lo:[0,1] neg_hi:[0,1]
	v_mov_b32_e32 v23, v17
	v_pk_add_f32 v[16:17], v[32:33], v[28:29] neg_lo:[0,1] neg_hi:[0,1]
	v_pk_add_f32 v[32:33], v[34:35], v[18:19]
	v_pk_add_f32 v[28:29], v[14:15], v[46:47] neg_lo:[0,1] neg_hi:[0,1]
	v_mov_b32_e32 v15, v37
	v_pk_add_f32 v[22:23], v[22:23], v[24:25] neg_lo:[0,1] neg_hi:[0,1]
	v_pk_add_f32 v[24:25], v[20:21], v[16:17]
	v_mov_b32_e32 v31, v33
	s_delay_alu instid0(VALU_DEP_4) | instskip(NEXT) | instid1(VALU_DEP_4)
	v_pk_add_f32 v[14:15], v[14:15], v[44:45] neg_lo:[0,1] neg_hi:[0,1]
	v_pk_add_f32 v[36:37], v[10:11], v[22:23]
	v_dual_mov_b32 v11, v19 :: v_dual_mov_b32 v23, v35
	v_mov_b32_e32 v19, v25
	s_delay_alu instid0(VALU_DEP_4) | instskip(SKIP_1) | instid1(VALU_DEP_4)
	v_pk_add_f32 v[40:41], v[12:13], v[14:15]
	v_mov_b32_e32 v13, v17
	v_pk_add_f32 v[10:11], v[26:27], v[10:11]
	v_dual_mov_b32 v15, v21 :: v_dual_mov_b32 v30, v36
	s_delay_alu instid0(VALU_DEP_4) | instskip(SKIP_1) | instid1(VALU_DEP_4)
	v_mov_b32_e32 v18, v40
	v_pk_add_f32 v[16:17], v[32:33], v[36:37]
	v_pk_add_f32 v[10:11], v[10:11], v[22:23] neg_lo:[0,1] neg_hi:[0,1]
	v_pk_add_f32 v[12:13], v[28:29], v[12:13]
	v_pk_add_f32 v[20:21], v[24:25], v[40:41]
	s_delay_alu instid0(VALU_DEP_4) | instskip(NEXT) | instid1(VALU_DEP_4)
	v_pk_add_f32 v[24:25], v[58:59], v[16:17]
	v_pk_add_f32 v[26:27], v[30:31], v[10:11] neg_lo:[0,1] neg_hi:[0,1]
	s_delay_alu instid0(VALU_DEP_4)
	v_pk_add_f32 v[12:13], v[12:13], v[14:15] neg_lo:[0,1] neg_hi:[0,1]
	v_pk_add_f32 v[10:11], v[38:39], v[10:11] neg_lo:[0,1] neg_hi:[0,1]
	v_pk_add_f32 v[28:29], v[50:51], v[20:21]
	v_pk_add_f32 v[30:31], v[24:25], v[58:59] neg_lo:[0,1] neg_hi:[0,1]
	v_pk_add_f32 v[22:23], v[22:23], v[26:27] neg_lo:[0,1] neg_hi:[0,1]
	;; [unrolled: 1-line block ×6, first 2 shown]
	v_pk_add_f32 v[10:11], v[10:11], v[22:23]
	v_pk_add_f32 v[14:15], v[14:15], v[18:19] neg_lo:[0,1] neg_hi:[0,1]
	s_delay_alu instid0(VALU_DEP_4) | instskip(NEXT) | instid1(VALU_DEP_3)
	v_pk_add_f32 v[18:19], v[20:21], v[26:27] neg_lo:[0,1] neg_hi:[0,1]
	v_pk_add_f32 v[10:11], v[10:11], v[16:17]
	s_delay_alu instid0(VALU_DEP_3) | instskip(SKIP_1) | instid1(VALU_DEP_3)
	v_pk_add_f32 v[12:13], v[12:13], v[14:15]
	v_lshlrev_b64_e32 v[14:15], 2, v[0:1]
	v_pk_add_f32 v[10:11], v[24:25], v[10:11]
	s_delay_alu instid0(VALU_DEP_3) | instskip(NEXT) | instid1(VALU_DEP_2)
	v_pk_add_f32 v[12:13], v[12:13], v[18:19]
	v_cndmask_b32_e32 v10, 0x7f800000, v10, vcc_lo
	v_cmp_neq_f32_e32 vcc_lo, 0x7f800000, v3
	s_delay_alu instid0(VALU_DEP_3) | instskip(SKIP_2) | instid1(VALU_DEP_3)
	v_pk_add_f32 v[12:13], v[28:29], v[12:13]
	v_cndmask_b32_e32 v11, 0x7f800000, v11, vcc_lo
	v_cmp_neq_f32_e32 vcc_lo, 0x7f800000, v4
	v_cndmask_b32_e32 v12, 0x7f800000, v12, vcc_lo
	v_cmp_neq_f32_e32 vcc_lo, 0x7f800000, v5
	v_cndmask_b32_e32 v13, 0x7f800000, v13, vcc_lo
	v_cmp_ngt_f32_e32 vcc_lo, -1.0, v3
	v_cndmask_b32_e32 v11, 0x7fc00000, v11, vcc_lo
	v_cmp_ngt_f32_e32 vcc_lo, -1.0, v2
	;; [unrolled: 2-line block ×4, first 2 shown]
	v_cndmask_b32_e32 v12, 0x7fc00000, v12, vcc_lo
	v_cmp_neq_f32_e32 vcc_lo, -1.0, v2
	v_cndmask_b32_e32 v10, 0xff800000, v10, vcc_lo
	v_cmp_neq_f32_e32 vcc_lo, -1.0, v3
	;; [unrolled: 2-line block ×4, first 2 shown]
	v_cndmask_b32_e32 v13, 0xff800000, v13, vcc_lo
	v_cmp_gt_f32_e64 vcc_lo, 0x33800000, |v3|
	v_cndmask_b32_e32 v3, v11, v3, vcc_lo
	v_cmp_gt_f32_e64 vcc_lo, 0x33800000, |v2|
	;; [unrolled: 2-line block ×4, first 2 shown]
	v_cndmask_b32_e32 v4, v12, v4, vcc_lo
	v_cmp_ge_i64_e32 vcc_lo, v[14:15], v[6:7]
	global_store_b128 v[8:9], v[2:5], off offset:-8
	s_wait_xcnt 0x0
	v_add_nc_u64_e32 v[8:9], s[12:13], v[8:9]
	s_or_b32 s3, vcc_lo, s3
	s_delay_alu instid0(SALU_CYCLE_1)
	s_and_not1_b32 exec_lo, exec_lo, s3
	s_cbranch_execnz .LBB208_24
.LBB208_25:
	s_endpgm
	.section	.rodata,"a",@progbits
	.p2align	6, 0x0
	.amdhsa_kernel _ZN2at6native12_GLOBAL__N_125multi_tensor_apply_kernelINS1_18TensorListMetadataILi1EEENS1_14UnaryOpFunctorIfLi1ELi1ELi0EEEJNS0_5Log1pIfEEEEEvT_T0_DpT1_
		.amdhsa_group_segment_fixed_size 0
		.amdhsa_private_segment_fixed_size 0
		.amdhsa_kernarg_size 3632
		.amdhsa_user_sgpr_count 2
		.amdhsa_user_sgpr_dispatch_ptr 0
		.amdhsa_user_sgpr_queue_ptr 0
		.amdhsa_user_sgpr_kernarg_segment_ptr 1
		.amdhsa_user_sgpr_dispatch_id 0
		.amdhsa_user_sgpr_kernarg_preload_length 0
		.amdhsa_user_sgpr_kernarg_preload_offset 0
		.amdhsa_user_sgpr_private_segment_size 0
		.amdhsa_wavefront_size32 1
		.amdhsa_uses_dynamic_stack 0
		.amdhsa_enable_private_segment 0
		.amdhsa_system_sgpr_workgroup_id_x 1
		.amdhsa_system_sgpr_workgroup_id_y 0
		.amdhsa_system_sgpr_workgroup_id_z 0
		.amdhsa_system_sgpr_workgroup_info 0
		.amdhsa_system_vgpr_workitem_id 0
		.amdhsa_next_free_vgpr 60
		.amdhsa_next_free_sgpr 23
		.amdhsa_named_barrier_count 0
		.amdhsa_reserve_vcc 1
		.amdhsa_float_round_mode_32 0
		.amdhsa_float_round_mode_16_64 0
		.amdhsa_float_denorm_mode_32 3
		.amdhsa_float_denorm_mode_16_64 3
		.amdhsa_fp16_overflow 0
		.amdhsa_memory_ordered 1
		.amdhsa_forward_progress 1
		.amdhsa_inst_pref_size 52
		.amdhsa_round_robin_scheduling 0
		.amdhsa_exception_fp_ieee_invalid_op 0
		.amdhsa_exception_fp_denorm_src 0
		.amdhsa_exception_fp_ieee_div_zero 0
		.amdhsa_exception_fp_ieee_overflow 0
		.amdhsa_exception_fp_ieee_underflow 0
		.amdhsa_exception_fp_ieee_inexact 0
		.amdhsa_exception_int_div_zero 0
	.end_amdhsa_kernel
	.section	.text._ZN2at6native12_GLOBAL__N_125multi_tensor_apply_kernelINS1_18TensorListMetadataILi1EEENS1_14UnaryOpFunctorIfLi1ELi1ELi0EEEJNS0_5Log1pIfEEEEEvT_T0_DpT1_,"axG",@progbits,_ZN2at6native12_GLOBAL__N_125multi_tensor_apply_kernelINS1_18TensorListMetadataILi1EEENS1_14UnaryOpFunctorIfLi1ELi1ELi0EEEJNS0_5Log1pIfEEEEEvT_T0_DpT1_,comdat
.Lfunc_end208:
	.size	_ZN2at6native12_GLOBAL__N_125multi_tensor_apply_kernelINS1_18TensorListMetadataILi1EEENS1_14UnaryOpFunctorIfLi1ELi1ELi0EEEJNS0_5Log1pIfEEEEEvT_T0_DpT1_, .Lfunc_end208-_ZN2at6native12_GLOBAL__N_125multi_tensor_apply_kernelINS1_18TensorListMetadataILi1EEENS1_14UnaryOpFunctorIfLi1ELi1ELi0EEEJNS0_5Log1pIfEEEEEvT_T0_DpT1_
                                        ; -- End function
	.set _ZN2at6native12_GLOBAL__N_125multi_tensor_apply_kernelINS1_18TensorListMetadataILi1EEENS1_14UnaryOpFunctorIfLi1ELi1ELi0EEEJNS0_5Log1pIfEEEEEvT_T0_DpT1_.num_vgpr, 60
	.set _ZN2at6native12_GLOBAL__N_125multi_tensor_apply_kernelINS1_18TensorListMetadataILi1EEENS1_14UnaryOpFunctorIfLi1ELi1ELi0EEEJNS0_5Log1pIfEEEEEvT_T0_DpT1_.num_agpr, 0
	.set _ZN2at6native12_GLOBAL__N_125multi_tensor_apply_kernelINS1_18TensorListMetadataILi1EEENS1_14UnaryOpFunctorIfLi1ELi1ELi0EEEJNS0_5Log1pIfEEEEEvT_T0_DpT1_.numbered_sgpr, 23
	.set _ZN2at6native12_GLOBAL__N_125multi_tensor_apply_kernelINS1_18TensorListMetadataILi1EEENS1_14UnaryOpFunctorIfLi1ELi1ELi0EEEJNS0_5Log1pIfEEEEEvT_T0_DpT1_.num_named_barrier, 0
	.set _ZN2at6native12_GLOBAL__N_125multi_tensor_apply_kernelINS1_18TensorListMetadataILi1EEENS1_14UnaryOpFunctorIfLi1ELi1ELi0EEEJNS0_5Log1pIfEEEEEvT_T0_DpT1_.private_seg_size, 0
	.set _ZN2at6native12_GLOBAL__N_125multi_tensor_apply_kernelINS1_18TensorListMetadataILi1EEENS1_14UnaryOpFunctorIfLi1ELi1ELi0EEEJNS0_5Log1pIfEEEEEvT_T0_DpT1_.uses_vcc, 1
	.set _ZN2at6native12_GLOBAL__N_125multi_tensor_apply_kernelINS1_18TensorListMetadataILi1EEENS1_14UnaryOpFunctorIfLi1ELi1ELi0EEEJNS0_5Log1pIfEEEEEvT_T0_DpT1_.uses_flat_scratch, 0
	.set _ZN2at6native12_GLOBAL__N_125multi_tensor_apply_kernelINS1_18TensorListMetadataILi1EEENS1_14UnaryOpFunctorIfLi1ELi1ELi0EEEJNS0_5Log1pIfEEEEEvT_T0_DpT1_.has_dyn_sized_stack, 0
	.set _ZN2at6native12_GLOBAL__N_125multi_tensor_apply_kernelINS1_18TensorListMetadataILi1EEENS1_14UnaryOpFunctorIfLi1ELi1ELi0EEEJNS0_5Log1pIfEEEEEvT_T0_DpT1_.has_recursion, 0
	.set _ZN2at6native12_GLOBAL__N_125multi_tensor_apply_kernelINS1_18TensorListMetadataILi1EEENS1_14UnaryOpFunctorIfLi1ELi1ELi0EEEJNS0_5Log1pIfEEEEEvT_T0_DpT1_.has_indirect_call, 0
	.section	.AMDGPU.csdata,"",@progbits
; Kernel info:
; codeLenInByte = 6648
; TotalNumSgprs: 25
; NumVgprs: 60
; ScratchSize: 0
; MemoryBound: 0
; FloatMode: 240
; IeeeMode: 1
; LDSByteSize: 0 bytes/workgroup (compile time only)
; SGPRBlocks: 0
; VGPRBlocks: 3
; NumSGPRsForWavesPerEU: 25
; NumVGPRsForWavesPerEU: 60
; NamedBarCnt: 0
; Occupancy: 16
; WaveLimiterHint : 0
; COMPUTE_PGM_RSRC2:SCRATCH_EN: 0
; COMPUTE_PGM_RSRC2:USER_SGPR: 2
; COMPUTE_PGM_RSRC2:TRAP_HANDLER: 0
; COMPUTE_PGM_RSRC2:TGID_X_EN: 1
; COMPUTE_PGM_RSRC2:TGID_Y_EN: 0
; COMPUTE_PGM_RSRC2:TGID_Z_EN: 0
; COMPUTE_PGM_RSRC2:TIDIG_COMP_CNT: 0
	.section	.text._ZN2at6native12_GLOBAL__N_125multi_tensor_apply_kernelINS1_18TensorListMetadataILi1EEENS1_14UnaryOpFunctorIN3c107complexIdEELi1ELi1ELi0EEEJNS0_5Log1pIS8_EEEEEvT_T0_DpT1_,"axG",@progbits,_ZN2at6native12_GLOBAL__N_125multi_tensor_apply_kernelINS1_18TensorListMetadataILi1EEENS1_14UnaryOpFunctorIN3c107complexIdEELi1ELi1ELi0EEEJNS0_5Log1pIS8_EEEEEvT_T0_DpT1_,comdat
	.globl	_ZN2at6native12_GLOBAL__N_125multi_tensor_apply_kernelINS1_18TensorListMetadataILi1EEENS1_14UnaryOpFunctorIN3c107complexIdEELi1ELi1ELi0EEEJNS0_5Log1pIS8_EEEEEvT_T0_DpT1_ ; -- Begin function _ZN2at6native12_GLOBAL__N_125multi_tensor_apply_kernelINS1_18TensorListMetadataILi1EEENS1_14UnaryOpFunctorIN3c107complexIdEELi1ELi1ELi0EEEJNS0_5Log1pIS8_EEEEEvT_T0_DpT1_
	.p2align	8
	.type	_ZN2at6native12_GLOBAL__N_125multi_tensor_apply_kernelINS1_18TensorListMetadataILi1EEENS1_14UnaryOpFunctorIN3c107complexIdEELi1ELi1ELi0EEEJNS0_5Log1pIS8_EEEEEvT_T0_DpT1_,@function
_ZN2at6native12_GLOBAL__N_125multi_tensor_apply_kernelINS1_18TensorListMetadataILi1EEENS1_14UnaryOpFunctorIN3c107complexIdEELi1ELi1ELi0EEEJNS0_5Log1pIS8_EEEEEvT_T0_DpT1_: ; @_ZN2at6native12_GLOBAL__N_125multi_tensor_apply_kernelINS1_18TensorListMetadataILi1EEENS1_14UnaryOpFunctorIN3c107complexIdEELi1ELi1ELi0EEEJNS0_5Log1pIS8_EEEEEvT_T0_DpT1_
; %bb.0:
	s_bfe_u32 s2, ttmp6, 0x4000c
	s_and_b32 s3, ttmp6, 15
	s_add_co_i32 s2, s2, 1
	s_getreg_b32 s4, hwreg(HW_REG_IB_STS2, 6, 4)
	s_mul_i32 s2, ttmp9, s2
	s_delay_alu instid0(SALU_CYCLE_1)
	s_add_co_i32 s3, s3, s2
	s_cmp_eq_u32 s4, 0
	s_cselect_b32 s2, ttmp9, s3
	s_mov_b32 s3, 0
	s_load_u8 s10, s[0:1], s2 offset:0x6e0
	s_add_nc_u64 s[4:5], s[0:1], s[2:3]
	s_mul_u64 s[6:7], s[2:3], 3
	s_delay_alu instid0(SALU_CYCLE_1)
	s_add_nc_u64 s[4:5], s[4:5], s[6:7]
	s_load_b32 s6, s[4:5], 0x820
	s_wait_kmcnt 0x0
	s_clause 0x1
	s_load_b64 s[14:15], s[0:1], s10 offset:0x0 scale_offset
	s_load_b64 s[8:9], s[0:1], s10 offset:0x370 scale_offset
	s_ashr_i32 s7, s6, 31
	s_delay_alu instid0(SALU_CYCLE_1) | instskip(SKIP_3) | instid1(SALU_CYCLE_1)
	s_lshl_b64 s[16:17], s[6:7], 20
	s_wait_kmcnt 0x0
	s_and_b32 s2, s8, 3
	s_add_nc_u64 s[20:21], s[14:15], s[16:17]
	s_and_b64 s[4:5], s[20:21], 63
	s_delay_alu instid0(SALU_CYCLE_1)
	s_or_b64 s[2:3], s[4:5], s[2:3]
	s_lshl_b64 s[4:5], s[6:7], 16
	s_cmp_eq_u64 s[2:3], 0
	s_sub_nc_u64 s[18:19], s[8:9], s[4:5]
	s_cbranch_scc1 .LBB209_45
; %bb.1:
	v_cmp_lt_i64_e64 s2, s[18:19], 1
	s_and_b32 vcc_lo, exec_lo, s2
	s_cbranch_vccnz .LBB209_44
; %bb.2:
	s_load_b32 s2, s[0:1], 0xd3c
	v_min_i64 v[18:19], 0x10000, s[18:19]
	v_min_u64 v[20:21], 0x10000, s[18:19]
	v_dual_mov_b32 v1, 0 :: v_dual_lshlrev_b32 v22, 4, v0
	s_mov_b32 s3, 0
	v_mov_b64_e32 v[24:25], 0x3fc385386b47b09a
	s_mov_b32 s5, s3
	s_delay_alu instid0(VALU_DEP_2)
	v_dual_mov_b32 v23, v1 :: v_dual_mov_b32 v35, v1
	s_mov_b32 s7, s3
	v_mov_b64_e32 v[26:27], 0xbf23e260bd3237f4
	v_mov_b32_e32 v74, 0x7f3321d2
	v_mov_b32_e32 v75, 0x4002d97c
	s_mov_b64 s[22:23], 0x3fe5555555555555
	s_mov_b64 s[24:25], 0x3fe62e42fefa39ef
	;; [unrolled: 1-line block ×4, first 2 shown]
	s_mov_b32 s29, s3
	s_mov_b32 s31, s3
	s_wait_kmcnt 0x0
	s_and_b32 s2, s2, 0xffff
	s_mov_b64 s[36:37], 0
	v_mad_nc_u64_u32 v[30:31], s2, 48, v[22:23]
	s_lshl_b32 s4, s2, 1
	s_mul_i32 s6, s2, 3
	s_lshl_b32 s28, s2, 2
	s_lshl_b32 s30, s2, 6
	v_add_nc_u64_e32 v[28:29], s[2:3], v[0:1]
	s_lshl_b32 s2, s2, 5
	v_add_nc_u64_e32 v[36:37], s[6:7], v[0:1]
	v_add_nc_u64_e32 v[32:33], s[2:3], v[22:23]
	v_add_nc_u64_e32 v[38:39], s[4:5], v[0:1]
                                        ; implicit-def: $vgpr2_vgpr3
                                        ; implicit-def: $vgpr2_vgpr3
	;; [unrolled: 1-line block ×23, first 2 shown]
	s_delay_alu instid0(VALU_DEP_4) | instskip(NEXT) | instid1(VALU_DEP_3)
	v_dual_lshlrev_b32 v34, 4, v28 :: v_dual_bitop2_b32 v30, 8, v30 bitop3:0x54
	v_or_b32_e32 v32, 8, v32
	s_branch .LBB209_4
.LBB209_3:                              ;   in Loop: Header=BB209_4 Depth=1
	s_wait_xcnt 0x0
	s_or_b32 exec_lo, exec_lo, s3
	s_add_nc_u64 s[36:37], s[36:37], s[28:29]
	s_add_nc_u64 s[20:21], s[20:21], s[30:31]
	v_cmp_ge_i64_e32 vcc_lo, s[36:37], v[18:19]
	s_cbranch_vccnz .LBB209_44
.LBB209_4:                              ; =>This Inner Loop Header: Depth=1
	v_add_nc_u64_e32 v[2:3], s[36:37], v[0:1]
	v_mov_b64_e32 v[12:13], 0
	v_add_nc_u64_e32 v[46:47], s[20:21], v[22:23]
	v_mov_b64_e32 v[16:17], 0
	v_mov_b64_e32 v[14:15], 0
	v_cmp_lt_u64_e32 vcc_lo, v[2:3], v[20:21]
	s_and_saveexec_b32 s2, vcc_lo
	s_cbranch_execz .LBB209_6
; %bb.5:                                ;   in Loop: Header=BB209_4 Depth=1
	global_load_b128 v[14:17], v[46:47], off
.LBB209_6:                              ;   in Loop: Header=BB209_4 Depth=1
	s_wait_xcnt 0x0
	s_or_b32 exec_lo, exec_lo, s2
	v_add_nc_u64_e32 v[2:3], s[36:37], v[28:29]
	v_add_nc_u64_e32 v[44:45], s[20:21], v[34:35]
	v_mov_b64_e32 v[10:11], 0
	s_delay_alu instid0(VALU_DEP_3)
	v_cmp_lt_u64_e64 s4, v[2:3], v[20:21]
	s_and_saveexec_b32 s2, s4
	s_cbranch_execz .LBB209_8
; %bb.7:                                ;   in Loop: Header=BB209_4 Depth=1
	global_load_b128 v[10:13], v[44:45], off
.LBB209_8:                              ;   in Loop: Header=BB209_4 Depth=1
	s_wait_xcnt 0x0
	s_or_b32 exec_lo, exec_lo, s2
	v_add_nc_u64_e32 v[2:3], s[36:37], v[38:39]
	v_mov_b64_e32 v[4:5], 0
	v_add_nc_u64_e32 v[42:43], s[20:21], v[32:33]
	v_mov_b64_e32 v[8:9], 0
	v_mov_b64_e32 v[6:7], 0
	v_cmp_lt_u64_e64 s3, v[2:3], v[20:21]
	s_and_saveexec_b32 s2, s3
	s_cbranch_execz .LBB209_10
; %bb.9:                                ;   in Loop: Header=BB209_4 Depth=1
	global_load_b128 v[6:9], v[42:43], off offset:-8
.LBB209_10:                             ;   in Loop: Header=BB209_4 Depth=1
	s_wait_xcnt 0x0
	s_or_b32 exec_lo, exec_lo, s2
	v_add_nc_u64_e32 v[2:3], s[36:37], v[36:37]
	v_add_nc_u64_e32 v[40:41], s[20:21], v[30:31]
	s_delay_alu instid0(VALU_DEP_2)
	v_cmp_lt_u64_e64 s2, v[2:3], v[20:21]
	v_mov_b64_e32 v[2:3], 0
	s_and_saveexec_b32 s5, s2
	s_cbranch_execz .LBB209_12
; %bb.11:                               ;   in Loop: Header=BB209_4 Depth=1
	global_load_b128 v[2:5], v[40:41], off offset:-8
.LBB209_12:                             ;   in Loop: Header=BB209_4 Depth=1
	s_wait_xcnt 0x0
	s_or_b32 exec_lo, exec_lo, s5
	s_wait_loadcnt 0x0
	v_max_num_f64_e64 v[48:49], |v[14:15]|, |v[14:15]|
	v_max_num_f64_e64 v[50:51], |v[16:17]|, |v[16:17]|
	v_cmp_class_f64_e64 s8, v[14:15], 0x204
	v_cmp_class_f64_e64 s13, v[16:17], 0x204
	v_cmp_u_f64_e64 s6, v[14:15], v[16:17]
	s_delay_alu instid0(VALU_DEP_4) | instskip(SKIP_1) | instid1(SALU_CYCLE_1)
	v_max_num_f64_e32 v[48:49], v[48:49], v[50:51]
	s_or_b32 s8, s13, s8
	s_or_b32 s6, s8, s6
	s_delay_alu instid0(VALU_DEP_1) | instskip(NEXT) | instid1(VALU_DEP_1)
	v_frexp_exp_i32_f64_e32 v58, v[48:49]
	v_sub_nc_u32_e32 v52, 0, v58
	s_delay_alu instid0(VALU_DEP_1) | instskip(NEXT) | instid1(VALU_DEP_1)
	v_ldexp_f64 v[48:49], |v[16:17]|, v52
	v_mul_f64_e32 v[48:49], v[48:49], v[48:49]
	v_ldexp_f64 v[52:53], |v[14:15]|, v52
	s_delay_alu instid0(VALU_DEP_1) | instskip(NEXT) | instid1(VALU_DEP_1)
	v_fmac_f64_e32 v[48:49], v[52:53], v[52:53]
	v_rsq_f64_e32 v[52:53], v[48:49]
	v_cmp_eq_f64_e64 s5, 0, v[48:49]
	s_delay_alu instid0(TRANS32_DEP_1) | instskip(SKIP_1) | instid1(VALU_DEP_1)
	v_mul_f64_e32 v[54:55], v[48:49], v[52:53]
	v_mul_f64_e32 v[52:53], 0.5, v[52:53]
	v_fma_f64 v[56:57], -v[52:53], v[54:55], 0.5
	s_delay_alu instid0(VALU_DEP_1) | instskip(SKIP_1) | instid1(VALU_DEP_2)
	v_fmac_f64_e32 v[54:55], v[54:55], v[56:57]
	v_fmac_f64_e32 v[52:53], v[52:53], v[56:57]
	v_fma_f64 v[56:57], -v[54:55], v[54:55], v[48:49]
	s_delay_alu instid0(VALU_DEP_1) | instskip(NEXT) | instid1(VALU_DEP_1)
	v_fmac_f64_e32 v[54:55], v[56:57], v[52:53]
	v_dual_cndmask_b32 v53, v55, v49, s5 :: v_dual_cndmask_b32 v52, v54, v48, s5
	v_add_f64_e32 v[48:49], 1.0, v[14:15]
	s_delay_alu instid0(VALU_DEP_2) | instskip(NEXT) | instid1(VALU_DEP_2)
	v_ldexp_f64 v[54:55], v[52:53], v58
	v_max_num_f64_e64 v[52:53], |v[48:49]|, v[50:51]
	v_cmp_u_f64_e64 s5, v[48:49], v[16:17]
	v_cmp_class_f64_e64 s33, v[48:49], 0x204
	s_delay_alu instid0(VALU_DEP_4) | instskip(SKIP_1) | instid1(SALU_CYCLE_1)
	v_cmp_ngt_f64_e64 s7, 0.5, v[54:55]
	s_or_b32 s6, s6, s7
	s_and_saveexec_b32 s7, s6
	s_delay_alu instid0(SALU_CYCLE_1)
	s_xor_b32 s7, exec_lo, s7
	s_cbranch_execz .LBB209_14
; %bb.13:                               ;   in Loop: Header=BB209_4 Depth=1
	v_frexp_exp_i32_f64_e32 v60, v[52:53]
	s_delay_alu instid0(VALU_DEP_1) | instskip(NEXT) | instid1(VALU_DEP_1)
	v_sub_nc_u32_e32 v54, 0, v60
	v_ldexp_f64 v[14:15], |v[16:17]|, v54
	s_delay_alu instid0(VALU_DEP_1) | instskip(SKIP_1) | instid1(VALU_DEP_1)
	v_mul_f64_e32 v[14:15], v[14:15], v[14:15]
	v_ldexp_f64 v[54:55], |v[48:49]|, v54
	v_fmac_f64_e32 v[14:15], v[54:55], v[54:55]
	s_delay_alu instid0(VALU_DEP_1) | instskip(SKIP_1) | instid1(TRANS32_DEP_1)
	v_rsq_f64_e32 v[54:55], v[14:15]
	v_cmp_eq_f64_e64 s6, 0, v[14:15]
	v_mul_f64_e32 v[56:57], v[14:15], v[54:55]
	v_mul_f64_e32 v[54:55], 0.5, v[54:55]
	s_delay_alu instid0(VALU_DEP_1) | instskip(NEXT) | instid1(VALU_DEP_1)
	v_fma_f64 v[58:59], -v[54:55], v[56:57], 0.5
	v_fmac_f64_e32 v[56:57], v[56:57], v[58:59]
	v_fmac_f64_e32 v[54:55], v[54:55], v[58:59]
	s_delay_alu instid0(VALU_DEP_2) | instskip(NEXT) | instid1(VALU_DEP_1)
	v_fma_f64 v[58:59], -v[56:57], v[56:57], v[14:15]
	v_fmac_f64_e32 v[56:57], v[58:59], v[54:55]
	s_delay_alu instid0(VALU_DEP_1) | instskip(SKIP_1) | instid1(VALU_DEP_1)
	v_dual_cndmask_b32 v15, v57, v15, s6 :: v_dual_cndmask_b32 v14, v56, v14, s6
	s_or_b32 s6, s13, s33
	v_ldexp_f64 v[14:15], v[14:15], v60
	s_delay_alu instid0(VALU_DEP_1) | instskip(NEXT) | instid1(VALU_DEP_1)
	v_cndmask_b32_e64 v15, v15, 0x7ff80000, s5
	v_cndmask_b32_e64 v55, v15, 0x7ff00000, s6
	s_or_b32 s6, s6, s5
	s_delay_alu instid0(VALU_DEP_3) | instid1(SALU_CYCLE_1)
	v_cndmask_b32_e64 v54, v14, 0, s6
	s_delay_alu instid0(VALU_DEP_1) | instskip(NEXT) | instid1(VALU_DEP_1)
	v_frexp_mant_f64_e32 v[14:15], v[54:55]
	v_cmp_gt_f64_e64 s6, s[22:23], v[14:15]
	s_delay_alu instid0(VALU_DEP_1) | instskip(NEXT) | instid1(VALU_DEP_1)
	v_cndmask_b32_e64 v56, 0, 1, s6
	v_ldexp_f64 v[14:15], v[14:15], v56
	s_delay_alu instid0(VALU_DEP_1) | instskip(SKIP_1) | instid1(VALU_DEP_2)
	v_add_f64_e32 v[56:57], 1.0, v[14:15]
	v_add_f64_e32 v[62:63], -1.0, v[14:15]
	v_rcp_f64_e32 v[58:59], v[56:57]
	v_add_f64_e32 v[64:65], -1.0, v[56:57]
	s_delay_alu instid0(VALU_DEP_1) | instskip(NEXT) | instid1(TRANS32_DEP_1)
	v_add_f64_e64 v[14:15], v[14:15], -v[64:65]
	v_fma_f64 v[60:61], -v[56:57], v[58:59], 1.0
	s_delay_alu instid0(VALU_DEP_1) | instskip(NEXT) | instid1(VALU_DEP_1)
	v_fmac_f64_e32 v[58:59], v[60:61], v[58:59]
	v_fma_f64 v[60:61], -v[56:57], v[58:59], 1.0
	s_delay_alu instid0(VALU_DEP_1) | instskip(NEXT) | instid1(VALU_DEP_1)
	v_fmac_f64_e32 v[58:59], v[60:61], v[58:59]
	v_mul_f64_e32 v[60:61], v[62:63], v[58:59]
	s_delay_alu instid0(VALU_DEP_1) | instskip(NEXT) | instid1(VALU_DEP_1)
	v_mul_f64_e32 v[66:67], v[56:57], v[60:61]
	v_fma_f64 v[56:57], v[60:61], v[56:57], -v[66:67]
	s_delay_alu instid0(VALU_DEP_1) | instskip(NEXT) | instid1(VALU_DEP_1)
	v_fmac_f64_e32 v[56:57], v[60:61], v[14:15]
	v_add_f64_e32 v[14:15], v[66:67], v[56:57]
	s_delay_alu instid0(VALU_DEP_1) | instskip(SKIP_1) | instid1(VALU_DEP_2)
	v_add_f64_e64 v[64:65], v[62:63], -v[14:15]
	v_add_f64_e64 v[66:67], v[14:15], -v[66:67]
	;; [unrolled: 1-line block ×3, first 2 shown]
	s_delay_alu instid0(VALU_DEP_2) | instskip(SKIP_1) | instid1(VALU_DEP_3)
	v_add_f64_e64 v[56:57], v[66:67], -v[56:57]
	v_frexp_exp_i32_f64_e32 v66, v[54:55]
	v_add_f64_e64 v[14:15], v[62:63], -v[14:15]
	s_delay_alu instid0(VALU_DEP_1) | instskip(NEXT) | instid1(VALU_DEP_1)
	v_add_f64_e32 v[14:15], v[56:57], v[14:15]
	v_add_f64_e32 v[14:15], v[64:65], v[14:15]
	s_delay_alu instid0(VALU_DEP_1) | instskip(NEXT) | instid1(VALU_DEP_1)
	v_mul_f64_e32 v[14:15], v[58:59], v[14:15]
	v_add_f64_e32 v[56:57], v[60:61], v[14:15]
	s_delay_alu instid0(VALU_DEP_1) | instskip(NEXT) | instid1(VALU_DEP_1)
	v_mul_f64_e32 v[58:59], v[56:57], v[56:57]
	v_fmamk_f64 v[62:63], v[58:59], 0x3fc3ab76bf559e2b, v[24:25]
	v_mul_f64_e32 v[64:65], v[56:57], v[58:59]
	s_delay_alu instid0(VALU_DEP_2) | instskip(NEXT) | instid1(VALU_DEP_1)
	v_fmaak_f64 v[62:63], v[58:59], v[62:63], 0x3fc7474dd7f4df2e
	v_fmaak_f64 v[62:63], v[58:59], v[62:63], 0x3fcc71c016291751
	s_delay_alu instid0(VALU_DEP_1) | instskip(NEXT) | instid1(VALU_DEP_1)
	v_fmaak_f64 v[62:63], v[58:59], v[62:63], 0x3fd249249b27acf1
	v_fmaak_f64 v[62:63], v[58:59], v[62:63], 0x3fd99999998ef7b6
	s_delay_alu instid0(VALU_DEP_1) | instskip(SKIP_2) | instid1(VALU_DEP_3)
	v_fmaak_f64 v[58:59], v[58:59], v[62:63], 0x3fe5555555555780
	v_ldexp_f64 v[62:63], v[56:57], 1
	v_add_f64_e64 v[56:57], v[56:57], -v[60:61]
	v_mul_f64_e32 v[58:59], v[64:65], v[58:59]
	v_subrev_co_ci_u32_e64 v64, null, 0, v66, s6
	v_cmp_class_f64_e64 s6, v[54:55], 0x204
	s_delay_alu instid0(VALU_DEP_2) | instskip(SKIP_2) | instid1(VALU_DEP_3)
	v_cvt_f64_i32_e32 v[64:65], v64
	v_add_f64_e64 v[14:15], v[14:15], -v[56:57]
	v_add_f64_e32 v[60:61], v[62:63], v[58:59]
	v_mul_f64_e32 v[66:67], 0x3fe62e42fefa39ef, v[64:65]
	s_delay_alu instid0(VALU_DEP_3) | instskip(NEXT) | instid1(VALU_DEP_3)
	v_ldexp_f64 v[14:15], v[14:15], 1
	v_add_f64_e64 v[56:57], v[60:61], -v[62:63]
	s_delay_alu instid0(VALU_DEP_3) | instskip(NEXT) | instid1(VALU_DEP_2)
	v_fma_f64 v[62:63], v[64:65], s[24:25], -v[66:67]
	v_add_f64_e64 v[56:57], v[58:59], -v[56:57]
	s_delay_alu instid0(VALU_DEP_2) | instskip(NEXT) | instid1(VALU_DEP_2)
	v_fmac_f64_e32 v[62:63], 0x3c7abc9e3b39803f, v[64:65]
	v_add_f64_e32 v[14:15], v[14:15], v[56:57]
	s_delay_alu instid0(VALU_DEP_2) | instskip(NEXT) | instid1(VALU_DEP_2)
	v_add_f64_e32 v[56:57], v[66:67], v[62:63]
	v_add_f64_e32 v[58:59], v[60:61], v[14:15]
	s_delay_alu instid0(VALU_DEP_2) | instskip(NEXT) | instid1(VALU_DEP_2)
	v_add_f64_e64 v[66:67], v[56:57], -v[66:67]
	v_add_f64_e32 v[64:65], v[56:57], v[58:59]
	v_add_f64_e64 v[60:61], v[58:59], -v[60:61]
	s_delay_alu instid0(VALU_DEP_3) | instskip(NEXT) | instid1(VALU_DEP_3)
	v_add_f64_e64 v[62:63], v[62:63], -v[66:67]
	v_add_f64_e64 v[68:69], v[64:65], -v[56:57]
	s_delay_alu instid0(VALU_DEP_3) | instskip(NEXT) | instid1(VALU_DEP_2)
	v_add_f64_e64 v[14:15], v[14:15], -v[60:61]
	v_add_f64_e64 v[70:71], v[64:65], -v[68:69]
	;; [unrolled: 1-line block ×3, first 2 shown]
	s_delay_alu instid0(VALU_DEP_3) | instskip(NEXT) | instid1(VALU_DEP_3)
	v_add_f64_e32 v[60:61], v[62:63], v[14:15]
	v_add_f64_e64 v[56:57], v[56:57], -v[70:71]
	s_delay_alu instid0(VALU_DEP_1) | instskip(NEXT) | instid1(VALU_DEP_3)
	v_add_f64_e32 v[56:57], v[58:59], v[56:57]
	v_add_f64_e64 v[58:59], v[60:61], -v[62:63]
	s_delay_alu instid0(VALU_DEP_2) | instskip(NEXT) | instid1(VALU_DEP_2)
	v_add_f64_e32 v[56:57], v[60:61], v[56:57]
	v_add_f64_e64 v[60:61], v[60:61], -v[58:59]
	v_add_f64_e64 v[14:15], v[14:15], -v[58:59]
	s_delay_alu instid0(VALU_DEP_3) | instskip(NEXT) | instid1(VALU_DEP_3)
	v_add_f64_e32 v[66:67], v[64:65], v[56:57]
	v_add_f64_e64 v[58:59], v[62:63], -v[60:61]
	s_delay_alu instid0(VALU_DEP_2) | instskip(NEXT) | instid1(VALU_DEP_2)
	v_add_f64_e64 v[60:61], v[66:67], -v[64:65]
	v_add_f64_e32 v[14:15], v[14:15], v[58:59]
	s_delay_alu instid0(VALU_DEP_2) | instskip(NEXT) | instid1(VALU_DEP_1)
	v_add_f64_e64 v[56:57], v[56:57], -v[60:61]
	v_add_f64_e32 v[14:15], v[14:15], v[56:57]
	s_delay_alu instid0(VALU_DEP_1) | instskip(NEXT) | instid1(VALU_DEP_1)
	v_add_f64_e32 v[14:15], v[66:67], v[14:15]
	v_dual_cndmask_b32 v14, v14, v54, s6 :: v_dual_cndmask_b32 v15, v15, v55, s6
	v_cmp_ngt_f64_e64 s6, 0, v[54:55]
	s_delay_alu instid0(VALU_DEP_1) | instskip(SKIP_1) | instid1(VALU_DEP_1)
	v_cndmask_b32_e64 v15, 0x7ff80000, v15, s6
	v_cmp_nge_f64_e64 s6, 0, v[54:55]
	v_cndmask_b32_e64 v14, 0, v14, s6
	v_cmp_neq_f64_e64 s6, 0, v[54:55]
	s_delay_alu instid0(VALU_DEP_1)
	v_cndmask_b32_e64 v15, 0xfff00000, v15, s6
.LBB209_14:                             ;   in Loop: Header=BB209_4 Depth=1
	s_and_not1_saveexec_b32 s9, s7
	s_cbranch_execz .LBB209_18
; %bb.15:                               ;   in Loop: Header=BB209_4 Depth=1
	s_delay_alu instid0(VALU_DEP_1) | instskip(SKIP_1) | instid1(VALU_DEP_1)
	v_add_f64_e32 v[54:55], 2.0, v[14:15]
	s_mov_b32 s10, exec_lo
	v_mul_f64_e32 v[54:55], v[14:15], v[54:55]
	s_delay_alu instid0(VALU_DEP_1) | instskip(NEXT) | instid1(VALU_DEP_1)
	v_fmac_f64_e32 v[54:55], v[16:17], v[16:17]
	v_cmpx_neq_f64_e32 0, v[54:55]
	s_cbranch_execz .LBB209_17
; %bb.16:                               ;   in Loop: Header=BB209_4 Depth=1
	v_add_f64_e32 v[14:15], 1.0, v[54:55]
	v_cmp_neq_f64_e64 s7, 0x7ff00000, v[54:55]
	v_cmp_ngt_f64_e64 s8, -1.0, v[54:55]
	s_delay_alu instid0(VALU_DEP_3) | instskip(SKIP_2) | instid1(VALU_DEP_3)
	v_frexp_mant_f64_e32 v[56:57], v[14:15]
	v_add_f64_e32 v[58:59], -1.0, v[14:15]
	v_frexp_exp_i32_f64_e32 v60, v[14:15]
	v_cmp_gt_f64_e64 s6, s[22:23], v[56:57]
	s_delay_alu instid0(VALU_DEP_3) | instskip(SKIP_1) | instid1(VALU_DEP_3)
	v_add_f64_e64 v[56:57], v[58:59], -v[14:15]
	v_add_f64_e64 v[58:59], v[54:55], -v[58:59]
	v_subrev_co_ci_u32_e64 v78, null, 0, v60, s6
	v_cmp_nge_f64_e64 s6, -1.0, v[54:55]
	s_delay_alu instid0(VALU_DEP_2) | instskip(NEXT) | instid1(VALU_DEP_1)
	v_dual_add_f64 v[56:57], 1.0, v[56:57] :: v_dual_sub_nc_u32 v62, 0, v78
	v_ldexp_f64 v[14:15], v[14:15], v62
	s_and_b32 s6, s6, s7
	s_delay_alu instid0(VALU_DEP_2) | instskip(NEXT) | instid1(VALU_DEP_2)
	v_add_f64_e32 v[56:57], v[58:59], v[56:57]
	v_add_f64_e32 v[60:61], 1.0, v[14:15]
	v_add_f64_e32 v[66:67], -1.0, v[14:15]
	s_delay_alu instid0(VALU_DEP_3) | instskip(NEXT) | instid1(VALU_DEP_3)
	v_ldexp_f64 v[56:57], v[56:57], v62
	v_add_f64_e32 v[58:59], -1.0, v[60:61]
	s_delay_alu instid0(VALU_DEP_3) | instskip(NEXT) | instid1(VALU_DEP_2)
	v_add_f64_e32 v[68:69], 1.0, v[66:67]
	v_add_f64_e64 v[58:59], v[14:15], -v[58:59]
	s_delay_alu instid0(VALU_DEP_2) | instskip(NEXT) | instid1(VALU_DEP_2)
	v_add_f64_e64 v[14:15], v[14:15], -v[68:69]
	v_add_f64_e32 v[58:59], v[56:57], v[58:59]
	s_delay_alu instid0(VALU_DEP_2) | instskip(NEXT) | instid1(VALU_DEP_2)
	v_add_f64_e32 v[14:15], v[56:57], v[14:15]
	v_add_f64_e32 v[62:63], v[60:61], v[58:59]
	s_delay_alu instid0(VALU_DEP_2) | instskip(NEXT) | instid1(VALU_DEP_2)
	v_add_f64_e32 v[68:69], v[66:67], v[14:15]
	v_rcp_f64_e32 v[64:65], v[62:63]
	v_add_f64_e64 v[60:61], v[62:63], -v[60:61]
	s_delay_alu instid0(VALU_DEP_2) | instskip(NEXT) | instid1(VALU_DEP_2)
	v_add_f64_e64 v[66:67], v[68:69], -v[66:67]
	v_add_f64_e64 v[58:59], v[58:59], -v[60:61]
	s_delay_alu instid0(VALU_DEP_2) | instskip(NEXT) | instid1(TRANS32_DEP_1)
	v_add_f64_e64 v[14:15], v[14:15], -v[66:67]
	v_fma_f64 v[70:71], -v[62:63], v[64:65], 1.0
	s_delay_alu instid0(VALU_DEP_1) | instskip(NEXT) | instid1(VALU_DEP_1)
	v_fmac_f64_e32 v[64:65], v[70:71], v[64:65]
	v_fma_f64 v[56:57], -v[62:63], v[64:65], 1.0
	s_delay_alu instid0(VALU_DEP_1) | instskip(NEXT) | instid1(VALU_DEP_1)
	v_fmac_f64_e32 v[64:65], v[56:57], v[64:65]
	v_mul_f64_e32 v[56:57], v[68:69], v[64:65]
	s_delay_alu instid0(VALU_DEP_1) | instskip(NEXT) | instid1(VALU_DEP_1)
	v_mul_f64_e32 v[70:71], v[62:63], v[56:57]
	v_fma_f64 v[60:61], v[56:57], v[62:63], -v[70:71]
	s_delay_alu instid0(VALU_DEP_1) | instskip(NEXT) | instid1(VALU_DEP_1)
	v_fmac_f64_e32 v[60:61], v[56:57], v[58:59]
	v_add_f64_e32 v[72:73], v[70:71], v[60:61]
	s_delay_alu instid0(VALU_DEP_1) | instskip(SKIP_1) | instid1(VALU_DEP_2)
	v_add_f64_e64 v[76:77], v[68:69], -v[72:73]
	v_add_f64_e64 v[66:67], v[72:73], -v[70:71]
	;; [unrolled: 1-line block ×3, first 2 shown]
	s_delay_alu instid0(VALU_DEP_2) | instskip(NEXT) | instid1(VALU_DEP_2)
	v_add_f64_e64 v[60:61], v[66:67], -v[60:61]
	v_add_f64_e64 v[68:69], v[68:69], -v[72:73]
	s_delay_alu instid0(VALU_DEP_1) | instskip(NEXT) | instid1(VALU_DEP_1)
	v_add_f64_e32 v[14:15], v[14:15], v[68:69]
	v_add_f64_e32 v[14:15], v[60:61], v[14:15]
	s_delay_alu instid0(VALU_DEP_1) | instskip(NEXT) | instid1(VALU_DEP_1)
	v_add_f64_e32 v[60:61], v[76:77], v[14:15]
	v_mul_f64_e32 v[66:67], v[64:65], v[60:61]
	v_add_f64_e64 v[72:73], v[76:77], -v[60:61]
	s_delay_alu instid0(VALU_DEP_2) | instskip(NEXT) | instid1(VALU_DEP_2)
	v_mul_f64_e32 v[68:69], v[62:63], v[66:67]
	v_add_f64_e32 v[14:15], v[14:15], v[72:73]
	s_delay_alu instid0(VALU_DEP_2) | instskip(NEXT) | instid1(VALU_DEP_1)
	v_fma_f64 v[62:63], v[66:67], v[62:63], -v[68:69]
	v_fmac_f64_e32 v[62:63], v[66:67], v[58:59]
	s_delay_alu instid0(VALU_DEP_1) | instskip(NEXT) | instid1(VALU_DEP_1)
	v_add_f64_e32 v[58:59], v[68:69], v[62:63]
	v_add_f64_e64 v[70:71], v[60:61], -v[58:59]
	v_add_f64_e64 v[68:69], v[58:59], -v[68:69]
	s_delay_alu instid0(VALU_DEP_2) | instskip(NEXT) | instid1(VALU_DEP_1)
	v_add_f64_e64 v[60:61], v[60:61], -v[70:71]
	v_add_f64_e64 v[58:59], v[60:61], -v[58:59]
	s_delay_alu instid0(VALU_DEP_3) | instskip(NEXT) | instid1(VALU_DEP_2)
	v_add_f64_e64 v[60:61], v[68:69], -v[62:63]
	v_add_f64_e32 v[14:15], v[14:15], v[58:59]
	v_add_f64_e32 v[58:59], v[56:57], v[66:67]
	s_delay_alu instid0(VALU_DEP_2) | instskip(NEXT) | instid1(VALU_DEP_2)
	v_add_f64_e32 v[14:15], v[60:61], v[14:15]
	v_add_f64_e64 v[56:57], v[58:59], -v[56:57]
	s_delay_alu instid0(VALU_DEP_2) | instskip(NEXT) | instid1(VALU_DEP_2)
	v_add_f64_e32 v[14:15], v[70:71], v[14:15]
	v_add_f64_e64 v[56:57], v[66:67], -v[56:57]
	s_delay_alu instid0(VALU_DEP_2) | instskip(NEXT) | instid1(VALU_DEP_1)
	v_mul_f64_e32 v[14:15], v[64:65], v[14:15]
	v_add_f64_e32 v[14:15], v[56:57], v[14:15]
	s_delay_alu instid0(VALU_DEP_1) | instskip(NEXT) | instid1(VALU_DEP_1)
	v_add_f64_e32 v[56:57], v[58:59], v[14:15]
	v_mul_f64_e32 v[60:61], v[56:57], v[56:57]
	s_delay_alu instid0(VALU_DEP_1) | instskip(SKIP_1) | instid1(VALU_DEP_2)
	v_fmamk_f64 v[62:63], v[60:61], 0x3fc3ab76bf559e2b, v[24:25]
	v_mul_f64_e32 v[64:65], v[56:57], v[60:61]
	v_fmaak_f64 v[62:63], v[60:61], v[62:63], 0x3fc7474dd7f4df2e
	s_delay_alu instid0(VALU_DEP_1) | instskip(NEXT) | instid1(VALU_DEP_1)
	v_fmaak_f64 v[62:63], v[60:61], v[62:63], 0x3fcc71c016291751
	v_fmaak_f64 v[62:63], v[60:61], v[62:63], 0x3fd249249b27acf1
	s_delay_alu instid0(VALU_DEP_1) | instskip(NEXT) | instid1(VALU_DEP_1)
	v_fmaak_f64 v[62:63], v[60:61], v[62:63], 0x3fd99999998ef7b6
	v_fmaak_f64 v[60:61], v[60:61], v[62:63], 0x3fe5555555555780
	v_ldexp_f64 v[62:63], v[56:57], 1
	v_add_f64_e64 v[56:57], v[56:57], -v[58:59]
	s_delay_alu instid0(VALU_DEP_3) | instskip(SKIP_1) | instid1(VALU_DEP_3)
	v_mul_f64_e32 v[60:61], v[64:65], v[60:61]
	v_cvt_f64_i32_e32 v[64:65], v78
	v_add_f64_e64 v[14:15], v[14:15], -v[56:57]
	s_delay_alu instid0(VALU_DEP_3) | instskip(NEXT) | instid1(VALU_DEP_3)
	v_add_f64_e32 v[58:59], v[62:63], v[60:61]
	v_mul_f64_e32 v[66:67], 0x3fe62e42fefa39ef, v[64:65]
	s_delay_alu instid0(VALU_DEP_3) | instskip(NEXT) | instid1(VALU_DEP_3)
	v_ldexp_f64 v[14:15], v[14:15], 1
	v_add_f64_e64 v[56:57], v[58:59], -v[62:63]
	s_delay_alu instid0(VALU_DEP_3) | instskip(NEXT) | instid1(VALU_DEP_2)
	v_fma_f64 v[62:63], v[64:65], s[24:25], -v[66:67]
	v_add_f64_e64 v[56:57], v[60:61], -v[56:57]
	s_delay_alu instid0(VALU_DEP_2) | instskip(NEXT) | instid1(VALU_DEP_2)
	v_fmac_f64_e32 v[62:63], 0x3c7abc9e3b39803f, v[64:65]
	v_add_f64_e32 v[14:15], v[14:15], v[56:57]
	s_delay_alu instid0(VALU_DEP_2) | instskip(NEXT) | instid1(VALU_DEP_2)
	v_add_f64_e32 v[56:57], v[66:67], v[62:63]
	v_add_f64_e32 v[60:61], v[58:59], v[14:15]
	s_delay_alu instid0(VALU_DEP_2) | instskip(NEXT) | instid1(VALU_DEP_2)
	v_add_f64_e64 v[66:67], v[56:57], -v[66:67]
	v_add_f64_e32 v[64:65], v[56:57], v[60:61]
	v_add_f64_e64 v[58:59], v[60:61], -v[58:59]
	s_delay_alu instid0(VALU_DEP_3) | instskip(NEXT) | instid1(VALU_DEP_3)
	v_add_f64_e64 v[62:63], v[62:63], -v[66:67]
	v_add_f64_e64 v[68:69], v[64:65], -v[56:57]
	s_delay_alu instid0(VALU_DEP_3) | instskip(NEXT) | instid1(VALU_DEP_2)
	v_add_f64_e64 v[14:15], v[14:15], -v[58:59]
	v_add_f64_e64 v[70:71], v[64:65], -v[68:69]
	;; [unrolled: 1-line block ×3, first 2 shown]
	s_delay_alu instid0(VALU_DEP_3) | instskip(NEXT) | instid1(VALU_DEP_3)
	v_add_f64_e32 v[60:61], v[62:63], v[14:15]
	v_add_f64_e64 v[56:57], v[56:57], -v[70:71]
	s_delay_alu instid0(VALU_DEP_1) | instskip(NEXT) | instid1(VALU_DEP_3)
	v_add_f64_e32 v[56:57], v[58:59], v[56:57]
	v_add_f64_e64 v[58:59], v[60:61], -v[62:63]
	s_delay_alu instid0(VALU_DEP_2) | instskip(NEXT) | instid1(VALU_DEP_2)
	v_add_f64_e32 v[56:57], v[60:61], v[56:57]
	v_add_f64_e64 v[60:61], v[60:61], -v[58:59]
	v_add_f64_e64 v[14:15], v[14:15], -v[58:59]
	s_delay_alu instid0(VALU_DEP_3) | instskip(NEXT) | instid1(VALU_DEP_3)
	v_add_f64_e32 v[66:67], v[64:65], v[56:57]
	v_add_f64_e64 v[60:61], v[62:63], -v[60:61]
	s_delay_alu instid0(VALU_DEP_2) | instskip(NEXT) | instid1(VALU_DEP_2)
	v_add_f64_e64 v[58:59], v[66:67], -v[64:65]
	v_add_f64_e32 v[14:15], v[14:15], v[60:61]
	s_delay_alu instid0(VALU_DEP_2) | instskip(NEXT) | instid1(VALU_DEP_1)
	v_add_f64_e64 v[56:57], v[56:57], -v[58:59]
	v_add_f64_e32 v[14:15], v[14:15], v[56:57]
	s_delay_alu instid0(VALU_DEP_1) | instskip(NEXT) | instid1(VALU_DEP_1)
	v_add_f64_e32 v[14:15], v[66:67], v[14:15]
	v_mul_f64_e32 v[14:15], 0.5, v[14:15]
	s_delay_alu instid0(VALU_DEP_1) | instskip(SKIP_1) | instid1(VALU_DEP_3)
	v_cndmask_b32_e64 v14, 0, v14, s6
	v_cmp_neq_f64_e64 s6, -1.0, v[54:55]
	v_cndmask_b32_e64 v15, 0x7ff00000, v15, s7
	s_delay_alu instid0(VALU_DEP_1) | instskip(NEXT) | instid1(VALU_DEP_1)
	v_cndmask_b32_e64 v15, 0x7ff80000, v15, s8
	v_cndmask_b32_e64 v15, 0xfff00000, v15, s6
.LBB209_17:                             ;   in Loop: Header=BB209_4 Depth=1
	s_or_b32 exec_lo, exec_lo, s10
.LBB209_18:                             ;   in Loop: Header=BB209_4 Depth=1
	s_delay_alu instid0(SALU_CYCLE_1)
	s_or_b32 exec_lo, exec_lo, s9
	v_max_num_f64_e64 v[54:55], |v[10:11]|, |v[10:11]|
	v_max_num_f64_e64 v[56:57], |v[12:13]|, |v[12:13]|
	v_cmp_class_f64_e64 s9, v[10:11], 0x204
	v_cmp_class_f64_e64 s38, v[12:13], 0x204
	v_cmp_u_f64_e64 s7, v[10:11], v[12:13]
	s_delay_alu instid0(VALU_DEP_4) | instskip(SKIP_1) | instid1(SALU_CYCLE_1)
	v_max_num_f64_e32 v[54:55], v[54:55], v[56:57]
	s_or_b32 s9, s38, s9
	s_or_b32 s7, s9, s7
	s_delay_alu instid0(VALU_DEP_1) | instskip(NEXT) | instid1(VALU_DEP_1)
	v_frexp_exp_i32_f64_e32 v64, v[54:55]
	v_sub_nc_u32_e32 v58, 0, v64
	s_delay_alu instid0(VALU_DEP_1) | instskip(NEXT) | instid1(VALU_DEP_1)
	v_ldexp_f64 v[54:55], |v[12:13]|, v58
	v_mul_f64_e32 v[54:55], v[54:55], v[54:55]
	v_ldexp_f64 v[58:59], |v[10:11]|, v58
	s_delay_alu instid0(VALU_DEP_1) | instskip(NEXT) | instid1(VALU_DEP_1)
	v_fmac_f64_e32 v[54:55], v[58:59], v[58:59]
	v_rsq_f64_e32 v[58:59], v[54:55]
	v_cmp_eq_f64_e64 s6, 0, v[54:55]
	s_delay_alu instid0(TRANS32_DEP_1) | instskip(SKIP_1) | instid1(VALU_DEP_1)
	v_mul_f64_e32 v[60:61], v[54:55], v[58:59]
	v_mul_f64_e32 v[58:59], 0.5, v[58:59]
	v_fma_f64 v[62:63], -v[58:59], v[60:61], 0.5
	s_delay_alu instid0(VALU_DEP_1) | instskip(SKIP_1) | instid1(VALU_DEP_2)
	v_fmac_f64_e32 v[60:61], v[60:61], v[62:63]
	v_fmac_f64_e32 v[58:59], v[58:59], v[62:63]
	v_fma_f64 v[62:63], -v[60:61], v[60:61], v[54:55]
	s_delay_alu instid0(VALU_DEP_1) | instskip(NEXT) | instid1(VALU_DEP_1)
	v_fmac_f64_e32 v[60:61], v[62:63], v[58:59]
	v_dual_cndmask_b32 v59, v61, v55, s6 :: v_dual_cndmask_b32 v58, v60, v54, s6
	v_add_f64_e32 v[54:55], 1.0, v[10:11]
	s_delay_alu instid0(VALU_DEP_2) | instskip(NEXT) | instid1(VALU_DEP_2)
	v_ldexp_f64 v[60:61], v[58:59], v64
	v_max_num_f64_e64 v[58:59], |v[54:55]|, v[56:57]
	v_cmp_u_f64_e64 s6, v[54:55], v[12:13]
	v_cmp_class_f64_e64 s39, v[54:55], 0x204
	s_delay_alu instid0(VALU_DEP_4) | instskip(SKIP_1) | instid1(SALU_CYCLE_1)
	v_cmp_ngt_f64_e64 s8, 0.5, v[60:61]
	s_or_b32 s7, s7, s8
	s_and_saveexec_b32 s8, s7
	s_delay_alu instid0(SALU_CYCLE_1)
	s_xor_b32 s8, exec_lo, s8
	s_cbranch_execz .LBB209_20
; %bb.19:                               ;   in Loop: Header=BB209_4 Depth=1
	v_frexp_exp_i32_f64_e32 v66, v[58:59]
	s_delay_alu instid0(VALU_DEP_1) | instskip(NEXT) | instid1(VALU_DEP_1)
	v_sub_nc_u32_e32 v60, 0, v66
	v_ldexp_f64 v[10:11], |v[12:13]|, v60
	v_ldexp_f64 v[60:61], |v[54:55]|, v60
	s_delay_alu instid0(VALU_DEP_2) | instskip(NEXT) | instid1(VALU_DEP_1)
	v_mul_f64_e32 v[10:11], v[10:11], v[10:11]
	v_fmac_f64_e32 v[10:11], v[60:61], v[60:61]
	s_delay_alu instid0(VALU_DEP_1) | instskip(SKIP_1) | instid1(TRANS32_DEP_1)
	v_rsq_f64_e32 v[60:61], v[10:11]
	v_cmp_eq_f64_e64 s7, 0, v[10:11]
	v_mul_f64_e32 v[62:63], v[10:11], v[60:61]
	v_mul_f64_e32 v[60:61], 0.5, v[60:61]
	s_delay_alu instid0(VALU_DEP_1) | instskip(NEXT) | instid1(VALU_DEP_1)
	v_fma_f64 v[64:65], -v[60:61], v[62:63], 0.5
	v_fmac_f64_e32 v[62:63], v[62:63], v[64:65]
	v_fmac_f64_e32 v[60:61], v[60:61], v[64:65]
	s_delay_alu instid0(VALU_DEP_2) | instskip(NEXT) | instid1(VALU_DEP_1)
	v_fma_f64 v[64:65], -v[62:63], v[62:63], v[10:11]
	v_fmac_f64_e32 v[62:63], v[64:65], v[60:61]
	s_delay_alu instid0(VALU_DEP_1) | instskip(SKIP_1) | instid1(VALU_DEP_1)
	v_dual_cndmask_b32 v11, v63, v11, s7 :: v_dual_cndmask_b32 v10, v62, v10, s7
	s_or_b32 s7, s38, s39
	v_ldexp_f64 v[10:11], v[10:11], v66
	s_delay_alu instid0(VALU_DEP_1) | instskip(NEXT) | instid1(VALU_DEP_1)
	v_cndmask_b32_e64 v11, v11, 0x7ff80000, s6
	v_cndmask_b32_e64 v61, v11, 0x7ff00000, s7
	s_or_b32 s7, s7, s6
	s_delay_alu instid0(VALU_DEP_3) | instid1(SALU_CYCLE_1)
	v_cndmask_b32_e64 v60, v10, 0, s7
	s_delay_alu instid0(VALU_DEP_1) | instskip(NEXT) | instid1(VALU_DEP_1)
	v_frexp_mant_f64_e32 v[10:11], v[60:61]
	v_cmp_gt_f64_e64 s7, s[22:23], v[10:11]
	s_delay_alu instid0(VALU_DEP_1) | instskip(NEXT) | instid1(VALU_DEP_1)
	v_cndmask_b32_e64 v62, 0, 1, s7
	v_ldexp_f64 v[10:11], v[10:11], v62
	s_delay_alu instid0(VALU_DEP_1) | instskip(SKIP_1) | instid1(VALU_DEP_2)
	v_add_f64_e32 v[62:63], 1.0, v[10:11]
	v_add_f64_e32 v[68:69], -1.0, v[10:11]
	v_rcp_f64_e32 v[64:65], v[62:63]
	v_add_f64_e32 v[70:71], -1.0, v[62:63]
	s_delay_alu instid0(VALU_DEP_1) | instskip(NEXT) | instid1(TRANS32_DEP_1)
	v_add_f64_e64 v[10:11], v[10:11], -v[70:71]
	v_fma_f64 v[66:67], -v[62:63], v[64:65], 1.0
	s_delay_alu instid0(VALU_DEP_1) | instskip(NEXT) | instid1(VALU_DEP_1)
	v_fmac_f64_e32 v[64:65], v[66:67], v[64:65]
	v_fma_f64 v[66:67], -v[62:63], v[64:65], 1.0
	s_delay_alu instid0(VALU_DEP_1) | instskip(NEXT) | instid1(VALU_DEP_1)
	v_fmac_f64_e32 v[64:65], v[66:67], v[64:65]
	v_mul_f64_e32 v[66:67], v[68:69], v[64:65]
	s_delay_alu instid0(VALU_DEP_1) | instskip(NEXT) | instid1(VALU_DEP_1)
	v_mul_f64_e32 v[72:73], v[62:63], v[66:67]
	v_fma_f64 v[62:63], v[66:67], v[62:63], -v[72:73]
	s_delay_alu instid0(VALU_DEP_1) | instskip(NEXT) | instid1(VALU_DEP_1)
	v_fmac_f64_e32 v[62:63], v[66:67], v[10:11]
	v_add_f64_e32 v[10:11], v[72:73], v[62:63]
	s_delay_alu instid0(VALU_DEP_1) | instskip(SKIP_1) | instid1(VALU_DEP_2)
	v_add_f64_e64 v[70:71], v[68:69], -v[10:11]
	v_add_f64_e64 v[72:73], v[10:11], -v[72:73]
	;; [unrolled: 1-line block ×3, first 2 shown]
	s_delay_alu instid0(VALU_DEP_2) | instskip(SKIP_1) | instid1(VALU_DEP_3)
	v_add_f64_e64 v[62:63], v[72:73], -v[62:63]
	v_frexp_exp_i32_f64_e32 v72, v[60:61]
	v_add_f64_e64 v[10:11], v[68:69], -v[10:11]
	s_delay_alu instid0(VALU_DEP_1) | instskip(NEXT) | instid1(VALU_DEP_1)
	v_add_f64_e32 v[10:11], v[62:63], v[10:11]
	v_add_f64_e32 v[10:11], v[70:71], v[10:11]
	s_delay_alu instid0(VALU_DEP_1) | instskip(NEXT) | instid1(VALU_DEP_1)
	v_mul_f64_e32 v[10:11], v[64:65], v[10:11]
	v_add_f64_e32 v[62:63], v[66:67], v[10:11]
	s_delay_alu instid0(VALU_DEP_1) | instskip(NEXT) | instid1(VALU_DEP_1)
	v_mul_f64_e32 v[64:65], v[62:63], v[62:63]
	v_fmamk_f64 v[68:69], v[64:65], 0x3fc3ab76bf559e2b, v[24:25]
	v_mul_f64_e32 v[70:71], v[62:63], v[64:65]
	s_delay_alu instid0(VALU_DEP_2) | instskip(NEXT) | instid1(VALU_DEP_1)
	v_fmaak_f64 v[68:69], v[64:65], v[68:69], 0x3fc7474dd7f4df2e
	v_fmaak_f64 v[68:69], v[64:65], v[68:69], 0x3fcc71c016291751
	s_delay_alu instid0(VALU_DEP_1) | instskip(NEXT) | instid1(VALU_DEP_1)
	v_fmaak_f64 v[68:69], v[64:65], v[68:69], 0x3fd249249b27acf1
	v_fmaak_f64 v[68:69], v[64:65], v[68:69], 0x3fd99999998ef7b6
	s_delay_alu instid0(VALU_DEP_1) | instskip(SKIP_2) | instid1(VALU_DEP_3)
	v_fmaak_f64 v[64:65], v[64:65], v[68:69], 0x3fe5555555555780
	v_ldexp_f64 v[68:69], v[62:63], 1
	v_add_f64_e64 v[62:63], v[62:63], -v[66:67]
	v_mul_f64_e32 v[64:65], v[70:71], v[64:65]
	v_subrev_co_ci_u32_e64 v70, null, 0, v72, s7
	v_cmp_class_f64_e64 s7, v[60:61], 0x204
	s_delay_alu instid0(VALU_DEP_2) | instskip(SKIP_2) | instid1(VALU_DEP_3)
	v_cvt_f64_i32_e32 v[70:71], v70
	v_add_f64_e64 v[10:11], v[10:11], -v[62:63]
	v_add_f64_e32 v[66:67], v[68:69], v[64:65]
	v_mul_f64_e32 v[72:73], 0x3fe62e42fefa39ef, v[70:71]
	s_delay_alu instid0(VALU_DEP_3) | instskip(NEXT) | instid1(VALU_DEP_3)
	v_ldexp_f64 v[10:11], v[10:11], 1
	v_add_f64_e64 v[62:63], v[66:67], -v[68:69]
	s_delay_alu instid0(VALU_DEP_3) | instskip(NEXT) | instid1(VALU_DEP_2)
	v_fma_f64 v[68:69], v[70:71], s[24:25], -v[72:73]
	v_add_f64_e64 v[62:63], v[64:65], -v[62:63]
	s_delay_alu instid0(VALU_DEP_2) | instskip(NEXT) | instid1(VALU_DEP_2)
	v_fmac_f64_e32 v[68:69], 0x3c7abc9e3b39803f, v[70:71]
	v_add_f64_e32 v[10:11], v[10:11], v[62:63]
	s_delay_alu instid0(VALU_DEP_2) | instskip(NEXT) | instid1(VALU_DEP_2)
	v_add_f64_e32 v[62:63], v[72:73], v[68:69]
	v_add_f64_e32 v[64:65], v[66:67], v[10:11]
	s_delay_alu instid0(VALU_DEP_2) | instskip(NEXT) | instid1(VALU_DEP_2)
	v_add_f64_e64 v[72:73], v[62:63], -v[72:73]
	v_add_f64_e32 v[70:71], v[62:63], v[64:65]
	v_add_f64_e64 v[66:67], v[64:65], -v[66:67]
	s_delay_alu instid0(VALU_DEP_3) | instskip(NEXT) | instid1(VALU_DEP_3)
	v_add_f64_e64 v[68:69], v[68:69], -v[72:73]
	v_add_f64_e64 v[76:77], v[70:71], -v[62:63]
	s_delay_alu instid0(VALU_DEP_3) | instskip(NEXT) | instid1(VALU_DEP_2)
	v_add_f64_e64 v[10:11], v[10:11], -v[66:67]
	v_add_f64_e64 v[78:79], v[70:71], -v[76:77]
	;; [unrolled: 1-line block ×3, first 2 shown]
	s_delay_alu instid0(VALU_DEP_3) | instskip(NEXT) | instid1(VALU_DEP_3)
	v_add_f64_e32 v[66:67], v[68:69], v[10:11]
	v_add_f64_e64 v[62:63], v[62:63], -v[78:79]
	s_delay_alu instid0(VALU_DEP_1) | instskip(NEXT) | instid1(VALU_DEP_3)
	v_add_f64_e32 v[62:63], v[64:65], v[62:63]
	v_add_f64_e64 v[64:65], v[66:67], -v[68:69]
	s_delay_alu instid0(VALU_DEP_2) | instskip(NEXT) | instid1(VALU_DEP_2)
	v_add_f64_e32 v[62:63], v[66:67], v[62:63]
	v_add_f64_e64 v[66:67], v[66:67], -v[64:65]
	v_add_f64_e64 v[10:11], v[10:11], -v[64:65]
	s_delay_alu instid0(VALU_DEP_3) | instskip(NEXT) | instid1(VALU_DEP_3)
	v_add_f64_e32 v[72:73], v[70:71], v[62:63]
	v_add_f64_e64 v[64:65], v[68:69], -v[66:67]
	s_delay_alu instid0(VALU_DEP_2) | instskip(NEXT) | instid1(VALU_DEP_2)
	v_add_f64_e64 v[66:67], v[72:73], -v[70:71]
	v_add_f64_e32 v[10:11], v[10:11], v[64:65]
	s_delay_alu instid0(VALU_DEP_2) | instskip(NEXT) | instid1(VALU_DEP_1)
	v_add_f64_e64 v[62:63], v[62:63], -v[66:67]
	v_add_f64_e32 v[10:11], v[10:11], v[62:63]
	s_delay_alu instid0(VALU_DEP_1) | instskip(NEXT) | instid1(VALU_DEP_1)
	v_add_f64_e32 v[10:11], v[72:73], v[10:11]
	v_dual_cndmask_b32 v10, v10, v60, s7 :: v_dual_cndmask_b32 v11, v11, v61, s7
	v_cmp_ngt_f64_e64 s7, 0, v[60:61]
	s_delay_alu instid0(VALU_DEP_1) | instskip(SKIP_1) | instid1(VALU_DEP_1)
	v_cndmask_b32_e64 v11, 0x7ff80000, v11, s7
	v_cmp_nge_f64_e64 s7, 0, v[60:61]
	v_cndmask_b32_e64 v10, 0, v10, s7
	v_cmp_neq_f64_e64 s7, 0, v[60:61]
	s_delay_alu instid0(VALU_DEP_1)
	v_cndmask_b32_e64 v11, 0xfff00000, v11, s7
.LBB209_20:                             ;   in Loop: Header=BB209_4 Depth=1
	s_and_not1_saveexec_b32 s10, s8
	s_cbranch_execz .LBB209_24
; %bb.21:                               ;   in Loop: Header=BB209_4 Depth=1
	s_delay_alu instid0(VALU_DEP_1) | instskip(SKIP_1) | instid1(VALU_DEP_1)
	v_add_f64_e32 v[60:61], 2.0, v[10:11]
	s_mov_b32 s11, exec_lo
	v_mul_f64_e32 v[60:61], v[10:11], v[60:61]
	s_delay_alu instid0(VALU_DEP_1) | instskip(NEXT) | instid1(VALU_DEP_1)
	v_fmac_f64_e32 v[60:61], v[12:13], v[12:13]
	v_cmpx_neq_f64_e32 0, v[60:61]
	s_cbranch_execz .LBB209_23
; %bb.22:                               ;   in Loop: Header=BB209_4 Depth=1
	v_add_f64_e32 v[10:11], 1.0, v[60:61]
	v_cmp_neq_f64_e64 s8, 0x7ff00000, v[60:61]
	v_cmp_ngt_f64_e64 s9, -1.0, v[60:61]
	s_delay_alu instid0(VALU_DEP_3) | instskip(SKIP_1) | instid1(VALU_DEP_2)
	v_frexp_mant_f64_e32 v[62:63], v[10:11]
	v_frexp_exp_i32_f64_e32 v66, v[10:11]
	v_cmp_gt_f64_e64 s7, s[22:23], v[62:63]
	s_delay_alu instid0(VALU_DEP_1) | instskip(SKIP_2) | instid1(VALU_DEP_2)
	v_subrev_co_ci_u32_e64 v84, null, 0, v66, s7
	v_add_f64_e32 v[64:65], -1.0, v[10:11]
	v_cmp_nge_f64_e64 s7, -1.0, v[60:61]
	v_dual_add_f64 v[62:63], v[64:65], -v[10:11] :: v_dual_sub_nc_u32 v68, 0, v84
	s_delay_alu instid0(VALU_DEP_1) | instskip(SKIP_2) | instid1(VALU_DEP_3)
	v_ldexp_f64 v[10:11], v[10:11], v68
	s_and_b32 s7, s7, s8
	v_add_f64_e64 v[64:65], v[60:61], -v[64:65]
	v_add_f64_e32 v[62:63], 1.0, v[62:63]
	s_delay_alu instid0(VALU_DEP_3) | instskip(SKIP_1) | instid1(VALU_DEP_3)
	v_add_f64_e32 v[66:67], 1.0, v[10:11]
	v_add_f64_e32 v[72:73], -1.0, v[10:11]
	v_add_f64_e32 v[62:63], v[64:65], v[62:63]
	s_delay_alu instid0(VALU_DEP_3) | instskip(NEXT) | instid1(VALU_DEP_3)
	v_add_f64_e32 v[64:65], -1.0, v[66:67]
	v_add_f64_e32 v[76:77], 1.0, v[72:73]
	s_delay_alu instid0(VALU_DEP_3) | instskip(NEXT) | instid1(VALU_DEP_3)
	v_ldexp_f64 v[62:63], v[62:63], v68
	v_add_f64_e64 v[64:65], v[10:11], -v[64:65]
	s_delay_alu instid0(VALU_DEP_3) | instskip(NEXT) | instid1(VALU_DEP_2)
	v_add_f64_e64 v[10:11], v[10:11], -v[76:77]
	v_add_f64_e32 v[64:65], v[62:63], v[64:65]
	s_delay_alu instid0(VALU_DEP_2) | instskip(NEXT) | instid1(VALU_DEP_2)
	v_add_f64_e32 v[10:11], v[62:63], v[10:11]
	v_add_f64_e32 v[68:69], v[66:67], v[64:65]
	s_delay_alu instid0(VALU_DEP_2) | instskip(NEXT) | instid1(VALU_DEP_2)
	v_add_f64_e32 v[76:77], v[72:73], v[10:11]
	v_rcp_f64_e32 v[70:71], v[68:69]
	v_add_f64_e64 v[66:67], v[68:69], -v[66:67]
	s_delay_alu instid0(VALU_DEP_2) | instskip(NEXT) | instid1(VALU_DEP_2)
	v_add_f64_e64 v[72:73], v[76:77], -v[72:73]
	v_add_f64_e64 v[64:65], v[64:65], -v[66:67]
	s_delay_alu instid0(VALU_DEP_2) | instskip(NEXT) | instid1(TRANS32_DEP_1)
	v_add_f64_e64 v[10:11], v[10:11], -v[72:73]
	v_fma_f64 v[78:79], -v[68:69], v[70:71], 1.0
	s_delay_alu instid0(VALU_DEP_1) | instskip(NEXT) | instid1(VALU_DEP_1)
	v_fmac_f64_e32 v[70:71], v[78:79], v[70:71]
	v_fma_f64 v[62:63], -v[68:69], v[70:71], 1.0
	s_delay_alu instid0(VALU_DEP_1) | instskip(NEXT) | instid1(VALU_DEP_1)
	v_fmac_f64_e32 v[70:71], v[62:63], v[70:71]
	v_mul_f64_e32 v[62:63], v[76:77], v[70:71]
	s_delay_alu instid0(VALU_DEP_1) | instskip(NEXT) | instid1(VALU_DEP_1)
	v_mul_f64_e32 v[78:79], v[68:69], v[62:63]
	v_fma_f64 v[66:67], v[62:63], v[68:69], -v[78:79]
	s_delay_alu instid0(VALU_DEP_1) | instskip(NEXT) | instid1(VALU_DEP_1)
	v_fmac_f64_e32 v[66:67], v[62:63], v[64:65]
	v_add_f64_e32 v[80:81], v[78:79], v[66:67]
	s_delay_alu instid0(VALU_DEP_1) | instskip(SKIP_1) | instid1(VALU_DEP_2)
	v_add_f64_e64 v[82:83], v[76:77], -v[80:81]
	v_add_f64_e64 v[72:73], v[80:81], -v[78:79]
	;; [unrolled: 1-line block ×3, first 2 shown]
	s_delay_alu instid0(VALU_DEP_2) | instskip(NEXT) | instid1(VALU_DEP_2)
	v_add_f64_e64 v[66:67], v[72:73], -v[66:67]
	v_add_f64_e64 v[76:77], v[76:77], -v[80:81]
	s_delay_alu instid0(VALU_DEP_1) | instskip(NEXT) | instid1(VALU_DEP_1)
	v_add_f64_e32 v[10:11], v[10:11], v[76:77]
	v_add_f64_e32 v[10:11], v[66:67], v[10:11]
	s_delay_alu instid0(VALU_DEP_1) | instskip(NEXT) | instid1(VALU_DEP_1)
	v_add_f64_e32 v[66:67], v[82:83], v[10:11]
	v_mul_f64_e32 v[72:73], v[70:71], v[66:67]
	v_add_f64_e64 v[80:81], v[82:83], -v[66:67]
	s_delay_alu instid0(VALU_DEP_2) | instskip(NEXT) | instid1(VALU_DEP_2)
	v_mul_f64_e32 v[76:77], v[68:69], v[72:73]
	v_add_f64_e32 v[10:11], v[10:11], v[80:81]
	s_delay_alu instid0(VALU_DEP_2) | instskip(NEXT) | instid1(VALU_DEP_1)
	v_fma_f64 v[68:69], v[72:73], v[68:69], -v[76:77]
	v_fmac_f64_e32 v[68:69], v[72:73], v[64:65]
	s_delay_alu instid0(VALU_DEP_1) | instskip(NEXT) | instid1(VALU_DEP_1)
	v_add_f64_e32 v[64:65], v[76:77], v[68:69]
	v_add_f64_e64 v[78:79], v[66:67], -v[64:65]
	v_add_f64_e64 v[76:77], v[64:65], -v[76:77]
	s_delay_alu instid0(VALU_DEP_2) | instskip(NEXT) | instid1(VALU_DEP_1)
	v_add_f64_e64 v[66:67], v[66:67], -v[78:79]
	v_add_f64_e64 v[64:65], v[66:67], -v[64:65]
	s_delay_alu instid0(VALU_DEP_3) | instskip(NEXT) | instid1(VALU_DEP_2)
	v_add_f64_e64 v[66:67], v[76:77], -v[68:69]
	v_add_f64_e32 v[10:11], v[10:11], v[64:65]
	v_add_f64_e32 v[64:65], v[62:63], v[72:73]
	s_delay_alu instid0(VALU_DEP_2) | instskip(NEXT) | instid1(VALU_DEP_2)
	v_add_f64_e32 v[10:11], v[66:67], v[10:11]
	v_add_f64_e64 v[62:63], v[64:65], -v[62:63]
	s_delay_alu instid0(VALU_DEP_2) | instskip(NEXT) | instid1(VALU_DEP_2)
	v_add_f64_e32 v[10:11], v[78:79], v[10:11]
	v_add_f64_e64 v[62:63], v[72:73], -v[62:63]
	s_delay_alu instid0(VALU_DEP_2) | instskip(NEXT) | instid1(VALU_DEP_1)
	v_mul_f64_e32 v[10:11], v[70:71], v[10:11]
	v_add_f64_e32 v[10:11], v[62:63], v[10:11]
	s_delay_alu instid0(VALU_DEP_1) | instskip(NEXT) | instid1(VALU_DEP_1)
	v_add_f64_e32 v[62:63], v[64:65], v[10:11]
	v_mul_f64_e32 v[66:67], v[62:63], v[62:63]
	s_delay_alu instid0(VALU_DEP_1) | instskip(SKIP_1) | instid1(VALU_DEP_2)
	v_fmamk_f64 v[68:69], v[66:67], 0x3fc3ab76bf559e2b, v[24:25]
	v_mul_f64_e32 v[70:71], v[62:63], v[66:67]
	v_fmaak_f64 v[68:69], v[66:67], v[68:69], 0x3fc7474dd7f4df2e
	s_delay_alu instid0(VALU_DEP_1) | instskip(NEXT) | instid1(VALU_DEP_1)
	v_fmaak_f64 v[68:69], v[66:67], v[68:69], 0x3fcc71c016291751
	v_fmaak_f64 v[68:69], v[66:67], v[68:69], 0x3fd249249b27acf1
	s_delay_alu instid0(VALU_DEP_1) | instskip(NEXT) | instid1(VALU_DEP_1)
	v_fmaak_f64 v[68:69], v[66:67], v[68:69], 0x3fd99999998ef7b6
	v_fmaak_f64 v[66:67], v[66:67], v[68:69], 0x3fe5555555555780
	v_ldexp_f64 v[68:69], v[62:63], 1
	v_add_f64_e64 v[62:63], v[62:63], -v[64:65]
	s_delay_alu instid0(VALU_DEP_3) | instskip(SKIP_1) | instid1(VALU_DEP_3)
	v_mul_f64_e32 v[66:67], v[70:71], v[66:67]
	v_cvt_f64_i32_e32 v[70:71], v84
	v_add_f64_e64 v[10:11], v[10:11], -v[62:63]
	s_delay_alu instid0(VALU_DEP_3) | instskip(NEXT) | instid1(VALU_DEP_3)
	v_add_f64_e32 v[64:65], v[68:69], v[66:67]
	v_mul_f64_e32 v[72:73], 0x3fe62e42fefa39ef, v[70:71]
	s_delay_alu instid0(VALU_DEP_3) | instskip(NEXT) | instid1(VALU_DEP_3)
	v_ldexp_f64 v[10:11], v[10:11], 1
	v_add_f64_e64 v[62:63], v[64:65], -v[68:69]
	s_delay_alu instid0(VALU_DEP_3) | instskip(NEXT) | instid1(VALU_DEP_2)
	v_fma_f64 v[68:69], v[70:71], s[24:25], -v[72:73]
	v_add_f64_e64 v[62:63], v[66:67], -v[62:63]
	s_delay_alu instid0(VALU_DEP_2) | instskip(NEXT) | instid1(VALU_DEP_2)
	v_fmac_f64_e32 v[68:69], 0x3c7abc9e3b39803f, v[70:71]
	v_add_f64_e32 v[10:11], v[10:11], v[62:63]
	s_delay_alu instid0(VALU_DEP_2) | instskip(NEXT) | instid1(VALU_DEP_2)
	v_add_f64_e32 v[62:63], v[72:73], v[68:69]
	v_add_f64_e32 v[66:67], v[64:65], v[10:11]
	s_delay_alu instid0(VALU_DEP_2) | instskip(NEXT) | instid1(VALU_DEP_2)
	v_add_f64_e64 v[72:73], v[62:63], -v[72:73]
	v_add_f64_e32 v[70:71], v[62:63], v[66:67]
	v_add_f64_e64 v[64:65], v[66:67], -v[64:65]
	s_delay_alu instid0(VALU_DEP_3) | instskip(NEXT) | instid1(VALU_DEP_3)
	v_add_f64_e64 v[68:69], v[68:69], -v[72:73]
	v_add_f64_e64 v[76:77], v[70:71], -v[62:63]
	s_delay_alu instid0(VALU_DEP_3) | instskip(NEXT) | instid1(VALU_DEP_2)
	v_add_f64_e64 v[10:11], v[10:11], -v[64:65]
	v_add_f64_e64 v[78:79], v[70:71], -v[76:77]
	;; [unrolled: 1-line block ×3, first 2 shown]
	s_delay_alu instid0(VALU_DEP_3) | instskip(NEXT) | instid1(VALU_DEP_3)
	v_add_f64_e32 v[66:67], v[68:69], v[10:11]
	v_add_f64_e64 v[62:63], v[62:63], -v[78:79]
	s_delay_alu instid0(VALU_DEP_1) | instskip(NEXT) | instid1(VALU_DEP_3)
	v_add_f64_e32 v[62:63], v[64:65], v[62:63]
	v_add_f64_e64 v[64:65], v[66:67], -v[68:69]
	s_delay_alu instid0(VALU_DEP_2) | instskip(NEXT) | instid1(VALU_DEP_2)
	v_add_f64_e32 v[62:63], v[66:67], v[62:63]
	v_add_f64_e64 v[66:67], v[66:67], -v[64:65]
	v_add_f64_e64 v[10:11], v[10:11], -v[64:65]
	s_delay_alu instid0(VALU_DEP_3) | instskip(NEXT) | instid1(VALU_DEP_3)
	v_add_f64_e32 v[72:73], v[70:71], v[62:63]
	v_add_f64_e64 v[66:67], v[68:69], -v[66:67]
	s_delay_alu instid0(VALU_DEP_2) | instskip(NEXT) | instid1(VALU_DEP_2)
	v_add_f64_e64 v[64:65], v[72:73], -v[70:71]
	v_add_f64_e32 v[10:11], v[10:11], v[66:67]
	s_delay_alu instid0(VALU_DEP_2) | instskip(NEXT) | instid1(VALU_DEP_1)
	v_add_f64_e64 v[62:63], v[62:63], -v[64:65]
	v_add_f64_e32 v[10:11], v[10:11], v[62:63]
	s_delay_alu instid0(VALU_DEP_1) | instskip(NEXT) | instid1(VALU_DEP_1)
	v_add_f64_e32 v[10:11], v[72:73], v[10:11]
	v_mul_f64_e32 v[10:11], 0.5, v[10:11]
	s_delay_alu instid0(VALU_DEP_1) | instskip(SKIP_1) | instid1(VALU_DEP_3)
	v_cndmask_b32_e64 v10, 0, v10, s7
	v_cmp_neq_f64_e64 s7, -1.0, v[60:61]
	v_cndmask_b32_e64 v11, 0x7ff00000, v11, s8
	s_delay_alu instid0(VALU_DEP_1) | instskip(NEXT) | instid1(VALU_DEP_1)
	v_cndmask_b32_e64 v11, 0x7ff80000, v11, s9
	v_cndmask_b32_e64 v11, 0xfff00000, v11, s7
.LBB209_23:                             ;   in Loop: Header=BB209_4 Depth=1
	s_or_b32 exec_lo, exec_lo, s11
.LBB209_24:                             ;   in Loop: Header=BB209_4 Depth=1
	s_delay_alu instid0(SALU_CYCLE_1)
	s_or_b32 exec_lo, exec_lo, s10
	v_max_num_f64_e64 v[60:61], |v[6:7]|, |v[6:7]|
	v_max_num_f64_e64 v[62:63], |v[8:9]|, |v[8:9]|
	v_cmp_class_f64_e64 s10, v[6:7], 0x204
	v_cmp_class_f64_e64 s40, v[8:9], 0x204
	v_cmp_u_f64_e64 s8, v[6:7], v[8:9]
	s_delay_alu instid0(VALU_DEP_4) | instskip(SKIP_1) | instid1(SALU_CYCLE_1)
	v_max_num_f64_e32 v[60:61], v[60:61], v[62:63]
	s_or_b32 s10, s40, s10
	s_or_b32 s8, s10, s8
	s_delay_alu instid0(VALU_DEP_1) | instskip(NEXT) | instid1(VALU_DEP_1)
	v_frexp_exp_i32_f64_e32 v70, v[60:61]
	v_sub_nc_u32_e32 v64, 0, v70
	s_delay_alu instid0(VALU_DEP_1) | instskip(NEXT) | instid1(VALU_DEP_1)
	v_ldexp_f64 v[60:61], |v[8:9]|, v64
	v_mul_f64_e32 v[60:61], v[60:61], v[60:61]
	v_ldexp_f64 v[64:65], |v[6:7]|, v64
	s_delay_alu instid0(VALU_DEP_1) | instskip(NEXT) | instid1(VALU_DEP_1)
	v_fmac_f64_e32 v[60:61], v[64:65], v[64:65]
	v_rsq_f64_e32 v[64:65], v[60:61]
	v_cmp_eq_f64_e64 s7, 0, v[60:61]
	s_delay_alu instid0(TRANS32_DEP_1) | instskip(SKIP_1) | instid1(VALU_DEP_1)
	v_mul_f64_e32 v[66:67], v[60:61], v[64:65]
	v_mul_f64_e32 v[64:65], 0.5, v[64:65]
	v_fma_f64 v[68:69], -v[64:65], v[66:67], 0.5
	s_delay_alu instid0(VALU_DEP_1) | instskip(SKIP_1) | instid1(VALU_DEP_2)
	v_fmac_f64_e32 v[66:67], v[66:67], v[68:69]
	v_fmac_f64_e32 v[64:65], v[64:65], v[68:69]
	v_fma_f64 v[68:69], -v[66:67], v[66:67], v[60:61]
	s_delay_alu instid0(VALU_DEP_1) | instskip(NEXT) | instid1(VALU_DEP_1)
	v_fmac_f64_e32 v[66:67], v[68:69], v[64:65]
	v_dual_cndmask_b32 v65, v67, v61, s7 :: v_dual_cndmask_b32 v64, v66, v60, s7
	v_add_f64_e32 v[60:61], 1.0, v[6:7]
	s_delay_alu instid0(VALU_DEP_2) | instskip(NEXT) | instid1(VALU_DEP_2)
	v_ldexp_f64 v[66:67], v[64:65], v70
	v_max_num_f64_e64 v[64:65], |v[60:61]|, v[62:63]
	v_cmp_u_f64_e64 s7, v[60:61], v[8:9]
	v_cmp_class_f64_e64 s41, v[60:61], 0x204
	s_delay_alu instid0(VALU_DEP_4) | instskip(SKIP_1) | instid1(SALU_CYCLE_1)
	v_cmp_ngt_f64_e64 s9, 0.5, v[66:67]
	s_or_b32 s8, s8, s9
	s_and_saveexec_b32 s9, s8
	s_delay_alu instid0(SALU_CYCLE_1)
	s_xor_b32 s9, exec_lo, s9
	s_cbranch_execz .LBB209_26
; %bb.25:                               ;   in Loop: Header=BB209_4 Depth=1
	v_frexp_exp_i32_f64_e32 v72, v[64:65]
	s_delay_alu instid0(VALU_DEP_1) | instskip(NEXT) | instid1(VALU_DEP_1)
	v_sub_nc_u32_e32 v66, 0, v72
	v_ldexp_f64 v[6:7], |v[8:9]|, v66
	s_delay_alu instid0(VALU_DEP_1) | instskip(SKIP_1) | instid1(VALU_DEP_1)
	v_mul_f64_e32 v[6:7], v[6:7], v[6:7]
	v_ldexp_f64 v[66:67], |v[60:61]|, v66
	v_fmac_f64_e32 v[6:7], v[66:67], v[66:67]
	s_delay_alu instid0(VALU_DEP_1) | instskip(SKIP_1) | instid1(TRANS32_DEP_1)
	v_rsq_f64_e32 v[66:67], v[6:7]
	v_cmp_eq_f64_e64 s8, 0, v[6:7]
	v_mul_f64_e32 v[68:69], v[6:7], v[66:67]
	v_mul_f64_e32 v[66:67], 0.5, v[66:67]
	s_delay_alu instid0(VALU_DEP_1) | instskip(NEXT) | instid1(VALU_DEP_1)
	v_fma_f64 v[70:71], -v[66:67], v[68:69], 0.5
	v_fmac_f64_e32 v[68:69], v[68:69], v[70:71]
	v_fmac_f64_e32 v[66:67], v[66:67], v[70:71]
	s_delay_alu instid0(VALU_DEP_2) | instskip(NEXT) | instid1(VALU_DEP_1)
	v_fma_f64 v[70:71], -v[68:69], v[68:69], v[6:7]
	v_fmac_f64_e32 v[68:69], v[70:71], v[66:67]
	s_delay_alu instid0(VALU_DEP_1) | instskip(SKIP_1) | instid1(VALU_DEP_1)
	v_dual_cndmask_b32 v7, v69, v7, s8 :: v_dual_cndmask_b32 v6, v68, v6, s8
	s_or_b32 s8, s40, s41
	v_ldexp_f64 v[6:7], v[6:7], v72
	s_delay_alu instid0(VALU_DEP_1) | instskip(NEXT) | instid1(VALU_DEP_1)
	v_cndmask_b32_e64 v7, v7, 0x7ff80000, s7
	v_cndmask_b32_e64 v67, v7, 0x7ff00000, s8
	s_or_b32 s8, s8, s7
	s_delay_alu instid0(VALU_DEP_3) | instid1(SALU_CYCLE_1)
	v_cndmask_b32_e64 v66, v6, 0, s8
	s_delay_alu instid0(VALU_DEP_1) | instskip(NEXT) | instid1(VALU_DEP_1)
	v_frexp_mant_f64_e32 v[6:7], v[66:67]
	v_cmp_gt_f64_e64 s8, s[22:23], v[6:7]
	s_delay_alu instid0(VALU_DEP_1) | instskip(NEXT) | instid1(VALU_DEP_1)
	v_cndmask_b32_e64 v68, 0, 1, s8
	v_ldexp_f64 v[6:7], v[6:7], v68
	s_delay_alu instid0(VALU_DEP_1) | instskip(SKIP_1) | instid1(VALU_DEP_2)
	v_add_f64_e32 v[68:69], 1.0, v[6:7]
	v_add_f64_e32 v[76:77], -1.0, v[6:7]
	v_rcp_f64_e32 v[70:71], v[68:69]
	v_add_f64_e32 v[78:79], -1.0, v[68:69]
	s_delay_alu instid0(VALU_DEP_1) | instskip(NEXT) | instid1(TRANS32_DEP_1)
	v_add_f64_e64 v[6:7], v[6:7], -v[78:79]
	v_fma_f64 v[72:73], -v[68:69], v[70:71], 1.0
	s_delay_alu instid0(VALU_DEP_1) | instskip(NEXT) | instid1(VALU_DEP_1)
	v_fmac_f64_e32 v[70:71], v[72:73], v[70:71]
	v_fma_f64 v[72:73], -v[68:69], v[70:71], 1.0
	s_delay_alu instid0(VALU_DEP_1) | instskip(NEXT) | instid1(VALU_DEP_1)
	v_fmac_f64_e32 v[70:71], v[72:73], v[70:71]
	v_mul_f64_e32 v[72:73], v[76:77], v[70:71]
	s_delay_alu instid0(VALU_DEP_1) | instskip(NEXT) | instid1(VALU_DEP_1)
	v_mul_f64_e32 v[80:81], v[68:69], v[72:73]
	v_fma_f64 v[68:69], v[72:73], v[68:69], -v[80:81]
	s_delay_alu instid0(VALU_DEP_1) | instskip(NEXT) | instid1(VALU_DEP_1)
	v_fmac_f64_e32 v[68:69], v[72:73], v[6:7]
	v_add_f64_e32 v[6:7], v[80:81], v[68:69]
	s_delay_alu instid0(VALU_DEP_1) | instskip(SKIP_1) | instid1(VALU_DEP_2)
	v_add_f64_e64 v[78:79], v[76:77], -v[6:7]
	v_add_f64_e64 v[80:81], v[6:7], -v[80:81]
	;; [unrolled: 1-line block ×3, first 2 shown]
	s_delay_alu instid0(VALU_DEP_2) | instskip(SKIP_1) | instid1(VALU_DEP_3)
	v_add_f64_e64 v[68:69], v[80:81], -v[68:69]
	v_frexp_exp_i32_f64_e32 v80, v[66:67]
	v_add_f64_e64 v[6:7], v[76:77], -v[6:7]
	s_delay_alu instid0(VALU_DEP_1) | instskip(NEXT) | instid1(VALU_DEP_1)
	v_add_f64_e32 v[6:7], v[68:69], v[6:7]
	v_add_f64_e32 v[6:7], v[78:79], v[6:7]
	s_delay_alu instid0(VALU_DEP_1) | instskip(NEXT) | instid1(VALU_DEP_1)
	v_mul_f64_e32 v[6:7], v[70:71], v[6:7]
	v_add_f64_e32 v[68:69], v[72:73], v[6:7]
	s_delay_alu instid0(VALU_DEP_1) | instskip(NEXT) | instid1(VALU_DEP_1)
	v_mul_f64_e32 v[70:71], v[68:69], v[68:69]
	v_fmamk_f64 v[76:77], v[70:71], 0x3fc3ab76bf559e2b, v[24:25]
	v_mul_f64_e32 v[78:79], v[68:69], v[70:71]
	s_delay_alu instid0(VALU_DEP_2) | instskip(NEXT) | instid1(VALU_DEP_1)
	v_fmaak_f64 v[76:77], v[70:71], v[76:77], 0x3fc7474dd7f4df2e
	v_fmaak_f64 v[76:77], v[70:71], v[76:77], 0x3fcc71c016291751
	s_delay_alu instid0(VALU_DEP_1) | instskip(NEXT) | instid1(VALU_DEP_1)
	v_fmaak_f64 v[76:77], v[70:71], v[76:77], 0x3fd249249b27acf1
	v_fmaak_f64 v[76:77], v[70:71], v[76:77], 0x3fd99999998ef7b6
	s_delay_alu instid0(VALU_DEP_1) | instskip(SKIP_2) | instid1(VALU_DEP_3)
	v_fmaak_f64 v[70:71], v[70:71], v[76:77], 0x3fe5555555555780
	v_ldexp_f64 v[76:77], v[68:69], 1
	v_add_f64_e64 v[68:69], v[68:69], -v[72:73]
	v_mul_f64_e32 v[70:71], v[78:79], v[70:71]
	v_subrev_co_ci_u32_e64 v78, null, 0, v80, s8
	v_cmp_class_f64_e64 s8, v[66:67], 0x204
	s_delay_alu instid0(VALU_DEP_2) | instskip(SKIP_2) | instid1(VALU_DEP_3)
	v_cvt_f64_i32_e32 v[78:79], v78
	v_add_f64_e64 v[6:7], v[6:7], -v[68:69]
	v_add_f64_e32 v[72:73], v[76:77], v[70:71]
	v_mul_f64_e32 v[80:81], 0x3fe62e42fefa39ef, v[78:79]
	s_delay_alu instid0(VALU_DEP_3) | instskip(NEXT) | instid1(VALU_DEP_3)
	v_ldexp_f64 v[6:7], v[6:7], 1
	v_add_f64_e64 v[68:69], v[72:73], -v[76:77]
	s_delay_alu instid0(VALU_DEP_3) | instskip(NEXT) | instid1(VALU_DEP_2)
	v_fma_f64 v[76:77], v[78:79], s[24:25], -v[80:81]
	v_add_f64_e64 v[68:69], v[70:71], -v[68:69]
	s_delay_alu instid0(VALU_DEP_2) | instskip(NEXT) | instid1(VALU_DEP_2)
	v_fmac_f64_e32 v[76:77], 0x3c7abc9e3b39803f, v[78:79]
	v_add_f64_e32 v[6:7], v[6:7], v[68:69]
	s_delay_alu instid0(VALU_DEP_2) | instskip(NEXT) | instid1(VALU_DEP_2)
	v_add_f64_e32 v[68:69], v[80:81], v[76:77]
	v_add_f64_e32 v[70:71], v[72:73], v[6:7]
	s_delay_alu instid0(VALU_DEP_2) | instskip(NEXT) | instid1(VALU_DEP_2)
	v_add_f64_e64 v[80:81], v[68:69], -v[80:81]
	v_add_f64_e32 v[78:79], v[68:69], v[70:71]
	v_add_f64_e64 v[72:73], v[70:71], -v[72:73]
	s_delay_alu instid0(VALU_DEP_3) | instskip(NEXT) | instid1(VALU_DEP_3)
	v_add_f64_e64 v[76:77], v[76:77], -v[80:81]
	v_add_f64_e64 v[82:83], v[78:79], -v[68:69]
	s_delay_alu instid0(VALU_DEP_3) | instskip(NEXT) | instid1(VALU_DEP_2)
	v_add_f64_e64 v[6:7], v[6:7], -v[72:73]
	v_add_f64_e64 v[84:85], v[78:79], -v[82:83]
	;; [unrolled: 1-line block ×3, first 2 shown]
	s_delay_alu instid0(VALU_DEP_3) | instskip(NEXT) | instid1(VALU_DEP_3)
	v_add_f64_e32 v[72:73], v[76:77], v[6:7]
	v_add_f64_e64 v[68:69], v[68:69], -v[84:85]
	s_delay_alu instid0(VALU_DEP_1) | instskip(NEXT) | instid1(VALU_DEP_3)
	v_add_f64_e32 v[68:69], v[70:71], v[68:69]
	v_add_f64_e64 v[70:71], v[72:73], -v[76:77]
	s_delay_alu instid0(VALU_DEP_2) | instskip(NEXT) | instid1(VALU_DEP_2)
	v_add_f64_e32 v[68:69], v[72:73], v[68:69]
	v_add_f64_e64 v[72:73], v[72:73], -v[70:71]
	v_add_f64_e64 v[6:7], v[6:7], -v[70:71]
	s_delay_alu instid0(VALU_DEP_3) | instskip(NEXT) | instid1(VALU_DEP_3)
	v_add_f64_e32 v[80:81], v[78:79], v[68:69]
	v_add_f64_e64 v[70:71], v[76:77], -v[72:73]
	s_delay_alu instid0(VALU_DEP_2) | instskip(NEXT) | instid1(VALU_DEP_2)
	v_add_f64_e64 v[72:73], v[80:81], -v[78:79]
	v_add_f64_e32 v[6:7], v[6:7], v[70:71]
	s_delay_alu instid0(VALU_DEP_2) | instskip(NEXT) | instid1(VALU_DEP_1)
	v_add_f64_e64 v[68:69], v[68:69], -v[72:73]
	v_add_f64_e32 v[6:7], v[6:7], v[68:69]
	s_delay_alu instid0(VALU_DEP_1) | instskip(NEXT) | instid1(VALU_DEP_1)
	v_add_f64_e32 v[6:7], v[80:81], v[6:7]
	v_dual_cndmask_b32 v6, v6, v66, s8 :: v_dual_cndmask_b32 v7, v7, v67, s8
	v_cmp_ngt_f64_e64 s8, 0, v[66:67]
	s_delay_alu instid0(VALU_DEP_1) | instskip(SKIP_1) | instid1(VALU_DEP_1)
	v_cndmask_b32_e64 v7, 0x7ff80000, v7, s8
	v_cmp_nge_f64_e64 s8, 0, v[66:67]
	v_cndmask_b32_e64 v6, 0, v6, s8
	v_cmp_neq_f64_e64 s8, 0, v[66:67]
	s_delay_alu instid0(VALU_DEP_1)
	v_cndmask_b32_e64 v7, 0xfff00000, v7, s8
.LBB209_26:                             ;   in Loop: Header=BB209_4 Depth=1
	s_and_not1_saveexec_b32 s11, s9
	s_cbranch_execz .LBB209_30
; %bb.27:                               ;   in Loop: Header=BB209_4 Depth=1
	s_delay_alu instid0(VALU_DEP_1) | instskip(SKIP_1) | instid1(VALU_DEP_1)
	v_add_f64_e32 v[66:67], 2.0, v[6:7]
	s_mov_b32 s12, exec_lo
	v_mul_f64_e32 v[66:67], v[6:7], v[66:67]
	s_delay_alu instid0(VALU_DEP_1) | instskip(NEXT) | instid1(VALU_DEP_1)
	v_fmac_f64_e32 v[66:67], v[8:9], v[8:9]
	v_cmpx_neq_f64_e32 0, v[66:67]
	s_cbranch_execz .LBB209_29
; %bb.28:                               ;   in Loop: Header=BB209_4 Depth=1
	v_add_f64_e32 v[6:7], 1.0, v[66:67]
	v_cmp_neq_f64_e64 s9, 0x7ff00000, v[66:67]
	v_cmp_ngt_f64_e64 s10, -1.0, v[66:67]
	s_delay_alu instid0(VALU_DEP_3) | instskip(SKIP_2) | instid1(VALU_DEP_3)
	v_frexp_mant_f64_e32 v[68:69], v[6:7]
	v_add_f64_e32 v[70:71], -1.0, v[6:7]
	v_frexp_exp_i32_f64_e32 v72, v[6:7]
	v_cmp_gt_f64_e64 s8, s[22:23], v[68:69]
	s_delay_alu instid0(VALU_DEP_3) | instskip(SKIP_1) | instid1(VALU_DEP_3)
	v_add_f64_e64 v[68:69], v[70:71], -v[6:7]
	v_add_f64_e64 v[70:71], v[66:67], -v[70:71]
	v_subrev_co_ci_u32_e64 v90, null, 0, v72, s8
	v_cmp_nge_f64_e64 s8, -1.0, v[66:67]
	s_delay_alu instid0(VALU_DEP_2) | instskip(NEXT) | instid1(VALU_DEP_1)
	v_dual_add_f64 v[68:69], 1.0, v[68:69] :: v_dual_sub_nc_u32 v76, 0, v90
	v_ldexp_f64 v[6:7], v[6:7], v76
	s_and_b32 s8, s8, s9
	s_delay_alu instid0(VALU_DEP_2) | instskip(NEXT) | instid1(VALU_DEP_2)
	v_add_f64_e32 v[68:69], v[70:71], v[68:69]
	v_add_f64_e32 v[72:73], 1.0, v[6:7]
	v_add_f64_e32 v[80:81], -1.0, v[6:7]
	s_delay_alu instid0(VALU_DEP_3) | instskip(NEXT) | instid1(VALU_DEP_3)
	v_ldexp_f64 v[68:69], v[68:69], v76
	v_add_f64_e32 v[70:71], -1.0, v[72:73]
	s_delay_alu instid0(VALU_DEP_3) | instskip(NEXT) | instid1(VALU_DEP_2)
	v_add_f64_e32 v[82:83], 1.0, v[80:81]
	v_add_f64_e64 v[70:71], v[6:7], -v[70:71]
	s_delay_alu instid0(VALU_DEP_2) | instskip(NEXT) | instid1(VALU_DEP_2)
	v_add_f64_e64 v[6:7], v[6:7], -v[82:83]
	v_add_f64_e32 v[70:71], v[68:69], v[70:71]
	s_delay_alu instid0(VALU_DEP_2) | instskip(NEXT) | instid1(VALU_DEP_2)
	v_add_f64_e32 v[6:7], v[68:69], v[6:7]
	v_add_f64_e32 v[76:77], v[72:73], v[70:71]
	s_delay_alu instid0(VALU_DEP_2) | instskip(NEXT) | instid1(VALU_DEP_2)
	v_add_f64_e32 v[82:83], v[80:81], v[6:7]
	v_rcp_f64_e32 v[78:79], v[76:77]
	v_add_f64_e64 v[72:73], v[76:77], -v[72:73]
	s_delay_alu instid0(VALU_DEP_2) | instskip(NEXT) | instid1(VALU_DEP_2)
	v_add_f64_e64 v[80:81], v[82:83], -v[80:81]
	v_add_f64_e64 v[70:71], v[70:71], -v[72:73]
	s_delay_alu instid0(VALU_DEP_2) | instskip(NEXT) | instid1(TRANS32_DEP_1)
	v_add_f64_e64 v[6:7], v[6:7], -v[80:81]
	v_fma_f64 v[84:85], -v[76:77], v[78:79], 1.0
	s_delay_alu instid0(VALU_DEP_1) | instskip(NEXT) | instid1(VALU_DEP_1)
	v_fmac_f64_e32 v[78:79], v[84:85], v[78:79]
	v_fma_f64 v[68:69], -v[76:77], v[78:79], 1.0
	s_delay_alu instid0(VALU_DEP_1) | instskip(NEXT) | instid1(VALU_DEP_1)
	v_fmac_f64_e32 v[78:79], v[68:69], v[78:79]
	v_mul_f64_e32 v[68:69], v[82:83], v[78:79]
	s_delay_alu instid0(VALU_DEP_1) | instskip(NEXT) | instid1(VALU_DEP_1)
	v_mul_f64_e32 v[84:85], v[76:77], v[68:69]
	v_fma_f64 v[72:73], v[68:69], v[76:77], -v[84:85]
	s_delay_alu instid0(VALU_DEP_1) | instskip(NEXT) | instid1(VALU_DEP_1)
	v_fmac_f64_e32 v[72:73], v[68:69], v[70:71]
	v_add_f64_e32 v[86:87], v[84:85], v[72:73]
	s_delay_alu instid0(VALU_DEP_1) | instskip(SKIP_1) | instid1(VALU_DEP_2)
	v_add_f64_e64 v[88:89], v[82:83], -v[86:87]
	v_add_f64_e64 v[80:81], v[86:87], -v[84:85]
	;; [unrolled: 1-line block ×3, first 2 shown]
	s_delay_alu instid0(VALU_DEP_2) | instskip(NEXT) | instid1(VALU_DEP_2)
	v_add_f64_e64 v[72:73], v[80:81], -v[72:73]
	v_add_f64_e64 v[82:83], v[82:83], -v[86:87]
	s_delay_alu instid0(VALU_DEP_1) | instskip(NEXT) | instid1(VALU_DEP_1)
	v_add_f64_e32 v[6:7], v[6:7], v[82:83]
	v_add_f64_e32 v[6:7], v[72:73], v[6:7]
	s_delay_alu instid0(VALU_DEP_1) | instskip(NEXT) | instid1(VALU_DEP_1)
	v_add_f64_e32 v[72:73], v[88:89], v[6:7]
	v_mul_f64_e32 v[80:81], v[78:79], v[72:73]
	v_add_f64_e64 v[86:87], v[88:89], -v[72:73]
	s_delay_alu instid0(VALU_DEP_2) | instskip(NEXT) | instid1(VALU_DEP_2)
	v_mul_f64_e32 v[82:83], v[76:77], v[80:81]
	v_add_f64_e32 v[6:7], v[6:7], v[86:87]
	s_delay_alu instid0(VALU_DEP_2) | instskip(NEXT) | instid1(VALU_DEP_1)
	v_fma_f64 v[76:77], v[80:81], v[76:77], -v[82:83]
	v_fmac_f64_e32 v[76:77], v[80:81], v[70:71]
	s_delay_alu instid0(VALU_DEP_1) | instskip(NEXT) | instid1(VALU_DEP_1)
	v_add_f64_e32 v[70:71], v[82:83], v[76:77]
	v_add_f64_e64 v[84:85], v[72:73], -v[70:71]
	v_add_f64_e64 v[82:83], v[70:71], -v[82:83]
	s_delay_alu instid0(VALU_DEP_2) | instskip(NEXT) | instid1(VALU_DEP_1)
	v_add_f64_e64 v[72:73], v[72:73], -v[84:85]
	v_add_f64_e64 v[70:71], v[72:73], -v[70:71]
	s_delay_alu instid0(VALU_DEP_3) | instskip(NEXT) | instid1(VALU_DEP_2)
	v_add_f64_e64 v[72:73], v[82:83], -v[76:77]
	v_add_f64_e32 v[6:7], v[6:7], v[70:71]
	v_add_f64_e32 v[70:71], v[68:69], v[80:81]
	s_delay_alu instid0(VALU_DEP_2) | instskip(NEXT) | instid1(VALU_DEP_2)
	v_add_f64_e32 v[6:7], v[72:73], v[6:7]
	v_add_f64_e64 v[68:69], v[70:71], -v[68:69]
	s_delay_alu instid0(VALU_DEP_2) | instskip(NEXT) | instid1(VALU_DEP_2)
	v_add_f64_e32 v[6:7], v[84:85], v[6:7]
	v_add_f64_e64 v[68:69], v[80:81], -v[68:69]
	s_delay_alu instid0(VALU_DEP_2) | instskip(NEXT) | instid1(VALU_DEP_1)
	v_mul_f64_e32 v[6:7], v[78:79], v[6:7]
	v_add_f64_e32 v[6:7], v[68:69], v[6:7]
	s_delay_alu instid0(VALU_DEP_1) | instskip(NEXT) | instid1(VALU_DEP_1)
	v_add_f64_e32 v[68:69], v[70:71], v[6:7]
	v_mul_f64_e32 v[72:73], v[68:69], v[68:69]
	s_delay_alu instid0(VALU_DEP_1) | instskip(SKIP_1) | instid1(VALU_DEP_2)
	v_fmamk_f64 v[76:77], v[72:73], 0x3fc3ab76bf559e2b, v[24:25]
	v_mul_f64_e32 v[78:79], v[68:69], v[72:73]
	v_fmaak_f64 v[76:77], v[72:73], v[76:77], 0x3fc7474dd7f4df2e
	s_delay_alu instid0(VALU_DEP_1) | instskip(NEXT) | instid1(VALU_DEP_1)
	v_fmaak_f64 v[76:77], v[72:73], v[76:77], 0x3fcc71c016291751
	v_fmaak_f64 v[76:77], v[72:73], v[76:77], 0x3fd249249b27acf1
	s_delay_alu instid0(VALU_DEP_1) | instskip(NEXT) | instid1(VALU_DEP_1)
	v_fmaak_f64 v[76:77], v[72:73], v[76:77], 0x3fd99999998ef7b6
	v_fmaak_f64 v[72:73], v[72:73], v[76:77], 0x3fe5555555555780
	v_ldexp_f64 v[76:77], v[68:69], 1
	v_add_f64_e64 v[68:69], v[68:69], -v[70:71]
	s_delay_alu instid0(VALU_DEP_3) | instskip(SKIP_1) | instid1(VALU_DEP_3)
	v_mul_f64_e32 v[72:73], v[78:79], v[72:73]
	v_cvt_f64_i32_e32 v[78:79], v90
	v_add_f64_e64 v[6:7], v[6:7], -v[68:69]
	s_delay_alu instid0(VALU_DEP_3) | instskip(NEXT) | instid1(VALU_DEP_3)
	v_add_f64_e32 v[70:71], v[76:77], v[72:73]
	v_mul_f64_e32 v[80:81], 0x3fe62e42fefa39ef, v[78:79]
	s_delay_alu instid0(VALU_DEP_3) | instskip(NEXT) | instid1(VALU_DEP_3)
	v_ldexp_f64 v[6:7], v[6:7], 1
	v_add_f64_e64 v[68:69], v[70:71], -v[76:77]
	s_delay_alu instid0(VALU_DEP_3) | instskip(NEXT) | instid1(VALU_DEP_2)
	v_fma_f64 v[76:77], v[78:79], s[24:25], -v[80:81]
	v_add_f64_e64 v[68:69], v[72:73], -v[68:69]
	s_delay_alu instid0(VALU_DEP_2) | instskip(NEXT) | instid1(VALU_DEP_2)
	v_fmac_f64_e32 v[76:77], 0x3c7abc9e3b39803f, v[78:79]
	v_add_f64_e32 v[6:7], v[6:7], v[68:69]
	s_delay_alu instid0(VALU_DEP_2) | instskip(NEXT) | instid1(VALU_DEP_2)
	v_add_f64_e32 v[68:69], v[80:81], v[76:77]
	v_add_f64_e32 v[72:73], v[70:71], v[6:7]
	s_delay_alu instid0(VALU_DEP_2) | instskip(NEXT) | instid1(VALU_DEP_2)
	v_add_f64_e64 v[80:81], v[68:69], -v[80:81]
	v_add_f64_e32 v[78:79], v[68:69], v[72:73]
	v_add_f64_e64 v[70:71], v[72:73], -v[70:71]
	s_delay_alu instid0(VALU_DEP_3) | instskip(NEXT) | instid1(VALU_DEP_3)
	v_add_f64_e64 v[76:77], v[76:77], -v[80:81]
	v_add_f64_e64 v[82:83], v[78:79], -v[68:69]
	s_delay_alu instid0(VALU_DEP_3) | instskip(NEXT) | instid1(VALU_DEP_2)
	v_add_f64_e64 v[6:7], v[6:7], -v[70:71]
	v_add_f64_e64 v[84:85], v[78:79], -v[82:83]
	;; [unrolled: 1-line block ×3, first 2 shown]
	s_delay_alu instid0(VALU_DEP_3) | instskip(NEXT) | instid1(VALU_DEP_3)
	v_add_f64_e32 v[72:73], v[76:77], v[6:7]
	v_add_f64_e64 v[68:69], v[68:69], -v[84:85]
	s_delay_alu instid0(VALU_DEP_1) | instskip(NEXT) | instid1(VALU_DEP_3)
	v_add_f64_e32 v[68:69], v[70:71], v[68:69]
	v_add_f64_e64 v[70:71], v[72:73], -v[76:77]
	s_delay_alu instid0(VALU_DEP_2) | instskip(NEXT) | instid1(VALU_DEP_2)
	v_add_f64_e32 v[68:69], v[72:73], v[68:69]
	v_add_f64_e64 v[72:73], v[72:73], -v[70:71]
	v_add_f64_e64 v[6:7], v[6:7], -v[70:71]
	s_delay_alu instid0(VALU_DEP_3) | instskip(NEXT) | instid1(VALU_DEP_3)
	v_add_f64_e32 v[80:81], v[78:79], v[68:69]
	v_add_f64_e64 v[72:73], v[76:77], -v[72:73]
	s_delay_alu instid0(VALU_DEP_2) | instskip(NEXT) | instid1(VALU_DEP_2)
	v_add_f64_e64 v[70:71], v[80:81], -v[78:79]
	v_add_f64_e32 v[6:7], v[6:7], v[72:73]
	s_delay_alu instid0(VALU_DEP_2) | instskip(NEXT) | instid1(VALU_DEP_1)
	v_add_f64_e64 v[68:69], v[68:69], -v[70:71]
	v_add_f64_e32 v[6:7], v[6:7], v[68:69]
	s_delay_alu instid0(VALU_DEP_1) | instskip(NEXT) | instid1(VALU_DEP_1)
	v_add_f64_e32 v[6:7], v[80:81], v[6:7]
	v_mul_f64_e32 v[6:7], 0.5, v[6:7]
	s_delay_alu instid0(VALU_DEP_1) | instskip(SKIP_1) | instid1(VALU_DEP_3)
	v_cndmask_b32_e64 v6, 0, v6, s8
	v_cmp_neq_f64_e64 s8, -1.0, v[66:67]
	v_cndmask_b32_e64 v7, 0x7ff00000, v7, s9
	s_delay_alu instid0(VALU_DEP_1) | instskip(NEXT) | instid1(VALU_DEP_1)
	v_cndmask_b32_e64 v7, 0x7ff80000, v7, s10
	v_cndmask_b32_e64 v7, 0xfff00000, v7, s8
.LBB209_29:                             ;   in Loop: Header=BB209_4 Depth=1
	s_or_b32 exec_lo, exec_lo, s12
.LBB209_30:                             ;   in Loop: Header=BB209_4 Depth=1
	s_delay_alu instid0(SALU_CYCLE_1)
	s_or_b32 exec_lo, exec_lo, s11
	v_max_num_f64_e64 v[66:67], |v[2:3]|, |v[2:3]|
	v_max_num_f64_e64 v[68:69], |v[4:5]|, |v[4:5]|
	v_cmp_class_f64_e64 s11, v[2:3], 0x204
	v_cmp_class_f64_e64 s42, v[4:5], 0x204
	v_cmp_u_f64_e64 s9, v[2:3], v[4:5]
	s_delay_alu instid0(VALU_DEP_4) | instskip(SKIP_1) | instid1(SALU_CYCLE_1)
	v_max_num_f64_e32 v[66:67], v[66:67], v[68:69]
	s_or_b32 s11, s42, s11
	s_or_b32 s9, s11, s9
	s_delay_alu instid0(VALU_DEP_1) | instskip(NEXT) | instid1(VALU_DEP_1)
	v_frexp_exp_i32_f64_e32 v78, v[66:67]
	v_sub_nc_u32_e32 v70, 0, v78
	s_delay_alu instid0(VALU_DEP_1) | instskip(SKIP_1) | instid1(VALU_DEP_2)
	v_ldexp_f64 v[66:67], |v[4:5]|, v70
	v_ldexp_f64 v[70:71], |v[2:3]|, v70
	v_mul_f64_e32 v[66:67], v[66:67], v[66:67]
	s_delay_alu instid0(VALU_DEP_1) | instskip(NEXT) | instid1(VALU_DEP_1)
	v_fmac_f64_e32 v[66:67], v[70:71], v[70:71]
	v_rsq_f64_e32 v[70:71], v[66:67]
	v_cmp_eq_f64_e64 s8, 0, v[66:67]
	s_delay_alu instid0(TRANS32_DEP_1) | instskip(SKIP_1) | instid1(VALU_DEP_1)
	v_mul_f64_e32 v[72:73], v[66:67], v[70:71]
	v_mul_f64_e32 v[70:71], 0.5, v[70:71]
	v_fma_f64 v[76:77], -v[70:71], v[72:73], 0.5
	s_delay_alu instid0(VALU_DEP_1) | instskip(SKIP_1) | instid1(VALU_DEP_2)
	v_fmac_f64_e32 v[72:73], v[72:73], v[76:77]
	v_fmac_f64_e32 v[70:71], v[70:71], v[76:77]
	v_fma_f64 v[76:77], -v[72:73], v[72:73], v[66:67]
	s_delay_alu instid0(VALU_DEP_1) | instskip(NEXT) | instid1(VALU_DEP_1)
	v_fmac_f64_e32 v[72:73], v[76:77], v[70:71]
	v_dual_cndmask_b32 v71, v73, v67, s8 :: v_dual_cndmask_b32 v70, v72, v66, s8
	v_add_f64_e32 v[66:67], 1.0, v[2:3]
	s_delay_alu instid0(VALU_DEP_2) | instskip(NEXT) | instid1(VALU_DEP_2)
	v_ldexp_f64 v[72:73], v[70:71], v78
	v_max_num_f64_e64 v[70:71], |v[66:67]|, v[68:69]
	v_cmp_u_f64_e64 s8, v[66:67], v[4:5]
	v_cmp_class_f64_e64 s43, v[66:67], 0x204
	s_delay_alu instid0(VALU_DEP_4) | instskip(SKIP_1) | instid1(SALU_CYCLE_1)
	v_cmp_ngt_f64_e64 s10, 0.5, v[72:73]
	s_or_b32 s9, s9, s10
	s_and_saveexec_b32 s10, s9
	s_delay_alu instid0(SALU_CYCLE_1)
	s_xor_b32 s10, exec_lo, s10
	s_cbranch_execnz .LBB209_36
; %bb.31:                               ;   in Loop: Header=BB209_4 Depth=1
	s_and_not1_saveexec_b32 s44, s10
	s_cbranch_execnz .LBB209_37
.LBB209_32:                             ;   in Loop: Header=BB209_4 Depth=1
	s_or_b32 exec_lo, exec_lo, s44
	s_and_saveexec_b32 s9, vcc_lo
	s_delay_alu instid0(SALU_CYCLE_1)
	s_xor_b32 s10, exec_lo, s9
	s_cbranch_execnz .LBB209_40
.LBB209_33:                             ;   in Loop: Header=BB209_4 Depth=1
	s_or_b32 exec_lo, exec_lo, s10
	s_and_saveexec_b32 s5, s4
	s_cbranch_execnz .LBB209_41
.LBB209_34:                             ;   in Loop: Header=BB209_4 Depth=1
	s_or_b32 exec_lo, exec_lo, s5
	s_and_saveexec_b32 s4, s3
	s_cbranch_execnz .LBB209_42
.LBB209_35:                             ;   in Loop: Header=BB209_4 Depth=1
	s_or_b32 exec_lo, exec_lo, s4
	s_and_saveexec_b32 s3, s2
	s_cbranch_execz .LBB209_3
	s_branch .LBB209_43
.LBB209_36:                             ;   in Loop: Header=BB209_4 Depth=1
	v_frexp_exp_i32_f64_e32 v80, v[70:71]
	s_delay_alu instid0(VALU_DEP_1) | instskip(NEXT) | instid1(VALU_DEP_1)
	v_sub_nc_u32_e32 v72, 0, v80
	v_ldexp_f64 v[2:3], |v[4:5]|, v72
	s_delay_alu instid0(VALU_DEP_1) | instskip(SKIP_1) | instid1(VALU_DEP_1)
	v_mul_f64_e32 v[2:3], v[2:3], v[2:3]
	v_ldexp_f64 v[72:73], |v[66:67]|, v72
	v_fmac_f64_e32 v[2:3], v[72:73], v[72:73]
	s_delay_alu instid0(VALU_DEP_1) | instskip(SKIP_1) | instid1(TRANS32_DEP_1)
	v_rsq_f64_e32 v[72:73], v[2:3]
	v_cmp_eq_f64_e64 s9, 0, v[2:3]
	v_mul_f64_e32 v[76:77], v[2:3], v[72:73]
	v_mul_f64_e32 v[72:73], 0.5, v[72:73]
	s_delay_alu instid0(VALU_DEP_1) | instskip(NEXT) | instid1(VALU_DEP_1)
	v_fma_f64 v[78:79], -v[72:73], v[76:77], 0.5
	v_fmac_f64_e32 v[76:77], v[76:77], v[78:79]
	v_fmac_f64_e32 v[72:73], v[72:73], v[78:79]
	s_delay_alu instid0(VALU_DEP_2) | instskip(NEXT) | instid1(VALU_DEP_1)
	v_fma_f64 v[78:79], -v[76:77], v[76:77], v[2:3]
	v_fmac_f64_e32 v[76:77], v[78:79], v[72:73]
	s_delay_alu instid0(VALU_DEP_1) | instskip(SKIP_1) | instid1(VALU_DEP_1)
	v_dual_cndmask_b32 v3, v77, v3, s9 :: v_dual_cndmask_b32 v2, v76, v2, s9
	s_or_b32 s9, s42, s43
	v_ldexp_f64 v[2:3], v[2:3], v80
	s_delay_alu instid0(VALU_DEP_1) | instskip(NEXT) | instid1(VALU_DEP_1)
	v_cndmask_b32_e64 v3, v3, 0x7ff80000, s8
	v_cndmask_b32_e64 v73, v3, 0x7ff00000, s9
	s_or_b32 s9, s9, s8
	s_delay_alu instid0(VALU_DEP_3) | instid1(SALU_CYCLE_1)
	v_cndmask_b32_e64 v72, v2, 0, s9
	s_delay_alu instid0(VALU_DEP_1) | instskip(NEXT) | instid1(VALU_DEP_1)
	v_frexp_mant_f64_e32 v[2:3], v[72:73]
	v_cmp_gt_f64_e64 s9, s[22:23], v[2:3]
	s_delay_alu instid0(VALU_DEP_1) | instskip(NEXT) | instid1(VALU_DEP_1)
	v_cndmask_b32_e64 v76, 0, 1, s9
	v_ldexp_f64 v[2:3], v[2:3], v76
	s_delay_alu instid0(VALU_DEP_1) | instskip(SKIP_1) | instid1(VALU_DEP_2)
	v_add_f64_e32 v[76:77], 1.0, v[2:3]
	v_add_f64_e32 v[82:83], -1.0, v[2:3]
	v_rcp_f64_e32 v[78:79], v[76:77]
	v_add_f64_e32 v[84:85], -1.0, v[76:77]
	s_delay_alu instid0(VALU_DEP_1) | instskip(NEXT) | instid1(TRANS32_DEP_1)
	v_add_f64_e64 v[2:3], v[2:3], -v[84:85]
	v_fma_f64 v[80:81], -v[76:77], v[78:79], 1.0
	s_delay_alu instid0(VALU_DEP_1) | instskip(NEXT) | instid1(VALU_DEP_1)
	v_fmac_f64_e32 v[78:79], v[80:81], v[78:79]
	v_fma_f64 v[80:81], -v[76:77], v[78:79], 1.0
	s_delay_alu instid0(VALU_DEP_1) | instskip(NEXT) | instid1(VALU_DEP_1)
	v_fmac_f64_e32 v[78:79], v[80:81], v[78:79]
	v_mul_f64_e32 v[80:81], v[82:83], v[78:79]
	s_delay_alu instid0(VALU_DEP_1) | instskip(NEXT) | instid1(VALU_DEP_1)
	v_mul_f64_e32 v[86:87], v[76:77], v[80:81]
	v_fma_f64 v[76:77], v[80:81], v[76:77], -v[86:87]
	s_delay_alu instid0(VALU_DEP_1) | instskip(NEXT) | instid1(VALU_DEP_1)
	v_fmac_f64_e32 v[76:77], v[80:81], v[2:3]
	v_add_f64_e32 v[2:3], v[86:87], v[76:77]
	s_delay_alu instid0(VALU_DEP_1) | instskip(SKIP_1) | instid1(VALU_DEP_2)
	v_add_f64_e64 v[84:85], v[82:83], -v[2:3]
	v_add_f64_e64 v[86:87], v[2:3], -v[86:87]
	;; [unrolled: 1-line block ×3, first 2 shown]
	s_delay_alu instid0(VALU_DEP_2) | instskip(SKIP_1) | instid1(VALU_DEP_3)
	v_add_f64_e64 v[76:77], v[86:87], -v[76:77]
	v_frexp_exp_i32_f64_e32 v86, v[72:73]
	v_add_f64_e64 v[2:3], v[82:83], -v[2:3]
	s_delay_alu instid0(VALU_DEP_1) | instskip(NEXT) | instid1(VALU_DEP_1)
	v_add_f64_e32 v[2:3], v[76:77], v[2:3]
	v_add_f64_e32 v[2:3], v[84:85], v[2:3]
	s_delay_alu instid0(VALU_DEP_1) | instskip(NEXT) | instid1(VALU_DEP_1)
	v_mul_f64_e32 v[2:3], v[78:79], v[2:3]
	v_add_f64_e32 v[76:77], v[80:81], v[2:3]
	s_delay_alu instid0(VALU_DEP_1) | instskip(NEXT) | instid1(VALU_DEP_1)
	v_mul_f64_e32 v[78:79], v[76:77], v[76:77]
	v_fmamk_f64 v[82:83], v[78:79], 0x3fc3ab76bf559e2b, v[24:25]
	v_mul_f64_e32 v[84:85], v[76:77], v[78:79]
	s_delay_alu instid0(VALU_DEP_2) | instskip(NEXT) | instid1(VALU_DEP_1)
	v_fmaak_f64 v[82:83], v[78:79], v[82:83], 0x3fc7474dd7f4df2e
	v_fmaak_f64 v[82:83], v[78:79], v[82:83], 0x3fcc71c016291751
	s_delay_alu instid0(VALU_DEP_1) | instskip(NEXT) | instid1(VALU_DEP_1)
	v_fmaak_f64 v[82:83], v[78:79], v[82:83], 0x3fd249249b27acf1
	v_fmaak_f64 v[82:83], v[78:79], v[82:83], 0x3fd99999998ef7b6
	s_delay_alu instid0(VALU_DEP_1) | instskip(SKIP_2) | instid1(VALU_DEP_3)
	v_fmaak_f64 v[78:79], v[78:79], v[82:83], 0x3fe5555555555780
	v_ldexp_f64 v[82:83], v[76:77], 1
	v_add_f64_e64 v[76:77], v[76:77], -v[80:81]
	v_mul_f64_e32 v[78:79], v[84:85], v[78:79]
	v_subrev_co_ci_u32_e64 v84, null, 0, v86, s9
	v_cmp_class_f64_e64 s9, v[72:73], 0x204
	s_delay_alu instid0(VALU_DEP_2) | instskip(SKIP_2) | instid1(VALU_DEP_3)
	v_cvt_f64_i32_e32 v[84:85], v84
	v_add_f64_e64 v[2:3], v[2:3], -v[76:77]
	v_add_f64_e32 v[80:81], v[82:83], v[78:79]
	v_mul_f64_e32 v[86:87], 0x3fe62e42fefa39ef, v[84:85]
	s_delay_alu instid0(VALU_DEP_3) | instskip(NEXT) | instid1(VALU_DEP_3)
	v_ldexp_f64 v[2:3], v[2:3], 1
	v_add_f64_e64 v[76:77], v[80:81], -v[82:83]
	s_delay_alu instid0(VALU_DEP_3) | instskip(NEXT) | instid1(VALU_DEP_2)
	v_fma_f64 v[82:83], v[84:85], s[24:25], -v[86:87]
	v_add_f64_e64 v[76:77], v[78:79], -v[76:77]
	s_delay_alu instid0(VALU_DEP_2) | instskip(NEXT) | instid1(VALU_DEP_2)
	v_fmac_f64_e32 v[82:83], 0x3c7abc9e3b39803f, v[84:85]
	v_add_f64_e32 v[2:3], v[2:3], v[76:77]
	s_delay_alu instid0(VALU_DEP_2) | instskip(NEXT) | instid1(VALU_DEP_2)
	v_add_f64_e32 v[76:77], v[86:87], v[82:83]
	v_add_f64_e32 v[78:79], v[80:81], v[2:3]
	s_delay_alu instid0(VALU_DEP_2) | instskip(NEXT) | instid1(VALU_DEP_2)
	v_add_f64_e64 v[86:87], v[76:77], -v[86:87]
	v_add_f64_e32 v[84:85], v[76:77], v[78:79]
	v_add_f64_e64 v[80:81], v[78:79], -v[80:81]
	s_delay_alu instid0(VALU_DEP_3) | instskip(NEXT) | instid1(VALU_DEP_3)
	v_add_f64_e64 v[82:83], v[82:83], -v[86:87]
	v_add_f64_e64 v[88:89], v[84:85], -v[76:77]
	s_delay_alu instid0(VALU_DEP_3) | instskip(NEXT) | instid1(VALU_DEP_2)
	v_add_f64_e64 v[2:3], v[2:3], -v[80:81]
	v_add_f64_e64 v[90:91], v[84:85], -v[88:89]
	;; [unrolled: 1-line block ×3, first 2 shown]
	s_delay_alu instid0(VALU_DEP_3) | instskip(NEXT) | instid1(VALU_DEP_3)
	v_add_f64_e32 v[80:81], v[82:83], v[2:3]
	v_add_f64_e64 v[76:77], v[76:77], -v[90:91]
	s_delay_alu instid0(VALU_DEP_1) | instskip(NEXT) | instid1(VALU_DEP_3)
	v_add_f64_e32 v[76:77], v[78:79], v[76:77]
	v_add_f64_e64 v[78:79], v[80:81], -v[82:83]
	s_delay_alu instid0(VALU_DEP_2) | instskip(NEXT) | instid1(VALU_DEP_2)
	v_add_f64_e32 v[76:77], v[80:81], v[76:77]
	v_add_f64_e64 v[80:81], v[80:81], -v[78:79]
	v_add_f64_e64 v[2:3], v[2:3], -v[78:79]
	s_delay_alu instid0(VALU_DEP_3) | instskip(NEXT) | instid1(VALU_DEP_3)
	v_add_f64_e32 v[86:87], v[84:85], v[76:77]
	v_add_f64_e64 v[78:79], v[82:83], -v[80:81]
	s_delay_alu instid0(VALU_DEP_2) | instskip(NEXT) | instid1(VALU_DEP_2)
	v_add_f64_e64 v[80:81], v[86:87], -v[84:85]
	v_add_f64_e32 v[2:3], v[2:3], v[78:79]
	s_delay_alu instid0(VALU_DEP_2) | instskip(NEXT) | instid1(VALU_DEP_1)
	v_add_f64_e64 v[76:77], v[76:77], -v[80:81]
	v_add_f64_e32 v[2:3], v[2:3], v[76:77]
	s_delay_alu instid0(VALU_DEP_1) | instskip(NEXT) | instid1(VALU_DEP_1)
	v_add_f64_e32 v[2:3], v[86:87], v[2:3]
	v_dual_cndmask_b32 v2, v2, v72, s9 :: v_dual_cndmask_b32 v3, v3, v73, s9
	v_cmp_ngt_f64_e64 s9, 0, v[72:73]
	s_delay_alu instid0(VALU_DEP_1) | instskip(SKIP_1) | instid1(VALU_DEP_1)
	v_cndmask_b32_e64 v3, 0x7ff80000, v3, s9
	v_cmp_nge_f64_e64 s9, 0, v[72:73]
	v_cndmask_b32_e64 v2, 0, v2, s9
	v_cmp_neq_f64_e64 s9, 0, v[72:73]
	s_delay_alu instid0(VALU_DEP_1)
	v_cndmask_b32_e64 v3, 0xfff00000, v3, s9
	s_and_not1_saveexec_b32 s44, s10
	s_cbranch_execz .LBB209_32
.LBB209_37:                             ;   in Loop: Header=BB209_4 Depth=1
	s_delay_alu instid0(VALU_DEP_1) | instskip(SKIP_1) | instid1(VALU_DEP_1)
	v_add_f64_e32 v[72:73], 2.0, v[2:3]
	s_mov_b32 s45, exec_lo
	v_mul_f64_e32 v[72:73], v[2:3], v[72:73]
	s_delay_alu instid0(VALU_DEP_1) | instskip(NEXT) | instid1(VALU_DEP_1)
	v_fmac_f64_e32 v[72:73], v[4:5], v[4:5]
	v_cmpx_neq_f64_e32 0, v[72:73]
	s_cbranch_execz .LBB209_39
; %bb.38:                               ;   in Loop: Header=BB209_4 Depth=1
	v_add_f64_e32 v[2:3], 1.0, v[72:73]
	v_cmp_ngt_f64_e64 s10, -1.0, v[72:73]
	v_cmp_nge_f64_e64 s11, -1.0, v[72:73]
	v_cmp_neq_f64_e64 s12, -1.0, v[72:73]
	s_delay_alu instid0(VALU_DEP_4) | instskip(SKIP_1) | instid1(VALU_DEP_2)
	v_frexp_mant_f64_e32 v[76:77], v[2:3]
	v_frexp_exp_i32_f64_e32 v78, v[2:3]
	v_cmp_gt_f64_e64 s9, s[22:23], v[76:77]
	s_delay_alu instid0(VALU_DEP_1) | instskip(SKIP_2) | instid1(VALU_DEP_2)
	v_subrev_co_ci_u32_e64 v96, null, 0, v78, s9
	v_add_f64_e32 v[76:77], -1.0, v[2:3]
	v_cmp_neq_f64_e64 s9, 0x7ff00000, v[72:73]
	v_dual_add_f64 v[78:79], v[76:77], -v[2:3] :: v_dual_sub_nc_u32 v82, 0, v96
	s_delay_alu instid0(VALU_DEP_1) | instskip(SKIP_1) | instid1(VALU_DEP_3)
	v_ldexp_f64 v[2:3], v[2:3], v82
	v_add_f64_e64 v[76:77], v[72:73], -v[76:77]
	v_add_f64_e32 v[78:79], 1.0, v[78:79]
	s_delay_alu instid0(VALU_DEP_3) | instskip(SKIP_1) | instid1(VALU_DEP_3)
	v_add_f64_e32 v[80:81], 1.0, v[2:3]
	v_add_f64_e32 v[86:87], -1.0, v[2:3]
	v_add_f64_e32 v[76:77], v[76:77], v[78:79]
	s_delay_alu instid0(VALU_DEP_3) | instskip(NEXT) | instid1(VALU_DEP_3)
	v_add_f64_e32 v[78:79], -1.0, v[80:81]
	v_add_f64_e32 v[88:89], 1.0, v[86:87]
	s_delay_alu instid0(VALU_DEP_3) | instskip(NEXT) | instid1(VALU_DEP_3)
	v_ldexp_f64 v[76:77], v[76:77], v82
	v_add_f64_e64 v[78:79], v[2:3], -v[78:79]
	s_delay_alu instid0(VALU_DEP_3) | instskip(NEXT) | instid1(VALU_DEP_2)
	v_add_f64_e64 v[2:3], v[2:3], -v[88:89]
	v_add_f64_e32 v[78:79], v[76:77], v[78:79]
	s_delay_alu instid0(VALU_DEP_2) | instskip(NEXT) | instid1(VALU_DEP_2)
	v_add_f64_e32 v[2:3], v[76:77], v[2:3]
	v_add_f64_e32 v[82:83], v[80:81], v[78:79]
	s_delay_alu instid0(VALU_DEP_2) | instskip(NEXT) | instid1(VALU_DEP_2)
	v_add_f64_e32 v[88:89], v[86:87], v[2:3]
	v_rcp_f64_e32 v[84:85], v[82:83]
	v_add_f64_e64 v[80:81], v[82:83], -v[80:81]
	s_delay_alu instid0(VALU_DEP_2) | instskip(NEXT) | instid1(VALU_DEP_2)
	v_add_f64_e64 v[86:87], v[88:89], -v[86:87]
	v_add_f64_e64 v[78:79], v[78:79], -v[80:81]
	s_delay_alu instid0(VALU_DEP_2) | instskip(NEXT) | instid1(TRANS32_DEP_1)
	v_add_f64_e64 v[2:3], v[2:3], -v[86:87]
	v_fma_f64 v[90:91], -v[82:83], v[84:85], 1.0
	s_delay_alu instid0(VALU_DEP_1) | instskip(NEXT) | instid1(VALU_DEP_1)
	v_fmac_f64_e32 v[84:85], v[90:91], v[84:85]
	v_fma_f64 v[76:77], -v[82:83], v[84:85], 1.0
	s_delay_alu instid0(VALU_DEP_1) | instskip(NEXT) | instid1(VALU_DEP_1)
	v_fmac_f64_e32 v[84:85], v[76:77], v[84:85]
	v_mul_f64_e32 v[76:77], v[88:89], v[84:85]
	s_delay_alu instid0(VALU_DEP_1) | instskip(NEXT) | instid1(VALU_DEP_1)
	v_mul_f64_e32 v[90:91], v[82:83], v[76:77]
	v_fma_f64 v[80:81], v[76:77], v[82:83], -v[90:91]
	s_delay_alu instid0(VALU_DEP_1) | instskip(NEXT) | instid1(VALU_DEP_1)
	v_fmac_f64_e32 v[80:81], v[76:77], v[78:79]
	v_add_f64_e32 v[92:93], v[90:91], v[80:81]
	s_delay_alu instid0(VALU_DEP_1) | instskip(SKIP_1) | instid1(VALU_DEP_2)
	v_add_f64_e64 v[94:95], v[88:89], -v[92:93]
	v_add_f64_e64 v[86:87], v[92:93], -v[90:91]
	;; [unrolled: 1-line block ×3, first 2 shown]
	s_delay_alu instid0(VALU_DEP_2) | instskip(NEXT) | instid1(VALU_DEP_2)
	v_add_f64_e64 v[80:81], v[86:87], -v[80:81]
	v_add_f64_e64 v[88:89], v[88:89], -v[92:93]
	s_delay_alu instid0(VALU_DEP_1) | instskip(NEXT) | instid1(VALU_DEP_1)
	v_add_f64_e32 v[2:3], v[2:3], v[88:89]
	v_add_f64_e32 v[2:3], v[80:81], v[2:3]
	s_delay_alu instid0(VALU_DEP_1) | instskip(NEXT) | instid1(VALU_DEP_1)
	v_add_f64_e32 v[80:81], v[94:95], v[2:3]
	v_mul_f64_e32 v[86:87], v[84:85], v[80:81]
	v_add_f64_e64 v[92:93], v[94:95], -v[80:81]
	s_delay_alu instid0(VALU_DEP_2) | instskip(NEXT) | instid1(VALU_DEP_2)
	v_mul_f64_e32 v[88:89], v[82:83], v[86:87]
	v_add_f64_e32 v[2:3], v[2:3], v[92:93]
	s_delay_alu instid0(VALU_DEP_2) | instskip(NEXT) | instid1(VALU_DEP_1)
	v_fma_f64 v[82:83], v[86:87], v[82:83], -v[88:89]
	v_fmac_f64_e32 v[82:83], v[86:87], v[78:79]
	s_delay_alu instid0(VALU_DEP_1) | instskip(NEXT) | instid1(VALU_DEP_1)
	v_add_f64_e32 v[78:79], v[88:89], v[82:83]
	v_add_f64_e64 v[90:91], v[80:81], -v[78:79]
	v_add_f64_e64 v[88:89], v[78:79], -v[88:89]
	s_delay_alu instid0(VALU_DEP_2) | instskip(NEXT) | instid1(VALU_DEP_1)
	v_add_f64_e64 v[80:81], v[80:81], -v[90:91]
	v_add_f64_e64 v[78:79], v[80:81], -v[78:79]
	s_delay_alu instid0(VALU_DEP_3) | instskip(NEXT) | instid1(VALU_DEP_2)
	v_add_f64_e64 v[80:81], v[88:89], -v[82:83]
	v_add_f64_e32 v[2:3], v[2:3], v[78:79]
	v_add_f64_e32 v[78:79], v[76:77], v[86:87]
	s_delay_alu instid0(VALU_DEP_2) | instskip(NEXT) | instid1(VALU_DEP_2)
	v_add_f64_e32 v[2:3], v[80:81], v[2:3]
	v_add_f64_e64 v[76:77], v[78:79], -v[76:77]
	s_delay_alu instid0(VALU_DEP_2) | instskip(NEXT) | instid1(VALU_DEP_2)
	v_add_f64_e32 v[2:3], v[90:91], v[2:3]
	v_add_f64_e64 v[76:77], v[86:87], -v[76:77]
	s_delay_alu instid0(VALU_DEP_2) | instskip(NEXT) | instid1(VALU_DEP_1)
	v_mul_f64_e32 v[2:3], v[84:85], v[2:3]
	v_add_f64_e32 v[2:3], v[76:77], v[2:3]
	s_delay_alu instid0(VALU_DEP_1) | instskip(NEXT) | instid1(VALU_DEP_1)
	v_add_f64_e32 v[76:77], v[78:79], v[2:3]
	v_mul_f64_e32 v[80:81], v[76:77], v[76:77]
	s_delay_alu instid0(VALU_DEP_1) | instskip(SKIP_1) | instid1(VALU_DEP_2)
	v_fmamk_f64 v[82:83], v[80:81], 0x3fc3ab76bf559e2b, v[24:25]
	v_mul_f64_e32 v[84:85], v[76:77], v[80:81]
	v_fmaak_f64 v[82:83], v[80:81], v[82:83], 0x3fc7474dd7f4df2e
	s_delay_alu instid0(VALU_DEP_1) | instskip(NEXT) | instid1(VALU_DEP_1)
	v_fmaak_f64 v[82:83], v[80:81], v[82:83], 0x3fcc71c016291751
	v_fmaak_f64 v[82:83], v[80:81], v[82:83], 0x3fd249249b27acf1
	s_delay_alu instid0(VALU_DEP_1) | instskip(NEXT) | instid1(VALU_DEP_1)
	v_fmaak_f64 v[82:83], v[80:81], v[82:83], 0x3fd99999998ef7b6
	v_fmaak_f64 v[80:81], v[80:81], v[82:83], 0x3fe5555555555780
	v_ldexp_f64 v[82:83], v[76:77], 1
	v_add_f64_e64 v[76:77], v[76:77], -v[78:79]
	s_delay_alu instid0(VALU_DEP_3) | instskip(SKIP_1) | instid1(VALU_DEP_3)
	v_mul_f64_e32 v[80:81], v[84:85], v[80:81]
	v_cvt_f64_i32_e32 v[84:85], v96
	v_add_f64_e64 v[2:3], v[2:3], -v[76:77]
	s_delay_alu instid0(VALU_DEP_3) | instskip(NEXT) | instid1(VALU_DEP_3)
	v_add_f64_e32 v[78:79], v[82:83], v[80:81]
	v_mul_f64_e32 v[86:87], 0x3fe62e42fefa39ef, v[84:85]
	s_delay_alu instid0(VALU_DEP_3) | instskip(NEXT) | instid1(VALU_DEP_3)
	v_ldexp_f64 v[2:3], v[2:3], 1
	v_add_f64_e64 v[76:77], v[78:79], -v[82:83]
	s_delay_alu instid0(VALU_DEP_3) | instskip(NEXT) | instid1(VALU_DEP_2)
	v_fma_f64 v[82:83], v[84:85], s[24:25], -v[86:87]
	v_add_f64_e64 v[76:77], v[80:81], -v[76:77]
	s_delay_alu instid0(VALU_DEP_2) | instskip(NEXT) | instid1(VALU_DEP_2)
	v_fmac_f64_e32 v[82:83], 0x3c7abc9e3b39803f, v[84:85]
	v_add_f64_e32 v[2:3], v[2:3], v[76:77]
	s_delay_alu instid0(VALU_DEP_2) | instskip(NEXT) | instid1(VALU_DEP_2)
	v_add_f64_e32 v[76:77], v[86:87], v[82:83]
	v_add_f64_e32 v[80:81], v[78:79], v[2:3]
	s_delay_alu instid0(VALU_DEP_2) | instskip(NEXT) | instid1(VALU_DEP_2)
	v_add_f64_e64 v[86:87], v[76:77], -v[86:87]
	v_add_f64_e32 v[84:85], v[76:77], v[80:81]
	v_add_f64_e64 v[78:79], v[80:81], -v[78:79]
	s_delay_alu instid0(VALU_DEP_3) | instskip(NEXT) | instid1(VALU_DEP_3)
	v_add_f64_e64 v[82:83], v[82:83], -v[86:87]
	v_add_f64_e64 v[88:89], v[84:85], -v[76:77]
	s_delay_alu instid0(VALU_DEP_3) | instskip(NEXT) | instid1(VALU_DEP_2)
	v_add_f64_e64 v[2:3], v[2:3], -v[78:79]
	v_add_f64_e64 v[90:91], v[84:85], -v[88:89]
	;; [unrolled: 1-line block ×3, first 2 shown]
	s_delay_alu instid0(VALU_DEP_3) | instskip(NEXT) | instid1(VALU_DEP_3)
	v_add_f64_e32 v[80:81], v[82:83], v[2:3]
	v_add_f64_e64 v[76:77], v[76:77], -v[90:91]
	s_delay_alu instid0(VALU_DEP_1) | instskip(NEXT) | instid1(VALU_DEP_3)
	v_add_f64_e32 v[76:77], v[78:79], v[76:77]
	v_add_f64_e64 v[78:79], v[80:81], -v[82:83]
	s_delay_alu instid0(VALU_DEP_2) | instskip(NEXT) | instid1(VALU_DEP_2)
	v_add_f64_e32 v[76:77], v[80:81], v[76:77]
	v_add_f64_e64 v[80:81], v[80:81], -v[78:79]
	v_add_f64_e64 v[2:3], v[2:3], -v[78:79]
	s_delay_alu instid0(VALU_DEP_3) | instskip(NEXT) | instid1(VALU_DEP_3)
	v_add_f64_e32 v[86:87], v[84:85], v[76:77]
	v_add_f64_e64 v[78:79], v[82:83], -v[80:81]
	s_delay_alu instid0(VALU_DEP_2) | instskip(NEXT) | instid1(VALU_DEP_2)
	v_add_f64_e64 v[80:81], v[86:87], -v[84:85]
	v_add_f64_e32 v[2:3], v[2:3], v[78:79]
	s_delay_alu instid0(VALU_DEP_2) | instskip(NEXT) | instid1(VALU_DEP_1)
	v_add_f64_e64 v[76:77], v[76:77], -v[80:81]
	v_add_f64_e32 v[2:3], v[2:3], v[76:77]
	s_delay_alu instid0(VALU_DEP_1) | instskip(NEXT) | instid1(VALU_DEP_1)
	v_add_f64_e32 v[2:3], v[86:87], v[2:3]
	v_mul_f64_e32 v[2:3], 0.5, v[2:3]
	s_delay_alu instid0(VALU_DEP_1)
	v_cndmask_b32_e64 v3, 0x7ff00000, v3, s9
	s_and_b32 s9, s11, s9
	s_delay_alu instid0(VALU_DEP_2) | instid1(SALU_CYCLE_1)
	v_cndmask_b32_e64 v2, 0, v2, s9
	s_delay_alu instid0(VALU_DEP_2) | instskip(NEXT) | instid1(VALU_DEP_1)
	v_cndmask_b32_e64 v3, 0x7ff80000, v3, s10
	v_cndmask_b32_e64 v3, 0xfff00000, v3, s12
.LBB209_39:                             ;   in Loop: Header=BB209_4 Depth=1
	s_or_b32 exec_lo, exec_lo, s45
	s_delay_alu instid0(SALU_CYCLE_1) | instskip(SKIP_1) | instid1(SALU_CYCLE_1)
	s_or_b32 exec_lo, exec_lo, s44
	s_and_saveexec_b32 s9, vcc_lo
	s_xor_b32 s10, exec_lo, s9
	s_cbranch_execz .LBB209_33
.LBB209_40:                             ;   in Loop: Header=BB209_4 Depth=1
	v_max_num_f64_e64 v[72:73], |v[48:49]|, |v[48:49]|
	v_cmp_eq_f64_e64 s9, 0, v[16:17]
	s_delay_alu instid0(VALU_DEP_2) | instskip(NEXT) | instid1(VALU_DEP_1)
	v_min_num_f64_e32 v[50:51], v[72:73], v[50:51]
	v_div_scale_f64 v[72:73], null, v[52:53], v[52:53], v[50:51]
	v_div_scale_f64 v[80:81], vcc_lo, v[50:51], v[52:53], v[50:51]
	s_delay_alu instid0(VALU_DEP_2) | instskip(SKIP_1) | instid1(TRANS32_DEP_1)
	v_rcp_f64_e32 v[76:77], v[72:73]
	v_nop
	v_fma_f64 v[78:79], -v[72:73], v[76:77], 1.0
	s_delay_alu instid0(VALU_DEP_1) | instskip(NEXT) | instid1(VALU_DEP_1)
	v_fmac_f64_e32 v[76:77], v[76:77], v[78:79]
	v_fma_f64 v[78:79], -v[72:73], v[76:77], 1.0
	s_delay_alu instid0(VALU_DEP_1) | instskip(NEXT) | instid1(VALU_DEP_1)
	v_fmac_f64_e32 v[76:77], v[76:77], v[78:79]
	v_mul_f64_e32 v[78:79], v[80:81], v[76:77]
	s_delay_alu instid0(VALU_DEP_1) | instskip(NEXT) | instid1(VALU_DEP_1)
	v_fma_f64 v[72:73], -v[72:73], v[78:79], v[80:81]
	v_div_fmas_f64 v[72:73], v[72:73], v[76:77], v[78:79]
	v_cmp_lt_f64_e64 vcc_lo, |v[48:49]|, |v[16:17]|
	v_ashrrev_i32_e32 v48, 31, v49
	s_delay_alu instid0(VALU_DEP_1) | instskip(NEXT) | instid1(VALU_DEP_4)
	v_and_b32_e32 v16, 0x400921fb, v48
	v_div_fixup_f64 v[50:51], v[72:73], v[52:53], v[50:51]
	s_delay_alu instid0(VALU_DEP_1) | instskip(NEXT) | instid1(VALU_DEP_1)
	v_mul_f64_e32 v[52:53], v[50:51], v[50:51]
	v_fmamk_f64 v[72:73], v[52:53], 0x3eeba404b5e68a13, v[26:27]
	s_delay_alu instid0(VALU_DEP_1) | instskip(NEXT) | instid1(VALU_DEP_1)
	v_fmaak_f64 v[72:73], v[52:53], v[72:73], 0x3f4b2bb069efb384
	v_fmaak_f64 v[72:73], v[52:53], v[72:73], 0xbf67952daf56de9b
	s_delay_alu instid0(VALU_DEP_1) | instskip(NEXT) | instid1(VALU_DEP_1)
	v_fmaak_f64 v[72:73], v[52:53], v[72:73], 0x3f7d6d43a595c56f
	v_fmaak_f64 v[72:73], v[52:53], v[72:73], 0xbf8c6ea4a57d9582
	;; [unrolled: 3-line block ×9, first 2 shown]
	s_delay_alu instid0(VALU_DEP_1) | instskip(SKIP_1) | instid1(VALU_DEP_2)
	v_mul_f64_e32 v[52:53], v[52:53], v[72:73]
	v_and_b32_e32 v72, 0x54442d18, v48
	v_fmac_f64_e32 v[50:51], v[50:51], v[52:53]
	s_delay_alu instid0(VALU_DEP_1) | instskip(NEXT) | instid1(VALU_DEP_1)
	v_add_f64_e64 v[52:53], -v[50:51], s[26:27]
	v_dual_cndmask_b32 v51, v51, v53 :: v_dual_cndmask_b32 v50, v50, v52
	v_cmp_gt_i32_e32 vcc_lo, 0, v49
	s_delay_alu instid0(VALU_DEP_2) | instskip(SKIP_1) | instid1(VALU_DEP_2)
	v_add_f64_e64 v[52:53], -v[50:51], s[34:35]
	v_cndmask_b32_e32 v49, 0x54442d18, v74, vcc_lo
	v_cndmask_b32_e32 v48, v51, v53, vcc_lo
	;; [unrolled: 1-line block ×3, first 2 shown]
	s_delay_alu instid0(VALU_DEP_2)
	v_cndmask_b32_e64 v16, v48, v16, s9
	v_cndmask_b32_e32 v50, v50, v52, vcc_lo
	s_and_b32 vcc_lo, s13, s33
	s_delay_alu instid0(VALU_DEP_1) | instid1(SALU_CYCLE_1)
	v_dual_cndmask_b32 v16, v16, v51, vcc_lo :: v_dual_cndmask_b32 v50, v50, v72, s9
	s_delay_alu instid0(VALU_DEP_1) | instskip(NEXT) | instid1(VALU_DEP_2)
	v_cndmask_b32_e32 v48, v50, v49, vcc_lo
	v_cndmask_b32_e64 v49, v16, 0x7ff80000, s5
	s_delay_alu instid0(VALU_DEP_2) | instskip(NEXT) | instid1(VALU_DEP_2)
	v_cndmask_b32_e64 v16, v48, 0, s5
	v_bfi_b32 v17, 0x7fffffff, v49, v17
	global_store_b128 v[46:47], v[14:17], off
	s_wait_xcnt 0x0
	s_or_b32 exec_lo, exec_lo, s10
	s_and_saveexec_b32 s5, s4
	s_cbranch_execz .LBB209_34
.LBB209_41:                             ;   in Loop: Header=BB209_4 Depth=1
	v_max_num_f64_e64 v[14:15], |v[54:55]|, |v[54:55]|
	v_cmp_eq_f64_e64 s4, 0, v[12:13]
	s_delay_alu instid0(VALU_DEP_2) | instskip(NEXT) | instid1(VALU_DEP_1)
	v_min_num_f64_e32 v[14:15], v[14:15], v[56:57]
	v_div_scale_f64 v[16:17], null, v[58:59], v[58:59], v[14:15]
	v_div_scale_f64 v[50:51], vcc_lo, v[14:15], v[58:59], v[14:15]
	s_delay_alu instid0(VALU_DEP_2) | instskip(SKIP_1) | instid1(TRANS32_DEP_1)
	v_rcp_f64_e32 v[46:47], v[16:17]
	v_nop
	v_fma_f64 v[48:49], -v[16:17], v[46:47], 1.0
	s_delay_alu instid0(VALU_DEP_1) | instskip(NEXT) | instid1(VALU_DEP_1)
	v_fmac_f64_e32 v[46:47], v[46:47], v[48:49]
	v_fma_f64 v[48:49], -v[16:17], v[46:47], 1.0
	s_delay_alu instid0(VALU_DEP_1) | instskip(NEXT) | instid1(VALU_DEP_1)
	v_fmac_f64_e32 v[46:47], v[46:47], v[48:49]
	v_mul_f64_e32 v[48:49], v[50:51], v[46:47]
	s_delay_alu instid0(VALU_DEP_1) | instskip(NEXT) | instid1(VALU_DEP_1)
	v_fma_f64 v[16:17], -v[16:17], v[48:49], v[50:51]
	v_div_fmas_f64 v[16:17], v[16:17], v[46:47], v[48:49]
	v_cmp_lt_f64_e64 vcc_lo, |v[54:55]|, |v[12:13]|
	s_delay_alu instid0(VALU_DEP_2) | instskip(NEXT) | instid1(VALU_DEP_1)
	v_div_fixup_f64 v[14:15], v[16:17], v[58:59], v[14:15]
	v_mul_f64_e32 v[16:17], v[14:15], v[14:15]
	s_delay_alu instid0(VALU_DEP_1) | instskip(NEXT) | instid1(VALU_DEP_1)
	v_fmamk_f64 v[46:47], v[16:17], 0x3eeba404b5e68a13, v[26:27]
	v_fmaak_f64 v[46:47], v[16:17], v[46:47], 0x3f4b2bb069efb384
	s_delay_alu instid0(VALU_DEP_1) | instskip(NEXT) | instid1(VALU_DEP_1)
	v_fmaak_f64 v[46:47], v[16:17], v[46:47], 0xbf67952daf56de9b
	v_fmaak_f64 v[46:47], v[16:17], v[46:47], 0x3f7d6d43a595c56f
	s_delay_alu instid0(VALU_DEP_1) | instskip(NEXT) | instid1(VALU_DEP_1)
	v_fmaak_f64 v[46:47], v[16:17], v[46:47], 0xbf8c6ea4a57d9582
	;; [unrolled: 3-line block ×9, first 2 shown]
	v_mul_f64_e32 v[16:17], v[16:17], v[46:47]
	v_ashrrev_i32_e32 v46, 31, v55
	s_delay_alu instid0(VALU_DEP_1) | instskip(SKIP_1) | instid1(VALU_DEP_4)
	v_and_b32_e32 v12, 0x400921fb, v46
	v_and_b32_e32 v48, 0x54442d18, v46
	v_fmac_f64_e32 v[14:15], v[14:15], v[16:17]
	s_delay_alu instid0(VALU_DEP_1) | instskip(NEXT) | instid1(VALU_DEP_1)
	v_add_f64_e64 v[16:17], -v[14:15], s[26:27]
	v_dual_cndmask_b32 v15, v15, v17 :: v_dual_cndmask_b32 v14, v14, v16
	v_cmp_gt_i32_e32 vcc_lo, 0, v55
	s_delay_alu instid0(VALU_DEP_2) | instskip(SKIP_1) | instid1(VALU_DEP_2)
	v_add_f64_e64 v[16:17], -v[14:15], s[34:35]
	v_cndmask_b32_e32 v47, 0x54442d18, v74, vcc_lo
	v_dual_cndmask_b32 v14, v14, v16 :: v_dual_cndmask_b32 v15, v15, v17
	v_cndmask_b32_e32 v16, 0x3fe921fb, v75, vcc_lo
	s_and_b32 vcc_lo, s38, s39
	s_delay_alu instid0(VALU_DEP_2) | instskip(NEXT) | instid1(VALU_DEP_1)
	v_cndmask_b32_e64 v14, v14, v48, s4
	v_dual_cndmask_b32 v12, v15, v12, s4 :: v_dual_cndmask_b32 v14, v14, v47, vcc_lo
	s_delay_alu instid0(VALU_DEP_1) | instskip(NEXT) | instid1(VALU_DEP_1)
	v_cndmask_b32_e32 v12, v12, v16, vcc_lo
	v_cndmask_b32_e64 v15, v12, 0x7ff80000, s6
	s_delay_alu instid0(VALU_DEP_3) | instskip(NEXT) | instid1(VALU_DEP_2)
	v_cndmask_b32_e64 v12, v14, 0, s6
	v_bfi_b32 v13, 0x7fffffff, v15, v13
	global_store_b128 v[44:45], v[10:13], off
	s_wait_xcnt 0x0
	s_or_b32 exec_lo, exec_lo, s5
	s_and_saveexec_b32 s4, s3
	s_cbranch_execz .LBB209_35
.LBB209_42:                             ;   in Loop: Header=BB209_4 Depth=1
	v_max_num_f64_e64 v[10:11], |v[60:61]|, |v[60:61]|
	v_cmp_eq_f64_e64 s3, 0, v[8:9]
	s_delay_alu instid0(VALU_DEP_2) | instskip(NEXT) | instid1(VALU_DEP_1)
	v_min_num_f64_e32 v[10:11], v[10:11], v[62:63]
	v_div_scale_f64 v[12:13], null, v[64:65], v[64:65], v[10:11]
	v_div_scale_f64 v[44:45], vcc_lo, v[10:11], v[64:65], v[10:11]
	s_delay_alu instid0(VALU_DEP_2) | instskip(SKIP_1) | instid1(TRANS32_DEP_1)
	v_rcp_f64_e32 v[14:15], v[12:13]
	v_nop
	v_fma_f64 v[16:17], -v[12:13], v[14:15], 1.0
	s_delay_alu instid0(VALU_DEP_1) | instskip(NEXT) | instid1(VALU_DEP_1)
	v_fmac_f64_e32 v[14:15], v[14:15], v[16:17]
	v_fma_f64 v[16:17], -v[12:13], v[14:15], 1.0
	s_delay_alu instid0(VALU_DEP_1) | instskip(NEXT) | instid1(VALU_DEP_1)
	v_fmac_f64_e32 v[14:15], v[14:15], v[16:17]
	v_mul_f64_e32 v[16:17], v[44:45], v[14:15]
	s_delay_alu instid0(VALU_DEP_1) | instskip(NEXT) | instid1(VALU_DEP_1)
	v_fma_f64 v[12:13], -v[12:13], v[16:17], v[44:45]
	v_div_fmas_f64 v[12:13], v[12:13], v[14:15], v[16:17]
	v_cmp_lt_f64_e64 vcc_lo, |v[60:61]|, |v[8:9]|
	s_delay_alu instid0(VALU_DEP_2) | instskip(NEXT) | instid1(VALU_DEP_1)
	v_div_fixup_f64 v[10:11], v[12:13], v[64:65], v[10:11]
	v_mul_f64_e32 v[12:13], v[10:11], v[10:11]
	s_delay_alu instid0(VALU_DEP_1) | instskip(NEXT) | instid1(VALU_DEP_1)
	v_fmamk_f64 v[14:15], v[12:13], 0x3eeba404b5e68a13, v[26:27]
	v_fmaak_f64 v[14:15], v[12:13], v[14:15], 0x3f4b2bb069efb384
	s_delay_alu instid0(VALU_DEP_1) | instskip(NEXT) | instid1(VALU_DEP_1)
	v_fmaak_f64 v[14:15], v[12:13], v[14:15], 0xbf67952daf56de9b
	v_fmaak_f64 v[14:15], v[12:13], v[14:15], 0x3f7d6d43a595c56f
	s_delay_alu instid0(VALU_DEP_1) | instskip(NEXT) | instid1(VALU_DEP_1)
	v_fmaak_f64 v[14:15], v[12:13], v[14:15], 0xbf8c6ea4a57d9582
	;; [unrolled: 3-line block ×9, first 2 shown]
	v_dual_mul_f64 v[12:13], v[12:13], v[14:15] :: v_dual_ashrrev_i32 v14, 31, v61
	s_delay_alu instid0(VALU_DEP_1) | instskip(SKIP_1) | instid1(VALU_DEP_3)
	v_and_b32_e32 v8, 0x400921fb, v14
	v_and_b32_e32 v16, 0x54442d18, v14
	v_fmac_f64_e32 v[10:11], v[10:11], v[12:13]
	s_delay_alu instid0(VALU_DEP_1) | instskip(NEXT) | instid1(VALU_DEP_1)
	v_add_f64_e64 v[12:13], -v[10:11], s[26:27]
	v_dual_cndmask_b32 v11, v11, v13 :: v_dual_cndmask_b32 v10, v10, v12
	v_cmp_gt_i32_e32 vcc_lo, 0, v61
	s_delay_alu instid0(VALU_DEP_2) | instskip(SKIP_1) | instid1(VALU_DEP_2)
	v_add_f64_e64 v[12:13], -v[10:11], s[34:35]
	v_cndmask_b32_e32 v15, 0x54442d18, v74, vcc_lo
	v_cndmask_b32_e32 v11, v11, v13, vcc_lo
	s_delay_alu instid0(VALU_DEP_1) | instskip(NEXT) | instid1(VALU_DEP_4)
	v_cndmask_b32_e64 v8, v11, v8, s3
	v_cndmask_b32_e32 v10, v10, v12, vcc_lo
	v_cndmask_b32_e32 v12, 0x3fe921fb, v75, vcc_lo
	s_and_b32 vcc_lo, s40, s41
	s_delay_alu instid0(VALU_DEP_1) | instskip(NEXT) | instid1(VALU_DEP_3)
	v_cndmask_b32_e32 v8, v8, v12, vcc_lo
	v_cndmask_b32_e64 v10, v10, v16, s3
	s_delay_alu instid0(VALU_DEP_2) | instskip(NEXT) | instid1(VALU_DEP_2)
	v_cndmask_b32_e64 v11, v8, 0x7ff80000, s7
	v_cndmask_b32_e32 v10, v10, v15, vcc_lo
	s_delay_alu instid0(VALU_DEP_2) | instskip(NEXT) | instid1(VALU_DEP_2)
	v_bfi_b32 v9, 0x7fffffff, v11, v9
	v_cndmask_b32_e64 v8, v10, 0, s7
	global_store_b128 v[42:43], v[6:9], off offset:-8
	s_wait_xcnt 0x0
	s_or_b32 exec_lo, exec_lo, s4
	s_and_saveexec_b32 s3, s2
	s_cbranch_execz .LBB209_3
.LBB209_43:                             ;   in Loop: Header=BB209_4 Depth=1
	v_max_num_f64_e64 v[6:7], |v[66:67]|, |v[66:67]|
	v_cmp_eq_f64_e64 s2, 0, v[4:5]
	s_delay_alu instid0(VALU_DEP_2) | instskip(NEXT) | instid1(VALU_DEP_1)
	v_min_num_f64_e32 v[6:7], v[6:7], v[68:69]
	v_div_scale_f64 v[8:9], null, v[70:71], v[70:71], v[6:7]
	v_div_scale_f64 v[14:15], vcc_lo, v[6:7], v[70:71], v[6:7]
	s_delay_alu instid0(VALU_DEP_2) | instskip(SKIP_1) | instid1(TRANS32_DEP_1)
	v_rcp_f64_e32 v[10:11], v[8:9]
	v_nop
	v_fma_f64 v[12:13], -v[8:9], v[10:11], 1.0
	s_delay_alu instid0(VALU_DEP_1) | instskip(NEXT) | instid1(VALU_DEP_1)
	v_fmac_f64_e32 v[10:11], v[10:11], v[12:13]
	v_fma_f64 v[12:13], -v[8:9], v[10:11], 1.0
	s_delay_alu instid0(VALU_DEP_1) | instskip(NEXT) | instid1(VALU_DEP_1)
	v_fmac_f64_e32 v[10:11], v[10:11], v[12:13]
	v_mul_f64_e32 v[12:13], v[14:15], v[10:11]
	s_delay_alu instid0(VALU_DEP_1) | instskip(NEXT) | instid1(VALU_DEP_1)
	v_fma_f64 v[8:9], -v[8:9], v[12:13], v[14:15]
	v_div_fmas_f64 v[8:9], v[8:9], v[10:11], v[12:13]
	v_cmp_lt_f64_e64 vcc_lo, |v[66:67]|, |v[4:5]|
	s_delay_alu instid0(VALU_DEP_2) | instskip(NEXT) | instid1(VALU_DEP_1)
	v_div_fixup_f64 v[6:7], v[8:9], v[70:71], v[6:7]
	v_mul_f64_e32 v[8:9], v[6:7], v[6:7]
	s_delay_alu instid0(VALU_DEP_1) | instskip(NEXT) | instid1(VALU_DEP_1)
	v_fmamk_f64 v[10:11], v[8:9], 0x3eeba404b5e68a13, v[26:27]
	v_fmaak_f64 v[10:11], v[8:9], v[10:11], 0x3f4b2bb069efb384
	s_delay_alu instid0(VALU_DEP_1) | instskip(NEXT) | instid1(VALU_DEP_1)
	v_fmaak_f64 v[10:11], v[8:9], v[10:11], 0xbf67952daf56de9b
	v_fmaak_f64 v[10:11], v[8:9], v[10:11], 0x3f7d6d43a595c56f
	s_delay_alu instid0(VALU_DEP_1) | instskip(NEXT) | instid1(VALU_DEP_1)
	v_fmaak_f64 v[10:11], v[8:9], v[10:11], 0xbf8c6ea4a57d9582
	v_fmaak_f64 v[10:11], v[8:9], v[10:11], 0x3f967e295f08b19f
	s_delay_alu instid0(VALU_DEP_1) | instskip(NEXT) | instid1(VALU_DEP_1)
	v_fmaak_f64 v[10:11], v[8:9], v[10:11], 0xbf9e9ae6fc27006a
	v_fmaak_f64 v[10:11], v[8:9], v[10:11], 0x3fa2c15b5711927a
	s_delay_alu instid0(VALU_DEP_1) | instskip(NEXT) | instid1(VALU_DEP_1)
	v_fmaak_f64 v[10:11], v[8:9], v[10:11], 0xbfa59976e82d3ff0
	v_fmaak_f64 v[10:11], v[8:9], v[10:11], 0x3fa82d5d6ef28734
	s_delay_alu instid0(VALU_DEP_1) | instskip(NEXT) | instid1(VALU_DEP_1)
	v_fmaak_f64 v[10:11], v[8:9], v[10:11], 0xbfaae5ce6a214619
	v_fmaak_f64 v[10:11], v[8:9], v[10:11], 0x3fae1bb48427b883
	s_delay_alu instid0(VALU_DEP_1) | instskip(NEXT) | instid1(VALU_DEP_1)
	v_fmaak_f64 v[10:11], v[8:9], v[10:11], 0xbfb110e48b207f05
	v_fmaak_f64 v[10:11], v[8:9], v[10:11], 0x3fb3b13657b87036
	s_delay_alu instid0(VALU_DEP_1) | instskip(NEXT) | instid1(VALU_DEP_1)
	v_fmaak_f64 v[10:11], v[8:9], v[10:11], 0xbfb745d119378e4f
	v_fmaak_f64 v[10:11], v[8:9], v[10:11], 0x3fbc71c717e1913c
	s_delay_alu instid0(VALU_DEP_1) | instskip(NEXT) | instid1(VALU_DEP_1)
	v_fmaak_f64 v[10:11], v[8:9], v[10:11], 0xbfc2492492376b7d
	v_fmaak_f64 v[10:11], v[8:9], v[10:11], 0x3fc99999999952cc
	s_delay_alu instid0(VALU_DEP_1) | instskip(NEXT) | instid1(VALU_DEP_1)
	v_fmaak_f64 v[10:11], v[8:9], v[10:11], 0xbfd5555555555523
	v_mul_f64_e32 v[8:9], v[8:9], v[10:11]
	v_ashrrev_i32_e32 v10, 31, v67
	s_delay_alu instid0(VALU_DEP_1) | instskip(SKIP_1) | instid1(VALU_DEP_4)
	v_and_b32_e32 v4, 0x400921fb, v10
	v_and_b32_e32 v12, 0x54442d18, v10
	v_fmac_f64_e32 v[6:7], v[6:7], v[8:9]
	s_delay_alu instid0(VALU_DEP_1) | instskip(NEXT) | instid1(VALU_DEP_1)
	v_add_f64_e64 v[8:9], -v[6:7], s[26:27]
	v_dual_cndmask_b32 v7, v7, v9 :: v_dual_cndmask_b32 v6, v6, v8
	v_cmp_gt_i32_e32 vcc_lo, 0, v67
	s_delay_alu instid0(VALU_DEP_2) | instskip(SKIP_1) | instid1(VALU_DEP_2)
	v_add_f64_e64 v[8:9], -v[6:7], s[34:35]
	v_cndmask_b32_e32 v11, 0x54442d18, v74, vcc_lo
	v_dual_cndmask_b32 v6, v6, v8 :: v_dual_cndmask_b32 v7, v7, v9
	v_cndmask_b32_e32 v8, 0x3fe921fb, v75, vcc_lo
	s_and_b32 vcc_lo, s42, s43
	s_delay_alu instid0(VALU_DEP_2) | instskip(NEXT) | instid1(VALU_DEP_1)
	v_cndmask_b32_e64 v6, v6, v12, s2
	v_dual_cndmask_b32 v4, v7, v4, s2 :: v_dual_cndmask_b32 v6, v6, v11, vcc_lo
	s_delay_alu instid0(VALU_DEP_1) | instskip(NEXT) | instid1(VALU_DEP_1)
	v_cndmask_b32_e32 v4, v4, v8, vcc_lo
	v_cndmask_b32_e64 v7, v4, 0x7ff80000, s8
	s_delay_alu instid0(VALU_DEP_3) | instskip(NEXT) | instid1(VALU_DEP_2)
	v_cndmask_b32_e64 v4, v6, 0, s8
	v_bfi_b32 v5, 0x7fffffff, v7, v5
	global_store_b128 v[40:41], v[2:5], off offset:-8
	s_branch .LBB209_3
.LBB209_44:
	s_cbranch_execz .LBB209_46
	s_branch .LBB209_73
.LBB209_45:
.LBB209_46:
	v_min_i64 v[18:19], 0x10000, s[18:19]
	v_dual_mov_b32 v3, 0 :: v_dual_lshlrev_b32 v2, 2, v0
	s_mov_b32 s2, exec_lo
	s_delay_alu instid0(VALU_DEP_1)
	v_cmpx_lt_i64_e64 v[2:3], v[18:19]
	s_cbranch_execz .LBB209_73
; %bb.47:
	s_load_b32 s2, s[0:1], 0xd3c
	v_dual_mov_b32 v1, v3 :: v_dual_lshlrev_b32 v2, 6, v0
	s_wait_xcnt 0x0
	s_add_nc_u64 s[0:1], s[14:15], s[16:17]
	v_mov_b64_e32 v[20:21], 0x3fc385386b47b09a
	v_mov_b64_e32 v[22:23], 0xbf23e260bd3237f4
	v_mov_b32_e32 v52, 0x7f3321d2
	v_add_nc_u64_e32 v[24:25], s[0:1], v[2:3]
	v_mov_b32_e32 v53, 0x4002d97c
	s_mov_b32 s13, 0
	s_mov_b64 s[14:15], 0x3fe5555555555555
	s_mov_b64 s[16:17], 0x3fe62e42fefa39ef
	;; [unrolled: 1-line block ×4, first 2 shown]
	s_mov_b32 s23, s13
	s_mov_b32 s11, s13
                                        ; implicit-def: $vgpr2_vgpr3
                                        ; implicit-def: $vgpr2_vgpr3
	;; [unrolled: 1-line block ×23, first 2 shown]
	s_wait_kmcnt 0x0
	s_and_b32 s12, s2, 0xffff
	s_delay_alu instid0(SALU_CYCLE_1)
	s_lshl_b32 s22, s12, 6
	s_branch .LBB209_50
.LBB209_48:                             ;   in Loop: Header=BB209_50 Depth=1
	s_or_b32 exec_lo, exec_lo, s7
.LBB209_49:                             ;   in Loop: Header=BB209_50 Depth=1
	s_delay_alu instid0(SALU_CYCLE_1)
	s_or_b32 exec_lo, exec_lo, s6
	v_max_num_f64_e64 v[50:51], |v[38:39]|, |v[38:39]|
	v_max_num_f64_e64 v[54:55], |v[32:33]|, |v[32:33]|
	;; [unrolled: 1-line block ×4, first 2 shown]
	v_cmp_eq_f64_e64 s8, 0, v[12:13]
	v_cmp_eq_f64_e64 s7, 0, v[16:17]
	;; [unrolled: 1-line block ×4, first 2 shown]
	v_add_nc_u64_e32 v[0:1], s[12:13], v[0:1]
	v_min_num_f64_e32 v[42:43], v[50:51], v[42:43]
	v_min_num_f64_e32 v[36:37], v[54:55], v[36:37]
	;; [unrolled: 1-line block ×4, first 2 shown]
	s_delay_alu instid0(VALU_DEP_4) | instskip(NEXT) | instid1(VALU_DEP_4)
	v_div_scale_f64 v[50:51], null, v[40:41], v[40:41], v[42:43]
	v_div_scale_f64 v[54:55], null, v[34:35], v[34:35], v[36:37]
	s_delay_alu instid0(VALU_DEP_4) | instskip(NEXT) | instid1(VALU_DEP_4)
	v_div_scale_f64 v[58:59], null, v[46:47], v[46:47], v[48:49]
	v_div_scale_f64 v[56:57], null, v[28:29], v[28:29], v[30:31]
	v_div_scale_f64 v[76:77], vcc_lo, v[42:43], v[40:41], v[42:43]
	v_rcp_f64_e32 v[60:61], v[50:51]
	s_delay_alu instid0(VALU_DEP_4) | instskip(NEXT) | instid1(VALU_DEP_3)
	v_rcp_f64_e32 v[62:63], v[54:55]
	v_rcp_f64_e32 v[66:67], v[58:59]
	s_delay_alu instid0(VALU_DEP_2) | instskip(SKIP_1) | instid1(TRANS32_DEP_3)
	v_rcp_f64_e32 v[64:65], v[56:57]
	v_fma_f64 v[68:69], -v[50:51], v[60:61], 1.0
	v_fma_f64 v[70:71], -v[54:55], v[62:63], 1.0
	s_delay_alu instid0(TRANS32_DEP_2) | instskip(NEXT) | instid1(TRANS32_DEP_1)
	v_fma_f64 v[74:75], -v[58:59], v[66:67], 1.0
	v_fma_f64 v[72:73], -v[56:57], v[64:65], 1.0
	s_delay_alu instid0(VALU_DEP_4) | instskip(NEXT) | instid1(VALU_DEP_4)
	v_fmac_f64_e32 v[60:61], v[60:61], v[68:69]
	v_fmac_f64_e32 v[62:63], v[62:63], v[70:71]
	s_delay_alu instid0(VALU_DEP_4) | instskip(NEXT) | instid1(VALU_DEP_4)
	v_fmac_f64_e32 v[66:67], v[66:67], v[74:75]
	v_fmac_f64_e32 v[64:65], v[64:65], v[72:73]
	s_delay_alu instid0(VALU_DEP_4) | instskip(NEXT) | instid1(VALU_DEP_4)
	v_fma_f64 v[68:69], -v[50:51], v[60:61], 1.0
	v_fma_f64 v[70:71], -v[54:55], v[62:63], 1.0
	s_delay_alu instid0(VALU_DEP_4) | instskip(NEXT) | instid1(VALU_DEP_4)
	v_fma_f64 v[74:75], -v[58:59], v[66:67], 1.0
	v_fma_f64 v[72:73], -v[56:57], v[64:65], 1.0
	s_delay_alu instid0(VALU_DEP_4)
	v_fmac_f64_e32 v[60:61], v[60:61], v[68:69]
	v_div_scale_f64 v[68:69], s4, v[36:37], v[34:35], v[36:37]
	v_fmac_f64_e32 v[62:63], v[62:63], v[70:71]
	v_fmac_f64_e32 v[66:67], v[66:67], v[74:75]
	v_div_scale_f64 v[70:71], s5, v[30:31], v[28:29], v[30:31]
	v_fmac_f64_e32 v[64:65], v[64:65], v[72:73]
	v_div_scale_f64 v[72:73], s6, v[48:49], v[46:47], v[48:49]
	v_mul_f64_e32 v[74:75], v[76:77], v[60:61]
	v_mul_f64_e32 v[78:79], v[68:69], v[62:63]
	s_delay_alu instid0(VALU_DEP_4) | instskip(NEXT) | instid1(VALU_DEP_3)
	v_mul_f64_e32 v[80:81], v[70:71], v[64:65]
	v_fma_f64 v[50:51], -v[50:51], v[74:75], v[76:77]
	s_delay_alu instid0(VALU_DEP_3) | instskip(NEXT) | instid1(VALU_DEP_2)
	v_fma_f64 v[54:55], -v[54:55], v[78:79], v[68:69]
	v_div_fmas_f64 v[50:51], v[50:51], v[60:61], v[74:75]
	s_mov_b32 vcc_lo, s4
	v_cmp_lt_f64_e64 s4, |v[32:33]|, |v[12:13]|
	s_delay_alu instid0(VALU_DEP_3) | instskip(SKIP_4) | instid1(VALU_DEP_2)
	v_div_fmas_f64 v[54:55], v[54:55], v[62:63], v[78:79]
	s_mov_b32 vcc_lo, s5
	v_cmp_lt_f64_e64 s5, |v[26:27]|, |v[4:5]|
	v_dual_fma_f64 v[56:57], -v[56:57], v[80:81], v[70:71] :: v_dual_ashrrev_i32 v26, 31, v39
	v_div_fixup_f64 v[40:41], v[50:51], v[40:41], v[42:43]
	v_div_fmas_f64 v[56:57], v[56:57], v[64:65], v[80:81]
	s_mov_b32 vcc_lo, s6
	v_cmp_lt_f64_e64 s6, |v[44:45]|, |v[8:9]|
	v_dual_mul_f64 v[82:83], v[72:73], v[66:67] :: v_dual_ashrrev_i32 v44, 31, v45
	s_delay_alu instid0(VALU_DEP_3) | instskip(NEXT) | instid1(VALU_DEP_2)
	v_div_fixup_f64 v[28:29], v[56:57], v[28:29], v[30:31]
	v_fma_f64 v[58:59], -v[58:59], v[82:83], v[72:73]
	s_delay_alu instid0(VALU_DEP_1) | instskip(SKIP_1) | instid1(VALU_DEP_2)
	v_div_fmas_f64 v[58:59], v[58:59], v[66:67], v[82:83]
	v_cmp_lt_f64_e64 vcc_lo, |v[38:39]|, |v[16:17]|
	v_div_fixup_f64 v[30:31], v[58:59], v[46:47], v[48:49]
	v_mul_f64_e32 v[46:47], v[28:29], v[28:29]
	s_delay_alu instid0(VALU_DEP_1) | instskip(NEXT) | instid1(VALU_DEP_1)
	v_fmamk_f64 v[56:57], v[46:47], 0x3eeba404b5e68a13, v[22:23]
	v_fmaak_f64 v[56:57], v[46:47], v[56:57], 0x3f4b2bb069efb384
	s_delay_alu instid0(VALU_DEP_1) | instskip(NEXT) | instid1(VALU_DEP_1)
	v_fmaak_f64 v[56:57], v[46:47], v[56:57], 0xbf67952daf56de9b
	v_fmaak_f64 v[56:57], v[46:47], v[56:57], 0x3f7d6d43a595c56f
	s_delay_alu instid0(VALU_DEP_1) | instskip(NEXT) | instid1(VALU_DEP_1)
	v_fmaak_f64 v[56:57], v[46:47], v[56:57], 0xbf8c6ea4a57d9582
	;; [unrolled: 3-line block ×9, first 2 shown]
	v_mul_f64_e32 v[46:47], v[46:47], v[56:57]
	s_delay_alu instid0(VALU_DEP_1) | instskip(NEXT) | instid1(VALU_DEP_1)
	v_fmac_f64_e32 v[28:29], v[28:29], v[46:47]
	v_add_f64_e64 v[46:47], -v[28:29], s[18:19]
	s_delay_alu instid0(VALU_DEP_1) | instskip(SKIP_2) | instid1(VALU_DEP_4)
	v_cndmask_b32_e64 v29, v29, v47, s5
	v_div_fixup_f64 v[34:35], v[54:55], v[34:35], v[36:37]
	v_mul_f64_e32 v[36:37], v[40:41], v[40:41]
	v_cndmask_b32_e64 v28, v28, v46, s5
	v_cmp_gt_i32_e64 s5, 0, v27
	v_ashrrev_i32_e32 v27, 31, v27
	s_delay_alu instid0(VALU_DEP_3) | instskip(SKIP_1) | instid1(VALU_DEP_2)
	v_add_f64_e64 v[46:47], -v[28:29], s[20:21]
	v_fmamk_f64 v[50:51], v[36:37], 0x3eeba404b5e68a13, v[22:23]
	v_cndmask_b32_e64 v12, v28, v46, s5
	s_delay_alu instid0(VALU_DEP_2) | instskip(SKIP_3) | instid1(VALU_DEP_4)
	v_fmaak_f64 v[50:51], v[36:37], v[50:51], 0x3f4b2bb069efb384
	v_and_b32_e32 v28, 0x54442d18, v44
	v_and_b32_e32 v46, 0x400921fb, v27
	;; [unrolled: 1-line block ×3, first 2 shown]
	v_fmaak_f64 v[50:51], v[36:37], v[50:51], 0xbf67952daf56de9b
	s_delay_alu instid0(VALU_DEP_1) | instskip(NEXT) | instid1(VALU_DEP_1)
	v_fmaak_f64 v[50:51], v[36:37], v[50:51], 0x3f7d6d43a595c56f
	v_fmaak_f64 v[50:51], v[36:37], v[50:51], 0xbf8c6ea4a57d9582
	s_delay_alu instid0(VALU_DEP_1) | instskip(NEXT) | instid1(VALU_DEP_1)
	v_fmaak_f64 v[50:51], v[36:37], v[50:51], 0x3f967e295f08b19f
	;; [unrolled: 3-line block ×8, first 2 shown]
	v_fmaak_f64 v[50:51], v[36:37], v[50:51], 0xbfd5555555555523
	s_delay_alu instid0(VALU_DEP_1) | instskip(SKIP_1) | instid1(VALU_DEP_2)
	v_mul_f64_e32 v[36:37], v[36:37], v[50:51]
	v_and_b32_e32 v51, 0x54442d18, v27
	v_fmac_f64_e32 v[40:41], v[40:41], v[36:37]
	s_delay_alu instid0(VALU_DEP_1) | instskip(NEXT) | instid1(VALU_DEP_1)
	v_add_f64_e64 v[36:37], -v[40:41], s[18:19]
	v_dual_cndmask_b32 v37, v41, v37 :: v_dual_cndmask_b32 v36, v40, v36
	v_cmp_gt_i32_e32 vcc_lo, 0, v39
	v_cndmask_b32_e64 v39, 0x54442d18, v52, s5
	s_delay_alu instid0(VALU_DEP_3) | instskip(SKIP_3) | instid1(VALU_DEP_4)
	v_add_f64_e64 v[40:41], -v[36:37], s[20:21]
	v_mul_f64_e32 v[42:43], v[34:35], v[34:35]
	v_cndmask_b32_e32 v32, 0x54442d18, v52, vcc_lo
	v_cndmask_b32_e32 v8, 0x3fe921fb, v53, vcc_lo
	v_dual_mul_f64 v[48:49], v[30:31], v[30:31] :: v_dual_cndmask_b32 v36, v36, v40, vcc_lo
	v_cndmask_b32_e32 v37, v37, v41, vcc_lo
	v_fmamk_f64 v[54:55], v[42:43], 0x3eeba404b5e68a13, v[22:23]
	s_and_b32 vcc_lo, s28, s29
	s_delay_alu instid0(VALU_DEP_1) | instskip(NEXT) | instid1(VALU_DEP_1)
	v_fmaak_f64 v[54:55], v[42:43], v[54:55], 0x3f4b2bb069efb384
	v_fmaak_f64 v[54:55], v[42:43], v[54:55], 0xbf67952daf56de9b
	s_delay_alu instid0(VALU_DEP_1) | instskip(NEXT) | instid1(VALU_DEP_1)
	v_fmaak_f64 v[54:55], v[42:43], v[54:55], 0x3f7d6d43a595c56f
	v_fmaak_f64 v[54:55], v[42:43], v[54:55], 0xbf8c6ea4a57d9582
	v_fmamk_f64 v[58:59], v[48:49], 0x3eeba404b5e68a13, v[22:23]
	s_delay_alu instid0(VALU_DEP_2) | instskip(NEXT) | instid1(VALU_DEP_2)
	v_fmaak_f64 v[54:55], v[42:43], v[54:55], 0x3f967e295f08b19f
	v_fmaak_f64 v[58:59], v[48:49], v[58:59], 0x3f4b2bb069efb384
	s_delay_alu instid0(VALU_DEP_2) | instskip(NEXT) | instid1(VALU_DEP_2)
	v_fmaak_f64 v[54:55], v[42:43], v[54:55], 0xbf9e9ae6fc27006a
	v_fmaak_f64 v[58:59], v[48:49], v[58:59], 0xbf67952daf56de9b
	;; [unrolled: 3-line block ×14, first 2 shown]
	s_delay_alu instid0(VALU_DEP_1) | instskip(NEXT) | instid1(VALU_DEP_1)
	v_fmaak_f64 v[58:59], v[48:49], v[58:59], 0x3fbc71c717e1913c
	v_fmaak_f64 v[58:59], v[48:49], v[58:59], 0xbfc2492492376b7d
	s_delay_alu instid0(VALU_DEP_1) | instskip(NEXT) | instid1(VALU_DEP_1)
	v_fmaak_f64 v[58:59], v[48:49], v[58:59], 0x3fc99999999952cc
	v_fmaak_f64 v[58:59], v[48:49], v[58:59], 0xbfd5555555555523
	s_delay_alu instid0(VALU_DEP_1) | instskip(NEXT) | instid1(VALU_DEP_1)
	v_mul_f64_e32 v[48:49], v[48:49], v[58:59]
	v_fmac_f64_e32 v[30:31], v[30:31], v[48:49]
	s_delay_alu instid0(VALU_DEP_1) | instskip(NEXT) | instid1(VALU_DEP_1)
	v_add_f64_e64 v[48:49], -v[30:31], s[18:19]
	v_dual_cndmask_b32 v31, v31, v49, s6 :: v_dual_cndmask_b32 v30, v30, v48, s6
	v_cmp_gt_i32_e64 s6, 0, v45
	v_and_b32_e32 v45, 0x54442d18, v26
	s_delay_alu instid0(VALU_DEP_3) | instskip(NEXT) | instid1(VALU_DEP_2)
	v_add_f64_e64 v[48:49], -v[30:31], s[20:21]
	v_dual_cndmask_b32 v29, v29, v47, s5 :: v_dual_cndmask_b32 v36, v36, v45, s7
	v_mul_f64_e32 v[42:43], v[42:43], v[54:55]
	v_cndmask_b32_e64 v4, 0x54442d18, v52, s6
	s_delay_alu instid0(VALU_DEP_3) | instskip(SKIP_3) | instid1(VALU_DEP_3)
	v_cndmask_b32_e32 v32, v36, v32, vcc_lo
	v_dual_cndmask_b32 v30, v30, v48, s6 :: v_dual_cndmask_b32 v31, v31, v49, s6
	v_cndmask_b32_e64 v48, 0x3fe921fb, v53, s6
	v_fmac_f64_e32 v[34:35], v[34:35], v[42:43]
	v_dual_cndmask_b32 v29, v29, v46, s9 :: v_dual_cndmask_b32 v28, v30, v28, s10
	s_delay_alu instid0(VALU_DEP_2) | instskip(NEXT) | instid1(VALU_DEP_1)
	v_add_f64_e64 v[42:43], -v[34:35], s[18:19]
	v_dual_cndmask_b32 v35, v35, v43, s4 :: v_dual_cndmask_b32 v34, v34, v42, s4
	v_cmp_gt_i32_e64 s4, 0, v33
	v_ashrrev_i32_e32 v33, 31, v33
	s_delay_alu instid0(VALU_DEP_3) | instskip(NEXT) | instid1(VALU_DEP_3)
	v_add_f64_e64 v[42:43], -v[34:35], s[20:21]
	v_cndmask_b32_e64 v38, 0x54442d18, v52, s4
	s_delay_alu instid0(VALU_DEP_3)
	v_and_b32_e32 v50, 0x54442d18, v33
	v_and_b32_e32 v33, 0x400921fb, v33
	v_cndmask_b32_e64 v40, 0x3fe921fb, v53, s4
	v_cndmask_b32_e64 v16, v34, v42, s4
	v_and_b32_e32 v34, 0x400921fb, v26
	v_cndmask_b32_e64 v35, v35, v43, s4
	v_cndmask_b32_e64 v12, v12, v51, s9
	;; [unrolled: 1-line block ×4, first 2 shown]
	s_delay_alu instid0(VALU_DEP_4) | instskip(SKIP_1) | instid1(VALU_DEP_2)
	v_dual_cndmask_b32 v34, v37, v34, s7 :: v_dual_cndmask_b32 v30, v35, v33, s8
	v_lshlrev_b64_e32 v[26:27], 2, v[0:1]
	v_cndmask_b32_e32 v8, v34, v8, vcc_lo
	s_and_b32 vcc_lo, s26, s27
	s_delay_alu instid0(VALU_DEP_3) | instskip(SKIP_1) | instid1(SALU_CYCLE_1)
	v_dual_cndmask_b32 v30, v30, v40 :: v_dual_cndmask_b32 v33, v16, v38
	s_and_b32 vcc_lo, s24, s25
	v_dual_cndmask_b32 v31, v31, v44, s10 :: v_dual_cndmask_b32 v29, v29, v42, vcc_lo
	v_cndmask_b32_e32 v34, v12, v39, vcc_lo
	s_and_b32 vcc_lo, s30, s31
	v_cndmask_b32_e64 v30, v30, 0x7ff80000, s1
	s_delay_alu instid0(VALU_DEP_3)
	v_cndmask_b32_e32 v31, v31, v48, vcc_lo
	v_cndmask_b32_e64 v29, v29, 0x7ff80000, s0
	v_cndmask_b32_e64 v8, v8, 0x7ff80000, s2
	v_cndmask_b32_e32 v28, v28, v4, vcc_lo
	v_cndmask_b32_e64 v4, v34, 0, s0
	v_cndmask_b32_e64 v31, v31, 0x7ff80000, s3
	v_bfi_b32 v5, 0x7fffffff, v29, v5
	v_cndmask_b32_e64 v12, v33, 0, s1
	v_bfi_b32 v13, 0x7fffffff, v30, v13
	;; [unrolled: 2-line block ×4, first 2 shown]
	v_cmp_ge_i64_e32 vcc_lo, v[26:27], v[18:19]
	s_clause 0x3
	global_store_b128 v[24:25], v[2:5], off
	global_store_b128 v[24:25], v[10:13], off offset:16
	global_store_b128 v[24:25], v[14:17], off offset:32
	;; [unrolled: 1-line block ×3, first 2 shown]
	s_wait_xcnt 0x0
	v_add_nc_u64_e32 v[24:25], s[22:23], v[24:25]
	s_or_b32 s11, vcc_lo, s11
	s_delay_alu instid0(SALU_CYCLE_1)
	s_and_not1_b32 exec_lo, exec_lo, s11
	s_cbranch_execz .LBB209_73
.LBB209_50:                             ; =>This Inner Loop Header: Depth=1
	global_load_b128 v[2:5], v[24:25], off
	s_wait_loadcnt 0x0
	v_max_num_f64_e64 v[6:7], |v[2:3]|, |v[2:3]|
	v_max_num_f64_e64 v[30:31], |v[4:5]|, |v[4:5]|
	v_cmp_class_f64_e64 s2, v[2:3], 0x204
	v_cmp_class_f64_e64 s24, v[4:5], 0x204
	s_delay_alu instid0(VALU_DEP_3) | instskip(SKIP_1) | instid1(VALU_DEP_1)
	v_max_num_f64_e32 v[6:7], v[6:7], v[30:31]
	s_or_b32 s2, s2, s24
	v_frexp_exp_i32_f64_e32 v36, v[6:7]
	s_delay_alu instid0(VALU_DEP_1) | instskip(NEXT) | instid1(VALU_DEP_1)
	v_sub_nc_u32_e32 v8, 0, v36
	v_ldexp_f64 v[6:7], |v[4:5]|, v8
	v_ldexp_f64 v[26:27], |v[2:3]|, v8
	s_delay_alu instid0(VALU_DEP_2)
	v_mul_f64_e32 v[28:29], v[6:7], v[6:7]
	s_clause 0x2
	global_load_b128 v[10:13], v[24:25], off offset:16
	global_load_b128 v[6:9], v[24:25], off offset:48
	;; [unrolled: 1-line block ×3, first 2 shown]
	v_fmac_f64_e32 v[28:29], v[26:27], v[26:27]
	s_delay_alu instid0(VALU_DEP_1) | instskip(SKIP_1) | instid1(TRANS32_DEP_1)
	v_rsq_f64_e32 v[26:27], v[28:29]
	v_cmp_eq_f64_e32 vcc_lo, 0, v[28:29]
	v_mul_f64_e32 v[32:33], v[28:29], v[26:27]
	v_mul_f64_e32 v[26:27], 0.5, v[26:27]
	s_delay_alu instid0(VALU_DEP_1) | instskip(NEXT) | instid1(VALU_DEP_1)
	v_fma_f64 v[34:35], -v[26:27], v[32:33], 0.5
	v_fmac_f64_e32 v[32:33], v[32:33], v[34:35]
	v_fmac_f64_e32 v[26:27], v[26:27], v[34:35]
	s_delay_alu instid0(VALU_DEP_2) | instskip(NEXT) | instid1(VALU_DEP_1)
	v_fma_f64 v[34:35], -v[32:33], v[32:33], v[28:29]
	v_fmac_f64_e32 v[32:33], v[34:35], v[26:27]
	s_delay_alu instid0(VALU_DEP_1) | instskip(NEXT) | instid1(VALU_DEP_2)
	v_dual_add_f64 v[26:27], 1.0, v[2:3] :: v_dual_cndmask_b32 v28, v32, v28, vcc_lo
	v_cndmask_b32_e32 v29, v33, v29, vcc_lo
	v_cmp_u_f64_e32 vcc_lo, v[2:3], v[4:5]
	s_delay_alu instid0(VALU_DEP_3) | instskip(SKIP_1) | instid1(VALU_DEP_4)
	v_cmp_u_f64_e64 s0, v[26:27], v[4:5]
	v_cmp_class_f64_e64 s25, v[26:27], 0x204
	v_ldexp_f64 v[32:33], v[28:29], v36
	v_max_num_f64_e64 v[28:29], |v[26:27]|, v[30:31]
	s_or_b32 s2, s2, vcc_lo
	s_delay_alu instid0(VALU_DEP_2) | instskip(SKIP_3) | instid1(SALU_CYCLE_1)
	v_cmp_ngt_f64_e64 s1, 0.5, v[32:33]
	s_or_b32 s1, s2, s1
	s_wait_xcnt 0x0
	s_and_saveexec_b32 s2, s1
	s_xor_b32 s1, exec_lo, s2
	s_cbranch_execz .LBB209_52
; %bb.51:                               ;   in Loop: Header=BB209_50 Depth=1
	v_frexp_exp_i32_f64_e32 v38, v[28:29]
	s_or_b32 s2, s25, s24
	s_delay_alu instid0(VALU_DEP_1) | instskip(NEXT) | instid1(VALU_DEP_1)
	v_sub_nc_u32_e32 v32, 0, v38
	v_ldexp_f64 v[2:3], |v[4:5]|, v32
	v_ldexp_f64 v[32:33], |v[26:27]|, v32
	s_delay_alu instid0(VALU_DEP_2) | instskip(NEXT) | instid1(VALU_DEP_1)
	v_mul_f64_e32 v[2:3], v[2:3], v[2:3]
	v_fmac_f64_e32 v[2:3], v[32:33], v[32:33]
	s_delay_alu instid0(VALU_DEP_1) | instskip(SKIP_1) | instid1(TRANS32_DEP_1)
	v_rsq_f64_e32 v[32:33], v[2:3]
	v_cmp_eq_f64_e32 vcc_lo, 0, v[2:3]
	v_mul_f64_e32 v[34:35], v[2:3], v[32:33]
	v_mul_f64_e32 v[32:33], 0.5, v[32:33]
	s_delay_alu instid0(VALU_DEP_1) | instskip(NEXT) | instid1(VALU_DEP_1)
	v_fma_f64 v[36:37], -v[32:33], v[34:35], 0.5
	v_fmac_f64_e32 v[34:35], v[34:35], v[36:37]
	v_fmac_f64_e32 v[32:33], v[32:33], v[36:37]
	s_delay_alu instid0(VALU_DEP_2) | instskip(NEXT) | instid1(VALU_DEP_1)
	v_fma_f64 v[36:37], -v[34:35], v[34:35], v[2:3]
	v_fmac_f64_e32 v[34:35], v[36:37], v[32:33]
	s_delay_alu instid0(VALU_DEP_1) | instskip(NEXT) | instid1(VALU_DEP_1)
	v_dual_cndmask_b32 v3, v35, v3 :: v_dual_cndmask_b32 v2, v34, v2
	v_ldexp_f64 v[2:3], v[2:3], v38
	s_delay_alu instid0(VALU_DEP_1) | instskip(NEXT) | instid1(VALU_DEP_1)
	v_cndmask_b32_e64 v3, v3, 0x7ff80000, s0
	v_cndmask_b32_e64 v33, v3, 0x7ff00000, s2
	s_or_b32 s2, s2, s0
	s_delay_alu instid0(VALU_DEP_3) | instid1(SALU_CYCLE_1)
	v_cndmask_b32_e64 v32, v2, 0, s2
	s_delay_alu instid0(VALU_DEP_1) | instskip(NEXT) | instid1(VALU_DEP_1)
	v_frexp_mant_f64_e32 v[2:3], v[32:33]
	v_cmp_gt_f64_e32 vcc_lo, s[14:15], v[2:3]
	v_cndmask_b32_e64 v34, 0, 1, vcc_lo
	s_delay_alu instid0(VALU_DEP_1) | instskip(NEXT) | instid1(VALU_DEP_1)
	v_ldexp_f64 v[2:3], v[2:3], v34
	v_add_f64_e32 v[34:35], 1.0, v[2:3]
	v_add_f64_e32 v[40:41], -1.0, v[2:3]
	s_delay_alu instid0(VALU_DEP_2) | instskip(SKIP_1) | instid1(VALU_DEP_1)
	v_rcp_f64_e32 v[36:37], v[34:35]
	v_add_f64_e32 v[42:43], -1.0, v[34:35]
	v_add_f64_e64 v[2:3], v[2:3], -v[42:43]
	s_delay_alu instid0(TRANS32_DEP_1) | instskip(NEXT) | instid1(VALU_DEP_1)
	v_fma_f64 v[38:39], -v[34:35], v[36:37], 1.0
	v_fmac_f64_e32 v[36:37], v[38:39], v[36:37]
	s_delay_alu instid0(VALU_DEP_1) | instskip(NEXT) | instid1(VALU_DEP_1)
	v_fma_f64 v[38:39], -v[34:35], v[36:37], 1.0
	v_fmac_f64_e32 v[36:37], v[38:39], v[36:37]
	s_delay_alu instid0(VALU_DEP_1) | instskip(NEXT) | instid1(VALU_DEP_1)
	v_mul_f64_e32 v[38:39], v[40:41], v[36:37]
	v_mul_f64_e32 v[44:45], v[34:35], v[38:39]
	s_delay_alu instid0(VALU_DEP_1) | instskip(NEXT) | instid1(VALU_DEP_1)
	v_fma_f64 v[34:35], v[38:39], v[34:35], -v[44:45]
	v_fmac_f64_e32 v[34:35], v[38:39], v[2:3]
	s_delay_alu instid0(VALU_DEP_1) | instskip(NEXT) | instid1(VALU_DEP_1)
	v_add_f64_e32 v[2:3], v[44:45], v[34:35]
	v_add_f64_e64 v[42:43], v[40:41], -v[2:3]
	v_add_f64_e64 v[44:45], v[2:3], -v[44:45]
	s_delay_alu instid0(VALU_DEP_2) | instskip(NEXT) | instid1(VALU_DEP_2)
	v_add_f64_e64 v[40:41], v[40:41], -v[42:43]
	v_add_f64_e64 v[34:35], v[44:45], -v[34:35]
	v_frexp_exp_i32_f64_e32 v44, v[32:33]
	s_delay_alu instid0(VALU_DEP_3) | instskip(NEXT) | instid1(VALU_DEP_1)
	v_add_f64_e64 v[2:3], v[40:41], -v[2:3]
	v_add_f64_e32 v[2:3], v[34:35], v[2:3]
	s_delay_alu instid0(VALU_DEP_1) | instskip(NEXT) | instid1(VALU_DEP_1)
	v_add_f64_e32 v[2:3], v[42:43], v[2:3]
	v_mul_f64_e32 v[2:3], v[36:37], v[2:3]
	s_delay_alu instid0(VALU_DEP_1) | instskip(NEXT) | instid1(VALU_DEP_1)
	v_add_f64_e32 v[34:35], v[38:39], v[2:3]
	v_mul_f64_e32 v[36:37], v[34:35], v[34:35]
	s_delay_alu instid0(VALU_DEP_1) | instskip(SKIP_1) | instid1(VALU_DEP_2)
	v_fmamk_f64 v[40:41], v[36:37], 0x3fc3ab76bf559e2b, v[20:21]
	v_mul_f64_e32 v[42:43], v[34:35], v[36:37]
	v_fmaak_f64 v[40:41], v[36:37], v[40:41], 0x3fc7474dd7f4df2e
	s_delay_alu instid0(VALU_DEP_1) | instskip(NEXT) | instid1(VALU_DEP_1)
	v_fmaak_f64 v[40:41], v[36:37], v[40:41], 0x3fcc71c016291751
	v_fmaak_f64 v[40:41], v[36:37], v[40:41], 0x3fd249249b27acf1
	s_delay_alu instid0(VALU_DEP_1) | instskip(NEXT) | instid1(VALU_DEP_1)
	v_fmaak_f64 v[40:41], v[36:37], v[40:41], 0x3fd99999998ef7b6
	v_fmaak_f64 v[36:37], v[36:37], v[40:41], 0x3fe5555555555780
	v_ldexp_f64 v[40:41], v[34:35], 1
	v_add_f64_e64 v[34:35], v[34:35], -v[38:39]
	s_delay_alu instid0(VALU_DEP_3) | instskip(SKIP_2) | instid1(VALU_DEP_2)
	v_mul_f64_e32 v[36:37], v[42:43], v[36:37]
	v_subrev_co_ci_u32_e64 v42, null, 0, v44, vcc_lo
	v_cmp_class_f64_e64 vcc_lo, v[32:33], 0x204
	v_cvt_f64_i32_e32 v[42:43], v42
	v_add_f64_e64 v[2:3], v[2:3], -v[34:35]
	v_add_f64_e32 v[38:39], v[40:41], v[36:37]
	s_delay_alu instid0(VALU_DEP_3) | instskip(NEXT) | instid1(VALU_DEP_3)
	v_mul_f64_e32 v[44:45], 0x3fe62e42fefa39ef, v[42:43]
	v_ldexp_f64 v[2:3], v[2:3], 1
	s_delay_alu instid0(VALU_DEP_3) | instskip(NEXT) | instid1(VALU_DEP_3)
	v_add_f64_e64 v[34:35], v[38:39], -v[40:41]
	v_fma_f64 v[40:41], v[42:43], s[16:17], -v[44:45]
	s_delay_alu instid0(VALU_DEP_2) | instskip(NEXT) | instid1(VALU_DEP_2)
	v_add_f64_e64 v[34:35], v[36:37], -v[34:35]
	v_fmac_f64_e32 v[40:41], 0x3c7abc9e3b39803f, v[42:43]
	s_delay_alu instid0(VALU_DEP_2) | instskip(NEXT) | instid1(VALU_DEP_2)
	v_add_f64_e32 v[2:3], v[2:3], v[34:35]
	v_add_f64_e32 v[34:35], v[44:45], v[40:41]
	s_delay_alu instid0(VALU_DEP_2) | instskip(NEXT) | instid1(VALU_DEP_2)
	v_add_f64_e32 v[36:37], v[38:39], v[2:3]
	v_add_f64_e64 v[44:45], v[34:35], -v[44:45]
	s_delay_alu instid0(VALU_DEP_2) | instskip(SKIP_1) | instid1(VALU_DEP_3)
	v_add_f64_e32 v[42:43], v[34:35], v[36:37]
	v_add_f64_e64 v[38:39], v[36:37], -v[38:39]
	v_add_f64_e64 v[40:41], v[40:41], -v[44:45]
	s_delay_alu instid0(VALU_DEP_3) | instskip(NEXT) | instid1(VALU_DEP_3)
	v_add_f64_e64 v[46:47], v[42:43], -v[34:35]
	v_add_f64_e64 v[2:3], v[2:3], -v[38:39]
	s_delay_alu instid0(VALU_DEP_2) | instskip(SKIP_1) | instid1(VALU_DEP_3)
	v_add_f64_e64 v[48:49], v[42:43], -v[46:47]
	v_add_f64_e64 v[36:37], v[36:37], -v[46:47]
	v_add_f64_e32 v[38:39], v[40:41], v[2:3]
	s_delay_alu instid0(VALU_DEP_3) | instskip(NEXT) | instid1(VALU_DEP_1)
	v_add_f64_e64 v[34:35], v[34:35], -v[48:49]
	v_add_f64_e32 v[34:35], v[36:37], v[34:35]
	s_delay_alu instid0(VALU_DEP_3) | instskip(NEXT) | instid1(VALU_DEP_2)
	v_add_f64_e64 v[36:37], v[38:39], -v[40:41]
	v_add_f64_e32 v[34:35], v[38:39], v[34:35]
	s_delay_alu instid0(VALU_DEP_2) | instskip(SKIP_1) | instid1(VALU_DEP_3)
	v_add_f64_e64 v[38:39], v[38:39], -v[36:37]
	v_add_f64_e64 v[2:3], v[2:3], -v[36:37]
	v_add_f64_e32 v[44:45], v[42:43], v[34:35]
	s_delay_alu instid0(VALU_DEP_3) | instskip(NEXT) | instid1(VALU_DEP_2)
	v_add_f64_e64 v[36:37], v[40:41], -v[38:39]
	v_add_f64_e64 v[38:39], v[44:45], -v[42:43]
	s_delay_alu instid0(VALU_DEP_2) | instskip(NEXT) | instid1(VALU_DEP_2)
	v_add_f64_e32 v[2:3], v[2:3], v[36:37]
	v_add_f64_e64 v[34:35], v[34:35], -v[38:39]
	s_delay_alu instid0(VALU_DEP_1) | instskip(NEXT) | instid1(VALU_DEP_1)
	v_add_f64_e32 v[2:3], v[2:3], v[34:35]
	v_add_f64_e32 v[2:3], v[44:45], v[2:3]
	s_delay_alu instid0(VALU_DEP_1) | instskip(SKIP_1) | instid1(VALU_DEP_2)
	v_dual_cndmask_b32 v2, v2, v32 :: v_dual_cndmask_b32 v3, v3, v33
	v_cmp_ngt_f64_e32 vcc_lo, 0, v[32:33]
	v_cndmask_b32_e32 v3, 0x7ff80000, v3, vcc_lo
	v_cmp_nge_f64_e32 vcc_lo, 0, v[32:33]
	s_delay_alu instid0(VALU_DEP_4) | instskip(SKIP_1) | instid1(VALU_DEP_4)
	v_cndmask_b32_e32 v2, 0, v2, vcc_lo
	v_cmp_neq_f64_e32 vcc_lo, 0, v[32:33]
	v_cndmask_b32_e32 v3, 0xfff00000, v3, vcc_lo
.LBB209_52:                             ;   in Loop: Header=BB209_50 Depth=1
	s_and_not1_saveexec_b32 s3, s1
	s_cbranch_execz .LBB209_56
; %bb.53:                               ;   in Loop: Header=BB209_50 Depth=1
	s_delay_alu instid0(VALU_DEP_1) | instskip(SKIP_2) | instid1(VALU_DEP_1)
	v_add_f64_e32 v[34:35], 2.0, v[2:3]
	v_mul_f64_e32 v[32:33], v[4:5], v[4:5]
	s_mov_b32 s4, exec_lo
	v_fmac_f64_e32 v[32:33], v[2:3], v[34:35]
	s_delay_alu instid0(VALU_DEP_1)
	v_cmpx_neq_f64_e32 0, v[32:33]
	s_cbranch_execz .LBB209_55
; %bb.54:                               ;   in Loop: Header=BB209_50 Depth=1
	v_add_f64_e32 v[2:3], 1.0, v[32:33]
	v_cmp_neq_f64_e64 s1, 0x7ff00000, v[32:33]
	v_cmp_ngt_f64_e64 s2, -1.0, v[32:33]
	s_delay_alu instid0(VALU_DEP_3) | instskip(SKIP_1) | instid1(VALU_DEP_2)
	v_frexp_mant_f64_e32 v[34:35], v[2:3]
	v_frexp_exp_i32_f64_e32 v38, v[2:3]
	v_cmp_gt_f64_e32 vcc_lo, s[14:15], v[34:35]
	s_delay_alu instid0(VALU_DEP_2) | instskip(SKIP_2) | instid1(VALU_DEP_2)
	v_subrev_co_ci_u32_e64 v56, null, 0, v38, vcc_lo
	v_add_f64_e32 v[36:37], -1.0, v[2:3]
	v_cmp_nge_f64_e32 vcc_lo, -1.0, v[32:33]
	v_dual_add_f64 v[34:35], v[36:37], -v[2:3] :: v_dual_sub_nc_u32 v40, 0, v56
	s_delay_alu instid0(VALU_DEP_1) | instskip(SKIP_2) | instid1(VALU_DEP_3)
	v_ldexp_f64 v[2:3], v[2:3], v40
	s_and_b32 vcc_lo, vcc_lo, s1
	v_add_f64_e64 v[36:37], v[32:33], -v[36:37]
	v_add_f64_e32 v[34:35], 1.0, v[34:35]
	s_delay_alu instid0(VALU_DEP_3) | instskip(SKIP_1) | instid1(VALU_DEP_3)
	v_add_f64_e32 v[38:39], 1.0, v[2:3]
	v_add_f64_e32 v[44:45], -1.0, v[2:3]
	v_add_f64_e32 v[34:35], v[36:37], v[34:35]
	s_delay_alu instid0(VALU_DEP_3) | instskip(NEXT) | instid1(VALU_DEP_3)
	v_add_f64_e32 v[36:37], -1.0, v[38:39]
	v_add_f64_e32 v[46:47], 1.0, v[44:45]
	s_delay_alu instid0(VALU_DEP_3) | instskip(NEXT) | instid1(VALU_DEP_3)
	v_ldexp_f64 v[34:35], v[34:35], v40
	v_add_f64_e64 v[36:37], v[2:3], -v[36:37]
	s_delay_alu instid0(VALU_DEP_3) | instskip(NEXT) | instid1(VALU_DEP_2)
	v_add_f64_e64 v[2:3], v[2:3], -v[46:47]
	v_add_f64_e32 v[36:37], v[34:35], v[36:37]
	s_delay_alu instid0(VALU_DEP_2) | instskip(NEXT) | instid1(VALU_DEP_2)
	v_add_f64_e32 v[2:3], v[34:35], v[2:3]
	v_add_f64_e32 v[40:41], v[38:39], v[36:37]
	s_delay_alu instid0(VALU_DEP_2) | instskip(NEXT) | instid1(VALU_DEP_2)
	v_add_f64_e32 v[46:47], v[44:45], v[2:3]
	v_rcp_f64_e32 v[42:43], v[40:41]
	v_add_f64_e64 v[38:39], v[40:41], -v[38:39]
	s_delay_alu instid0(VALU_DEP_2) | instskip(NEXT) | instid1(VALU_DEP_2)
	v_add_f64_e64 v[44:45], v[46:47], -v[44:45]
	v_add_f64_e64 v[36:37], v[36:37], -v[38:39]
	s_delay_alu instid0(VALU_DEP_2) | instskip(NEXT) | instid1(TRANS32_DEP_1)
	v_add_f64_e64 v[2:3], v[2:3], -v[44:45]
	v_fma_f64 v[48:49], -v[40:41], v[42:43], 1.0
	s_delay_alu instid0(VALU_DEP_1) | instskip(NEXT) | instid1(VALU_DEP_1)
	v_fmac_f64_e32 v[42:43], v[48:49], v[42:43]
	v_fma_f64 v[34:35], -v[40:41], v[42:43], 1.0
	s_delay_alu instid0(VALU_DEP_1) | instskip(NEXT) | instid1(VALU_DEP_1)
	v_fmac_f64_e32 v[42:43], v[34:35], v[42:43]
	v_mul_f64_e32 v[34:35], v[46:47], v[42:43]
	s_delay_alu instid0(VALU_DEP_1) | instskip(NEXT) | instid1(VALU_DEP_1)
	v_mul_f64_e32 v[48:49], v[40:41], v[34:35]
	v_fma_f64 v[38:39], v[34:35], v[40:41], -v[48:49]
	s_delay_alu instid0(VALU_DEP_1) | instskip(NEXT) | instid1(VALU_DEP_1)
	v_fmac_f64_e32 v[38:39], v[34:35], v[36:37]
	v_add_f64_e32 v[50:51], v[48:49], v[38:39]
	s_delay_alu instid0(VALU_DEP_1) | instskip(SKIP_1) | instid1(VALU_DEP_2)
	v_add_f64_e64 v[54:55], v[46:47], -v[50:51]
	v_add_f64_e64 v[44:45], v[50:51], -v[48:49]
	;; [unrolled: 1-line block ×3, first 2 shown]
	s_delay_alu instid0(VALU_DEP_2) | instskip(NEXT) | instid1(VALU_DEP_2)
	v_add_f64_e64 v[38:39], v[44:45], -v[38:39]
	v_add_f64_e64 v[46:47], v[46:47], -v[50:51]
	s_delay_alu instid0(VALU_DEP_1) | instskip(NEXT) | instid1(VALU_DEP_1)
	v_add_f64_e32 v[2:3], v[2:3], v[46:47]
	v_add_f64_e32 v[2:3], v[38:39], v[2:3]
	s_delay_alu instid0(VALU_DEP_1) | instskip(NEXT) | instid1(VALU_DEP_1)
	v_add_f64_e32 v[38:39], v[54:55], v[2:3]
	v_mul_f64_e32 v[44:45], v[42:43], v[38:39]
	v_add_f64_e64 v[50:51], v[54:55], -v[38:39]
	s_delay_alu instid0(VALU_DEP_2) | instskip(NEXT) | instid1(VALU_DEP_2)
	v_mul_f64_e32 v[46:47], v[40:41], v[44:45]
	v_add_f64_e32 v[2:3], v[2:3], v[50:51]
	s_delay_alu instid0(VALU_DEP_2) | instskip(NEXT) | instid1(VALU_DEP_1)
	v_fma_f64 v[40:41], v[44:45], v[40:41], -v[46:47]
	v_fmac_f64_e32 v[40:41], v[44:45], v[36:37]
	s_delay_alu instid0(VALU_DEP_1) | instskip(NEXT) | instid1(VALU_DEP_1)
	v_add_f64_e32 v[36:37], v[46:47], v[40:41]
	v_add_f64_e64 v[48:49], v[38:39], -v[36:37]
	v_add_f64_e64 v[46:47], v[36:37], -v[46:47]
	s_delay_alu instid0(VALU_DEP_2) | instskip(NEXT) | instid1(VALU_DEP_1)
	v_add_f64_e64 v[38:39], v[38:39], -v[48:49]
	v_add_f64_e64 v[36:37], v[38:39], -v[36:37]
	s_delay_alu instid0(VALU_DEP_3) | instskip(NEXT) | instid1(VALU_DEP_2)
	v_add_f64_e64 v[38:39], v[46:47], -v[40:41]
	v_add_f64_e32 v[2:3], v[2:3], v[36:37]
	v_add_f64_e32 v[36:37], v[34:35], v[44:45]
	s_delay_alu instid0(VALU_DEP_2) | instskip(NEXT) | instid1(VALU_DEP_2)
	v_add_f64_e32 v[2:3], v[38:39], v[2:3]
	v_add_f64_e64 v[34:35], v[36:37], -v[34:35]
	s_delay_alu instid0(VALU_DEP_2) | instskip(NEXT) | instid1(VALU_DEP_2)
	v_add_f64_e32 v[2:3], v[48:49], v[2:3]
	v_add_f64_e64 v[34:35], v[44:45], -v[34:35]
	s_delay_alu instid0(VALU_DEP_2) | instskip(NEXT) | instid1(VALU_DEP_1)
	v_mul_f64_e32 v[2:3], v[42:43], v[2:3]
	v_add_f64_e32 v[2:3], v[34:35], v[2:3]
	s_delay_alu instid0(VALU_DEP_1) | instskip(NEXT) | instid1(VALU_DEP_1)
	v_add_f64_e32 v[34:35], v[36:37], v[2:3]
	v_mul_f64_e32 v[38:39], v[34:35], v[34:35]
	s_delay_alu instid0(VALU_DEP_1) | instskip(SKIP_1) | instid1(VALU_DEP_2)
	v_fmamk_f64 v[40:41], v[38:39], 0x3fc3ab76bf559e2b, v[20:21]
	v_mul_f64_e32 v[42:43], v[34:35], v[38:39]
	v_fmaak_f64 v[40:41], v[38:39], v[40:41], 0x3fc7474dd7f4df2e
	s_delay_alu instid0(VALU_DEP_1) | instskip(NEXT) | instid1(VALU_DEP_1)
	v_fmaak_f64 v[40:41], v[38:39], v[40:41], 0x3fcc71c016291751
	v_fmaak_f64 v[40:41], v[38:39], v[40:41], 0x3fd249249b27acf1
	s_delay_alu instid0(VALU_DEP_1) | instskip(NEXT) | instid1(VALU_DEP_1)
	v_fmaak_f64 v[40:41], v[38:39], v[40:41], 0x3fd99999998ef7b6
	v_fmaak_f64 v[38:39], v[38:39], v[40:41], 0x3fe5555555555780
	v_ldexp_f64 v[40:41], v[34:35], 1
	v_add_f64_e64 v[34:35], v[34:35], -v[36:37]
	s_delay_alu instid0(VALU_DEP_3) | instskip(SKIP_1) | instid1(VALU_DEP_3)
	v_mul_f64_e32 v[38:39], v[42:43], v[38:39]
	v_cvt_f64_i32_e32 v[42:43], v56
	v_add_f64_e64 v[2:3], v[2:3], -v[34:35]
	s_delay_alu instid0(VALU_DEP_3) | instskip(NEXT) | instid1(VALU_DEP_3)
	v_add_f64_e32 v[36:37], v[40:41], v[38:39]
	v_mul_f64_e32 v[44:45], 0x3fe62e42fefa39ef, v[42:43]
	s_delay_alu instid0(VALU_DEP_3) | instskip(NEXT) | instid1(VALU_DEP_3)
	v_ldexp_f64 v[2:3], v[2:3], 1
	v_add_f64_e64 v[34:35], v[36:37], -v[40:41]
	s_delay_alu instid0(VALU_DEP_3) | instskip(NEXT) | instid1(VALU_DEP_2)
	v_fma_f64 v[40:41], v[42:43], s[16:17], -v[44:45]
	v_add_f64_e64 v[34:35], v[38:39], -v[34:35]
	s_delay_alu instid0(VALU_DEP_2) | instskip(NEXT) | instid1(VALU_DEP_2)
	v_fmac_f64_e32 v[40:41], 0x3c7abc9e3b39803f, v[42:43]
	v_add_f64_e32 v[2:3], v[2:3], v[34:35]
	s_delay_alu instid0(VALU_DEP_2) | instskip(NEXT) | instid1(VALU_DEP_2)
	v_add_f64_e32 v[34:35], v[44:45], v[40:41]
	v_add_f64_e32 v[38:39], v[36:37], v[2:3]
	s_delay_alu instid0(VALU_DEP_2) | instskip(NEXT) | instid1(VALU_DEP_2)
	v_add_f64_e64 v[44:45], v[34:35], -v[44:45]
	v_add_f64_e32 v[42:43], v[34:35], v[38:39]
	v_add_f64_e64 v[36:37], v[38:39], -v[36:37]
	s_delay_alu instid0(VALU_DEP_3) | instskip(NEXT) | instid1(VALU_DEP_3)
	v_add_f64_e64 v[40:41], v[40:41], -v[44:45]
	v_add_f64_e64 v[46:47], v[42:43], -v[34:35]
	s_delay_alu instid0(VALU_DEP_3) | instskip(NEXT) | instid1(VALU_DEP_2)
	v_add_f64_e64 v[2:3], v[2:3], -v[36:37]
	v_add_f64_e64 v[48:49], v[42:43], -v[46:47]
	;; [unrolled: 1-line block ×3, first 2 shown]
	s_delay_alu instid0(VALU_DEP_3) | instskip(NEXT) | instid1(VALU_DEP_3)
	v_add_f64_e32 v[38:39], v[40:41], v[2:3]
	v_add_f64_e64 v[34:35], v[34:35], -v[48:49]
	s_delay_alu instid0(VALU_DEP_1) | instskip(NEXT) | instid1(VALU_DEP_3)
	v_add_f64_e32 v[34:35], v[36:37], v[34:35]
	v_add_f64_e64 v[36:37], v[38:39], -v[40:41]
	s_delay_alu instid0(VALU_DEP_2) | instskip(NEXT) | instid1(VALU_DEP_2)
	v_add_f64_e32 v[34:35], v[38:39], v[34:35]
	v_add_f64_e64 v[38:39], v[38:39], -v[36:37]
	v_add_f64_e64 v[2:3], v[2:3], -v[36:37]
	s_delay_alu instid0(VALU_DEP_3) | instskip(NEXT) | instid1(VALU_DEP_3)
	v_add_f64_e32 v[44:45], v[42:43], v[34:35]
	v_add_f64_e64 v[38:39], v[40:41], -v[38:39]
	s_delay_alu instid0(VALU_DEP_2) | instskip(NEXT) | instid1(VALU_DEP_2)
	v_add_f64_e64 v[36:37], v[44:45], -v[42:43]
	v_add_f64_e32 v[2:3], v[2:3], v[38:39]
	s_delay_alu instid0(VALU_DEP_2) | instskip(NEXT) | instid1(VALU_DEP_1)
	v_add_f64_e64 v[34:35], v[34:35], -v[36:37]
	v_add_f64_e32 v[2:3], v[2:3], v[34:35]
	s_delay_alu instid0(VALU_DEP_1) | instskip(NEXT) | instid1(VALU_DEP_1)
	v_add_f64_e32 v[2:3], v[44:45], v[2:3]
	v_mul_f64_e32 v[2:3], 0.5, v[2:3]
	s_delay_alu instid0(VALU_DEP_1) | instskip(SKIP_1) | instid1(VALU_DEP_3)
	v_cndmask_b32_e32 v2, 0, v2, vcc_lo
	v_cmp_neq_f64_e32 vcc_lo, -1.0, v[32:33]
	v_cndmask_b32_e64 v3, 0x7ff00000, v3, s1
	s_delay_alu instid0(VALU_DEP_1) | instskip(NEXT) | instid1(VALU_DEP_1)
	v_cndmask_b32_e64 v3, 0x7ff80000, v3, s2
	v_cndmask_b32_e32 v3, 0xfff00000, v3, vcc_lo
.LBB209_55:                             ;   in Loop: Header=BB209_50 Depth=1
	s_or_b32 exec_lo, exec_lo, s4
.LBB209_56:                             ;   in Loop: Header=BB209_50 Depth=1
	s_delay_alu instid0(SALU_CYCLE_1)
	s_or_b32 exec_lo, exec_lo, s3
	s_wait_loadcnt 0x2
	v_max_num_f64_e64 v[32:33], |v[10:11]|, |v[10:11]|
	v_max_num_f64_e64 v[36:37], |v[12:13]|, |v[12:13]|
	v_cmp_class_f64_e64 s3, v[10:11], 0x204
	v_cmp_class_f64_e64 s26, v[12:13], 0x204
	s_delay_alu instid0(VALU_DEP_3) | instskip(SKIP_1) | instid1(VALU_DEP_1)
	v_max_num_f64_e32 v[32:33], v[32:33], v[36:37]
	s_or_b32 s3, s3, s26
	v_frexp_exp_i32_f64_e32 v42, v[32:33]
	s_delay_alu instid0(VALU_DEP_1) | instskip(NEXT) | instid1(VALU_DEP_1)
	v_sub_nc_u32_e32 v34, 0, v42
	v_ldexp_f64 v[32:33], |v[12:13]|, v34
	v_ldexp_f64 v[34:35], |v[10:11]|, v34
	s_delay_alu instid0(VALU_DEP_2) | instskip(NEXT) | instid1(VALU_DEP_1)
	v_mul_f64_e32 v[32:33], v[32:33], v[32:33]
	v_fmac_f64_e32 v[32:33], v[34:35], v[34:35]
	s_delay_alu instid0(VALU_DEP_1) | instskip(SKIP_1) | instid1(TRANS32_DEP_1)
	v_rsq_f64_e32 v[34:35], v[32:33]
	v_cmp_eq_f64_e32 vcc_lo, 0, v[32:33]
	v_mul_f64_e32 v[38:39], v[32:33], v[34:35]
	v_mul_f64_e32 v[34:35], 0.5, v[34:35]
	s_delay_alu instid0(VALU_DEP_1) | instskip(NEXT) | instid1(VALU_DEP_1)
	v_fma_f64 v[40:41], -v[34:35], v[38:39], 0.5
	v_fmac_f64_e32 v[38:39], v[38:39], v[40:41]
	v_fmac_f64_e32 v[34:35], v[34:35], v[40:41]
	s_delay_alu instid0(VALU_DEP_2) | instskip(NEXT) | instid1(VALU_DEP_1)
	v_fma_f64 v[40:41], -v[38:39], v[38:39], v[32:33]
	v_fmac_f64_e32 v[38:39], v[40:41], v[34:35]
	s_delay_alu instid0(VALU_DEP_1) | instskip(SKIP_2) | instid1(VALU_DEP_3)
	v_dual_cndmask_b32 v35, v39, v33 :: v_dual_cndmask_b32 v34, v38, v32
	v_add_f64_e32 v[32:33], 1.0, v[10:11]
	v_cmp_u_f64_e32 vcc_lo, v[10:11], v[12:13]
	v_ldexp_f64 v[38:39], v[34:35], v42
	s_delay_alu instid0(VALU_DEP_3)
	v_max_num_f64_e64 v[34:35], |v[32:33]|, v[36:37]
	v_cmp_u_f64_e64 s1, v[32:33], v[12:13]
	v_cmp_class_f64_e64 s27, v[32:33], 0x204
	s_or_b32 s3, s3, vcc_lo
	v_cmp_ngt_f64_e64 s2, 0.5, v[38:39]
	s_or_b32 s2, s3, s2
	s_delay_alu instid0(SALU_CYCLE_1) | instskip(NEXT) | instid1(SALU_CYCLE_1)
	s_and_saveexec_b32 s3, s2
	s_xor_b32 s2, exec_lo, s3
	s_cbranch_execz .LBB209_58
; %bb.57:                               ;   in Loop: Header=BB209_50 Depth=1
	v_frexp_exp_i32_f64_e32 v44, v[34:35]
	s_or_b32 s3, s27, s26
	s_delay_alu instid0(VALU_DEP_1) | instskip(NEXT) | instid1(VALU_DEP_1)
	v_sub_nc_u32_e32 v38, 0, v44
	v_ldexp_f64 v[10:11], |v[12:13]|, v38
	s_delay_alu instid0(VALU_DEP_1) | instskip(SKIP_1) | instid1(VALU_DEP_1)
	v_mul_f64_e32 v[10:11], v[10:11], v[10:11]
	v_ldexp_f64 v[38:39], |v[32:33]|, v38
	v_fmac_f64_e32 v[10:11], v[38:39], v[38:39]
	s_delay_alu instid0(VALU_DEP_1) | instskip(SKIP_1) | instid1(TRANS32_DEP_1)
	v_rsq_f64_e32 v[38:39], v[10:11]
	v_cmp_eq_f64_e32 vcc_lo, 0, v[10:11]
	v_mul_f64_e32 v[40:41], v[10:11], v[38:39]
	v_mul_f64_e32 v[38:39], 0.5, v[38:39]
	s_delay_alu instid0(VALU_DEP_1) | instskip(NEXT) | instid1(VALU_DEP_1)
	v_fma_f64 v[42:43], -v[38:39], v[40:41], 0.5
	v_fmac_f64_e32 v[40:41], v[40:41], v[42:43]
	v_fmac_f64_e32 v[38:39], v[38:39], v[42:43]
	s_delay_alu instid0(VALU_DEP_2) | instskip(NEXT) | instid1(VALU_DEP_1)
	v_fma_f64 v[42:43], -v[40:41], v[40:41], v[10:11]
	v_fmac_f64_e32 v[40:41], v[42:43], v[38:39]
	s_delay_alu instid0(VALU_DEP_1) | instskip(NEXT) | instid1(VALU_DEP_1)
	v_dual_cndmask_b32 v11, v41, v11 :: v_dual_cndmask_b32 v10, v40, v10
	v_ldexp_f64 v[10:11], v[10:11], v44
	s_delay_alu instid0(VALU_DEP_1) | instskip(NEXT) | instid1(VALU_DEP_1)
	v_cndmask_b32_e64 v11, v11, 0x7ff80000, s1
	v_cndmask_b32_e64 v39, v11, 0x7ff00000, s3
	s_or_b32 s3, s3, s1
	s_delay_alu instid0(VALU_DEP_3) | instid1(SALU_CYCLE_1)
	v_cndmask_b32_e64 v38, v10, 0, s3
	s_delay_alu instid0(VALU_DEP_1) | instskip(NEXT) | instid1(VALU_DEP_1)
	v_frexp_mant_f64_e32 v[10:11], v[38:39]
	v_cmp_gt_f64_e32 vcc_lo, s[14:15], v[10:11]
	v_cndmask_b32_e64 v40, 0, 1, vcc_lo
	s_delay_alu instid0(VALU_DEP_1) | instskip(NEXT) | instid1(VALU_DEP_1)
	v_ldexp_f64 v[10:11], v[10:11], v40
	v_add_f64_e32 v[40:41], 1.0, v[10:11]
	v_add_f64_e32 v[46:47], -1.0, v[10:11]
	s_delay_alu instid0(VALU_DEP_2) | instskip(SKIP_1) | instid1(VALU_DEP_1)
	v_rcp_f64_e32 v[42:43], v[40:41]
	v_add_f64_e32 v[48:49], -1.0, v[40:41]
	v_add_f64_e64 v[10:11], v[10:11], -v[48:49]
	s_delay_alu instid0(TRANS32_DEP_1) | instskip(NEXT) | instid1(VALU_DEP_1)
	v_fma_f64 v[44:45], -v[40:41], v[42:43], 1.0
	v_fmac_f64_e32 v[42:43], v[44:45], v[42:43]
	s_delay_alu instid0(VALU_DEP_1) | instskip(NEXT) | instid1(VALU_DEP_1)
	v_fma_f64 v[44:45], -v[40:41], v[42:43], 1.0
	v_fmac_f64_e32 v[42:43], v[44:45], v[42:43]
	s_delay_alu instid0(VALU_DEP_1) | instskip(NEXT) | instid1(VALU_DEP_1)
	v_mul_f64_e32 v[44:45], v[46:47], v[42:43]
	v_mul_f64_e32 v[50:51], v[40:41], v[44:45]
	s_delay_alu instid0(VALU_DEP_1) | instskip(NEXT) | instid1(VALU_DEP_1)
	v_fma_f64 v[40:41], v[44:45], v[40:41], -v[50:51]
	v_fmac_f64_e32 v[40:41], v[44:45], v[10:11]
	s_delay_alu instid0(VALU_DEP_1) | instskip(NEXT) | instid1(VALU_DEP_1)
	v_add_f64_e32 v[10:11], v[50:51], v[40:41]
	v_add_f64_e64 v[48:49], v[46:47], -v[10:11]
	v_add_f64_e64 v[50:51], v[10:11], -v[50:51]
	s_delay_alu instid0(VALU_DEP_2) | instskip(NEXT) | instid1(VALU_DEP_2)
	v_add_f64_e64 v[46:47], v[46:47], -v[48:49]
	v_add_f64_e64 v[40:41], v[50:51], -v[40:41]
	v_frexp_exp_i32_f64_e32 v50, v[38:39]
	s_delay_alu instid0(VALU_DEP_3) | instskip(NEXT) | instid1(VALU_DEP_1)
	v_add_f64_e64 v[10:11], v[46:47], -v[10:11]
	v_add_f64_e32 v[10:11], v[40:41], v[10:11]
	s_delay_alu instid0(VALU_DEP_1) | instskip(NEXT) | instid1(VALU_DEP_1)
	v_add_f64_e32 v[10:11], v[48:49], v[10:11]
	v_mul_f64_e32 v[10:11], v[42:43], v[10:11]
	s_delay_alu instid0(VALU_DEP_1) | instskip(NEXT) | instid1(VALU_DEP_1)
	v_add_f64_e32 v[40:41], v[44:45], v[10:11]
	v_mul_f64_e32 v[42:43], v[40:41], v[40:41]
	s_delay_alu instid0(VALU_DEP_1) | instskip(SKIP_1) | instid1(VALU_DEP_2)
	v_fmamk_f64 v[46:47], v[42:43], 0x3fc3ab76bf559e2b, v[20:21]
	v_mul_f64_e32 v[48:49], v[40:41], v[42:43]
	v_fmaak_f64 v[46:47], v[42:43], v[46:47], 0x3fc7474dd7f4df2e
	s_delay_alu instid0(VALU_DEP_1) | instskip(NEXT) | instid1(VALU_DEP_1)
	v_fmaak_f64 v[46:47], v[42:43], v[46:47], 0x3fcc71c016291751
	v_fmaak_f64 v[46:47], v[42:43], v[46:47], 0x3fd249249b27acf1
	s_delay_alu instid0(VALU_DEP_1) | instskip(NEXT) | instid1(VALU_DEP_1)
	v_fmaak_f64 v[46:47], v[42:43], v[46:47], 0x3fd99999998ef7b6
	v_fmaak_f64 v[42:43], v[42:43], v[46:47], 0x3fe5555555555780
	v_ldexp_f64 v[46:47], v[40:41], 1
	v_add_f64_e64 v[40:41], v[40:41], -v[44:45]
	s_delay_alu instid0(VALU_DEP_3) | instskip(SKIP_2) | instid1(VALU_DEP_2)
	v_mul_f64_e32 v[42:43], v[48:49], v[42:43]
	v_subrev_co_ci_u32_e64 v48, null, 0, v50, vcc_lo
	v_cmp_class_f64_e64 vcc_lo, v[38:39], 0x204
	v_cvt_f64_i32_e32 v[48:49], v48
	v_add_f64_e64 v[10:11], v[10:11], -v[40:41]
	v_add_f64_e32 v[44:45], v[46:47], v[42:43]
	s_delay_alu instid0(VALU_DEP_3) | instskip(NEXT) | instid1(VALU_DEP_3)
	v_mul_f64_e32 v[50:51], 0x3fe62e42fefa39ef, v[48:49]
	v_ldexp_f64 v[10:11], v[10:11], 1
	s_delay_alu instid0(VALU_DEP_3) | instskip(NEXT) | instid1(VALU_DEP_3)
	v_add_f64_e64 v[40:41], v[44:45], -v[46:47]
	v_fma_f64 v[46:47], v[48:49], s[16:17], -v[50:51]
	s_delay_alu instid0(VALU_DEP_2) | instskip(NEXT) | instid1(VALU_DEP_2)
	v_add_f64_e64 v[40:41], v[42:43], -v[40:41]
	v_fmac_f64_e32 v[46:47], 0x3c7abc9e3b39803f, v[48:49]
	s_delay_alu instid0(VALU_DEP_2) | instskip(NEXT) | instid1(VALU_DEP_2)
	v_add_f64_e32 v[10:11], v[10:11], v[40:41]
	v_add_f64_e32 v[40:41], v[50:51], v[46:47]
	s_delay_alu instid0(VALU_DEP_2) | instskip(NEXT) | instid1(VALU_DEP_2)
	v_add_f64_e32 v[42:43], v[44:45], v[10:11]
	v_add_f64_e64 v[50:51], v[40:41], -v[50:51]
	s_delay_alu instid0(VALU_DEP_2) | instskip(SKIP_1) | instid1(VALU_DEP_3)
	v_add_f64_e32 v[48:49], v[40:41], v[42:43]
	v_add_f64_e64 v[44:45], v[42:43], -v[44:45]
	v_add_f64_e64 v[46:47], v[46:47], -v[50:51]
	s_delay_alu instid0(VALU_DEP_3) | instskip(NEXT) | instid1(VALU_DEP_3)
	v_add_f64_e64 v[54:55], v[48:49], -v[40:41]
	v_add_f64_e64 v[10:11], v[10:11], -v[44:45]
	s_delay_alu instid0(VALU_DEP_2) | instskip(SKIP_1) | instid1(VALU_DEP_3)
	v_add_f64_e64 v[56:57], v[48:49], -v[54:55]
	v_add_f64_e64 v[42:43], v[42:43], -v[54:55]
	v_add_f64_e32 v[44:45], v[46:47], v[10:11]
	s_delay_alu instid0(VALU_DEP_3) | instskip(NEXT) | instid1(VALU_DEP_1)
	v_add_f64_e64 v[40:41], v[40:41], -v[56:57]
	v_add_f64_e32 v[40:41], v[42:43], v[40:41]
	s_delay_alu instid0(VALU_DEP_3) | instskip(NEXT) | instid1(VALU_DEP_2)
	v_add_f64_e64 v[42:43], v[44:45], -v[46:47]
	v_add_f64_e32 v[40:41], v[44:45], v[40:41]
	s_delay_alu instid0(VALU_DEP_2) | instskip(SKIP_1) | instid1(VALU_DEP_3)
	v_add_f64_e64 v[44:45], v[44:45], -v[42:43]
	v_add_f64_e64 v[10:11], v[10:11], -v[42:43]
	v_add_f64_e32 v[50:51], v[48:49], v[40:41]
	s_delay_alu instid0(VALU_DEP_3) | instskip(NEXT) | instid1(VALU_DEP_2)
	v_add_f64_e64 v[42:43], v[46:47], -v[44:45]
	v_add_f64_e64 v[44:45], v[50:51], -v[48:49]
	s_delay_alu instid0(VALU_DEP_2) | instskip(NEXT) | instid1(VALU_DEP_2)
	v_add_f64_e32 v[10:11], v[10:11], v[42:43]
	v_add_f64_e64 v[40:41], v[40:41], -v[44:45]
	s_delay_alu instid0(VALU_DEP_1) | instskip(NEXT) | instid1(VALU_DEP_1)
	v_add_f64_e32 v[10:11], v[10:11], v[40:41]
	v_add_f64_e32 v[10:11], v[50:51], v[10:11]
	s_delay_alu instid0(VALU_DEP_1) | instskip(SKIP_1) | instid1(VALU_DEP_2)
	v_dual_cndmask_b32 v10, v10, v38 :: v_dual_cndmask_b32 v11, v11, v39
	v_cmp_ngt_f64_e32 vcc_lo, 0, v[38:39]
	v_cndmask_b32_e32 v11, 0x7ff80000, v11, vcc_lo
	v_cmp_nge_f64_e32 vcc_lo, 0, v[38:39]
	s_delay_alu instid0(VALU_DEP_4) | instskip(SKIP_1) | instid1(VALU_DEP_4)
	v_cndmask_b32_e32 v10, 0, v10, vcc_lo
	v_cmp_neq_f64_e32 vcc_lo, 0, v[38:39]
	v_cndmask_b32_e32 v11, 0xfff00000, v11, vcc_lo
.LBB209_58:                             ;   in Loop: Header=BB209_50 Depth=1
	s_and_not1_saveexec_b32 s4, s2
	s_cbranch_execz .LBB209_62
; %bb.59:                               ;   in Loop: Header=BB209_50 Depth=1
	s_delay_alu instid0(VALU_DEP_1) | instskip(SKIP_2) | instid1(VALU_DEP_1)
	v_add_f64_e32 v[40:41], 2.0, v[10:11]
	v_mul_f64_e32 v[38:39], v[12:13], v[12:13]
	s_mov_b32 s5, exec_lo
	v_fmac_f64_e32 v[38:39], v[10:11], v[40:41]
	s_delay_alu instid0(VALU_DEP_1)
	v_cmpx_neq_f64_e32 0, v[38:39]
	s_cbranch_execz .LBB209_61
; %bb.60:                               ;   in Loop: Header=BB209_50 Depth=1
	v_add_f64_e32 v[10:11], 1.0, v[38:39]
	v_cmp_neq_f64_e64 s2, 0x7ff00000, v[38:39]
	v_cmp_ngt_f64_e64 s3, -1.0, v[38:39]
	s_delay_alu instid0(VALU_DEP_3) | instskip(SKIP_2) | instid1(VALU_DEP_3)
	v_frexp_mant_f64_e32 v[40:41], v[10:11]
	v_add_f64_e32 v[42:43], -1.0, v[10:11]
	v_frexp_exp_i32_f64_e32 v44, v[10:11]
	v_cmp_gt_f64_e32 vcc_lo, s[14:15], v[40:41]
	s_delay_alu instid0(VALU_DEP_3) | instskip(SKIP_1) | instid1(VALU_DEP_4)
	v_add_f64_e64 v[40:41], v[42:43], -v[10:11]
	v_add_f64_e64 v[42:43], v[38:39], -v[42:43]
	v_subrev_co_ci_u32_e64 v62, null, 0, v44, vcc_lo
	v_cmp_nge_f64_e32 vcc_lo, -1.0, v[38:39]
	s_delay_alu instid0(VALU_DEP_2) | instskip(NEXT) | instid1(VALU_DEP_1)
	v_dual_add_f64 v[40:41], 1.0, v[40:41] :: v_dual_sub_nc_u32 v46, 0, v62
	v_ldexp_f64 v[10:11], v[10:11], v46
	s_and_b32 vcc_lo, vcc_lo, s2
	s_delay_alu instid0(VALU_DEP_2) | instskip(NEXT) | instid1(VALU_DEP_2)
	v_add_f64_e32 v[40:41], v[42:43], v[40:41]
	v_add_f64_e32 v[44:45], 1.0, v[10:11]
	v_add_f64_e32 v[50:51], -1.0, v[10:11]
	s_delay_alu instid0(VALU_DEP_3) | instskip(NEXT) | instid1(VALU_DEP_3)
	v_ldexp_f64 v[40:41], v[40:41], v46
	v_add_f64_e32 v[42:43], -1.0, v[44:45]
	s_delay_alu instid0(VALU_DEP_3) | instskip(NEXT) | instid1(VALU_DEP_2)
	v_add_f64_e32 v[54:55], 1.0, v[50:51]
	v_add_f64_e64 v[42:43], v[10:11], -v[42:43]
	s_delay_alu instid0(VALU_DEP_2) | instskip(NEXT) | instid1(VALU_DEP_2)
	v_add_f64_e64 v[10:11], v[10:11], -v[54:55]
	v_add_f64_e32 v[42:43], v[40:41], v[42:43]
	s_delay_alu instid0(VALU_DEP_2) | instskip(NEXT) | instid1(VALU_DEP_2)
	v_add_f64_e32 v[10:11], v[40:41], v[10:11]
	v_add_f64_e32 v[46:47], v[44:45], v[42:43]
	s_delay_alu instid0(VALU_DEP_2) | instskip(NEXT) | instid1(VALU_DEP_2)
	v_add_f64_e32 v[54:55], v[50:51], v[10:11]
	v_rcp_f64_e32 v[48:49], v[46:47]
	v_add_f64_e64 v[44:45], v[46:47], -v[44:45]
	s_delay_alu instid0(VALU_DEP_2) | instskip(NEXT) | instid1(VALU_DEP_2)
	v_add_f64_e64 v[50:51], v[54:55], -v[50:51]
	v_add_f64_e64 v[42:43], v[42:43], -v[44:45]
	s_delay_alu instid0(VALU_DEP_2) | instskip(NEXT) | instid1(TRANS32_DEP_1)
	v_add_f64_e64 v[10:11], v[10:11], -v[50:51]
	v_fma_f64 v[56:57], -v[46:47], v[48:49], 1.0
	s_delay_alu instid0(VALU_DEP_1) | instskip(NEXT) | instid1(VALU_DEP_1)
	v_fmac_f64_e32 v[48:49], v[56:57], v[48:49]
	v_fma_f64 v[40:41], -v[46:47], v[48:49], 1.0
	s_delay_alu instid0(VALU_DEP_1) | instskip(NEXT) | instid1(VALU_DEP_1)
	v_fmac_f64_e32 v[48:49], v[40:41], v[48:49]
	v_mul_f64_e32 v[40:41], v[54:55], v[48:49]
	s_delay_alu instid0(VALU_DEP_1) | instskip(NEXT) | instid1(VALU_DEP_1)
	v_mul_f64_e32 v[56:57], v[46:47], v[40:41]
	v_fma_f64 v[44:45], v[40:41], v[46:47], -v[56:57]
	s_delay_alu instid0(VALU_DEP_1) | instskip(NEXT) | instid1(VALU_DEP_1)
	v_fmac_f64_e32 v[44:45], v[40:41], v[42:43]
	v_add_f64_e32 v[58:59], v[56:57], v[44:45]
	s_delay_alu instid0(VALU_DEP_1) | instskip(SKIP_1) | instid1(VALU_DEP_2)
	v_add_f64_e64 v[60:61], v[54:55], -v[58:59]
	v_add_f64_e64 v[50:51], v[58:59], -v[56:57]
	;; [unrolled: 1-line block ×3, first 2 shown]
	s_delay_alu instid0(VALU_DEP_2) | instskip(NEXT) | instid1(VALU_DEP_2)
	v_add_f64_e64 v[44:45], v[50:51], -v[44:45]
	v_add_f64_e64 v[54:55], v[54:55], -v[58:59]
	s_delay_alu instid0(VALU_DEP_1) | instskip(NEXT) | instid1(VALU_DEP_1)
	v_add_f64_e32 v[10:11], v[10:11], v[54:55]
	v_add_f64_e32 v[10:11], v[44:45], v[10:11]
	s_delay_alu instid0(VALU_DEP_1) | instskip(NEXT) | instid1(VALU_DEP_1)
	v_add_f64_e32 v[44:45], v[60:61], v[10:11]
	v_mul_f64_e32 v[50:51], v[48:49], v[44:45]
	v_add_f64_e64 v[58:59], v[60:61], -v[44:45]
	s_delay_alu instid0(VALU_DEP_2) | instskip(NEXT) | instid1(VALU_DEP_2)
	v_mul_f64_e32 v[54:55], v[46:47], v[50:51]
	v_add_f64_e32 v[10:11], v[10:11], v[58:59]
	s_delay_alu instid0(VALU_DEP_2) | instskip(NEXT) | instid1(VALU_DEP_1)
	v_fma_f64 v[46:47], v[50:51], v[46:47], -v[54:55]
	v_fmac_f64_e32 v[46:47], v[50:51], v[42:43]
	s_delay_alu instid0(VALU_DEP_1) | instskip(NEXT) | instid1(VALU_DEP_1)
	v_add_f64_e32 v[42:43], v[54:55], v[46:47]
	v_add_f64_e64 v[56:57], v[44:45], -v[42:43]
	v_add_f64_e64 v[54:55], v[42:43], -v[54:55]
	s_delay_alu instid0(VALU_DEP_2) | instskip(NEXT) | instid1(VALU_DEP_1)
	v_add_f64_e64 v[44:45], v[44:45], -v[56:57]
	v_add_f64_e64 v[42:43], v[44:45], -v[42:43]
	s_delay_alu instid0(VALU_DEP_3) | instskip(NEXT) | instid1(VALU_DEP_2)
	v_add_f64_e64 v[44:45], v[54:55], -v[46:47]
	v_add_f64_e32 v[10:11], v[10:11], v[42:43]
	v_add_f64_e32 v[42:43], v[40:41], v[50:51]
	s_delay_alu instid0(VALU_DEP_2) | instskip(NEXT) | instid1(VALU_DEP_2)
	v_add_f64_e32 v[10:11], v[44:45], v[10:11]
	v_add_f64_e64 v[40:41], v[42:43], -v[40:41]
	s_delay_alu instid0(VALU_DEP_2) | instskip(NEXT) | instid1(VALU_DEP_2)
	v_add_f64_e32 v[10:11], v[56:57], v[10:11]
	v_add_f64_e64 v[40:41], v[50:51], -v[40:41]
	s_delay_alu instid0(VALU_DEP_2) | instskip(NEXT) | instid1(VALU_DEP_1)
	v_mul_f64_e32 v[10:11], v[48:49], v[10:11]
	v_add_f64_e32 v[10:11], v[40:41], v[10:11]
	s_delay_alu instid0(VALU_DEP_1) | instskip(NEXT) | instid1(VALU_DEP_1)
	v_add_f64_e32 v[40:41], v[42:43], v[10:11]
	v_mul_f64_e32 v[44:45], v[40:41], v[40:41]
	s_delay_alu instid0(VALU_DEP_1) | instskip(SKIP_1) | instid1(VALU_DEP_2)
	v_fmamk_f64 v[46:47], v[44:45], 0x3fc3ab76bf559e2b, v[20:21]
	v_mul_f64_e32 v[48:49], v[40:41], v[44:45]
	v_fmaak_f64 v[46:47], v[44:45], v[46:47], 0x3fc7474dd7f4df2e
	s_delay_alu instid0(VALU_DEP_1) | instskip(NEXT) | instid1(VALU_DEP_1)
	v_fmaak_f64 v[46:47], v[44:45], v[46:47], 0x3fcc71c016291751
	v_fmaak_f64 v[46:47], v[44:45], v[46:47], 0x3fd249249b27acf1
	s_delay_alu instid0(VALU_DEP_1) | instskip(NEXT) | instid1(VALU_DEP_1)
	v_fmaak_f64 v[46:47], v[44:45], v[46:47], 0x3fd99999998ef7b6
	v_fmaak_f64 v[44:45], v[44:45], v[46:47], 0x3fe5555555555780
	v_ldexp_f64 v[46:47], v[40:41], 1
	v_add_f64_e64 v[40:41], v[40:41], -v[42:43]
	s_delay_alu instid0(VALU_DEP_3) | instskip(SKIP_1) | instid1(VALU_DEP_3)
	v_mul_f64_e32 v[44:45], v[48:49], v[44:45]
	v_cvt_f64_i32_e32 v[48:49], v62
	v_add_f64_e64 v[10:11], v[10:11], -v[40:41]
	s_delay_alu instid0(VALU_DEP_3) | instskip(NEXT) | instid1(VALU_DEP_3)
	v_add_f64_e32 v[42:43], v[46:47], v[44:45]
	v_mul_f64_e32 v[50:51], 0x3fe62e42fefa39ef, v[48:49]
	s_delay_alu instid0(VALU_DEP_3) | instskip(NEXT) | instid1(VALU_DEP_3)
	v_ldexp_f64 v[10:11], v[10:11], 1
	v_add_f64_e64 v[40:41], v[42:43], -v[46:47]
	s_delay_alu instid0(VALU_DEP_3) | instskip(NEXT) | instid1(VALU_DEP_2)
	v_fma_f64 v[46:47], v[48:49], s[16:17], -v[50:51]
	v_add_f64_e64 v[40:41], v[44:45], -v[40:41]
	s_delay_alu instid0(VALU_DEP_2) | instskip(NEXT) | instid1(VALU_DEP_2)
	v_fmac_f64_e32 v[46:47], 0x3c7abc9e3b39803f, v[48:49]
	v_add_f64_e32 v[10:11], v[10:11], v[40:41]
	s_delay_alu instid0(VALU_DEP_2) | instskip(NEXT) | instid1(VALU_DEP_2)
	v_add_f64_e32 v[40:41], v[50:51], v[46:47]
	v_add_f64_e32 v[44:45], v[42:43], v[10:11]
	s_delay_alu instid0(VALU_DEP_2) | instskip(NEXT) | instid1(VALU_DEP_2)
	v_add_f64_e64 v[50:51], v[40:41], -v[50:51]
	v_add_f64_e32 v[48:49], v[40:41], v[44:45]
	v_add_f64_e64 v[42:43], v[44:45], -v[42:43]
	s_delay_alu instid0(VALU_DEP_3) | instskip(NEXT) | instid1(VALU_DEP_3)
	v_add_f64_e64 v[46:47], v[46:47], -v[50:51]
	v_add_f64_e64 v[54:55], v[48:49], -v[40:41]
	s_delay_alu instid0(VALU_DEP_3) | instskip(NEXT) | instid1(VALU_DEP_2)
	v_add_f64_e64 v[10:11], v[10:11], -v[42:43]
	v_add_f64_e64 v[56:57], v[48:49], -v[54:55]
	;; [unrolled: 1-line block ×3, first 2 shown]
	s_delay_alu instid0(VALU_DEP_3) | instskip(NEXT) | instid1(VALU_DEP_3)
	v_add_f64_e32 v[44:45], v[46:47], v[10:11]
	v_add_f64_e64 v[40:41], v[40:41], -v[56:57]
	s_delay_alu instid0(VALU_DEP_1) | instskip(NEXT) | instid1(VALU_DEP_3)
	v_add_f64_e32 v[40:41], v[42:43], v[40:41]
	v_add_f64_e64 v[42:43], v[44:45], -v[46:47]
	s_delay_alu instid0(VALU_DEP_2) | instskip(NEXT) | instid1(VALU_DEP_2)
	v_add_f64_e32 v[40:41], v[44:45], v[40:41]
	v_add_f64_e64 v[44:45], v[44:45], -v[42:43]
	v_add_f64_e64 v[10:11], v[10:11], -v[42:43]
	s_delay_alu instid0(VALU_DEP_3) | instskip(NEXT) | instid1(VALU_DEP_3)
	v_add_f64_e32 v[50:51], v[48:49], v[40:41]
	v_add_f64_e64 v[44:45], v[46:47], -v[44:45]
	s_delay_alu instid0(VALU_DEP_2) | instskip(NEXT) | instid1(VALU_DEP_2)
	v_add_f64_e64 v[42:43], v[50:51], -v[48:49]
	v_add_f64_e32 v[10:11], v[10:11], v[44:45]
	s_delay_alu instid0(VALU_DEP_2) | instskip(NEXT) | instid1(VALU_DEP_1)
	v_add_f64_e64 v[40:41], v[40:41], -v[42:43]
	v_add_f64_e32 v[10:11], v[10:11], v[40:41]
	s_delay_alu instid0(VALU_DEP_1) | instskip(NEXT) | instid1(VALU_DEP_1)
	v_add_f64_e32 v[10:11], v[50:51], v[10:11]
	v_mul_f64_e32 v[10:11], 0.5, v[10:11]
	s_delay_alu instid0(VALU_DEP_1) | instskip(SKIP_1) | instid1(VALU_DEP_3)
	v_cndmask_b32_e32 v10, 0, v10, vcc_lo
	v_cmp_neq_f64_e32 vcc_lo, -1.0, v[38:39]
	v_cndmask_b32_e64 v11, 0x7ff00000, v11, s2
	s_delay_alu instid0(VALU_DEP_1) | instskip(NEXT) | instid1(VALU_DEP_1)
	v_cndmask_b32_e64 v11, 0x7ff80000, v11, s3
	v_cndmask_b32_e32 v11, 0xfff00000, v11, vcc_lo
.LBB209_61:                             ;   in Loop: Header=BB209_50 Depth=1
	s_or_b32 exec_lo, exec_lo, s5
.LBB209_62:                             ;   in Loop: Header=BB209_50 Depth=1
	s_delay_alu instid0(SALU_CYCLE_1)
	s_or_b32 exec_lo, exec_lo, s4
	s_wait_loadcnt 0x0
	v_max_num_f64_e64 v[38:39], |v[14:15]|, |v[14:15]|
	v_max_num_f64_e64 v[42:43], |v[16:17]|, |v[16:17]|
	v_cmp_class_f64_e64 s4, v[14:15], 0x204
	v_cmp_class_f64_e64 s28, v[16:17], 0x204
	s_delay_alu instid0(VALU_DEP_3) | instskip(SKIP_1) | instid1(VALU_DEP_1)
	v_max_num_f64_e32 v[38:39], v[38:39], v[42:43]
	s_or_b32 s4, s4, s28
	v_frexp_exp_i32_f64_e32 v48, v[38:39]
	s_delay_alu instid0(VALU_DEP_1) | instskip(NEXT) | instid1(VALU_DEP_1)
	v_sub_nc_u32_e32 v40, 0, v48
	v_ldexp_f64 v[38:39], |v[16:17]|, v40
	v_ldexp_f64 v[40:41], |v[14:15]|, v40
	s_delay_alu instid0(VALU_DEP_2) | instskip(NEXT) | instid1(VALU_DEP_1)
	v_mul_f64_e32 v[38:39], v[38:39], v[38:39]
	v_fmac_f64_e32 v[38:39], v[40:41], v[40:41]
	s_delay_alu instid0(VALU_DEP_1) | instskip(SKIP_1) | instid1(TRANS32_DEP_1)
	v_rsq_f64_e32 v[40:41], v[38:39]
	v_cmp_eq_f64_e32 vcc_lo, 0, v[38:39]
	v_mul_f64_e32 v[44:45], v[38:39], v[40:41]
	v_mul_f64_e32 v[40:41], 0.5, v[40:41]
	s_delay_alu instid0(VALU_DEP_1) | instskip(NEXT) | instid1(VALU_DEP_1)
	v_fma_f64 v[46:47], -v[40:41], v[44:45], 0.5
	v_fmac_f64_e32 v[44:45], v[44:45], v[46:47]
	v_fmac_f64_e32 v[40:41], v[40:41], v[46:47]
	s_delay_alu instid0(VALU_DEP_2) | instskip(NEXT) | instid1(VALU_DEP_1)
	v_fma_f64 v[46:47], -v[44:45], v[44:45], v[38:39]
	v_fmac_f64_e32 v[44:45], v[46:47], v[40:41]
	s_delay_alu instid0(VALU_DEP_1) | instskip(SKIP_2) | instid1(VALU_DEP_3)
	v_dual_cndmask_b32 v41, v45, v39 :: v_dual_cndmask_b32 v40, v44, v38
	v_add_f64_e32 v[38:39], 1.0, v[14:15]
	v_cmp_u_f64_e32 vcc_lo, v[14:15], v[16:17]
	v_ldexp_f64 v[44:45], v[40:41], v48
	s_delay_alu instid0(VALU_DEP_3)
	v_max_num_f64_e64 v[40:41], |v[38:39]|, v[42:43]
	v_cmp_u_f64_e64 s2, v[38:39], v[16:17]
	v_cmp_class_f64_e64 s29, v[38:39], 0x204
	s_or_b32 s4, s4, vcc_lo
	v_cmp_ngt_f64_e64 s3, 0.5, v[44:45]
	s_or_b32 s3, s4, s3
	s_delay_alu instid0(SALU_CYCLE_1) | instskip(NEXT) | instid1(SALU_CYCLE_1)
	s_and_saveexec_b32 s4, s3
	s_xor_b32 s3, exec_lo, s4
	s_cbranch_execz .LBB209_64
; %bb.63:                               ;   in Loop: Header=BB209_50 Depth=1
	v_frexp_exp_i32_f64_e32 v50, v[40:41]
	s_or_b32 s4, s29, s28
	s_delay_alu instid0(VALU_DEP_1) | instskip(NEXT) | instid1(VALU_DEP_1)
	v_sub_nc_u32_e32 v44, 0, v50
	v_ldexp_f64 v[14:15], |v[16:17]|, v44
	v_ldexp_f64 v[44:45], |v[38:39]|, v44
	s_delay_alu instid0(VALU_DEP_2) | instskip(NEXT) | instid1(VALU_DEP_1)
	v_mul_f64_e32 v[14:15], v[14:15], v[14:15]
	v_fmac_f64_e32 v[14:15], v[44:45], v[44:45]
	s_delay_alu instid0(VALU_DEP_1) | instskip(SKIP_1) | instid1(TRANS32_DEP_1)
	v_rsq_f64_e32 v[44:45], v[14:15]
	v_cmp_eq_f64_e32 vcc_lo, 0, v[14:15]
	v_mul_f64_e32 v[46:47], v[14:15], v[44:45]
	v_mul_f64_e32 v[44:45], 0.5, v[44:45]
	s_delay_alu instid0(VALU_DEP_1) | instskip(NEXT) | instid1(VALU_DEP_1)
	v_fma_f64 v[48:49], -v[44:45], v[46:47], 0.5
	v_fmac_f64_e32 v[46:47], v[46:47], v[48:49]
	v_fmac_f64_e32 v[44:45], v[44:45], v[48:49]
	s_delay_alu instid0(VALU_DEP_2) | instskip(NEXT) | instid1(VALU_DEP_1)
	v_fma_f64 v[48:49], -v[46:47], v[46:47], v[14:15]
	v_fmac_f64_e32 v[46:47], v[48:49], v[44:45]
	s_delay_alu instid0(VALU_DEP_1) | instskip(NEXT) | instid1(VALU_DEP_1)
	v_dual_cndmask_b32 v15, v47, v15 :: v_dual_cndmask_b32 v14, v46, v14
	v_ldexp_f64 v[14:15], v[14:15], v50
	s_delay_alu instid0(VALU_DEP_1) | instskip(NEXT) | instid1(VALU_DEP_1)
	v_cndmask_b32_e64 v15, v15, 0x7ff80000, s2
	v_cndmask_b32_e64 v45, v15, 0x7ff00000, s4
	s_or_b32 s4, s4, s2
	s_delay_alu instid0(VALU_DEP_3) | instid1(SALU_CYCLE_1)
	v_cndmask_b32_e64 v44, v14, 0, s4
	s_delay_alu instid0(VALU_DEP_1) | instskip(NEXT) | instid1(VALU_DEP_1)
	v_frexp_mant_f64_e32 v[14:15], v[44:45]
	v_cmp_gt_f64_e32 vcc_lo, s[14:15], v[14:15]
	v_cndmask_b32_e64 v46, 0, 1, vcc_lo
	s_delay_alu instid0(VALU_DEP_1) | instskip(NEXT) | instid1(VALU_DEP_1)
	v_ldexp_f64 v[14:15], v[14:15], v46
	v_add_f64_e32 v[46:47], 1.0, v[14:15]
	v_add_f64_e32 v[54:55], -1.0, v[14:15]
	s_delay_alu instid0(VALU_DEP_2) | instskip(SKIP_1) | instid1(VALU_DEP_1)
	v_rcp_f64_e32 v[48:49], v[46:47]
	v_add_f64_e32 v[56:57], -1.0, v[46:47]
	v_add_f64_e64 v[14:15], v[14:15], -v[56:57]
	s_delay_alu instid0(TRANS32_DEP_1) | instskip(NEXT) | instid1(VALU_DEP_1)
	v_fma_f64 v[50:51], -v[46:47], v[48:49], 1.0
	v_fmac_f64_e32 v[48:49], v[50:51], v[48:49]
	s_delay_alu instid0(VALU_DEP_1) | instskip(NEXT) | instid1(VALU_DEP_1)
	v_fma_f64 v[50:51], -v[46:47], v[48:49], 1.0
	v_fmac_f64_e32 v[48:49], v[50:51], v[48:49]
	s_delay_alu instid0(VALU_DEP_1) | instskip(NEXT) | instid1(VALU_DEP_1)
	v_mul_f64_e32 v[50:51], v[54:55], v[48:49]
	v_mul_f64_e32 v[58:59], v[46:47], v[50:51]
	s_delay_alu instid0(VALU_DEP_1) | instskip(NEXT) | instid1(VALU_DEP_1)
	v_fma_f64 v[46:47], v[50:51], v[46:47], -v[58:59]
	v_fmac_f64_e32 v[46:47], v[50:51], v[14:15]
	s_delay_alu instid0(VALU_DEP_1) | instskip(NEXT) | instid1(VALU_DEP_1)
	v_add_f64_e32 v[14:15], v[58:59], v[46:47]
	v_add_f64_e64 v[56:57], v[54:55], -v[14:15]
	v_add_f64_e64 v[58:59], v[14:15], -v[58:59]
	s_delay_alu instid0(VALU_DEP_2) | instskip(NEXT) | instid1(VALU_DEP_2)
	v_add_f64_e64 v[54:55], v[54:55], -v[56:57]
	v_add_f64_e64 v[46:47], v[58:59], -v[46:47]
	v_frexp_exp_i32_f64_e32 v58, v[44:45]
	s_delay_alu instid0(VALU_DEP_3) | instskip(NEXT) | instid1(VALU_DEP_1)
	v_add_f64_e64 v[14:15], v[54:55], -v[14:15]
	v_add_f64_e32 v[14:15], v[46:47], v[14:15]
	s_delay_alu instid0(VALU_DEP_1) | instskip(NEXT) | instid1(VALU_DEP_1)
	v_add_f64_e32 v[14:15], v[56:57], v[14:15]
	v_mul_f64_e32 v[14:15], v[48:49], v[14:15]
	s_delay_alu instid0(VALU_DEP_1) | instskip(NEXT) | instid1(VALU_DEP_1)
	v_add_f64_e32 v[46:47], v[50:51], v[14:15]
	v_mul_f64_e32 v[48:49], v[46:47], v[46:47]
	s_delay_alu instid0(VALU_DEP_1) | instskip(SKIP_1) | instid1(VALU_DEP_2)
	v_fmamk_f64 v[54:55], v[48:49], 0x3fc3ab76bf559e2b, v[20:21]
	v_mul_f64_e32 v[56:57], v[46:47], v[48:49]
	v_fmaak_f64 v[54:55], v[48:49], v[54:55], 0x3fc7474dd7f4df2e
	s_delay_alu instid0(VALU_DEP_1) | instskip(NEXT) | instid1(VALU_DEP_1)
	v_fmaak_f64 v[54:55], v[48:49], v[54:55], 0x3fcc71c016291751
	v_fmaak_f64 v[54:55], v[48:49], v[54:55], 0x3fd249249b27acf1
	s_delay_alu instid0(VALU_DEP_1) | instskip(NEXT) | instid1(VALU_DEP_1)
	v_fmaak_f64 v[54:55], v[48:49], v[54:55], 0x3fd99999998ef7b6
	v_fmaak_f64 v[48:49], v[48:49], v[54:55], 0x3fe5555555555780
	v_ldexp_f64 v[54:55], v[46:47], 1
	v_add_f64_e64 v[46:47], v[46:47], -v[50:51]
	s_delay_alu instid0(VALU_DEP_3) | instskip(SKIP_2) | instid1(VALU_DEP_2)
	v_mul_f64_e32 v[48:49], v[56:57], v[48:49]
	v_subrev_co_ci_u32_e64 v56, null, 0, v58, vcc_lo
	v_cmp_class_f64_e64 vcc_lo, v[44:45], 0x204
	v_cvt_f64_i32_e32 v[56:57], v56
	v_add_f64_e64 v[14:15], v[14:15], -v[46:47]
	v_add_f64_e32 v[50:51], v[54:55], v[48:49]
	s_delay_alu instid0(VALU_DEP_3) | instskip(NEXT) | instid1(VALU_DEP_3)
	v_mul_f64_e32 v[58:59], 0x3fe62e42fefa39ef, v[56:57]
	v_ldexp_f64 v[14:15], v[14:15], 1
	s_delay_alu instid0(VALU_DEP_3) | instskip(NEXT) | instid1(VALU_DEP_3)
	v_add_f64_e64 v[46:47], v[50:51], -v[54:55]
	v_fma_f64 v[54:55], v[56:57], s[16:17], -v[58:59]
	s_delay_alu instid0(VALU_DEP_2) | instskip(NEXT) | instid1(VALU_DEP_2)
	v_add_f64_e64 v[46:47], v[48:49], -v[46:47]
	v_fmac_f64_e32 v[54:55], 0x3c7abc9e3b39803f, v[56:57]
	s_delay_alu instid0(VALU_DEP_2) | instskip(NEXT) | instid1(VALU_DEP_2)
	v_add_f64_e32 v[14:15], v[14:15], v[46:47]
	v_add_f64_e32 v[46:47], v[58:59], v[54:55]
	s_delay_alu instid0(VALU_DEP_2) | instskip(NEXT) | instid1(VALU_DEP_2)
	v_add_f64_e32 v[48:49], v[50:51], v[14:15]
	v_add_f64_e64 v[58:59], v[46:47], -v[58:59]
	s_delay_alu instid0(VALU_DEP_2) | instskip(SKIP_1) | instid1(VALU_DEP_3)
	v_add_f64_e32 v[56:57], v[46:47], v[48:49]
	v_add_f64_e64 v[50:51], v[48:49], -v[50:51]
	v_add_f64_e64 v[54:55], v[54:55], -v[58:59]
	s_delay_alu instid0(VALU_DEP_3) | instskip(NEXT) | instid1(VALU_DEP_3)
	v_add_f64_e64 v[60:61], v[56:57], -v[46:47]
	v_add_f64_e64 v[14:15], v[14:15], -v[50:51]
	s_delay_alu instid0(VALU_DEP_2) | instskip(SKIP_1) | instid1(VALU_DEP_3)
	v_add_f64_e64 v[62:63], v[56:57], -v[60:61]
	v_add_f64_e64 v[48:49], v[48:49], -v[60:61]
	v_add_f64_e32 v[50:51], v[54:55], v[14:15]
	s_delay_alu instid0(VALU_DEP_3) | instskip(NEXT) | instid1(VALU_DEP_1)
	v_add_f64_e64 v[46:47], v[46:47], -v[62:63]
	v_add_f64_e32 v[46:47], v[48:49], v[46:47]
	s_delay_alu instid0(VALU_DEP_3) | instskip(NEXT) | instid1(VALU_DEP_2)
	v_add_f64_e64 v[48:49], v[50:51], -v[54:55]
	v_add_f64_e32 v[46:47], v[50:51], v[46:47]
	s_delay_alu instid0(VALU_DEP_2) | instskip(SKIP_1) | instid1(VALU_DEP_3)
	v_add_f64_e64 v[50:51], v[50:51], -v[48:49]
	v_add_f64_e64 v[14:15], v[14:15], -v[48:49]
	v_add_f64_e32 v[58:59], v[56:57], v[46:47]
	s_delay_alu instid0(VALU_DEP_3) | instskip(NEXT) | instid1(VALU_DEP_2)
	v_add_f64_e64 v[48:49], v[54:55], -v[50:51]
	v_add_f64_e64 v[50:51], v[58:59], -v[56:57]
	s_delay_alu instid0(VALU_DEP_2) | instskip(NEXT) | instid1(VALU_DEP_2)
	v_add_f64_e32 v[14:15], v[14:15], v[48:49]
	v_add_f64_e64 v[46:47], v[46:47], -v[50:51]
	s_delay_alu instid0(VALU_DEP_1) | instskip(NEXT) | instid1(VALU_DEP_1)
	v_add_f64_e32 v[14:15], v[14:15], v[46:47]
	v_add_f64_e32 v[14:15], v[58:59], v[14:15]
	s_delay_alu instid0(VALU_DEP_1) | instskip(SKIP_1) | instid1(VALU_DEP_2)
	v_dual_cndmask_b32 v14, v14, v44 :: v_dual_cndmask_b32 v15, v15, v45
	v_cmp_ngt_f64_e32 vcc_lo, 0, v[44:45]
	v_cndmask_b32_e32 v15, 0x7ff80000, v15, vcc_lo
	v_cmp_nge_f64_e32 vcc_lo, 0, v[44:45]
	s_delay_alu instid0(VALU_DEP_4) | instskip(SKIP_1) | instid1(VALU_DEP_4)
	v_cndmask_b32_e32 v14, 0, v14, vcc_lo
	v_cmp_neq_f64_e32 vcc_lo, 0, v[44:45]
	v_cndmask_b32_e32 v15, 0xfff00000, v15, vcc_lo
.LBB209_64:                             ;   in Loop: Header=BB209_50 Depth=1
	s_and_not1_saveexec_b32 s5, s3
	s_cbranch_execz .LBB209_68
; %bb.65:                               ;   in Loop: Header=BB209_50 Depth=1
	s_delay_alu instid0(VALU_DEP_1) | instskip(SKIP_2) | instid1(VALU_DEP_1)
	v_add_f64_e32 v[46:47], 2.0, v[14:15]
	v_mul_f64_e32 v[44:45], v[16:17], v[16:17]
	s_mov_b32 s6, exec_lo
	v_fmac_f64_e32 v[44:45], v[14:15], v[46:47]
	s_delay_alu instid0(VALU_DEP_1)
	v_cmpx_neq_f64_e32 0, v[44:45]
	s_cbranch_execz .LBB209_67
; %bb.66:                               ;   in Loop: Header=BB209_50 Depth=1
	v_add_f64_e32 v[14:15], 1.0, v[44:45]
	v_cmp_neq_f64_e64 s3, 0x7ff00000, v[44:45]
	v_cmp_ngt_f64_e64 s4, -1.0, v[44:45]
	s_delay_alu instid0(VALU_DEP_3) | instskip(SKIP_1) | instid1(VALU_DEP_2)
	v_frexp_mant_f64_e32 v[46:47], v[14:15]
	v_frexp_exp_i32_f64_e32 v50, v[14:15]
	v_cmp_gt_f64_e32 vcc_lo, s[14:15], v[46:47]
	s_delay_alu instid0(VALU_DEP_2) | instskip(SKIP_2) | instid1(VALU_DEP_2)
	v_subrev_co_ci_u32_e64 v68, null, 0, v50, vcc_lo
	v_add_f64_e32 v[48:49], -1.0, v[14:15]
	v_cmp_nge_f64_e32 vcc_lo, -1.0, v[44:45]
	v_dual_add_f64 v[46:47], v[48:49], -v[14:15] :: v_dual_sub_nc_u32 v54, 0, v68
	s_delay_alu instid0(VALU_DEP_1) | instskip(SKIP_2) | instid1(VALU_DEP_3)
	v_ldexp_f64 v[14:15], v[14:15], v54
	s_and_b32 vcc_lo, vcc_lo, s3
	v_add_f64_e64 v[48:49], v[44:45], -v[48:49]
	v_add_f64_e32 v[46:47], 1.0, v[46:47]
	s_delay_alu instid0(VALU_DEP_3) | instskip(SKIP_1) | instid1(VALU_DEP_3)
	v_add_f64_e32 v[50:51], 1.0, v[14:15]
	v_add_f64_e32 v[58:59], -1.0, v[14:15]
	v_add_f64_e32 v[46:47], v[48:49], v[46:47]
	s_delay_alu instid0(VALU_DEP_3) | instskip(NEXT) | instid1(VALU_DEP_3)
	v_add_f64_e32 v[48:49], -1.0, v[50:51]
	v_add_f64_e32 v[60:61], 1.0, v[58:59]
	s_delay_alu instid0(VALU_DEP_3) | instskip(NEXT) | instid1(VALU_DEP_3)
	v_ldexp_f64 v[46:47], v[46:47], v54
	v_add_f64_e64 v[48:49], v[14:15], -v[48:49]
	s_delay_alu instid0(VALU_DEP_3) | instskip(NEXT) | instid1(VALU_DEP_2)
	v_add_f64_e64 v[14:15], v[14:15], -v[60:61]
	v_add_f64_e32 v[48:49], v[46:47], v[48:49]
	s_delay_alu instid0(VALU_DEP_2) | instskip(NEXT) | instid1(VALU_DEP_2)
	v_add_f64_e32 v[14:15], v[46:47], v[14:15]
	v_add_f64_e32 v[54:55], v[50:51], v[48:49]
	s_delay_alu instid0(VALU_DEP_2) | instskip(NEXT) | instid1(VALU_DEP_2)
	v_add_f64_e32 v[60:61], v[58:59], v[14:15]
	v_rcp_f64_e32 v[56:57], v[54:55]
	v_add_f64_e64 v[50:51], v[54:55], -v[50:51]
	s_delay_alu instid0(VALU_DEP_2) | instskip(NEXT) | instid1(VALU_DEP_2)
	v_add_f64_e64 v[58:59], v[60:61], -v[58:59]
	v_add_f64_e64 v[48:49], v[48:49], -v[50:51]
	s_delay_alu instid0(VALU_DEP_2) | instskip(NEXT) | instid1(TRANS32_DEP_1)
	v_add_f64_e64 v[14:15], v[14:15], -v[58:59]
	v_fma_f64 v[62:63], -v[54:55], v[56:57], 1.0
	s_delay_alu instid0(VALU_DEP_1) | instskip(NEXT) | instid1(VALU_DEP_1)
	v_fmac_f64_e32 v[56:57], v[62:63], v[56:57]
	v_fma_f64 v[46:47], -v[54:55], v[56:57], 1.0
	s_delay_alu instid0(VALU_DEP_1) | instskip(NEXT) | instid1(VALU_DEP_1)
	v_fmac_f64_e32 v[56:57], v[46:47], v[56:57]
	v_mul_f64_e32 v[46:47], v[60:61], v[56:57]
	s_delay_alu instid0(VALU_DEP_1) | instskip(NEXT) | instid1(VALU_DEP_1)
	v_mul_f64_e32 v[62:63], v[54:55], v[46:47]
	v_fma_f64 v[50:51], v[46:47], v[54:55], -v[62:63]
	s_delay_alu instid0(VALU_DEP_1) | instskip(NEXT) | instid1(VALU_DEP_1)
	v_fmac_f64_e32 v[50:51], v[46:47], v[48:49]
	v_add_f64_e32 v[64:65], v[62:63], v[50:51]
	s_delay_alu instid0(VALU_DEP_1) | instskip(SKIP_1) | instid1(VALU_DEP_2)
	v_add_f64_e64 v[66:67], v[60:61], -v[64:65]
	v_add_f64_e64 v[58:59], v[64:65], -v[62:63]
	;; [unrolled: 1-line block ×3, first 2 shown]
	s_delay_alu instid0(VALU_DEP_2) | instskip(NEXT) | instid1(VALU_DEP_2)
	v_add_f64_e64 v[50:51], v[58:59], -v[50:51]
	v_add_f64_e64 v[60:61], v[60:61], -v[64:65]
	s_delay_alu instid0(VALU_DEP_1) | instskip(NEXT) | instid1(VALU_DEP_1)
	v_add_f64_e32 v[14:15], v[14:15], v[60:61]
	v_add_f64_e32 v[14:15], v[50:51], v[14:15]
	s_delay_alu instid0(VALU_DEP_1) | instskip(NEXT) | instid1(VALU_DEP_1)
	v_add_f64_e32 v[50:51], v[66:67], v[14:15]
	v_mul_f64_e32 v[58:59], v[56:57], v[50:51]
	v_add_f64_e64 v[64:65], v[66:67], -v[50:51]
	s_delay_alu instid0(VALU_DEP_2) | instskip(NEXT) | instid1(VALU_DEP_2)
	v_mul_f64_e32 v[60:61], v[54:55], v[58:59]
	v_add_f64_e32 v[14:15], v[14:15], v[64:65]
	s_delay_alu instid0(VALU_DEP_2) | instskip(NEXT) | instid1(VALU_DEP_1)
	v_fma_f64 v[54:55], v[58:59], v[54:55], -v[60:61]
	v_fmac_f64_e32 v[54:55], v[58:59], v[48:49]
	s_delay_alu instid0(VALU_DEP_1) | instskip(NEXT) | instid1(VALU_DEP_1)
	v_add_f64_e32 v[48:49], v[60:61], v[54:55]
	v_add_f64_e64 v[62:63], v[50:51], -v[48:49]
	v_add_f64_e64 v[60:61], v[48:49], -v[60:61]
	s_delay_alu instid0(VALU_DEP_2) | instskip(NEXT) | instid1(VALU_DEP_1)
	v_add_f64_e64 v[50:51], v[50:51], -v[62:63]
	v_add_f64_e64 v[48:49], v[50:51], -v[48:49]
	s_delay_alu instid0(VALU_DEP_3) | instskip(NEXT) | instid1(VALU_DEP_2)
	v_add_f64_e64 v[50:51], v[60:61], -v[54:55]
	v_add_f64_e32 v[14:15], v[14:15], v[48:49]
	v_add_f64_e32 v[48:49], v[46:47], v[58:59]
	s_delay_alu instid0(VALU_DEP_2) | instskip(NEXT) | instid1(VALU_DEP_2)
	v_add_f64_e32 v[14:15], v[50:51], v[14:15]
	v_add_f64_e64 v[46:47], v[48:49], -v[46:47]
	s_delay_alu instid0(VALU_DEP_2) | instskip(NEXT) | instid1(VALU_DEP_2)
	v_add_f64_e32 v[14:15], v[62:63], v[14:15]
	v_add_f64_e64 v[46:47], v[58:59], -v[46:47]
	s_delay_alu instid0(VALU_DEP_2) | instskip(NEXT) | instid1(VALU_DEP_1)
	v_mul_f64_e32 v[14:15], v[56:57], v[14:15]
	v_add_f64_e32 v[14:15], v[46:47], v[14:15]
	s_delay_alu instid0(VALU_DEP_1) | instskip(NEXT) | instid1(VALU_DEP_1)
	v_add_f64_e32 v[46:47], v[48:49], v[14:15]
	v_mul_f64_e32 v[50:51], v[46:47], v[46:47]
	s_delay_alu instid0(VALU_DEP_1) | instskip(SKIP_1) | instid1(VALU_DEP_2)
	v_fmamk_f64 v[54:55], v[50:51], 0x3fc3ab76bf559e2b, v[20:21]
	v_mul_f64_e32 v[56:57], v[46:47], v[50:51]
	v_fmaak_f64 v[54:55], v[50:51], v[54:55], 0x3fc7474dd7f4df2e
	s_delay_alu instid0(VALU_DEP_1) | instskip(NEXT) | instid1(VALU_DEP_1)
	v_fmaak_f64 v[54:55], v[50:51], v[54:55], 0x3fcc71c016291751
	v_fmaak_f64 v[54:55], v[50:51], v[54:55], 0x3fd249249b27acf1
	s_delay_alu instid0(VALU_DEP_1) | instskip(NEXT) | instid1(VALU_DEP_1)
	v_fmaak_f64 v[54:55], v[50:51], v[54:55], 0x3fd99999998ef7b6
	v_fmaak_f64 v[50:51], v[50:51], v[54:55], 0x3fe5555555555780
	v_ldexp_f64 v[54:55], v[46:47], 1
	v_add_f64_e64 v[46:47], v[46:47], -v[48:49]
	s_delay_alu instid0(VALU_DEP_3) | instskip(SKIP_1) | instid1(VALU_DEP_3)
	v_mul_f64_e32 v[50:51], v[56:57], v[50:51]
	v_cvt_f64_i32_e32 v[56:57], v68
	v_add_f64_e64 v[14:15], v[14:15], -v[46:47]
	s_delay_alu instid0(VALU_DEP_3) | instskip(NEXT) | instid1(VALU_DEP_3)
	v_add_f64_e32 v[48:49], v[54:55], v[50:51]
	v_mul_f64_e32 v[58:59], 0x3fe62e42fefa39ef, v[56:57]
	s_delay_alu instid0(VALU_DEP_3) | instskip(NEXT) | instid1(VALU_DEP_3)
	v_ldexp_f64 v[14:15], v[14:15], 1
	v_add_f64_e64 v[46:47], v[48:49], -v[54:55]
	s_delay_alu instid0(VALU_DEP_3) | instskip(NEXT) | instid1(VALU_DEP_2)
	v_fma_f64 v[54:55], v[56:57], s[16:17], -v[58:59]
	v_add_f64_e64 v[46:47], v[50:51], -v[46:47]
	s_delay_alu instid0(VALU_DEP_2) | instskip(NEXT) | instid1(VALU_DEP_2)
	v_fmac_f64_e32 v[54:55], 0x3c7abc9e3b39803f, v[56:57]
	v_add_f64_e32 v[14:15], v[14:15], v[46:47]
	s_delay_alu instid0(VALU_DEP_2) | instskip(NEXT) | instid1(VALU_DEP_2)
	v_add_f64_e32 v[46:47], v[58:59], v[54:55]
	v_add_f64_e32 v[50:51], v[48:49], v[14:15]
	s_delay_alu instid0(VALU_DEP_2) | instskip(NEXT) | instid1(VALU_DEP_2)
	v_add_f64_e64 v[58:59], v[46:47], -v[58:59]
	v_add_f64_e32 v[56:57], v[46:47], v[50:51]
	v_add_f64_e64 v[48:49], v[50:51], -v[48:49]
	s_delay_alu instid0(VALU_DEP_3) | instskip(NEXT) | instid1(VALU_DEP_3)
	v_add_f64_e64 v[54:55], v[54:55], -v[58:59]
	v_add_f64_e64 v[60:61], v[56:57], -v[46:47]
	s_delay_alu instid0(VALU_DEP_3) | instskip(NEXT) | instid1(VALU_DEP_2)
	v_add_f64_e64 v[14:15], v[14:15], -v[48:49]
	v_add_f64_e64 v[62:63], v[56:57], -v[60:61]
	;; [unrolled: 1-line block ×3, first 2 shown]
	s_delay_alu instid0(VALU_DEP_3) | instskip(NEXT) | instid1(VALU_DEP_3)
	v_add_f64_e32 v[50:51], v[54:55], v[14:15]
	v_add_f64_e64 v[46:47], v[46:47], -v[62:63]
	s_delay_alu instid0(VALU_DEP_1) | instskip(NEXT) | instid1(VALU_DEP_3)
	v_add_f64_e32 v[46:47], v[48:49], v[46:47]
	v_add_f64_e64 v[48:49], v[50:51], -v[54:55]
	s_delay_alu instid0(VALU_DEP_2) | instskip(NEXT) | instid1(VALU_DEP_2)
	v_add_f64_e32 v[46:47], v[50:51], v[46:47]
	v_add_f64_e64 v[50:51], v[50:51], -v[48:49]
	v_add_f64_e64 v[14:15], v[14:15], -v[48:49]
	s_delay_alu instid0(VALU_DEP_3) | instskip(NEXT) | instid1(VALU_DEP_3)
	v_add_f64_e32 v[58:59], v[56:57], v[46:47]
	v_add_f64_e64 v[50:51], v[54:55], -v[50:51]
	s_delay_alu instid0(VALU_DEP_2) | instskip(NEXT) | instid1(VALU_DEP_2)
	v_add_f64_e64 v[48:49], v[58:59], -v[56:57]
	v_add_f64_e32 v[14:15], v[14:15], v[50:51]
	s_delay_alu instid0(VALU_DEP_2) | instskip(NEXT) | instid1(VALU_DEP_1)
	v_add_f64_e64 v[46:47], v[46:47], -v[48:49]
	v_add_f64_e32 v[14:15], v[14:15], v[46:47]
	s_delay_alu instid0(VALU_DEP_1) | instskip(NEXT) | instid1(VALU_DEP_1)
	v_add_f64_e32 v[14:15], v[58:59], v[14:15]
	v_mul_f64_e32 v[14:15], 0.5, v[14:15]
	s_delay_alu instid0(VALU_DEP_1) | instskip(SKIP_1) | instid1(VALU_DEP_3)
	v_cndmask_b32_e32 v14, 0, v14, vcc_lo
	v_cmp_neq_f64_e32 vcc_lo, -1.0, v[44:45]
	v_cndmask_b32_e64 v15, 0x7ff00000, v15, s3
	s_delay_alu instid0(VALU_DEP_1) | instskip(NEXT) | instid1(VALU_DEP_1)
	v_cndmask_b32_e64 v15, 0x7ff80000, v15, s4
	v_cndmask_b32_e32 v15, 0xfff00000, v15, vcc_lo
.LBB209_67:                             ;   in Loop: Header=BB209_50 Depth=1
	s_or_b32 exec_lo, exec_lo, s6
.LBB209_68:                             ;   in Loop: Header=BB209_50 Depth=1
	s_delay_alu instid0(SALU_CYCLE_1) | instskip(SKIP_4) | instid1(VALU_DEP_3)
	s_or_b32 exec_lo, exec_lo, s5
	v_max_num_f64_e64 v[44:45], |v[6:7]|, |v[6:7]|
	v_max_num_f64_e64 v[48:49], |v[8:9]|, |v[8:9]|
	v_cmp_class_f64_e64 s5, v[6:7], 0x204
	v_cmp_class_f64_e64 s30, v[8:9], 0x204
	v_max_num_f64_e32 v[44:45], v[44:45], v[48:49]
	s_or_b32 s5, s5, s30
	s_delay_alu instid0(VALU_DEP_1) | instskip(NEXT) | instid1(VALU_DEP_1)
	v_frexp_exp_i32_f64_e32 v56, v[44:45]
	v_sub_nc_u32_e32 v46, 0, v56
	s_delay_alu instid0(VALU_DEP_1) | instskip(SKIP_1) | instid1(VALU_DEP_2)
	v_ldexp_f64 v[44:45], |v[8:9]|, v46
	v_ldexp_f64 v[46:47], |v[6:7]|, v46
	v_mul_f64_e32 v[44:45], v[44:45], v[44:45]
	s_delay_alu instid0(VALU_DEP_1) | instskip(NEXT) | instid1(VALU_DEP_1)
	v_fmac_f64_e32 v[44:45], v[46:47], v[46:47]
	v_rsq_f64_e32 v[46:47], v[44:45]
	v_cmp_eq_f64_e32 vcc_lo, 0, v[44:45]
	s_delay_alu instid0(TRANS32_DEP_1) | instskip(SKIP_1) | instid1(VALU_DEP_1)
	v_mul_f64_e32 v[50:51], v[44:45], v[46:47]
	v_mul_f64_e32 v[46:47], 0.5, v[46:47]
	v_fma_f64 v[54:55], -v[46:47], v[50:51], 0.5
	s_delay_alu instid0(VALU_DEP_1) | instskip(SKIP_1) | instid1(VALU_DEP_2)
	v_fmac_f64_e32 v[50:51], v[50:51], v[54:55]
	v_fmac_f64_e32 v[46:47], v[46:47], v[54:55]
	v_fma_f64 v[54:55], -v[50:51], v[50:51], v[44:45]
	s_delay_alu instid0(VALU_DEP_1) | instskip(NEXT) | instid1(VALU_DEP_1)
	v_fmac_f64_e32 v[50:51], v[54:55], v[46:47]
	v_dual_cndmask_b32 v47, v51, v45 :: v_dual_cndmask_b32 v46, v50, v44
	v_add_f64_e32 v[44:45], 1.0, v[6:7]
	v_cmp_u_f64_e32 vcc_lo, v[6:7], v[8:9]
	s_delay_alu instid0(VALU_DEP_3) | instskip(NEXT) | instid1(VALU_DEP_3)
	v_ldexp_f64 v[50:51], v[46:47], v56
	v_max_num_f64_e64 v[46:47], |v[44:45]|, v[48:49]
	v_cmp_u_f64_e64 s3, v[44:45], v[8:9]
	v_cmp_class_f64_e64 s31, v[44:45], 0x204
	s_or_b32 s5, s5, vcc_lo
	v_cmp_ngt_f64_e64 s4, 0.5, v[50:51]
	s_or_b32 s4, s5, s4
	s_delay_alu instid0(SALU_CYCLE_1) | instskip(NEXT) | instid1(SALU_CYCLE_1)
	s_and_saveexec_b32 s5, s4
	s_xor_b32 s4, exec_lo, s5
	s_cbranch_execz .LBB209_70
; %bb.69:                               ;   in Loop: Header=BB209_50 Depth=1
	v_frexp_exp_i32_f64_e32 v58, v[46:47]
	s_or_b32 s5, s31, s30
	s_delay_alu instid0(VALU_DEP_1) | instskip(NEXT) | instid1(VALU_DEP_1)
	v_sub_nc_u32_e32 v50, 0, v58
	v_ldexp_f64 v[6:7], |v[8:9]|, v50
	v_ldexp_f64 v[50:51], |v[44:45]|, v50
	s_delay_alu instid0(VALU_DEP_2) | instskip(NEXT) | instid1(VALU_DEP_1)
	v_mul_f64_e32 v[6:7], v[6:7], v[6:7]
	v_fmac_f64_e32 v[6:7], v[50:51], v[50:51]
	s_delay_alu instid0(VALU_DEP_1) | instskip(SKIP_1) | instid1(TRANS32_DEP_1)
	v_rsq_f64_e32 v[50:51], v[6:7]
	v_cmp_eq_f64_e32 vcc_lo, 0, v[6:7]
	v_mul_f64_e32 v[54:55], v[6:7], v[50:51]
	v_mul_f64_e32 v[50:51], 0.5, v[50:51]
	s_delay_alu instid0(VALU_DEP_1) | instskip(NEXT) | instid1(VALU_DEP_1)
	v_fma_f64 v[56:57], -v[50:51], v[54:55], 0.5
	v_fmac_f64_e32 v[54:55], v[54:55], v[56:57]
	v_fmac_f64_e32 v[50:51], v[50:51], v[56:57]
	s_delay_alu instid0(VALU_DEP_2) | instskip(NEXT) | instid1(VALU_DEP_1)
	v_fma_f64 v[56:57], -v[54:55], v[54:55], v[6:7]
	v_fmac_f64_e32 v[54:55], v[56:57], v[50:51]
	s_delay_alu instid0(VALU_DEP_1) | instskip(NEXT) | instid1(VALU_DEP_1)
	v_dual_cndmask_b32 v7, v55, v7 :: v_dual_cndmask_b32 v6, v54, v6
	v_ldexp_f64 v[6:7], v[6:7], v58
	s_delay_alu instid0(VALU_DEP_1) | instskip(NEXT) | instid1(VALU_DEP_1)
	v_cndmask_b32_e64 v7, v7, 0x7ff80000, s3
	v_cndmask_b32_e64 v51, v7, 0x7ff00000, s5
	s_or_b32 s5, s5, s3
	s_delay_alu instid0(VALU_DEP_3) | instid1(SALU_CYCLE_1)
	v_cndmask_b32_e64 v50, v6, 0, s5
	s_delay_alu instid0(VALU_DEP_1) | instskip(NEXT) | instid1(VALU_DEP_1)
	v_frexp_mant_f64_e32 v[6:7], v[50:51]
	v_cmp_gt_f64_e32 vcc_lo, s[14:15], v[6:7]
	v_cndmask_b32_e64 v54, 0, 1, vcc_lo
	s_delay_alu instid0(VALU_DEP_1) | instskip(NEXT) | instid1(VALU_DEP_1)
	v_ldexp_f64 v[6:7], v[6:7], v54
	v_add_f64_e32 v[54:55], 1.0, v[6:7]
	v_add_f64_e32 v[60:61], -1.0, v[6:7]
	s_delay_alu instid0(VALU_DEP_2) | instskip(SKIP_1) | instid1(VALU_DEP_1)
	v_rcp_f64_e32 v[56:57], v[54:55]
	v_add_f64_e32 v[62:63], -1.0, v[54:55]
	v_add_f64_e64 v[6:7], v[6:7], -v[62:63]
	s_delay_alu instid0(TRANS32_DEP_1) | instskip(NEXT) | instid1(VALU_DEP_1)
	v_fma_f64 v[58:59], -v[54:55], v[56:57], 1.0
	v_fmac_f64_e32 v[56:57], v[58:59], v[56:57]
	s_delay_alu instid0(VALU_DEP_1) | instskip(NEXT) | instid1(VALU_DEP_1)
	v_fma_f64 v[58:59], -v[54:55], v[56:57], 1.0
	v_fmac_f64_e32 v[56:57], v[58:59], v[56:57]
	s_delay_alu instid0(VALU_DEP_1) | instskip(NEXT) | instid1(VALU_DEP_1)
	v_mul_f64_e32 v[58:59], v[60:61], v[56:57]
	v_mul_f64_e32 v[64:65], v[54:55], v[58:59]
	s_delay_alu instid0(VALU_DEP_1) | instskip(NEXT) | instid1(VALU_DEP_1)
	v_fma_f64 v[54:55], v[58:59], v[54:55], -v[64:65]
	v_fmac_f64_e32 v[54:55], v[58:59], v[6:7]
	s_delay_alu instid0(VALU_DEP_1) | instskip(NEXT) | instid1(VALU_DEP_1)
	v_add_f64_e32 v[6:7], v[64:65], v[54:55]
	v_add_f64_e64 v[62:63], v[60:61], -v[6:7]
	v_add_f64_e64 v[64:65], v[6:7], -v[64:65]
	s_delay_alu instid0(VALU_DEP_2) | instskip(NEXT) | instid1(VALU_DEP_2)
	v_add_f64_e64 v[60:61], v[60:61], -v[62:63]
	v_add_f64_e64 v[54:55], v[64:65], -v[54:55]
	v_frexp_exp_i32_f64_e32 v64, v[50:51]
	s_delay_alu instid0(VALU_DEP_3) | instskip(NEXT) | instid1(VALU_DEP_1)
	v_add_f64_e64 v[6:7], v[60:61], -v[6:7]
	v_add_f64_e32 v[6:7], v[54:55], v[6:7]
	s_delay_alu instid0(VALU_DEP_1) | instskip(NEXT) | instid1(VALU_DEP_1)
	v_add_f64_e32 v[6:7], v[62:63], v[6:7]
	v_mul_f64_e32 v[6:7], v[56:57], v[6:7]
	s_delay_alu instid0(VALU_DEP_1) | instskip(NEXT) | instid1(VALU_DEP_1)
	v_add_f64_e32 v[54:55], v[58:59], v[6:7]
	v_mul_f64_e32 v[56:57], v[54:55], v[54:55]
	s_delay_alu instid0(VALU_DEP_1) | instskip(SKIP_1) | instid1(VALU_DEP_2)
	v_fmamk_f64 v[60:61], v[56:57], 0x3fc3ab76bf559e2b, v[20:21]
	v_mul_f64_e32 v[62:63], v[54:55], v[56:57]
	v_fmaak_f64 v[60:61], v[56:57], v[60:61], 0x3fc7474dd7f4df2e
	s_delay_alu instid0(VALU_DEP_1) | instskip(NEXT) | instid1(VALU_DEP_1)
	v_fmaak_f64 v[60:61], v[56:57], v[60:61], 0x3fcc71c016291751
	v_fmaak_f64 v[60:61], v[56:57], v[60:61], 0x3fd249249b27acf1
	s_delay_alu instid0(VALU_DEP_1) | instskip(NEXT) | instid1(VALU_DEP_1)
	v_fmaak_f64 v[60:61], v[56:57], v[60:61], 0x3fd99999998ef7b6
	v_fmaak_f64 v[56:57], v[56:57], v[60:61], 0x3fe5555555555780
	v_ldexp_f64 v[60:61], v[54:55], 1
	v_add_f64_e64 v[54:55], v[54:55], -v[58:59]
	s_delay_alu instid0(VALU_DEP_3) | instskip(SKIP_2) | instid1(VALU_DEP_2)
	v_mul_f64_e32 v[56:57], v[62:63], v[56:57]
	v_subrev_co_ci_u32_e64 v62, null, 0, v64, vcc_lo
	v_cmp_class_f64_e64 vcc_lo, v[50:51], 0x204
	v_cvt_f64_i32_e32 v[62:63], v62
	v_add_f64_e64 v[6:7], v[6:7], -v[54:55]
	v_add_f64_e32 v[58:59], v[60:61], v[56:57]
	s_delay_alu instid0(VALU_DEP_3) | instskip(NEXT) | instid1(VALU_DEP_3)
	v_mul_f64_e32 v[64:65], 0x3fe62e42fefa39ef, v[62:63]
	v_ldexp_f64 v[6:7], v[6:7], 1
	s_delay_alu instid0(VALU_DEP_3) | instskip(NEXT) | instid1(VALU_DEP_3)
	v_add_f64_e64 v[54:55], v[58:59], -v[60:61]
	v_fma_f64 v[60:61], v[62:63], s[16:17], -v[64:65]
	s_delay_alu instid0(VALU_DEP_2) | instskip(NEXT) | instid1(VALU_DEP_2)
	v_add_f64_e64 v[54:55], v[56:57], -v[54:55]
	v_fmac_f64_e32 v[60:61], 0x3c7abc9e3b39803f, v[62:63]
	s_delay_alu instid0(VALU_DEP_2) | instskip(NEXT) | instid1(VALU_DEP_2)
	v_add_f64_e32 v[6:7], v[6:7], v[54:55]
	v_add_f64_e32 v[54:55], v[64:65], v[60:61]
	s_delay_alu instid0(VALU_DEP_2) | instskip(NEXT) | instid1(VALU_DEP_2)
	v_add_f64_e32 v[56:57], v[58:59], v[6:7]
	v_add_f64_e64 v[64:65], v[54:55], -v[64:65]
	s_delay_alu instid0(VALU_DEP_2) | instskip(SKIP_1) | instid1(VALU_DEP_3)
	v_add_f64_e32 v[62:63], v[54:55], v[56:57]
	v_add_f64_e64 v[58:59], v[56:57], -v[58:59]
	v_add_f64_e64 v[60:61], v[60:61], -v[64:65]
	s_delay_alu instid0(VALU_DEP_3) | instskip(NEXT) | instid1(VALU_DEP_3)
	v_add_f64_e64 v[66:67], v[62:63], -v[54:55]
	v_add_f64_e64 v[6:7], v[6:7], -v[58:59]
	s_delay_alu instid0(VALU_DEP_2) | instskip(SKIP_1) | instid1(VALU_DEP_3)
	v_add_f64_e64 v[68:69], v[62:63], -v[66:67]
	v_add_f64_e64 v[56:57], v[56:57], -v[66:67]
	v_add_f64_e32 v[58:59], v[60:61], v[6:7]
	s_delay_alu instid0(VALU_DEP_3) | instskip(NEXT) | instid1(VALU_DEP_1)
	v_add_f64_e64 v[54:55], v[54:55], -v[68:69]
	v_add_f64_e32 v[54:55], v[56:57], v[54:55]
	s_delay_alu instid0(VALU_DEP_3) | instskip(NEXT) | instid1(VALU_DEP_2)
	v_add_f64_e64 v[56:57], v[58:59], -v[60:61]
	v_add_f64_e32 v[54:55], v[58:59], v[54:55]
	s_delay_alu instid0(VALU_DEP_2) | instskip(SKIP_1) | instid1(VALU_DEP_3)
	v_add_f64_e64 v[58:59], v[58:59], -v[56:57]
	v_add_f64_e64 v[6:7], v[6:7], -v[56:57]
	v_add_f64_e32 v[64:65], v[62:63], v[54:55]
	s_delay_alu instid0(VALU_DEP_3) | instskip(NEXT) | instid1(VALU_DEP_2)
	v_add_f64_e64 v[56:57], v[60:61], -v[58:59]
	v_add_f64_e64 v[58:59], v[64:65], -v[62:63]
	s_delay_alu instid0(VALU_DEP_2) | instskip(NEXT) | instid1(VALU_DEP_2)
	v_add_f64_e32 v[6:7], v[6:7], v[56:57]
	v_add_f64_e64 v[54:55], v[54:55], -v[58:59]
	s_delay_alu instid0(VALU_DEP_1) | instskip(NEXT) | instid1(VALU_DEP_1)
	v_add_f64_e32 v[6:7], v[6:7], v[54:55]
	v_add_f64_e32 v[6:7], v[64:65], v[6:7]
	s_delay_alu instid0(VALU_DEP_1) | instskip(SKIP_1) | instid1(VALU_DEP_2)
	v_dual_cndmask_b32 v6, v6, v50 :: v_dual_cndmask_b32 v7, v7, v51
	v_cmp_ngt_f64_e32 vcc_lo, 0, v[50:51]
	v_cndmask_b32_e32 v7, 0x7ff80000, v7, vcc_lo
	v_cmp_nge_f64_e32 vcc_lo, 0, v[50:51]
	s_delay_alu instid0(VALU_DEP_4) | instskip(SKIP_1) | instid1(VALU_DEP_4)
	v_cndmask_b32_e32 v6, 0, v6, vcc_lo
	v_cmp_neq_f64_e32 vcc_lo, 0, v[50:51]
	v_cndmask_b32_e32 v7, 0xfff00000, v7, vcc_lo
.LBB209_70:                             ;   in Loop: Header=BB209_50 Depth=1
	s_and_not1_saveexec_b32 s6, s4
	s_cbranch_execz .LBB209_49
; %bb.71:                               ;   in Loop: Header=BB209_50 Depth=1
	s_delay_alu instid0(VALU_DEP_1) | instskip(SKIP_2) | instid1(VALU_DEP_1)
	v_add_f64_e32 v[54:55], 2.0, v[6:7]
	v_mul_f64_e32 v[50:51], v[8:9], v[8:9]
	s_mov_b32 s7, exec_lo
	v_fmac_f64_e32 v[50:51], v[6:7], v[54:55]
	s_delay_alu instid0(VALU_DEP_1)
	v_cmpx_neq_f64_e32 0, v[50:51]
	s_cbranch_execz .LBB209_48
; %bb.72:                               ;   in Loop: Header=BB209_50 Depth=1
	v_add_f64_e32 v[6:7], 1.0, v[50:51]
	v_cmp_neq_f64_e64 s4, 0x7ff00000, v[50:51]
	v_cmp_ngt_f64_e64 s5, -1.0, v[50:51]
	s_delay_alu instid0(VALU_DEP_3) | instskip(SKIP_2) | instid1(VALU_DEP_3)
	v_frexp_mant_f64_e32 v[54:55], v[6:7]
	v_frexp_exp_i32_f64_e32 v58, v[6:7]
	v_add_f64_e32 v[56:57], -1.0, v[6:7]
	v_cmp_gt_f64_e32 vcc_lo, s[14:15], v[54:55]
	s_delay_alu instid0(VALU_DEP_2) | instskip(SKIP_2) | instid1(VALU_DEP_3)
	v_add_f64_e64 v[54:55], v[56:57], -v[6:7]
	v_add_f64_e64 v[56:57], v[50:51], -v[56:57]
	v_subrev_co_ci_u32_e64 v74, null, 0, v58, vcc_lo
	v_add_f64_e32 v[54:55], 1.0, v[54:55]
	v_cmp_nge_f64_e32 vcc_lo, -1.0, v[50:51]
	s_delay_alu instid0(VALU_DEP_3) | instskip(NEXT) | instid1(VALU_DEP_1)
	v_sub_nc_u32_e32 v60, 0, v74
	v_ldexp_f64 v[6:7], v[6:7], v60
	s_delay_alu instid0(VALU_DEP_4) | instskip(SKIP_1) | instid1(VALU_DEP_2)
	v_add_f64_e32 v[54:55], v[56:57], v[54:55]
	s_and_b32 vcc_lo, vcc_lo, s4
	v_add_f64_e32 v[58:59], 1.0, v[6:7]
	v_add_f64_e32 v[64:65], -1.0, v[6:7]
	s_delay_alu instid0(VALU_DEP_3) | instskip(NEXT) | instid1(VALU_DEP_3)
	v_ldexp_f64 v[54:55], v[54:55], v60
	v_add_f64_e32 v[56:57], -1.0, v[58:59]
	s_delay_alu instid0(VALU_DEP_3) | instskip(NEXT) | instid1(VALU_DEP_2)
	v_add_f64_e32 v[66:67], 1.0, v[64:65]
	v_add_f64_e64 v[56:57], v[6:7], -v[56:57]
	s_delay_alu instid0(VALU_DEP_2) | instskip(NEXT) | instid1(VALU_DEP_2)
	v_add_f64_e64 v[6:7], v[6:7], -v[66:67]
	v_add_f64_e32 v[56:57], v[54:55], v[56:57]
	s_delay_alu instid0(VALU_DEP_2) | instskip(NEXT) | instid1(VALU_DEP_2)
	v_add_f64_e32 v[6:7], v[54:55], v[6:7]
	v_add_f64_e32 v[60:61], v[58:59], v[56:57]
	s_delay_alu instid0(VALU_DEP_2) | instskip(NEXT) | instid1(VALU_DEP_2)
	v_add_f64_e32 v[66:67], v[64:65], v[6:7]
	v_rcp_f64_e32 v[62:63], v[60:61]
	v_add_f64_e64 v[58:59], v[60:61], -v[58:59]
	s_delay_alu instid0(VALU_DEP_2) | instskip(NEXT) | instid1(VALU_DEP_2)
	v_add_f64_e64 v[64:65], v[66:67], -v[64:65]
	v_add_f64_e64 v[56:57], v[56:57], -v[58:59]
	s_delay_alu instid0(VALU_DEP_2) | instskip(NEXT) | instid1(TRANS32_DEP_1)
	v_add_f64_e64 v[6:7], v[6:7], -v[64:65]
	v_fma_f64 v[68:69], -v[60:61], v[62:63], 1.0
	s_delay_alu instid0(VALU_DEP_1) | instskip(NEXT) | instid1(VALU_DEP_1)
	v_fmac_f64_e32 v[62:63], v[68:69], v[62:63]
	v_fma_f64 v[54:55], -v[60:61], v[62:63], 1.0
	s_delay_alu instid0(VALU_DEP_1) | instskip(NEXT) | instid1(VALU_DEP_1)
	v_fmac_f64_e32 v[62:63], v[54:55], v[62:63]
	v_mul_f64_e32 v[54:55], v[66:67], v[62:63]
	s_delay_alu instid0(VALU_DEP_1) | instskip(NEXT) | instid1(VALU_DEP_1)
	v_mul_f64_e32 v[68:69], v[60:61], v[54:55]
	v_fma_f64 v[58:59], v[54:55], v[60:61], -v[68:69]
	s_delay_alu instid0(VALU_DEP_1) | instskip(NEXT) | instid1(VALU_DEP_1)
	v_fmac_f64_e32 v[58:59], v[54:55], v[56:57]
	v_add_f64_e32 v[70:71], v[68:69], v[58:59]
	s_delay_alu instid0(VALU_DEP_1) | instskip(SKIP_1) | instid1(VALU_DEP_2)
	v_add_f64_e64 v[72:73], v[66:67], -v[70:71]
	v_add_f64_e64 v[64:65], v[70:71], -v[68:69]
	;; [unrolled: 1-line block ×3, first 2 shown]
	s_delay_alu instid0(VALU_DEP_2) | instskip(NEXT) | instid1(VALU_DEP_2)
	v_add_f64_e64 v[58:59], v[64:65], -v[58:59]
	v_add_f64_e64 v[66:67], v[66:67], -v[70:71]
	s_delay_alu instid0(VALU_DEP_1) | instskip(NEXT) | instid1(VALU_DEP_1)
	v_add_f64_e32 v[6:7], v[6:7], v[66:67]
	v_add_f64_e32 v[6:7], v[58:59], v[6:7]
	s_delay_alu instid0(VALU_DEP_1) | instskip(NEXT) | instid1(VALU_DEP_1)
	v_add_f64_e32 v[58:59], v[72:73], v[6:7]
	v_mul_f64_e32 v[64:65], v[62:63], v[58:59]
	v_add_f64_e64 v[70:71], v[72:73], -v[58:59]
	s_delay_alu instid0(VALU_DEP_2) | instskip(NEXT) | instid1(VALU_DEP_2)
	v_mul_f64_e32 v[66:67], v[60:61], v[64:65]
	v_add_f64_e32 v[6:7], v[6:7], v[70:71]
	s_delay_alu instid0(VALU_DEP_2) | instskip(NEXT) | instid1(VALU_DEP_1)
	v_fma_f64 v[60:61], v[64:65], v[60:61], -v[66:67]
	v_fmac_f64_e32 v[60:61], v[64:65], v[56:57]
	s_delay_alu instid0(VALU_DEP_1) | instskip(NEXT) | instid1(VALU_DEP_1)
	v_add_f64_e32 v[56:57], v[66:67], v[60:61]
	v_add_f64_e64 v[68:69], v[58:59], -v[56:57]
	v_add_f64_e64 v[66:67], v[56:57], -v[66:67]
	s_delay_alu instid0(VALU_DEP_2) | instskip(NEXT) | instid1(VALU_DEP_1)
	v_add_f64_e64 v[58:59], v[58:59], -v[68:69]
	v_add_f64_e64 v[56:57], v[58:59], -v[56:57]
	s_delay_alu instid0(VALU_DEP_3) | instskip(NEXT) | instid1(VALU_DEP_2)
	v_add_f64_e64 v[58:59], v[66:67], -v[60:61]
	v_add_f64_e32 v[6:7], v[6:7], v[56:57]
	v_add_f64_e32 v[56:57], v[54:55], v[64:65]
	s_delay_alu instid0(VALU_DEP_2) | instskip(NEXT) | instid1(VALU_DEP_2)
	v_add_f64_e32 v[6:7], v[58:59], v[6:7]
	v_add_f64_e64 v[54:55], v[56:57], -v[54:55]
	s_delay_alu instid0(VALU_DEP_2) | instskip(NEXT) | instid1(VALU_DEP_2)
	v_add_f64_e32 v[6:7], v[68:69], v[6:7]
	v_add_f64_e64 v[54:55], v[64:65], -v[54:55]
	s_delay_alu instid0(VALU_DEP_2) | instskip(NEXT) | instid1(VALU_DEP_1)
	v_mul_f64_e32 v[6:7], v[62:63], v[6:7]
	v_add_f64_e32 v[6:7], v[54:55], v[6:7]
	s_delay_alu instid0(VALU_DEP_1) | instskip(NEXT) | instid1(VALU_DEP_1)
	v_add_f64_e32 v[54:55], v[56:57], v[6:7]
	v_mul_f64_e32 v[58:59], v[54:55], v[54:55]
	s_delay_alu instid0(VALU_DEP_1) | instskip(SKIP_1) | instid1(VALU_DEP_2)
	v_fmamk_f64 v[60:61], v[58:59], 0x3fc3ab76bf559e2b, v[20:21]
	v_mul_f64_e32 v[62:63], v[54:55], v[58:59]
	v_fmaak_f64 v[60:61], v[58:59], v[60:61], 0x3fc7474dd7f4df2e
	s_delay_alu instid0(VALU_DEP_1) | instskip(NEXT) | instid1(VALU_DEP_1)
	v_fmaak_f64 v[60:61], v[58:59], v[60:61], 0x3fcc71c016291751
	v_fmaak_f64 v[60:61], v[58:59], v[60:61], 0x3fd249249b27acf1
	s_delay_alu instid0(VALU_DEP_1) | instskip(NEXT) | instid1(VALU_DEP_1)
	v_fmaak_f64 v[60:61], v[58:59], v[60:61], 0x3fd99999998ef7b6
	v_fmaak_f64 v[58:59], v[58:59], v[60:61], 0x3fe5555555555780
	v_ldexp_f64 v[60:61], v[54:55], 1
	v_add_f64_e64 v[54:55], v[54:55], -v[56:57]
	s_delay_alu instid0(VALU_DEP_3) | instskip(SKIP_1) | instid1(VALU_DEP_3)
	v_mul_f64_e32 v[58:59], v[62:63], v[58:59]
	v_cvt_f64_i32_e32 v[62:63], v74
	v_add_f64_e64 v[6:7], v[6:7], -v[54:55]
	s_delay_alu instid0(VALU_DEP_3) | instskip(NEXT) | instid1(VALU_DEP_3)
	v_add_f64_e32 v[56:57], v[60:61], v[58:59]
	v_mul_f64_e32 v[64:65], 0x3fe62e42fefa39ef, v[62:63]
	s_delay_alu instid0(VALU_DEP_3) | instskip(NEXT) | instid1(VALU_DEP_3)
	v_ldexp_f64 v[6:7], v[6:7], 1
	v_add_f64_e64 v[54:55], v[56:57], -v[60:61]
	s_delay_alu instid0(VALU_DEP_3) | instskip(NEXT) | instid1(VALU_DEP_2)
	v_fma_f64 v[60:61], v[62:63], s[16:17], -v[64:65]
	v_add_f64_e64 v[54:55], v[58:59], -v[54:55]
	s_delay_alu instid0(VALU_DEP_2) | instskip(NEXT) | instid1(VALU_DEP_2)
	v_fmac_f64_e32 v[60:61], 0x3c7abc9e3b39803f, v[62:63]
	v_add_f64_e32 v[6:7], v[6:7], v[54:55]
	s_delay_alu instid0(VALU_DEP_2) | instskip(NEXT) | instid1(VALU_DEP_2)
	v_add_f64_e32 v[54:55], v[64:65], v[60:61]
	v_add_f64_e32 v[58:59], v[56:57], v[6:7]
	s_delay_alu instid0(VALU_DEP_2) | instskip(NEXT) | instid1(VALU_DEP_2)
	v_add_f64_e64 v[64:65], v[54:55], -v[64:65]
	v_add_f64_e32 v[62:63], v[54:55], v[58:59]
	v_add_f64_e64 v[56:57], v[58:59], -v[56:57]
	s_delay_alu instid0(VALU_DEP_3) | instskip(NEXT) | instid1(VALU_DEP_3)
	v_add_f64_e64 v[60:61], v[60:61], -v[64:65]
	v_add_f64_e64 v[66:67], v[62:63], -v[54:55]
	s_delay_alu instid0(VALU_DEP_3) | instskip(NEXT) | instid1(VALU_DEP_2)
	v_add_f64_e64 v[6:7], v[6:7], -v[56:57]
	v_add_f64_e64 v[68:69], v[62:63], -v[66:67]
	;; [unrolled: 1-line block ×3, first 2 shown]
	s_delay_alu instid0(VALU_DEP_3) | instskip(NEXT) | instid1(VALU_DEP_3)
	v_add_f64_e32 v[58:59], v[60:61], v[6:7]
	v_add_f64_e64 v[54:55], v[54:55], -v[68:69]
	s_delay_alu instid0(VALU_DEP_1) | instskip(NEXT) | instid1(VALU_DEP_3)
	v_add_f64_e32 v[54:55], v[56:57], v[54:55]
	v_add_f64_e64 v[56:57], v[58:59], -v[60:61]
	s_delay_alu instid0(VALU_DEP_2) | instskip(NEXT) | instid1(VALU_DEP_2)
	v_add_f64_e32 v[54:55], v[58:59], v[54:55]
	v_add_f64_e64 v[58:59], v[58:59], -v[56:57]
	v_add_f64_e64 v[6:7], v[6:7], -v[56:57]
	s_delay_alu instid0(VALU_DEP_3) | instskip(NEXT) | instid1(VALU_DEP_3)
	v_add_f64_e32 v[64:65], v[62:63], v[54:55]
	v_add_f64_e64 v[58:59], v[60:61], -v[58:59]
	s_delay_alu instid0(VALU_DEP_2) | instskip(NEXT) | instid1(VALU_DEP_2)
	v_add_f64_e64 v[56:57], v[64:65], -v[62:63]
	v_add_f64_e32 v[6:7], v[6:7], v[58:59]
	s_delay_alu instid0(VALU_DEP_2) | instskip(NEXT) | instid1(VALU_DEP_1)
	v_add_f64_e64 v[54:55], v[54:55], -v[56:57]
	v_add_f64_e32 v[6:7], v[6:7], v[54:55]
	s_delay_alu instid0(VALU_DEP_1) | instskip(NEXT) | instid1(VALU_DEP_1)
	v_add_f64_e32 v[6:7], v[64:65], v[6:7]
	v_mul_f64_e32 v[6:7], 0.5, v[6:7]
	s_delay_alu instid0(VALU_DEP_1) | instskip(SKIP_1) | instid1(VALU_DEP_3)
	v_cndmask_b32_e32 v6, 0, v6, vcc_lo
	v_cmp_neq_f64_e32 vcc_lo, -1.0, v[50:51]
	v_cndmask_b32_e64 v7, 0x7ff00000, v7, s4
	s_delay_alu instid0(VALU_DEP_1) | instskip(NEXT) | instid1(VALU_DEP_1)
	v_cndmask_b32_e64 v7, 0x7ff80000, v7, s5
	v_cndmask_b32_e32 v7, 0xfff00000, v7, vcc_lo
	s_branch .LBB209_48
.LBB209_73:
	s_sendmsg sendmsg(MSG_DEALLOC_VGPRS)
	s_endpgm
	.section	.rodata,"a",@progbits
	.p2align	6, 0x0
	.amdhsa_kernel _ZN2at6native12_GLOBAL__N_125multi_tensor_apply_kernelINS1_18TensorListMetadataILi1EEENS1_14UnaryOpFunctorIN3c107complexIdEELi1ELi1ELi0EEEJNS0_5Log1pIS8_EEEEEvT_T0_DpT1_
		.amdhsa_group_segment_fixed_size 0
		.amdhsa_private_segment_fixed_size 0
		.amdhsa_kernarg_size 3632
		.amdhsa_user_sgpr_count 2
		.amdhsa_user_sgpr_dispatch_ptr 0
		.amdhsa_user_sgpr_queue_ptr 0
		.amdhsa_user_sgpr_kernarg_segment_ptr 1
		.amdhsa_user_sgpr_dispatch_id 0
		.amdhsa_user_sgpr_kernarg_preload_length 0
		.amdhsa_user_sgpr_kernarg_preload_offset 0
		.amdhsa_user_sgpr_private_segment_size 0
		.amdhsa_wavefront_size32 1
		.amdhsa_uses_dynamic_stack 0
		.amdhsa_enable_private_segment 0
		.amdhsa_system_sgpr_workgroup_id_x 1
		.amdhsa_system_sgpr_workgroup_id_y 0
		.amdhsa_system_sgpr_workgroup_id_z 0
		.amdhsa_system_sgpr_workgroup_info 0
		.amdhsa_system_vgpr_workitem_id 0
		.amdhsa_next_free_vgpr 97
		.amdhsa_next_free_sgpr 46
		.amdhsa_named_barrier_count 0
		.amdhsa_reserve_vcc 1
		.amdhsa_float_round_mode_32 0
		.amdhsa_float_round_mode_16_64 0
		.amdhsa_float_denorm_mode_32 3
		.amdhsa_float_denorm_mode_16_64 3
		.amdhsa_fp16_overflow 0
		.amdhsa_memory_ordered 1
		.amdhsa_forward_progress 1
		.amdhsa_inst_pref_size 179
		.amdhsa_round_robin_scheduling 0
		.amdhsa_exception_fp_ieee_invalid_op 0
		.amdhsa_exception_fp_denorm_src 0
		.amdhsa_exception_fp_ieee_div_zero 0
		.amdhsa_exception_fp_ieee_overflow 0
		.amdhsa_exception_fp_ieee_underflow 0
		.amdhsa_exception_fp_ieee_inexact 0
		.amdhsa_exception_int_div_zero 0
	.end_amdhsa_kernel
	.section	.text._ZN2at6native12_GLOBAL__N_125multi_tensor_apply_kernelINS1_18TensorListMetadataILi1EEENS1_14UnaryOpFunctorIN3c107complexIdEELi1ELi1ELi0EEEJNS0_5Log1pIS8_EEEEEvT_T0_DpT1_,"axG",@progbits,_ZN2at6native12_GLOBAL__N_125multi_tensor_apply_kernelINS1_18TensorListMetadataILi1EEENS1_14UnaryOpFunctorIN3c107complexIdEELi1ELi1ELi0EEEJNS0_5Log1pIS8_EEEEEvT_T0_DpT1_,comdat
.Lfunc_end209:
	.size	_ZN2at6native12_GLOBAL__N_125multi_tensor_apply_kernelINS1_18TensorListMetadataILi1EEENS1_14UnaryOpFunctorIN3c107complexIdEELi1ELi1ELi0EEEJNS0_5Log1pIS8_EEEEEvT_T0_DpT1_, .Lfunc_end209-_ZN2at6native12_GLOBAL__N_125multi_tensor_apply_kernelINS1_18TensorListMetadataILi1EEENS1_14UnaryOpFunctorIN3c107complexIdEELi1ELi1ELi0EEEJNS0_5Log1pIS8_EEEEEvT_T0_DpT1_
                                        ; -- End function
	.set _ZN2at6native12_GLOBAL__N_125multi_tensor_apply_kernelINS1_18TensorListMetadataILi1EEENS1_14UnaryOpFunctorIN3c107complexIdEELi1ELi1ELi0EEEJNS0_5Log1pIS8_EEEEEvT_T0_DpT1_.num_vgpr, 97
	.set _ZN2at6native12_GLOBAL__N_125multi_tensor_apply_kernelINS1_18TensorListMetadataILi1EEENS1_14UnaryOpFunctorIN3c107complexIdEELi1ELi1ELi0EEEJNS0_5Log1pIS8_EEEEEvT_T0_DpT1_.num_agpr, 0
	.set _ZN2at6native12_GLOBAL__N_125multi_tensor_apply_kernelINS1_18TensorListMetadataILi1EEENS1_14UnaryOpFunctorIN3c107complexIdEELi1ELi1ELi0EEEJNS0_5Log1pIS8_EEEEEvT_T0_DpT1_.numbered_sgpr, 46
	.set _ZN2at6native12_GLOBAL__N_125multi_tensor_apply_kernelINS1_18TensorListMetadataILi1EEENS1_14UnaryOpFunctorIN3c107complexIdEELi1ELi1ELi0EEEJNS0_5Log1pIS8_EEEEEvT_T0_DpT1_.num_named_barrier, 0
	.set _ZN2at6native12_GLOBAL__N_125multi_tensor_apply_kernelINS1_18TensorListMetadataILi1EEENS1_14UnaryOpFunctorIN3c107complexIdEELi1ELi1ELi0EEEJNS0_5Log1pIS8_EEEEEvT_T0_DpT1_.private_seg_size, 0
	.set _ZN2at6native12_GLOBAL__N_125multi_tensor_apply_kernelINS1_18TensorListMetadataILi1EEENS1_14UnaryOpFunctorIN3c107complexIdEELi1ELi1ELi0EEEJNS0_5Log1pIS8_EEEEEvT_T0_DpT1_.uses_vcc, 1
	.set _ZN2at6native12_GLOBAL__N_125multi_tensor_apply_kernelINS1_18TensorListMetadataILi1EEENS1_14UnaryOpFunctorIN3c107complexIdEELi1ELi1ELi0EEEJNS0_5Log1pIS8_EEEEEvT_T0_DpT1_.uses_flat_scratch, 0
	.set _ZN2at6native12_GLOBAL__N_125multi_tensor_apply_kernelINS1_18TensorListMetadataILi1EEENS1_14UnaryOpFunctorIN3c107complexIdEELi1ELi1ELi0EEEJNS0_5Log1pIS8_EEEEEvT_T0_DpT1_.has_dyn_sized_stack, 0
	.set _ZN2at6native12_GLOBAL__N_125multi_tensor_apply_kernelINS1_18TensorListMetadataILi1EEENS1_14UnaryOpFunctorIN3c107complexIdEELi1ELi1ELi0EEEJNS0_5Log1pIS8_EEEEEvT_T0_DpT1_.has_recursion, 0
	.set _ZN2at6native12_GLOBAL__N_125multi_tensor_apply_kernelINS1_18TensorListMetadataILi1EEENS1_14UnaryOpFunctorIN3c107complexIdEELi1ELi1ELi0EEEJNS0_5Log1pIS8_EEEEEvT_T0_DpT1_.has_indirect_call, 0
	.section	.AMDGPU.csdata,"",@progbits
; Kernel info:
; codeLenInByte = 22848
; TotalNumSgprs: 48
; NumVgprs: 97
; ScratchSize: 0
; MemoryBound: 1
; FloatMode: 240
; IeeeMode: 1
; LDSByteSize: 0 bytes/workgroup (compile time only)
; SGPRBlocks: 0
; VGPRBlocks: 6
; NumSGPRsForWavesPerEU: 48
; NumVGPRsForWavesPerEU: 97
; NamedBarCnt: 0
; Occupancy: 9
; WaveLimiterHint : 0
; COMPUTE_PGM_RSRC2:SCRATCH_EN: 0
; COMPUTE_PGM_RSRC2:USER_SGPR: 2
; COMPUTE_PGM_RSRC2:TRAP_HANDLER: 0
; COMPUTE_PGM_RSRC2:TGID_X_EN: 1
; COMPUTE_PGM_RSRC2:TGID_Y_EN: 0
; COMPUTE_PGM_RSRC2:TGID_Z_EN: 0
; COMPUTE_PGM_RSRC2:TIDIG_COMP_CNT: 0
	.section	.text._ZN2at6native12_GLOBAL__N_125multi_tensor_apply_kernelINS1_18TensorListMetadataILi1EEENS1_14UnaryOpFunctorIN3c107complexIfEELi1ELi1ELi0EEEJNS0_5Log1pIS8_EEEEEvT_T0_DpT1_,"axG",@progbits,_ZN2at6native12_GLOBAL__N_125multi_tensor_apply_kernelINS1_18TensorListMetadataILi1EEENS1_14UnaryOpFunctorIN3c107complexIfEELi1ELi1ELi0EEEJNS0_5Log1pIS8_EEEEEvT_T0_DpT1_,comdat
	.globl	_ZN2at6native12_GLOBAL__N_125multi_tensor_apply_kernelINS1_18TensorListMetadataILi1EEENS1_14UnaryOpFunctorIN3c107complexIfEELi1ELi1ELi0EEEJNS0_5Log1pIS8_EEEEEvT_T0_DpT1_ ; -- Begin function _ZN2at6native12_GLOBAL__N_125multi_tensor_apply_kernelINS1_18TensorListMetadataILi1EEENS1_14UnaryOpFunctorIN3c107complexIfEELi1ELi1ELi0EEEJNS0_5Log1pIS8_EEEEEvT_T0_DpT1_
	.p2align	8
	.type	_ZN2at6native12_GLOBAL__N_125multi_tensor_apply_kernelINS1_18TensorListMetadataILi1EEENS1_14UnaryOpFunctorIN3c107complexIfEELi1ELi1ELi0EEEJNS0_5Log1pIS8_EEEEEvT_T0_DpT1_,@function
_ZN2at6native12_GLOBAL__N_125multi_tensor_apply_kernelINS1_18TensorListMetadataILi1EEENS1_14UnaryOpFunctorIN3c107complexIfEELi1ELi1ELi0EEEJNS0_5Log1pIS8_EEEEEvT_T0_DpT1_: ; @_ZN2at6native12_GLOBAL__N_125multi_tensor_apply_kernelINS1_18TensorListMetadataILi1EEENS1_14UnaryOpFunctorIN3c107complexIfEELi1ELi1ELi0EEEJNS0_5Log1pIS8_EEEEEvT_T0_DpT1_
; %bb.0:
	s_bfe_u32 s2, ttmp6, 0x4000c
	s_and_b32 s3, ttmp6, 15
	s_add_co_i32 s2, s2, 1
	s_getreg_b32 s4, hwreg(HW_REG_IB_STS2, 6, 4)
	s_mul_i32 s2, ttmp9, s2
	s_delay_alu instid0(SALU_CYCLE_1)
	s_add_co_i32 s3, s3, s2
	s_cmp_eq_u32 s4, 0
	s_cselect_b32 s2, ttmp9, s3
	s_mov_b32 s3, 0
	s_load_u8 s10, s[0:1], s2 offset:0x6e0
	s_add_nc_u64 s[4:5], s[0:1], s[2:3]
	s_mul_u64 s[6:7], s[2:3], 3
	s_delay_alu instid0(SALU_CYCLE_1)
	s_add_nc_u64 s[4:5], s[4:5], s[6:7]
	s_load_b32 s6, s[4:5], 0x820
	s_wait_kmcnt 0x0
	s_clause 0x1
	s_load_b64 s[8:9], s[0:1], s10 offset:0x0 scale_offset
	s_load_b64 s[12:13], s[0:1], s10 offset:0x370 scale_offset
	s_ashr_i32 s7, s6, 31
	s_wait_xcnt 0x0
	s_lshl_b64 s[10:11], s[6:7], 19
	s_wait_kmcnt 0x0
	s_and_b32 s2, s12, 3
	s_add_nc_u64 s[14:15], s[8:9], s[10:11]
	s_delay_alu instid0(SALU_CYCLE_1) | instskip(NEXT) | instid1(SALU_CYCLE_1)
	s_and_b64 s[4:5], s[14:15], 31
	s_or_b64 s[2:3], s[4:5], s[2:3]
	s_lshl_b64 s[4:5], s[6:7], 16
	s_cmp_eq_u64 s[2:3], 0
	s_sub_nc_u64 s[12:13], s[12:13], s[4:5]
	s_cbranch_scc1 .LBB210_45
; %bb.1:
	v_cmp_lt_i64_e64 s2, s[12:13], 1
	s_and_b32 vcc_lo, exec_lo, s2
	s_cbranch_vccnz .LBB210_44
; %bb.2:
	s_load_b32 s2, s[0:1], 0xd3c
	v_min_i64 v[2:3], 0x10000, s[12:13]
	v_min_u64 v[4:5], 0x10000, s[12:13]
	v_dual_mov_b32 v1, 0 :: v_dual_lshlrev_b32 v6, 3, v0
	v_mov_b32_e32 v8, 0x3f317218
	s_mov_b32 s3, 0
	s_delay_alu instid0(VALU_DEP_2)
	v_dual_mov_b32 v38, 0x4016cbe4 :: v_dual_mov_b32 v7, v1
	s_mov_b32 s5, s3
	s_mov_b32 s7, s3
	;; [unrolled: 1-line block ×6, first 2 shown]
	s_wait_kmcnt 0x0
	s_and_b32 s2, s2, 0xffff
	s_delay_alu instid0(SALU_CYCLE_1)
	v_add_nc_u64_e32 v[12:13], s[2:3], v[0:1]
	v_mad_nc_u64_u32 v[14:15], s2, 24, v[6:7]
	s_lshl_b32 s4, s2, 1
	s_mul_i32 s6, s2, 3
	s_lshl_b32 s20, s2, 4
	v_add_nc_u64_e32 v[16:17], s[6:7], v[0:1]
	v_add_nc_u64_e32 v[18:19], s[20:21], v[6:7]
	;; [unrolled: 1-line block ×3, first 2 shown]
	v_dual_mov_b32 v11, v1 :: v_dual_lshlrev_b32 v10, 3, v12
	s_lshl_b32 s16, s2, 2
	s_lshl_b32 s18, s2, 5
	s_mov_b64 s[20:21], 0
	s_mov_b32 s7, 0x3e9b6dac
	s_branch .LBB210_4
.LBB210_3:                              ;   in Loop: Header=BB210_4 Depth=1
	s_wait_xcnt 0x0
	s_or_b32 exec_lo, exec_lo, s3
	s_add_nc_u64 s[20:21], s[20:21], s[16:17]
	s_add_nc_u64 s[14:15], s[14:15], s[18:19]
	v_cmp_ge_i64_e32 vcc_lo, s[20:21], v[2:3]
	s_cbranch_vccnz .LBB210_44
.LBB210_4:                              ; =>This Inner Loop Header: Depth=1
	v_add_nc_u64_e32 v[22:23], s[20:21], v[0:1]
	v_add_nc_u64_e32 v[34:35], s[14:15], v[6:7]
	v_dual_mov_b32 v36, 0 :: v_dual_mov_b32 v37, 0
	s_delay_alu instid0(VALU_DEP_3)
	v_cmp_lt_u64_e64 s4, v[22:23], v[4:5]
	s_and_saveexec_b32 s2, s4
	s_cbranch_execz .LBB210_6
; %bb.5:                                ;   in Loop: Header=BB210_4 Depth=1
	global_load_b64 v[36:37], v[34:35], off
.LBB210_6:                              ;   in Loop: Header=BB210_4 Depth=1
	s_wait_xcnt 0x0
	s_or_b32 exec_lo, exec_lo, s2
	v_add_nc_u64_e32 v[22:23], s[20:21], v[12:13]
	v_add_nc_u64_e32 v[30:31], s[14:15], v[10:11]
	v_dual_mov_b32 v26, 0 :: v_dual_mov_b32 v32, 0
	v_mov_b32_e32 v33, 0
	s_delay_alu instid0(VALU_DEP_4)
	v_cmp_lt_u64_e64 s3, v[22:23], v[4:5]
	s_and_saveexec_b32 s2, s3
	s_cbranch_execz .LBB210_8
; %bb.7:                                ;   in Loop: Header=BB210_4 Depth=1
	global_load_b64 v[32:33], v[30:31], off
.LBB210_8:                              ;   in Loop: Header=BB210_4 Depth=1
	s_wait_xcnt 0x0
	s_or_b32 exec_lo, exec_lo, s2
	v_add_nc_u64_e32 v[22:23], s[20:21], v[20:21]
	v_add_nc_u64_e32 v[28:29], s[14:15], v[18:19]
	v_mov_b32_e32 v27, 0
	s_delay_alu instid0(VALU_DEP_3)
	v_cmp_lt_u64_e64 s2, v[22:23], v[4:5]
	s_and_saveexec_b32 s5, s2
	s_cbranch_execz .LBB210_10
; %bb.9:                                ;   in Loop: Header=BB210_4 Depth=1
	global_load_b64 v[26:27], v[28:29], off
.LBB210_10:                             ;   in Loop: Header=BB210_4 Depth=1
	s_wait_xcnt 0x0
	s_or_b32 exec_lo, exec_lo, s5
	v_add_nc_u64_e32 v[22:23], s[20:21], v[16:17]
	v_dual_mov_b32 v24, 0 :: v_dual_mov_b32 v25, 0
	s_delay_alu instid0(VALU_DEP_2)
	v_cmp_lt_u64_e32 vcc_lo, v[22:23], v[4:5]
	v_add_nc_u64_e32 v[22:23], s[14:15], v[14:15]
	s_and_saveexec_b32 s5, vcc_lo
	s_cbranch_execz .LBB210_12
; %bb.11:                               ;   in Loop: Header=BB210_4 Depth=1
	global_load_b64 v[24:25], v[22:23], off
.LBB210_12:                             ;   in Loop: Header=BB210_4 Depth=1
	s_wait_xcnt 0x0
	s_or_b32 exec_lo, exec_lo, s5
	s_wait_loadcnt 0x0
	v_max_num_f32_e64 v9, |v36|, |v36|
	v_max_num_f32_e64 v40, |v37|, |v37|
	s_delay_alu instid0(VALU_DEP_1) | instskip(NEXT) | instid1(VALU_DEP_1)
	v_max_num_f32_e32 v9, v9, v40
	v_cvt_f64_f32_e32 v[42:43], v9
	s_delay_alu instid0(VALU_DEP_1) | instskip(NEXT) | instid1(VALU_DEP_1)
	v_frexp_exp_i32_f64_e32 v39, v[42:43]
	v_sub_nc_u32_e32 v41, 0, v39
	v_cmp_eq_f32_e64 s5, 0x7f800000, v9
	s_delay_alu instid0(VALU_DEP_2) | instskip(SKIP_1) | instid1(VALU_DEP_2)
	v_ldexp_f32 v42, |v37|, v41
	v_ldexp_f32 v41, |v36|, v41
	v_mul_f32_e32 v42, v42, v42
	s_delay_alu instid0(VALU_DEP_1) | instskip(NEXT) | instid1(VALU_DEP_1)
	v_fmac_f32_e32 v42, v41, v41
	v_sqrt_f32_e32 v41, v42
	v_nop
	s_delay_alu instid0(TRANS32_DEP_1) | instskip(SKIP_1) | instid1(VALU_DEP_2)
	v_ldexp_f32 v41, v41, v39
	v_add_f32_e32 v39, 1.0, v36
	v_cmp_ngt_f32_e64 s6, 0.5, v41
	s_delay_alu instid0(VALU_DEP_2) | instskip(SKIP_1) | instid1(SALU_CYCLE_1)
	v_max_num_f32_e64 v41, |v39|, v40
	s_or_b32 s5, s5, s6
	s_and_saveexec_b32 s6, s5
	s_delay_alu instid0(SALU_CYCLE_1)
	s_xor_b32 s23, exec_lo, s6
	s_cbranch_execz .LBB210_14
; %bb.13:                               ;   in Loop: Header=BB210_4 Depth=1
	v_cvt_f64_f32_e32 v[42:43], v41
	v_cmp_neq_f32_e64 s5, 0x7f800000, v41
	s_delay_alu instid0(VALU_DEP_2) | instskip(NEXT) | instid1(VALU_DEP_1)
	v_frexp_exp_i32_f64_e32 v9, v[42:43]
	v_sub_nc_u32_e32 v36, 0, v9
	s_delay_alu instid0(VALU_DEP_1) | instskip(NEXT) | instid1(VALU_DEP_1)
	v_ldexp_f32 v42, |v37|, v36
	v_mul_f32_e32 v42, v42, v42
	v_ldexp_f32 v36, |v39|, v36
	s_delay_alu instid0(VALU_DEP_1) | instskip(NEXT) | instid1(VALU_DEP_1)
	v_fmac_f32_e32 v42, v36, v36
	v_sqrt_f32_e32 v36, v42
	v_nop
	s_delay_alu instid0(TRANS32_DEP_1) | instskip(NEXT) | instid1(VALU_DEP_1)
	v_ldexp_f32 v9, v36, v9
	v_cndmask_b32_e64 v9, 0x7f800000, v9, s5
	s_delay_alu instid0(VALU_DEP_1) | instskip(NEXT) | instid1(VALU_DEP_1)
	v_cmp_gt_f32_e64 s5, 0x800000, v9
	v_cndmask_b32_e64 v36, 0, 32, s5
	s_delay_alu instid0(VALU_DEP_1) | instskip(NEXT) | instid1(VALU_DEP_1)
	v_ldexp_f32 v9, v9, v36
	v_log_f32_e32 v9, v9
	v_nop
	s_delay_alu instid0(TRANS32_DEP_1) | instskip(SKIP_1) | instid1(VALU_DEP_2)
	v_mul_f32_e32 v36, 0x3f317217, v9
	v_cmp_gt_f32_e64 s6, 0x7f800000, |v9|
	v_fma_f32 v36, 0x3f317217, v9, -v36
	s_delay_alu instid0(VALU_DEP_1) | instskip(NEXT) | instid1(VALU_DEP_1)
	v_fmac_f32_e32 v36, 0x3377d1cf, v9
	v_fmac_f32_e32 v36, 0x3f317217, v9
	s_delay_alu instid0(VALU_DEP_1) | instskip(SKIP_1) | instid1(VALU_DEP_1)
	v_cndmask_b32_e64 v9, v9, v36, s6
	v_cndmask_b32_e64 v36, 0, 0x41b17218, s5
	v_sub_f32_e32 v36, v9, v36
.LBB210_14:                             ;   in Loop: Header=BB210_4 Depth=1
	s_and_not1_saveexec_b32 s6, s23
	s_cbranch_execz .LBB210_18
; %bb.15:                               ;   in Loop: Header=BB210_4 Depth=1
	s_delay_alu instid0(VALU_DEP_1) | instskip(SKIP_1) | instid1(VALU_DEP_1)
	v_dual_add_f32 v42, 2.0, v36 :: v_dual_mov_b32 v43, v37
	s_mov_b32 s23, exec_lo
	v_pk_mul_f32 v[42:43], v[36:37], v[42:43]
	s_delay_alu instid0(VALU_DEP_1) | instskip(NEXT) | instid1(VALU_DEP_1)
	v_add_f32_e32 v42, v43, v42
	v_cmpx_neq_f32_e32 0, v42
	s_cbranch_execz .LBB210_17
; %bb.16:                               ;   in Loop: Header=BB210_4 Depth=1
	v_add_f32_e32 v9, 1.0, v42
	s_delay_alu instid0(VALU_DEP_1) | instskip(SKIP_1) | instid1(VALU_DEP_1)
	v_cvt_f64_f32_e32 v[44:45], v9
	v_frexp_mant_f32_e32 v43, v9
	v_cmp_gt_f32_e64 s5, 0x3f2aaaab, v43
	s_delay_alu instid0(VALU_DEP_3) | instskip(NEXT) | instid1(VALU_DEP_1)
	v_frexp_exp_i32_f64_e32 v36, v[44:45]
	v_subrev_co_ci_u32_e64 v36, null, 0, v36, s5
	v_cmp_neq_f32_e64 s5, 0x7f800000, v42
	s_delay_alu instid0(VALU_DEP_2) | instskip(NEXT) | instid1(VALU_DEP_1)
	v_dual_add_f32 v43, -1.0, v9 :: v_dual_sub_nc_u32 v44, 0, v36
	v_sub_f32_e32 v45, v43, v9
	s_delay_alu instid0(VALU_DEP_2) | instskip(NEXT) | instid1(VALU_DEP_1)
	v_ldexp_f32 v9, v9, v44
	v_dual_add_f32 v46, 1.0, v9 :: v_dual_sub_f32 v43, v42, v43
	s_delay_alu instid0(VALU_DEP_3) | instskip(NEXT) | instid1(VALU_DEP_1)
	v_add_f32_e32 v45, 1.0, v45
	v_dual_add_f32 v43, v43, v45 :: v_dual_add_f32 v45, -1.0, v46
	s_delay_alu instid0(VALU_DEP_1) | instskip(NEXT) | instid1(VALU_DEP_2)
	v_ldexp_f32 v43, v43, v44
	v_sub_f32_e32 v44, v9, v45
	s_delay_alu instid0(VALU_DEP_1) | instskip(NEXT) | instid1(VALU_DEP_1)
	v_dual_add_f32 v44, v43, v44 :: v_dual_add_f32 v49, -1.0, v9
	v_dual_add_f32 v50, v46, v44 :: v_dual_add_f32 v45, 1.0, v49
	s_delay_alu instid0(VALU_DEP_1) | instskip(NEXT) | instid1(VALU_DEP_1)
	v_dual_sub_f32 v47, v50, v46 :: v_dual_sub_f32 v9, v9, v45
	v_add_f32_e32 v9, v43, v9
	v_rcp_f32_e32 v43, v50
	s_delay_alu instid0(VALU_DEP_1)
	v_add_f32_e32 v45, v49, v9
	s_delay_alu instid0(TRANS32_DEP_1) | instid1(VALU_DEP_1)
	v_mul_f32_e32 v51, v45, v43
	s_delay_alu instid0(VALU_DEP_1) | instskip(SKIP_1) | instid1(VALU_DEP_1)
	v_mul_f32_e32 v46, v50, v51
	v_dual_sub_f32 v52, v44, v47 :: v_dual_sub_f32 v53, v45, v49
	v_dual_fma_f32 v48, v51, v50, -v46 :: v_dual_sub_f32 v9, v9, v53
	s_delay_alu instid0(VALU_DEP_1) | instskip(NEXT) | instid1(VALU_DEP_1)
	v_fmac_f32_e32 v48, v51, v52
	v_add_f32_e32 v44, v46, v48
	s_delay_alu instid0(VALU_DEP_1) | instskip(NEXT) | instid1(VALU_DEP_1)
	v_dual_sub_f32 v47, v45, v44 :: v_dual_mov_b32 v49, v44
	v_pk_add_f32 v[44:45], v[44:45], v[46:47] neg_lo:[0,1] neg_hi:[0,1]
	s_delay_alu instid0(VALU_DEP_1) | instskip(NEXT) | instid1(VALU_DEP_1)
	v_pk_add_f32 v[44:45], v[44:45], v[48:49] neg_lo:[0,1] neg_hi:[0,1]
	v_add_f32_e32 v9, v9, v45
	s_delay_alu instid0(VALU_DEP_1) | instskip(NEXT) | instid1(VALU_DEP_1)
	v_add_f32_e32 v9, v44, v9
	v_add_f32_e32 v45, v47, v9
	s_delay_alu instid0(VALU_DEP_1) | instskip(NEXT) | instid1(VALU_DEP_1)
	v_mul_f32_e32 v53, v43, v45
	v_mul_f32_e32 v48, v50, v53
	s_delay_alu instid0(VALU_DEP_1) | instskip(NEXT) | instid1(VALU_DEP_1)
	v_fma_f32 v46, v53, v50, -v48
	v_dual_fmac_f32 v46, v53, v52 :: v_dual_sub_f32 v50, v47, v45
	s_delay_alu instid0(VALU_DEP_1) | instskip(NEXT) | instid1(VALU_DEP_2)
	v_add_f32_e32 v44, v48, v46
	v_dual_add_f32 v9, v9, v50 :: v_dual_add_f32 v50, v51, v53
	s_delay_alu instid0(VALU_DEP_2) | instskip(NEXT) | instid1(VALU_DEP_1)
	v_dual_sub_f32 v49, v45, v44 :: v_dual_mov_b32 v47, v44
	v_pk_add_f32 v[44:45], v[44:45], v[48:49] neg_lo:[0,1] neg_hi:[0,1]
	s_delay_alu instid0(VALU_DEP_1) | instskip(NEXT) | instid1(VALU_DEP_1)
	v_pk_add_f32 v[44:45], v[44:45], v[46:47] neg_lo:[0,1] neg_hi:[0,1]
	v_add_f32_e32 v9, v9, v45
	s_delay_alu instid0(VALU_DEP_1) | instskip(NEXT) | instid1(VALU_DEP_1)
	v_dual_add_f32 v9, v44, v9 :: v_dual_sub_f32 v44, v50, v51
	v_add_f32_e32 v9, v49, v9
	s_delay_alu instid0(VALU_DEP_1) | instskip(NEXT) | instid1(VALU_DEP_1)
	v_dual_sub_f32 v44, v53, v44 :: v_dual_mul_f32 v9, v43, v9
	v_add_f32_e32 v43, v44, v9
	v_cvt_f32_i32_e32 v44, v36
	s_delay_alu instid0(VALU_DEP_2) | instskip(NEXT) | instid1(VALU_DEP_1)
	v_add_f32_e32 v51, v50, v43
	v_mul_f32_e32 v9, v51, v51
	v_ldexp_f32 v49, v51, 1
	s_delay_alu instid0(VALU_DEP_2) | instskip(NEXT) | instid1(VALU_DEP_1)
	v_dual_fmaak_f32 v46, s7, v9, 0x3ecc95a3 :: v_dual_mul_f32 v45, v51, v9
	v_fmaak_f32 v9, v9, v46, 0x3f2aaada
	s_delay_alu instid0(VALU_DEP_1) | instskip(NEXT) | instid1(VALU_DEP_1)
	v_pk_mul_f32 v[46:47], v[44:45], v[8:9]
	v_fma_f32 v48, 0x3f317218, v44, -v46
	s_delay_alu instid0(VALU_DEP_1) | instskip(NEXT) | instid1(VALU_DEP_1)
	v_fmac_f32_e32 v48, 0xb102e308, v44
	v_pk_add_f32 v[44:45], v[46:47], v[48:49]
	v_dual_sub_f32 v9, v51, v50 :: v_dual_mov_b32 v50, v46
	s_delay_alu instid0(VALU_DEP_2) | instskip(NEXT) | instid1(VALU_DEP_2)
	v_sub_f32_e32 v36, v45, v49
	v_dual_sub_f32 v9, v43, v9 :: v_dual_mov_b32 v49, v44
	s_delay_alu instid0(VALU_DEP_2) | instskip(NEXT) | instid1(VALU_DEP_2)
	v_dual_mov_b32 v58, v45 :: v_dual_sub_f32 v36, v47, v36
	v_ldexp_f32 v9, v9, 1
	v_pk_add_f32 v[46:47], v[44:45], v[46:47] neg_lo:[0,1] neg_hi:[0,1]
	s_delay_alu instid0(VALU_DEP_2) | instskip(NEXT) | instid1(VALU_DEP_1)
	v_add_f32_e32 v51, v9, v36
	v_pk_add_f32 v[52:53], v[44:45], v[50:51]
	s_delay_alu instid0(VALU_DEP_1) | instskip(NEXT) | instid1(VALU_DEP_1)
	v_mov_b32_e32 v47, v53
	v_pk_add_f32 v[54:55], v[48:49], v[46:47]
	v_pk_add_f32 v[46:47], v[48:49], v[46:47] neg_lo:[0,1] neg_hi:[0,1]
	s_delay_alu instid0(VALU_DEP_2) | instskip(NEXT) | instid1(VALU_DEP_1)
	v_dual_mov_b32 v36, v55 :: v_dual_mov_b32 v47, v55
	v_pk_add_f32 v[56:57], v[36:37], v[44:45] neg_lo:[0,1] neg_hi:[0,1]
	v_dual_mov_b32 v54, v53 :: v_dual_mov_b32 v45, v44
	s_delay_alu instid0(VALU_DEP_2) | instskip(SKIP_1) | instid1(VALU_DEP_2)
	v_dual_mov_b32 v44, v51 :: v_dual_mov_b32 v59, v56
	v_mov_b32_e32 v9, v56
	v_pk_add_f32 v[50:51], v[54:55], v[58:59] neg_lo:[0,1] neg_hi:[0,1]
	s_delay_alu instid0(VALU_DEP_2) | instskip(SKIP_1) | instid1(VALU_DEP_3)
	v_pk_add_f32 v[48:49], v[52:53], v[8:9] neg_lo:[0,1] neg_hi:[0,1]
	v_mov_b32_e32 v48, v46
	v_pk_add_f32 v[44:45], v[44:45], v[50:51] neg_lo:[0,1] neg_hi:[0,1]
	s_delay_alu instid0(VALU_DEP_1) | instskip(NEXT) | instid1(VALU_DEP_1)
	v_pk_add_f32 v[48:49], v[48:49], v[44:45]
	v_mov_b32_e32 v50, v49
	s_delay_alu instid0(VALU_DEP_1) | instskip(NEXT) | instid1(VALU_DEP_1)
	v_pk_add_f32 v[50:51], v[48:49], v[50:51]
	v_pk_add_f32 v[52:53], v[36:37], v[50:51]
	s_delay_alu instid0(VALU_DEP_1) | instskip(NEXT) | instid1(VALU_DEP_1)
	v_dual_mov_b32 v45, v50 :: v_dual_mov_b32 v49, v52
	v_pk_add_f32 v[54:55], v[48:49], v[46:47] neg_lo:[0,1] neg_hi:[0,1]
	s_delay_alu instid0(VALU_DEP_1) | instskip(NEXT) | instid1(VALU_DEP_2)
	v_sub_f32_e32 v9, v48, v54
	v_pk_add_f32 v[44:45], v[44:45], v[54:55] neg_lo:[0,1] neg_hi:[0,1]
	s_delay_alu instid0(VALU_DEP_2) | instskip(NEXT) | instid1(VALU_DEP_1)
	v_sub_f32_e32 v9, v46, v9
	v_add_f32_e32 v9, v44, v9
	s_delay_alu instid0(VALU_DEP_1) | instskip(NEXT) | instid1(VALU_DEP_1)
	v_add_f32_e32 v9, v9, v45
	v_add_f32_e32 v9, v52, v9
	s_delay_alu instid0(VALU_DEP_1) | instskip(SKIP_1) | instid1(VALU_DEP_1)
	v_cndmask_b32_e64 v9, 0x7f800000, v9, s5
	v_cmp_ngt_f32_e64 s5, -1.0, v42
	v_cndmask_b32_e64 v9, 0x7fc00000, v9, s5
	v_cmp_neq_f32_e64 s5, -1.0, v42
	s_delay_alu instid0(VALU_DEP_1) | instskip(SKIP_1) | instid1(VALU_DEP_1)
	v_cndmask_b32_e64 v9, 0xff800000, v9, s5
	v_cmp_gt_f32_e64 s5, 0x33800000, |v42|
	v_cndmask_b32_e64 v9, v9, v42, s5
	s_delay_alu instid0(VALU_DEP_1)
	v_mul_f32_e32 v36, 0.5, v9
.LBB210_17:                             ;   in Loop: Header=BB210_4 Depth=1
	s_or_b32 exec_lo, exec_lo, s23
.LBB210_18:                             ;   in Loop: Header=BB210_4 Depth=1
	s_delay_alu instid0(SALU_CYCLE_1) | instskip(SKIP_2) | instid1(VALU_DEP_1)
	s_or_b32 exec_lo, exec_lo, s6
	v_max_num_f32_e64 v9, |v32|, |v32|
	v_max_num_f32_e64 v43, |v33|, |v33|
	v_max_num_f32_e32 v9, v9, v43
	s_delay_alu instid0(VALU_DEP_1) | instskip(NEXT) | instid1(VALU_DEP_1)
	v_cvt_f64_f32_e32 v[44:45], v9
	v_frexp_exp_i32_f64_e32 v42, v[44:45]
	s_delay_alu instid0(VALU_DEP_1) | instskip(SKIP_1) | instid1(VALU_DEP_2)
	v_sub_nc_u32_e32 v44, 0, v42
	v_cmp_eq_f32_e64 s5, 0x7f800000, v9
	v_ldexp_f32 v45, |v33|, v44
	v_ldexp_f32 v44, |v32|, v44
	s_delay_alu instid0(VALU_DEP_2) | instskip(NEXT) | instid1(VALU_DEP_1)
	v_mul_f32_e32 v45, v45, v45
	v_fmac_f32_e32 v45, v44, v44
	s_delay_alu instid0(VALU_DEP_1) | instskip(SKIP_1) | instid1(TRANS32_DEP_1)
	v_sqrt_f32_e32 v44, v45
	v_nop
	v_ldexp_f32 v44, v44, v42
	v_add_f32_e32 v42, 1.0, v32
	s_delay_alu instid0(VALU_DEP_2) | instskip(NEXT) | instid1(VALU_DEP_2)
	v_cmp_ngt_f32_e64 s6, 0.5, v44
	v_max_num_f32_e64 v44, |v42|, v43
	s_or_b32 s5, s5, s6
	s_delay_alu instid0(SALU_CYCLE_1) | instskip(NEXT) | instid1(SALU_CYCLE_1)
	s_and_saveexec_b32 s6, s5
	s_xor_b32 s23, exec_lo, s6
	s_cbranch_execz .LBB210_20
; %bb.19:                               ;   in Loop: Header=BB210_4 Depth=1
	v_cvt_f64_f32_e32 v[46:47], v44
	v_cmp_neq_f32_e64 s5, 0x7f800000, v44
	s_delay_alu instid0(VALU_DEP_2) | instskip(NEXT) | instid1(VALU_DEP_1)
	v_frexp_exp_i32_f64_e32 v9, v[46:47]
	v_sub_nc_u32_e32 v32, 0, v9
	s_delay_alu instid0(VALU_DEP_1) | instskip(SKIP_1) | instid1(VALU_DEP_2)
	v_ldexp_f32 v45, |v33|, v32
	v_ldexp_f32 v32, |v42|, v32
	v_mul_f32_e32 v45, v45, v45
	s_delay_alu instid0(VALU_DEP_1) | instskip(NEXT) | instid1(VALU_DEP_1)
	v_fmac_f32_e32 v45, v32, v32
	v_sqrt_f32_e32 v32, v45
	v_nop
	s_delay_alu instid0(TRANS32_DEP_1) | instskip(NEXT) | instid1(VALU_DEP_1)
	v_ldexp_f32 v9, v32, v9
	v_cndmask_b32_e64 v9, 0x7f800000, v9, s5
	s_delay_alu instid0(VALU_DEP_1) | instskip(NEXT) | instid1(VALU_DEP_1)
	v_cmp_gt_f32_e64 s5, 0x800000, v9
	v_cndmask_b32_e64 v32, 0, 32, s5
	s_delay_alu instid0(VALU_DEP_1) | instskip(NEXT) | instid1(VALU_DEP_1)
	v_ldexp_f32 v9, v9, v32
	v_log_f32_e32 v9, v9
	v_nop
	s_delay_alu instid0(TRANS32_DEP_1) | instskip(SKIP_1) | instid1(VALU_DEP_2)
	v_mul_f32_e32 v32, 0x3f317217, v9
	v_cmp_gt_f32_e64 s6, 0x7f800000, |v9|
	v_fma_f32 v32, 0x3f317217, v9, -v32
	s_delay_alu instid0(VALU_DEP_1) | instskip(NEXT) | instid1(VALU_DEP_1)
	v_fmac_f32_e32 v32, 0x3377d1cf, v9
	v_fmac_f32_e32 v32, 0x3f317217, v9
	s_delay_alu instid0(VALU_DEP_1) | instskip(SKIP_1) | instid1(VALU_DEP_1)
	v_cndmask_b32_e64 v9, v9, v32, s6
	v_cndmask_b32_e64 v32, 0, 0x41b17218, s5
	v_sub_f32_e32 v32, v9, v32
.LBB210_20:                             ;   in Loop: Header=BB210_4 Depth=1
	s_and_not1_saveexec_b32 s6, s23
	s_cbranch_execz .LBB210_24
; %bb.21:                               ;   in Loop: Header=BB210_4 Depth=1
	s_delay_alu instid0(VALU_DEP_1) | instskip(SKIP_1) | instid1(VALU_DEP_1)
	v_dual_add_f32 v46, 2.0, v32 :: v_dual_mov_b32 v47, v33
	s_mov_b32 s23, exec_lo
	v_pk_mul_f32 v[46:47], v[32:33], v[46:47]
	s_delay_alu instid0(VALU_DEP_1) | instskip(NEXT) | instid1(VALU_DEP_1)
	v_add_f32_e32 v45, v47, v46
	v_cmpx_neq_f32_e32 0, v45
	s_cbranch_execz .LBB210_23
; %bb.22:                               ;   in Loop: Header=BB210_4 Depth=1
	v_add_f32_e32 v9, 1.0, v45
	s_delay_alu instid0(VALU_DEP_1) | instskip(NEXT) | instid1(VALU_DEP_1)
	v_cvt_f64_f32_e32 v[46:47], v9
	v_frexp_exp_i32_f64_e32 v32, v[46:47]
	v_frexp_mant_f32_e32 v46, v9
	s_delay_alu instid0(VALU_DEP_1) | instskip(NEXT) | instid1(VALU_DEP_1)
	v_cmp_gt_f32_e64 s5, 0x3f2aaaab, v46
	v_subrev_co_ci_u32_e64 v32, null, 0, v32, s5
	v_cmp_neq_f32_e64 s5, 0x7f800000, v45
	s_delay_alu instid0(VALU_DEP_2) | instskip(NEXT) | instid1(VALU_DEP_1)
	v_dual_add_f32 v46, -1.0, v9 :: v_dual_sub_nc_u32 v47, 0, v32
	v_sub_f32_e32 v48, v46, v9
	s_delay_alu instid0(VALU_DEP_2) | instskip(NEXT) | instid1(VALU_DEP_2)
	v_ldexp_f32 v9, v9, v47
	v_dual_add_f32 v48, 1.0, v48 :: v_dual_sub_f32 v46, v45, v46
	s_delay_alu instid0(VALU_DEP_1) | instskip(NEXT) | instid1(VALU_DEP_1)
	v_dual_add_f32 v49, 1.0, v9 :: v_dual_add_f32 v46, v46, v48
	v_ldexp_f32 v46, v46, v47
	s_delay_alu instid0(VALU_DEP_2) | instskip(NEXT) | instid1(VALU_DEP_1)
	v_add_f32_e32 v48, -1.0, v49
	v_dual_add_f32 v51, -1.0, v9 :: v_dual_sub_f32 v47, v9, v48
	s_delay_alu instid0(VALU_DEP_1) | instskip(NEXT) | instid1(VALU_DEP_1)
	v_add_f32_e32 v50, v46, v47
	v_dual_add_f32 v48, 1.0, v51 :: v_dual_add_f32 v52, v49, v50
	s_delay_alu instid0(VALU_DEP_1) | instskip(NEXT) | instid1(VALU_DEP_1)
	v_rcp_f32_e32 v53, v52
	v_sub_f32_e32 v9, v9, v48
	s_delay_alu instid0(VALU_DEP_1) | instskip(SKIP_1) | instid1(VALU_DEP_1)
	v_add_f32_e32 v9, v46, v9
	v_sub_f32_e32 v46, v52, v49
	v_dual_add_f32 v47, v51, v9 :: v_dual_sub_f32 v55, v50, v46
	s_delay_alu instid0(TRANS32_DEP_1) | instid1(VALU_DEP_1)
	v_dual_mul_f32 v54, v47, v53 :: v_dual_sub_f32 v56, v47, v51
	s_delay_alu instid0(VALU_DEP_1) | instskip(NEXT) | instid1(VALU_DEP_1)
	v_dual_mul_f32 v48, v52, v54 :: v_dual_sub_f32 v9, v9, v56
	v_fma_f32 v50, v54, v52, -v48
	s_delay_alu instid0(VALU_DEP_1) | instskip(NEXT) | instid1(VALU_DEP_1)
	v_fmac_f32_e32 v50, v54, v55
	v_add_f32_e32 v46, v48, v50
	s_delay_alu instid0(VALU_DEP_1) | instskip(NEXT) | instid1(VALU_DEP_1)
	v_dual_sub_f32 v49, v47, v46 :: v_dual_mov_b32 v51, v46
	v_pk_add_f32 v[46:47], v[46:47], v[48:49] neg_lo:[0,1] neg_hi:[0,1]
	s_delay_alu instid0(VALU_DEP_1) | instskip(NEXT) | instid1(VALU_DEP_1)
	v_pk_add_f32 v[46:47], v[46:47], v[50:51] neg_lo:[0,1] neg_hi:[0,1]
	v_add_f32_e32 v9, v9, v47
	s_delay_alu instid0(VALU_DEP_1) | instskip(NEXT) | instid1(VALU_DEP_1)
	v_add_f32_e32 v9, v46, v9
	v_add_f32_e32 v47, v49, v9
	s_delay_alu instid0(VALU_DEP_1) | instskip(NEXT) | instid1(VALU_DEP_1)
	v_mul_f32_e32 v56, v53, v47
	v_mul_f32_e32 v50, v52, v56
	s_delay_alu instid0(VALU_DEP_1) | instskip(NEXT) | instid1(VALU_DEP_1)
	v_dual_fma_f32 v48, v56, v52, -v50 :: v_dual_sub_f32 v52, v49, v47
	v_dual_fmac_f32 v48, v56, v55 :: v_dual_add_f32 v9, v9, v52
	v_add_f32_e32 v52, v54, v56
	s_delay_alu instid0(VALU_DEP_2) | instskip(NEXT) | instid1(VALU_DEP_1)
	v_add_f32_e32 v46, v50, v48
	v_dual_sub_f32 v51, v47, v46 :: v_dual_mov_b32 v49, v46
	s_delay_alu instid0(VALU_DEP_1) | instskip(NEXT) | instid1(VALU_DEP_1)
	v_pk_add_f32 v[46:47], v[46:47], v[50:51] neg_lo:[0,1] neg_hi:[0,1]
	v_pk_add_f32 v[46:47], v[46:47], v[48:49] neg_lo:[0,1] neg_hi:[0,1]
	s_delay_alu instid0(VALU_DEP_1) | instskip(NEXT) | instid1(VALU_DEP_1)
	v_add_f32_e32 v9, v9, v47
	v_dual_add_f32 v9, v46, v9 :: v_dual_sub_f32 v46, v52, v54
	s_delay_alu instid0(VALU_DEP_1) | instskip(NEXT) | instid1(VALU_DEP_1)
	v_dual_add_f32 v9, v51, v9 :: v_dual_sub_f32 v46, v56, v46
	v_mul_f32_e32 v9, v53, v9
	s_delay_alu instid0(VALU_DEP_1) | instskip(SKIP_1) | instid1(VALU_DEP_2)
	v_add_f32_e32 v53, v46, v9
	v_cvt_f32_i32_e32 v46, v32
	v_add_f32_e32 v54, v52, v53
	s_delay_alu instid0(VALU_DEP_1) | instskip(NEXT) | instid1(VALU_DEP_1)
	v_mul_f32_e32 v9, v54, v54
	v_dual_fmaak_f32 v48, s7, v9, 0x3ecc95a3 :: v_dual_mul_f32 v47, v54, v9
	s_delay_alu instid0(VALU_DEP_1) | instskip(SKIP_1) | instid1(VALU_DEP_2)
	v_fmaak_f32 v9, v9, v48, 0x3f2aaada
	v_ldexp_f32 v51, v54, 1
	v_pk_mul_f32 v[48:49], v[46:47], v[8:9]
	v_sub_f32_e32 v9, v54, v52
	s_delay_alu instid0(VALU_DEP_2) | instskip(NEXT) | instid1(VALU_DEP_2)
	v_fma_f32 v50, 0x3f317218, v46, -v48
	v_dual_sub_f32 v9, v53, v9 :: v_dual_mov_b32 v52, v48
	s_delay_alu instid0(VALU_DEP_2) | instskip(NEXT) | instid1(VALU_DEP_2)
	v_fmac_f32_e32 v50, 0xb102e308, v46
	v_ldexp_f32 v9, v9, 1
	s_delay_alu instid0(VALU_DEP_2) | instskip(NEXT) | instid1(VALU_DEP_1)
	v_pk_add_f32 v[46:47], v[48:49], v[50:51]
	v_dual_sub_f32 v32, v47, v51 :: v_dual_mov_b32 v51, v46
	s_delay_alu instid0(VALU_DEP_1) | instskip(SKIP_1) | instid1(VALU_DEP_2)
	v_dual_mov_b32 v60, v47 :: v_dual_sub_f32 v32, v49, v32
	v_pk_add_f32 v[48:49], v[46:47], v[48:49] neg_lo:[0,1] neg_hi:[0,1]
	v_add_f32_e32 v53, v9, v32
	s_delay_alu instid0(VALU_DEP_1) | instskip(NEXT) | instid1(VALU_DEP_1)
	v_pk_add_f32 v[54:55], v[46:47], v[52:53]
	v_mov_b32_e32 v49, v55
	s_delay_alu instid0(VALU_DEP_1) | instskip(SKIP_1) | instid1(VALU_DEP_2)
	v_pk_add_f32 v[56:57], v[50:51], v[48:49]
	v_pk_add_f32 v[48:49], v[50:51], v[48:49] neg_lo:[0,1] neg_hi:[0,1]
	v_dual_mov_b32 v32, v57 :: v_dual_mov_b32 v49, v57
	s_delay_alu instid0(VALU_DEP_1) | instskip(SKIP_1) | instid1(VALU_DEP_2)
	v_pk_add_f32 v[58:59], v[32:33], v[46:47] neg_lo:[0,1] neg_hi:[0,1]
	v_dual_mov_b32 v56, v55 :: v_dual_mov_b32 v47, v46
	v_dual_mov_b32 v46, v53 :: v_dual_mov_b32 v61, v58
	v_mov_b32_e32 v9, v58
	s_delay_alu instid0(VALU_DEP_2) | instskip(NEXT) | instid1(VALU_DEP_2)
	v_pk_add_f32 v[52:53], v[56:57], v[60:61] neg_lo:[0,1] neg_hi:[0,1]
	v_pk_add_f32 v[50:51], v[54:55], v[8:9] neg_lo:[0,1] neg_hi:[0,1]
	v_mov_b32_e32 v50, v48
	s_delay_alu instid0(VALU_DEP_3) | instskip(NEXT) | instid1(VALU_DEP_1)
	v_pk_add_f32 v[46:47], v[46:47], v[52:53] neg_lo:[0,1] neg_hi:[0,1]
	v_pk_add_f32 v[50:51], v[50:51], v[46:47]
	s_delay_alu instid0(VALU_DEP_1) | instskip(NEXT) | instid1(VALU_DEP_1)
	v_mov_b32_e32 v52, v51
	v_pk_add_f32 v[52:53], v[50:51], v[52:53]
	s_delay_alu instid0(VALU_DEP_1) | instskip(NEXT) | instid1(VALU_DEP_1)
	v_pk_add_f32 v[54:55], v[32:33], v[52:53]
	v_dual_mov_b32 v47, v52 :: v_dual_mov_b32 v51, v54
	s_delay_alu instid0(VALU_DEP_1) | instskip(NEXT) | instid1(VALU_DEP_1)
	v_pk_add_f32 v[56:57], v[50:51], v[48:49] neg_lo:[0,1] neg_hi:[0,1]
	v_sub_f32_e32 v9, v50, v56
	s_delay_alu instid0(VALU_DEP_2) | instskip(NEXT) | instid1(VALU_DEP_2)
	v_pk_add_f32 v[46:47], v[46:47], v[56:57] neg_lo:[0,1] neg_hi:[0,1]
	v_sub_f32_e32 v9, v48, v9
	s_delay_alu instid0(VALU_DEP_1) | instskip(NEXT) | instid1(VALU_DEP_1)
	v_add_f32_e32 v9, v46, v9
	v_add_f32_e32 v9, v9, v47
	s_delay_alu instid0(VALU_DEP_1) | instskip(NEXT) | instid1(VALU_DEP_1)
	v_add_f32_e32 v9, v54, v9
	v_cndmask_b32_e64 v9, 0x7f800000, v9, s5
	v_cmp_ngt_f32_e64 s5, -1.0, v45
	s_delay_alu instid0(VALU_DEP_1) | instskip(SKIP_1) | instid1(VALU_DEP_1)
	v_cndmask_b32_e64 v9, 0x7fc00000, v9, s5
	v_cmp_neq_f32_e64 s5, -1.0, v45
	v_cndmask_b32_e64 v9, 0xff800000, v9, s5
	v_cmp_gt_f32_e64 s5, 0x33800000, |v45|
	s_delay_alu instid0(VALU_DEP_1) | instskip(NEXT) | instid1(VALU_DEP_1)
	v_cndmask_b32_e64 v9, v9, v45, s5
	v_mul_f32_e32 v32, 0.5, v9
.LBB210_23:                             ;   in Loop: Header=BB210_4 Depth=1
	s_or_b32 exec_lo, exec_lo, s23
.LBB210_24:                             ;   in Loop: Header=BB210_4 Depth=1
	s_delay_alu instid0(SALU_CYCLE_1) | instskip(SKIP_2) | instid1(VALU_DEP_1)
	s_or_b32 exec_lo, exec_lo, s6
	v_max_num_f32_e64 v9, |v26|, |v26|
	v_max_num_f32_e64 v46, |v27|, |v27|
	v_max_num_f32_e32 v9, v9, v46
	s_delay_alu instid0(VALU_DEP_1) | instskip(NEXT) | instid1(VALU_DEP_1)
	v_cvt_f64_f32_e32 v[48:49], v9
	v_frexp_exp_i32_f64_e32 v45, v[48:49]
	s_delay_alu instid0(VALU_DEP_1) | instskip(SKIP_1) | instid1(VALU_DEP_2)
	v_sub_nc_u32_e32 v47, 0, v45
	v_cmp_eq_f32_e64 s5, 0x7f800000, v9
	v_ldexp_f32 v48, |v27|, v47
	v_ldexp_f32 v47, |v26|, v47
	s_delay_alu instid0(VALU_DEP_2) | instskip(NEXT) | instid1(VALU_DEP_1)
	v_mul_f32_e32 v48, v48, v48
	v_fmac_f32_e32 v48, v47, v47
	s_delay_alu instid0(VALU_DEP_1) | instskip(SKIP_1) | instid1(TRANS32_DEP_1)
	v_sqrt_f32_e32 v47, v48
	v_nop
	v_ldexp_f32 v47, v47, v45
	v_add_f32_e32 v45, 1.0, v26
	s_delay_alu instid0(VALU_DEP_2) | instskip(NEXT) | instid1(VALU_DEP_2)
	v_cmp_ngt_f32_e64 s6, 0.5, v47
	v_max_num_f32_e64 v47, |v45|, v46
	s_or_b32 s5, s5, s6
	s_delay_alu instid0(SALU_CYCLE_1) | instskip(NEXT) | instid1(SALU_CYCLE_1)
	s_and_saveexec_b32 s6, s5
	s_xor_b32 s23, exec_lo, s6
	s_cbranch_execz .LBB210_26
; %bb.25:                               ;   in Loop: Header=BB210_4 Depth=1
	v_cvt_f64_f32_e32 v[48:49], v47
	v_cmp_neq_f32_e64 s5, 0x7f800000, v47
	s_delay_alu instid0(VALU_DEP_2) | instskip(NEXT) | instid1(VALU_DEP_1)
	v_frexp_exp_i32_f64_e32 v9, v[48:49]
	v_sub_nc_u32_e32 v26, 0, v9
	s_delay_alu instid0(VALU_DEP_1) | instskip(NEXT) | instid1(VALU_DEP_1)
	v_ldexp_f32 v48, |v27|, v26
	v_mul_f32_e32 v48, v48, v48
	v_ldexp_f32 v26, |v45|, v26
	s_delay_alu instid0(VALU_DEP_1) | instskip(NEXT) | instid1(VALU_DEP_1)
	v_fmac_f32_e32 v48, v26, v26
	v_sqrt_f32_e32 v26, v48
	v_nop
	s_delay_alu instid0(TRANS32_DEP_1) | instskip(NEXT) | instid1(VALU_DEP_1)
	v_ldexp_f32 v9, v26, v9
	v_cndmask_b32_e64 v9, 0x7f800000, v9, s5
	s_delay_alu instid0(VALU_DEP_1) | instskip(NEXT) | instid1(VALU_DEP_1)
	v_cmp_gt_f32_e64 s5, 0x800000, v9
	v_cndmask_b32_e64 v26, 0, 32, s5
	s_delay_alu instid0(VALU_DEP_1) | instskip(NEXT) | instid1(VALU_DEP_1)
	v_ldexp_f32 v9, v9, v26
	v_log_f32_e32 v9, v9
	v_nop
	s_delay_alu instid0(TRANS32_DEP_1) | instskip(SKIP_1) | instid1(VALU_DEP_2)
	v_mul_f32_e32 v26, 0x3f317217, v9
	v_cmp_gt_f32_e64 s6, 0x7f800000, |v9|
	v_fma_f32 v26, 0x3f317217, v9, -v26
	s_delay_alu instid0(VALU_DEP_1) | instskip(NEXT) | instid1(VALU_DEP_1)
	v_fmac_f32_e32 v26, 0x3377d1cf, v9
	v_fmac_f32_e32 v26, 0x3f317217, v9
	s_delay_alu instid0(VALU_DEP_1) | instskip(SKIP_1) | instid1(VALU_DEP_1)
	v_cndmask_b32_e64 v9, v9, v26, s6
	v_cndmask_b32_e64 v26, 0, 0x41b17218, s5
	v_sub_f32_e32 v26, v9, v26
.LBB210_26:                             ;   in Loop: Header=BB210_4 Depth=1
	s_and_not1_saveexec_b32 s6, s23
	s_cbranch_execz .LBB210_30
; %bb.27:                               ;   in Loop: Header=BB210_4 Depth=1
	s_delay_alu instid0(VALU_DEP_1) | instskip(SKIP_1) | instid1(VALU_DEP_1)
	v_dual_add_f32 v48, 2.0, v26 :: v_dual_mov_b32 v49, v27
	s_mov_b32 s23, exec_lo
	v_pk_mul_f32 v[48:49], v[26:27], v[48:49]
	s_delay_alu instid0(VALU_DEP_1) | instskip(NEXT) | instid1(VALU_DEP_1)
	v_add_f32_e32 v48, v49, v48
	v_cmpx_neq_f32_e32 0, v48
	s_cbranch_execz .LBB210_29
; %bb.28:                               ;   in Loop: Header=BB210_4 Depth=1
	v_add_f32_e32 v9, 1.0, v48
	s_delay_alu instid0(VALU_DEP_1) | instskip(SKIP_1) | instid1(VALU_DEP_1)
	v_cvt_f64_f32_e32 v[50:51], v9
	v_frexp_mant_f32_e32 v49, v9
	v_cmp_gt_f32_e64 s5, 0x3f2aaaab, v49
	s_delay_alu instid0(VALU_DEP_3) | instskip(NEXT) | instid1(VALU_DEP_1)
	v_frexp_exp_i32_f64_e32 v26, v[50:51]
	v_subrev_co_ci_u32_e64 v26, null, 0, v26, s5
	v_cmp_neq_f32_e64 s5, 0x7f800000, v48
	s_delay_alu instid0(VALU_DEP_2) | instskip(NEXT) | instid1(VALU_DEP_1)
	v_dual_add_f32 v49, -1.0, v9 :: v_dual_sub_nc_u32 v50, 0, v26
	v_sub_f32_e32 v51, v49, v9
	s_delay_alu instid0(VALU_DEP_2) | instskip(NEXT) | instid1(VALU_DEP_1)
	v_ldexp_f32 v9, v9, v50
	v_dual_add_f32 v52, 1.0, v9 :: v_dual_add_f32 v51, 1.0, v51
	v_sub_f32_e32 v49, v48, v49
	s_delay_alu instid0(VALU_DEP_1) | instskip(NEXT) | instid1(VALU_DEP_3)
	v_dual_add_f32 v55, -1.0, v9 :: v_dual_add_f32 v49, v49, v51
	v_add_f32_e32 v51, -1.0, v52
	s_delay_alu instid0(VALU_DEP_2) | instskip(NEXT) | instid1(VALU_DEP_2)
	v_ldexp_f32 v49, v49, v50
	v_sub_f32_e32 v50, v9, v51
	s_delay_alu instid0(VALU_DEP_4) | instskip(NEXT) | instid1(VALU_DEP_1)
	v_add_f32_e32 v51, 1.0, v55
	v_sub_f32_e32 v9, v9, v51
	s_delay_alu instid0(VALU_DEP_1) | instskip(NEXT) | instid1(VALU_DEP_1)
	v_dual_add_f32 v50, v49, v50 :: v_dual_add_f32 v9, v49, v9
	v_dual_add_f32 v56, v52, v50 :: v_dual_add_f32 v51, v55, v9
	s_delay_alu instid0(VALU_DEP_1) | instskip(SKIP_2) | instid1(TRANS32_DEP_1)
	v_sub_f32_e32 v53, v56, v52
	v_rcp_f32_e32 v49, v56
	v_nop
	v_dual_sub_f32 v59, v51, v55 :: v_dual_mul_f32 v57, v51, v49
	s_delay_alu instid0(VALU_DEP_1) | instskip(NEXT) | instid1(VALU_DEP_2)
	v_dual_sub_f32 v58, v50, v53 :: v_dual_sub_f32 v9, v9, v59
	v_mul_f32_e32 v52, v56, v57
	s_delay_alu instid0(VALU_DEP_1) | instskip(NEXT) | instid1(VALU_DEP_1)
	v_fma_f32 v54, v57, v56, -v52
	v_fmac_f32_e32 v54, v57, v58
	s_delay_alu instid0(VALU_DEP_1) | instskip(NEXT) | instid1(VALU_DEP_1)
	v_add_f32_e32 v50, v52, v54
	v_dual_sub_f32 v53, v51, v50 :: v_dual_mov_b32 v55, v50
	s_delay_alu instid0(VALU_DEP_1) | instskip(NEXT) | instid1(VALU_DEP_1)
	v_pk_add_f32 v[50:51], v[50:51], v[52:53] neg_lo:[0,1] neg_hi:[0,1]
	v_pk_add_f32 v[50:51], v[50:51], v[54:55] neg_lo:[0,1] neg_hi:[0,1]
	s_delay_alu instid0(VALU_DEP_1) | instskip(NEXT) | instid1(VALU_DEP_1)
	v_add_f32_e32 v9, v9, v51
	v_add_f32_e32 v9, v50, v9
	s_delay_alu instid0(VALU_DEP_1) | instskip(NEXT) | instid1(VALU_DEP_1)
	v_add_f32_e32 v51, v53, v9
	v_mul_f32_e32 v59, v49, v51
	s_delay_alu instid0(VALU_DEP_1) | instskip(NEXT) | instid1(VALU_DEP_1)
	v_mul_f32_e32 v54, v56, v59
	v_dual_fma_f32 v52, v59, v56, -v54 :: v_dual_sub_f32 v56, v53, v51
	s_delay_alu instid0(VALU_DEP_1) | instskip(NEXT) | instid1(VALU_DEP_1)
	v_dual_fmac_f32 v52, v59, v58 :: v_dual_add_f32 v9, v9, v56
	v_add_f32_e32 v50, v54, v52
	s_delay_alu instid0(VALU_DEP_1) | instskip(NEXT) | instid1(VALU_DEP_1)
	v_dual_sub_f32 v55, v51, v50 :: v_dual_mov_b32 v53, v50
	v_pk_add_f32 v[50:51], v[50:51], v[54:55] neg_lo:[0,1] neg_hi:[0,1]
	s_delay_alu instid0(VALU_DEP_1) | instskip(NEXT) | instid1(VALU_DEP_1)
	v_pk_add_f32 v[50:51], v[50:51], v[52:53] neg_lo:[0,1] neg_hi:[0,1]
	v_add_f32_e32 v9, v9, v51
	s_delay_alu instid0(VALU_DEP_1) | instskip(NEXT) | instid1(VALU_DEP_1)
	v_dual_add_f32 v56, v57, v59 :: v_dual_add_f32 v9, v50, v9
	v_sub_f32_e32 v50, v56, v57
	s_delay_alu instid0(VALU_DEP_2) | instskip(NEXT) | instid1(VALU_DEP_1)
	v_add_f32_e32 v9, v55, v9
	v_dual_sub_f32 v50, v59, v50 :: v_dual_mul_f32 v9, v49, v9
	s_delay_alu instid0(VALU_DEP_1) | instskip(SKIP_1) | instid1(VALU_DEP_2)
	v_add_f32_e32 v49, v50, v9
	v_cvt_f32_i32_e32 v50, v26
	v_add_f32_e32 v57, v56, v49
	s_delay_alu instid0(VALU_DEP_1) | instskip(SKIP_1) | instid1(VALU_DEP_2)
	v_mul_f32_e32 v9, v57, v57
	v_ldexp_f32 v55, v57, 1
	v_dual_fmaak_f32 v52, s7, v9, 0x3ecc95a3 :: v_dual_mul_f32 v51, v57, v9
	s_delay_alu instid0(VALU_DEP_1) | instskip(NEXT) | instid1(VALU_DEP_1)
	v_fmaak_f32 v9, v9, v52, 0x3f2aaada
	v_pk_mul_f32 v[52:53], v[50:51], v[8:9]
	s_delay_alu instid0(VALU_DEP_1) | instskip(NEXT) | instid1(VALU_DEP_1)
	v_fma_f32 v54, 0x3f317218, v50, -v52
	v_fmac_f32_e32 v54, 0xb102e308, v50
	s_delay_alu instid0(VALU_DEP_1) | instskip(NEXT) | instid1(VALU_DEP_1)
	v_pk_add_f32 v[50:51], v[52:53], v[54:55]
	v_dual_sub_f32 v26, v51, v55 :: v_dual_sub_f32 v9, v57, v56
	s_delay_alu instid0(VALU_DEP_2) | instskip(NEXT) | instid1(VALU_DEP_2)
	v_dual_mov_b32 v55, v50 :: v_dual_mov_b32 v56, v52
	v_dual_mov_b32 v64, v51 :: v_dual_sub_f32 v26, v53, v26
	s_delay_alu instid0(VALU_DEP_3) | instskip(SKIP_1) | instid1(VALU_DEP_2)
	v_sub_f32_e32 v9, v49, v9
	v_pk_add_f32 v[52:53], v[50:51], v[52:53] neg_lo:[0,1] neg_hi:[0,1]
	v_ldexp_f32 v9, v9, 1
	s_delay_alu instid0(VALU_DEP_1) | instskip(NEXT) | instid1(VALU_DEP_1)
	v_add_f32_e32 v57, v9, v26
	v_pk_add_f32 v[58:59], v[50:51], v[56:57]
	s_delay_alu instid0(VALU_DEP_1) | instskip(NEXT) | instid1(VALU_DEP_1)
	v_mov_b32_e32 v53, v59
	v_pk_add_f32 v[60:61], v[54:55], v[52:53]
	v_mov_b32_e32 v60, v59
	v_pk_add_f32 v[52:53], v[54:55], v[52:53] neg_lo:[0,1] neg_hi:[0,1]
	s_delay_alu instid0(VALU_DEP_3) | instskip(NEXT) | instid1(VALU_DEP_1)
	v_dual_mov_b32 v26, v61 :: v_dual_mov_b32 v53, v61
	v_pk_add_f32 v[62:63], v[26:27], v[50:51] neg_lo:[0,1] neg_hi:[0,1]
	v_dual_mov_b32 v51, v50 :: v_dual_mov_b32 v50, v57
	s_delay_alu instid0(VALU_DEP_2) | instskip(NEXT) | instid1(VALU_DEP_1)
	v_dual_mov_b32 v65, v62 :: v_dual_mov_b32 v9, v62
	v_pk_add_f32 v[56:57], v[60:61], v[64:65] neg_lo:[0,1] neg_hi:[0,1]
	s_delay_alu instid0(VALU_DEP_2) | instskip(SKIP_1) | instid1(VALU_DEP_3)
	v_pk_add_f32 v[54:55], v[58:59], v[8:9] neg_lo:[0,1] neg_hi:[0,1]
	v_mov_b32_e32 v54, v52
	v_pk_add_f32 v[50:51], v[50:51], v[56:57] neg_lo:[0,1] neg_hi:[0,1]
	s_delay_alu instid0(VALU_DEP_1) | instskip(NEXT) | instid1(VALU_DEP_1)
	v_pk_add_f32 v[54:55], v[54:55], v[50:51]
	v_mov_b32_e32 v56, v55
	s_delay_alu instid0(VALU_DEP_1) | instskip(NEXT) | instid1(VALU_DEP_1)
	v_pk_add_f32 v[56:57], v[54:55], v[56:57]
	v_pk_add_f32 v[58:59], v[26:27], v[56:57]
	s_delay_alu instid0(VALU_DEP_1) | instskip(NEXT) | instid1(VALU_DEP_1)
	v_dual_mov_b32 v51, v56 :: v_dual_mov_b32 v55, v58
	v_pk_add_f32 v[60:61], v[54:55], v[52:53] neg_lo:[0,1] neg_hi:[0,1]
	s_delay_alu instid0(VALU_DEP_1) | instskip(NEXT) | instid1(VALU_DEP_2)
	v_sub_f32_e32 v9, v54, v60
	v_pk_add_f32 v[50:51], v[50:51], v[60:61] neg_lo:[0,1] neg_hi:[0,1]
	s_delay_alu instid0(VALU_DEP_2) | instskip(NEXT) | instid1(VALU_DEP_1)
	v_sub_f32_e32 v9, v52, v9
	v_add_f32_e32 v9, v50, v9
	s_delay_alu instid0(VALU_DEP_1) | instskip(NEXT) | instid1(VALU_DEP_1)
	v_add_f32_e32 v9, v9, v51
	v_add_f32_e32 v9, v58, v9
	s_delay_alu instid0(VALU_DEP_1) | instskip(SKIP_1) | instid1(VALU_DEP_1)
	v_cndmask_b32_e64 v9, 0x7f800000, v9, s5
	v_cmp_ngt_f32_e64 s5, -1.0, v48
	v_cndmask_b32_e64 v9, 0x7fc00000, v9, s5
	v_cmp_neq_f32_e64 s5, -1.0, v48
	s_delay_alu instid0(VALU_DEP_1) | instskip(SKIP_1) | instid1(VALU_DEP_1)
	v_cndmask_b32_e64 v9, 0xff800000, v9, s5
	v_cmp_gt_f32_e64 s5, 0x33800000, |v48|
	v_cndmask_b32_e64 v9, v9, v48, s5
	s_delay_alu instid0(VALU_DEP_1)
	v_mul_f32_e32 v26, 0.5, v9
.LBB210_29:                             ;   in Loop: Header=BB210_4 Depth=1
	s_or_b32 exec_lo, exec_lo, s23
.LBB210_30:                             ;   in Loop: Header=BB210_4 Depth=1
	s_delay_alu instid0(SALU_CYCLE_1) | instskip(SKIP_2) | instid1(VALU_DEP_1)
	s_or_b32 exec_lo, exec_lo, s6
	v_max_num_f32_e64 v9, |v24|, |v24|
	v_max_num_f32_e64 v49, |v25|, |v25|
	v_max_num_f32_e32 v9, v9, v49
	s_delay_alu instid0(VALU_DEP_1) | instskip(NEXT) | instid1(VALU_DEP_1)
	v_cvt_f64_f32_e32 v[50:51], v9
	v_frexp_exp_i32_f64_e32 v48, v[50:51]
	s_delay_alu instid0(VALU_DEP_1) | instskip(SKIP_1) | instid1(VALU_DEP_2)
	v_sub_nc_u32_e32 v50, 0, v48
	v_cmp_eq_f32_e64 s5, 0x7f800000, v9
	v_ldexp_f32 v51, |v25|, v50
	v_ldexp_f32 v50, |v24|, v50
	s_delay_alu instid0(VALU_DEP_2) | instskip(NEXT) | instid1(VALU_DEP_1)
	v_mul_f32_e32 v51, v51, v51
	v_fmac_f32_e32 v51, v50, v50
	s_delay_alu instid0(VALU_DEP_1) | instskip(SKIP_1) | instid1(TRANS32_DEP_1)
	v_sqrt_f32_e32 v50, v51
	v_nop
	v_ldexp_f32 v50, v50, v48
	v_add_f32_e32 v48, 1.0, v24
	s_delay_alu instid0(VALU_DEP_2) | instskip(NEXT) | instid1(VALU_DEP_2)
	v_cmp_ngt_f32_e64 s6, 0.5, v50
	v_max_num_f32_e64 v50, |v48|, v49
	s_or_b32 s5, s5, s6
	s_delay_alu instid0(SALU_CYCLE_1) | instskip(NEXT) | instid1(SALU_CYCLE_1)
	s_and_saveexec_b32 s6, s5
	s_xor_b32 s23, exec_lo, s6
	s_cbranch_execnz .LBB210_36
; %bb.31:                               ;   in Loop: Header=BB210_4 Depth=1
	s_and_not1_saveexec_b32 s6, s23
	s_cbranch_execnz .LBB210_37
.LBB210_32:                             ;   in Loop: Header=BB210_4 Depth=1
	s_or_b32 exec_lo, exec_lo, s6
	s_and_saveexec_b32 s5, s4
	s_delay_alu instid0(SALU_CYCLE_1)
	s_xor_b32 s6, exec_lo, s5
	s_cbranch_execnz .LBB210_40
.LBB210_33:                             ;   in Loop: Header=BB210_4 Depth=1
	s_or_b32 exec_lo, exec_lo, s6
	s_and_saveexec_b32 s5, s3
	s_cbranch_execnz .LBB210_41
.LBB210_34:                             ;   in Loop: Header=BB210_4 Depth=1
	s_or_b32 exec_lo, exec_lo, s5
	s_and_saveexec_b32 s4, s2
	s_cbranch_execnz .LBB210_42
.LBB210_35:                             ;   in Loop: Header=BB210_4 Depth=1
	s_or_b32 exec_lo, exec_lo, s4
	s_and_saveexec_b32 s3, vcc_lo
	s_cbranch_execz .LBB210_3
	s_branch .LBB210_43
.LBB210_36:                             ;   in Loop: Header=BB210_4 Depth=1
	v_cvt_f64_f32_e32 v[52:53], v50
	v_cmp_neq_f32_e64 s5, 0x7f800000, v50
	s_delay_alu instid0(VALU_DEP_2) | instskip(NEXT) | instid1(VALU_DEP_1)
	v_frexp_exp_i32_f64_e32 v9, v[52:53]
	v_sub_nc_u32_e32 v24, 0, v9
	s_delay_alu instid0(VALU_DEP_1) | instskip(NEXT) | instid1(VALU_DEP_1)
	v_ldexp_f32 v51, |v25|, v24
	v_mul_f32_e32 v51, v51, v51
	v_ldexp_f32 v24, |v48|, v24
	s_delay_alu instid0(VALU_DEP_1) | instskip(NEXT) | instid1(VALU_DEP_1)
	v_fmac_f32_e32 v51, v24, v24
	v_sqrt_f32_e32 v24, v51
	v_nop
	s_delay_alu instid0(TRANS32_DEP_1) | instskip(NEXT) | instid1(VALU_DEP_1)
	v_ldexp_f32 v9, v24, v9
	v_cndmask_b32_e64 v9, 0x7f800000, v9, s5
	s_delay_alu instid0(VALU_DEP_1) | instskip(NEXT) | instid1(VALU_DEP_1)
	v_cmp_gt_f32_e64 s5, 0x800000, v9
	v_cndmask_b32_e64 v24, 0, 32, s5
	s_delay_alu instid0(VALU_DEP_1) | instskip(NEXT) | instid1(VALU_DEP_1)
	v_ldexp_f32 v9, v9, v24
	v_log_f32_e32 v9, v9
	v_nop
	s_delay_alu instid0(TRANS32_DEP_1) | instskip(SKIP_1) | instid1(VALU_DEP_2)
	v_mul_f32_e32 v24, 0x3f317217, v9
	v_cmp_gt_f32_e64 s6, 0x7f800000, |v9|
	v_fma_f32 v24, 0x3f317217, v9, -v24
	s_delay_alu instid0(VALU_DEP_1) | instskip(NEXT) | instid1(VALU_DEP_1)
	v_fmac_f32_e32 v24, 0x3377d1cf, v9
	v_fmac_f32_e32 v24, 0x3f317217, v9
	s_delay_alu instid0(VALU_DEP_1) | instskip(SKIP_1) | instid1(VALU_DEP_1)
	v_cndmask_b32_e64 v9, v9, v24, s6
	v_cndmask_b32_e64 v24, 0, 0x41b17218, s5
	v_sub_f32_e32 v24, v9, v24
	s_and_not1_saveexec_b32 s6, s23
	s_cbranch_execz .LBB210_32
.LBB210_37:                             ;   in Loop: Header=BB210_4 Depth=1
	s_delay_alu instid0(VALU_DEP_1) | instskip(SKIP_1) | instid1(VALU_DEP_1)
	v_dual_add_f32 v52, 2.0, v24 :: v_dual_mov_b32 v53, v25
	s_mov_b32 s23, exec_lo
	v_pk_mul_f32 v[52:53], v[24:25], v[52:53]
	s_delay_alu instid0(VALU_DEP_1) | instskip(NEXT) | instid1(VALU_DEP_1)
	v_add_f32_e32 v51, v53, v52
	v_cmpx_neq_f32_e32 0, v51
	s_cbranch_execz .LBB210_39
; %bb.38:                               ;   in Loop: Header=BB210_4 Depth=1
	v_add_f32_e32 v9, 1.0, v51
	s_delay_alu instid0(VALU_DEP_1) | instskip(NEXT) | instid1(VALU_DEP_1)
	v_add_f32_e32 v24, -1.0, v9
	v_dual_sub_f32 v52, v24, v9 :: v_dual_sub_f32 v24, v51, v24
	s_delay_alu instid0(VALU_DEP_1) | instskip(NEXT) | instid1(VALU_DEP_1)
	v_add_f32_e32 v52, 1.0, v52
	v_add_f32_e32 v24, v24, v52
	v_frexp_mant_f32_e32 v52, v9
	s_delay_alu instid0(VALU_DEP_1) | instskip(SKIP_1) | instid1(VALU_DEP_1)
	v_cmp_gt_f32_e64 s5, 0x3f2aaaab, v52
	v_cvt_f64_f32_e32 v[52:53], v9
	v_frexp_exp_i32_f64_e32 v52, v[52:53]
	s_delay_alu instid0(VALU_DEP_1) | instskip(SKIP_1) | instid1(VALU_DEP_2)
	v_subrev_co_ci_u32_e64 v60, null, 0, v52, s5
	v_cmp_neq_f32_e64 s5, 0x7f800000, v51
	v_sub_nc_u32_e32 v52, 0, v60
	s_delay_alu instid0(VALU_DEP_1) | instskip(SKIP_1) | instid1(VALU_DEP_2)
	v_ldexp_f32 v9, v9, v52
	v_ldexp_f32 v24, v24, v52
	v_add_f32_e32 v52, -1.0, v9
	s_delay_alu instid0(VALU_DEP_1) | instskip(NEXT) | instid1(VALU_DEP_1)
	v_add_f32_e32 v53, 1.0, v52
	v_sub_f32_e32 v53, v9, v53
	s_delay_alu instid0(VALU_DEP_1) | instskip(SKIP_1) | instid1(VALU_DEP_1)
	v_add_f32_e32 v54, v24, v53
	v_add_f32_e32 v53, 1.0, v9
	v_add_f32_e32 v55, -1.0, v53
	s_delay_alu instid0(VALU_DEP_1) | instskip(NEXT) | instid1(VALU_DEP_1)
	v_sub_f32_e32 v9, v9, v55
	v_add_f32_e32 v9, v24, v9
	s_delay_alu instid0(VALU_DEP_1) | instskip(NEXT) | instid1(VALU_DEP_1)
	v_add_f32_e32 v24, v53, v9
	v_sub_f32_e32 v53, v24, v53
	s_delay_alu instid0(VALU_DEP_1) | instskip(SKIP_2) | instid1(TRANS32_DEP_1)
	v_dual_sub_f32 v9, v9, v53 :: v_dual_add_f32 v53, v52, v54
	v_rcp_f32_e32 v61, v24
	v_nop
	v_dual_sub_f32 v52, v53, v52 :: v_dual_mul_f32 v63, v53, v61
	s_delay_alu instid0(VALU_DEP_1) | instskip(NEXT) | instid1(VALU_DEP_1)
	v_dual_sub_f32 v62, v54, v52 :: v_dual_mul_f32 v54, v24, v63
	v_fma_f32 v56, v63, v24, -v54
	s_delay_alu instid0(VALU_DEP_1) | instskip(NEXT) | instid1(VALU_DEP_1)
	v_fmac_f32_e32 v56, v63, v9
	v_add_f32_e32 v52, v54, v56
	s_delay_alu instid0(VALU_DEP_1) | instskip(NEXT) | instid1(VALU_DEP_1)
	v_dual_sub_f32 v55, v53, v52 :: v_dual_mov_b32 v57, v52
	v_pk_add_f32 v[58:59], v[52:53], v[54:55] neg_lo:[0,1] neg_hi:[0,1]
	s_delay_alu instid0(VALU_DEP_1) | instskip(NEXT) | instid1(VALU_DEP_1)
	v_pk_add_f32 v[52:53], v[58:59], v[56:57] neg_lo:[0,1] neg_hi:[0,1]
	v_add_f32_e32 v53, v62, v53
	s_delay_alu instid0(VALU_DEP_1) | instskip(NEXT) | instid1(VALU_DEP_1)
	v_add_f32_e32 v52, v52, v53
	v_add_f32_e32 v53, v55, v52
	s_delay_alu instid0(VALU_DEP_1) | instskip(NEXT) | instid1(VALU_DEP_1)
	v_mul_f32_e32 v62, v61, v53
	v_mul_f32_e32 v54, v24, v62
	s_delay_alu instid0(VALU_DEP_1) | instskip(NEXT) | instid1(VALU_DEP_1)
	v_dual_fma_f32 v56, v62, v24, -v54 :: v_dual_add_f32 v24, v63, v62
	v_fmac_f32_e32 v56, v62, v9
	v_sub_f32_e32 v9, v55, v53
	s_delay_alu instid0(VALU_DEP_1) | instskip(NEXT) | instid1(VALU_DEP_1)
	v_dual_add_f32 v9, v52, v9 :: v_dual_add_f32 v52, v54, v56
	v_dual_sub_f32 v55, v53, v52 :: v_dual_mov_b32 v57, v52
	s_delay_alu instid0(VALU_DEP_1) | instskip(NEXT) | instid1(VALU_DEP_1)
	v_pk_add_f32 v[58:59], v[52:53], v[54:55] neg_lo:[0,1] neg_hi:[0,1]
	v_pk_add_f32 v[52:53], v[58:59], v[56:57] neg_lo:[0,1] neg_hi:[0,1]
	s_delay_alu instid0(VALU_DEP_1) | instskip(NEXT) | instid1(VALU_DEP_1)
	v_add_f32_e32 v9, v9, v53
	v_add_f32_e32 v9, v52, v9
	v_sub_f32_e32 v52, v24, v63
	s_delay_alu instid0(VALU_DEP_1) | instskip(NEXT) | instid1(VALU_DEP_1)
	v_dual_sub_f32 v52, v62, v52 :: v_dual_add_f32 v9, v55, v9
	v_mul_f32_e32 v9, v61, v9
	s_delay_alu instid0(VALU_DEP_1) | instskip(SKIP_1) | instid1(VALU_DEP_2)
	v_add_f32_e32 v53, v52, v9
	v_cvt_f32_i32_e32 v52, v60
	v_add_f32_e32 v54, v24, v53
	s_delay_alu instid0(VALU_DEP_1) | instskip(SKIP_1) | instid1(VALU_DEP_2)
	v_dual_mul_f32 v56, v54, v54 :: v_dual_sub_f32 v24, v54, v24
	v_ldexp_f32 v55, v54, 1
	v_fmaak_f32 v9, s7, v56, 0x3ecc95a3
	s_delay_alu instid0(VALU_DEP_3) | instskip(SKIP_1) | instid1(VALU_DEP_3)
	v_sub_f32_e32 v24, v53, v24
	v_mul_f32_e32 v53, v54, v56
	v_fmaak_f32 v9, v56, v9, 0x3f2aaada
	s_delay_alu instid0(VALU_DEP_3) | instskip(NEXT) | instid1(VALU_DEP_2)
	v_ldexp_f32 v24, v24, 1
	v_pk_mul_f32 v[56:57], v[52:53], v[8:9]
	s_delay_alu instid0(VALU_DEP_1) | instskip(SKIP_1) | instid1(VALU_DEP_2)
	v_fma_f32 v54, 0x3f317218, v52, -v56
	v_mov_b32_e32 v58, v56
	v_fmac_f32_e32 v54, 0xb102e308, v52
	s_delay_alu instid0(VALU_DEP_1) | instskip(NEXT) | instid1(VALU_DEP_1)
	v_pk_add_f32 v[52:53], v[56:57], v[54:55]
	v_dual_sub_f32 v9, v53, v55 :: v_dual_mov_b32 v55, v52
	s_delay_alu instid0(VALU_DEP_1) | instskip(SKIP_1) | instid1(VALU_DEP_2)
	v_sub_f32_e32 v9, v57, v9
	v_pk_add_f32 v[56:57], v[52:53], v[56:57] neg_lo:[0,1] neg_hi:[0,1]
	v_add_f32_e32 v59, v24, v9
	s_delay_alu instid0(VALU_DEP_1) | instskip(NEXT) | instid1(VALU_DEP_1)
	v_pk_add_f32 v[60:61], v[52:53], v[58:59]
	v_mov_b32_e32 v57, v61
	s_delay_alu instid0(VALU_DEP_1) | instskip(SKIP_1) | instid1(VALU_DEP_1)
	v_pk_add_f32 v[62:63], v[54:55], v[56:57] neg_lo:[0,1] neg_hi:[0,1]
	v_pk_add_f32 v[54:55], v[54:55], v[56:57]
	v_dual_mov_b32 v54, v61 :: v_dual_mov_b32 v63, v55
	v_mov_b32_e32 v24, v55
	s_delay_alu instid0(VALU_DEP_1) | instskip(NEXT) | instid1(VALU_DEP_1)
	v_pk_add_f32 v[56:57], v[24:25], v[52:53] neg_lo:[0,1] neg_hi:[0,1]
	v_dual_mov_b32 v57, v52 :: v_dual_mov_b32 v9, v56
	s_delay_alu instid0(VALU_DEP_1) | instskip(SKIP_2) | instid1(VALU_DEP_2)
	v_pk_add_f32 v[64:65], v[60:61], v[8:9] neg_lo:[0,1] neg_hi:[0,1]
	v_dual_mov_b32 v60, v53 :: v_dual_mov_b32 v61, v56
	v_dual_mov_b32 v56, v59 :: v_dual_mov_b32 v64, v62
	v_pk_add_f32 v[54:55], v[54:55], v[60:61] neg_lo:[0,1] neg_hi:[0,1]
	s_delay_alu instid0(VALU_DEP_1) | instskip(NEXT) | instid1(VALU_DEP_1)
	v_pk_add_f32 v[52:53], v[56:57], v[54:55] neg_lo:[0,1] neg_hi:[0,1]
	v_pk_add_f32 v[54:55], v[64:65], v[52:53]
	s_delay_alu instid0(VALU_DEP_1) | instskip(NEXT) | instid1(VALU_DEP_1)
	v_mov_b32_e32 v56, v55
	v_pk_add_f32 v[56:57], v[54:55], v[56:57]
	s_delay_alu instid0(VALU_DEP_1) | instskip(NEXT) | instid1(VALU_DEP_1)
	v_pk_add_f32 v[58:59], v[24:25], v[56:57]
	v_dual_mov_b32 v53, v56 :: v_dual_mov_b32 v55, v58
	s_delay_alu instid0(VALU_DEP_1) | instskip(NEXT) | instid1(VALU_DEP_1)
	v_pk_add_f32 v[60:61], v[54:55], v[62:63] neg_lo:[0,1] neg_hi:[0,1]
	v_sub_f32_e32 v9, v54, v60
	s_delay_alu instid0(VALU_DEP_2) | instskip(NEXT) | instid1(VALU_DEP_2)
	v_pk_add_f32 v[52:53], v[52:53], v[60:61] neg_lo:[0,1] neg_hi:[0,1]
	v_sub_f32_e32 v9, v62, v9
	s_delay_alu instid0(VALU_DEP_1) | instskip(NEXT) | instid1(VALU_DEP_1)
	v_add_f32_e32 v9, v52, v9
	v_add_f32_e32 v9, v9, v53
	s_delay_alu instid0(VALU_DEP_1) | instskip(NEXT) | instid1(VALU_DEP_1)
	v_add_f32_e32 v9, v58, v9
	v_cndmask_b32_e64 v9, 0x7f800000, v9, s5
	v_cmp_ngt_f32_e64 s5, -1.0, v51
	s_delay_alu instid0(VALU_DEP_1) | instskip(SKIP_1) | instid1(VALU_DEP_1)
	v_cndmask_b32_e64 v9, 0x7fc00000, v9, s5
	v_cmp_neq_f32_e64 s5, -1.0, v51
	v_cndmask_b32_e64 v9, 0xff800000, v9, s5
	v_cmp_gt_f32_e64 s5, 0x33800000, |v51|
	s_delay_alu instid0(VALU_DEP_1) | instskip(NEXT) | instid1(VALU_DEP_1)
	v_cndmask_b32_e64 v9, v9, v51, s5
	v_mul_f32_e32 v24, 0.5, v9
.LBB210_39:                             ;   in Loop: Header=BB210_4 Depth=1
	s_or_b32 exec_lo, exec_lo, s23
	s_delay_alu instid0(SALU_CYCLE_1) | instskip(SKIP_1) | instid1(SALU_CYCLE_1)
	s_or_b32 exec_lo, exec_lo, s6
	s_and_saveexec_b32 s5, s4
	s_xor_b32 s6, exec_lo, s5
	s_cbranch_execz .LBB210_33
.LBB210_40:                             ;   in Loop: Header=BB210_4 Depth=1
	v_max_num_f32_e64 v9, |v39|, |v39|
	v_frexp_mant_f32_e32 v51, v41
	v_frexp_exp_i32_f32_e32 v41, v41
	v_cmp_gt_i32_e64 s5, 0, v39
	v_cmp_gt_f32_e64 s4, |v37|, |v39|
	v_min_num_f32_e32 v9, v9, v40
	v_rcp_f32_e32 v40, v51
	v_cmp_class_f32_e64 s23, v39, 0x204
	s_delay_alu instid0(VALU_DEP_2)
	v_frexp_mant_f32_e32 v51, v9
	s_delay_alu instid0(TRANS32_DEP_1) | instid1(VALU_DEP_1)
	v_mul_f32_e32 v40, v51, v40
	v_frexp_exp_i32_f32_e32 v9, v9
	v_cndmask_b32_e64 v51, 0, 0x40490fdb, s5
	v_cmp_class_f32_e64 s5, v37, 0x204
	s_delay_alu instid0(VALU_DEP_3) | instskip(NEXT) | instid1(VALU_DEP_1)
	v_sub_nc_u32_e32 v9, v9, v41
	v_ldexp_f32 v9, v40, v9
	s_delay_alu instid0(VALU_DEP_1) | instskip(NEXT) | instid1(VALU_DEP_1)
	v_mul_f32_e32 v40, v9, v9
	v_fmaak_f32 v41, s22, v40, 0xbc7a590c
	s_delay_alu instid0(VALU_DEP_1) | instskip(NEXT) | instid1(VALU_DEP_1)
	v_fmaak_f32 v41, v40, v41, 0x3d29fb3f
	v_fmaak_f32 v41, v40, v41, 0xbd97d4d7
	s_delay_alu instid0(VALU_DEP_1) | instskip(NEXT) | instid1(VALU_DEP_1)
	v_fmaak_f32 v41, v40, v41, 0x3dd931b2
	v_fmaak_f32 v41, v40, v41, 0xbe1160e6
	s_delay_alu instid0(VALU_DEP_1) | instskip(NEXT) | instid1(VALU_DEP_1)
	v_fmaak_f32 v41, v40, v41, 0x3e4cb8bf
	v_fmaak_f32 v41, v40, v41, 0xbeaaaa62
	s_delay_alu instid0(VALU_DEP_1) | instskip(NEXT) | instid1(VALU_DEP_1)
	v_mul_f32_e32 v40, v40, v41
	v_fmac_f32_e32 v9, v9, v40
	s_delay_alu instid0(VALU_DEP_1) | instskip(NEXT) | instid1(VALU_DEP_1)
	v_sub_f32_e32 v40, 0x3fc90fdb, v9
	v_cndmask_b32_e64 v9, v9, v40, s4
	v_cmp_gt_f32_e64 s4, 0, v39
	s_delay_alu instid0(VALU_DEP_2) | instskip(NEXT) | instid1(VALU_DEP_2)
	v_sub_f32_e32 v40, 0x40490fdb, v9
	v_cndmask_b32_e64 v41, 0x3f490fdb, v38, s4
	s_delay_alu instid0(VALU_DEP_2) | instskip(SKIP_1) | instid1(VALU_DEP_1)
	v_cndmask_b32_e64 v9, v9, v40, s4
	v_cmp_eq_f32_e64 s4, 0, v37
	v_cndmask_b32_e64 v9, v9, v51, s4
	s_and_b32 s4, s5, s23
	s_delay_alu instid0(VALU_DEP_1) | instid1(SALU_CYCLE_1)
	v_cndmask_b32_e64 v9, v9, v41, s4
	v_cmp_o_f32_e64 s4, v39, v37
	s_delay_alu instid0(VALU_DEP_1) | instskip(NEXT) | instid1(VALU_DEP_1)
	v_cndmask_b32_e64 v9, 0x7fc00000, v9, s4
	v_bfi_b32 v37, 0x7fffffff, v9, v37
	global_store_b64 v[34:35], v[36:37], off
	s_wait_xcnt 0x0
	s_or_b32 exec_lo, exec_lo, s6
	s_and_saveexec_b32 s5, s3
	s_cbranch_execz .LBB210_34
.LBB210_41:                             ;   in Loop: Header=BB210_4 Depth=1
	v_max_num_f32_e64 v9, |v42|, |v42|
	v_frexp_mant_f32_e32 v34, v44
	v_frexp_exp_i32_f32_e32 v35, v44
	v_cmp_gt_i32_e64 s4, 0, v42
	v_cmp_gt_f32_e64 s3, |v33|, |v42|
	v_cmp_class_f32_e64 s6, v42, 0x204
	v_rcp_f32_e32 v34, v34
	v_min_num_f32_e32 v9, v9, v43
	s_delay_alu instid0(VALU_DEP_1)
	v_frexp_mant_f32_e32 v36, v9
	s_delay_alu instid0(TRANS32_DEP_1) | instid1(VALU_DEP_1)
	v_mul_f32_e32 v34, v36, v34
	v_frexp_exp_i32_f32_e32 v9, v9
	v_cndmask_b32_e64 v36, 0, 0x40490fdb, s4
	v_cmp_class_f32_e64 s4, v33, 0x204
	s_delay_alu instid0(VALU_DEP_3) | instskip(NEXT) | instid1(VALU_DEP_1)
	v_sub_nc_u32_e32 v9, v9, v35
	v_ldexp_f32 v9, v34, v9
	s_delay_alu instid0(VALU_DEP_1) | instskip(NEXT) | instid1(VALU_DEP_1)
	v_mul_f32_e32 v34, v9, v9
	v_fmaak_f32 v35, s22, v34, 0xbc7a590c
	s_delay_alu instid0(VALU_DEP_1) | instskip(NEXT) | instid1(VALU_DEP_1)
	v_fmaak_f32 v35, v34, v35, 0x3d29fb3f
	v_fmaak_f32 v35, v34, v35, 0xbd97d4d7
	s_delay_alu instid0(VALU_DEP_1) | instskip(NEXT) | instid1(VALU_DEP_1)
	v_fmaak_f32 v35, v34, v35, 0x3dd931b2
	v_fmaak_f32 v35, v34, v35, 0xbe1160e6
	s_delay_alu instid0(VALU_DEP_1) | instskip(NEXT) | instid1(VALU_DEP_1)
	v_fmaak_f32 v35, v34, v35, 0x3e4cb8bf
	v_fmaak_f32 v35, v34, v35, 0xbeaaaa62
	s_delay_alu instid0(VALU_DEP_1) | instskip(NEXT) | instid1(VALU_DEP_1)
	v_mul_f32_e32 v34, v34, v35
	v_fmac_f32_e32 v9, v9, v34
	s_delay_alu instid0(VALU_DEP_1) | instskip(NEXT) | instid1(VALU_DEP_1)
	v_sub_f32_e32 v34, 0x3fc90fdb, v9
	v_cndmask_b32_e64 v9, v9, v34, s3
	v_cmp_gt_f32_e64 s3, 0, v42
	s_delay_alu instid0(VALU_DEP_2) | instskip(NEXT) | instid1(VALU_DEP_2)
	v_sub_f32_e32 v34, 0x40490fdb, v9
	v_cndmask_b32_e64 v35, 0x3f490fdb, v38, s3
	s_delay_alu instid0(VALU_DEP_2) | instskip(SKIP_1) | instid1(VALU_DEP_1)
	v_cndmask_b32_e64 v9, v9, v34, s3
	v_cmp_eq_f32_e64 s3, 0, v33
	v_cndmask_b32_e64 v9, v9, v36, s3
	s_and_b32 s3, s4, s6
	s_delay_alu instid0(VALU_DEP_1) | instid1(SALU_CYCLE_1)
	v_cndmask_b32_e64 v9, v9, v35, s3
	v_cmp_o_f32_e64 s3, v42, v33
	s_delay_alu instid0(VALU_DEP_1) | instskip(NEXT) | instid1(VALU_DEP_1)
	v_cndmask_b32_e64 v9, 0x7fc00000, v9, s3
	v_bfi_b32 v33, 0x7fffffff, v9, v33
	global_store_b64 v[30:31], v[32:33], off
	s_wait_xcnt 0x0
	s_or_b32 exec_lo, exec_lo, s5
	s_and_saveexec_b32 s4, s2
	s_cbranch_execz .LBB210_35
.LBB210_42:                             ;   in Loop: Header=BB210_4 Depth=1
	v_max_num_f32_e64 v9, |v45|, |v45|
	v_frexp_mant_f32_e32 v30, v47
	v_frexp_exp_i32_f32_e32 v31, v47
	v_cmp_gt_i32_e64 s3, 0, v45
	v_cmp_gt_f32_e64 s2, |v27|, |v45|
	v_min_num_f32_e32 v9, v9, v46
	v_rcp_f32_e32 v30, v30
	v_cmp_class_f32_e64 s5, v45, 0x204
	s_delay_alu instid0(VALU_DEP_2)
	v_frexp_mant_f32_e32 v32, v9
	v_frexp_exp_i32_f32_e32 v9, v9
	s_delay_alu instid0(TRANS32_DEP_1) | instid1(VALU_DEP_1)
	v_dual_mul_f32 v30, v32, v30 :: v_dual_sub_nc_u32 v9, v9, v31
	v_cndmask_b32_e64 v32, 0, 0x40490fdb, s3
	v_cmp_class_f32_e64 s3, v27, 0x204
	s_delay_alu instid0(VALU_DEP_3) | instskip(NEXT) | instid1(VALU_DEP_1)
	v_ldexp_f32 v9, v30, v9
	v_mul_f32_e32 v30, v9, v9
	s_delay_alu instid0(VALU_DEP_1) | instskip(NEXT) | instid1(VALU_DEP_1)
	v_fmaak_f32 v31, s22, v30, 0xbc7a590c
	v_fmaak_f32 v31, v30, v31, 0x3d29fb3f
	s_delay_alu instid0(VALU_DEP_1) | instskip(NEXT) | instid1(VALU_DEP_1)
	v_fmaak_f32 v31, v30, v31, 0xbd97d4d7
	v_fmaak_f32 v31, v30, v31, 0x3dd931b2
	;; [unrolled: 3-line block ×3, first 2 shown]
	s_delay_alu instid0(VALU_DEP_1) | instskip(NEXT) | instid1(VALU_DEP_1)
	v_fmaak_f32 v31, v30, v31, 0xbeaaaa62
	v_mul_f32_e32 v30, v30, v31
	s_delay_alu instid0(VALU_DEP_1) | instskip(NEXT) | instid1(VALU_DEP_1)
	v_fmac_f32_e32 v9, v9, v30
	v_sub_f32_e32 v30, 0x3fc90fdb, v9
	s_delay_alu instid0(VALU_DEP_1) | instskip(SKIP_1) | instid1(VALU_DEP_2)
	v_cndmask_b32_e64 v9, v9, v30, s2
	v_cmp_gt_f32_e64 s2, 0, v45
	v_sub_f32_e32 v30, 0x40490fdb, v9
	s_delay_alu instid0(VALU_DEP_2) | instskip(NEXT) | instid1(VALU_DEP_2)
	v_cndmask_b32_e64 v31, 0x3f490fdb, v38, s2
	v_cndmask_b32_e64 v9, v9, v30, s2
	v_cmp_eq_f32_e64 s2, 0, v27
	s_delay_alu instid0(VALU_DEP_1)
	v_cndmask_b32_e64 v9, v9, v32, s2
	s_and_b32 s2, s3, s5
	s_delay_alu instid0(VALU_DEP_1) | instid1(SALU_CYCLE_1)
	v_cndmask_b32_e64 v9, v9, v31, s2
	v_cmp_o_f32_e64 s2, v45, v27
	s_delay_alu instid0(VALU_DEP_1) | instskip(NEXT) | instid1(VALU_DEP_1)
	v_cndmask_b32_e64 v9, 0x7fc00000, v9, s2
	v_bfi_b32 v27, 0x7fffffff, v9, v27
	global_store_b64 v[28:29], v[26:27], off
	s_wait_xcnt 0x0
	s_or_b32 exec_lo, exec_lo, s4
	s_and_saveexec_b32 s3, vcc_lo
	s_cbranch_execz .LBB210_3
.LBB210_43:                             ;   in Loop: Header=BB210_4 Depth=1
	v_max_num_f32_e64 v9, |v48|, |v48|
	v_frexp_mant_f32_e32 v26, v50
	v_frexp_exp_i32_f32_e32 v27, v50
	v_cmp_gt_i32_e64 s2, 0, v48
	v_cmp_gt_f32_e64 vcc_lo, |v25|, |v48|
	v_cmp_class_f32_e64 s4, v48, 0x204
	v_rcp_f32_e32 v26, v26
	v_min_num_f32_e32 v9, v9, v49
	s_delay_alu instid0(VALU_DEP_1)
	v_frexp_mant_f32_e32 v28, v9
	s_delay_alu instid0(TRANS32_DEP_1) | instid1(VALU_DEP_1)
	v_mul_f32_e32 v26, v28, v26
	v_frexp_exp_i32_f32_e32 v9, v9
	v_cndmask_b32_e64 v28, 0, 0x40490fdb, s2
	v_cmp_class_f32_e64 s2, v25, 0x204
	s_delay_alu instid0(VALU_DEP_3) | instskip(NEXT) | instid1(VALU_DEP_1)
	v_sub_nc_u32_e32 v9, v9, v27
	v_ldexp_f32 v9, v26, v9
	s_delay_alu instid0(VALU_DEP_1) | instskip(NEXT) | instid1(VALU_DEP_1)
	v_mul_f32_e32 v26, v9, v9
	v_fmaak_f32 v27, s22, v26, 0xbc7a590c
	s_delay_alu instid0(VALU_DEP_1) | instskip(NEXT) | instid1(VALU_DEP_1)
	v_fmaak_f32 v27, v26, v27, 0x3d29fb3f
	v_fmaak_f32 v27, v26, v27, 0xbd97d4d7
	s_delay_alu instid0(VALU_DEP_1) | instskip(NEXT) | instid1(VALU_DEP_1)
	v_fmaak_f32 v27, v26, v27, 0x3dd931b2
	;; [unrolled: 3-line block ×3, first 2 shown]
	v_fmaak_f32 v27, v26, v27, 0xbeaaaa62
	s_delay_alu instid0(VALU_DEP_1) | instskip(NEXT) | instid1(VALU_DEP_1)
	v_mul_f32_e32 v26, v26, v27
	v_fmac_f32_e32 v9, v9, v26
	s_delay_alu instid0(VALU_DEP_1) | instskip(NEXT) | instid1(VALU_DEP_1)
	v_sub_f32_e32 v26, 0x3fc90fdb, v9
	v_cndmask_b32_e32 v9, v9, v26, vcc_lo
	v_cmp_gt_f32_e32 vcc_lo, 0, v48
	v_cndmask_b32_e32 v27, 0x3f490fdb, v38, vcc_lo
	s_delay_alu instid0(VALU_DEP_3) | instskip(NEXT) | instid1(VALU_DEP_1)
	v_sub_f32_e32 v26, 0x40490fdb, v9
	v_cndmask_b32_e32 v9, v9, v26, vcc_lo
	v_cmp_eq_f32_e32 vcc_lo, 0, v25
	s_delay_alu instid0(VALU_DEP_2) | instskip(SKIP_1) | instid1(VALU_DEP_1)
	v_cndmask_b32_e32 v9, v9, v28, vcc_lo
	s_and_b32 vcc_lo, s2, s4
	v_cndmask_b32_e32 v9, v9, v27, vcc_lo
	v_cmp_o_f32_e32 vcc_lo, v48, v25
	s_delay_alu instid0(VALU_DEP_2) | instskip(NEXT) | instid1(VALU_DEP_1)
	v_cndmask_b32_e32 v9, 0x7fc00000, v9, vcc_lo
	v_bfi_b32 v25, 0x7fffffff, v9, v25
	global_store_b64 v[22:23], v[24:25], off
	s_branch .LBB210_3
.LBB210_44:
	s_cbranch_execz .LBB210_46
	s_branch .LBB210_73
.LBB210_45:
.LBB210_46:
	v_min_i64 v[18:19], 0x10000, s[12:13]
	v_dual_mov_b32 v3, 0 :: v_dual_lshlrev_b32 v2, 2, v0
	s_mov_b32 s2, exec_lo
	s_delay_alu instid0(VALU_DEP_1)
	v_cmpx_lt_i64_e64 v[2:3], v[18:19]
	s_cbranch_execz .LBB210_73
; %bb.47:
	s_load_b32 s2, s[0:1], 0xd3c
	v_dual_mov_b32 v1, v3 :: v_dual_lshlrev_b32 v2, 5, v0
	s_wait_xcnt 0x0
	s_add_nc_u64 s[0:1], s[8:9], s[10:11]
	v_mov_b32_e32 v20, 0x3f317218
	v_mov_b32_e32 v24, 0x4016cbe4
	s_mov_b32 s3, 0
	v_add_nc_u64_e32 v[22:23], s[0:1], v[2:3]
	s_mov_b32 s6, 0x3e9b6dac
	s_mov_b32 s7, 0x3b2d2a58
	;; [unrolled: 1-line block ×4, first 2 shown]
	s_wait_kmcnt 0x0
	s_and_b32 s2, s2, 0xffff
	s_delay_alu instid0(SALU_CYCLE_1)
	s_lshl_b32 s4, s2, 5
	s_branch .LBB210_50
.LBB210_48:                             ;   in Loop: Header=BB210_50 Depth=1
	s_or_b32 exec_lo, exec_lo, s1
	s_delay_alu instid0(VALU_DEP_1)
	v_mov_b32_e32 v16, v4
.LBB210_49:                             ;   in Loop: Header=BB210_50 Depth=1
	s_or_b32 exec_lo, exec_lo, s0
	v_max_num_f32_e64 v4, |v8|, |v8|
	v_frexp_exp_i32_f32_e32 v21, v27
	v_frexp_mant_f32_e32 v27, v27
	v_max_num_f32_e64 v30, |v6|, |v6|
	v_max_num_f32_e64 v31, |v11|, |v11|
	v_min_num_f32_e32 v4, v4, v26
	v_frexp_exp_i32_f32_e32 v26, v25
	v_frexp_mant_f32_e32 v25, v25
	v_rcp_f32_e32 v27, v27
	v_min_num_f32_e32 v17, v30, v17
	v_frexp_mant_f32_e32 v32, v4
	v_frexp_exp_i32_f32_e32 v4, v4
	v_rcp_f32_e32 v25, v25
	v_frexp_exp_i32_f32_e32 v33, v15
	v_frexp_mant_f32_e32 v15, v15
	v_dual_mul_f32 v27, v32, v27 :: v_dual_min_num_f32 v13, v31, v13
	v_frexp_mant_f32_e32 v32, v17
	v_frexp_exp_i32_f32_e32 v17, v17
	v_sub_nc_u32_e32 v4, v4, v21
	v_max_num_f32_e64 v21, |v2|, |v2|
	v_rcp_f32_e32 v15, v15
	s_delay_alu instid0(VALU_DEP_3) | instskip(NEXT) | instid1(VALU_DEP_3)
	v_dual_mul_f32 v25, v32, v25 :: v_dual_sub_nc_u32 v17, v17, v26
	v_ldexp_f32 v4, v27, v4
	v_frexp_mant_f32_e32 v27, v29
	v_min_num_f32_e32 v21, v21, v28
	v_frexp_exp_i32_f32_e32 v30, v29
	v_ldexp_f32 v17, v25, v17
	v_frexp_exp_i32_f32_e32 v25, v13
	v_frexp_mant_f32_e32 v13, v13
	v_rcp_f32_e32 v26, v27
	s_delay_alu instid0(VALU_DEP_3)
	v_dual_mul_f32 v29, v4, v4 :: v_dual_mul_f32 v31, v17, v17
	v_frexp_exp_i32_f32_e32 v28, v21
	v_frexp_mant_f32_e32 v21, v21
	v_mul_f32_e32 v13, v13, v15
	v_sub_nc_u32_e32 v15, v25, v33
	v_fmaak_f32 v27, s7, v29, 0xbc7a590c
	v_cmp_gt_f32_e32 vcc_lo, 0, v8
	v_mul_f32_e32 v21, v21, v26
	v_sub_nc_u32_e32 v26, v28, v30
	v_ldexp_f32 v13, v13, v15
	v_cmp_gt_i32_e64 s0, 0, v8
	v_cndmask_b32_e32 v32, 0x3f490fdb, v24, vcc_lo
	v_cmp_class_f32_e64 s9, v3, 0x204
	v_ldexp_f32 v21, v21, v26
	v_mul_f32_e32 v26, v13, v13
	v_cmp_class_f32_e64 s10, v8, 0x204
	v_cmp_gt_i32_e64 s1, 0, v6
	v_cmp_class_f32_e64 s11, v9, 0x204
	v_cmp_class_f32_e64 s12, v2, 0x204
	v_fmaak_f32 v28, s7, v26, 0xbc7a590c
	v_fmaak_f32 v27, v29, v27, 0x3d29fb3f
	v_add_nc_u64_e32 v[0:1], s[2:3], v[0:1]
	s_delay_alu instid0(VALU_DEP_3) | instskip(NEXT) | instid1(VALU_DEP_3)
	v_fmaak_f32 v28, v26, v28, 0x3d29fb3f
	v_fmaak_f32 v25, v29, v27, 0xbd97d4d7
	;; [unrolled: 1-line block ×3, first 2 shown]
	s_delay_alu instid0(VALU_DEP_3) | instskip(NEXT) | instid1(VALU_DEP_3)
	v_fmaak_f32 v28, v26, v28, 0xbd97d4d7
	v_fmaak_f32 v15, v29, v25, 0x3dd931b2
	s_delay_alu instid0(VALU_DEP_3) | instskip(NEXT) | instid1(VALU_DEP_3)
	v_fmaak_f32 v25, v31, v27, 0x3d29fb3f
	v_fmaak_f32 v28, v26, v28, 0x3dd931b2
	;; [unrolled: 3-line block ×3, first 2 shown]
	s_delay_alu instid0(VALU_DEP_2) | instskip(NEXT) | instid1(VALU_DEP_2)
	v_fmaak_f32 v15, v29, v15, 0x3e4cb8bf
	v_fmaak_f32 v25, v31, v25, 0x3dd931b2
	s_delay_alu instid0(VALU_DEP_2) | instskip(NEXT) | instid1(VALU_DEP_2)
	v_fmaak_f32 v15, v29, v15, 0xbeaaaa62
	v_fmaak_f32 v25, v31, v25, 0xbe1160e6
	s_delay_alu instid0(VALU_DEP_1) | instskip(NEXT) | instid1(VALU_DEP_1)
	v_fmaak_f32 v25, v31, v25, 0x3e4cb8bf
	v_fmaak_f32 v25, v31, v25, 0xbeaaaa62
	s_delay_alu instid0(VALU_DEP_4) | instskip(SKIP_2) | instid1(VALU_DEP_3)
	v_mul_f32_e32 v15, v29, v15
	v_cndmask_b32_e64 v29, 0, 0x40490fdb, s0
	v_cmp_gt_f32_e64 s0, |v3|, |v8|
	v_dual_mul_f32 v25, v31, v25 :: v_dual_fmac_f32 v4, v4, v15
	v_dual_mul_f32 v27, v21, v21 :: v_dual_fmaak_f32 v28, v26, v28, 0xbe1160e6
	v_cndmask_b32_e64 v31, 0, 0x40490fdb, s1
	s_delay_alu instid0(VALU_DEP_3) | instskip(SKIP_1) | instid1(VALU_DEP_4)
	v_fmac_f32_e32 v17, v17, v25
	v_cmp_class_f32_e64 s1, v6, 0x204
	v_fmaak_f32 v30, s7, v27, 0xbc7a590c
	v_fmaak_f32 v25, v26, v28, 0x3e4cb8bf
	s_delay_alu instid0(VALU_DEP_4) | instskip(NEXT) | instid1(VALU_DEP_3)
	v_sub_f32_e32 v33, 0x3fc90fdb, v17
	v_fmaak_f32 v30, v27, v30, 0x3d29fb3f
	s_delay_alu instid0(VALU_DEP_3) | instskip(NEXT) | instid1(VALU_DEP_2)
	v_fmaak_f32 v25, v26, v25, 0xbeaaaa62
	v_fmaak_f32 v15, v27, v30, 0xbd97d4d7
	s_delay_alu instid0(VALU_DEP_2) | instskip(NEXT) | instid1(VALU_DEP_2)
	v_dual_sub_f32 v30, 0x3fc90fdb, v4 :: v_dual_mul_f32 v25, v26, v25
	v_fmaak_f32 v15, v27, v15, 0x3dd931b2
	s_delay_alu instid0(VALU_DEP_2) | instskip(SKIP_1) | instid1(VALU_DEP_3)
	v_cndmask_b32_e64 v4, v4, v30, s0
	v_cmp_gt_f32_e64 s0, 0, v6
	v_fmaak_f32 v15, v27, v15, 0xbe1160e6
	s_delay_alu instid0(VALU_DEP_3) | instskip(NEXT) | instid1(VALU_DEP_3)
	v_sub_f32_e32 v28, 0x40490fdb, v4
	v_cndmask_b32_e64 v30, 0x3f490fdb, v24, s0
	s_delay_alu instid0(VALU_DEP_2) | instskip(SKIP_1) | instid1(VALU_DEP_2)
	v_dual_fmaak_f32 v15, v27, v15, 0x3e4cb8bf :: v_dual_cndmask_b32 v4, v4, v28
	v_cmp_gt_f32_e64 vcc_lo, |v9|, |v6|
	v_fmaak_f32 v15, v27, v15, 0xbeaaaa62
	v_cndmask_b32_e32 v17, v17, v33, vcc_lo
	v_cmp_eq_f32_e32 vcc_lo, 0, v3
	s_delay_alu instid0(VALU_DEP_2) | instskip(SKIP_2) | instid1(VALU_DEP_2)
	v_dual_mul_f32 v15, v27, v15 :: v_dual_sub_f32 v26, 0x40490fdb, v17
	v_cndmask_b32_e32 v4, v4, v29, vcc_lo
	s_and_b32 vcc_lo, s9, s10
	v_fmac_f32_e32 v21, v21, v15
	v_cmp_class_f32_e64 s9, v7, 0x204
	s_delay_alu instid0(VALU_DEP_3)
	v_dual_cndmask_b32 v17, v17, v26, s0 :: v_dual_cndmask_b32 v4, v4, v32, vcc_lo
	v_cmp_o_f32_e32 vcc_lo, v8, v3
	v_fmac_f32_e32 v13, v13, v25
	v_cmp_gt_f32_e64 s0, |v5|, |v2|
	v_cmp_class_f32_e64 s10, v11, 0x204
	v_cndmask_b32_e32 v4, 0x7fc00000, v4, vcc_lo
	v_cmp_eq_f32_e32 vcc_lo, 0, v9
	v_dual_sub_f32 v15, 0x3fc90fdb, v13 :: v_dual_cndmask_b32 v8, v17, v31
	v_cmp_gt_f32_e64 vcc_lo, |v7|, |v11|
	v_sub_f32_e32 v17, 0x3fc90fdb, v21
	s_delay_alu instid0(VALU_DEP_3) | instskip(SKIP_1) | instid1(VALU_DEP_3)
	v_cndmask_b32_e32 v13, v13, v15, vcc_lo
	v_cmp_gt_f32_e32 vcc_lo, 0, v11
	v_cndmask_b32_e64 v17, v21, v17, s0
	v_cmp_gt_i32_e64 s0, 0, v11
	s_delay_alu instid0(VALU_DEP_4) | instskip(SKIP_1) | instid1(VALU_DEP_4)
	v_sub_f32_e32 v21, 0x40490fdb, v13
	v_cndmask_b32_e32 v15, 0x3f490fdb, v24, vcc_lo
	v_sub_f32_e32 v26, 0x40490fdb, v17
	s_delay_alu instid0(VALU_DEP_4) | instskip(SKIP_3) | instid1(VALU_DEP_3)
	v_cndmask_b32_e64 v25, 0, 0x40490fdb, s0
	v_cmp_gt_f32_e64 s0, 0, v2
	v_cndmask_b32_e32 v13, v13, v21, vcc_lo
	v_cmp_gt_i32_e32 vcc_lo, 0, v2
	v_cndmask_b32_e64 v17, v17, v26, s0
	v_cndmask_b32_e64 v21, 0x3f490fdb, v24, s0
	v_cndmask_b32_e64 v27, 0, 0x40490fdb, vcc_lo
	v_cmp_eq_f32_e32 vcc_lo, 0, v7
	v_cmp_class_f32_e64 s0, v5, 0x204
	v_cndmask_b32_e32 v13, v13, v25, vcc_lo
	v_cmp_eq_f32_e32 vcc_lo, 0, v5
	v_cndmask_b32_e32 v17, v17, v27, vcc_lo
	s_and_b32 vcc_lo, s11, s1
	v_lshlrev_b64_e32 v[26:27], 2, v[0:1]
	v_cndmask_b32_e32 v8, v8, v30, vcc_lo
	s_and_b32 vcc_lo, s9, s10
	v_cndmask_b32_e32 v13, v13, v15, vcc_lo
	s_and_b32 vcc_lo, s0, s12
	v_cndmask_b32_e32 v15, v17, v21, vcc_lo
	v_cmp_o_f32_e32 vcc_lo, v6, v9
	v_cndmask_b32_e32 v6, 0x7fc00000, v8, vcc_lo
	v_cmp_o_f32_e32 vcc_lo, v11, v7
	;; [unrolled: 2-line block ×3, first 2 shown]
	s_delay_alu instid0(VALU_DEP_4) | instskip(NEXT) | instid1(VALU_DEP_3)
	v_bfi_b32 v13, 0x7fffffff, v6, v9
	v_bfi_b32 v11, 0x7fffffff, v8, v7
	v_cndmask_b32_e32 v2, 0x7fc00000, v15, vcc_lo
	v_bfi_b32 v15, 0x7fffffff, v4, v3
	v_cmp_ge_i64_e32 vcc_lo, v[26:27], v[18:19]
	s_delay_alu instid0(VALU_DEP_3)
	v_bfi_b32 v17, 0x7fffffff, v2, v5
	s_clause 0x1
	global_store_b128 v[22:23], v[10:13], off
	global_store_b128 v[22:23], v[14:17], off offset:16
	s_wait_xcnt 0x0
	v_add_nc_u64_e32 v[22:23], s[4:5], v[22:23]
	s_or_b32 s8, vcc_lo, s8
	s_delay_alu instid0(SALU_CYCLE_1)
	s_and_not1_b32 exec_lo, exec_lo, s8
	s_cbranch_execz .LBB210_73
.LBB210_50:                             ; =>This Inner Loop Header: Depth=1
	s_clause 0x1
	global_load_b128 v[6:9], v[22:23], off
	global_load_b128 v[2:5], v[22:23], off offset:16
	s_wait_loadcnt 0x1
	v_max_num_f32_e64 v10, |v6|, |v6|
	v_max_num_f32_e64 v13, |v7|, |v7|
	s_delay_alu instid0(VALU_DEP_1) | instskip(NEXT) | instid1(VALU_DEP_1)
	v_max_num_f32_e32 v12, v10, v13
	v_cvt_f64_f32_e32 v[10:11], v12
	s_delay_alu instid0(VALU_DEP_1) | instskip(NEXT) | instid1(VALU_DEP_1)
	v_frexp_exp_i32_f64_e32 v10, v[10:11]
	v_sub_nc_u32_e32 v11, 0, v10
	v_cmp_eq_f32_e32 vcc_lo, 0x7f800000, v12
	s_delay_alu instid0(VALU_DEP_2) | instskip(SKIP_1) | instid1(VALU_DEP_2)
	v_ldexp_f32 v14, |v7|, v11
	v_ldexp_f32 v11, |v6|, v11
	v_mul_f32_e32 v14, v14, v14
	s_delay_alu instid0(VALU_DEP_1) | instskip(NEXT) | instid1(VALU_DEP_1)
	v_fmac_f32_e32 v14, v11, v11
	v_sqrt_f32_e32 v11, v14
	v_nop
	s_delay_alu instid0(TRANS32_DEP_1) | instskip(SKIP_1) | instid1(VALU_DEP_2)
	v_ldexp_f32 v10, v11, v10
	v_add_f32_e32 v11, 1.0, v6
	v_cmp_ngt_f32_e64 s0, 0.5, v10
	s_delay_alu instid0(VALU_DEP_2) | instskip(SKIP_3) | instid1(SALU_CYCLE_1)
	v_max_num_f32_e64 v15, |v11|, v13
                                        ; implicit-def: $vgpr10
	s_or_b32 s0, vcc_lo, s0
	s_wait_xcnt 0x0
	s_and_saveexec_b32 s1, s0
	s_xor_b32 s1, exec_lo, s1
	s_cbranch_execz .LBB210_52
; %bb.51:                               ;   in Loop: Header=BB210_50 Depth=1
	v_cvt_f64_f32_e32 v[16:17], v15
	v_cmp_neq_f32_e32 vcc_lo, 0x7f800000, v15
	s_delay_alu instid0(VALU_DEP_2) | instskip(NEXT) | instid1(VALU_DEP_1)
	v_frexp_exp_i32_f64_e32 v10, v[16:17]
	v_sub_nc_u32_e32 v12, 0, v10
	s_delay_alu instid0(VALU_DEP_1) | instskip(SKIP_1) | instid1(VALU_DEP_2)
	v_ldexp_f32 v14, |v7|, v12
	v_ldexp_f32 v12, |v11|, v12
	v_mul_f32_e32 v14, v14, v14
	s_delay_alu instid0(VALU_DEP_1) | instskip(NEXT) | instid1(VALU_DEP_1)
	v_fmac_f32_e32 v14, v12, v12
	v_sqrt_f32_e32 v12, v14
	v_nop
	s_delay_alu instid0(TRANS32_DEP_1) | instskip(NEXT) | instid1(VALU_DEP_1)
	v_ldexp_f32 v10, v12, v10
	v_cndmask_b32_e32 v10, 0x7f800000, v10, vcc_lo
	s_delay_alu instid0(VALU_DEP_1) | instskip(SKIP_1) | instid1(VALU_DEP_1)
	v_cmp_gt_f32_e32 vcc_lo, 0x800000, v10
	v_cndmask_b32_e64 v12, 0, 32, vcc_lo
	v_ldexp_f32 v10, v10, v12
	s_delay_alu instid0(VALU_DEP_1) | instskip(SKIP_1) | instid1(TRANS32_DEP_1)
	v_log_f32_e32 v10, v10
	v_nop
	v_mul_f32_e32 v12, 0x3f317217, v10
	v_cmp_gt_f32_e64 s0, 0x7f800000, |v10|
	s_delay_alu instid0(VALU_DEP_2) | instskip(NEXT) | instid1(VALU_DEP_1)
	v_fma_f32 v12, 0x3f317217, v10, -v12
	v_fmac_f32_e32 v12, 0x3377d1cf, v10
	s_delay_alu instid0(VALU_DEP_1) | instskip(NEXT) | instid1(VALU_DEP_1)
	v_fmac_f32_e32 v12, 0x3f317217, v10
	v_cndmask_b32_e64 v10, v10, v12, s0
	v_cndmask_b32_e64 v12, 0, 0x41b17218, vcc_lo
	s_delay_alu instid0(VALU_DEP_1)
	v_sub_f32_e32 v10, v10, v12
.LBB210_52:                             ;   in Loop: Header=BB210_50 Depth=1
	s_and_not1_saveexec_b32 s0, s1
	s_cbranch_execz .LBB210_56
; %bb.53:                               ;   in Loop: Header=BB210_50 Depth=1
	v_dual_add_f32 v16, 2.0, v6 :: v_dual_mov_b32 v17, v7
	s_mov_b32 s1, exec_lo
	s_delay_alu instid0(VALU_DEP_1) | instskip(NEXT) | instid1(VALU_DEP_1)
	v_pk_mul_f32 v[16:17], v[6:7], v[16:17]
	v_add_f32_e32 v10, v17, v16
	s_delay_alu instid0(VALU_DEP_1)
	v_cmpx_neq_f32_e32 0, v10
	s_cbranch_execz .LBB210_55
; %bb.54:                               ;   in Loop: Header=BB210_50 Depth=1
	v_add_f32_e32 v6, 1.0, v10
	s_delay_alu instid0(VALU_DEP_1) | instskip(SKIP_1) | instid1(VALU_DEP_1)
	v_cvt_f64_f32_e32 v[16:17], v6
	v_frexp_mant_f32_e32 v14, v6
	v_cmp_gt_f32_e32 vcc_lo, 0x3f2aaaab, v14
	s_delay_alu instid0(VALU_DEP_3) | instskip(NEXT) | instid1(VALU_DEP_1)
	v_frexp_exp_i32_f64_e32 v12, v[16:17]
	v_subrev_co_ci_u32_e64 v12, null, 0, v12, vcc_lo
	v_cmp_neq_f32_e32 vcc_lo, 0x7f800000, v10
	s_delay_alu instid0(VALU_DEP_2) | instskip(NEXT) | instid1(VALU_DEP_1)
	v_dual_sub_nc_u32 v16, 0, v12 :: v_dual_add_f32 v14, -1.0, v6
	v_sub_f32_e32 v17, v14, v6
	s_delay_alu instid0(VALU_DEP_2) | instskip(NEXT) | instid1(VALU_DEP_1)
	v_ldexp_f32 v6, v6, v16
	v_dual_add_f32 v21, 1.0, v6 :: v_dual_add_f32 v17, 1.0, v17
	v_sub_f32_e32 v14, v10, v14
	s_delay_alu instid0(VALU_DEP_1) | instskip(NEXT) | instid1(VALU_DEP_3)
	v_dual_add_f32 v25, -1.0, v6 :: v_dual_add_f32 v14, v14, v17
	v_add_f32_e32 v17, -1.0, v21
	s_delay_alu instid0(VALU_DEP_2) | instskip(NEXT) | instid1(VALU_DEP_2)
	v_ldexp_f32 v14, v14, v16
	v_sub_f32_e32 v16, v6, v17
	s_delay_alu instid0(VALU_DEP_4) | instskip(NEXT) | instid1(VALU_DEP_1)
	v_add_f32_e32 v17, 1.0, v25
	v_sub_f32_e32 v6, v6, v17
	s_delay_alu instid0(VALU_DEP_1) | instskip(NEXT) | instid1(VALU_DEP_1)
	v_dual_add_f32 v16, v14, v16 :: v_dual_add_f32 v6, v14, v6
	v_add_f32_e32 v30, v21, v16
	s_delay_alu instid0(VALU_DEP_1) | instskip(SKIP_1) | instid1(VALU_DEP_1)
	v_dual_add_f32 v17, v25, v6 :: v_dual_sub_f32 v21, v30, v21
	v_rcp_f32_e32 v14, v30
	v_sub_f32_e32 v25, v17, v25
	s_delay_alu instid0(TRANS32_DEP_1) | instskip(NEXT) | instid1(VALU_DEP_2)
	v_dual_sub_f32 v21, v16, v21 :: v_dual_mul_f32 v31, v17, v14
	v_sub_f32_e32 v6, v6, v25
	s_delay_alu instid0(VALU_DEP_2) | instskip(NEXT) | instid1(VALU_DEP_1)
	v_mul_f32_e32 v26, v30, v31
	v_fma_f32 v28, v31, v30, -v26
	s_delay_alu instid0(VALU_DEP_1) | instskip(NEXT) | instid1(VALU_DEP_1)
	v_fmac_f32_e32 v28, v31, v21
	v_add_f32_e32 v16, v26, v28
	s_delay_alu instid0(VALU_DEP_1) | instskip(NEXT) | instid1(VALU_DEP_1)
	v_dual_sub_f32 v27, v17, v16 :: v_dual_mov_b32 v29, v16
	v_pk_add_f32 v[16:17], v[16:17], v[26:27] neg_lo:[0,1] neg_hi:[0,1]
	s_delay_alu instid0(VALU_DEP_1) | instskip(NEXT) | instid1(VALU_DEP_1)
	v_pk_add_f32 v[16:17], v[16:17], v[28:29] neg_lo:[0,1] neg_hi:[0,1]
	v_add_f32_e32 v6, v6, v17
	s_delay_alu instid0(VALU_DEP_1) | instskip(NEXT) | instid1(VALU_DEP_1)
	v_add_f32_e32 v6, v16, v6
	v_add_f32_e32 v17, v27, v6
	s_delay_alu instid0(VALU_DEP_1) | instskip(NEXT) | instid1(VALU_DEP_1)
	v_mul_f32_e32 v25, v14, v17
	v_mul_f32_e32 v28, v30, v25
	s_delay_alu instid0(VALU_DEP_1) | instskip(NEXT) | instid1(VALU_DEP_1)
	v_fma_f32 v26, v25, v30, -v28
	v_fmac_f32_e32 v26, v25, v21
	s_delay_alu instid0(VALU_DEP_1) | instskip(NEXT) | instid1(VALU_DEP_1)
	v_dual_sub_f32 v21, v27, v17 :: v_dual_add_f32 v16, v28, v26
	v_dual_add_f32 v6, v6, v21 :: v_dual_sub_f32 v29, v17, v16
	v_mov_b32_e32 v27, v16
	s_delay_alu instid0(VALU_DEP_2) | instskip(NEXT) | instid1(VALU_DEP_1)
	v_pk_add_f32 v[16:17], v[16:17], v[28:29] neg_lo:[0,1] neg_hi:[0,1]
	v_pk_add_f32 v[16:17], v[16:17], v[26:27] neg_lo:[0,1] neg_hi:[0,1]
	s_delay_alu instid0(VALU_DEP_1) | instskip(NEXT) | instid1(VALU_DEP_1)
	v_add_f32_e32 v6, v6, v17
	v_dual_add_f32 v30, v31, v25 :: v_dual_add_f32 v6, v16, v6
	s_delay_alu instid0(VALU_DEP_1) | instskip(NEXT) | instid1(VALU_DEP_1)
	v_dual_sub_f32 v16, v30, v31 :: v_dual_add_f32 v6, v29, v6
	v_dual_sub_f32 v16, v25, v16 :: v_dual_mul_f32 v6, v14, v6
	s_delay_alu instid0(VALU_DEP_1) | instskip(SKIP_1) | instid1(VALU_DEP_2)
	v_add_f32_e32 v6, v16, v6
	v_cvt_f32_i32_e32 v16, v12
	v_add_f32_e32 v14, v30, v6
	s_delay_alu instid0(VALU_DEP_1) | instskip(NEXT) | instid1(VALU_DEP_1)
	v_mul_f32_e32 v21, v14, v14
	v_fmaak_f32 v25, s6, v21, 0x3ecc95a3
	v_mul_f32_e32 v17, v14, v21
	s_delay_alu instid0(VALU_DEP_2) | instskip(SKIP_1) | instid1(VALU_DEP_2)
	v_fmaak_f32 v21, v21, v25, 0x3f2aaada
	v_ldexp_f32 v29, v14, 1
	v_pk_mul_f32 v[26:27], v[16:17], v[20:21]
	s_delay_alu instid0(VALU_DEP_1) | instskip(NEXT) | instid1(VALU_DEP_1)
	v_fma_f32 v28, 0x3f317218, v16, -v26
	v_fmac_f32_e32 v28, 0xb102e308, v16
	s_delay_alu instid0(VALU_DEP_1) | instskip(SKIP_1) | instid1(VALU_DEP_2)
	v_pk_add_f32 v[16:17], v[26:27], v[28:29]
	v_sub_f32_e32 v12, v14, v30
	v_dual_mov_b32 v30, v26 :: v_dual_mov_b32 v38, v17
	s_delay_alu instid0(VALU_DEP_2) | instskip(NEXT) | instid1(VALU_DEP_4)
	v_dual_sub_f32 v6, v6, v12 :: v_dual_sub_f32 v12, v17, v29
	v_mov_b32_e32 v29, v16
	s_delay_alu instid0(VALU_DEP_2) | instskip(NEXT) | instid1(VALU_DEP_3)
	v_ldexp_f32 v6, v6, 1
	v_sub_f32_e32 v12, v27, v12
	v_pk_add_f32 v[26:27], v[16:17], v[26:27] neg_lo:[0,1] neg_hi:[0,1]
	s_delay_alu instid0(VALU_DEP_2) | instskip(NEXT) | instid1(VALU_DEP_1)
	v_add_f32_e32 v31, v6, v12
	v_pk_add_f32 v[32:33], v[16:17], v[30:31]
	s_delay_alu instid0(VALU_DEP_1) | instskip(NEXT) | instid1(VALU_DEP_1)
	v_mov_b32_e32 v27, v33
	v_pk_add_f32 v[34:35], v[28:29], v[26:27]
	v_pk_add_f32 v[26:27], v[28:29], v[26:27] neg_lo:[0,1] neg_hi:[0,1]
	s_delay_alu instid0(VALU_DEP_2) | instskip(NEXT) | instid1(VALU_DEP_1)
	v_dual_mov_b32 v6, v35 :: v_dual_mov_b32 v27, v35
	v_pk_add_f32 v[36:37], v[6:7], v[16:17] neg_lo:[0,1] neg_hi:[0,1]
	v_dual_mov_b32 v34, v33 :: v_dual_mov_b32 v17, v16
	s_delay_alu instid0(VALU_DEP_2) | instskip(SKIP_1) | instid1(VALU_DEP_2)
	v_dual_mov_b32 v16, v31 :: v_dual_mov_b32 v39, v36
	v_mov_b32_e32 v21, v36
	v_pk_add_f32 v[30:31], v[34:35], v[38:39] neg_lo:[0,1] neg_hi:[0,1]
	s_delay_alu instid0(VALU_DEP_2) | instskip(SKIP_1) | instid1(VALU_DEP_3)
	v_pk_add_f32 v[28:29], v[32:33], v[20:21] neg_lo:[0,1] neg_hi:[0,1]
	v_mov_b32_e32 v28, v26
	v_pk_add_f32 v[16:17], v[16:17], v[30:31] neg_lo:[0,1] neg_hi:[0,1]
	s_delay_alu instid0(VALU_DEP_1) | instskip(NEXT) | instid1(VALU_DEP_1)
	v_pk_add_f32 v[28:29], v[28:29], v[16:17]
	v_mov_b32_e32 v12, v29
	s_delay_alu instid0(VALU_DEP_1) | instskip(NEXT) | instid1(VALU_DEP_1)
	v_pk_add_f32 v[30:31], v[28:29], v[12:13]
	v_pk_add_f32 v[32:33], v[6:7], v[30:31]
	s_delay_alu instid0(VALU_DEP_1) | instskip(NEXT) | instid1(VALU_DEP_1)
	v_dual_mov_b32 v17, v30 :: v_dual_mov_b32 v29, v32
	v_pk_add_f32 v[34:35], v[28:29], v[26:27] neg_lo:[0,1] neg_hi:[0,1]
	s_delay_alu instid0(VALU_DEP_1) | instskip(NEXT) | instid1(VALU_DEP_2)
	v_sub_f32_e32 v6, v28, v34
	v_pk_add_f32 v[16:17], v[16:17], v[34:35] neg_lo:[0,1] neg_hi:[0,1]
	s_delay_alu instid0(VALU_DEP_2) | instskip(NEXT) | instid1(VALU_DEP_1)
	v_sub_f32_e32 v6, v26, v6
	v_add_f32_e32 v6, v16, v6
	s_delay_alu instid0(VALU_DEP_1) | instskip(NEXT) | instid1(VALU_DEP_1)
	v_add_f32_e32 v6, v6, v17
	v_add_f32_e32 v6, v32, v6
	s_delay_alu instid0(VALU_DEP_1) | instskip(SKIP_1) | instid1(VALU_DEP_2)
	v_cndmask_b32_e32 v6, 0x7f800000, v6, vcc_lo
	v_cmp_ngt_f32_e32 vcc_lo, -1.0, v10
	v_cndmask_b32_e32 v6, 0x7fc00000, v6, vcc_lo
	v_cmp_neq_f32_e32 vcc_lo, -1.0, v10
	s_delay_alu instid0(VALU_DEP_2) | instskip(SKIP_1) | instid1(VALU_DEP_2)
	v_cndmask_b32_e32 v6, 0xff800000, v6, vcc_lo
	v_cmp_gt_f32_e64 vcc_lo, 0x33800000, |v10|
	v_cndmask_b32_e32 v6, v6, v10, vcc_lo
	s_delay_alu instid0(VALU_DEP_1)
	v_mul_f32_e32 v6, 0.5, v6
.LBB210_55:                             ;   in Loop: Header=BB210_50 Depth=1
	s_or_b32 exec_lo, exec_lo, s1
	s_delay_alu instid0(VALU_DEP_1)
	v_mov_b32_e32 v10, v6
.LBB210_56:                             ;   in Loop: Header=BB210_50 Depth=1
	s_or_b32 exec_lo, exec_lo, s0
	v_max_num_f32_e64 v6, |v8|, |v8|
	v_max_num_f32_e64 v17, |v9|, |v9|
	s_delay_alu instid0(VALU_DEP_1) | instskip(NEXT) | instid1(VALU_DEP_1)
	v_max_num_f32_e32 v12, v6, v17
	v_cvt_f64_f32_e32 v[26:27], v12
	s_delay_alu instid0(VALU_DEP_1) | instskip(NEXT) | instid1(VALU_DEP_1)
	v_frexp_exp_i32_f64_e32 v6, v[26:27]
	v_sub_nc_u32_e32 v14, 0, v6
	v_cmp_eq_f32_e32 vcc_lo, 0x7f800000, v12
	s_delay_alu instid0(VALU_DEP_2) | instskip(SKIP_1) | instid1(VALU_DEP_2)
	v_ldexp_f32 v16, |v9|, v14
	v_ldexp_f32 v14, |v8|, v14
	v_mul_f32_e32 v16, v16, v16
	s_delay_alu instid0(VALU_DEP_1) | instskip(NEXT) | instid1(VALU_DEP_1)
	v_fmac_f32_e32 v16, v14, v14
	v_sqrt_f32_e32 v14, v16
	v_nop
	s_delay_alu instid0(TRANS32_DEP_1) | instskip(SKIP_1) | instid1(VALU_DEP_2)
	v_ldexp_f32 v14, v14, v6
	v_add_f32_e32 v6, 1.0, v8
	v_cmp_ngt_f32_e64 s0, 0.5, v14
	s_delay_alu instid0(VALU_DEP_2) | instskip(SKIP_1) | instid1(SALU_CYCLE_1)
	v_max_num_f32_e64 v25, |v6|, v17
	s_or_b32 s0, vcc_lo, s0
	s_and_saveexec_b32 s1, s0
	s_delay_alu instid0(SALU_CYCLE_1)
	s_xor_b32 s1, exec_lo, s1
	s_cbranch_execz .LBB210_58
; %bb.57:                               ;   in Loop: Header=BB210_50 Depth=1
	v_cvt_f64_f32_e32 v[26:27], v25
	v_cmp_neq_f32_e32 vcc_lo, 0x7f800000, v25
	s_delay_alu instid0(VALU_DEP_2) | instskip(NEXT) | instid1(VALU_DEP_1)
	v_frexp_exp_i32_f64_e32 v12, v[26:27]
	v_sub_nc_u32_e32 v14, 0, v12
	s_delay_alu instid0(VALU_DEP_1) | instskip(SKIP_1) | instid1(VALU_DEP_2)
	v_ldexp_f32 v16, |v9|, v14
	v_ldexp_f32 v14, |v6|, v14
	v_mul_f32_e32 v16, v16, v16
	s_delay_alu instid0(VALU_DEP_1) | instskip(NEXT) | instid1(VALU_DEP_1)
	v_fmac_f32_e32 v16, v14, v14
	v_sqrt_f32_e32 v14, v16
	v_nop
	s_delay_alu instid0(TRANS32_DEP_1) | instskip(NEXT) | instid1(VALU_DEP_1)
	v_ldexp_f32 v12, v14, v12
	v_cndmask_b32_e32 v12, 0x7f800000, v12, vcc_lo
	s_delay_alu instid0(VALU_DEP_1) | instskip(SKIP_1) | instid1(VALU_DEP_1)
	v_cmp_gt_f32_e32 vcc_lo, 0x800000, v12
	v_cndmask_b32_e64 v14, 0, 32, vcc_lo
	v_ldexp_f32 v12, v12, v14
	s_delay_alu instid0(VALU_DEP_1) | instskip(SKIP_1) | instid1(TRANS32_DEP_1)
	v_log_f32_e32 v12, v12
	v_nop
	v_mul_f32_e32 v14, 0x3f317217, v12
	v_cmp_gt_f32_e64 s0, 0x7f800000, |v12|
	s_delay_alu instid0(VALU_DEP_2) | instskip(NEXT) | instid1(VALU_DEP_1)
	v_fma_f32 v14, 0x3f317217, v12, -v14
	v_fmac_f32_e32 v14, 0x3377d1cf, v12
	s_delay_alu instid0(VALU_DEP_1) | instskip(NEXT) | instid1(VALU_DEP_1)
	v_fmac_f32_e32 v14, 0x3f317217, v12
	v_cndmask_b32_e64 v12, v12, v14, s0
	v_cndmask_b32_e64 v14, 0, 0x41b17218, vcc_lo
	s_delay_alu instid0(VALU_DEP_1)
	v_sub_f32_e32 v12, v12, v14
.LBB210_58:                             ;   in Loop: Header=BB210_50 Depth=1
	s_and_not1_saveexec_b32 s0, s1
	s_cbranch_execz .LBB210_62
; %bb.59:                               ;   in Loop: Header=BB210_50 Depth=1
	v_dual_add_f32 v26, 2.0, v8 :: v_dual_mov_b32 v27, v9
	s_mov_b32 s1, exec_lo
	s_delay_alu instid0(VALU_DEP_1) | instskip(NEXT) | instid1(VALU_DEP_1)
	v_pk_mul_f32 v[26:27], v[8:9], v[26:27]
	v_add_f32_e32 v12, v27, v26
	s_delay_alu instid0(VALU_DEP_1)
	v_cmpx_neq_f32_e32 0, v12
	s_cbranch_execz .LBB210_61
; %bb.60:                               ;   in Loop: Header=BB210_50 Depth=1
	v_add_f32_e32 v8, 1.0, v12
	s_delay_alu instid0(VALU_DEP_1) | instskip(SKIP_1) | instid1(VALU_DEP_1)
	v_cvt_f64_f32_e32 v[26:27], v8
	v_frexp_mant_f32_e32 v16, v8
	v_cmp_gt_f32_e32 vcc_lo, 0x3f2aaaab, v16
	s_delay_alu instid0(VALU_DEP_3) | instskip(NEXT) | instid1(VALU_DEP_1)
	v_frexp_exp_i32_f64_e32 v14, v[26:27]
	v_subrev_co_ci_u32_e64 v14, null, 0, v14, vcc_lo
	v_cmp_neq_f32_e32 vcc_lo, 0x7f800000, v12
	s_delay_alu instid0(VALU_DEP_2) | instskip(NEXT) | instid1(VALU_DEP_1)
	v_dual_add_f32 v16, -1.0, v8 :: v_dual_sub_nc_u32 v21, 0, v14
	v_sub_f32_e32 v26, v16, v8
	s_delay_alu instid0(VALU_DEP_2) | instskip(NEXT) | instid1(VALU_DEP_1)
	v_ldexp_f32 v8, v8, v21
	v_dual_add_f32 v28, 1.0, v8 :: v_dual_add_f32 v26, 1.0, v26
	v_add_f32_e32 v31, -1.0, v8
	v_sub_f32_e32 v16, v12, v16
	s_delay_alu instid0(VALU_DEP_1) | instskip(NEXT) | instid1(VALU_DEP_1)
	v_dual_add_f32 v16, v16, v26 :: v_dual_add_f32 v26, -1.0, v28
	v_ldexp_f32 v16, v16, v21
	s_delay_alu instid0(VALU_DEP_2) | instskip(NEXT) | instid1(VALU_DEP_1)
	v_dual_sub_f32 v21, v8, v26 :: v_dual_add_f32 v26, 1.0, v31
	v_sub_f32_e32 v8, v8, v26
	s_delay_alu instid0(VALU_DEP_1) | instskip(NEXT) | instid1(VALU_DEP_1)
	v_dual_add_f32 v21, v16, v21 :: v_dual_add_f32 v8, v16, v8
	v_dual_add_f32 v32, v28, v21 :: v_dual_add_f32 v27, v31, v8
	s_delay_alu instid0(VALU_DEP_1) | instskip(SKIP_1) | instid1(TRANS32_DEP_1)
	v_rcp_f32_e32 v16, v32
	v_nop
	v_dual_sub_f32 v34, v27, v31 :: v_dual_mul_f32 v33, v27, v16
	v_sub_f32_e32 v26, v32, v28
	s_delay_alu instid0(VALU_DEP_2) | instskip(NEXT) | instid1(VALU_DEP_2)
	v_sub_f32_e32 v8, v8, v34
	v_dual_mul_f32 v28, v32, v33 :: v_dual_sub_f32 v21, v21, v26
	s_delay_alu instid0(VALU_DEP_1) | instskip(NEXT) | instid1(VALU_DEP_1)
	v_fma_f32 v30, v33, v32, -v28
	v_fmac_f32_e32 v30, v33, v21
	s_delay_alu instid0(VALU_DEP_1) | instskip(NEXT) | instid1(VALU_DEP_1)
	v_add_f32_e32 v26, v28, v30
	v_dual_sub_f32 v29, v27, v26 :: v_dual_mov_b32 v31, v26
	s_delay_alu instid0(VALU_DEP_1) | instskip(NEXT) | instid1(VALU_DEP_1)
	v_pk_add_f32 v[26:27], v[26:27], v[28:29] neg_lo:[0,1] neg_hi:[0,1]
	v_pk_add_f32 v[26:27], v[26:27], v[30:31] neg_lo:[0,1] neg_hi:[0,1]
	s_delay_alu instid0(VALU_DEP_1) | instskip(NEXT) | instid1(VALU_DEP_1)
	v_add_f32_e32 v8, v8, v27
	v_add_f32_e32 v8, v26, v8
	s_delay_alu instid0(VALU_DEP_1) | instskip(NEXT) | instid1(VALU_DEP_1)
	v_add_f32_e32 v27, v29, v8
	v_mul_f32_e32 v34, v16, v27
	s_delay_alu instid0(VALU_DEP_1) | instskip(NEXT) | instid1(VALU_DEP_1)
	v_mul_f32_e32 v30, v32, v34
	v_dual_fma_f32 v28, v34, v32, -v30 :: v_dual_add_f32 v32, v33, v34
	s_delay_alu instid0(VALU_DEP_1) | instskip(NEXT) | instid1(VALU_DEP_1)
	v_dual_fmac_f32 v28, v34, v21 :: v_dual_sub_f32 v21, v29, v27
	v_dual_add_f32 v26, v30, v28 :: v_dual_add_f32 v8, v8, v21
	s_delay_alu instid0(VALU_DEP_1) | instskip(SKIP_1) | instid1(VALU_DEP_2)
	v_dual_sub_f32 v21, v32, v33 :: v_dual_sub_f32 v31, v27, v26
	v_mov_b32_e32 v29, v26
	v_sub_f32_e32 v21, v34, v21
	s_delay_alu instid0(VALU_DEP_3) | instskip(NEXT) | instid1(VALU_DEP_1)
	v_pk_add_f32 v[26:27], v[26:27], v[30:31] neg_lo:[0,1] neg_hi:[0,1]
	v_pk_add_f32 v[26:27], v[26:27], v[28:29] neg_lo:[0,1] neg_hi:[0,1]
	s_delay_alu instid0(VALU_DEP_1) | instskip(NEXT) | instid1(VALU_DEP_1)
	v_add_f32_e32 v8, v8, v27
	v_add_f32_e32 v8, v26, v8
	v_cvt_f32_i32_e32 v26, v14
	s_delay_alu instid0(VALU_DEP_2) | instskip(NEXT) | instid1(VALU_DEP_1)
	v_add_f32_e32 v8, v31, v8
	v_mul_f32_e32 v8, v16, v8
	s_delay_alu instid0(VALU_DEP_1) | instskip(NEXT) | instid1(VALU_DEP_1)
	v_add_f32_e32 v8, v21, v8
	v_add_f32_e32 v16, v32, v8
	s_delay_alu instid0(VALU_DEP_1) | instskip(SKIP_2) | instid1(VALU_DEP_3)
	v_sub_f32_e32 v14, v16, v32
	v_mul_f32_e32 v21, v16, v16
	v_ldexp_f32 v31, v16, 1
	v_sub_f32_e32 v8, v8, v14
	s_delay_alu instid0(VALU_DEP_3) | instskip(NEXT) | instid1(VALU_DEP_2)
	v_mul_f32_e32 v27, v16, v21
	v_ldexp_f32 v8, v8, 1
	v_fmaak_f32 v28, s6, v21, 0x3ecc95a3
	s_delay_alu instid0(VALU_DEP_1) | instskip(NEXT) | instid1(VALU_DEP_1)
	v_fmaak_f32 v21, v21, v28, 0x3f2aaada
	v_pk_mul_f32 v[28:29], v[26:27], v[20:21]
	s_delay_alu instid0(VALU_DEP_1) | instskip(SKIP_1) | instid1(VALU_DEP_2)
	v_fma_f32 v30, 0x3f317218, v26, -v28
	v_mov_b32_e32 v32, v28
	v_fmac_f32_e32 v30, 0xb102e308, v26
	s_delay_alu instid0(VALU_DEP_1) | instskip(NEXT) | instid1(VALU_DEP_1)
	v_pk_add_f32 v[26:27], v[28:29], v[30:31]
	v_dual_sub_f32 v14, v27, v31 :: v_dual_mov_b32 v31, v26
	s_delay_alu instid0(VALU_DEP_1) | instskip(SKIP_1) | instid1(VALU_DEP_2)
	v_dual_mov_b32 v40, v27 :: v_dual_sub_f32 v14, v29, v14
	v_pk_add_f32 v[28:29], v[26:27], v[28:29] neg_lo:[0,1] neg_hi:[0,1]
	v_add_f32_e32 v33, v8, v14
	s_delay_alu instid0(VALU_DEP_1) | instskip(NEXT) | instid1(VALU_DEP_1)
	v_pk_add_f32 v[34:35], v[26:27], v[32:33]
	v_mov_b32_e32 v29, v35
	s_delay_alu instid0(VALU_DEP_1) | instskip(SKIP_1) | instid1(VALU_DEP_2)
	v_pk_add_f32 v[36:37], v[30:31], v[28:29]
	v_pk_add_f32 v[28:29], v[30:31], v[28:29] neg_lo:[0,1] neg_hi:[0,1]
	v_dual_mov_b32 v8, v37 :: v_dual_mov_b32 v29, v37
	s_delay_alu instid0(VALU_DEP_1) | instskip(SKIP_1) | instid1(VALU_DEP_2)
	v_pk_add_f32 v[38:39], v[8:9], v[26:27] neg_lo:[0,1] neg_hi:[0,1]
	v_dual_mov_b32 v36, v35 :: v_dual_mov_b32 v27, v26
	v_dual_mov_b32 v26, v33 :: v_dual_mov_b32 v41, v38
	v_mov_b32_e32 v21, v38
	s_delay_alu instid0(VALU_DEP_2) | instskip(NEXT) | instid1(VALU_DEP_2)
	v_pk_add_f32 v[32:33], v[36:37], v[40:41] neg_lo:[0,1] neg_hi:[0,1]
	v_pk_add_f32 v[30:31], v[34:35], v[20:21] neg_lo:[0,1] neg_hi:[0,1]
	v_mov_b32_e32 v30, v28
	s_delay_alu instid0(VALU_DEP_3) | instskip(NEXT) | instid1(VALU_DEP_1)
	v_pk_add_f32 v[26:27], v[26:27], v[32:33] neg_lo:[0,1] neg_hi:[0,1]
	v_pk_add_f32 v[30:31], v[30:31], v[26:27]
	s_delay_alu instid0(VALU_DEP_1) | instskip(NEXT) | instid1(VALU_DEP_1)
	v_mov_b32_e32 v14, v31
	v_pk_add_f32 v[32:33], v[30:31], v[14:15]
	s_delay_alu instid0(VALU_DEP_1) | instskip(NEXT) | instid1(VALU_DEP_1)
	v_pk_add_f32 v[34:35], v[8:9], v[32:33]
	v_dual_mov_b32 v27, v32 :: v_dual_mov_b32 v31, v34
	s_delay_alu instid0(VALU_DEP_1) | instskip(NEXT) | instid1(VALU_DEP_1)
	v_pk_add_f32 v[36:37], v[30:31], v[28:29] neg_lo:[0,1] neg_hi:[0,1]
	v_sub_f32_e32 v8, v30, v36
	s_delay_alu instid0(VALU_DEP_2) | instskip(NEXT) | instid1(VALU_DEP_2)
	v_pk_add_f32 v[26:27], v[26:27], v[36:37] neg_lo:[0,1] neg_hi:[0,1]
	v_sub_f32_e32 v8, v28, v8
	s_delay_alu instid0(VALU_DEP_1) | instskip(NEXT) | instid1(VALU_DEP_1)
	v_add_f32_e32 v8, v26, v8
	v_add_f32_e32 v8, v8, v27
	s_delay_alu instid0(VALU_DEP_1) | instskip(NEXT) | instid1(VALU_DEP_1)
	v_add_f32_e32 v8, v34, v8
	v_cndmask_b32_e32 v8, 0x7f800000, v8, vcc_lo
	v_cmp_ngt_f32_e32 vcc_lo, -1.0, v12
	s_delay_alu instid0(VALU_DEP_2) | instskip(SKIP_1) | instid1(VALU_DEP_2)
	v_cndmask_b32_e32 v8, 0x7fc00000, v8, vcc_lo
	v_cmp_neq_f32_e32 vcc_lo, -1.0, v12
	v_cndmask_b32_e32 v8, 0xff800000, v8, vcc_lo
	v_cmp_gt_f32_e64 vcc_lo, 0x33800000, |v12|
	s_delay_alu instid0(VALU_DEP_2) | instskip(NEXT) | instid1(VALU_DEP_1)
	v_cndmask_b32_e32 v8, v8, v12, vcc_lo
	v_mul_f32_e32 v8, 0.5, v8
.LBB210_61:                             ;   in Loop: Header=BB210_50 Depth=1
	s_or_b32 exec_lo, exec_lo, s1
	s_delay_alu instid0(VALU_DEP_1)
	v_mov_b32_e32 v12, v8
.LBB210_62:                             ;   in Loop: Header=BB210_50 Depth=1
	s_or_b32 exec_lo, exec_lo, s0
	s_wait_loadcnt 0x0
	v_max_num_f32_e64 v8, |v2|, |v2|
	v_max_num_f32_e64 v26, |v3|, |v3|
	s_delay_alu instid0(VALU_DEP_1) | instskip(NEXT) | instid1(VALU_DEP_1)
	v_max_num_f32_e32 v14, v8, v26
	v_cvt_f64_f32_e32 v[28:29], v14
	s_delay_alu instid0(VALU_DEP_1) | instskip(NEXT) | instid1(VALU_DEP_1)
	v_frexp_exp_i32_f64_e32 v8, v[28:29]
	v_sub_nc_u32_e32 v16, 0, v8
	v_cmp_eq_f32_e32 vcc_lo, 0x7f800000, v14
                                        ; implicit-def: $vgpr14
	s_delay_alu instid0(VALU_DEP_2) | instskip(SKIP_1) | instid1(VALU_DEP_2)
	v_ldexp_f32 v21, |v3|, v16
	v_ldexp_f32 v16, |v2|, v16
	v_mul_f32_e32 v21, v21, v21
	s_delay_alu instid0(VALU_DEP_1) | instskip(NEXT) | instid1(VALU_DEP_1)
	v_fmac_f32_e32 v21, v16, v16
	v_sqrt_f32_e32 v16, v21
	v_nop
	s_delay_alu instid0(TRANS32_DEP_1) | instskip(SKIP_1) | instid1(VALU_DEP_2)
	v_ldexp_f32 v16, v16, v8
	v_add_f32_e32 v8, 1.0, v2
	v_cmp_ngt_f32_e64 s0, 0.5, v16
	s_delay_alu instid0(VALU_DEP_2) | instskip(SKIP_1) | instid1(SALU_CYCLE_1)
	v_max_num_f32_e64 v27, |v8|, v26
	s_or_b32 s0, vcc_lo, s0
	s_and_saveexec_b32 s1, s0
	s_delay_alu instid0(SALU_CYCLE_1)
	s_xor_b32 s1, exec_lo, s1
	s_cbranch_execz .LBB210_64
; %bb.63:                               ;   in Loop: Header=BB210_50 Depth=1
	v_cvt_f64_f32_e32 v[28:29], v27
	v_cmp_neq_f32_e32 vcc_lo, 0x7f800000, v27
	s_delay_alu instid0(VALU_DEP_2) | instskip(NEXT) | instid1(VALU_DEP_1)
	v_frexp_exp_i32_f64_e32 v14, v[28:29]
	v_sub_nc_u32_e32 v16, 0, v14
	s_delay_alu instid0(VALU_DEP_1) | instskip(NEXT) | instid1(VALU_DEP_1)
	v_ldexp_f32 v21, |v3|, v16
	v_mul_f32_e32 v21, v21, v21
	v_ldexp_f32 v16, |v8|, v16
	s_delay_alu instid0(VALU_DEP_1) | instskip(NEXT) | instid1(VALU_DEP_1)
	v_fmac_f32_e32 v21, v16, v16
	v_sqrt_f32_e32 v16, v21
	v_nop
	s_delay_alu instid0(TRANS32_DEP_1) | instskip(NEXT) | instid1(VALU_DEP_1)
	v_ldexp_f32 v14, v16, v14
	v_cndmask_b32_e32 v14, 0x7f800000, v14, vcc_lo
	s_delay_alu instid0(VALU_DEP_1) | instskip(SKIP_1) | instid1(VALU_DEP_1)
	v_cmp_gt_f32_e32 vcc_lo, 0x800000, v14
	v_cndmask_b32_e64 v16, 0, 32, vcc_lo
	v_ldexp_f32 v14, v14, v16
	s_delay_alu instid0(VALU_DEP_1) | instskip(SKIP_1) | instid1(TRANS32_DEP_1)
	v_log_f32_e32 v14, v14
	v_nop
	v_mul_f32_e32 v16, 0x3f317217, v14
	v_cmp_gt_f32_e64 s0, 0x7f800000, |v14|
	s_delay_alu instid0(VALU_DEP_2) | instskip(NEXT) | instid1(VALU_DEP_1)
	v_fma_f32 v16, 0x3f317217, v14, -v16
	v_fmac_f32_e32 v16, 0x3377d1cf, v14
	s_delay_alu instid0(VALU_DEP_1) | instskip(NEXT) | instid1(VALU_DEP_1)
	v_fmac_f32_e32 v16, 0x3f317217, v14
	v_cndmask_b32_e64 v14, v14, v16, s0
	v_cndmask_b32_e64 v16, 0, 0x41b17218, vcc_lo
	s_delay_alu instid0(VALU_DEP_1)
	v_sub_f32_e32 v14, v14, v16
.LBB210_64:                             ;   in Loop: Header=BB210_50 Depth=1
	s_and_not1_saveexec_b32 s0, s1
	s_cbranch_execz .LBB210_68
; %bb.65:                               ;   in Loop: Header=BB210_50 Depth=1
	v_dual_add_f32 v28, 2.0, v2 :: v_dual_mov_b32 v29, v3
	s_mov_b32 s1, exec_lo
	s_delay_alu instid0(VALU_DEP_1) | instskip(NEXT) | instid1(VALU_DEP_1)
	v_pk_mul_f32 v[28:29], v[2:3], v[28:29]
	v_add_f32_e32 v14, v29, v28
	s_delay_alu instid0(VALU_DEP_1)
	v_cmpx_neq_f32_e32 0, v14
	s_cbranch_execz .LBB210_67
; %bb.66:                               ;   in Loop: Header=BB210_50 Depth=1
	v_add_f32_e32 v2, 1.0, v14
	s_delay_alu instid0(VALU_DEP_1) | instskip(SKIP_1) | instid1(VALU_DEP_1)
	v_cvt_f64_f32_e32 v[28:29], v2
	v_frexp_mant_f32_e32 v21, v2
	v_cmp_gt_f32_e32 vcc_lo, 0x3f2aaaab, v21
	s_delay_alu instid0(VALU_DEP_3) | instskip(NEXT) | instid1(VALU_DEP_1)
	v_frexp_exp_i32_f64_e32 v16, v[28:29]
	v_subrev_co_ci_u32_e64 v16, null, 0, v16, vcc_lo
	v_cmp_neq_f32_e32 vcc_lo, 0x7f800000, v14
	s_delay_alu instid0(VALU_DEP_2) | instskip(NEXT) | instid1(VALU_DEP_1)
	v_dual_add_f32 v21, -1.0, v2 :: v_dual_sub_nc_u32 v28, 0, v16
	v_sub_f32_e32 v29, v21, v2
	s_delay_alu instid0(VALU_DEP_2) | instskip(NEXT) | instid1(VALU_DEP_2)
	v_ldexp_f32 v2, v2, v28
	v_add_f32_e32 v29, 1.0, v29
	s_delay_alu instid0(VALU_DEP_2) | instskip(NEXT) | instid1(VALU_DEP_1)
	v_dual_sub_f32 v21, v14, v21 :: v_dual_add_f32 v30, 1.0, v2
	v_add_f32_e32 v21, v21, v29
	s_delay_alu instid0(VALU_DEP_1) | instskip(NEXT) | instid1(VALU_DEP_3)
	v_ldexp_f32 v21, v21, v28
	v_add_f32_e32 v29, -1.0, v30
	s_delay_alu instid0(VALU_DEP_1) | instskip(NEXT) | instid1(VALU_DEP_1)
	v_dual_add_f32 v33, -1.0, v2 :: v_dual_sub_f32 v28, v2, v29
	v_dual_add_f32 v28, v21, v28 :: v_dual_add_f32 v29, 1.0, v33
	s_delay_alu instid0(VALU_DEP_1) | instskip(NEXT) | instid1(VALU_DEP_1)
	v_add_f32_e32 v34, v30, v28
	v_sub_f32_e32 v31, v34, v30
	s_delay_alu instid0(VALU_DEP_1) | instskip(NEXT) | instid1(VALU_DEP_1)
	v_dual_sub_f32 v2, v2, v29 :: v_dual_sub_f32 v36, v28, v31
	v_add_f32_e32 v2, v21, v2
	v_rcp_f32_e32 v21, v34
	s_delay_alu instid0(VALU_DEP_1)
	v_add_f32_e32 v29, v33, v2
	s_delay_alu instid0(TRANS32_DEP_1) | instid1(VALU_DEP_1)
	v_mul_f32_e32 v35, v29, v21
	s_delay_alu instid0(VALU_DEP_1) | instskip(NEXT) | instid1(VALU_DEP_1)
	v_mul_f32_e32 v30, v34, v35
	v_fma_f32 v32, v35, v34, -v30
	s_delay_alu instid0(VALU_DEP_1) | instskip(NEXT) | instid1(VALU_DEP_1)
	v_dual_fmac_f32 v32, v35, v36 :: v_dual_sub_f32 v37, v29, v33
	v_add_f32_e32 v28, v30, v32
	s_delay_alu instid0(VALU_DEP_1) | instskip(SKIP_1) | instid1(VALU_DEP_1)
	v_dual_sub_f32 v2, v2, v37 :: v_dual_mov_b32 v33, v28
	v_sub_f32_e32 v31, v29, v28
	v_pk_add_f32 v[28:29], v[28:29], v[30:31] neg_lo:[0,1] neg_hi:[0,1]
	s_delay_alu instid0(VALU_DEP_1) | instskip(NEXT) | instid1(VALU_DEP_1)
	v_pk_add_f32 v[28:29], v[28:29], v[32:33] neg_lo:[0,1] neg_hi:[0,1]
	v_add_f32_e32 v2, v2, v29
	s_delay_alu instid0(VALU_DEP_1) | instskip(NEXT) | instid1(VALU_DEP_1)
	v_add_f32_e32 v2, v28, v2
	v_add_f32_e32 v29, v31, v2
	s_delay_alu instid0(VALU_DEP_1) | instskip(NEXT) | instid1(VALU_DEP_1)
	v_mul_f32_e32 v37, v21, v29
	v_mul_f32_e32 v32, v34, v37
	s_delay_alu instid0(VALU_DEP_1) | instskip(NEXT) | instid1(VALU_DEP_1)
	v_fma_f32 v30, v37, v34, -v32
	v_dual_fmac_f32 v30, v37, v36 :: v_dual_sub_f32 v34, v31, v29
	s_delay_alu instid0(VALU_DEP_1) | instskip(NEXT) | instid1(VALU_DEP_2)
	v_dual_add_f32 v2, v2, v34 :: v_dual_add_f32 v34, v35, v37
	v_add_f32_e32 v28, v32, v30
	s_delay_alu instid0(VALU_DEP_1) | instskip(NEXT) | instid1(VALU_DEP_1)
	v_dual_sub_f32 v33, v29, v28 :: v_dual_mov_b32 v31, v28
	v_pk_add_f32 v[28:29], v[28:29], v[32:33] neg_lo:[0,1] neg_hi:[0,1]
	s_delay_alu instid0(VALU_DEP_1) | instskip(NEXT) | instid1(VALU_DEP_1)
	v_pk_add_f32 v[28:29], v[28:29], v[30:31] neg_lo:[0,1] neg_hi:[0,1]
	v_add_f32_e32 v2, v2, v29
	s_delay_alu instid0(VALU_DEP_1) | instskip(NEXT) | instid1(VALU_DEP_1)
	v_dual_add_f32 v2, v28, v2 :: v_dual_sub_f32 v28, v34, v35
	v_add_f32_e32 v2, v33, v2
	s_delay_alu instid0(VALU_DEP_2) | instskip(NEXT) | instid1(VALU_DEP_2)
	v_sub_f32_e32 v28, v37, v28
	v_mul_f32_e32 v2, v21, v2
	s_delay_alu instid0(VALU_DEP_1) | instskip(SKIP_1) | instid1(VALU_DEP_2)
	v_add_f32_e32 v2, v28, v2
	v_cvt_f32_i32_e32 v28, v16
	v_add_f32_e32 v35, v34, v2
	s_delay_alu instid0(VALU_DEP_1) | instskip(SKIP_1) | instid1(VALU_DEP_2)
	v_dual_sub_f32 v16, v35, v34 :: v_dual_mul_f32 v21, v35, v35
	v_ldexp_f32 v33, v35, 1
	v_dual_sub_f32 v2, v2, v16 :: v_dual_mul_f32 v29, v35, v21
	s_delay_alu instid0(VALU_DEP_1) | instskip(SKIP_1) | instid1(VALU_DEP_1)
	v_ldexp_f32 v2, v2, 1
	v_fmaak_f32 v30, s6, v21, 0x3ecc95a3
	v_fmaak_f32 v21, v21, v30, 0x3f2aaada
	s_delay_alu instid0(VALU_DEP_1) | instskip(NEXT) | instid1(VALU_DEP_1)
	v_pk_mul_f32 v[30:31], v[28:29], v[20:21]
	v_fma_f32 v32, 0x3f317218, v28, -v30
	v_mov_b32_e32 v34, v30
	s_delay_alu instid0(VALU_DEP_2) | instskip(NEXT) | instid1(VALU_DEP_1)
	v_fmac_f32_e32 v32, 0xb102e308, v28
	v_pk_add_f32 v[28:29], v[30:31], v[32:33]
	s_delay_alu instid0(VALU_DEP_1) | instskip(NEXT) | instid1(VALU_DEP_1)
	v_dual_sub_f32 v16, v29, v33 :: v_dual_mov_b32 v33, v28
	v_dual_mov_b32 v42, v29 :: v_dual_sub_f32 v16, v31, v16
	v_pk_add_f32 v[30:31], v[28:29], v[30:31] neg_lo:[0,1] neg_hi:[0,1]
	s_delay_alu instid0(VALU_DEP_2) | instskip(NEXT) | instid1(VALU_DEP_1)
	v_add_f32_e32 v35, v2, v16
	v_pk_add_f32 v[36:37], v[28:29], v[34:35]
	s_delay_alu instid0(VALU_DEP_1) | instskip(NEXT) | instid1(VALU_DEP_1)
	v_mov_b32_e32 v31, v37
	v_pk_add_f32 v[38:39], v[32:33], v[30:31]
	v_pk_add_f32 v[30:31], v[32:33], v[30:31] neg_lo:[0,1] neg_hi:[0,1]
	s_delay_alu instid0(VALU_DEP_2) | instskip(NEXT) | instid1(VALU_DEP_1)
	v_dual_mov_b32 v2, v39 :: v_dual_mov_b32 v31, v39
	v_pk_add_f32 v[40:41], v[2:3], v[28:29] neg_lo:[0,1] neg_hi:[0,1]
	v_dual_mov_b32 v38, v37 :: v_dual_mov_b32 v29, v28
	s_delay_alu instid0(VALU_DEP_2) | instskip(SKIP_1) | instid1(VALU_DEP_2)
	v_dual_mov_b32 v28, v35 :: v_dual_mov_b32 v43, v40
	v_mov_b32_e32 v21, v40
	v_pk_add_f32 v[34:35], v[38:39], v[42:43] neg_lo:[0,1] neg_hi:[0,1]
	s_delay_alu instid0(VALU_DEP_2) | instskip(SKIP_1) | instid1(VALU_DEP_3)
	v_pk_add_f32 v[32:33], v[36:37], v[20:21] neg_lo:[0,1] neg_hi:[0,1]
	v_mov_b32_e32 v32, v30
	v_pk_add_f32 v[28:29], v[28:29], v[34:35] neg_lo:[0,1] neg_hi:[0,1]
	s_delay_alu instid0(VALU_DEP_1) | instskip(NEXT) | instid1(VALU_DEP_1)
	v_pk_add_f32 v[32:33], v[32:33], v[28:29]
	v_mov_b32_e32 v16, v33
	s_delay_alu instid0(VALU_DEP_1) | instskip(NEXT) | instid1(VALU_DEP_1)
	v_pk_add_f32 v[34:35], v[32:33], v[16:17]
	v_pk_add_f32 v[36:37], v[2:3], v[34:35]
	s_delay_alu instid0(VALU_DEP_1) | instskip(NEXT) | instid1(VALU_DEP_1)
	v_dual_mov_b32 v29, v34 :: v_dual_mov_b32 v33, v36
	v_pk_add_f32 v[38:39], v[32:33], v[30:31] neg_lo:[0,1] neg_hi:[0,1]
	s_delay_alu instid0(VALU_DEP_1) | instskip(NEXT) | instid1(VALU_DEP_2)
	v_sub_f32_e32 v2, v32, v38
	v_pk_add_f32 v[28:29], v[28:29], v[38:39] neg_lo:[0,1] neg_hi:[0,1]
	s_delay_alu instid0(VALU_DEP_2) | instskip(NEXT) | instid1(VALU_DEP_1)
	v_sub_f32_e32 v2, v30, v2
	v_add_f32_e32 v2, v28, v2
	s_delay_alu instid0(VALU_DEP_1) | instskip(NEXT) | instid1(VALU_DEP_1)
	v_add_f32_e32 v2, v2, v29
	v_add_f32_e32 v2, v36, v2
	s_delay_alu instid0(VALU_DEP_1) | instskip(SKIP_1) | instid1(VALU_DEP_2)
	v_cndmask_b32_e32 v2, 0x7f800000, v2, vcc_lo
	v_cmp_ngt_f32_e32 vcc_lo, -1.0, v14
	v_cndmask_b32_e32 v2, 0x7fc00000, v2, vcc_lo
	v_cmp_neq_f32_e32 vcc_lo, -1.0, v14
	s_delay_alu instid0(VALU_DEP_2) | instskip(SKIP_1) | instid1(VALU_DEP_2)
	v_cndmask_b32_e32 v2, 0xff800000, v2, vcc_lo
	v_cmp_gt_f32_e64 vcc_lo, 0x33800000, |v14|
	v_cndmask_b32_e32 v2, v2, v14, vcc_lo
	s_delay_alu instid0(VALU_DEP_1)
	v_mul_f32_e32 v2, 0.5, v2
.LBB210_67:                             ;   in Loop: Header=BB210_50 Depth=1
	s_or_b32 exec_lo, exec_lo, s1
	s_delay_alu instid0(VALU_DEP_1)
	v_mov_b32_e32 v14, v2
.LBB210_68:                             ;   in Loop: Header=BB210_50 Depth=1
	s_or_b32 exec_lo, exec_lo, s0
	v_max_num_f32_e64 v2, |v4|, |v4|
	v_max_num_f32_e64 v28, |v5|, |v5|
	s_delay_alu instid0(VALU_DEP_1) | instskip(NEXT) | instid1(VALU_DEP_1)
	v_max_num_f32_e32 v16, v2, v28
	v_cvt_f64_f32_e32 v[30:31], v16
	s_delay_alu instid0(VALU_DEP_1) | instskip(NEXT) | instid1(VALU_DEP_1)
	v_frexp_exp_i32_f64_e32 v2, v[30:31]
	v_sub_nc_u32_e32 v21, 0, v2
	v_cmp_eq_f32_e32 vcc_lo, 0x7f800000, v16
	s_delay_alu instid0(VALU_DEP_2) | instskip(SKIP_1) | instid1(VALU_DEP_2)
	v_ldexp_f32 v29, |v5|, v21
	v_ldexp_f32 v21, |v4|, v21
	v_mul_f32_e32 v29, v29, v29
	s_delay_alu instid0(VALU_DEP_1) | instskip(NEXT) | instid1(VALU_DEP_1)
	v_fmac_f32_e32 v29, v21, v21
	v_sqrt_f32_e32 v21, v29
	v_nop
	s_delay_alu instid0(TRANS32_DEP_1) | instskip(SKIP_1) | instid1(VALU_DEP_2)
	v_ldexp_f32 v21, v21, v2
	v_add_f32_e32 v2, 1.0, v4
	v_cmp_ngt_f32_e64 s0, 0.5, v21
	s_delay_alu instid0(VALU_DEP_2) | instskip(SKIP_1) | instid1(SALU_CYCLE_1)
	v_max_num_f32_e64 v29, |v2|, v28
	s_or_b32 s0, vcc_lo, s0
	s_and_saveexec_b32 s1, s0
	s_delay_alu instid0(SALU_CYCLE_1)
	s_xor_b32 s1, exec_lo, s1
	s_cbranch_execz .LBB210_70
; %bb.69:                               ;   in Loop: Header=BB210_50 Depth=1
	v_cvt_f64_f32_e32 v[30:31], v29
	v_cmp_neq_f32_e32 vcc_lo, 0x7f800000, v29
	s_delay_alu instid0(VALU_DEP_2) | instskip(NEXT) | instid1(VALU_DEP_1)
	v_frexp_exp_i32_f64_e32 v16, v[30:31]
	v_sub_nc_u32_e32 v21, 0, v16
	s_delay_alu instid0(VALU_DEP_1) | instskip(NEXT) | instid1(VALU_DEP_1)
	v_ldexp_f32 v30, |v5|, v21
	v_mul_f32_e32 v30, v30, v30
	v_ldexp_f32 v21, |v2|, v21
	s_delay_alu instid0(VALU_DEP_1) | instskip(NEXT) | instid1(VALU_DEP_1)
	v_fmac_f32_e32 v30, v21, v21
	v_sqrt_f32_e32 v21, v30
	v_nop
	s_delay_alu instid0(TRANS32_DEP_1) | instskip(NEXT) | instid1(VALU_DEP_1)
	v_ldexp_f32 v16, v21, v16
	v_cndmask_b32_e32 v16, 0x7f800000, v16, vcc_lo
	s_delay_alu instid0(VALU_DEP_1) | instskip(SKIP_1) | instid1(VALU_DEP_1)
	v_cmp_gt_f32_e32 vcc_lo, 0x800000, v16
	v_cndmask_b32_e64 v21, 0, 32, vcc_lo
	v_ldexp_f32 v16, v16, v21
	s_delay_alu instid0(VALU_DEP_1) | instskip(SKIP_1) | instid1(TRANS32_DEP_1)
	v_log_f32_e32 v16, v16
	v_nop
	v_mul_f32_e32 v21, 0x3f317217, v16
	v_cmp_gt_f32_e64 s0, 0x7f800000, |v16|
	s_delay_alu instid0(VALU_DEP_2) | instskip(NEXT) | instid1(VALU_DEP_1)
	v_fma_f32 v21, 0x3f317217, v16, -v21
	v_fmac_f32_e32 v21, 0x3377d1cf, v16
	s_delay_alu instid0(VALU_DEP_1) | instskip(NEXT) | instid1(VALU_DEP_1)
	v_fmac_f32_e32 v21, 0x3f317217, v16
	v_cndmask_b32_e64 v16, v16, v21, s0
	v_cndmask_b32_e64 v21, 0, 0x41b17218, vcc_lo
	s_delay_alu instid0(VALU_DEP_1)
	v_sub_f32_e32 v16, v16, v21
.LBB210_70:                             ;   in Loop: Header=BB210_50 Depth=1
	s_and_not1_saveexec_b32 s0, s1
	s_cbranch_execz .LBB210_49
; %bb.71:                               ;   in Loop: Header=BB210_50 Depth=1
	v_dual_add_f32 v30, 2.0, v4 :: v_dual_mov_b32 v31, v5
	s_mov_b32 s1, exec_lo
	s_delay_alu instid0(VALU_DEP_1) | instskip(NEXT) | instid1(VALU_DEP_1)
	v_pk_mul_f32 v[30:31], v[4:5], v[30:31]
	v_add_f32_e32 v16, v31, v30
	s_delay_alu instid0(VALU_DEP_1)
	v_cmpx_neq_f32_e32 0, v16
	s_cbranch_execz .LBB210_48
; %bb.72:                               ;   in Loop: Header=BB210_50 Depth=1
	v_add_f32_e32 v4, 1.0, v16
	s_delay_alu instid0(VALU_DEP_1) | instskip(NEXT) | instid1(VALU_DEP_1)
	v_cvt_f64_f32_e32 v[30:31], v4
	v_frexp_exp_i32_f64_e32 v21, v[30:31]
	v_frexp_mant_f32_e32 v30, v4
	s_delay_alu instid0(VALU_DEP_1) | instskip(NEXT) | instid1(VALU_DEP_3)
	v_cmp_gt_f32_e32 vcc_lo, 0x3f2aaaab, v30
	v_subrev_co_ci_u32_e64 v21, null, 0, v21, vcc_lo
	v_cmp_neq_f32_e32 vcc_lo, 0x7f800000, v16
	s_delay_alu instid0(VALU_DEP_2) | instskip(NEXT) | instid1(VALU_DEP_1)
	v_dual_add_f32 v30, -1.0, v4 :: v_dual_sub_nc_u32 v31, 0, v21
	v_sub_f32_e32 v32, v30, v4
	s_delay_alu instid0(VALU_DEP_2) | instskip(NEXT) | instid1(VALU_DEP_1)
	v_ldexp_f32 v4, v4, v31
	v_dual_add_f32 v33, 1.0, v4 :: v_dual_sub_f32 v30, v16, v30
	s_delay_alu instid0(VALU_DEP_3) | instskip(NEXT) | instid1(VALU_DEP_1)
	v_add_f32_e32 v32, 1.0, v32
	v_dual_add_f32 v30, v30, v32 :: v_dual_add_f32 v32, -1.0, v33
	s_delay_alu instid0(VALU_DEP_1) | instskip(NEXT) | instid1(VALU_DEP_2)
	v_ldexp_f32 v30, v30, v31
	v_sub_f32_e32 v31, v4, v32
	s_delay_alu instid0(VALU_DEP_1) | instskip(NEXT) | instid1(VALU_DEP_1)
	v_dual_add_f32 v34, v30, v31 :: v_dual_add_f32 v35, -1.0, v4
	v_dual_add_f32 v36, v33, v34 :: v_dual_add_f32 v32, 1.0, v35
	s_delay_alu instid0(VALU_DEP_1) | instskip(NEXT) | instid1(VALU_DEP_1)
	v_rcp_f32_e32 v37, v36
	v_sub_f32_e32 v4, v4, v32
	s_delay_alu instid0(VALU_DEP_1) | instskip(NEXT) | instid1(VALU_DEP_1)
	v_dual_add_f32 v4, v30, v4 :: v_dual_sub_f32 v30, v36, v33
	v_add_f32_e32 v31, v35, v4
	s_delay_alu instid0(TRANS32_DEP_1) | instid1(VALU_DEP_1)
	v_mul_f32_e32 v38, v31, v37
	s_delay_alu instid0(VALU_DEP_1) | instskip(NEXT) | instid1(VALU_DEP_4)
	v_mul_f32_e32 v32, v36, v38
	v_dual_sub_f32 v39, v34, v30 :: v_dual_sub_f32 v40, v31, v35
	s_delay_alu instid0(VALU_DEP_2) | instskip(NEXT) | instid1(VALU_DEP_1)
	v_fma_f32 v34, v38, v36, -v32
	v_dual_sub_f32 v4, v4, v40 :: v_dual_fmac_f32 v34, v38, v39
	s_delay_alu instid0(VALU_DEP_1) | instskip(NEXT) | instid1(VALU_DEP_1)
	v_add_f32_e32 v30, v32, v34
	v_dual_sub_f32 v33, v31, v30 :: v_dual_mov_b32 v35, v30
	s_delay_alu instid0(VALU_DEP_1) | instskip(NEXT) | instid1(VALU_DEP_1)
	v_pk_add_f32 v[30:31], v[30:31], v[32:33] neg_lo:[0,1] neg_hi:[0,1]
	v_pk_add_f32 v[30:31], v[30:31], v[34:35] neg_lo:[0,1] neg_hi:[0,1]
	s_delay_alu instid0(VALU_DEP_1) | instskip(NEXT) | instid1(VALU_DEP_1)
	v_add_f32_e32 v4, v4, v31
	v_add_f32_e32 v4, v30, v4
	s_delay_alu instid0(VALU_DEP_1) | instskip(NEXT) | instid1(VALU_DEP_1)
	v_add_f32_e32 v31, v33, v4
	v_mul_f32_e32 v40, v37, v31
	s_delay_alu instid0(VALU_DEP_1) | instskip(NEXT) | instid1(VALU_DEP_1)
	v_mul_f32_e32 v34, v36, v40
	v_dual_fma_f32 v32, v40, v36, -v34 :: v_dual_sub_f32 v36, v33, v31
	s_delay_alu instid0(VALU_DEP_1) | instskip(NEXT) | instid1(VALU_DEP_2)
	v_fmac_f32_e32 v32, v40, v39
	v_add_f32_e32 v4, v4, v36
	v_add_f32_e32 v36, v38, v40
	s_delay_alu instid0(VALU_DEP_3) | instskip(NEXT) | instid1(VALU_DEP_1)
	v_add_f32_e32 v30, v34, v32
	v_dual_sub_f32 v35, v31, v30 :: v_dual_mov_b32 v33, v30
	s_delay_alu instid0(VALU_DEP_1) | instskip(NEXT) | instid1(VALU_DEP_1)
	v_pk_add_f32 v[30:31], v[30:31], v[34:35] neg_lo:[0,1] neg_hi:[0,1]
	v_pk_add_f32 v[30:31], v[30:31], v[32:33] neg_lo:[0,1] neg_hi:[0,1]
	s_delay_alu instid0(VALU_DEP_1) | instskip(NEXT) | instid1(VALU_DEP_1)
	v_add_f32_e32 v4, v4, v31
	v_dual_add_f32 v4, v30, v4 :: v_dual_sub_f32 v30, v36, v38
	s_delay_alu instid0(VALU_DEP_1) | instskip(NEXT) | instid1(VALU_DEP_1)
	v_dual_add_f32 v4, v35, v4 :: v_dual_sub_f32 v30, v40, v30
	v_mul_f32_e32 v4, v37, v4
	s_delay_alu instid0(VALU_DEP_1) | instskip(SKIP_1) | instid1(VALU_DEP_2)
	v_add_f32_e32 v4, v30, v4
	v_cvt_f32_i32_e32 v30, v21
	v_add_f32_e32 v37, v36, v4
	s_delay_alu instid0(VALU_DEP_1) | instskip(NEXT) | instid1(VALU_DEP_1)
	v_mul_f32_e32 v32, v37, v37
	v_fmaak_f32 v33, s6, v32, 0x3ecc95a3
	v_mul_f32_e32 v31, v37, v32
	s_delay_alu instid0(VALU_DEP_2) | instskip(NEXT) | instid1(VALU_DEP_1)
	v_fmaak_f32 v21, v32, v33, 0x3f2aaada
	v_pk_mul_f32 v[32:33], v[30:31], v[20:21]
	s_delay_alu instid0(VALU_DEP_1) | instskip(NEXT) | instid1(VALU_DEP_1)
	v_fma_f32 v34, 0x3f317218, v30, -v32
	v_fmac_f32_e32 v34, 0xb102e308, v30
	v_ldexp_f32 v35, v37, 1
	s_delay_alu instid0(VALU_DEP_1) | instskip(SKIP_1) | instid1(VALU_DEP_1)
	v_pk_add_f32 v[30:31], v[32:33], v[34:35]
	v_dual_sub_f32 v21, v37, v36 :: v_dual_mov_b32 v36, v32
	v_dual_mov_b32 v44, v31 :: v_dual_sub_f32 v4, v4, v21
	s_delay_alu instid0(VALU_DEP_3) | instskip(NEXT) | instid1(VALU_DEP_2)
	v_dual_sub_f32 v21, v31, v35 :: v_dual_mov_b32 v35, v30
	v_ldexp_f32 v4, v4, 1
	s_delay_alu instid0(VALU_DEP_2) | instskip(SKIP_1) | instid1(VALU_DEP_2)
	v_sub_f32_e32 v21, v33, v21
	v_pk_add_f32 v[32:33], v[30:31], v[32:33] neg_lo:[0,1] neg_hi:[0,1]
	v_add_f32_e32 v37, v4, v21
	s_delay_alu instid0(VALU_DEP_1) | instskip(NEXT) | instid1(VALU_DEP_1)
	v_pk_add_f32 v[38:39], v[30:31], v[36:37]
	v_mov_b32_e32 v33, v39
	s_delay_alu instid0(VALU_DEP_1) | instskip(SKIP_1) | instid1(VALU_DEP_2)
	v_pk_add_f32 v[40:41], v[34:35], v[32:33]
	v_pk_add_f32 v[32:33], v[34:35], v[32:33] neg_lo:[0,1] neg_hi:[0,1]
	v_dual_mov_b32 v4, v41 :: v_dual_mov_b32 v33, v41
	s_delay_alu instid0(VALU_DEP_1) | instskip(SKIP_1) | instid1(VALU_DEP_2)
	v_pk_add_f32 v[42:43], v[4:5], v[30:31] neg_lo:[0,1] neg_hi:[0,1]
	v_dual_mov_b32 v40, v39 :: v_dual_mov_b32 v31, v30
	v_dual_mov_b32 v30, v37 :: v_dual_mov_b32 v45, v42
	v_mov_b32_e32 v21, v42
	s_delay_alu instid0(VALU_DEP_2) | instskip(NEXT) | instid1(VALU_DEP_2)
	v_pk_add_f32 v[36:37], v[40:41], v[44:45] neg_lo:[0,1] neg_hi:[0,1]
	v_pk_add_f32 v[34:35], v[38:39], v[20:21] neg_lo:[0,1] neg_hi:[0,1]
	v_mov_b32_e32 v34, v32
	s_delay_alu instid0(VALU_DEP_3) | instskip(NEXT) | instid1(VALU_DEP_1)
	v_pk_add_f32 v[30:31], v[30:31], v[36:37] neg_lo:[0,1] neg_hi:[0,1]
	v_pk_add_f32 v[34:35], v[34:35], v[30:31]
	s_delay_alu instid0(VALU_DEP_1) | instskip(NEXT) | instid1(VALU_DEP_1)
	v_mov_b32_e32 v36, v35
	v_pk_add_f32 v[36:37], v[34:35], v[36:37]
	s_delay_alu instid0(VALU_DEP_1) | instskip(NEXT) | instid1(VALU_DEP_1)
	v_pk_add_f32 v[38:39], v[4:5], v[36:37]
	v_dual_mov_b32 v31, v36 :: v_dual_mov_b32 v35, v38
	s_delay_alu instid0(VALU_DEP_1) | instskip(NEXT) | instid1(VALU_DEP_1)
	v_pk_add_f32 v[40:41], v[34:35], v[32:33] neg_lo:[0,1] neg_hi:[0,1]
	v_sub_f32_e32 v4, v34, v40
	s_delay_alu instid0(VALU_DEP_2) | instskip(NEXT) | instid1(VALU_DEP_2)
	v_pk_add_f32 v[30:31], v[30:31], v[40:41] neg_lo:[0,1] neg_hi:[0,1]
	v_sub_f32_e32 v4, v32, v4
	s_delay_alu instid0(VALU_DEP_1) | instskip(NEXT) | instid1(VALU_DEP_1)
	v_add_f32_e32 v4, v30, v4
	v_add_f32_e32 v4, v4, v31
	s_delay_alu instid0(VALU_DEP_1) | instskip(NEXT) | instid1(VALU_DEP_1)
	v_add_f32_e32 v4, v38, v4
	v_cndmask_b32_e32 v4, 0x7f800000, v4, vcc_lo
	v_cmp_ngt_f32_e32 vcc_lo, -1.0, v16
	s_delay_alu instid0(VALU_DEP_2) | instskip(SKIP_1) | instid1(VALU_DEP_2)
	v_cndmask_b32_e32 v4, 0x7fc00000, v4, vcc_lo
	v_cmp_neq_f32_e32 vcc_lo, -1.0, v16
	v_cndmask_b32_e32 v4, 0xff800000, v4, vcc_lo
	v_cmp_gt_f32_e64 vcc_lo, 0x33800000, |v16|
	s_delay_alu instid0(VALU_DEP_2) | instskip(NEXT) | instid1(VALU_DEP_1)
	v_cndmask_b32_e32 v4, v4, v16, vcc_lo
	v_mul_f32_e32 v4, 0.5, v4
	s_branch .LBB210_48
.LBB210_73:
	s_sendmsg sendmsg(MSG_DEALLOC_VGPRS)
	s_endpgm
	.section	.rodata,"a",@progbits
	.p2align	6, 0x0
	.amdhsa_kernel _ZN2at6native12_GLOBAL__N_125multi_tensor_apply_kernelINS1_18TensorListMetadataILi1EEENS1_14UnaryOpFunctorIN3c107complexIfEELi1ELi1ELi0EEEJNS0_5Log1pIS8_EEEEEvT_T0_DpT1_
		.amdhsa_group_segment_fixed_size 0
		.amdhsa_private_segment_fixed_size 0
		.amdhsa_kernarg_size 3632
		.amdhsa_user_sgpr_count 2
		.amdhsa_user_sgpr_dispatch_ptr 0
		.amdhsa_user_sgpr_queue_ptr 0
		.amdhsa_user_sgpr_kernarg_segment_ptr 1
		.amdhsa_user_sgpr_dispatch_id 0
		.amdhsa_user_sgpr_kernarg_preload_length 0
		.amdhsa_user_sgpr_kernarg_preload_offset 0
		.amdhsa_user_sgpr_private_segment_size 0
		.amdhsa_wavefront_size32 1
		.amdhsa_uses_dynamic_stack 0
		.amdhsa_enable_private_segment 0
		.amdhsa_system_sgpr_workgroup_id_x 1
		.amdhsa_system_sgpr_workgroup_id_y 0
		.amdhsa_system_sgpr_workgroup_id_z 0
		.amdhsa_system_sgpr_workgroup_info 0
		.amdhsa_system_vgpr_workitem_id 0
		.amdhsa_next_free_vgpr 66
		.amdhsa_next_free_sgpr 24
		.amdhsa_named_barrier_count 0
		.amdhsa_reserve_vcc 1
		.amdhsa_float_round_mode_32 0
		.amdhsa_float_round_mode_16_64 0
		.amdhsa_float_denorm_mode_32 3
		.amdhsa_float_denorm_mode_16_64 3
		.amdhsa_fp16_overflow 0
		.amdhsa_memory_ordered 1
		.amdhsa_forward_progress 1
		.amdhsa_inst_pref_size 107
		.amdhsa_round_robin_scheduling 0
		.amdhsa_exception_fp_ieee_invalid_op 0
		.amdhsa_exception_fp_denorm_src 0
		.amdhsa_exception_fp_ieee_div_zero 0
		.amdhsa_exception_fp_ieee_overflow 0
		.amdhsa_exception_fp_ieee_underflow 0
		.amdhsa_exception_fp_ieee_inexact 0
		.amdhsa_exception_int_div_zero 0
	.end_amdhsa_kernel
	.section	.text._ZN2at6native12_GLOBAL__N_125multi_tensor_apply_kernelINS1_18TensorListMetadataILi1EEENS1_14UnaryOpFunctorIN3c107complexIfEELi1ELi1ELi0EEEJNS0_5Log1pIS8_EEEEEvT_T0_DpT1_,"axG",@progbits,_ZN2at6native12_GLOBAL__N_125multi_tensor_apply_kernelINS1_18TensorListMetadataILi1EEENS1_14UnaryOpFunctorIN3c107complexIfEELi1ELi1ELi0EEEJNS0_5Log1pIS8_EEEEEvT_T0_DpT1_,comdat
.Lfunc_end210:
	.size	_ZN2at6native12_GLOBAL__N_125multi_tensor_apply_kernelINS1_18TensorListMetadataILi1EEENS1_14UnaryOpFunctorIN3c107complexIfEELi1ELi1ELi0EEEJNS0_5Log1pIS8_EEEEEvT_T0_DpT1_, .Lfunc_end210-_ZN2at6native12_GLOBAL__N_125multi_tensor_apply_kernelINS1_18TensorListMetadataILi1EEENS1_14UnaryOpFunctorIN3c107complexIfEELi1ELi1ELi0EEEJNS0_5Log1pIS8_EEEEEvT_T0_DpT1_
                                        ; -- End function
	.set _ZN2at6native12_GLOBAL__N_125multi_tensor_apply_kernelINS1_18TensorListMetadataILi1EEENS1_14UnaryOpFunctorIN3c107complexIfEELi1ELi1ELi0EEEJNS0_5Log1pIS8_EEEEEvT_T0_DpT1_.num_vgpr, 66
	.set _ZN2at6native12_GLOBAL__N_125multi_tensor_apply_kernelINS1_18TensorListMetadataILi1EEENS1_14UnaryOpFunctorIN3c107complexIfEELi1ELi1ELi0EEEJNS0_5Log1pIS8_EEEEEvT_T0_DpT1_.num_agpr, 0
	.set _ZN2at6native12_GLOBAL__N_125multi_tensor_apply_kernelINS1_18TensorListMetadataILi1EEENS1_14UnaryOpFunctorIN3c107complexIfEELi1ELi1ELi0EEEJNS0_5Log1pIS8_EEEEEvT_T0_DpT1_.numbered_sgpr, 24
	.set _ZN2at6native12_GLOBAL__N_125multi_tensor_apply_kernelINS1_18TensorListMetadataILi1EEENS1_14UnaryOpFunctorIN3c107complexIfEELi1ELi1ELi0EEEJNS0_5Log1pIS8_EEEEEvT_T0_DpT1_.num_named_barrier, 0
	.set _ZN2at6native12_GLOBAL__N_125multi_tensor_apply_kernelINS1_18TensorListMetadataILi1EEENS1_14UnaryOpFunctorIN3c107complexIfEELi1ELi1ELi0EEEJNS0_5Log1pIS8_EEEEEvT_T0_DpT1_.private_seg_size, 0
	.set _ZN2at6native12_GLOBAL__N_125multi_tensor_apply_kernelINS1_18TensorListMetadataILi1EEENS1_14UnaryOpFunctorIN3c107complexIfEELi1ELi1ELi0EEEJNS0_5Log1pIS8_EEEEEvT_T0_DpT1_.uses_vcc, 1
	.set _ZN2at6native12_GLOBAL__N_125multi_tensor_apply_kernelINS1_18TensorListMetadataILi1EEENS1_14UnaryOpFunctorIN3c107complexIfEELi1ELi1ELi0EEEJNS0_5Log1pIS8_EEEEEvT_T0_DpT1_.uses_flat_scratch, 0
	.set _ZN2at6native12_GLOBAL__N_125multi_tensor_apply_kernelINS1_18TensorListMetadataILi1EEENS1_14UnaryOpFunctorIN3c107complexIfEELi1ELi1ELi0EEEJNS0_5Log1pIS8_EEEEEvT_T0_DpT1_.has_dyn_sized_stack, 0
	.set _ZN2at6native12_GLOBAL__N_125multi_tensor_apply_kernelINS1_18TensorListMetadataILi1EEENS1_14UnaryOpFunctorIN3c107complexIfEELi1ELi1ELi0EEEJNS0_5Log1pIS8_EEEEEvT_T0_DpT1_.has_recursion, 0
	.set _ZN2at6native12_GLOBAL__N_125multi_tensor_apply_kernelINS1_18TensorListMetadataILi1EEENS1_14UnaryOpFunctorIN3c107complexIfEELi1ELi1ELi0EEEJNS0_5Log1pIS8_EEEEEvT_T0_DpT1_.has_indirect_call, 0
	.section	.AMDGPU.csdata,"",@progbits
; Kernel info:
; codeLenInByte = 13580
; TotalNumSgprs: 26
; NumVgprs: 66
; ScratchSize: 0
; MemoryBound: 0
; FloatMode: 240
; IeeeMode: 1
; LDSByteSize: 0 bytes/workgroup (compile time only)
; SGPRBlocks: 0
; VGPRBlocks: 4
; NumSGPRsForWavesPerEU: 26
; NumVGPRsForWavesPerEU: 66
; NamedBarCnt: 0
; Occupancy: 12
; WaveLimiterHint : 0
; COMPUTE_PGM_RSRC2:SCRATCH_EN: 0
; COMPUTE_PGM_RSRC2:USER_SGPR: 2
; COMPUTE_PGM_RSRC2:TRAP_HANDLER: 0
; COMPUTE_PGM_RSRC2:TGID_X_EN: 1
; COMPUTE_PGM_RSRC2:TGID_Y_EN: 0
; COMPUTE_PGM_RSRC2:TGID_Z_EN: 0
; COMPUTE_PGM_RSRC2:TIDIG_COMP_CNT: 0
	.section	.text._ZN2at6native12_GLOBAL__N_125multi_tensor_apply_kernelINS1_18TensorListMetadataILi1EEENS1_14UnaryOpFunctorIN3c104HalfELi1ELi1ELi0EEEJNS0_5Log1pIfEEEEEvT_T0_DpT1_,"axG",@progbits,_ZN2at6native12_GLOBAL__N_125multi_tensor_apply_kernelINS1_18TensorListMetadataILi1EEENS1_14UnaryOpFunctorIN3c104HalfELi1ELi1ELi0EEEJNS0_5Log1pIfEEEEEvT_T0_DpT1_,comdat
	.globl	_ZN2at6native12_GLOBAL__N_125multi_tensor_apply_kernelINS1_18TensorListMetadataILi1EEENS1_14UnaryOpFunctorIN3c104HalfELi1ELi1ELi0EEEJNS0_5Log1pIfEEEEEvT_T0_DpT1_ ; -- Begin function _ZN2at6native12_GLOBAL__N_125multi_tensor_apply_kernelINS1_18TensorListMetadataILi1EEENS1_14UnaryOpFunctorIN3c104HalfELi1ELi1ELi0EEEJNS0_5Log1pIfEEEEEvT_T0_DpT1_
	.p2align	8
	.type	_ZN2at6native12_GLOBAL__N_125multi_tensor_apply_kernelINS1_18TensorListMetadataILi1EEENS1_14UnaryOpFunctorIN3c104HalfELi1ELi1ELi0EEEJNS0_5Log1pIfEEEEEvT_T0_DpT1_,@function
_ZN2at6native12_GLOBAL__N_125multi_tensor_apply_kernelINS1_18TensorListMetadataILi1EEENS1_14UnaryOpFunctorIN3c104HalfELi1ELi1ELi0EEEJNS0_5Log1pIfEEEEEvT_T0_DpT1_: ; @_ZN2at6native12_GLOBAL__N_125multi_tensor_apply_kernelINS1_18TensorListMetadataILi1EEENS1_14UnaryOpFunctorIN3c104HalfELi1ELi1ELi0EEEJNS0_5Log1pIfEEEEEvT_T0_DpT1_
; %bb.0:
	s_bfe_u32 s2, ttmp6, 0x4000c
	s_and_b32 s3, ttmp6, 15
	s_add_co_i32 s2, s2, 1
	s_getreg_b32 s4, hwreg(HW_REG_IB_STS2, 6, 4)
	s_mul_i32 s2, ttmp9, s2
	s_delay_alu instid0(SALU_CYCLE_1)
	s_add_co_i32 s3, s3, s2
	s_cmp_eq_u32 s4, 0
	s_cselect_b32 s2, ttmp9, s3
	s_mov_b32 s3, 0
	s_load_u8 s8, s[0:1], s2 offset:0x6e0
	s_add_nc_u64 s[4:5], s[0:1], s[2:3]
	s_mul_u64 s[6:7], s[2:3], 3
	s_delay_alu instid0(SALU_CYCLE_1)
	s_add_nc_u64 s[4:5], s[4:5], s[6:7]
	s_load_b32 s10, s[4:5], 0x820
	s_wait_kmcnt 0x0
	s_clause 0x1
	s_load_b64 s[6:7], s[0:1], s8 offset:0x0 scale_offset
	s_load_b64 s[12:13], s[0:1], s8 offset:0x370 scale_offset
	s_ashr_i32 s11, s10, 31
	s_wait_kmcnt 0x0
	s_and_b64 s[4:5], s[6:7], 7
	s_and_b32 s2, s12, 3
	s_lshl_b64 s[8:9], s[10:11], 17
	s_or_b64 s[2:3], s[4:5], s[2:3]
	s_lshl_b64 s[4:5], s[10:11], 16
	s_cmp_eq_u64 s[2:3], 0
	s_sub_nc_u64 s[10:11], s[12:13], s[4:5]
	s_cbranch_scc1 .LBB211_21
; %bb.1:
	v_cmp_lt_i64_e64 s2, s[10:11], 1
	s_and_b32 vcc_lo, exec_lo, s2
	s_cbranch_vccnz .LBB211_20
; %bb.2:
	s_load_b32 s2, s[0:1], 0xd3c
	v_min_i64 v[2:3], 0x10000, s[10:11]
	v_min_u64 v[4:5], 0x10000, s[10:11]
	v_dual_mov_b32 v1, 0 :: v_dual_lshlrev_b32 v8, 1, v0
	s_mov_b32 s3, 0
	s_add_nc_u64 s[4:5], s[6:7], s[8:9]
	s_mov_b32 s17, s3
	s_delay_alu instid0(VALU_DEP_1)
	v_dual_mov_b32 v15, v1 :: v_dual_mov_b32 v16, 0x3f317218
	s_mov_b32 s19, s3
	s_mov_b32 s13, s3
	s_mov_b32 s15, s3
	s_wait_kmcnt 0x0
	s_and_b32 s2, s2, 0xffff
	s_delay_alu instid0(SALU_CYCLE_1)
	v_add_nc_u64_e32 v[6:7], s[2:3], v[0:1]
	v_mov_b32_e32 v9, v1
	s_lshl_b32 s16, s2, 1
	s_mul_i32 s18, s2, 3
	v_add_nc_u64_e32 v[12:13], s[16:17], v[0:1]
	v_add_nc_u64_e32 v[10:11], s[18:19], v[0:1]
	s_lshl_b32 s12, s2, 2
	v_lshlrev_b32_e32 v14, 1, v6
	v_add_nc_u64_e32 v[8:9], s[4:5], v[8:9]
	s_lshl_b32 s14, s2, 3
	s_mul_u64 s[16:17], s[2:3], 6
	s_mov_b64 s[18:19], 0
	v_add_nc_u64_e32 v[14:15], s[4:5], v[14:15]
	s_mov_b32 s5, 0x3e9b6dac
	s_branch .LBB211_4
.LBB211_3:                              ;   in Loop: Header=BB211_4 Depth=1
	s_wait_xcnt 0x0
	s_or_b32 exec_lo, exec_lo, s2
	s_add_nc_u64 s[18:19], s[18:19], s[12:13]
	v_add_nc_u64_e32 v[8:9], s[14:15], v[8:9]
	v_cmp_lt_i64_e32 vcc_lo, s[18:19], v[2:3]
	v_add_nc_u64_e32 v[14:15], s[14:15], v[14:15]
	s_cbranch_vccz .LBB211_20
.LBB211_4:                              ; =>This Inner Loop Header: Depth=1
	v_add_nc_u64_e32 v[18:19], s[18:19], v[0:1]
	s_wait_loadcnt 0x0
	v_mov_b32_e32 v25, 0
	s_delay_alu instid0(VALU_DEP_2)
	v_cmp_lt_u64_e64 s4, v[18:19], v[4:5]
	s_and_saveexec_b32 s2, s4
	s_cbranch_execz .LBB211_6
; %bb.5:                                ;   in Loop: Header=BB211_4 Depth=1
	global_load_u16 v25, v[8:9], off
.LBB211_6:                              ;   in Loop: Header=BB211_4 Depth=1
	s_wait_xcnt 0x0
	s_or_b32 exec_lo, exec_lo, s2
	v_add_nc_u64_e32 v[18:19], s[18:19], v[6:7]
	v_dual_mov_b32 v23, 0 :: v_dual_mov_b32 v24, 0
	s_delay_alu instid0(VALU_DEP_2)
	v_cmp_lt_u64_e64 s3, v[18:19], v[4:5]
	s_and_saveexec_b32 s2, s3
	s_cbranch_execz .LBB211_8
; %bb.7:                                ;   in Loop: Header=BB211_4 Depth=1
	global_load_u16 v24, v[14:15], off
.LBB211_8:                              ;   in Loop: Header=BB211_4 Depth=1
	s_wait_xcnt 0x0
	s_or_b32 exec_lo, exec_lo, s2
	v_add_nc_u64_e32 v[18:19], s[18:19], v[12:13]
	v_add_nc_u64_e32 v[20:21], s[12:13], v[8:9]
	s_delay_alu instid0(VALU_DEP_2)
	v_cmp_lt_u64_e64 s2, v[18:19], v[4:5]
	s_and_saveexec_b32 s20, s2
	s_cbranch_execz .LBB211_10
; %bb.9:                                ;   in Loop: Header=BB211_4 Depth=1
	global_load_u16 v23, v[20:21], off
.LBB211_10:                             ;   in Loop: Header=BB211_4 Depth=1
	s_wait_xcnt 0x0
	s_or_b32 exec_lo, exec_lo, s20
	v_add_nc_u64_e32 v[18:19], s[18:19], v[10:11]
	v_mov_b32_e32 v22, 0
	s_delay_alu instid0(VALU_DEP_2)
	v_cmp_lt_u64_e32 vcc_lo, v[18:19], v[4:5]
	v_add_nc_u64_e32 v[18:19], s[16:17], v[8:9]
	s_and_saveexec_b32 s20, vcc_lo
	s_cbranch_execnz .LBB211_15
; %bb.11:                               ;   in Loop: Header=BB211_4 Depth=1
	s_or_b32 exec_lo, exec_lo, s20
	s_and_saveexec_b32 s20, s4
	s_cbranch_execnz .LBB211_16
.LBB211_12:                             ;   in Loop: Header=BB211_4 Depth=1
	s_or_b32 exec_lo, exec_lo, s20
	s_and_saveexec_b32 s4, s3
	s_cbranch_execnz .LBB211_17
.LBB211_13:                             ;   in Loop: Header=BB211_4 Depth=1
	s_or_b32 exec_lo, exec_lo, s4
	s_and_saveexec_b32 s3, s2
	s_cbranch_execnz .LBB211_18
.LBB211_14:                             ;   in Loop: Header=BB211_4 Depth=1
	s_or_b32 exec_lo, exec_lo, s3
	s_and_saveexec_b32 s2, vcc_lo
	s_cbranch_execz .LBB211_3
	s_branch .LBB211_19
.LBB211_15:                             ;   in Loop: Header=BB211_4 Depth=1
	global_load_u16 v22, v[18:19], off
	s_wait_xcnt 0x0
	s_or_b32 exec_lo, exec_lo, s20
	s_and_saveexec_b32 s20, s4
	s_cbranch_execz .LBB211_12
.LBB211_16:                             ;   in Loop: Header=BB211_4 Depth=1
	s_wait_loadcnt 0x0
	v_cvt_f32_f16_e32 v42, v25
	s_delay_alu instid0(VALU_DEP_1) | instskip(NEXT) | instid1(VALU_DEP_1)
	v_add_f32_e32 v17, 1.0, v42
	v_cvt_f64_f32_e32 v[26:27], v17
	s_delay_alu instid0(VALU_DEP_1) | instskip(SKIP_1) | instid1(VALU_DEP_1)
	v_frexp_exp_i32_f64_e32 v26, v[26:27]
	v_frexp_mant_f32_e32 v27, v17
	v_cmp_gt_f32_e64 s4, 0x3f2aaaab, v27
	s_delay_alu instid0(VALU_DEP_1) | instskip(SKIP_1) | instid1(VALU_DEP_2)
	v_subrev_co_ci_u32_e64 v32, null, 0, v26, s4
	v_cmp_neq_f16_e64 s4, 0x7c00, v25
	v_dual_add_f32 v26, -1.0, v17 :: v_dual_sub_nc_u32 v27, 0, v32
	s_delay_alu instid0(VALU_DEP_1) | instskip(NEXT) | instid1(VALU_DEP_2)
	v_sub_f32_e32 v28, v26, v17
	v_ldexp_f32 v17, v17, v27
	s_delay_alu instid0(VALU_DEP_1) | instskip(SKIP_1) | instid1(VALU_DEP_1)
	v_dual_add_f32 v29, 1.0, v17 :: v_dual_add_f32 v28, 1.0, v28
	v_dual_sub_f32 v26, v42, v26 :: v_dual_add_f32 v31, -1.0, v17
	v_dual_add_f32 v26, v26, v28 :: v_dual_add_f32 v28, -1.0, v29
	s_delay_alu instid0(VALU_DEP_1) | instskip(NEXT) | instid1(VALU_DEP_2)
	v_ldexp_f32 v26, v26, v27
	v_dual_sub_f32 v27, v17, v28 :: v_dual_add_f32 v28, 1.0, v31
	s_delay_alu instid0(VALU_DEP_1) | instskip(NEXT) | instid1(VALU_DEP_1)
	v_dual_add_f32 v30, v26, v27 :: v_dual_sub_f32 v17, v17, v28
	v_dual_add_f32 v33, v29, v30 :: v_dual_add_f32 v17, v26, v17
	s_delay_alu instid0(VALU_DEP_1) | instskip(NEXT) | instid1(VALU_DEP_1)
	v_rcp_f32_e32 v34, v33
	v_add_f32_e32 v27, v31, v17
	s_delay_alu instid0(TRANS32_DEP_1) | instid1(VALU_DEP_1)
	v_dual_sub_f32 v26, v33, v29 :: v_dual_mul_f32 v35, v27, v34
	s_delay_alu instid0(VALU_DEP_1) | instskip(SKIP_1) | instid1(VALU_DEP_2)
	v_dual_mul_f32 v28, v33, v35 :: v_dual_sub_f32 v36, v30, v26
	v_sub_f32_e32 v37, v27, v31
	v_fma_f32 v30, v35, v33, -v28
	s_delay_alu instid0(VALU_DEP_1) | instskip(NEXT) | instid1(VALU_DEP_1)
	v_dual_sub_f32 v17, v17, v37 :: v_dual_fmac_f32 v30, v35, v36
	v_add_f32_e32 v26, v28, v30
	s_delay_alu instid0(VALU_DEP_1) | instskip(NEXT) | instid1(VALU_DEP_1)
	v_dual_sub_f32 v29, v27, v26 :: v_dual_mov_b32 v31, v26
	v_pk_add_f32 v[26:27], v[26:27], v[28:29] neg_lo:[0,1] neg_hi:[0,1]
	s_delay_alu instid0(VALU_DEP_1) | instskip(NEXT) | instid1(VALU_DEP_1)
	v_pk_add_f32 v[26:27], v[26:27], v[30:31] neg_lo:[0,1] neg_hi:[0,1]
	v_add_f32_e32 v17, v17, v27
	s_delay_alu instid0(VALU_DEP_1) | instskip(NEXT) | instid1(VALU_DEP_1)
	v_add_f32_e32 v17, v26, v17
	v_add_f32_e32 v27, v29, v17
	s_delay_alu instid0(VALU_DEP_1) | instskip(NEXT) | instid1(VALU_DEP_1)
	v_mul_f32_e32 v37, v34, v27
	v_mul_f32_e32 v30, v33, v37
	s_delay_alu instid0(VALU_DEP_1) | instskip(NEXT) | instid1(VALU_DEP_1)
	v_fma_f32 v28, v37, v33, -v30
	v_fmac_f32_e32 v28, v37, v36
	s_delay_alu instid0(VALU_DEP_1) | instskip(NEXT) | instid1(VALU_DEP_1)
	v_dual_add_f32 v26, v30, v28 :: v_dual_sub_f32 v33, v29, v27
	v_dual_sub_f32 v31, v27, v26 :: v_dual_mov_b32 v29, v26
	s_delay_alu instid0(VALU_DEP_2) | instskip(SKIP_1) | instid1(VALU_DEP_3)
	v_add_f32_e32 v17, v17, v33
	v_add_f32_e32 v33, v35, v37
	v_pk_add_f32 v[26:27], v[26:27], v[30:31] neg_lo:[0,1] neg_hi:[0,1]
	s_delay_alu instid0(VALU_DEP_1) | instskip(NEXT) | instid1(VALU_DEP_1)
	v_pk_add_f32 v[26:27], v[26:27], v[28:29] neg_lo:[0,1] neg_hi:[0,1]
	v_add_f32_e32 v17, v17, v27
	s_delay_alu instid0(VALU_DEP_1) | instskip(NEXT) | instid1(VALU_DEP_1)
	v_dual_add_f32 v17, v26, v17 :: v_dual_sub_f32 v26, v33, v35
	v_dual_add_f32 v17, v31, v17 :: v_dual_sub_f32 v26, v37, v26
	s_delay_alu instid0(VALU_DEP_1) | instskip(NEXT) | instid1(VALU_DEP_1)
	v_mul_f32_e32 v17, v34, v17
	v_add_f32_e32 v34, v26, v17
	v_cvt_f32_i32_e32 v26, v32
	s_delay_alu instid0(VALU_DEP_2) | instskip(NEXT) | instid1(VALU_DEP_1)
	v_add_f32_e32 v35, v33, v34
	v_mul_f32_e32 v17, v35, v35
	s_delay_alu instid0(VALU_DEP_1) | instskip(SKIP_1) | instid1(VALU_DEP_2)
	v_dual_fmaak_f32 v28, s5, v17, 0x3ecc95a3 :: v_dual_mul_f32 v27, v35, v17
	v_ldexp_f32 v31, v35, 1
	v_fmaak_f32 v17, v17, v28, 0x3f2aaada
	s_delay_alu instid0(VALU_DEP_1) | instskip(NEXT) | instid1(VALU_DEP_1)
	v_pk_mul_f32 v[28:29], v[26:27], v[16:17]
	v_fma_f32 v30, 0x3f317218, v26, -v28
	v_mov_b32_e32 v32, v28
	s_delay_alu instid0(VALU_DEP_2) | instskip(NEXT) | instid1(VALU_DEP_1)
	v_fmac_f32_e32 v30, 0xb102e308, v26
	v_pk_add_f32 v[26:27], v[28:29], v[30:31]
	s_delay_alu instid0(VALU_DEP_1) | instskip(SKIP_1) | instid1(VALU_DEP_2)
	v_sub_f32_e32 v31, v27, v31
	v_sub_f32_e32 v17, v35, v33
	v_dual_mov_b32 v40, v27 :: v_dual_sub_f32 v31, v29, v31
	s_delay_alu instid0(VALU_DEP_2) | instskip(SKIP_1) | instid1(VALU_DEP_2)
	v_sub_f32_e32 v17, v34, v17
	v_pk_add_f32 v[28:29], v[26:27], v[28:29] neg_lo:[0,1] neg_hi:[0,1]
	v_ldexp_f32 v17, v17, 1
	s_delay_alu instid0(VALU_DEP_1) | instskip(NEXT) | instid1(VALU_DEP_1)
	v_dual_add_f32 v33, v17, v31 :: v_dual_mov_b32 v31, v26
	v_pk_add_f32 v[34:35], v[26:27], v[32:33]
	s_delay_alu instid0(VALU_DEP_1) | instskip(NEXT) | instid1(VALU_DEP_1)
	v_mov_b32_e32 v29, v35
	v_pk_add_f32 v[36:37], v[30:31], v[28:29]
	v_pk_add_f32 v[28:29], v[30:31], v[28:29] neg_lo:[0,1] neg_hi:[0,1]
	s_delay_alu instid0(VALU_DEP_2) | instskip(NEXT) | instid1(VALU_DEP_1)
	v_dual_mov_b32 v32, v37 :: v_dual_mov_b32 v29, v37
	v_pk_add_f32 v[38:39], v[32:33], v[26:27] neg_lo:[0,1] neg_hi:[0,1]
	v_dual_mov_b32 v36, v35 :: v_dual_mov_b32 v27, v26
	s_delay_alu instid0(VALU_DEP_2) | instskip(SKIP_1) | instid1(VALU_DEP_2)
	v_dual_mov_b32 v26, v33 :: v_dual_mov_b32 v41, v38
	v_mov_b32_e32 v17, v38
	v_pk_add_f32 v[38:39], v[36:37], v[40:41] neg_lo:[0,1] neg_hi:[0,1]
	s_delay_alu instid0(VALU_DEP_2) | instskip(SKIP_1) | instid1(VALU_DEP_3)
	v_pk_add_f32 v[30:31], v[34:35], v[16:17] neg_lo:[0,1] neg_hi:[0,1]
	v_mov_b32_e32 v30, v28
	v_pk_add_f32 v[26:27], v[26:27], v[38:39] neg_lo:[0,1] neg_hi:[0,1]
	s_delay_alu instid0(VALU_DEP_1) | instskip(NEXT) | instid1(VALU_DEP_1)
	v_pk_add_f32 v[30:31], v[30:31], v[26:27]
	v_mov_b32_e32 v34, v31
	s_delay_alu instid0(VALU_DEP_1) | instskip(NEXT) | instid1(VALU_DEP_1)
	v_pk_add_f32 v[34:35], v[30:31], v[34:35]
	v_pk_add_f32 v[32:33], v[32:33], v[34:35]
	s_delay_alu instid0(VALU_DEP_1) | instskip(NEXT) | instid1(VALU_DEP_1)
	v_dual_mov_b32 v27, v34 :: v_dual_mov_b32 v31, v32
	v_pk_add_f32 v[36:37], v[30:31], v[28:29] neg_lo:[0,1] neg_hi:[0,1]
	s_delay_alu instid0(VALU_DEP_1) | instskip(NEXT) | instid1(VALU_DEP_2)
	v_sub_f32_e32 v17, v30, v36
	v_pk_add_f32 v[26:27], v[26:27], v[36:37] neg_lo:[0,1] neg_hi:[0,1]
	s_delay_alu instid0(VALU_DEP_2) | instskip(NEXT) | instid1(VALU_DEP_1)
	v_sub_f32_e32 v17, v28, v17
	v_add_f32_e32 v17, v26, v17
	s_delay_alu instid0(VALU_DEP_1) | instskip(NEXT) | instid1(VALU_DEP_1)
	v_add_f32_e32 v17, v17, v27
	v_add_f32_e32 v17, v32, v17
	s_delay_alu instid0(VALU_DEP_1) | instskip(NEXT) | instid1(VALU_DEP_1)
	v_cvt_f16_f32_e32 v17, v17
	v_cndmask_b32_e64 v17, 0x7c00, v17, s4
	v_cmp_ngt_f16_e64 s4, -1.0, v25
	s_delay_alu instid0(VALU_DEP_1) | instskip(SKIP_1) | instid1(VALU_DEP_1)
	v_cndmask_b32_e64 v17, 0x7e00, v17, s4
	v_cmp_neq_f16_e64 s4, -1.0, v25
	v_cndmask_b32_e64 v17, 0xfc00, v17, s4
	v_cmp_gt_f32_e64 s4, 0x33800000, |v42|
	s_delay_alu instid0(VALU_DEP_1)
	v_cndmask_b32_e64 v17, v17, v25, s4
	global_store_b16 v[8:9], v17, off
	s_wait_xcnt 0x0
	s_or_b32 exec_lo, exec_lo, s20
	s_and_saveexec_b32 s4, s3
	s_cbranch_execz .LBB211_13
.LBB211_17:                             ;   in Loop: Header=BB211_4 Depth=1
	s_wait_loadcnt 0x0
	v_cvt_f32_f16_e32 v17, v24
	s_delay_alu instid0(VALU_DEP_1) | instskip(NEXT) | instid1(VALU_DEP_1)
	v_add_f32_e32 v25, 1.0, v17
	v_cvt_f64_f32_e32 v[26:27], v25
	s_delay_alu instid0(VALU_DEP_1) | instskip(SKIP_1) | instid1(VALU_DEP_1)
	v_frexp_exp_i32_f64_e32 v26, v[26:27]
	v_frexp_mant_f32_e32 v27, v25
	v_cmp_gt_f32_e64 s3, 0x3f2aaaab, v27
	s_delay_alu instid0(VALU_DEP_1) | instskip(SKIP_1) | instid1(VALU_DEP_2)
	v_subrev_co_ci_u32_e64 v26, null, 0, v26, s3
	v_cmp_neq_f16_e64 s3, 0x7c00, v24
	v_dual_add_f32 v27, -1.0, v25 :: v_dual_sub_nc_u32 v28, 0, v26
	v_cvt_f32_i32_e32 v26, v26
	s_delay_alu instid0(VALU_DEP_2) | instskip(NEXT) | instid1(VALU_DEP_3)
	v_sub_f32_e32 v29, v27, v25
	v_ldexp_f32 v25, v25, v28
	s_delay_alu instid0(VALU_DEP_1) | instskip(NEXT) | instid1(VALU_DEP_3)
	v_dual_add_f32 v30, 1.0, v25 :: v_dual_sub_f32 v27, v17, v27
	v_add_f32_e32 v29, 1.0, v29
	s_delay_alu instid0(VALU_DEP_1) | instskip(NEXT) | instid1(VALU_DEP_1)
	v_dual_add_f32 v27, v27, v29 :: v_dual_add_f32 v29, -1.0, v30
	v_ldexp_f32 v27, v27, v28
	s_delay_alu instid0(VALU_DEP_2) | instskip(NEXT) | instid1(VALU_DEP_1)
	v_sub_f32_e32 v28, v25, v29
	v_dual_add_f32 v28, v27, v28 :: v_dual_add_f32 v31, -1.0, v25
	s_delay_alu instid0(VALU_DEP_1) | instskip(NEXT) | instid1(VALU_DEP_1)
	v_add_f32_e32 v29, 1.0, v31
	v_dual_sub_f32 v25, v25, v29 :: v_dual_add_f32 v29, v30, v28
	s_delay_alu instid0(VALU_DEP_1) | instskip(SKIP_1) | instid1(VALU_DEP_1)
	v_dual_add_f32 v25, v27, v25 :: v_dual_sub_f32 v30, v29, v30
	v_rcp_f32_e32 v27, v29
	v_dual_add_f32 v32, v31, v25 :: v_dual_sub_f32 v28, v28, v30
	s_delay_alu instid0(TRANS32_DEP_1) | instid1(VALU_DEP_1)
	v_mul_f32_e32 v33, v32, v27
	s_delay_alu instid0(VALU_DEP_1) | instskip(NEXT) | instid1(VALU_DEP_1)
	v_dual_sub_f32 v31, v32, v31 :: v_dual_mul_f32 v34, v29, v33
	v_fma_f32 v30, v33, v29, -v34
	s_delay_alu instid0(VALU_DEP_1) | instskip(NEXT) | instid1(VALU_DEP_1)
	v_fmac_f32_e32 v30, v33, v28
	v_dual_sub_f32 v25, v25, v31 :: v_dual_add_f32 v35, v34, v30
	s_delay_alu instid0(VALU_DEP_1) | instskip(NEXT) | instid1(VALU_DEP_1)
	v_sub_f32_e32 v36, v32, v35
	v_dual_sub_f32 v32, v32, v36 :: v_dual_sub_f32 v31, v35, v34
	s_delay_alu instid0(VALU_DEP_1) | instskip(NEXT) | instid1(VALU_DEP_1)
	v_dual_sub_f32 v30, v31, v30 :: v_dual_sub_f32 v32, v32, v35
	v_add_f32_e32 v25, v25, v32
	s_delay_alu instid0(VALU_DEP_1) | instskip(NEXT) | instid1(VALU_DEP_1)
	v_add_f32_e32 v25, v30, v25
	v_add_f32_e32 v30, v36, v25
	s_delay_alu instid0(VALU_DEP_1) | instskip(NEXT) | instid1(VALU_DEP_1)
	v_mul_f32_e32 v31, v27, v30
	v_dual_mul_f32 v32, v29, v31 :: v_dual_sub_f32 v35, v36, v30
	s_delay_alu instid0(VALU_DEP_1) | instskip(NEXT) | instid1(VALU_DEP_1)
	v_fma_f32 v29, v31, v29, -v32
	v_fmac_f32_e32 v29, v31, v28
	s_delay_alu instid0(VALU_DEP_1) | instskip(NEXT) | instid1(VALU_DEP_1)
	v_add_f32_e32 v28, v32, v29
	v_sub_f32_e32 v34, v30, v28
	s_delay_alu instid0(VALU_DEP_1) | instskip(SKIP_1) | instid1(VALU_DEP_1)
	v_dual_sub_f32 v30, v30, v34 :: v_dual_add_f32 v25, v25, v35
	v_sub_f32_e32 v32, v28, v32
	v_dual_sub_f32 v28, v30, v28 :: v_dual_sub_f32 v29, v32, v29
	s_delay_alu instid0(VALU_DEP_1) | instskip(NEXT) | instid1(VALU_DEP_1)
	v_add_f32_e32 v25, v25, v28
	v_add_f32_e32 v25, v29, v25
	s_delay_alu instid0(VALU_DEP_1) | instskip(NEXT) | instid1(VALU_DEP_1)
	v_dual_add_f32 v28, v33, v31 :: v_dual_add_f32 v25, v34, v25
	v_sub_f32_e32 v29, v28, v33
	s_delay_alu instid0(VALU_DEP_2) | instskip(NEXT) | instid1(VALU_DEP_2)
	v_mul_f32_e32 v25, v27, v25
	v_sub_f32_e32 v29, v31, v29
	s_delay_alu instid0(VALU_DEP_1) | instskip(NEXT) | instid1(VALU_DEP_1)
	v_add_f32_e32 v25, v29, v25
	v_add_f32_e32 v27, v28, v25
	s_delay_alu instid0(VALU_DEP_1) | instskip(NEXT) | instid1(VALU_DEP_1)
	v_mul_f32_e32 v29, v27, v27
	v_dual_fmaak_f32 v30, s5, v29, 0x3ecc95a3 :: v_dual_mul_f32 v31, v27, v29
	s_delay_alu instid0(VALU_DEP_1) | instskip(SKIP_2) | instid1(VALU_DEP_1)
	v_fmaak_f32 v29, v29, v30, 0x3f2aaada
	v_ldexp_f32 v30, v27, 1
	v_sub_f32_e32 v27, v27, v28
	v_sub_f32_e32 v25, v25, v27
	s_delay_alu instid0(VALU_DEP_1) | instskip(SKIP_1) | instid1(VALU_DEP_1)
	v_ldexp_f32 v25, v25, 1
	v_mul_f32_e32 v29, v31, v29
	v_dual_mul_f32 v31, 0x3f317218, v26 :: v_dual_add_f32 v28, v30, v29
	s_delay_alu instid0(VALU_DEP_1) | instskip(NEXT) | instid1(VALU_DEP_2)
	v_sub_f32_e32 v27, v28, v30
	v_fma_f32 v30, 0x3f317218, v26, -v31
	s_delay_alu instid0(VALU_DEP_1) | instskip(NEXT) | instid1(VALU_DEP_1)
	v_fmac_f32_e32 v30, 0xb102e308, v26
	v_dual_add_f32 v26, v31, v30 :: v_dual_sub_f32 v27, v29, v27
	s_delay_alu instid0(VALU_DEP_1) | instskip(NEXT) | instid1(VALU_DEP_2)
	v_sub_f32_e32 v31, v26, v31
	v_add_f32_e32 v25, v25, v27
	s_delay_alu instid0(VALU_DEP_1) | instskip(NEXT) | instid1(VALU_DEP_1)
	v_dual_sub_f32 v30, v30, v31 :: v_dual_add_f32 v27, v28, v25
	v_dual_add_f32 v29, v26, v27 :: v_dual_sub_f32 v28, v27, v28
	s_delay_alu instid0(VALU_DEP_1) | instskip(NEXT) | instid1(VALU_DEP_1)
	v_sub_f32_e32 v32, v29, v26
	v_sub_f32_e32 v33, v29, v32
	s_delay_alu instid0(VALU_DEP_1) | instskip(NEXT) | instid1(VALU_DEP_1)
	v_dual_sub_f32 v25, v25, v28 :: v_dual_sub_f32 v26, v26, v33
	v_dual_sub_f32 v27, v27, v32 :: v_dual_add_f32 v28, v30, v25
	s_delay_alu instid0(VALU_DEP_1) | instskip(NEXT) | instid1(VALU_DEP_2)
	v_add_f32_e32 v26, v27, v26
	v_sub_f32_e32 v27, v28, v30
	s_delay_alu instid0(VALU_DEP_1) | instskip(NEXT) | instid1(VALU_DEP_1)
	v_dual_add_f32 v26, v28, v26 :: v_dual_sub_f32 v28, v28, v27
	v_dual_sub_f32 v28, v30, v28 :: v_dual_sub_f32 v25, v25, v27
	s_delay_alu instid0(VALU_DEP_2) | instskip(NEXT) | instid1(VALU_DEP_1)
	v_add_f32_e32 v31, v29, v26
	v_dual_add_f32 v25, v25, v28 :: v_dual_sub_f32 v27, v31, v29
	s_delay_alu instid0(VALU_DEP_1) | instskip(NEXT) | instid1(VALU_DEP_1)
	v_sub_f32_e32 v26, v26, v27
	v_add_f32_e32 v25, v25, v26
	s_delay_alu instid0(VALU_DEP_1) | instskip(NEXT) | instid1(VALU_DEP_1)
	v_add_f32_e32 v25, v31, v25
	v_cvt_f16_f32_e32 v25, v25
	s_delay_alu instid0(VALU_DEP_1) | instskip(SKIP_1) | instid1(VALU_DEP_1)
	v_cndmask_b32_e64 v25, 0x7c00, v25, s3
	v_cmp_ngt_f16_e64 s3, -1.0, v24
	v_cndmask_b32_e64 v25, 0x7e00, v25, s3
	v_cmp_neq_f16_e64 s3, -1.0, v24
	s_delay_alu instid0(VALU_DEP_1) | instskip(SKIP_1) | instid1(VALU_DEP_1)
	v_cndmask_b32_e64 v25, 0xfc00, v25, s3
	v_cmp_gt_f32_e64 s3, 0x33800000, |v17|
	v_cndmask_b32_e64 v17, v25, v24, s3
	global_store_b16 v[14:15], v17, off
	s_wait_xcnt 0x0
	s_or_b32 exec_lo, exec_lo, s4
	s_and_saveexec_b32 s3, s2
	s_cbranch_execz .LBB211_14
.LBB211_18:                             ;   in Loop: Header=BB211_4 Depth=1
	s_wait_loadcnt 0x0
	v_cvt_f32_f16_e32 v17, v23
	s_delay_alu instid0(VALU_DEP_1) | instskip(NEXT) | instid1(VALU_DEP_1)
	v_add_f32_e32 v26, 1.0, v17
	v_cvt_f64_f32_e32 v[24:25], v26
	s_delay_alu instid0(VALU_DEP_1) | instskip(SKIP_1) | instid1(VALU_DEP_1)
	v_frexp_exp_i32_f64_e32 v24, v[24:25]
	v_frexp_mant_f32_e32 v25, v26
	v_cmp_gt_f32_e64 s2, 0x3f2aaaab, v25
	s_delay_alu instid0(VALU_DEP_1) | instskip(SKIP_1) | instid1(VALU_DEP_2)
	v_subrev_co_ci_u32_e64 v24, null, 0, v24, s2
	v_cmp_neq_f16_e64 s2, 0x7c00, v23
	v_dual_sub_nc_u32 v27, 0, v24 :: v_dual_add_f32 v25, -1.0, v26
	v_cvt_f32_i32_e32 v24, v24
	s_delay_alu instid0(VALU_DEP_2) | instskip(NEXT) | instid1(VALU_DEP_3)
	v_sub_f32_e32 v28, v25, v26
	v_ldexp_f32 v26, v26, v27
	s_delay_alu instid0(VALU_DEP_1) | instskip(SKIP_1) | instid1(VALU_DEP_1)
	v_dual_add_f32 v29, 1.0, v26 :: v_dual_add_f32 v28, 1.0, v28
	v_dual_sub_f32 v25, v17, v25 :: v_dual_add_f32 v30, -1.0, v26
	v_dual_add_f32 v25, v25, v28 :: v_dual_add_f32 v28, -1.0, v29
	s_delay_alu instid0(VALU_DEP_1) | instskip(NEXT) | instid1(VALU_DEP_2)
	v_ldexp_f32 v25, v25, v27
	v_dual_sub_f32 v27, v26, v28 :: v_dual_add_f32 v28, 1.0, v30
	s_delay_alu instid0(VALU_DEP_1) | instskip(NEXT) | instid1(VALU_DEP_1)
	v_dual_add_f32 v27, v25, v27 :: v_dual_sub_f32 v26, v26, v28
	v_add_f32_e32 v25, v25, v26
	s_delay_alu instid0(VALU_DEP_1) | instskip(NEXT) | instid1(VALU_DEP_1)
	v_dual_add_f32 v28, v29, v27 :: v_dual_add_f32 v31, v30, v25
	v_rcp_f32_e32 v26, v28
	s_delay_alu instid0(VALU_DEP_1) | instskip(NEXT) | instid1(TRANS32_DEP_1)
	v_sub_f32_e32 v30, v31, v30
	v_dual_mul_f32 v32, v31, v26 :: v_dual_sub_f32 v29, v28, v29
	s_delay_alu instid0(VALU_DEP_1) | instskip(NEXT) | instid1(VALU_DEP_1)
	v_dual_sub_f32 v25, v25, v30 :: v_dual_mul_f32 v33, v28, v32
	v_dual_sub_f32 v27, v27, v29 :: v_dual_fma_f32 v29, v32, v28, -v33
	s_delay_alu instid0(VALU_DEP_1) | instskip(NEXT) | instid1(VALU_DEP_1)
	v_fmac_f32_e32 v29, v32, v27
	v_add_f32_e32 v34, v33, v29
	s_delay_alu instid0(VALU_DEP_1) | instskip(NEXT) | instid1(VALU_DEP_1)
	v_sub_f32_e32 v35, v31, v34
	v_dual_sub_f32 v31, v31, v35 :: v_dual_sub_f32 v30, v34, v33
	s_delay_alu instid0(VALU_DEP_1) | instskip(NEXT) | instid1(VALU_DEP_1)
	v_dual_sub_f32 v31, v31, v34 :: v_dual_sub_f32 v29, v30, v29
	v_add_f32_e32 v25, v25, v31
	s_delay_alu instid0(VALU_DEP_1) | instskip(NEXT) | instid1(VALU_DEP_1)
	v_add_f32_e32 v25, v29, v25
	v_add_f32_e32 v29, v35, v25
	s_delay_alu instid0(VALU_DEP_1) | instskip(NEXT) | instid1(VALU_DEP_1)
	v_mul_f32_e32 v30, v26, v29
	v_mul_f32_e32 v31, v28, v30
	s_delay_alu instid0(VALU_DEP_1) | instskip(NEXT) | instid1(VALU_DEP_1)
	v_fma_f32 v28, v30, v28, -v31
	v_fmac_f32_e32 v28, v30, v27
	s_delay_alu instid0(VALU_DEP_1) | instskip(NEXT) | instid1(VALU_DEP_1)
	v_add_f32_e32 v27, v31, v28
	v_dual_sub_f32 v34, v35, v29 :: v_dual_sub_f32 v33, v29, v27
	s_delay_alu instid0(VALU_DEP_1) | instskip(NEXT) | instid1(VALU_DEP_1)
	v_dual_sub_f32 v31, v27, v31 :: v_dual_sub_f32 v29, v29, v33
	v_dual_sub_f32 v28, v31, v28 :: v_dual_sub_f32 v27, v29, v27
	s_delay_alu instid0(VALU_DEP_3) | instskip(NEXT) | instid1(VALU_DEP_1)
	v_add_f32_e32 v25, v25, v34
	v_dual_add_f32 v25, v25, v27 :: v_dual_add_f32 v27, v32, v30
	s_delay_alu instid0(VALU_DEP_1) | instskip(NEXT) | instid1(VALU_DEP_1)
	v_dual_add_f32 v25, v28, v25 :: v_dual_sub_f32 v28, v27, v32
	v_dual_add_f32 v25, v33, v25 :: v_dual_sub_f32 v28, v30, v28
	s_delay_alu instid0(VALU_DEP_1) | instskip(NEXT) | instid1(VALU_DEP_1)
	v_mul_f32_e32 v25, v26, v25
	v_add_f32_e32 v25, v28, v25
	s_delay_alu instid0(VALU_DEP_1) | instskip(NEXT) | instid1(VALU_DEP_1)
	v_add_f32_e32 v26, v27, v25
	v_mul_f32_e32 v28, v26, v26
	s_delay_alu instid0(VALU_DEP_1) | instskip(NEXT) | instid1(VALU_DEP_1)
	v_dual_fmaak_f32 v29, s5, v28, 0x3ecc95a3 :: v_dual_mul_f32 v30, v26, v28
	v_fmaak_f32 v28, v28, v29, 0x3f2aaada
	v_ldexp_f32 v29, v26, 1
	v_sub_f32_e32 v26, v26, v27
	s_delay_alu instid0(VALU_DEP_1) | instskip(SKIP_1) | instid1(VALU_DEP_2)
	v_dual_sub_f32 v25, v25, v26 :: v_dual_mul_f32 v28, v30, v28
	v_mul_f32_e32 v30, 0x3f317218, v24
	v_ldexp_f32 v25, v25, 1
	s_delay_alu instid0(VALU_DEP_3) | instskip(NEXT) | instid1(VALU_DEP_1)
	v_add_f32_e32 v27, v29, v28
	v_sub_f32_e32 v26, v27, v29
	s_delay_alu instid0(VALU_DEP_4) | instskip(NEXT) | instid1(VALU_DEP_1)
	v_fma_f32 v29, 0x3f317218, v24, -v30
	v_dual_sub_f32 v26, v28, v26 :: v_dual_fmac_f32 v29, 0xb102e308, v24
	s_delay_alu instid0(VALU_DEP_1) | instskip(NEXT) | instid1(VALU_DEP_1)
	v_dual_add_f32 v24, v25, v26 :: v_dual_add_f32 v25, v30, v29
	v_add_f32_e32 v26, v27, v24
	s_delay_alu instid0(VALU_DEP_1) | instskip(NEXT) | instid1(VALU_DEP_1)
	v_add_f32_e32 v28, v25, v26
	v_dual_sub_f32 v31, v28, v25 :: v_dual_sub_f32 v30, v25, v30
	v_sub_f32_e32 v27, v26, v27
	s_delay_alu instid0(VALU_DEP_2) | instskip(NEXT) | instid1(VALU_DEP_1)
	v_dual_sub_f32 v32, v28, v31 :: v_dual_sub_f32 v29, v29, v30
	v_dual_sub_f32 v24, v24, v27 :: v_dual_sub_f32 v25, v25, v32
	s_delay_alu instid0(VALU_DEP_1) | instskip(NEXT) | instid1(VALU_DEP_1)
	v_dual_sub_f32 v26, v26, v31 :: v_dual_add_f32 v27, v29, v24
	v_add_f32_e32 v25, v26, v25
	s_delay_alu instid0(VALU_DEP_2) | instskip(NEXT) | instid1(VALU_DEP_1)
	v_sub_f32_e32 v26, v27, v29
	v_dual_add_f32 v25, v27, v25 :: v_dual_sub_f32 v27, v27, v26
	s_delay_alu instid0(VALU_DEP_1) | instskip(NEXT) | instid1(VALU_DEP_2)
	v_dual_sub_f32 v27, v29, v27 :: v_dual_sub_f32 v24, v24, v26
	v_add_f32_e32 v30, v28, v25
	s_delay_alu instid0(VALU_DEP_1) | instskip(NEXT) | instid1(VALU_DEP_1)
	v_dual_add_f32 v24, v24, v27 :: v_dual_sub_f32 v26, v30, v28
	v_sub_f32_e32 v25, v25, v26
	s_delay_alu instid0(VALU_DEP_1) | instskip(NEXT) | instid1(VALU_DEP_1)
	v_add_f32_e32 v24, v24, v25
	v_add_f32_e32 v24, v30, v24
	s_delay_alu instid0(VALU_DEP_1) | instskip(NEXT) | instid1(VALU_DEP_1)
	v_cvt_f16_f32_e32 v24, v24
	v_cndmask_b32_e64 v24, 0x7c00, v24, s2
	v_cmp_ngt_f16_e64 s2, -1.0, v23
	s_delay_alu instid0(VALU_DEP_1) | instskip(SKIP_1) | instid1(VALU_DEP_1)
	v_cndmask_b32_e64 v24, 0x7e00, v24, s2
	v_cmp_neq_f16_e64 s2, -1.0, v23
	v_cndmask_b32_e64 v24, 0xfc00, v24, s2
	v_cmp_gt_f32_e64 s2, 0x33800000, |v17|
	s_delay_alu instid0(VALU_DEP_1)
	v_cndmask_b32_e64 v17, v24, v23, s2
	global_store_b16 v[20:21], v17, off
	s_wait_xcnt 0x0
	s_or_b32 exec_lo, exec_lo, s3
	s_and_saveexec_b32 s2, vcc_lo
	s_cbranch_execz .LBB211_3
.LBB211_19:                             ;   in Loop: Header=BB211_4 Depth=1
	s_wait_loadcnt 0x0
	v_cvt_f32_f16_e32 v17, v22
	s_delay_alu instid0(VALU_DEP_1) | instskip(NEXT) | instid1(VALU_DEP_1)
	v_add_f32_e32 v23, 1.0, v17
	v_cvt_f64_f32_e32 v[20:21], v23
	s_delay_alu instid0(VALU_DEP_1) | instskip(SKIP_1) | instid1(VALU_DEP_1)
	v_frexp_exp_i32_f64_e32 v20, v[20:21]
	v_frexp_mant_f32_e32 v21, v23
	v_cmp_gt_f32_e32 vcc_lo, 0x3f2aaaab, v21
	s_delay_alu instid0(VALU_DEP_3) | instskip(SKIP_1) | instid1(VALU_DEP_2)
	v_subrev_co_ci_u32_e64 v20, null, 0, v20, vcc_lo
	v_cmp_neq_f16_e32 vcc_lo, 0x7c00, v22
	v_dual_add_f32 v21, -1.0, v23 :: v_dual_sub_nc_u32 v24, 0, v20
	v_cvt_f32_i32_e32 v20, v20
	s_delay_alu instid0(VALU_DEP_2) | instskip(NEXT) | instid1(VALU_DEP_3)
	v_sub_f32_e32 v25, v21, v23
	v_ldexp_f32 v23, v23, v24
	s_delay_alu instid0(VALU_DEP_1) | instskip(SKIP_1) | instid1(VALU_DEP_1)
	v_dual_add_f32 v26, 1.0, v23 :: v_dual_add_f32 v25, 1.0, v25
	v_dual_sub_f32 v21, v17, v21 :: v_dual_add_f32 v27, -1.0, v23
	v_dual_add_f32 v21, v21, v25 :: v_dual_add_f32 v25, -1.0, v26
	s_delay_alu instid0(VALU_DEP_1) | instskip(NEXT) | instid1(VALU_DEP_2)
	v_ldexp_f32 v21, v21, v24
	v_dual_sub_f32 v24, v23, v25 :: v_dual_add_f32 v25, 1.0, v27
	s_delay_alu instid0(VALU_DEP_1) | instskip(NEXT) | instid1(VALU_DEP_1)
	v_dual_add_f32 v24, v21, v24 :: v_dual_sub_f32 v23, v23, v25
	v_dual_add_f32 v25, v26, v24 :: v_dual_add_f32 v21, v21, v23
	s_delay_alu instid0(VALU_DEP_1) | instskip(NEXT) | instid1(VALU_DEP_1)
	v_rcp_f32_e32 v23, v25
	v_dual_add_f32 v28, v27, v21 :: v_dual_sub_f32 v26, v25, v26
	s_delay_alu instid0(VALU_DEP_1) | instskip(NEXT) | instid1(TRANS32_DEP_1)
	v_sub_f32_e32 v27, v28, v27
	v_mul_f32_e32 v29, v28, v23
	s_delay_alu instid0(VALU_DEP_2) | instskip(NEXT) | instid1(VALU_DEP_2)
	v_dual_sub_f32 v24, v24, v26 :: v_dual_sub_f32 v21, v21, v27
	v_mul_f32_e32 v30, v25, v29
	s_delay_alu instid0(VALU_DEP_1) | instskip(NEXT) | instid1(VALU_DEP_1)
	v_fma_f32 v26, v29, v25, -v30
	v_fmac_f32_e32 v26, v29, v24
	s_delay_alu instid0(VALU_DEP_1) | instskip(NEXT) | instid1(VALU_DEP_1)
	v_add_f32_e32 v31, v30, v26
	v_sub_f32_e32 v32, v28, v31
	s_delay_alu instid0(VALU_DEP_1) | instskip(NEXT) | instid1(VALU_DEP_1)
	v_dual_sub_f32 v28, v28, v32 :: v_dual_sub_f32 v27, v31, v30
	v_dual_sub_f32 v28, v28, v31 :: v_dual_sub_f32 v26, v27, v26
	s_delay_alu instid0(VALU_DEP_1) | instskip(NEXT) | instid1(VALU_DEP_1)
	v_add_f32_e32 v21, v21, v28
	v_add_f32_e32 v21, v26, v21
	s_delay_alu instid0(VALU_DEP_1) | instskip(NEXT) | instid1(VALU_DEP_1)
	v_add_f32_e32 v26, v32, v21
	v_mul_f32_e32 v27, v23, v26
	s_delay_alu instid0(VALU_DEP_1) | instskip(NEXT) | instid1(VALU_DEP_1)
	v_dual_mul_f32 v28, v25, v27 :: v_dual_sub_f32 v31, v32, v26
	v_fma_f32 v25, v27, v25, -v28
	s_delay_alu instid0(VALU_DEP_1) | instskip(NEXT) | instid1(VALU_DEP_1)
	v_fmac_f32_e32 v25, v27, v24
	v_add_f32_e32 v24, v28, v25
	s_delay_alu instid0(VALU_DEP_1) | instskip(NEXT) | instid1(VALU_DEP_1)
	v_sub_f32_e32 v30, v26, v24
	v_dual_sub_f32 v26, v26, v30 :: v_dual_add_f32 v21, v21, v31
	v_sub_f32_e32 v28, v24, v28
	s_delay_alu instid0(VALU_DEP_1) | instskip(NEXT) | instid1(VALU_DEP_1)
	v_dual_sub_f32 v24, v26, v24 :: v_dual_sub_f32 v25, v28, v25
	v_add_f32_e32 v21, v21, v24
	s_delay_alu instid0(VALU_DEP_1) | instskip(NEXT) | instid1(VALU_DEP_1)
	v_add_f32_e32 v21, v25, v21
	v_dual_add_f32 v24, v29, v27 :: v_dual_add_f32 v21, v30, v21
	s_delay_alu instid0(VALU_DEP_1) | instskip(NEXT) | instid1(VALU_DEP_2)
	v_sub_f32_e32 v25, v24, v29
	v_mul_f32_e32 v21, v23, v21
	s_delay_alu instid0(VALU_DEP_2) | instskip(NEXT) | instid1(VALU_DEP_1)
	v_sub_f32_e32 v25, v27, v25
	v_add_f32_e32 v21, v25, v21
	s_delay_alu instid0(VALU_DEP_1) | instskip(NEXT) | instid1(VALU_DEP_1)
	v_add_f32_e32 v23, v24, v21
	v_mul_f32_e32 v25, v23, v23
	s_delay_alu instid0(VALU_DEP_1) | instskip(NEXT) | instid1(VALU_DEP_1)
	v_dual_fmaak_f32 v26, s5, v25, 0x3ecc95a3 :: v_dual_mul_f32 v27, v23, v25
	v_fmaak_f32 v25, v25, v26, 0x3f2aaada
	v_ldexp_f32 v26, v23, 1
	v_sub_f32_e32 v23, v23, v24
	s_delay_alu instid0(VALU_DEP_1) | instskip(NEXT) | instid1(VALU_DEP_1)
	v_sub_f32_e32 v21, v21, v23
	v_ldexp_f32 v21, v21, 1
	v_mul_f32_e32 v25, v27, v25
	s_delay_alu instid0(VALU_DEP_1) | instskip(NEXT) | instid1(VALU_DEP_1)
	v_dual_mul_f32 v27, 0x3f317218, v20 :: v_dual_add_f32 v24, v26, v25
	v_sub_f32_e32 v23, v24, v26
	s_delay_alu instid0(VALU_DEP_2) | instskip(NEXT) | instid1(VALU_DEP_1)
	v_fma_f32 v26, 0x3f317218, v20, -v27
	v_dual_fmac_f32 v26, 0xb102e308, v20 :: v_dual_sub_f32 v23, v25, v23
	s_delay_alu instid0(VALU_DEP_1) | instskip(NEXT) | instid1(VALU_DEP_1)
	v_dual_add_f32 v20, v21, v23 :: v_dual_add_f32 v21, v27, v26
	v_add_f32_e32 v23, v24, v20
	s_delay_alu instid0(VALU_DEP_1) | instskip(NEXT) | instid1(VALU_DEP_1)
	v_add_f32_e32 v25, v21, v23
	v_dual_sub_f32 v28, v25, v21 :: v_dual_sub_f32 v24, v23, v24
	s_delay_alu instid0(VALU_DEP_1) | instskip(NEXT) | instid1(VALU_DEP_2)
	v_sub_f32_e32 v20, v20, v24
	v_sub_f32_e32 v29, v25, v28
	s_delay_alu instid0(VALU_DEP_1) | instskip(NEXT) | instid1(VALU_DEP_1)
	v_dual_sub_f32 v27, v21, v27 :: v_dual_sub_f32 v21, v21, v29
	v_sub_f32_e32 v26, v26, v27
	s_delay_alu instid0(VALU_DEP_1) | instskip(SKIP_1) | instid1(VALU_DEP_1)
	v_add_f32_e32 v24, v26, v20
	v_sub_f32_e32 v23, v23, v28
	v_add_f32_e32 v21, v23, v21
	s_delay_alu instid0(VALU_DEP_1) | instskip(NEXT) | instid1(VALU_DEP_1)
	v_dual_add_f32 v21, v24, v21 :: v_dual_sub_f32 v23, v24, v26
	v_dual_add_f32 v27, v25, v21 :: v_dual_sub_f32 v24, v24, v23
	s_delay_alu instid0(VALU_DEP_1) | instskip(NEXT) | instid1(VALU_DEP_1)
	v_dual_sub_f32 v20, v20, v23 :: v_dual_sub_f32 v23, v27, v25
	v_dual_sub_f32 v24, v26, v24 :: v_dual_sub_f32 v21, v21, v23
	s_delay_alu instid0(VALU_DEP_1) | instskip(NEXT) | instid1(VALU_DEP_1)
	v_add_f32_e32 v20, v20, v24
	v_add_f32_e32 v20, v20, v21
	s_delay_alu instid0(VALU_DEP_1) | instskip(NEXT) | instid1(VALU_DEP_1)
	v_add_f32_e32 v20, v27, v20
	v_cvt_f16_f32_e32 v20, v20
	s_delay_alu instid0(VALU_DEP_1) | instskip(SKIP_1) | instid1(VALU_DEP_2)
	v_cndmask_b32_e32 v20, 0x7c00, v20, vcc_lo
	v_cmp_ngt_f16_e32 vcc_lo, -1.0, v22
	v_cndmask_b32_e32 v20, 0x7e00, v20, vcc_lo
	v_cmp_neq_f16_e32 vcc_lo, -1.0, v22
	s_delay_alu instid0(VALU_DEP_2) | instskip(SKIP_1) | instid1(VALU_DEP_2)
	v_cndmask_b32_e32 v20, 0xfc00, v20, vcc_lo
	v_cmp_gt_f32_e64 vcc_lo, 0x33800000, |v17|
	v_cndmask_b32_e32 v17, v20, v22, vcc_lo
	global_store_b16 v[18:19], v17, off
	s_branch .LBB211_3
.LBB211_20:
	s_cbranch_execz .LBB211_22
	s_branch .LBB211_25
.LBB211_21:
.LBB211_22:
	v_min_i64 v[2:3], 0x10000, s[10:11]
	v_dual_mov_b32 v5, 0 :: v_dual_lshlrev_b32 v4, 2, v0
	s_mov_b32 s2, exec_lo
	s_delay_alu instid0(VALU_DEP_1)
	v_cmpx_lt_i64_e64 v[4:5], v[2:3]
	s_cbranch_execz .LBB211_25
; %bb.23:
	s_load_b32 s0, s[0:1], 0xd3c
	v_dual_mov_b32 v1, v5 :: v_dual_lshlrev_b32 v4, 3, v0
	s_add_nc_u64 s[10:11], s[6:7], s[8:9]
	s_wait_xcnt 0x0
	s_mov_b32 s1, 0
	s_mov_b32 s2, 0x3f317218
	;; [unrolled: 1-line block ×3, first 2 shown]
	v_add_nc_u64_e32 v[4:5], s[10:11], v[4:5]
	s_mov_b32 s6, 0x3e9b6dac
	s_mov_b32 s8, 0x3f2aaada
	;; [unrolled: 1-line block ×5, first 2 shown]
	s_wait_kmcnt 0x0
	s_and_b32 s0, s0, 0xffff
	s_delay_alu instid0(SALU_CYCLE_1)
	s_lshl_b32 s12, s0, 3
.LBB211_24:                             ; =>This Inner Loop Header: Depth=1
	global_load_b64 v[6:7], v[4:5], off
	v_add_nc_u64_e32 v[0:1], s[0:1], v[0:1]
	s_wait_loadcnt 0x0
	v_cvt_f32_f16_e32 v12, v6
	v_dual_lshrrev_b32 v9, 16, v6 :: v_dual_lshrrev_b32 v8, 16, v7
	v_cvt_f32_f16_e32 v10, v7
	s_delay_alu instid0(VALU_DEP_3) | instskip(NEXT) | instid1(VALU_DEP_3)
	v_add_f32_e32 v22, 1.0, v12
	v_cvt_f32_f16_e32 v11, v9
	s_delay_alu instid0(VALU_DEP_4) | instskip(NEXT) | instid1(VALU_DEP_4)
	v_cvt_f32_f16_e32 v13, v8
	v_add_f32_e32 v23, 1.0, v10
	s_delay_alu instid0(VALU_DEP_4) | instskip(NEXT) | instid1(VALU_DEP_3)
	v_cvt_f64_f32_e32 v[14:15], v22
	v_dual_add_f32 v24, 1.0, v11 :: v_dual_add_f32 v25, 1.0, v13
	s_delay_alu instid0(VALU_DEP_3) | instskip(NEXT) | instid1(VALU_DEP_2)
	v_cvt_f64_f32_e32 v[16:17], v23
	v_cvt_f64_f32_e32 v[18:19], v24
	s_delay_alu instid0(VALU_DEP_3) | instskip(SKIP_3) | instid1(VALU_DEP_1)
	v_cvt_f64_f32_e32 v[20:21], v25
	v_frexp_mant_f32_e32 v27, v24
	v_frexp_mant_f32_e32 v28, v25
	v_dual_add_f32 v29, -1.0, v24 :: v_dual_add_f32 v31, -1.0, v25
	v_dual_sub_f32 v32, v29, v24 :: v_dual_sub_f32 v33, v31, v25
	v_sub_f32_e32 v31, v13, v31
	v_frexp_exp_i32_f64_e32 v14, v[14:15]
	v_frexp_exp_i32_f64_e32 v15, v[16:17]
	;; [unrolled: 1-line block ×4, first 2 shown]
	v_frexp_mant_f32_e32 v19, v22
	v_frexp_mant_f32_e32 v20, v23
	v_dual_add_f32 v18, -1.0, v22 :: v_dual_add_f32 v21, -1.0, v23
	s_delay_alu instid0(VALU_DEP_3) | instskip(NEXT) | instid1(VALU_DEP_2)
	v_cmp_gt_f32_e32 vcc_lo, 0x3f2aaaab, v19
	v_sub_f32_e32 v26, v18, v22
	s_delay_alu instid0(VALU_DEP_3) | instskip(SKIP_1) | instid1(VALU_DEP_3)
	v_dual_sub_f32 v18, v12, v18 :: v_dual_sub_f32 v30, v21, v23
	v_sub_f32_e32 v21, v10, v21
	v_dual_sub_f32 v29, v11, v29 :: v_dual_add_f32 v26, 1.0, v26
	s_delay_alu instid0(VALU_DEP_3) | instskip(NEXT) | instid1(VALU_DEP_2)
	v_dual_add_f32 v30, 1.0, v30 :: v_dual_add_f32 v19, 1.0, v33
	v_dual_add_f32 v26, v18, v26 :: v_dual_add_f32 v18, 1.0, v32
	v_subrev_co_ci_u32_e64 v56, null, 0, v14, vcc_lo
	v_cmp_gt_f32_e32 vcc_lo, 0x3f2aaaab, v20
	v_subrev_co_ci_u32_e64 v57, null, 0, v15, vcc_lo
	v_cmp_gt_f32_e32 vcc_lo, 0x3f2aaaab, v27
	s_delay_alu instid0(VALU_DEP_4) | instskip(SKIP_3) | instid1(VALU_DEP_4)
	v_sub_nc_u32_e32 v27, 0, v56
	v_subrev_co_ci_u32_e64 v58, null, 0, v16, vcc_lo
	v_cmp_gt_f32_e32 vcc_lo, 0x3f2aaaab, v28
	v_sub_nc_u32_e32 v28, 0, v57
	v_ldexp_f32 v14, v22, v27
	v_ldexp_f32 v22, v26, v27
	v_subrev_co_ci_u32_e64 v59, null, 0, v17, vcc_lo
	v_sub_nc_u32_e32 v32, 0, v58
	v_ldexp_f32 v16, v23, v28
	s_delay_alu instid0(VALU_DEP_3) | instskip(SKIP_1) | instid1(VALU_DEP_4)
	v_dual_add_f32 v23, v21, v30 :: v_dual_sub_nc_u32 v34, 0, v59
	v_add_f32_e32 v30, v31, v19
	v_ldexp_f32 v15, v24, v32
	v_cmp_neq_f16_e32 vcc_lo, 0x7c00, v6
	s_delay_alu instid0(VALU_DEP_4) | instskip(SKIP_3) | instid1(VALU_DEP_3)
	v_ldexp_f32 v24, v23, v28
	v_ldexp_f32 v17, v25, v34
	v_add_f32_e32 v25, v29, v18
	v_pk_add_f32 v[18:19], v[14:15], 1.0 op_sel_hi:[1,0]
	v_pk_add_f32 v[20:21], v[16:17], 1.0 op_sel_hi:[1,0]
	s_delay_alu instid0(VALU_DEP_3) | instskip(NEXT) | instid1(VALU_DEP_3)
	v_ldexp_f32 v23, v25, v32
	v_pk_add_f32 v[26:27], v[18:19], -1.0 op_sel_hi:[1,0]
	v_ldexp_f32 v25, v30, v34
	v_pk_add_f32 v[30:31], v[14:15], -1.0 op_sel_hi:[1,0]
	v_pk_add_f32 v[28:29], v[20:21], -1.0 op_sel_hi:[1,0]
	;; [unrolled: 1-line block ×3, first 2 shown]
	v_pk_add_f32 v[26:27], v[14:15], v[26:27] neg_lo:[0,1] neg_hi:[0,1]
	s_delay_alu instid0(VALU_DEP_4) | instskip(NEXT) | instid1(VALU_DEP_4)
	v_pk_add_f32 v[34:35], v[30:31], 1.0 op_sel_hi:[1,0]
	v_pk_add_f32 v[28:29], v[16:17], v[28:29] neg_lo:[0,1] neg_hi:[0,1]
	s_delay_alu instid0(VALU_DEP_4) | instskip(NEXT) | instid1(VALU_DEP_4)
	v_pk_add_f32 v[36:37], v[32:33], 1.0 op_sel_hi:[1,0]
	v_pk_add_f32 v[26:27], v[22:23], v[26:27]
	s_delay_alu instid0(VALU_DEP_4) | instskip(NEXT) | instid1(VALU_DEP_4)
	v_pk_add_f32 v[14:15], v[14:15], v[34:35] neg_lo:[0,1] neg_hi:[0,1]
	v_pk_add_f32 v[28:29], v[24:25], v[28:29]
	s_delay_alu instid0(VALU_DEP_4) | instskip(NEXT) | instid1(VALU_DEP_4)
	v_pk_add_f32 v[16:17], v[16:17], v[36:37] neg_lo:[0,1] neg_hi:[0,1]
	v_pk_add_f32 v[34:35], v[18:19], v[26:27]
	s_delay_alu instid0(VALU_DEP_4) | instskip(NEXT) | instid1(VALU_DEP_4)
	v_pk_add_f32 v[14:15], v[22:23], v[14:15]
	v_pk_add_f32 v[36:37], v[20:21], v[28:29]
	s_delay_alu instid0(VALU_DEP_4) | instskip(NEXT) | instid1(VALU_DEP_4)
	v_pk_add_f32 v[16:17], v[24:25], v[16:17]
	v_rcp_f32_e32 v22, v34
	v_rcp_f32_e32 v23, v35
	v_pk_add_f32 v[40:41], v[30:31], v[14:15]
	v_rcp_f32_e32 v24, v36
	v_rcp_f32_e32 v25, v37
	v_pk_add_f32 v[38:39], v[32:33], v[16:17]
	v_pk_add_f32 v[18:19], v[34:35], v[18:19] neg_lo:[0,1] neg_hi:[0,1]
	v_pk_add_f32 v[20:21], v[36:37], v[20:21] neg_lo:[0,1] neg_hi:[0,1]
	v_pk_mul_f32 v[44:45], v[40:41], v[22:23]
	v_pk_add_f32 v[30:31], v[40:41], v[30:31] neg_lo:[0,1] neg_hi:[0,1]
	v_pk_add_f32 v[32:33], v[38:39], v[32:33] neg_lo:[0,1] neg_hi:[0,1]
	v_pk_mul_f32 v[42:43], v[38:39], v[24:25]
	v_pk_add_f32 v[18:19], v[26:27], v[18:19] neg_lo:[0,1] neg_hi:[0,1]
	v_pk_mul_f32 v[48:49], v[34:35], v[44:45]
	v_pk_add_f32 v[20:21], v[28:29], v[20:21] neg_lo:[0,1] neg_hi:[0,1]
	v_pk_add_f32 v[14:15], v[14:15], v[30:31] neg_lo:[0,1] neg_hi:[0,1]
	v_pk_mul_f32 v[46:47], v[36:37], v[42:43]
	v_pk_add_f32 v[16:17], v[16:17], v[32:33] neg_lo:[0,1] neg_hi:[0,1]
	v_pk_fma_f32 v[28:29], v[44:45], v[34:35], v[48:49] neg_lo:[0,0,1] neg_hi:[0,0,1]
	s_delay_alu instid0(VALU_DEP_3) | instskip(NEXT) | instid1(VALU_DEP_2)
	v_pk_fma_f32 v[26:27], v[42:43], v[36:37], v[46:47] neg_lo:[0,0,1] neg_hi:[0,0,1]
	v_pk_fma_f32 v[28:29], v[44:45], v[18:19], v[28:29]
	s_delay_alu instid0(VALU_DEP_2) | instskip(NEXT) | instid1(VALU_DEP_2)
	v_pk_fma_f32 v[26:27], v[42:43], v[20:21], v[26:27]
	v_pk_add_f32 v[52:53], v[48:49], v[28:29]
	s_delay_alu instid0(VALU_DEP_2) | instskip(NEXT) | instid1(VALU_DEP_2)
	v_pk_add_f32 v[50:51], v[46:47], v[26:27]
	v_pk_add_f32 v[54:55], v[40:41], v[52:53] neg_lo:[0,1] neg_hi:[0,1]
	v_pk_add_f32 v[32:33], v[52:53], v[48:49] neg_lo:[0,1] neg_hi:[0,1]
	s_delay_alu instid0(VALU_DEP_3) | instskip(SKIP_1) | instid1(VALU_DEP_4)
	v_pk_add_f32 v[30:31], v[38:39], v[50:51] neg_lo:[0,1] neg_hi:[0,1]
	v_pk_add_f32 v[46:47], v[50:51], v[46:47] neg_lo:[0,1] neg_hi:[0,1]
	;; [unrolled: 1-line block ×3, first 2 shown]
	s_delay_alu instid0(VALU_DEP_4) | instskip(NEXT) | instid1(VALU_DEP_4)
	v_pk_add_f32 v[28:29], v[32:33], v[28:29] neg_lo:[0,1] neg_hi:[0,1]
	v_pk_add_f32 v[38:39], v[38:39], v[30:31] neg_lo:[0,1] neg_hi:[0,1]
	s_delay_alu instid0(VALU_DEP_4) | instskip(NEXT) | instid1(VALU_DEP_4)
	v_pk_add_f32 v[26:27], v[46:47], v[26:27] neg_lo:[0,1] neg_hi:[0,1]
	v_pk_add_f32 v[40:41], v[40:41], v[52:53] neg_lo:[0,1] neg_hi:[0,1]
	s_delay_alu instid0(VALU_DEP_3) | instskip(SKIP_1) | instid1(VALU_DEP_3)
	v_pk_add_f32 v[38:39], v[38:39], v[50:51] neg_lo:[0,1] neg_hi:[0,1]
	v_cvt_f32_i32_e32 v50, v57
	v_pk_add_f32 v[14:15], v[14:15], v[40:41]
	v_cvt_f32_i32_e32 v51, v59
	s_delay_alu instid0(VALU_DEP_4) | instskip(NEXT) | instid1(VALU_DEP_3)
	v_pk_add_f32 v[16:17], v[16:17], v[38:39]
	v_pk_add_f32 v[14:15], v[28:29], v[14:15]
	s_delay_alu instid0(VALU_DEP_2) | instskip(NEXT) | instid1(VALU_DEP_2)
	v_pk_add_f32 v[16:17], v[26:27], v[16:17]
	v_pk_add_f32 v[28:29], v[54:55], v[14:15]
	s_delay_alu instid0(VALU_DEP_2) | instskip(NEXT) | instid1(VALU_DEP_2)
	v_pk_add_f32 v[26:27], v[30:31], v[16:17]
	v_pk_mul_f32 v[38:39], v[22:23], v[28:29]
	v_pk_add_f32 v[52:53], v[54:55], v[28:29] neg_lo:[0,1] neg_hi:[0,1]
	s_delay_alu instid0(VALU_DEP_3) | instskip(SKIP_1) | instid1(VALU_DEP_4)
	v_pk_mul_f32 v[32:33], v[24:25], v[26:27]
	v_pk_add_f32 v[30:31], v[30:31], v[26:27] neg_lo:[0,1] neg_hi:[0,1]
	v_pk_mul_f32 v[46:47], v[34:35], v[38:39]
	s_delay_alu instid0(VALU_DEP_4) | instskip(NEXT) | instid1(VALU_DEP_4)
	v_pk_add_f32 v[14:15], v[14:15], v[52:53]
	v_pk_mul_f32 v[40:41], v[36:37], v[32:33]
	s_delay_alu instid0(VALU_DEP_4) | instskip(NEXT) | instid1(VALU_DEP_4)
	v_pk_add_f32 v[16:17], v[16:17], v[30:31]
	v_pk_fma_f32 v[34:35], v[38:39], v[34:35], v[46:47] neg_lo:[0,0,1] neg_hi:[0,0,1]
	s_delay_alu instid0(VALU_DEP_3) | instskip(NEXT) | instid1(VALU_DEP_2)
	v_pk_fma_f32 v[36:37], v[32:33], v[36:37], v[40:41] neg_lo:[0,0,1] neg_hi:[0,0,1]
	v_pk_fma_f32 v[18:19], v[38:39], v[18:19], v[34:35]
	v_cvt_f32_i32_e32 v34, v56
	v_cvt_f32_i32_e32 v35, v58
	s_delay_alu instid0(VALU_DEP_4) | instskip(NEXT) | instid1(VALU_DEP_4)
	v_pk_fma_f32 v[20:21], v[32:33], v[20:21], v[36:37]
	v_pk_add_f32 v[48:49], v[46:47], v[18:19]
	s_delay_alu instid0(VALU_DEP_2) | instskip(NEXT) | instid1(VALU_DEP_2)
	v_pk_add_f32 v[36:37], v[40:41], v[20:21]
	v_pk_add_f32 v[56:57], v[28:29], v[48:49] neg_lo:[0,1] neg_hi:[0,1]
	v_pk_add_f32 v[30:31], v[48:49], v[46:47] neg_lo:[0,1] neg_hi:[0,1]
	s_delay_alu instid0(VALU_DEP_3) | instskip(SKIP_1) | instid1(VALU_DEP_4)
	v_pk_add_f32 v[54:55], v[26:27], v[36:37] neg_lo:[0,1] neg_hi:[0,1]
	v_pk_add_f32 v[40:41], v[36:37], v[40:41] neg_lo:[0,1] neg_hi:[0,1]
	;; [unrolled: 1-line block ×3, first 2 shown]
	s_delay_alu instid0(VALU_DEP_4) | instskip(SKIP_4) | instid1(VALU_DEP_4)
	v_pk_add_f32 v[18:19], v[30:31], v[18:19] neg_lo:[0,1] neg_hi:[0,1]
	v_pk_add_f32 v[30:31], v[42:43], v[32:33]
	v_pk_add_f32 v[26:27], v[26:27], v[54:55] neg_lo:[0,1] neg_hi:[0,1]
	v_pk_add_f32 v[20:21], v[40:41], v[20:21] neg_lo:[0,1] neg_hi:[0,1]
	;; [unrolled: 1-line block ×4, first 2 shown]
	s_delay_alu instid0(VALU_DEP_4) | instskip(SKIP_1) | instid1(VALU_DEP_4)
	v_pk_add_f32 v[26:27], v[26:27], v[36:37] neg_lo:[0,1] neg_hi:[0,1]
	v_pk_mul_f32 v[36:37], v[50:51], s[2:3] op_sel_hi:[1,0]
	v_pk_add_f32 v[14:15], v[14:15], v[28:29]
	v_pk_add_f32 v[28:29], v[44:45], v[38:39]
	v_pk_add_f32 v[32:33], v[32:33], v[40:41] neg_lo:[0,1] neg_hi:[0,1]
	v_pk_add_f32 v[16:17], v[16:17], v[26:27]
	v_pk_mul_f32 v[26:27], v[34:35], s[2:3] op_sel_hi:[1,0]
	v_pk_add_f32 v[14:15], v[18:19], v[14:15]
	v_pk_fma_f32 v[42:43], v[50:51], s[2:3], v[36:37] op_sel_hi:[1,0,1] neg_lo:[0,0,1] neg_hi:[0,0,1]
	s_delay_alu instid0(VALU_DEP_4) | instskip(SKIP_1) | instid1(VALU_DEP_4)
	v_pk_add_f32 v[16:17], v[20:21], v[16:17]
	v_pk_add_f32 v[20:21], v[28:29], v[44:45] neg_lo:[0,1] neg_hi:[0,1]
	v_pk_add_f32 v[14:15], v[56:57], v[14:15]
	v_pk_fma_f32 v[18:19], v[34:35], s[2:3], v[26:27] op_sel_hi:[1,0,1] neg_lo:[0,0,1] neg_hi:[0,0,1]
	s_delay_alu instid0(VALU_DEP_4) | instskip(NEXT) | instid1(VALU_DEP_4)
	v_pk_add_f32 v[16:17], v[54:55], v[16:17]
	v_pk_add_f32 v[20:21], v[38:39], v[20:21] neg_lo:[0,1] neg_hi:[0,1]
	s_delay_alu instid0(VALU_DEP_4) | instskip(SKIP_3) | instid1(VALU_DEP_4)
	v_pk_mul_f32 v[14:15], v[22:23], v[14:15]
	v_pk_fma_f32 v[22:23], v[50:51], s[10:11], v[42:43] op_sel_hi:[1,0,1]
	v_pk_fma_f32 v[18:19], v[34:35], s[10:11], v[18:19] op_sel_hi:[1,0,1]
	v_pk_mul_f32 v[16:17], v[24:25], v[16:17]
	v_pk_add_f32 v[14:15], v[20:21], v[14:15]
	s_delay_alu instid0(VALU_DEP_4) | instskip(SKIP_1) | instid1(VALU_DEP_4)
	v_pk_add_f32 v[24:25], v[36:37], v[22:23]
	v_dual_mov_b32 v20, v36 :: v_dual_mov_b32 v40, v22
	v_pk_add_f32 v[16:17], v[32:33], v[16:17]
	s_delay_alu instid0(VALU_DEP_4) | instskip(NEXT) | instid1(VALU_DEP_4)
	v_pk_add_f32 v[38:39], v[28:29], v[14:15]
	v_dual_sub_f32 v52, v25, v37 :: v_dual_sub_f32 v53, v24, v36
	v_pk_add_f32 v[32:33], v[26:27], v[18:19]
	s_delay_alu instid0(VALU_DEP_4) | instskip(NEXT) | instid1(VALU_DEP_4)
	v_pk_add_f32 v[34:35], v[30:31], v[16:17]
	v_pk_mul_f32 v[42:43], v[38:39], v[38:39]
	v_pk_add_f32 v[28:29], v[38:39], v[28:29] neg_lo:[0,1] neg_hi:[0,1]
	v_ldexp_f32 v44, v38, 1
	v_ldexp_f32 v45, v39, 1
	v_pk_mul_f32 v[36:37], v[34:35], v[34:35]
	v_pk_fma_f32 v[48:49], v[42:43], s[6:7], s[4:5] op_sel_hi:[1,0,0]
	v_pk_mul_f32 v[38:39], v[38:39], v[42:43]
	v_pk_add_f32 v[30:31], v[34:35], v[30:31] neg_lo:[0,1] neg_hi:[0,1]
	v_sub_f32_e32 v54, v32, v26
	v_pk_fma_f32 v[46:47], v[36:37], s[6:7], s[4:5] op_sel_hi:[1,0,0]
	v_pk_mul_f32 v[50:51], v[34:35], v[36:37]
	v_pk_fma_f32 v[42:43], v[42:43], v[48:49], s[8:9] op_sel_hi:[1,1,0]
	v_pk_add_f32 v[14:15], v[14:15], v[28:29] neg_lo:[0,1] neg_hi:[0,1]
	v_pk_add_f32 v[16:17], v[16:17], v[30:31] neg_lo:[0,1] neg_hi:[0,1]
	v_pk_fma_f32 v[36:37], v[36:37], v[46:47], s[8:9] op_sel_hi:[1,1,0]
	v_ldexp_f32 v46, v34, 1
	v_ldexp_f32 v47, v35, 1
	;; [unrolled: 1-line block ×4, first 2 shown]
	v_pk_mul_f32 v[34:35], v[50:51], v[36:37]
	v_pk_mul_f32 v[36:37], v[38:39], v[42:43]
	v_sub_f32_e32 v38, v33, v27
	v_ldexp_f32 v41, v17, 1
	v_ldexp_f32 v16, v16, 1
	v_pk_add_f32 v[26:27], v[46:47], v[34:35]
	v_pk_add_f32 v[28:29], v[44:45], v[36:37]
	s_delay_alu instid0(VALU_DEP_4) | instskip(SKIP_1) | instid1(VALU_DEP_3)
	v_dual_sub_f32 v19, v19, v38 :: v_dual_mov_b32 v17, v41
	v_dual_sub_f32 v23, v23, v52 :: v_dual_sub_f32 v18, v18, v54
	v_dual_sub_f32 v21, v27, v47 :: v_dual_sub_f32 v30, v29, v45
	s_delay_alu instid0(VALU_DEP_4) | instskip(NEXT) | instid1(VALU_DEP_2)
	v_dual_sub_f32 v39, v28, v44 :: v_dual_sub_f32 v42, v26, v46
	v_dual_sub_f32 v21, v35, v21 :: v_dual_sub_f32 v31, v37, v30
	s_delay_alu instid0(VALU_DEP_2) | instskip(NEXT) | instid1(VALU_DEP_2)
	v_dual_sub_f32 v30, v36, v39 :: v_dual_sub_f32 v34, v34, v42
	v_dual_sub_f32 v36, v22, v53 :: v_dual_mov_b32 v35, v21
	v_pk_add_f32 v[20:21], v[40:41], v[20:21]
	s_delay_alu instid0(VALU_DEP_3) | instskip(NEXT) | instid1(VALU_DEP_3)
	v_pk_add_f32 v[14:15], v[14:15], v[30:31]
	v_pk_add_f32 v[30:31], v[16:17], v[34:35]
	v_mov_b32_e32 v35, v27
	s_delay_alu instid0(VALU_DEP_3) | instskip(NEXT) | instid1(VALU_DEP_3)
	v_pk_add_f32 v[38:39], v[28:29], v[14:15]
	v_mov_b32_e32 v17, v31
	s_delay_alu instid0(VALU_DEP_4) | instskip(NEXT) | instid1(VALU_DEP_3)
	v_pk_add_f32 v[40:41], v[26:27], v[30:31]
	v_pk_add_f32 v[42:43], v[32:33], v[38:39]
	v_dual_sub_f32 v22, v38, v28 :: v_dual_sub_f32 v37, v39, v29
	s_delay_alu instid0(VALU_DEP_4) | instskip(NEXT) | instid1(VALU_DEP_4)
	v_pk_add_f32 v[16:17], v[34:35], v[16:17]
	v_pk_add_f32 v[28:29], v[24:25], v[40:41]
	s_delay_alu instid0(VALU_DEP_4) | instskip(SKIP_2) | instid1(VALU_DEP_3)
	v_dual_sub_f32 v34, v42, v32 :: v_dual_sub_f32 v35, v43, v33
	v_dual_sub_f32 v44, v40, v26 :: v_dual_sub_f32 v41, v41, v27
	;; [unrolled: 1-line block ×4, first 2 shown]
	s_delay_alu instid0(VALU_DEP_4) | instskip(SKIP_2) | instid1(VALU_DEP_3)
	v_dual_sub_f32 v26, v38, v34 :: v_dual_sub_f32 v37, v29, v25
	v_dual_sub_f32 v38, v42, v34 :: v_dual_sub_f32 v39, v43, v35
	;; [unrolled: 1-line block ×4, first 2 shown]
	v_pk_add_f32 v[34:35], v[18:19], v[14:15]
	s_delay_alu instid0(VALU_DEP_4) | instskip(SKIP_1) | instid1(VALU_DEP_3)
	v_dual_sub_f32 v22, v40, v24 :: v_dual_sub_f32 v33, v33, v39
	v_dual_sub_f32 v24, v28, v24 :: v_dual_sub_f32 v17, v17, v37
	;; [unrolled: 1-line block ×3, first 2 shown]
	s_delay_alu instid0(VALU_DEP_2) | instskip(SKIP_1) | instid1(VALU_DEP_3)
	v_dual_sub_f32 v38, v34, v18 :: v_dual_sub_f32 v20, v20, v24
	v_sub_f32_e32 v37, v25, v30
	v_pk_add_f32 v[24:25], v[26:27], v[32:33]
	s_delay_alu instid0(VALU_DEP_3) | instskip(SKIP_1) | instid1(VALU_DEP_4)
	v_dual_sub_f32 v32, v35, v39 :: v_dual_sub_f32 v30, v34, v38
	v_dual_sub_f32 v15, v15, v39 :: v_dual_sub_f32 v14, v14, v38
	v_pk_add_f32 v[26:27], v[16:17], v[36:37]
	v_dual_mov_b32 v17, v21 :: v_dual_mov_b32 v37, v23
	s_delay_alu instid0(VALU_DEP_4)
	v_sub_f32_e32 v18, v18, v30
	v_pk_add_f32 v[20:21], v[22:23], v[20:21]
	v_pk_add_f32 v[24:25], v[24:25], v[34:35]
	v_sub_f32_e32 v19, v19, v32
	v_pk_add_f32 v[16:17], v[36:37], v[16:17]
	v_sub_f32_e32 v22, v31, v41
	v_pk_add_f32 v[30:31], v[20:21], v[26:27]
	v_pk_add_f32 v[32:33], v[42:43], v[24:25]
	s_delay_alu instid0(VALU_DEP_1) | instskip(SKIP_3) | instid1(VALU_DEP_4)
	v_sub_f32_e32 v20, v32, v42
	v_pk_add_f32 v[14:15], v[14:15], v[18:19]
	v_dual_sub_f32 v18, v16, v36 :: v_dual_sub_f32 v19, v17, v23
	v_pk_add_f32 v[16:17], v[28:29], v[30:31]
	v_dual_sub_f32 v27, v33, v43 :: v_dual_sub_f32 v20, v24, v20
	s_delay_alu instid0(VALU_DEP_3) | instskip(SKIP_1) | instid1(VALU_DEP_3)
	v_dual_sub_f32 v26, v26, v18 :: v_dual_sub_f32 v34, v21, v19
	v_dual_sub_f32 v19, v22, v19 :: v_dual_sub_f32 v18, v45, v18
	;; [unrolled: 1-line block ×3, first 2 shown]
	s_delay_alu instid0(VALU_DEP_3) | instskip(NEXT) | instid1(VALU_DEP_4)
	v_dual_sub_f32 v23, v23, v34 :: v_dual_sub_f32 v24, v17, v29
	v_sub_f32_e32 v22, v36, v26
	s_delay_alu instid0(VALU_DEP_3) | instskip(NEXT) | instid1(VALU_DEP_4)
	v_pk_add_f32 v[14:15], v[14:15], v[20:21]
	v_sub_f32_e32 v20, v30, v28
	s_delay_alu instid0(VALU_DEP_4) | instskip(NEXT) | instid1(VALU_DEP_4)
	v_sub_f32_e32 v21, v31, v24
	v_pk_add_f32 v[18:19], v[18:19], v[22:23]
	s_delay_alu instid0(VALU_DEP_4) | instskip(NEXT) | instid1(VALU_DEP_2)
	v_pk_add_f32 v[14:15], v[32:33], v[14:15]
	v_pk_add_f32 v[18:19], v[18:19], v[20:21]
	s_delay_alu instid0(VALU_DEP_2) | instskip(NEXT) | instid1(VALU_DEP_2)
	v_cvt_pk_f16_f32 v20, v14, v15
	v_pk_add_f32 v[14:15], v[16:17], v[18:19]
	s_delay_alu instid0(VALU_DEP_2) | instskip(SKIP_1) | instid1(VALU_DEP_3)
	v_dual_cndmask_b32 v17, 0x7c00, v20 :: v_dual_lshrrev_b32 v16, 16, v20
	v_cmp_neq_f16_e32 vcc_lo, 0x7c00, v9
	v_cvt_pk_f16_f32 v14, v14, v15
	s_delay_alu instid0(VALU_DEP_3)
	v_cndmask_b32_e32 v15, 0x7c00, v16, vcc_lo
	v_cmp_ngt_f16_e32 vcc_lo, -1.0, v6
	v_cndmask_b32_e32 v16, 0x7e00, v17, vcc_lo
	v_cmp_neq_f16_e32 vcc_lo, 0x7c00, v7
	v_dual_cndmask_b32 v14, 0x7c00, v14 :: v_dual_lshrrev_b32 v17, 16, v14
	v_cmp_ngt_f16_e32 vcc_lo, -1.0, v9
	v_cndmask_b32_e32 v15, 0x7e00, v15, vcc_lo
	v_cmp_neq_f16_e32 vcc_lo, -1.0, v6
	v_cndmask_b32_e32 v16, 0xfc00, v16, vcc_lo
	v_cmp_neq_f16_e32 vcc_lo, 0x7c00, v8
	v_cndmask_b32_e32 v17, 0x7c00, v17, vcc_lo
	v_cmp_ngt_f16_e32 vcc_lo, -1.0, v7
	v_cndmask_b32_e32 v14, 0x7e00, v14, vcc_lo
	v_cmp_neq_f16_e32 vcc_lo, -1.0, v9
	v_cndmask_b32_e32 v15, 0xfc00, v15, vcc_lo
	v_cmp_ngt_f16_e32 vcc_lo, -1.0, v8
	v_cndmask_b32_e32 v17, 0x7e00, v17, vcc_lo
	v_cmp_gt_f32_e64 vcc_lo, 0x33800000, |v12|
	v_cndmask_b32_e32 v12, v16, v6, vcc_lo
	v_cmp_neq_f16_e32 vcc_lo, -1.0, v7
	v_cndmask_b32_e32 v6, 0xfc00, v14, vcc_lo
	v_cmp_neq_f16_e32 vcc_lo, -1.0, v8
	v_cndmask_b32_e32 v14, 0xfc00, v17, vcc_lo
	v_cmp_gt_f32_e64 vcc_lo, 0x33800000, |v11|
	v_cndmask_b32_e32 v9, v15, v9, vcc_lo
	v_cmp_gt_f32_e64 vcc_lo, 0x33800000, |v10|
	;; [unrolled: 2-line block ×3, first 2 shown]
	v_lshlrev_b64_e32 v[6:7], 2, v[0:1]
	v_cndmask_b32_e32 v11, v14, v8, vcc_lo
	v_perm_b32 v8, v9, v12, 0x5040100
	s_delay_alu instid0(VALU_DEP_3) | instskip(NEXT) | instid1(VALU_DEP_3)
	v_cmp_ge_i64_e32 vcc_lo, v[6:7], v[2:3]
	v_perm_b32 v9, v11, v10, 0x5040100
	global_store_b64 v[4:5], v[8:9], off
	s_wait_xcnt 0x0
	v_add_nc_u64_e32 v[4:5], s[12:13], v[4:5]
	s_or_b32 s3, vcc_lo, s3
	s_delay_alu instid0(SALU_CYCLE_1)
	s_and_not1_b32 exec_lo, exec_lo, s3
	s_cbranch_execnz .LBB211_24
.LBB211_25:
	s_endpgm
	.section	.rodata,"a",@progbits
	.p2align	6, 0x0
	.amdhsa_kernel _ZN2at6native12_GLOBAL__N_125multi_tensor_apply_kernelINS1_18TensorListMetadataILi1EEENS1_14UnaryOpFunctorIN3c104HalfELi1ELi1ELi0EEEJNS0_5Log1pIfEEEEEvT_T0_DpT1_
		.amdhsa_group_segment_fixed_size 0
		.amdhsa_private_segment_fixed_size 0
		.amdhsa_kernarg_size 3632
		.amdhsa_user_sgpr_count 2
		.amdhsa_user_sgpr_dispatch_ptr 0
		.amdhsa_user_sgpr_queue_ptr 0
		.amdhsa_user_sgpr_kernarg_segment_ptr 1
		.amdhsa_user_sgpr_dispatch_id 0
		.amdhsa_user_sgpr_kernarg_preload_length 0
		.amdhsa_user_sgpr_kernarg_preload_offset 0
		.amdhsa_user_sgpr_private_segment_size 0
		.amdhsa_wavefront_size32 1
		.amdhsa_uses_dynamic_stack 0
		.amdhsa_enable_private_segment 0
		.amdhsa_system_sgpr_workgroup_id_x 1
		.amdhsa_system_sgpr_workgroup_id_y 0
		.amdhsa_system_sgpr_workgroup_id_z 0
		.amdhsa_system_sgpr_workgroup_info 0
		.amdhsa_system_vgpr_workitem_id 0
		.amdhsa_next_free_vgpr 60
		.amdhsa_next_free_sgpr 21
		.amdhsa_named_barrier_count 0
		.amdhsa_reserve_vcc 1
		.amdhsa_float_round_mode_32 0
		.amdhsa_float_round_mode_16_64 0
		.amdhsa_float_denorm_mode_32 3
		.amdhsa_float_denorm_mode_16_64 3
		.amdhsa_fp16_overflow 0
		.amdhsa_memory_ordered 1
		.amdhsa_forward_progress 1
		.amdhsa_inst_pref_size 51
		.amdhsa_round_robin_scheduling 0
		.amdhsa_exception_fp_ieee_invalid_op 0
		.amdhsa_exception_fp_denorm_src 0
		.amdhsa_exception_fp_ieee_div_zero 0
		.amdhsa_exception_fp_ieee_overflow 0
		.amdhsa_exception_fp_ieee_underflow 0
		.amdhsa_exception_fp_ieee_inexact 0
		.amdhsa_exception_int_div_zero 0
	.end_amdhsa_kernel
	.section	.text._ZN2at6native12_GLOBAL__N_125multi_tensor_apply_kernelINS1_18TensorListMetadataILi1EEENS1_14UnaryOpFunctorIN3c104HalfELi1ELi1ELi0EEEJNS0_5Log1pIfEEEEEvT_T0_DpT1_,"axG",@progbits,_ZN2at6native12_GLOBAL__N_125multi_tensor_apply_kernelINS1_18TensorListMetadataILi1EEENS1_14UnaryOpFunctorIN3c104HalfELi1ELi1ELi0EEEJNS0_5Log1pIfEEEEEvT_T0_DpT1_,comdat
.Lfunc_end211:
	.size	_ZN2at6native12_GLOBAL__N_125multi_tensor_apply_kernelINS1_18TensorListMetadataILi1EEENS1_14UnaryOpFunctorIN3c104HalfELi1ELi1ELi0EEEJNS0_5Log1pIfEEEEEvT_T0_DpT1_, .Lfunc_end211-_ZN2at6native12_GLOBAL__N_125multi_tensor_apply_kernelINS1_18TensorListMetadataILi1EEENS1_14UnaryOpFunctorIN3c104HalfELi1ELi1ELi0EEEJNS0_5Log1pIfEEEEEvT_T0_DpT1_
                                        ; -- End function
	.set _ZN2at6native12_GLOBAL__N_125multi_tensor_apply_kernelINS1_18TensorListMetadataILi1EEENS1_14UnaryOpFunctorIN3c104HalfELi1ELi1ELi0EEEJNS0_5Log1pIfEEEEEvT_T0_DpT1_.num_vgpr, 60
	.set _ZN2at6native12_GLOBAL__N_125multi_tensor_apply_kernelINS1_18TensorListMetadataILi1EEENS1_14UnaryOpFunctorIN3c104HalfELi1ELi1ELi0EEEJNS0_5Log1pIfEEEEEvT_T0_DpT1_.num_agpr, 0
	.set _ZN2at6native12_GLOBAL__N_125multi_tensor_apply_kernelINS1_18TensorListMetadataILi1EEENS1_14UnaryOpFunctorIN3c104HalfELi1ELi1ELi0EEEJNS0_5Log1pIfEEEEEvT_T0_DpT1_.numbered_sgpr, 21
	.set _ZN2at6native12_GLOBAL__N_125multi_tensor_apply_kernelINS1_18TensorListMetadataILi1EEENS1_14UnaryOpFunctorIN3c104HalfELi1ELi1ELi0EEEJNS0_5Log1pIfEEEEEvT_T0_DpT1_.num_named_barrier, 0
	.set _ZN2at6native12_GLOBAL__N_125multi_tensor_apply_kernelINS1_18TensorListMetadataILi1EEENS1_14UnaryOpFunctorIN3c104HalfELi1ELi1ELi0EEEJNS0_5Log1pIfEEEEEvT_T0_DpT1_.private_seg_size, 0
	.set _ZN2at6native12_GLOBAL__N_125multi_tensor_apply_kernelINS1_18TensorListMetadataILi1EEENS1_14UnaryOpFunctorIN3c104HalfELi1ELi1ELi0EEEJNS0_5Log1pIfEEEEEvT_T0_DpT1_.uses_vcc, 1
	.set _ZN2at6native12_GLOBAL__N_125multi_tensor_apply_kernelINS1_18TensorListMetadataILi1EEENS1_14UnaryOpFunctorIN3c104HalfELi1ELi1ELi0EEEJNS0_5Log1pIfEEEEEvT_T0_DpT1_.uses_flat_scratch, 0
	.set _ZN2at6native12_GLOBAL__N_125multi_tensor_apply_kernelINS1_18TensorListMetadataILi1EEENS1_14UnaryOpFunctorIN3c104HalfELi1ELi1ELi0EEEJNS0_5Log1pIfEEEEEvT_T0_DpT1_.has_dyn_sized_stack, 0
	.set _ZN2at6native12_GLOBAL__N_125multi_tensor_apply_kernelINS1_18TensorListMetadataILi1EEENS1_14UnaryOpFunctorIN3c104HalfELi1ELi1ELi0EEEJNS0_5Log1pIfEEEEEvT_T0_DpT1_.has_recursion, 0
	.set _ZN2at6native12_GLOBAL__N_125multi_tensor_apply_kernelINS1_18TensorListMetadataILi1EEENS1_14UnaryOpFunctorIN3c104HalfELi1ELi1ELi0EEEJNS0_5Log1pIfEEEEEvT_T0_DpT1_.has_indirect_call, 0
	.section	.AMDGPU.csdata,"",@progbits
; Kernel info:
; codeLenInByte = 6448
; TotalNumSgprs: 23
; NumVgprs: 60
; ScratchSize: 0
; MemoryBound: 0
; FloatMode: 240
; IeeeMode: 1
; LDSByteSize: 0 bytes/workgroup (compile time only)
; SGPRBlocks: 0
; VGPRBlocks: 3
; NumSGPRsForWavesPerEU: 23
; NumVGPRsForWavesPerEU: 60
; NamedBarCnt: 0
; Occupancy: 16
; WaveLimiterHint : 0
; COMPUTE_PGM_RSRC2:SCRATCH_EN: 0
; COMPUTE_PGM_RSRC2:USER_SGPR: 2
; COMPUTE_PGM_RSRC2:TRAP_HANDLER: 0
; COMPUTE_PGM_RSRC2:TGID_X_EN: 1
; COMPUTE_PGM_RSRC2:TGID_Y_EN: 0
; COMPUTE_PGM_RSRC2:TGID_Z_EN: 0
; COMPUTE_PGM_RSRC2:TIDIG_COMP_CNT: 0
	.section	.text._ZN2at6native12_GLOBAL__N_125multi_tensor_apply_kernelINS1_18TensorListMetadataILi1EEENS1_14UnaryOpFunctorIN3c108BFloat16ELi1ELi1ELi0EEEJNS0_5Log1pIfEEEEEvT_T0_DpT1_,"axG",@progbits,_ZN2at6native12_GLOBAL__N_125multi_tensor_apply_kernelINS1_18TensorListMetadataILi1EEENS1_14UnaryOpFunctorIN3c108BFloat16ELi1ELi1ELi0EEEJNS0_5Log1pIfEEEEEvT_T0_DpT1_,comdat
	.globl	_ZN2at6native12_GLOBAL__N_125multi_tensor_apply_kernelINS1_18TensorListMetadataILi1EEENS1_14UnaryOpFunctorIN3c108BFloat16ELi1ELi1ELi0EEEJNS0_5Log1pIfEEEEEvT_T0_DpT1_ ; -- Begin function _ZN2at6native12_GLOBAL__N_125multi_tensor_apply_kernelINS1_18TensorListMetadataILi1EEENS1_14UnaryOpFunctorIN3c108BFloat16ELi1ELi1ELi0EEEJNS0_5Log1pIfEEEEEvT_T0_DpT1_
	.p2align	8
	.type	_ZN2at6native12_GLOBAL__N_125multi_tensor_apply_kernelINS1_18TensorListMetadataILi1EEENS1_14UnaryOpFunctorIN3c108BFloat16ELi1ELi1ELi0EEEJNS0_5Log1pIfEEEEEvT_T0_DpT1_,@function
_ZN2at6native12_GLOBAL__N_125multi_tensor_apply_kernelINS1_18TensorListMetadataILi1EEENS1_14UnaryOpFunctorIN3c108BFloat16ELi1ELi1ELi0EEEJNS0_5Log1pIfEEEEEvT_T0_DpT1_: ; @_ZN2at6native12_GLOBAL__N_125multi_tensor_apply_kernelINS1_18TensorListMetadataILi1EEENS1_14UnaryOpFunctorIN3c108BFloat16ELi1ELi1ELi0EEEJNS0_5Log1pIfEEEEEvT_T0_DpT1_
; %bb.0:
	s_bfe_u32 s2, ttmp6, 0x4000c
	s_and_b32 s3, ttmp6, 15
	s_add_co_i32 s2, s2, 1
	s_getreg_b32 s4, hwreg(HW_REG_IB_STS2, 6, 4)
	s_mul_i32 s2, ttmp9, s2
	s_delay_alu instid0(SALU_CYCLE_1)
	s_add_co_i32 s3, s3, s2
	s_cmp_eq_u32 s4, 0
	s_cselect_b32 s2, ttmp9, s3
	s_mov_b32 s3, 0
	s_load_u8 s8, s[0:1], s2 offset:0x6e0
	s_add_nc_u64 s[4:5], s[0:1], s[2:3]
	s_mul_u64 s[6:7], s[2:3], 3
	s_delay_alu instid0(SALU_CYCLE_1)
	s_add_nc_u64 s[4:5], s[4:5], s[6:7]
	s_load_b32 s10, s[4:5], 0x820
	s_wait_kmcnt 0x0
	s_clause 0x1
	s_load_b64 s[6:7], s[0:1], s8 offset:0x0 scale_offset
	s_load_b64 s[12:13], s[0:1], s8 offset:0x370 scale_offset
	s_ashr_i32 s11, s10, 31
	s_wait_kmcnt 0x0
	s_and_b64 s[4:5], s[6:7], 7
	s_and_b32 s2, s12, 3
	s_lshl_b64 s[8:9], s[10:11], 17
	s_or_b64 s[2:3], s[4:5], s[2:3]
	s_lshl_b64 s[4:5], s[10:11], 16
	s_cmp_eq_u64 s[2:3], 0
	s_sub_nc_u64 s[10:11], s[12:13], s[4:5]
	s_cbranch_scc1 .LBB212_21
; %bb.1:
	v_cmp_lt_i64_e64 s2, s[10:11], 1
	s_and_b32 vcc_lo, exec_lo, s2
	s_cbranch_vccnz .LBB212_20
; %bb.2:
	s_load_b32 s2, s[0:1], 0xd3c
	v_min_i64 v[2:3], 0x10000, s[10:11]
	v_min_u64 v[4:5], 0x10000, s[10:11]
	v_dual_mov_b32 v1, 0 :: v_dual_lshlrev_b32 v8, 1, v0
	s_mov_b32 s3, 0
	s_add_nc_u64 s[4:5], s[6:7], s[8:9]
	s_mov_b32 s17, s3
	s_delay_alu instid0(VALU_DEP_1)
	v_dual_mov_b32 v15, v1 :: v_dual_mov_b32 v16, 0x3f317218
	s_mov_b32 s19, s3
	s_mov_b32 s13, s3
	;; [unrolled: 1-line block ×3, first 2 shown]
	s_wait_kmcnt 0x0
	s_and_b32 s2, s2, 0xffff
	s_delay_alu instid0(SALU_CYCLE_1)
	v_add_nc_u64_e32 v[6:7], s[2:3], v[0:1]
	v_mov_b32_e32 v9, v1
	s_lshl_b32 s16, s2, 1
	s_mul_i32 s18, s2, 3
	v_add_nc_u64_e32 v[12:13], s[16:17], v[0:1]
	v_add_nc_u64_e32 v[10:11], s[18:19], v[0:1]
	s_lshl_b32 s12, s2, 2
	v_lshlrev_b32_e32 v14, 1, v6
	v_add_nc_u64_e32 v[8:9], s[4:5], v[8:9]
	s_lshl_b32 s14, s2, 3
	s_mul_u64 s[16:17], s[2:3], 6
	s_mov_b64 s[18:19], 0
	v_add_nc_u64_e32 v[14:15], s[4:5], v[14:15]
	s_mov_b32 s5, 0x3e9b6dac
	s_branch .LBB212_4
.LBB212_3:                              ;   in Loop: Header=BB212_4 Depth=1
	s_wait_xcnt 0x0
	s_or_b32 exec_lo, exec_lo, s4
	s_add_nc_u64 s[18:19], s[18:19], s[12:13]
	v_add_nc_u64_e32 v[8:9], s[14:15], v[8:9]
	v_cmp_lt_i64_e32 vcc_lo, s[18:19], v[2:3]
	v_add_nc_u64_e32 v[14:15], s[14:15], v[14:15]
	s_cbranch_vccz .LBB212_20
.LBB212_4:                              ; =>This Inner Loop Header: Depth=1
	v_add_nc_u64_e32 v[18:19], s[18:19], v[0:1]
	v_mov_b32_e32 v25, 0
	s_delay_alu instid0(VALU_DEP_2)
	v_cmp_lt_u64_e64 s4, v[18:19], v[4:5]
	s_and_saveexec_b32 s2, s4
	s_cbranch_execz .LBB212_6
; %bb.5:                                ;   in Loop: Header=BB212_4 Depth=1
	global_load_u16 v17, v[8:9], off
	s_wait_loadcnt 0x0
	v_lshlrev_b32_e32 v25, 16, v17
.LBB212_6:                              ;   in Loop: Header=BB212_4 Depth=1
	s_wait_xcnt 0x0
	s_or_b32 exec_lo, exec_lo, s2
	v_add_nc_u64_e32 v[18:19], s[18:19], v[6:7]
	v_dual_mov_b32 v22, 0 :: v_dual_mov_b32 v24, 0
	s_delay_alu instid0(VALU_DEP_2)
	v_cmp_lt_u64_e64 s3, v[18:19], v[4:5]
	s_and_saveexec_b32 s2, s3
	s_cbranch_execz .LBB212_8
; %bb.7:                                ;   in Loop: Header=BB212_4 Depth=1
	global_load_u16 v17, v[14:15], off
	s_wait_loadcnt 0x0
	v_lshlrev_b32_e32 v24, 16, v17
.LBB212_8:                              ;   in Loop: Header=BB212_4 Depth=1
	s_wait_xcnt 0x0
	s_or_b32 exec_lo, exec_lo, s2
	v_add_nc_u64_e32 v[18:19], s[18:19], v[12:13]
	s_delay_alu instid0(VALU_DEP_1)
	v_cmp_lt_u64_e32 vcc_lo, v[18:19], v[4:5]
	v_add_nc_u64_e32 v[18:19], s[12:13], v[8:9]
	s_and_saveexec_b32 s2, vcc_lo
	s_cbranch_execz .LBB212_10
; %bb.9:                                ;   in Loop: Header=BB212_4 Depth=1
	global_load_u16 v17, v[18:19], off
	s_wait_loadcnt 0x0
	v_lshlrev_b32_e32 v22, 16, v17
.LBB212_10:                             ;   in Loop: Header=BB212_4 Depth=1
	s_wait_xcnt 0x0
	s_or_b32 exec_lo, exec_lo, s2
	v_add_nc_u64_e32 v[20:21], s[18:19], v[10:11]
	v_mov_b32_e32 v23, 0
	s_delay_alu instid0(VALU_DEP_2)
	v_cmp_lt_u64_e64 s2, v[20:21], v[4:5]
	v_add_nc_u64_e32 v[20:21], s[16:17], v[8:9]
	s_and_saveexec_b32 s20, s2
	s_cbranch_execnz .LBB212_18
; %bb.11:                               ;   in Loop: Header=BB212_4 Depth=1
	s_or_b32 exec_lo, exec_lo, s20
	s_and_saveexec_b32 s20, s4
	s_cbranch_execnz .LBB212_19
.LBB212_12:                             ;   in Loop: Header=BB212_4 Depth=1
	s_or_b32 exec_lo, exec_lo, s20
	s_and_saveexec_b32 s4, s3
	s_cbranch_execz .LBB212_14
.LBB212_13:                             ;   in Loop: Header=BB212_4 Depth=1
	v_add_f32_e32 v17, 1.0, v24
	s_delay_alu instid0(VALU_DEP_1) | instskip(NEXT) | instid1(VALU_DEP_1)
	v_cvt_f64_f32_e32 v[26:27], v17
	v_frexp_exp_i32_f64_e32 v25, v[26:27]
	v_frexp_mant_f32_e32 v26, v17
	s_delay_alu instid0(VALU_DEP_1) | instskip(NEXT) | instid1(VALU_DEP_1)
	v_cmp_gt_f32_e64 s3, 0x3f2aaaab, v26
	v_subrev_co_ci_u32_e64 v25, null, 0, v25, s3
	v_cmp_neq_f32_e64 s3, 0x7f800000, v24
	s_delay_alu instid0(VALU_DEP_2) | instskip(SKIP_1) | instid1(VALU_DEP_1)
	v_sub_nc_u32_e32 v27, 0, v25
	v_add_f32_e32 v26, -1.0, v17
	v_sub_f32_e32 v28, v26, v17
	s_delay_alu instid0(VALU_DEP_3) | instskip(NEXT) | instid1(VALU_DEP_2)
	v_ldexp_f32 v17, v17, v27
	v_dual_add_f32 v28, 1.0, v28 :: v_dual_sub_f32 v26, v24, v26
	s_delay_alu instid0(VALU_DEP_1) | instskip(NEXT) | instid1(VALU_DEP_1)
	v_dual_add_f32 v29, 1.0, v17 :: v_dual_add_f32 v26, v26, v28
	v_ldexp_f32 v26, v26, v27
	s_delay_alu instid0(VALU_DEP_2) | instskip(NEXT) | instid1(VALU_DEP_1)
	v_add_f32_e32 v28, -1.0, v29
	v_dual_add_f32 v31, -1.0, v17 :: v_dual_sub_f32 v27, v17, v28
	s_delay_alu instid0(VALU_DEP_1) | instskip(NEXT) | instid1(VALU_DEP_1)
	v_add_f32_e32 v30, v26, v27
	v_dual_add_f32 v28, 1.0, v31 :: v_dual_add_f32 v32, v29, v30
	s_delay_alu instid0(VALU_DEP_1) | instskip(NEXT) | instid1(VALU_DEP_1)
	v_rcp_f32_e32 v33, v32
	v_sub_f32_e32 v17, v17, v28
	s_delay_alu instid0(VALU_DEP_1) | instskip(SKIP_1) | instid1(VALU_DEP_1)
	v_add_f32_e32 v17, v26, v17
	v_sub_f32_e32 v26, v32, v29
	v_dual_add_f32 v27, v31, v17 :: v_dual_sub_f32 v35, v30, v26
	s_delay_alu instid0(TRANS32_DEP_1) | instid1(VALU_DEP_1)
	v_dual_mul_f32 v34, v27, v33 :: v_dual_sub_f32 v36, v27, v31
	s_delay_alu instid0(VALU_DEP_1) | instskip(NEXT) | instid1(VALU_DEP_1)
	v_dual_mul_f32 v28, v32, v34 :: v_dual_sub_f32 v17, v17, v36
	v_fma_f32 v30, v34, v32, -v28
	s_delay_alu instid0(VALU_DEP_1) | instskip(NEXT) | instid1(VALU_DEP_1)
	v_fmac_f32_e32 v30, v34, v35
	v_add_f32_e32 v26, v28, v30
	s_delay_alu instid0(VALU_DEP_1) | instskip(NEXT) | instid1(VALU_DEP_1)
	v_dual_sub_f32 v29, v27, v26 :: v_dual_mov_b32 v31, v26
	v_pk_add_f32 v[26:27], v[26:27], v[28:29] neg_lo:[0,1] neg_hi:[0,1]
	s_delay_alu instid0(VALU_DEP_1) | instskip(NEXT) | instid1(VALU_DEP_1)
	v_pk_add_f32 v[26:27], v[26:27], v[30:31] neg_lo:[0,1] neg_hi:[0,1]
	v_add_f32_e32 v17, v17, v27
	s_delay_alu instid0(VALU_DEP_1) | instskip(NEXT) | instid1(VALU_DEP_1)
	v_add_f32_e32 v17, v26, v17
	v_add_f32_e32 v27, v29, v17
	s_delay_alu instid0(VALU_DEP_1) | instskip(NEXT) | instid1(VALU_DEP_1)
	v_mul_f32_e32 v36, v33, v27
	v_mul_f32_e32 v30, v32, v36
	s_delay_alu instid0(VALU_DEP_1) | instskip(NEXT) | instid1(VALU_DEP_1)
	v_dual_fma_f32 v28, v36, v32, -v30 :: v_dual_sub_f32 v32, v29, v27
	v_dual_fmac_f32 v28, v36, v35 :: v_dual_add_f32 v17, v17, v32
	v_add_f32_e32 v32, v34, v36
	s_delay_alu instid0(VALU_DEP_2) | instskip(NEXT) | instid1(VALU_DEP_1)
	v_add_f32_e32 v26, v30, v28
	v_dual_sub_f32 v31, v27, v26 :: v_dual_mov_b32 v29, v26
	s_delay_alu instid0(VALU_DEP_1) | instskip(NEXT) | instid1(VALU_DEP_1)
	v_pk_add_f32 v[26:27], v[26:27], v[30:31] neg_lo:[0,1] neg_hi:[0,1]
	v_pk_add_f32 v[26:27], v[26:27], v[28:29] neg_lo:[0,1] neg_hi:[0,1]
	s_delay_alu instid0(VALU_DEP_1) | instskip(NEXT) | instid1(VALU_DEP_1)
	v_add_f32_e32 v17, v17, v27
	v_dual_add_f32 v17, v26, v17 :: v_dual_sub_f32 v26, v32, v34
	s_delay_alu instid0(VALU_DEP_1) | instskip(NEXT) | instid1(VALU_DEP_1)
	v_dual_add_f32 v17, v31, v17 :: v_dual_sub_f32 v26, v36, v26
	v_mul_f32_e32 v17, v33, v17
	s_delay_alu instid0(VALU_DEP_1) | instskip(SKIP_1) | instid1(VALU_DEP_2)
	v_add_f32_e32 v33, v26, v17
	v_cvt_f32_i32_e32 v26, v25
	v_add_f32_e32 v34, v32, v33
	s_delay_alu instid0(VALU_DEP_1) | instskip(NEXT) | instid1(VALU_DEP_1)
	v_mul_f32_e32 v17, v34, v34
	v_dual_fmaak_f32 v28, s5, v17, 0x3ecc95a3 :: v_dual_mul_f32 v27, v34, v17
	s_delay_alu instid0(VALU_DEP_1) | instskip(SKIP_1) | instid1(VALU_DEP_2)
	v_fmaak_f32 v17, v17, v28, 0x3f2aaada
	v_ldexp_f32 v31, v34, 1
	v_pk_mul_f32 v[28:29], v[26:27], v[16:17]
	v_sub_f32_e32 v17, v34, v32
	s_delay_alu instid0(VALU_DEP_2) | instskip(NEXT) | instid1(VALU_DEP_2)
	v_fma_f32 v30, 0x3f317218, v26, -v28
	v_dual_sub_f32 v17, v33, v17 :: v_dual_mov_b32 v32, v28
	s_delay_alu instid0(VALU_DEP_2) | instskip(NEXT) | instid1(VALU_DEP_2)
	v_fmac_f32_e32 v30, 0xb102e308, v26
	v_ldexp_f32 v17, v17, 1
	s_delay_alu instid0(VALU_DEP_2) | instskip(NEXT) | instid1(VALU_DEP_1)
	v_pk_add_f32 v[26:27], v[28:29], v[30:31]
	v_dual_sub_f32 v25, v27, v31 :: v_dual_mov_b32 v31, v26
	s_delay_alu instid0(VALU_DEP_1) | instskip(SKIP_1) | instid1(VALU_DEP_2)
	v_dual_mov_b32 v40, v27 :: v_dual_sub_f32 v25, v29, v25
	v_pk_add_f32 v[28:29], v[26:27], v[28:29] neg_lo:[0,1] neg_hi:[0,1]
	v_add_f32_e32 v33, v17, v25
	s_delay_alu instid0(VALU_DEP_1) | instskip(NEXT) | instid1(VALU_DEP_1)
	v_pk_add_f32 v[34:35], v[26:27], v[32:33]
	v_mov_b32_e32 v29, v35
	s_delay_alu instid0(VALU_DEP_1) | instskip(SKIP_1) | instid1(VALU_DEP_2)
	v_pk_add_f32 v[36:37], v[30:31], v[28:29]
	v_pk_add_f32 v[28:29], v[30:31], v[28:29] neg_lo:[0,1] neg_hi:[0,1]
	v_dual_mov_b32 v32, v37 :: v_dual_mov_b32 v29, v37
	s_delay_alu instid0(VALU_DEP_1) | instskip(SKIP_1) | instid1(VALU_DEP_2)
	v_pk_add_f32 v[38:39], v[32:33], v[26:27] neg_lo:[0,1] neg_hi:[0,1]
	v_dual_mov_b32 v36, v35 :: v_dual_mov_b32 v27, v26
	v_dual_mov_b32 v26, v33 :: v_dual_mov_b32 v41, v38
	v_mov_b32_e32 v17, v38
	s_delay_alu instid0(VALU_DEP_2) | instskip(NEXT) | instid1(VALU_DEP_2)
	v_pk_add_f32 v[38:39], v[36:37], v[40:41] neg_lo:[0,1] neg_hi:[0,1]
	v_pk_add_f32 v[30:31], v[34:35], v[16:17] neg_lo:[0,1] neg_hi:[0,1]
	v_mov_b32_e32 v30, v28
	s_delay_alu instid0(VALU_DEP_3) | instskip(NEXT) | instid1(VALU_DEP_1)
	v_pk_add_f32 v[26:27], v[26:27], v[38:39] neg_lo:[0,1] neg_hi:[0,1]
	v_pk_add_f32 v[30:31], v[30:31], v[26:27]
	s_delay_alu instid0(VALU_DEP_1) | instskip(NEXT) | instid1(VALU_DEP_1)
	v_mov_b32_e32 v34, v31
	v_pk_add_f32 v[34:35], v[30:31], v[34:35]
	s_delay_alu instid0(VALU_DEP_1) | instskip(NEXT) | instid1(VALU_DEP_1)
	v_pk_add_f32 v[32:33], v[32:33], v[34:35]
	v_dual_mov_b32 v27, v34 :: v_dual_mov_b32 v31, v32
	s_delay_alu instid0(VALU_DEP_1) | instskip(NEXT) | instid1(VALU_DEP_1)
	v_pk_add_f32 v[36:37], v[30:31], v[28:29] neg_lo:[0,1] neg_hi:[0,1]
	v_sub_f32_e32 v17, v30, v36
	s_delay_alu instid0(VALU_DEP_2) | instskip(NEXT) | instid1(VALU_DEP_2)
	v_pk_add_f32 v[26:27], v[26:27], v[36:37] neg_lo:[0,1] neg_hi:[0,1]
	v_sub_f32_e32 v17, v28, v17
	s_delay_alu instid0(VALU_DEP_1) | instskip(NEXT) | instid1(VALU_DEP_1)
	v_add_f32_e32 v17, v26, v17
	v_add_f32_e32 v17, v17, v27
	s_delay_alu instid0(VALU_DEP_1) | instskip(NEXT) | instid1(VALU_DEP_1)
	v_add_f32_e32 v17, v32, v17
	v_cndmask_b32_e64 v17, 0x7f800000, v17, s3
	v_cmp_ngt_f32_e64 s3, -1.0, v24
	s_delay_alu instid0(VALU_DEP_1) | instskip(SKIP_1) | instid1(VALU_DEP_1)
	v_cndmask_b32_e64 v17, 0x7fc00000, v17, s3
	v_cmp_neq_f32_e64 s3, -1.0, v24
	v_cndmask_b32_e64 v17, 0xff800000, v17, s3
	v_cmp_gt_f32_e64 s3, 0x33800000, |v24|
	s_delay_alu instid0(VALU_DEP_1) | instskip(NEXT) | instid1(VALU_DEP_1)
	v_cndmask_b32_e64 v17, v17, v24, s3
	v_bfe_u32 v24, v17, 16, 1
	v_cmp_o_f32_e64 s3, v17, v17
	s_delay_alu instid0(VALU_DEP_2) | instskip(NEXT) | instid1(VALU_DEP_1)
	v_add3_u32 v24, v17, v24, 0x7fff
	v_lshrrev_b32_e32 v24, 16, v24
	s_delay_alu instid0(VALU_DEP_1)
	v_cndmask_b32_e64 v17, 0x7fc0, v24, s3
	global_store_b16 v[14:15], v17, off
.LBB212_14:                             ;   in Loop: Header=BB212_4 Depth=1
	s_wait_xcnt 0x0
	s_or_b32 exec_lo, exec_lo, s4
	v_dual_add_f32 v17, 1.0, v22 :: v_dual_add_f32 v28, 1.0, v23
	s_delay_alu instid0(VALU_DEP_1) | instskip(NEXT) | instid1(VALU_DEP_2)
	v_cvt_f64_f32_e32 v[24:25], v17
	v_cvt_f64_f32_e32 v[26:27], v28
	s_delay_alu instid0(VALU_DEP_2) | instskip(NEXT) | instid1(VALU_DEP_2)
	v_frexp_exp_i32_f64_e32 v24, v[24:25]
	v_frexp_exp_i32_f64_e32 v25, v[26:27]
	v_frexp_mant_f32_e32 v26, v17
	s_delay_alu instid0(VALU_DEP_1) | instskip(NEXT) | instid1(VALU_DEP_1)
	v_cmp_gt_f32_e64 s3, 0x3f2aaaab, v26
	v_subrev_co_ci_u32_e64 v36, null, 0, v24, s3
	v_frexp_mant_f32_e32 v24, v28
	s_delay_alu instid0(VALU_DEP_2) | instskip(NEXT) | instid1(VALU_DEP_2)
	v_dual_add_f32 v26, -1.0, v17 :: v_dual_sub_nc_u32 v27, 0, v36
	v_cmp_gt_f32_e64 s3, 0x3f2aaaab, v24
	v_add_f32_e32 v24, -1.0, v28
	s_delay_alu instid0(VALU_DEP_2) | instskip(NEXT) | instid1(VALU_DEP_4)
	v_subrev_co_ci_u32_e64 v37, null, 0, v25, s3
	v_sub_f32_e32 v25, v26, v17
	v_ldexp_f32 v17, v17, v27
	s_delay_alu instid0(VALU_DEP_3) | instskip(NEXT) | instid1(VALU_DEP_3)
	v_dual_sub_f32 v26, v22, v26 :: v_dual_sub_nc_u32 v29, 0, v37
	v_dual_sub_f32 v30, v24, v28 :: v_dual_add_f32 v25, 1.0, v25
	s_delay_alu instid0(VALU_DEP_3) | instskip(NEXT) | instid1(VALU_DEP_3)
	v_dual_add_f32 v31, 1.0, v17 :: v_dual_sub_f32 v24, v23, v24
	v_ldexp_f32 v28, v28, v29
	s_delay_alu instid0(VALU_DEP_3) | instskip(NEXT) | instid1(VALU_DEP_3)
	v_dual_add_f32 v30, 1.0, v30 :: v_dual_add_f32 v25, v26, v25
	v_dual_add_f32 v26, -1.0, v31 :: v_dual_add_f32 v33, -1.0, v17
	s_delay_alu instid0(VALU_DEP_2) | instskip(NEXT) | instid1(VALU_DEP_3)
	v_dual_add_f32 v32, 1.0, v28 :: v_dual_add_f32 v24, v24, v30
	v_ldexp_f32 v25, v25, v27
	s_delay_alu instid0(VALU_DEP_3) | instskip(SKIP_1) | instid1(VALU_DEP_4)
	v_dual_sub_f32 v26, v17, v26 :: v_dual_add_f32 v30, 1.0, v33
	v_add_f32_e32 v35, -1.0, v28
	v_add_f32_e32 v27, -1.0, v32
	v_ldexp_f32 v24, v24, v29
	s_delay_alu instid0(VALU_DEP_4) | instskip(NEXT) | instid1(VALU_DEP_4)
	v_add_f32_e32 v26, v25, v26
	v_dual_sub_f32 v17, v17, v30 :: v_dual_add_f32 v29, 1.0, v35
	s_delay_alu instid0(VALU_DEP_4) | instskip(SKIP_1) | instid1(VALU_DEP_2)
	v_sub_f32_e32 v27, v28, v27
	v_cmp_neq_f32_e64 s3, 0x7f800000, v22
	v_dual_add_f32 v38, v31, v26 :: v_dual_add_f32 v34, v24, v27
	s_delay_alu instid0(VALU_DEP_4) | instskip(NEXT) | instid1(VALU_DEP_2)
	v_add_f32_e32 v17, v25, v17
	v_rcp_f32_e32 v39, v38
	s_delay_alu instid0(VALU_DEP_1) | instskip(SKIP_1) | instid1(VALU_DEP_2)
	v_dual_add_f32 v40, v32, v34 :: v_dual_add_f32 v25, v33, v17
	v_sub_f32_e32 v27, v28, v29
	v_rcp_f32_e32 v42, v40
	s_delay_alu instid0(TRANS32_DEP_2) | instid1(VALU_DEP_2)
	v_mul_f32_e32 v43, v25, v39
	s_delay_alu instid0(VALU_DEP_2) | instskip(SKIP_1) | instid1(VALU_DEP_2)
	v_add_f32_e32 v41, v24, v27
	v_dual_sub_f32 v24, v38, v31 :: v_dual_sub_f32 v47, v25, v33
	v_dual_add_f32 v27, v35, v41 :: v_dual_mul_f32 v28, v38, v43
	s_delay_alu instid0(TRANS32_DEP_1) | instid1(VALU_DEP_1)
	v_dual_mul_f32 v44, v27, v42 :: v_dual_sub_f32 v29, v40, v32
	s_delay_alu instid0(VALU_DEP_2) | instskip(NEXT) | instid1(VALU_DEP_2)
	v_dual_fma_f32 v30, v43, v38, -v28 :: v_dual_sub_f32 v45, v26, v24
	v_dual_mul_f32 v32, v40, v44 :: v_dual_sub_f32 v46, v34, v29
	s_delay_alu instid0(VALU_DEP_1) | instskip(NEXT) | instid1(VALU_DEP_1)
	v_dual_fmac_f32 v30, v43, v45 :: v_dual_fma_f32 v34, v44, v40, -v32
	v_add_f32_e32 v24, v28, v30
	s_delay_alu instid0(VALU_DEP_1) | instskip(NEXT) | instid1(VALU_DEP_1)
	v_dual_fmac_f32 v34, v44, v46 :: v_dual_sub_f32 v29, v25, v24
	v_add_f32_e32 v26, v32, v34
	v_mov_b32_e32 v31, v24
	s_delay_alu instid0(VALU_DEP_3) | instskip(NEXT) | instid1(VALU_DEP_3)
	v_pk_add_f32 v[24:25], v[24:25], v[28:29] neg_lo:[0,1] neg_hi:[0,1]
	v_dual_sub_f32 v28, v27, v35 :: v_dual_mov_b32 v35, v26
	v_sub_f32_e32 v33, v27, v26
	s_delay_alu instid0(VALU_DEP_3) | instskip(NEXT) | instid1(VALU_DEP_2)
	v_pk_add_f32 v[24:25], v[24:25], v[30:31] neg_lo:[0,1] neg_hi:[0,1]
	v_pk_add_f32 v[26:27], v[26:27], v[32:33] neg_lo:[0,1] neg_hi:[0,1]
	s_delay_alu instid0(VALU_DEP_1) | instskip(SKIP_1) | instid1(VALU_DEP_1)
	v_pk_add_f32 v[26:27], v[26:27], v[34:35] neg_lo:[0,1] neg_hi:[0,1]
	v_sub_f32_e32 v17, v17, v47
	v_add_f32_e32 v17, v17, v25
	s_delay_alu instid0(VALU_DEP_1) | instskip(NEXT) | instid1(VALU_DEP_1)
	v_dual_sub_f32 v28, v41, v28 :: v_dual_add_f32 v17, v24, v17
	v_dual_add_f32 v24, v28, v27 :: v_dual_add_f32 v25, v29, v17
	s_delay_alu instid0(VALU_DEP_1) | instskip(NEXT) | instid1(VALU_DEP_1)
	v_add_f32_e32 v41, v26, v24
	v_add_f32_e32 v27, v33, v41
	s_delay_alu instid0(VALU_DEP_1) | instskip(NEXT) | instid1(VALU_DEP_1)
	v_dual_mul_f32 v47, v39, v25 :: v_dual_mul_f32 v48, v42, v27
	v_mul_f32_e32 v30, v38, v47
	s_delay_alu instid0(VALU_DEP_1) | instskip(SKIP_1) | instid1(VALU_DEP_2)
	v_dual_fma_f32 v28, v47, v38, -v30 :: v_dual_mul_f32 v34, v40, v48
	v_sub_f32_e32 v38, v29, v25
	v_dual_fmac_f32 v28, v47, v45 :: v_dual_fma_f32 v32, v48, v40, -v34
	s_delay_alu instid0(VALU_DEP_2) | instskip(SKIP_1) | instid1(VALU_DEP_3)
	v_dual_add_f32 v17, v17, v38 :: v_dual_add_f32 v38, v43, v47
	v_add_f32_e32 v40, v44, v48
	v_dual_add_f32 v24, v30, v28 :: v_dual_fmac_f32 v32, v48, v46
	s_delay_alu instid0(VALU_DEP_1) | instskip(NEXT) | instid1(VALU_DEP_2)
	v_dual_sub_f32 v31, v25, v24 :: v_dual_mov_b32 v29, v24
	v_add_f32_e32 v26, v34, v32
	s_delay_alu instid0(VALU_DEP_2) | instskip(NEXT) | instid1(VALU_DEP_2)
	v_pk_add_f32 v[24:25], v[24:25], v[30:31] neg_lo:[0,1] neg_hi:[0,1]
	v_dual_sub_f32 v30, v33, v27 :: v_dual_sub_f32 v35, v27, v26
	v_mov_b32_e32 v33, v26
	s_delay_alu instid0(VALU_DEP_3) | instskip(NEXT) | instid1(VALU_DEP_3)
	v_pk_add_f32 v[24:25], v[24:25], v[28:29] neg_lo:[0,1] neg_hi:[0,1]
	v_pk_add_f32 v[26:27], v[26:27], v[34:35] neg_lo:[0,1] neg_hi:[0,1]
	s_delay_alu instid0(VALU_DEP_1) | instskip(NEXT) | instid1(VALU_DEP_3)
	v_pk_add_f32 v[26:27], v[26:27], v[32:33] neg_lo:[0,1] neg_hi:[0,1]
	v_add_f32_e32 v17, v17, v25
	v_dual_add_f32 v28, v41, v30 :: v_dual_sub_f32 v25, v38, v43
	s_delay_alu instid0(VALU_DEP_2) | instskip(NEXT) | instid1(VALU_DEP_2)
	v_add_f32_e32 v17, v24, v17
	v_dual_add_f32 v24, v28, v27 :: v_dual_sub_f32 v25, v47, v25
	s_delay_alu instid0(VALU_DEP_1) | instskip(NEXT) | instid1(VALU_DEP_1)
	v_dual_add_f32 v17, v31, v17 :: v_dual_add_f32 v24, v26, v24
	v_dual_sub_f32 v26, v40, v44 :: v_dual_mul_f32 v17, v39, v17
	s_delay_alu instid0(VALU_DEP_1) | instskip(NEXT) | instid1(VALU_DEP_1)
	v_dual_sub_f32 v26, v48, v26 :: v_dual_add_f32 v24, v35, v24
	v_dual_add_f32 v39, v25, v17 :: v_dual_mul_f32 v17, v42, v24
	v_cvt_f32_i32_e32 v24, v36
	s_delay_alu instid0(VALU_DEP_2) | instskip(NEXT) | instid1(VALU_DEP_3)
	v_add_f32_e32 v41, v38, v39
	v_add_f32_e32 v42, v26, v17
	s_delay_alu instid0(VALU_DEP_1) | instskip(NEXT) | instid1(VALU_DEP_1)
	v_add_f32_e32 v43, v40, v42
	v_dual_mul_f32 v30, v43, v43 :: v_dual_mul_f32 v17, v41, v41
	v_sub_f32_e32 v36, v43, v40
	v_ldexp_f32 v35, v43, 1
	s_delay_alu instid0(VALU_DEP_3) | instskip(SKIP_1) | instid1(VALU_DEP_4)
	v_dual_mul_f32 v27, v43, v30 :: v_dual_fmaak_f32 v26, s5, v17, 0x3ecc95a3
	v_mul_f32_e32 v25, v41, v17
	v_dual_fmaak_f32 v31, s5, v30, 0x3ecc95a3 :: v_dual_sub_f32 v36, v42, v36
	v_ldexp_f32 v33, v41, 1
	s_delay_alu instid0(VALU_DEP_4) | instskip(SKIP_1) | instid1(VALU_DEP_2)
	v_fmaak_f32 v17, v17, v26, 0x3f2aaada
	v_cvt_f32_i32_e32 v26, v37
	v_pk_mul_f32 v[28:29], v[24:25], v[16:17]
	v_fmaak_f32 v17, v30, v31, 0x3f2aaada
	s_delay_alu instid0(VALU_DEP_2) | instskip(NEXT) | instid1(VALU_DEP_2)
	v_fma_f32 v32, 0x3f317218, v24, -v28
	v_pk_mul_f32 v[30:31], v[26:27], v[16:17]
	s_delay_alu instid0(VALU_DEP_2) | instskip(NEXT) | instid1(VALU_DEP_2)
	v_dual_sub_f32 v17, v41, v38 :: v_dual_fmac_f32 v32, 0xb102e308, v24
	v_fma_f32 v34, 0x3f317218, v26, -v30
	s_delay_alu instid0(VALU_DEP_2)
	v_sub_f32_e32 v17, v39, v17
	v_ldexp_f32 v39, v36, 1
	v_mov_b32_e32 v36, v28
	v_pk_add_f32 v[24:25], v[28:29], v[32:33]
	v_fmac_f32_e32 v34, 0xb102e308, v26
	v_ldexp_f32 v17, v17, 1
	s_delay_alu instid0(VALU_DEP_3) | instskip(NEXT) | instid1(VALU_DEP_3)
	v_dual_mov_b32 v38, v30 :: v_dual_mov_b32 v49, v24
	v_pk_add_f32 v[26:27], v[30:31], v[34:35]
	s_delay_alu instid0(VALU_DEP_1) | instskip(SKIP_1) | instid1(VALU_DEP_2)
	v_dual_sub_f32 v35, v27, v35 :: v_dual_sub_f32 v33, v25, v33
	v_mov_b32_e32 v50, v27
	v_dual_sub_f32 v35, v31, v35 :: v_dual_sub_f32 v33, v29, v33
	v_pk_add_f32 v[28:29], v[24:25], v[28:29] neg_lo:[0,1] neg_hi:[0,1]
	v_pk_add_f32 v[30:31], v[26:27], v[30:31] neg_lo:[0,1] neg_hi:[0,1]
	s_delay_alu instid0(VALU_DEP_3) | instskip(NEXT) | instid1(VALU_DEP_1)
	v_dual_add_f32 v39, v39, v35 :: v_dual_add_f32 v37, v17, v33
	v_pk_add_f32 v[42:43], v[26:27], v[38:39]
	s_delay_alu instid0(VALU_DEP_2) | instskip(SKIP_1) | instid1(VALU_DEP_3)
	v_pk_add_f32 v[40:41], v[24:25], v[36:37]
	v_dual_mov_b32 v33, v24 :: v_dual_mov_b32 v35, v26
	v_dual_mov_b32 v36, v25 :: v_dual_mov_b32 v31, v43
	s_delay_alu instid0(VALU_DEP_3) | instskip(SKIP_1) | instid1(VALU_DEP_3)
	v_dual_mov_b32 v29, v41 :: v_dual_mov_b32 v48, v37
	v_mov_b32_e32 v52, v39
	v_pk_add_f32 v[46:47], v[34:35], v[30:31]
	s_delay_alu instid0(VALU_DEP_3) | instskip(SKIP_2) | instid1(VALU_DEP_3)
	v_pk_add_f32 v[44:45], v[32:33], v[28:29]
	v_mov_b32_e32 v53, v26
	v_pk_add_f32 v[28:29], v[32:33], v[28:29] neg_lo:[0,1] neg_hi:[0,1]
	v_dual_mov_b32 v44, v47 :: v_dual_mov_b32 v38, v45
	v_mov_b32_e32 v29, v45
	s_delay_alu instid0(VALU_DEP_2) | instskip(NEXT) | instid1(VALU_DEP_3)
	v_pk_add_f32 v[26:27], v[44:45], v[26:27] neg_lo:[0,1] neg_hi:[0,1]
	v_pk_add_f32 v[24:25], v[38:39], v[24:25] neg_lo:[0,1] neg_hi:[0,1]
	v_dual_mov_b32 v44, v41 :: v_dual_mov_b32 v46, v43
	s_delay_alu instid0(VALU_DEP_2) | instskip(SKIP_3) | instid1(VALU_DEP_4)
	v_dual_mov_b32 v51, v26 :: v_dual_mov_b32 v37, v24
	v_mov_b32_e32 v17, v24
	v_pk_add_f32 v[24:25], v[34:35], v[30:31] neg_lo:[0,1] neg_hi:[0,1]
	v_mov_b32_e32 v25, v26
	v_pk_add_f32 v[32:33], v[46:47], v[50:51] neg_lo:[0,1] neg_hi:[0,1]
	v_pk_add_f32 v[30:31], v[44:45], v[36:37] neg_lo:[0,1] neg_hi:[0,1]
	;; [unrolled: 1-line block ×3, first 2 shown]
	v_mov_b32_e32 v26, v28
	v_pk_add_f32 v[34:35], v[42:43], v[24:25] neg_lo:[0,1] neg_hi:[0,1]
	v_mov_b32_e32 v34, v24
	v_pk_add_f32 v[30:31], v[48:49], v[30:31] neg_lo:[0,1] neg_hi:[0,1]
	v_pk_add_f32 v[32:33], v[52:53], v[32:33] neg_lo:[0,1] neg_hi:[0,1]
	v_mov_b32_e32 v44, v47
	s_delay_alu instid0(VALU_DEP_3) | instskip(NEXT) | instid1(VALU_DEP_3)
	v_pk_add_f32 v[26:27], v[26:27], v[30:31]
	v_pk_add_f32 v[34:35], v[34:35], v[32:33]
	s_delay_alu instid0(VALU_DEP_2) | instskip(NEXT) | instid1(VALU_DEP_2)
	v_dual_mov_b32 v37, v26 :: v_dual_mov_b32 v39, v27
	v_dual_mov_b32 v36, v34 :: v_dual_mov_b32 v38, v35
	s_delay_alu instid0(VALU_DEP_1) | instskip(NEXT) | instid1(VALU_DEP_1)
	v_pk_add_f32 v[38:39], v[36:37], v[38:39]
	v_pk_add_f32 v[40:41], v[44:45], v[38:39]
	v_dual_mov_b32 v25, v47 :: v_dual_mov_b32 v31, v39
	s_delay_alu instid0(VALU_DEP_2) | instskip(NEXT) | instid1(VALU_DEP_1)
	v_dual_mov_b32 v27, v41 :: v_dual_mov_b32 v35, v40
	v_pk_add_f32 v[26:27], v[26:27], v[28:29] neg_lo:[0,1] neg_hi:[0,1]
	s_delay_alu instid0(VALU_DEP_2) | instskip(SKIP_1) | instid1(VALU_DEP_2)
	v_pk_add_f32 v[34:35], v[34:35], v[24:25] neg_lo:[0,1] neg_hi:[0,1]
	v_dual_mov_b32 v33, v38 :: v_dual_mov_b32 v25, v28
	v_dual_mov_b32 v39, v26 :: v_dual_mov_b32 v38, v34
	s_delay_alu instid0(VALU_DEP_2) | instskip(SKIP_1) | instid1(VALU_DEP_3)
	v_pk_add_f32 v[28:29], v[32:33], v[34:35] neg_lo:[0,1] neg_hi:[0,1]
	v_pk_add_f32 v[26:27], v[30:31], v[26:27] neg_lo:[0,1] neg_hi:[0,1]
	;; [unrolled: 1-line block ×3, first 2 shown]
	s_delay_alu instid0(VALU_DEP_2) | instskip(NEXT) | instid1(VALU_DEP_4)
	v_dual_mov_b32 v32, v28 :: v_dual_mov_b32 v33, v26
	v_mov_b32_e32 v26, v29
	s_delay_alu instid0(VALU_DEP_3) | instskip(NEXT) | instid1(VALU_DEP_1)
	v_pk_add_f32 v[24:25], v[24:25], v[30:31] neg_lo:[0,1] neg_hi:[0,1]
	v_pk_add_f32 v[24:25], v[32:33], v[24:25]
	s_delay_alu instid0(VALU_DEP_1) | instskip(NEXT) | instid1(VALU_DEP_1)
	v_pk_add_f32 v[24:25], v[24:25], v[26:27]
	v_pk_add_f32 v[24:25], v[40:41], v[24:25]
	s_delay_alu instid0(VALU_DEP_1) | instskip(SKIP_1) | instid1(VALU_DEP_1)
	v_cndmask_b32_e64 v17, 0x7f800000, v25, s3
	v_cmp_neq_f32_e64 s3, 0x7f800000, v23
	v_cndmask_b32_e64 v24, 0x7f800000, v24, s3
	v_cmp_ngt_f32_e64 s3, -1.0, v22
	s_delay_alu instid0(VALU_DEP_1) | instskip(SKIP_1) | instid1(VALU_DEP_1)
	v_cndmask_b32_e64 v17, 0x7fc00000, v17, s3
	v_cmp_ngt_f32_e64 s3, -1.0, v23
	v_cndmask_b32_e64 v24, 0x7fc00000, v24, s3
	v_cmp_neq_f32_e64 s3, -1.0, v22
	s_delay_alu instid0(VALU_DEP_1) | instskip(SKIP_1) | instid1(VALU_DEP_1)
	v_cndmask_b32_e64 v17, 0xff800000, v17, s3
	v_cmp_neq_f32_e64 s3, -1.0, v23
	v_cndmask_b32_e64 v24, 0xff800000, v24, s3
	v_cmp_gt_f32_e64 s3, 0x33800000, |v22|
	s_delay_alu instid0(VALU_DEP_1) | instskip(SKIP_1) | instid1(VALU_DEP_2)
	v_cndmask_b32_e64 v22, v17, v22, s3
	v_cmp_gt_f32_e64 s3, 0x33800000, |v23|
	v_cmp_u_f32_e64 s4, v22, v22
	s_delay_alu instid0(VALU_DEP_2) | instskip(NEXT) | instid1(VALU_DEP_1)
	v_cndmask_b32_e64 v17, v24, v23, s3
	v_cmp_u_f32_e64 s3, v17, v17
	s_and_saveexec_b32 s20, vcc_lo
	s_cbranch_execz .LBB212_16
; %bb.15:                               ;   in Loop: Header=BB212_4 Depth=1
	v_bfe_u32 v23, v22, 16, 1
	s_delay_alu instid0(VALU_DEP_1) | instskip(NEXT) | instid1(VALU_DEP_1)
	v_add3_u32 v22, v22, v23, 0x7fff
	v_lshrrev_b32_e32 v22, 16, v22
	s_delay_alu instid0(VALU_DEP_1)
	v_cndmask_b32_e64 v22, v22, 0x7fc0, s4
	global_store_b16 v[18:19], v22, off
.LBB212_16:                             ;   in Loop: Header=BB212_4 Depth=1
	s_wait_xcnt 0x0
	s_or_b32 exec_lo, exec_lo, s20
	s_and_saveexec_b32 s4, s2
	s_cbranch_execz .LBB212_3
; %bb.17:                               ;   in Loop: Header=BB212_4 Depth=1
	v_bfe_u32 v18, v17, 16, 1
	s_delay_alu instid0(VALU_DEP_1) | instskip(NEXT) | instid1(VALU_DEP_1)
	v_add3_u32 v17, v17, v18, 0x7fff
	v_lshrrev_b32_e32 v17, 16, v17
	s_delay_alu instid0(VALU_DEP_1)
	v_cndmask_b32_e64 v17, v17, 0x7fc0, s3
	global_store_b16 v[20:21], v17, off
	s_branch .LBB212_3
.LBB212_18:                             ;   in Loop: Header=BB212_4 Depth=1
	global_load_u16 v17, v[20:21], off
	s_wait_loadcnt 0x0
	v_lshlrev_b32_e32 v23, 16, v17
	s_wait_xcnt 0x0
	s_or_b32 exec_lo, exec_lo, s20
	s_and_saveexec_b32 s20, s4
	s_cbranch_execz .LBB212_12
.LBB212_19:                             ;   in Loop: Header=BB212_4 Depth=1
	v_add_f32_e32 v17, 1.0, v25
	s_delay_alu instid0(VALU_DEP_1) | instskip(NEXT) | instid1(VALU_DEP_1)
	v_cvt_f64_f32_e32 v[26:27], v17
	v_frexp_exp_i32_f64_e32 v26, v[26:27]
	v_frexp_mant_f32_e32 v27, v17
	s_delay_alu instid0(VALU_DEP_1) | instskip(NEXT) | instid1(VALU_DEP_1)
	v_cmp_gt_f32_e64 s4, 0x3f2aaaab, v27
	v_subrev_co_ci_u32_e64 v32, null, 0, v26, s4
	v_cmp_neq_f32_e64 s4, 0x7f800000, v25
	s_delay_alu instid0(VALU_DEP_2) | instskip(NEXT) | instid1(VALU_DEP_1)
	v_dual_add_f32 v26, -1.0, v17 :: v_dual_sub_nc_u32 v27, 0, v32
	v_sub_f32_e32 v28, v26, v17
	s_delay_alu instid0(VALU_DEP_2) | instskip(NEXT) | instid1(VALU_DEP_2)
	v_ldexp_f32 v17, v17, v27
	v_dual_add_f32 v28, 1.0, v28 :: v_dual_sub_f32 v26, v25, v26
	s_delay_alu instid0(VALU_DEP_1) | instskip(NEXT) | instid1(VALU_DEP_1)
	v_dual_add_f32 v29, 1.0, v17 :: v_dual_add_f32 v26, v26, v28
	v_ldexp_f32 v26, v26, v27
	s_delay_alu instid0(VALU_DEP_2) | instskip(NEXT) | instid1(VALU_DEP_1)
	v_add_f32_e32 v28, -1.0, v29
	v_dual_add_f32 v31, -1.0, v17 :: v_dual_sub_f32 v27, v17, v28
	s_delay_alu instid0(VALU_DEP_1) | instskip(NEXT) | instid1(VALU_DEP_1)
	v_add_f32_e32 v30, v26, v27
	v_dual_add_f32 v28, 1.0, v31 :: v_dual_add_f32 v33, v29, v30
	s_delay_alu instid0(VALU_DEP_1) | instskip(NEXT) | instid1(VALU_DEP_1)
	v_rcp_f32_e32 v34, v33
	v_sub_f32_e32 v17, v17, v28
	s_delay_alu instid0(VALU_DEP_1) | instskip(SKIP_1) | instid1(VALU_DEP_1)
	v_add_f32_e32 v17, v26, v17
	v_sub_f32_e32 v26, v33, v29
	v_dual_add_f32 v27, v31, v17 :: v_dual_sub_f32 v36, v30, v26
	s_delay_alu instid0(TRANS32_DEP_1) | instid1(VALU_DEP_1)
	v_dual_mul_f32 v35, v27, v34 :: v_dual_sub_f32 v37, v27, v31
	s_delay_alu instid0(VALU_DEP_1) | instskip(NEXT) | instid1(VALU_DEP_2)
	v_mul_f32_e32 v28, v33, v35
	v_sub_f32_e32 v17, v17, v37
	s_delay_alu instid0(VALU_DEP_2) | instskip(NEXT) | instid1(VALU_DEP_1)
	v_fma_f32 v30, v35, v33, -v28
	v_fmac_f32_e32 v30, v35, v36
	s_delay_alu instid0(VALU_DEP_1) | instskip(NEXT) | instid1(VALU_DEP_1)
	v_add_f32_e32 v26, v28, v30
	v_dual_sub_f32 v29, v27, v26 :: v_dual_mov_b32 v31, v26
	s_delay_alu instid0(VALU_DEP_1) | instskip(NEXT) | instid1(VALU_DEP_1)
	v_pk_add_f32 v[26:27], v[26:27], v[28:29] neg_lo:[0,1] neg_hi:[0,1]
	v_pk_add_f32 v[26:27], v[26:27], v[30:31] neg_lo:[0,1] neg_hi:[0,1]
	s_delay_alu instid0(VALU_DEP_1) | instskip(NEXT) | instid1(VALU_DEP_1)
	v_add_f32_e32 v17, v17, v27
	v_add_f32_e32 v17, v26, v17
	s_delay_alu instid0(VALU_DEP_1) | instskip(NEXT) | instid1(VALU_DEP_1)
	v_add_f32_e32 v27, v29, v17
	v_mul_f32_e32 v37, v34, v27
	s_delay_alu instid0(VALU_DEP_1) | instskip(NEXT) | instid1(VALU_DEP_1)
	v_mul_f32_e32 v30, v33, v37
	v_fma_f32 v28, v37, v33, -v30
	s_delay_alu instid0(VALU_DEP_1) | instskip(NEXT) | instid1(VALU_DEP_1)
	v_fmac_f32_e32 v28, v37, v36
	v_dual_add_f32 v26, v30, v28 :: v_dual_sub_f32 v33, v29, v27
	s_delay_alu instid0(VALU_DEP_1) | instskip(NEXT) | instid1(VALU_DEP_2)
	v_dual_sub_f32 v31, v27, v26 :: v_dual_mov_b32 v29, v26
	v_add_f32_e32 v17, v17, v33
	v_add_f32_e32 v33, v35, v37
	s_delay_alu instid0(VALU_DEP_3) | instskip(NEXT) | instid1(VALU_DEP_1)
	v_pk_add_f32 v[26:27], v[26:27], v[30:31] neg_lo:[0,1] neg_hi:[0,1]
	v_pk_add_f32 v[26:27], v[26:27], v[28:29] neg_lo:[0,1] neg_hi:[0,1]
	s_delay_alu instid0(VALU_DEP_1) | instskip(NEXT) | instid1(VALU_DEP_1)
	v_add_f32_e32 v17, v17, v27
	v_dual_add_f32 v17, v26, v17 :: v_dual_sub_f32 v26, v33, v35
	s_delay_alu instid0(VALU_DEP_1) | instskip(NEXT) | instid1(VALU_DEP_1)
	v_dual_add_f32 v17, v31, v17 :: v_dual_sub_f32 v26, v37, v26
	v_mul_f32_e32 v17, v34, v17
	s_delay_alu instid0(VALU_DEP_1) | instskip(SKIP_1) | instid1(VALU_DEP_2)
	v_add_f32_e32 v34, v26, v17
	v_cvt_f32_i32_e32 v26, v32
	v_add_f32_e32 v35, v33, v34
	s_delay_alu instid0(VALU_DEP_1) | instskip(NEXT) | instid1(VALU_DEP_1)
	v_mul_f32_e32 v17, v35, v35
	v_dual_fmaak_f32 v28, s5, v17, 0x3ecc95a3 :: v_dual_mul_f32 v27, v35, v17
	v_ldexp_f32 v31, v35, 1
	s_delay_alu instid0(VALU_DEP_2) | instskip(NEXT) | instid1(VALU_DEP_1)
	v_fmaak_f32 v17, v17, v28, 0x3f2aaada
	v_pk_mul_f32 v[28:29], v[26:27], v[16:17]
	s_delay_alu instid0(VALU_DEP_1) | instskip(SKIP_1) | instid1(VALU_DEP_2)
	v_fma_f32 v30, 0x3f317218, v26, -v28
	v_mov_b32_e32 v32, v28
	v_fmac_f32_e32 v30, 0xb102e308, v26
	s_delay_alu instid0(VALU_DEP_1) | instskip(NEXT) | instid1(VALU_DEP_1)
	v_pk_add_f32 v[26:27], v[28:29], v[30:31]
	v_sub_f32_e32 v31, v27, v31
	v_sub_f32_e32 v17, v35, v33
	s_delay_alu instid0(VALU_DEP_2) | instskip(NEXT) | instid1(VALU_DEP_2)
	v_dual_mov_b32 v40, v27 :: v_dual_sub_f32 v31, v29, v31
	v_sub_f32_e32 v17, v34, v17
	v_pk_add_f32 v[28:29], v[26:27], v[28:29] neg_lo:[0,1] neg_hi:[0,1]
	s_delay_alu instid0(VALU_DEP_2) | instskip(NEXT) | instid1(VALU_DEP_1)
	v_ldexp_f32 v17, v17, 1
	v_dual_add_f32 v33, v17, v31 :: v_dual_mov_b32 v31, v26
	s_delay_alu instid0(VALU_DEP_1) | instskip(NEXT) | instid1(VALU_DEP_1)
	v_pk_add_f32 v[34:35], v[26:27], v[32:33]
	v_mov_b32_e32 v29, v35
	s_delay_alu instid0(VALU_DEP_1) | instskip(SKIP_1) | instid1(VALU_DEP_2)
	v_pk_add_f32 v[36:37], v[30:31], v[28:29]
	v_pk_add_f32 v[28:29], v[30:31], v[28:29] neg_lo:[0,1] neg_hi:[0,1]
	v_dual_mov_b32 v32, v37 :: v_dual_mov_b32 v29, v37
	s_delay_alu instid0(VALU_DEP_1) | instskip(SKIP_1) | instid1(VALU_DEP_2)
	v_pk_add_f32 v[38:39], v[32:33], v[26:27] neg_lo:[0,1] neg_hi:[0,1]
	v_dual_mov_b32 v36, v35 :: v_dual_mov_b32 v27, v26
	v_dual_mov_b32 v26, v33 :: v_dual_mov_b32 v41, v38
	v_mov_b32_e32 v17, v38
	s_delay_alu instid0(VALU_DEP_2) | instskip(NEXT) | instid1(VALU_DEP_2)
	v_pk_add_f32 v[38:39], v[36:37], v[40:41] neg_lo:[0,1] neg_hi:[0,1]
	v_pk_add_f32 v[30:31], v[34:35], v[16:17] neg_lo:[0,1] neg_hi:[0,1]
	v_mov_b32_e32 v30, v28
	s_delay_alu instid0(VALU_DEP_3) | instskip(NEXT) | instid1(VALU_DEP_1)
	v_pk_add_f32 v[26:27], v[26:27], v[38:39] neg_lo:[0,1] neg_hi:[0,1]
	v_pk_add_f32 v[30:31], v[30:31], v[26:27]
	s_delay_alu instid0(VALU_DEP_1) | instskip(NEXT) | instid1(VALU_DEP_1)
	v_mov_b32_e32 v34, v31
	v_pk_add_f32 v[34:35], v[30:31], v[34:35]
	s_delay_alu instid0(VALU_DEP_1) | instskip(NEXT) | instid1(VALU_DEP_1)
	v_pk_add_f32 v[32:33], v[32:33], v[34:35]
	v_dual_mov_b32 v27, v34 :: v_dual_mov_b32 v31, v32
	s_delay_alu instid0(VALU_DEP_1) | instskip(NEXT) | instid1(VALU_DEP_1)
	v_pk_add_f32 v[36:37], v[30:31], v[28:29] neg_lo:[0,1] neg_hi:[0,1]
	v_sub_f32_e32 v17, v30, v36
	s_delay_alu instid0(VALU_DEP_2) | instskip(NEXT) | instid1(VALU_DEP_2)
	v_pk_add_f32 v[26:27], v[26:27], v[36:37] neg_lo:[0,1] neg_hi:[0,1]
	v_sub_f32_e32 v17, v28, v17
	s_delay_alu instid0(VALU_DEP_1) | instskip(NEXT) | instid1(VALU_DEP_1)
	v_add_f32_e32 v17, v26, v17
	v_add_f32_e32 v17, v17, v27
	s_delay_alu instid0(VALU_DEP_1) | instskip(NEXT) | instid1(VALU_DEP_1)
	v_add_f32_e32 v17, v32, v17
	v_cndmask_b32_e64 v17, 0x7f800000, v17, s4
	v_cmp_ngt_f32_e64 s4, -1.0, v25
	s_delay_alu instid0(VALU_DEP_1) | instskip(SKIP_1) | instid1(VALU_DEP_1)
	v_cndmask_b32_e64 v17, 0x7fc00000, v17, s4
	v_cmp_neq_f32_e64 s4, -1.0, v25
	v_cndmask_b32_e64 v17, 0xff800000, v17, s4
	v_cmp_gt_f32_e64 s4, 0x33800000, |v25|
	s_delay_alu instid0(VALU_DEP_1) | instskip(NEXT) | instid1(VALU_DEP_1)
	v_cndmask_b32_e64 v17, v17, v25, s4
	v_bfe_u32 v25, v17, 16, 1
	v_cmp_o_f32_e64 s4, v17, v17
	s_delay_alu instid0(VALU_DEP_2) | instskip(NEXT) | instid1(VALU_DEP_1)
	v_add3_u32 v25, v17, v25, 0x7fff
	v_lshrrev_b32_e32 v25, 16, v25
	s_delay_alu instid0(VALU_DEP_1)
	v_cndmask_b32_e64 v17, 0x7fc0, v25, s4
	global_store_b16 v[8:9], v17, off
	s_wait_xcnt 0x0
	s_or_b32 exec_lo, exec_lo, s20
	s_and_saveexec_b32 s4, s3
	s_cbranch_execnz .LBB212_13
	s_branch .LBB212_14
.LBB212_20:
	s_cbranch_execz .LBB212_22
	s_branch .LBB212_25
.LBB212_21:
.LBB212_22:
	v_min_i64 v[2:3], 0x10000, s[10:11]
	v_dual_mov_b32 v5, 0 :: v_dual_lshlrev_b32 v4, 2, v0
	s_mov_b32 s2, exec_lo
	s_delay_alu instid0(VALU_DEP_1)
	v_cmpx_lt_i64_e64 v[4:5], v[2:3]
	s_cbranch_execz .LBB212_25
; %bb.23:
	s_load_b32 s0, s[0:1], 0xd3c
	v_dual_mov_b32 v1, v5 :: v_dual_lshlrev_b32 v4, 3, v0
	s_add_nc_u64 s[10:11], s[6:7], s[8:9]
	s_wait_xcnt 0x0
	s_mov_b32 s1, 0
	s_mov_b32 s2, 0x3f317218
	;; [unrolled: 1-line block ×3, first 2 shown]
	v_add_nc_u64_e32 v[4:5], s[10:11], v[4:5]
	s_mov_b32 s6, 0x3e9b6dac
	s_mov_b32 s8, 0x3f2aaada
	;; [unrolled: 1-line block ×5, first 2 shown]
	s_wait_kmcnt 0x0
	s_and_b32 s0, s0, 0xffff
	s_delay_alu instid0(SALU_CYCLE_1)
	s_lshl_b32 s12, s0, 3
.LBB212_24:                             ; =>This Inner Loop Header: Depth=1
	global_load_b64 v[10:11], v[4:5], off
	v_add_nc_u64_e32 v[0:1], s[0:1], v[0:1]
	s_wait_loadcnt 0x0
	v_and_b32_e32 v7, 0xffff0000, v10
	v_lshlrev_b32_e32 v8, 16, v10
	v_and_b32_e32 v6, 0xffff0000, v11
	v_alignbit_b32 v9, v11, v10, 16
	s_delay_alu instid0(VALU_DEP_3) | instskip(NEXT) | instid1(VALU_DEP_3)
	v_dual_add_f32 v19, 1.0, v7 :: v_dual_add_f32 v18, 1.0, v8
	v_add_f32_e32 v20, 1.0, v6
	s_delay_alu instid0(VALU_DEP_3) | instskip(NEXT) | instid1(VALU_DEP_3)
	v_and_b32_e32 v9, 0xffff0000, v9
	v_cvt_f64_f32_e32 v[12:13], v19
	s_delay_alu instid0(VALU_DEP_4) | instskip(NEXT) | instid1(VALU_DEP_4)
	v_cvt_f64_f32_e32 v[10:11], v18
	v_cvt_f64_f32_e32 v[14:15], v20
	s_delay_alu instid0(VALU_DEP_4) | instskip(NEXT) | instid1(VALU_DEP_1)
	v_dual_add_f32 v21, 1.0, v9 :: v_dual_add_f32 v22, -1.0, v19
	v_dual_add_f32 v23, -1.0, v20 :: v_dual_sub_f32 v26, v22, v19
	s_delay_alu instid0(VALU_DEP_1) | instskip(SKIP_1) | instid1(VALU_DEP_2)
	v_sub_f32_e32 v28, v23, v20
	v_dual_sub_f32 v22, v7, v22 :: v_dual_sub_f32 v23, v6, v23
	v_dual_add_f32 v26, 1.0, v26 :: v_dual_add_f32 v28, 1.0, v28
	s_delay_alu instid0(VALU_DEP_1)
	v_dual_add_f32 v22, v22, v26 :: v_dual_add_f32 v23, v23, v28
	v_frexp_exp_i32_f64_e32 v10, v[10:11]
	v_frexp_exp_i32_f64_e32 v11, v[12:13]
	;; [unrolled: 1-line block ×3, first 2 shown]
	v_add_f32_e32 v14, -1.0, v18
	v_cvt_f64_f32_e32 v[16:17], v21
	v_frexp_mant_f32_e32 v15, v18
	v_frexp_mant_f32_e32 v25, v21
	s_delay_alu instid0(VALU_DEP_4) | instskip(SKIP_1) | instid1(VALU_DEP_4)
	v_dual_add_f32 v27, -1.0, v21 :: v_dual_sub_f32 v24, v14, v18
	v_sub_f32_e32 v14, v8, v14
	v_cmp_gt_f32_e32 vcc_lo, 0x3f2aaaab, v15
	s_delay_alu instid0(VALU_DEP_3)
	v_dual_sub_f32 v29, v27, v21 :: v_dual_add_f32 v24, 1.0, v24
	v_sub_f32_e32 v27, v9, v27
	v_subrev_co_ci_u32_e64 v54, null, 0, v10, vcc_lo
	v_frexp_exp_i32_f64_e32 v13, v[16:17]
	v_frexp_mant_f32_e32 v16, v19
	v_frexp_mant_f32_e32 v17, v20
	s_delay_alu instid0(VALU_DEP_2) | instskip(SKIP_1) | instid1(VALU_DEP_3)
	v_cmp_gt_f32_e32 vcc_lo, 0x3f2aaaab, v16
	v_subrev_co_ci_u32_e64 v55, null, 0, v11, vcc_lo
	v_cmp_gt_f32_e32 vcc_lo, 0x3f2aaaab, v17
	s_delay_alu instid0(VALU_DEP_2) | instskip(SKIP_2) | instid1(VALU_DEP_3)
	v_dual_sub_nc_u32 v16, 0, v54 :: v_dual_sub_nc_u32 v17, 0, v55
	v_subrev_co_ci_u32_e64 v56, null, 0, v12, vcc_lo
	v_cmp_gt_f32_e32 vcc_lo, 0x3f2aaaab, v25
	v_ldexp_f32 v10, v18, v16
	s_delay_alu instid0(VALU_DEP_4) | instskip(NEXT) | instid1(VALU_DEP_4)
	v_ldexp_f32 v11, v19, v17
	v_dual_add_f32 v18, 1.0, v29 :: v_dual_sub_nc_u32 v25, 0, v56
	v_ldexp_f32 v17, v22, v17
	s_delay_alu instid0(VALU_DEP_2) | instskip(NEXT) | instid1(VALU_DEP_3)
	v_ldexp_f32 v23, v23, v25
	v_add_f32_e32 v28, v27, v18
	v_subrev_co_ci_u32_e64 v57, null, 0, v13, vcc_lo
	v_add_f32_e32 v24, v14, v24
	v_ldexp_f32 v13, v20, v25
	v_pk_add_f32 v[14:15], v[10:11], 1.0 op_sel_hi:[1,0]
	s_delay_alu instid0(VALU_DEP_4) | instskip(SKIP_3) | instid1(VALU_DEP_4)
	v_sub_nc_u32_e32 v30, 0, v57
	v_cmp_neq_f32_e32 vcc_lo, 0x7f800000, v7
	v_ldexp_f32 v16, v24, v16
	v_pk_add_f32 v[24:25], v[10:11], -1.0 op_sel_hi:[1,0]
	v_ldexp_f32 v12, v21, v30
	v_pk_add_f32 v[20:21], v[14:15], -1.0 op_sel_hi:[1,0]
	v_ldexp_f32 v22, v28, v30
	s_delay_alu instid0(VALU_DEP_4) | instskip(NEXT) | instid1(VALU_DEP_4)
	v_pk_add_f32 v[30:31], v[24:25], 1.0 op_sel_hi:[1,0]
	v_pk_add_f32 v[18:19], v[12:13], 1.0 op_sel_hi:[1,0]
	s_delay_alu instid0(VALU_DEP_4) | instskip(SKIP_1) | instid1(VALU_DEP_4)
	v_pk_add_f32 v[20:21], v[10:11], v[20:21] neg_lo:[0,1] neg_hi:[0,1]
	v_pk_add_f32 v[28:29], v[12:13], -1.0 op_sel_hi:[1,0]
	v_pk_add_f32 v[10:11], v[10:11], v[30:31] neg_lo:[0,1] neg_hi:[0,1]
	s_delay_alu instid0(VALU_DEP_4) | instskip(NEXT) | instid1(VALU_DEP_4)
	v_pk_add_f32 v[26:27], v[18:19], -1.0 op_sel_hi:[1,0]
	v_pk_add_f32 v[20:21], v[16:17], v[20:21]
	s_delay_alu instid0(VALU_DEP_4) | instskip(NEXT) | instid1(VALU_DEP_4)
	v_pk_add_f32 v[32:33], v[28:29], 1.0 op_sel_hi:[1,0]
	v_pk_add_f32 v[10:11], v[16:17], v[10:11]
	s_delay_alu instid0(VALU_DEP_4) | instskip(NEXT) | instid1(VALU_DEP_4)
	v_pk_add_f32 v[26:27], v[12:13], v[26:27] neg_lo:[0,1] neg_hi:[0,1]
	v_pk_add_f32 v[30:31], v[14:15], v[20:21]
	s_delay_alu instid0(VALU_DEP_4) | instskip(NEXT) | instid1(VALU_DEP_3)
	v_pk_add_f32 v[12:13], v[12:13], v[32:33] neg_lo:[0,1] neg_hi:[0,1]
	v_pk_add_f32 v[26:27], v[22:23], v[26:27]
	s_delay_alu instid0(VALU_DEP_3) | instskip(NEXT) | instid1(VALU_DEP_3)
	v_rcp_f32_e32 v32, v30
	v_rcp_f32_e32 v33, v31
	s_delay_alu instid0(VALU_DEP_2) | instskip(SKIP_3) | instid1(VALU_DEP_4)
	v_pk_add_f32 v[12:13], v[22:23], v[12:13]
	v_pk_add_f32 v[22:23], v[24:25], v[10:11]
	;; [unrolled: 1-line block ×3, first 2 shown]
	v_pk_add_f32 v[14:15], v[30:31], v[14:15] neg_lo:[0,1] neg_hi:[0,1]
	v_pk_add_f32 v[36:37], v[28:29], v[12:13]
	s_delay_alu instid0(TRANS32_DEP_1) | instid1(VALU_DEP_4)
	v_pk_mul_f32 v[38:39], v[22:23], v[32:33]
	s_delay_alu instid0(VALU_DEP_4)
	v_rcp_f32_e32 v34, v16
	v_rcp_f32_e32 v35, v17
	v_pk_add_f32 v[14:15], v[20:21], v[14:15] neg_lo:[0,1] neg_hi:[0,1]
	v_pk_add_f32 v[18:19], v[16:17], v[18:19] neg_lo:[0,1] neg_hi:[0,1]
	v_pk_mul_f32 v[42:43], v[30:31], v[38:39]
	v_pk_add_f32 v[24:25], v[22:23], v[24:25] neg_lo:[0,1] neg_hi:[0,1]
	v_pk_add_f32 v[28:29], v[36:37], v[28:29] neg_lo:[0,1] neg_hi:[0,1]
	s_delay_alu instid0(TRANS32_DEP_1) | instskip(NEXT) | instid1(VALU_DEP_4)
	v_pk_mul_f32 v[40:41], v[36:37], v[34:35]
	v_pk_fma_f32 v[44:45], v[38:39], v[30:31], v[42:43] neg_lo:[0,0,1] neg_hi:[0,0,1]
	v_pk_add_f32 v[18:19], v[26:27], v[18:19] neg_lo:[0,1] neg_hi:[0,1]
	v_pk_add_f32 v[10:11], v[10:11], v[24:25] neg_lo:[0,1] neg_hi:[0,1]
	;; [unrolled: 1-line block ×3, first 2 shown]
	v_pk_mul_f32 v[20:21], v[16:17], v[40:41]
	v_pk_fma_f32 v[44:45], v[38:39], v[14:15], v[44:45]
	s_delay_alu instid0(VALU_DEP_2) | instskip(NEXT) | instid1(VALU_DEP_2)
	v_pk_fma_f32 v[26:27], v[40:41], v[16:17], v[20:21] neg_lo:[0,0,1] neg_hi:[0,0,1]
	v_pk_add_f32 v[46:47], v[42:43], v[44:45]
	s_delay_alu instid0(VALU_DEP_2) | instskip(NEXT) | instid1(VALU_DEP_2)
	v_pk_fma_f32 v[26:27], v[40:41], v[18:19], v[26:27]
	v_pk_add_f32 v[50:51], v[22:23], v[46:47] neg_lo:[0,1] neg_hi:[0,1]
	v_pk_add_f32 v[42:43], v[46:47], v[42:43] neg_lo:[0,1] neg_hi:[0,1]
	s_delay_alu instid0(VALU_DEP_3) | instskip(NEXT) | instid1(VALU_DEP_3)
	v_pk_add_f32 v[48:49], v[20:21], v[26:27]
	v_pk_add_f32 v[22:23], v[22:23], v[50:51] neg_lo:[0,1] neg_hi:[0,1]
	s_delay_alu instid0(VALU_DEP_3) | instskip(NEXT) | instid1(VALU_DEP_3)
	v_pk_add_f32 v[28:29], v[42:43], v[44:45] neg_lo:[0,1] neg_hi:[0,1]
	v_pk_add_f32 v[52:53], v[36:37], v[48:49] neg_lo:[0,1] neg_hi:[0,1]
	s_delay_alu instid0(VALU_DEP_3)
	v_pk_add_f32 v[22:23], v[22:23], v[46:47] neg_lo:[0,1] neg_hi:[0,1]
	v_pk_add_f32 v[20:21], v[48:49], v[20:21] neg_lo:[0,1] neg_hi:[0,1]
	v_cvt_f32_i32_e32 v47, v56
	v_cvt_f32_i32_e32 v46, v57
	v_pk_add_f32 v[24:25], v[36:37], v[52:53] neg_lo:[0,1] neg_hi:[0,1]
	v_pk_add_f32 v[10:11], v[10:11], v[22:23]
	v_pk_add_f32 v[20:21], v[20:21], v[26:27] neg_lo:[0,1] neg_hi:[0,1]
	s_delay_alu instid0(VALU_DEP_3) | instskip(NEXT) | instid1(VALU_DEP_3)
	v_pk_add_f32 v[24:25], v[24:25], v[48:49] neg_lo:[0,1] neg_hi:[0,1]
	v_pk_add_f32 v[10:11], v[28:29], v[10:11]
	s_delay_alu instid0(VALU_DEP_2) | instskip(NEXT) | instid1(VALU_DEP_1)
	v_pk_add_f32 v[12:13], v[12:13], v[24:25]
	v_pk_add_f32 v[12:13], v[20:21], v[12:13]
	s_delay_alu instid0(VALU_DEP_3) | instskip(NEXT) | instid1(VALU_DEP_2)
	v_pk_add_f32 v[20:21], v[50:51], v[10:11]
	v_pk_add_f32 v[22:23], v[52:53], v[12:13]
	s_delay_alu instid0(VALU_DEP_2) | instskip(SKIP_1) | instid1(VALU_DEP_3)
	v_pk_mul_f32 v[24:25], v[32:33], v[20:21]
	v_pk_add_f32 v[48:49], v[50:51], v[20:21] neg_lo:[0,1] neg_hi:[0,1]
	v_pk_mul_f32 v[26:27], v[34:35], v[22:23]
	s_delay_alu instid0(VALU_DEP_3) | instskip(SKIP_1) | instid1(VALU_DEP_4)
	v_pk_mul_f32 v[28:29], v[30:31], v[24:25]
	v_pk_add_f32 v[52:53], v[52:53], v[22:23] neg_lo:[0,1] neg_hi:[0,1]
	v_pk_add_f32 v[10:11], v[10:11], v[48:49]
	s_delay_alu instid0(VALU_DEP_4) | instskip(NEXT) | instid1(VALU_DEP_4)
	v_pk_mul_f32 v[36:37], v[16:17], v[26:27]
	v_pk_fma_f32 v[30:31], v[24:25], v[30:31], v[28:29] neg_lo:[0,0,1] neg_hi:[0,0,1]
	s_delay_alu instid0(VALU_DEP_4) | instskip(NEXT) | instid1(VALU_DEP_3)
	v_pk_add_f32 v[12:13], v[12:13], v[52:53]
	v_pk_fma_f32 v[16:17], v[26:27], v[16:17], v[36:37] neg_lo:[0,0,1] neg_hi:[0,0,1]
	s_delay_alu instid0(VALU_DEP_3) | instskip(SKIP_2) | instid1(VALU_DEP_4)
	v_pk_fma_f32 v[14:15], v[24:25], v[14:15], v[30:31]
	v_cvt_f32_i32_e32 v31, v55
	v_cvt_f32_i32_e32 v30, v54
	v_pk_fma_f32 v[16:17], v[26:27], v[18:19], v[16:17]
	s_delay_alu instid0(VALU_DEP_4) | instskip(NEXT) | instid1(VALU_DEP_2)
	v_pk_add_f32 v[18:19], v[28:29], v[14:15]
	v_pk_add_f32 v[42:43], v[36:37], v[16:17]
	s_delay_alu instid0(VALU_DEP_2) | instskip(SKIP_1) | instid1(VALU_DEP_3)
	v_pk_add_f32 v[44:45], v[20:21], v[18:19] neg_lo:[0,1] neg_hi:[0,1]
	v_pk_add_f32 v[28:29], v[18:19], v[28:29] neg_lo:[0,1] neg_hi:[0,1]
	;; [unrolled: 1-line block ×3, first 2 shown]
	s_delay_alu instid0(VALU_DEP_3) | instskip(NEXT) | instid1(VALU_DEP_3)
	v_pk_add_f32 v[20:21], v[20:21], v[44:45] neg_lo:[0,1] neg_hi:[0,1]
	v_pk_add_f32 v[14:15], v[28:29], v[14:15] neg_lo:[0,1] neg_hi:[0,1]
	v_pk_add_f32 v[28:29], v[38:39], v[24:25]
	s_delay_alu instid0(VALU_DEP_4) | instskip(NEXT) | instid1(VALU_DEP_4)
	v_pk_add_f32 v[22:23], v[22:23], v[50:51] neg_lo:[0,1] neg_hi:[0,1]
	v_pk_add_f32 v[18:19], v[20:21], v[18:19] neg_lo:[0,1] neg_hi:[0,1]
	;; [unrolled: 1-line block ×3, first 2 shown]
	s_delay_alu instid0(VALU_DEP_3) | instskip(NEXT) | instid1(VALU_DEP_3)
	v_pk_add_f32 v[22:23], v[22:23], v[42:43] neg_lo:[0,1] neg_hi:[0,1]
	v_pk_add_f32 v[10:11], v[10:11], v[18:19]
	s_delay_alu instid0(VALU_DEP_3)
	v_pk_add_f32 v[16:17], v[20:21], v[16:17] neg_lo:[0,1] neg_hi:[0,1]
	v_pk_add_f32 v[20:21], v[28:29], v[38:39] neg_lo:[0,1] neg_hi:[0,1]
	v_pk_mul_f32 v[18:19], v[30:31], s[2:3] op_sel_hi:[1,0]
	v_pk_add_f32 v[12:13], v[12:13], v[22:23]
	v_pk_add_f32 v[10:11], v[14:15], v[10:11]
	;; [unrolled: 1-line block ×3, first 2 shown]
	v_pk_mul_f32 v[14:15], v[46:47], s[2:3] op_sel_hi:[1,0]
	v_pk_add_f32 v[20:21], v[24:25], v[20:21] neg_lo:[0,1] neg_hi:[0,1]
	v_pk_add_f32 v[12:13], v[16:17], v[12:13]
	v_pk_add_f32 v[10:11], v[44:45], v[10:11]
	v_pk_add_f32 v[24:25], v[22:23], v[40:41] neg_lo:[0,1] neg_hi:[0,1]
	v_pk_fma_f32 v[16:17], v[30:31], s[2:3], v[18:19] op_sel_hi:[1,0,1] neg_lo:[0,0,1] neg_hi:[0,0,1]
	s_delay_alu instid0(VALU_DEP_4) | instskip(NEXT) | instid1(VALU_DEP_4)
	v_pk_add_f32 v[12:13], v[50:51], v[12:13]
	v_pk_mul_f32 v[10:11], v[32:33], v[10:11]
	v_pk_fma_f32 v[32:33], v[46:47], s[2:3], v[14:15] op_sel_hi:[1,0,1] neg_lo:[0,0,1] neg_hi:[0,0,1]
	v_pk_add_f32 v[24:25], v[26:27], v[24:25] neg_lo:[0,1] neg_hi:[0,1]
	v_pk_fma_f32 v[16:17], v[30:31], s[10:11], v[16:17] op_sel_hi:[1,0,1]
	v_pk_mul_f32 v[12:13], v[34:35], v[12:13]
	v_pk_add_f32 v[10:11], v[20:21], v[10:11]
	v_pk_fma_f32 v[20:21], v[46:47], s[10:11], v[32:33] op_sel_hi:[1,0,1]
	v_mov_b32_e32 v26, v14
	v_pk_add_f32 v[30:31], v[18:19], v[16:17]
	v_pk_add_f32 v[12:13], v[24:25], v[12:13]
	;; [unrolled: 1-line block ×4, first 2 shown]
	s_delay_alu instid0(VALU_DEP_4) | instskip(NEXT) | instid1(VALU_DEP_4)
	v_dual_mov_b32 v34, v20 :: v_dual_sub_f32 v27, v30, v18
	v_pk_add_f32 v[36:37], v[22:23], v[12:13]
	s_delay_alu instid0(VALU_DEP_4) | instskip(NEXT) | instid1(VALU_DEP_4)
	v_pk_mul_f32 v[38:39], v[24:25], v[24:25]
	v_dual_sub_f32 v35, v31, v19 :: v_dual_sub_f32 v45, v32, v14
	v_pk_add_f32 v[28:29], v[24:25], v[28:29] neg_lo:[0,1] neg_hi:[0,1]
	s_delay_alu instid0(VALU_DEP_4) | instskip(NEXT) | instid1(VALU_DEP_4)
	v_pk_add_f32 v[22:23], v[36:37], v[22:23] neg_lo:[0,1] neg_hi:[0,1]
	v_pk_mul_f32 v[40:41], v[24:25], v[38:39]
	v_ldexp_f32 v25, v25, 1
	v_sub_f32_e32 v44, v33, v15
	v_pk_mul_f32 v[14:15], v[36:37], v[36:37]
	v_pk_fma_f32 v[18:19], v[38:39], s[6:7], s[4:5] op_sel_hi:[1,0,0]
	v_ldexp_f32 v24, v24, 1
	v_pk_add_f32 v[10:11], v[10:11], v[28:29] neg_lo:[0,1] neg_hi:[0,1]
	v_ldexp_f32 v28, v36, 1
	v_pk_fma_f32 v[42:43], v[14:15], s[6:7], s[4:5] op_sel_hi:[1,0,0]
	v_pk_fma_f32 v[18:19], v[38:39], v[18:19], s[8:9] op_sel_hi:[1,1,0]
	v_pk_mul_f32 v[38:39], v[36:37], v[14:15]
	v_ldexp_f32 v29, v37, 1
	v_pk_add_f32 v[12:13], v[12:13], v[22:23] neg_lo:[0,1] neg_hi:[0,1]
	v_pk_fma_f32 v[14:15], v[14:15], v[42:43], s[8:9] op_sel_hi:[1,1,0]
	v_pk_mul_f32 v[18:19], v[40:41], v[18:19]
	v_ldexp_f32 v10, v10, 1
	v_ldexp_f32 v11, v11, 1
	;; [unrolled: 1-line block ×3, first 2 shown]
	v_pk_mul_f32 v[14:15], v[38:39], v[14:15]
	v_pk_add_f32 v[38:39], v[24:25], v[18:19]
	v_sub_f32_e32 v17, v17, v35
	v_ldexp_f32 v35, v13, 1
	s_delay_alu instid0(VALU_DEP_4) | instskip(NEXT) | instid1(VALU_DEP_4)
	v_pk_add_f32 v[36:37], v[28:29], v[14:15]
	v_dual_sub_f32 v16, v16, v27 :: v_dual_sub_f32 v25, v39, v25
	v_dual_sub_f32 v24, v38, v24 :: v_dual_sub_f32 v20, v20, v45
	s_delay_alu instid0(VALU_DEP_3) | instskip(NEXT) | instid1(VALU_DEP_2)
	v_dual_sub_f32 v22, v37, v29 :: v_dual_sub_f32 v23, v36, v28
	v_dual_sub_f32 v19, v19, v25 :: v_dual_sub_f32 v18, v18, v24
	s_delay_alu instid0(VALU_DEP_2) | instskip(NEXT) | instid1(VALU_DEP_3)
	v_sub_f32_e32 v27, v15, v22
	v_dual_mov_b32 v13, v35 :: v_dual_sub_f32 v14, v14, v23
	s_delay_alu instid0(VALU_DEP_3) | instskip(NEXT) | instid1(VALU_DEP_3)
	v_pk_add_f32 v[10:11], v[10:11], v[18:19]
	v_dual_sub_f32 v19, v21, v44 :: v_dual_mov_b32 v15, v27
	v_pk_add_f32 v[24:25], v[34:35], v[26:27]
	s_delay_alu instid0(VALU_DEP_3) | instskip(NEXT) | instid1(VALU_DEP_3)
	v_pk_add_f32 v[22:23], v[38:39], v[10:11]
	v_pk_add_f32 v[26:27], v[12:13], v[14:15]
	v_mov_b32_e32 v15, v37
	s_delay_alu instid0(VALU_DEP_3) | instskip(SKIP_1) | instid1(VALU_DEP_4)
	v_pk_add_f32 v[28:29], v[30:31], v[22:23]
	v_dual_sub_f32 v18, v22, v38 :: v_dual_sub_f32 v21, v23, v39
	v_mov_b32_e32 v13, v27
	v_pk_add_f32 v[34:35], v[36:37], v[26:27]
	s_delay_alu instid0(VALU_DEP_4) | instskip(NEXT) | instid1(VALU_DEP_4)
	v_dual_sub_f32 v38, v28, v30 :: v_dual_sub_f32 v39, v29, v31
	v_dual_sub_f32 v11, v11, v21 :: v_dual_sub_f32 v10, v10, v18
	s_delay_alu instid0(VALU_DEP_4) | instskip(NEXT) | instid1(VALU_DEP_4)
	v_pk_add_f32 v[12:13], v[14:15], v[12:13]
	v_pk_add_f32 v[14:15], v[32:33], v[34:35]
	s_delay_alu instid0(VALU_DEP_4) | instskip(SKIP_2) | instid1(VALU_DEP_4)
	v_dual_sub_f32 v23, v23, v39 :: v_dual_sub_f32 v22, v22, v38
	v_dual_sub_f32 v18, v28, v38 :: v_dual_sub_f32 v21, v29, v39
	;; [unrolled: 1-line block ×3, first 2 shown]
	v_sub_f32_e32 v32, v14, v32
	v_pk_add_f32 v[36:37], v[16:17], v[10:11]
	s_delay_alu instid0(VALU_DEP_4) | instskip(NEXT) | instid1(VALU_DEP_4)
	v_dual_sub_f32 v39, v15, v33 :: v_dual_sub_f32 v30, v30, v18
	v_dual_sub_f32 v31, v31, v21 :: v_dual_sub_f32 v25, v25, v35
	;; [unrolled: 1-line block ×3, first 2 shown]
	s_delay_alu instid0(VALU_DEP_4) | instskip(NEXT) | instid1(VALU_DEP_4)
	v_dual_sub_f32 v21, v37, v17 :: v_dual_sub_f32 v38, v36, v16
	v_dual_sub_f32 v18, v34, v32 :: v_dual_sub_f32 v34, v15, v39
	;; [unrolled: 1-line block ×3, first 2 shown]
	v_pk_add_f32 v[22:23], v[22:23], v[30:31]
	s_delay_alu instid0(VALU_DEP_4) | instskip(NEXT) | instid1(VALU_DEP_4)
	v_dual_sub_f32 v39, v36, v38 :: v_dual_sub_f32 v30, v37, v21
	v_dual_sub_f32 v11, v11, v21 :: v_dual_sub_f32 v21, v33, v34
	s_delay_alu instid0(VALU_DEP_4) | instskip(NEXT) | instid1(VALU_DEP_3)
	v_dual_sub_f32 v10, v10, v38 :: v_dual_sub_f32 v24, v24, v32
	v_sub_f32_e32 v17, v17, v30
	v_pk_add_f32 v[22:23], v[22:23], v[36:37]
	s_delay_alu instid0(VALU_DEP_4)
	v_pk_add_f32 v[30:31], v[12:13], v[20:21]
	v_dual_mov_b32 v13, v25 :: v_dual_sub_f32 v16, v16, v39
	v_mov_b32_e32 v21, v19
	v_pk_add_f32 v[24:25], v[18:19], v[24:25]
	v_pk_add_f32 v[32:33], v[28:29], v[22:23]
	v_sub_f32_e32 v18, v27, v35
	v_pk_add_f32 v[10:11], v[10:11], v[16:17]
	v_pk_add_f32 v[12:13], v[20:21], v[12:13]
	;; [unrolled: 1-line block ×3, first 2 shown]
	v_dual_sub_f32 v21, v33, v29 :: v_dual_sub_f32 v24, v32, v28
	s_delay_alu instid0(VALU_DEP_3) | instskip(NEXT) | instid1(VALU_DEP_2)
	v_dual_sub_f32 v28, v13, v19 :: v_dual_sub_f32 v27, v12, v20
	v_sub_f32_e32 v23, v23, v21
	s_delay_alu instid0(VALU_DEP_4) | instskip(NEXT) | instid1(VALU_DEP_4)
	v_pk_add_f32 v[12:13], v[14:15], v[16:17]
	v_sub_f32_e32 v22, v22, v24
	s_delay_alu instid0(VALU_DEP_4) | instskip(SKIP_1) | instid1(VALU_DEP_4)
	v_dual_sub_f32 v29, v25, v28 :: v_dual_sub_f32 v21, v30, v27
	v_sub_f32_e32 v25, v18, v28
	v_dual_sub_f32 v24, v26, v27 :: v_dual_sub_f32 v18, v12, v14
	s_delay_alu instid0(VALU_DEP_3) | instskip(NEXT) | instid1(VALU_DEP_4)
	v_dual_sub_f32 v26, v13, v15 :: v_dual_sub_f32 v15, v19, v29
	v_sub_f32_e32 v14, v20, v21
	v_pk_add_f32 v[10:11], v[10:11], v[22:23]
	s_delay_alu instid0(VALU_DEP_4) | instskip(NEXT) | instid1(VALU_DEP_4)
	v_sub_f32_e32 v16, v16, v18
	v_sub_f32_e32 v17, v17, v26
	s_delay_alu instid0(VALU_DEP_4) | instskip(NEXT) | instid1(VALU_DEP_4)
	v_pk_add_f32 v[14:15], v[24:25], v[14:15]
	v_pk_add_f32 v[10:11], v[32:33], v[10:11]
	s_delay_alu instid0(VALU_DEP_2) | instskip(NEXT) | instid1(VALU_DEP_2)
	v_pk_add_f32 v[14:15], v[14:15], v[16:17]
	v_cndmask_b32_e32 v16, 0x7f800000, v11, vcc_lo
	v_cmp_neq_f32_e32 vcc_lo, 0x7f800000, v8
	s_delay_alu instid0(VALU_DEP_4)
	v_cndmask_b32_e32 v17, 0x7f800000, v10, vcc_lo
	v_cmp_ngt_f32_e32 vcc_lo, -1.0, v7
	v_pk_add_f32 v[10:11], v[12:13], v[14:15]
	v_cndmask_b32_e32 v12, 0x7fc00000, v16, vcc_lo
	v_cmp_ngt_f32_e32 vcc_lo, -1.0, v8
	v_cndmask_b32_e32 v13, 0x7fc00000, v17, vcc_lo
	v_cmp_neq_f32_e32 vcc_lo, 0x7f800000, v9
	v_cndmask_b32_e32 v10, 0x7f800000, v10, vcc_lo
	v_cmp_neq_f32_e32 vcc_lo, -1.0, v7
	v_cndmask_b32_e32 v12, 0xff800000, v12, vcc_lo
	v_cmp_neq_f32_e32 vcc_lo, 0x7f800000, v6
	v_cndmask_b32_e32 v11, 0x7f800000, v11, vcc_lo
	v_cmp_ngt_f32_e32 vcc_lo, -1.0, v9
	v_cndmask_b32_e32 v10, 0x7fc00000, v10, vcc_lo
	v_cmp_neq_f32_e32 vcc_lo, -1.0, v8
	v_cndmask_b32_e32 v13, 0xff800000, v13, vcc_lo
	v_cmp_ngt_f32_e32 vcc_lo, -1.0, v6
	v_cndmask_b32_e32 v11, 0x7fc00000, v11, vcc_lo
	v_cmp_neq_f32_e32 vcc_lo, -1.0, v9
	v_cndmask_b32_e32 v10, 0xff800000, v10, vcc_lo
	v_cmp_gt_f32_e64 vcc_lo, 0x33800000, |v8|
	v_cndmask_b32_e32 v8, v13, v8, vcc_lo
	v_cmp_neq_f32_e32 vcc_lo, -1.0, v6
	v_cndmask_b32_e32 v11, 0xff800000, v11, vcc_lo
	v_cmp_gt_f32_e64 vcc_lo, 0x33800000, |v9|
	v_cndmask_b32_e32 v9, v10, v9, vcc_lo
	v_cmp_gt_f32_e64 vcc_lo, 0x33800000, |v7|
	v_dual_cndmask_b32 v7, v12, v7 :: v_dual_lshrrev_b32 v10, 16, v8
	v_cmp_gt_f32_e64 vcc_lo, 0x33800000, |v6|
	s_delay_alu instid0(VALU_DEP_2) | instskip(NEXT) | instid1(VALU_DEP_2)
	v_and_b32_e32 v10, 1, v10
	v_dual_cndmask_b32 v6, v11, v6, vcc_lo :: v_dual_lshrrev_b32 v12, 16, v7
	v_lshrrev_b32_e32 v11, 16, v9
	s_delay_alu instid0(VALU_DEP_3) | instskip(SKIP_1) | instid1(VALU_DEP_4)
	v_add3_u32 v10, v8, v10, 0x7fff
	v_cmp_o_f32_e32 vcc_lo, v8, v8
	v_dual_lshrrev_b32 v13, 16, v6 :: v_dual_bitop2_b32 v12, 1, v12 bitop3:0x40
	s_delay_alu instid0(VALU_DEP_3) | instskip(NEXT) | instid1(VALU_DEP_2)
	v_dual_lshrrev_b32 v10, 16, v10 :: v_dual_bitop2_b32 v11, 1, v11 bitop3:0x40
	v_and_b32_e32 v13, 1, v13
	s_delay_alu instid0(VALU_DEP_3) | instskip(NEXT) | instid1(VALU_DEP_3)
	v_add3_u32 v12, v7, v12, 0x7fff
	v_add3_u32 v11, v9, v11, 0x7fff
	s_delay_alu instid0(VALU_DEP_4) | instskip(SKIP_4) | instid1(VALU_DEP_3)
	v_cndmask_b32_e32 v8, 0x7fc0, v10, vcc_lo
	v_cmp_o_f32_e32 vcc_lo, v7, v7
	v_add3_u32 v13, v6, v13, 0x7fff
	v_and_b32_e32 v12, 0xffff0000, v12
	v_lshrrev_b32_e32 v11, 16, v11
	v_and_b32_e32 v10, 0xffff0000, v13
	s_delay_alu instid0(VALU_DEP_3) | instskip(SKIP_1) | instid1(VALU_DEP_4)
	v_cndmask_b32_e32 v12, 0x7fc00000, v12, vcc_lo
	v_cmp_o_f32_e32 vcc_lo, v6, v6
	v_and_b32_e32 v11, 0xffff, v11
	v_lshlrev_b64_e32 v[6:7], 2, v[0:1]
	s_delay_alu instid0(VALU_DEP_4) | instskip(SKIP_4) | instid1(VALU_DEP_2)
	v_or3_b32 v8, v8, 0, v12
	v_cndmask_b32_e32 v10, 0x7fc00000, v10, vcc_lo
	v_cmp_o_f32_e32 vcc_lo, v9, v9
	v_cndmask_b32_e32 v9, 0x7fc0, v11, vcc_lo
	v_cmp_ge_i64_e32 vcc_lo, v[6:7], v[2:3]
	v_or3_b32 v9, 0, v9, v10
	s_or_b32 s3, vcc_lo, s3
	global_store_b64 v[4:5], v[8:9], off
	s_wait_xcnt 0x0
	v_add_nc_u64_e32 v[4:5], s[12:13], v[4:5]
	s_and_not1_b32 exec_lo, exec_lo, s3
	s_cbranch_execnz .LBB212_24
.LBB212_25:
	s_endpgm
	.section	.rodata,"a",@progbits
	.p2align	6, 0x0
	.amdhsa_kernel _ZN2at6native12_GLOBAL__N_125multi_tensor_apply_kernelINS1_18TensorListMetadataILi1EEENS1_14UnaryOpFunctorIN3c108BFloat16ELi1ELi1ELi0EEEJNS0_5Log1pIfEEEEEvT_T0_DpT1_
		.amdhsa_group_segment_fixed_size 0
		.amdhsa_private_segment_fixed_size 0
		.amdhsa_kernarg_size 3632
		.amdhsa_user_sgpr_count 2
		.amdhsa_user_sgpr_dispatch_ptr 0
		.amdhsa_user_sgpr_queue_ptr 0
		.amdhsa_user_sgpr_kernarg_segment_ptr 1
		.amdhsa_user_sgpr_dispatch_id 0
		.amdhsa_user_sgpr_kernarg_preload_length 0
		.amdhsa_user_sgpr_kernarg_preload_offset 0
		.amdhsa_user_sgpr_private_segment_size 0
		.amdhsa_wavefront_size32 1
		.amdhsa_uses_dynamic_stack 0
		.amdhsa_enable_private_segment 0
		.amdhsa_system_sgpr_workgroup_id_x 1
		.amdhsa_system_sgpr_workgroup_id_y 0
		.amdhsa_system_sgpr_workgroup_id_z 0
		.amdhsa_system_sgpr_workgroup_info 0
		.amdhsa_system_vgpr_workitem_id 0
		.amdhsa_next_free_vgpr 58
		.amdhsa_next_free_sgpr 21
		.amdhsa_named_barrier_count 0
		.amdhsa_reserve_vcc 1
		.amdhsa_float_round_mode_32 0
		.amdhsa_float_round_mode_16_64 0
		.amdhsa_float_denorm_mode_32 3
		.amdhsa_float_denorm_mode_16_64 3
		.amdhsa_fp16_overflow 0
		.amdhsa_memory_ordered 1
		.amdhsa_forward_progress 1
		.amdhsa_inst_pref_size 56
		.amdhsa_round_robin_scheduling 0
		.amdhsa_exception_fp_ieee_invalid_op 0
		.amdhsa_exception_fp_denorm_src 0
		.amdhsa_exception_fp_ieee_div_zero 0
		.amdhsa_exception_fp_ieee_overflow 0
		.amdhsa_exception_fp_ieee_underflow 0
		.amdhsa_exception_fp_ieee_inexact 0
		.amdhsa_exception_int_div_zero 0
	.end_amdhsa_kernel
	.section	.text._ZN2at6native12_GLOBAL__N_125multi_tensor_apply_kernelINS1_18TensorListMetadataILi1EEENS1_14UnaryOpFunctorIN3c108BFloat16ELi1ELi1ELi0EEEJNS0_5Log1pIfEEEEEvT_T0_DpT1_,"axG",@progbits,_ZN2at6native12_GLOBAL__N_125multi_tensor_apply_kernelINS1_18TensorListMetadataILi1EEENS1_14UnaryOpFunctorIN3c108BFloat16ELi1ELi1ELi0EEEJNS0_5Log1pIfEEEEEvT_T0_DpT1_,comdat
.Lfunc_end212:
	.size	_ZN2at6native12_GLOBAL__N_125multi_tensor_apply_kernelINS1_18TensorListMetadataILi1EEENS1_14UnaryOpFunctorIN3c108BFloat16ELi1ELi1ELi0EEEJNS0_5Log1pIfEEEEEvT_T0_DpT1_, .Lfunc_end212-_ZN2at6native12_GLOBAL__N_125multi_tensor_apply_kernelINS1_18TensorListMetadataILi1EEENS1_14UnaryOpFunctorIN3c108BFloat16ELi1ELi1ELi0EEEJNS0_5Log1pIfEEEEEvT_T0_DpT1_
                                        ; -- End function
	.set _ZN2at6native12_GLOBAL__N_125multi_tensor_apply_kernelINS1_18TensorListMetadataILi1EEENS1_14UnaryOpFunctorIN3c108BFloat16ELi1ELi1ELi0EEEJNS0_5Log1pIfEEEEEvT_T0_DpT1_.num_vgpr, 58
	.set _ZN2at6native12_GLOBAL__N_125multi_tensor_apply_kernelINS1_18TensorListMetadataILi1EEENS1_14UnaryOpFunctorIN3c108BFloat16ELi1ELi1ELi0EEEJNS0_5Log1pIfEEEEEvT_T0_DpT1_.num_agpr, 0
	.set _ZN2at6native12_GLOBAL__N_125multi_tensor_apply_kernelINS1_18TensorListMetadataILi1EEENS1_14UnaryOpFunctorIN3c108BFloat16ELi1ELi1ELi0EEEJNS0_5Log1pIfEEEEEvT_T0_DpT1_.numbered_sgpr, 21
	.set _ZN2at6native12_GLOBAL__N_125multi_tensor_apply_kernelINS1_18TensorListMetadataILi1EEENS1_14UnaryOpFunctorIN3c108BFloat16ELi1ELi1ELi0EEEJNS0_5Log1pIfEEEEEvT_T0_DpT1_.num_named_barrier, 0
	.set _ZN2at6native12_GLOBAL__N_125multi_tensor_apply_kernelINS1_18TensorListMetadataILi1EEENS1_14UnaryOpFunctorIN3c108BFloat16ELi1ELi1ELi0EEEJNS0_5Log1pIfEEEEEvT_T0_DpT1_.private_seg_size, 0
	.set _ZN2at6native12_GLOBAL__N_125multi_tensor_apply_kernelINS1_18TensorListMetadataILi1EEENS1_14UnaryOpFunctorIN3c108BFloat16ELi1ELi1ELi0EEEJNS0_5Log1pIfEEEEEvT_T0_DpT1_.uses_vcc, 1
	.set _ZN2at6native12_GLOBAL__N_125multi_tensor_apply_kernelINS1_18TensorListMetadataILi1EEENS1_14UnaryOpFunctorIN3c108BFloat16ELi1ELi1ELi0EEEJNS0_5Log1pIfEEEEEvT_T0_DpT1_.uses_flat_scratch, 0
	.set _ZN2at6native12_GLOBAL__N_125multi_tensor_apply_kernelINS1_18TensorListMetadataILi1EEENS1_14UnaryOpFunctorIN3c108BFloat16ELi1ELi1ELi0EEEJNS0_5Log1pIfEEEEEvT_T0_DpT1_.has_dyn_sized_stack, 0
	.set _ZN2at6native12_GLOBAL__N_125multi_tensor_apply_kernelINS1_18TensorListMetadataILi1EEENS1_14UnaryOpFunctorIN3c108BFloat16ELi1ELi1ELi0EEEJNS0_5Log1pIfEEEEEvT_T0_DpT1_.has_recursion, 0
	.set _ZN2at6native12_GLOBAL__N_125multi_tensor_apply_kernelINS1_18TensorListMetadataILi1EEENS1_14UnaryOpFunctorIN3c108BFloat16ELi1ELi1ELi0EEEJNS0_5Log1pIfEEEEEvT_T0_DpT1_.has_indirect_call, 0
	.section	.AMDGPU.csdata,"",@progbits
; Kernel info:
; codeLenInByte = 7136
; TotalNumSgprs: 23
; NumVgprs: 58
; ScratchSize: 0
; MemoryBound: 0
; FloatMode: 240
; IeeeMode: 1
; LDSByteSize: 0 bytes/workgroup (compile time only)
; SGPRBlocks: 0
; VGPRBlocks: 3
; NumSGPRsForWavesPerEU: 23
; NumVGPRsForWavesPerEU: 58
; NamedBarCnt: 0
; Occupancy: 16
; WaveLimiterHint : 0
; COMPUTE_PGM_RSRC2:SCRATCH_EN: 0
; COMPUTE_PGM_RSRC2:USER_SGPR: 2
; COMPUTE_PGM_RSRC2:TRAP_HANDLER: 0
; COMPUTE_PGM_RSRC2:TGID_X_EN: 1
; COMPUTE_PGM_RSRC2:TGID_Y_EN: 0
; COMPUTE_PGM_RSRC2:TGID_Z_EN: 0
; COMPUTE_PGM_RSRC2:TIDIG_COMP_CNT: 0
	.section	.text._ZN2at6native12_GLOBAL__N_125multi_tensor_apply_kernelINS1_18TensorListMetadataILi2EEENS1_14UnaryOpFunctorIdLi2ELi1ELi1EEEJNS0_3CosIdEEEEEvT_T0_DpT1_,"axG",@progbits,_ZN2at6native12_GLOBAL__N_125multi_tensor_apply_kernelINS1_18TensorListMetadataILi2EEENS1_14UnaryOpFunctorIdLi2ELi1ELi1EEEJNS0_3CosIdEEEEEvT_T0_DpT1_,comdat
	.globl	_ZN2at6native12_GLOBAL__N_125multi_tensor_apply_kernelINS1_18TensorListMetadataILi2EEENS1_14UnaryOpFunctorIdLi2ELi1ELi1EEEJNS0_3CosIdEEEEEvT_T0_DpT1_ ; -- Begin function _ZN2at6native12_GLOBAL__N_125multi_tensor_apply_kernelINS1_18TensorListMetadataILi2EEENS1_14UnaryOpFunctorIdLi2ELi1ELi1EEEJNS0_3CosIdEEEEEvT_T0_DpT1_
	.p2align	8
	.type	_ZN2at6native12_GLOBAL__N_125multi_tensor_apply_kernelINS1_18TensorListMetadataILi2EEENS1_14UnaryOpFunctorIdLi2ELi1ELi1EEEJNS0_3CosIdEEEEEvT_T0_DpT1_,@function
_ZN2at6native12_GLOBAL__N_125multi_tensor_apply_kernelINS1_18TensorListMetadataILi2EEENS1_14UnaryOpFunctorIdLi2ELi1ELi1EEEJNS0_3CosIdEEEEEvT_T0_DpT1_: ; @_ZN2at6native12_GLOBAL__N_125multi_tensor_apply_kernelINS1_18TensorListMetadataILi2EEENS1_14UnaryOpFunctorIdLi2ELi1ELi1EEEJNS0_3CosIdEEEEEvT_T0_DpT1_
; %bb.0:
	s_bfe_u32 s2, ttmp6, 0x4000c
	s_and_b32 s3, ttmp6, 15
	s_add_co_i32 s2, s2, 1
	s_getreg_b32 s4, hwreg(HW_REG_IB_STS2, 6, 4)
	s_mul_i32 s2, ttmp9, s2
	s_delay_alu instid0(SALU_CYCLE_1)
	s_add_co_i32 s3, s3, s2
	s_cmp_eq_u32 s4, 0
	s_cselect_b32 s2, ttmp9, s3
	s_mov_b32 s3, 0
	s_load_u8 s10, s[0:1], s2 offset:0x600
	s_add_nc_u64 s[4:5], s[0:1], s[2:3]
	s_mul_u64 s[6:7], s[2:3], 3
	s_delay_alu instid0(SALU_CYCLE_1)
	s_add_nc_u64 s[4:5], s[4:5], s[6:7]
	s_load_b32 s6, s[4:5], 0x740
	s_wait_kmcnt 0x0
	s_clause 0x2
	s_load_b64 s[12:13], s[0:1], s10 offset:0x0 scale_offset
	s_load_b64 s[14:15], s[0:1], s10 offset:0x200 scale_offset
	;; [unrolled: 1-line block ×3, first 2 shown]
	s_mov_b32 s5, s3
	s_ashr_i32 s7, s6, 31
	s_wait_xcnt 0x0
	s_lshl_b64 s[10:11], s[6:7], 19
	s_wait_kmcnt 0x0
	s_and_b64 s[18:19], s[14:15], 31
	s_add_nc_u64 s[16:17], s[12:13], s[10:11]
	s_and_b32 s4, s8, 3
	s_and_b32 s2, s16, 31
	s_or_b64 s[4:5], s[18:19], s[4:5]
	s_lshl_b64 s[6:7], s[6:7], 16
	s_or_b64 s[2:3], s[4:5], s[2:3]
	s_sub_nc_u64 s[16:17], s[8:9], s[6:7]
	s_cmp_eq_u64 s[2:3], 0
	s_mov_b32 s2, -1
	s_cbranch_scc0 .LBB213_21
; %bb.1:
	v_min_i64 v[10:11], 0x10000, s[16:17]
	v_dual_mov_b32 v12, 0 :: v_dual_lshlrev_b32 v2, 2, v0
	s_mov_b32 s9, exec_lo
	s_delay_alu instid0(VALU_DEP_1) | instskip(NEXT) | instid1(VALU_DEP_1)
	v_mov_b32_e32 v3, v12
	v_cmpx_lt_i64_e64 v[2:3], v[10:11]
	s_cbranch_execz .LBB213_20
; %bb.2:
	s_load_b32 s2, s[0:1], 0xc5c
	v_dual_mov_b32 v1, v12 :: v_dual_lshlrev_b32 v2, 5, v0
	v_mov_b32_e32 v3, v12
	v_mov_b64_e32 v[14:15], 0x3e21eeb69037ab78
	v_mov_b64_e32 v[16:17], 0xbe5ae600b42fdfa7
	s_delay_alu instid0(VALU_DEP_4)
	v_mov_b64_e32 v[20:21], v[0:1]
	s_mov_b32 s19, 0
	v_add_nc_u64_e32 v[18:19], s[10:11], v[2:3]
	s_mov_b64 s[20:21], 0x3ff921fb54442d18
	s_mov_b64 s[22:23], 0x3fe45f306dc9c883
	;; [unrolled: 1-line block ×3, first 2 shown]
	s_mov_b32 s27, s19
	s_mov_b32 s28, s19
                                        ; implicit-def: $vgpr2_vgpr3
                                        ; implicit-def: $vgpr2_vgpr3
	;; [unrolled: 1-line block ×7, first 2 shown]
	s_wait_kmcnt 0x0
	s_and_b32 s18, s2, 0xffff
	s_delay_alu instid0(SALU_CYCLE_1)
	s_lshl_b32 s26, s18, 5
	s_branch .LBB213_4
.LBB213_3:                              ;   in Loop: Header=BB213_4 Depth=1
	s_or_b32 exec_lo, exec_lo, s2
	v_dual_mul_f64 v[38:39], v[30:31], v[30:31] :: v_dual_bitop2_b32 v13, 1, v41 bitop3:0x40
	v_mul_f64_e32 v[48:49], v[34:35], v[34:35]
	v_cmp_class_f64_e64 s8, v[4:5], 0x1f8
	v_lshlrev_b32_e32 v4, 30, v41
	v_cmp_class_f64_e64 s4, v[8:9], 0x1f8
	v_cmp_eq_u32_e32 vcc_lo, 0, v13
	v_mul_f64_e32 v[66:67], 0.5, v[32:33]
	v_mul_f64_e32 v[46:47], v[22:23], v[22:23]
	v_mul_f64_e32 v[78:79], 0.5, v[36:37]
	v_mul_f64_e32 v[74:75], 0.5, v[24:25]
	v_cmp_class_f64_e64 s2, v[2:3], 0x1f8
	v_mul_f64_e32 v[44:45], v[26:27], v[26:27]
	v_cmp_class_f64_e64 s6, v[6:7], 0x1f8
	v_add_nc_u64_e32 v[20:21], s[18:19], v[20:21]
	v_dual_lshlrev_b32 v5, 30, v40 :: v_dual_bitop2_b32 v43, 1, v42 bitop3:0x40
	s_delay_alu instid0(VALU_DEP_2) | instskip(NEXT) | instid1(VALU_DEP_2)
	v_lshlrev_b64_e32 v[2:3], 2, v[20:21]
	v_cmp_eq_u32_e64 s7, 0, v43
	v_mul_f64_e32 v[50:51], 0.5, v[38:39]
	v_mul_f64_e64 v[68:69], v[30:31], -v[38:39]
	v_mul_f64_e32 v[56:57], 0.5, v[48:49]
	v_fmamk_f64 v[70:71], v[38:39], 0x3de5e0b2f9a43bb8, v[16:17]
	v_mul_f64_e64 v[92:93], v[34:35], -v[48:49]
	v_mul_f64_e64 v[86:87], v[22:23], -v[46:47]
	v_fmamk_f64 v[90:91], v[46:47], 0x3de5e0b2f9a43bb8, v[16:17]
	s_delay_alu instid0(VALU_DEP_4) | instskip(NEXT) | instid1(VALU_DEP_2)
	v_fmaak_f64 v[70:71], v[38:39], v[70:71], 0x3ec71de3796cde01
	v_fmaak_f64 v[90:91], v[46:47], v[90:91], 0x3ec71de3796cde01
	s_delay_alu instid0(VALU_DEP_2) | instskip(NEXT) | instid1(VALU_DEP_2)
	v_fmaak_f64 v[70:71], v[38:39], v[70:71], 0xbf2a01a019e83e5c
	v_fmaak_f64 v[90:91], v[46:47], v[90:91], 0xbf2a01a019e83e5c
	s_delay_alu instid0(VALU_DEP_2) | instskip(NEXT) | instid1(VALU_DEP_2)
	v_fmaak_f64 v[70:71], v[38:39], v[70:71], 0x3f81111111110bb3
	v_fmaak_f64 v[90:91], v[46:47], v[90:91], 0x3f81111111110bb3
	v_add_f64_e64 v[58:59], -v[50:51], 1.0
	s_delay_alu instid0(VALU_DEP_3) | instskip(SKIP_4) | instid1(VALU_DEP_3)
	v_fmac_f64_e32 v[66:67], v[68:69], v[70:71]
	v_add_f64_e64 v[64:65], -v[56:57], 1.0
	v_fmamk_f64 v[70:71], v[48:49], 0x3de5e0b2f9a43bb8, v[16:17]
	v_fmac_f64_e32 v[74:75], v[86:87], v[90:91]
	v_fmamk_f64 v[90:91], v[48:49], 0xbda907db46cc5e42, v[14:15]
	v_fmaak_f64 v[70:71], v[48:49], v[70:71], 0x3ec71de3796cde01
	s_delay_alu instid0(VALU_DEP_1) | instskip(NEXT) | instid1(VALU_DEP_1)
	v_fmaak_f64 v[70:71], v[48:49], v[70:71], 0xbf2a01a019e83e5c
	v_fmaak_f64 v[70:71], v[48:49], v[70:71], 0x3f81111111110bb3
	s_delay_alu instid0(VALU_DEP_1)
	v_fmac_f64_e32 v[78:79], v[92:93], v[70:71]
	v_add_f64_e64 v[76:77], -v[58:59], 1.0
	v_mul_f64_e32 v[70:71], v[38:39], v[38:39]
	v_add_f64_e64 v[94:95], -v[64:65], 1.0
	v_fma_f64 v[66:67], v[38:39], v[66:67], -v[32:33]
	v_fma_f64 v[78:79], v[48:49], v[78:79], -v[36:37]
	v_add_f64_e64 v[50:51], v[76:77], -v[50:51]
	v_fmamk_f64 v[76:77], v[38:39], 0xbda907db46cc5e42, v[14:15]
	v_add_f64_e64 v[56:57], v[94:95], -v[56:57]
	v_fmac_f64_e32 v[66:67], 0xbfc5555555555555, v[68:69]
	s_delay_alu instid0(VALU_DEP_3)
	v_fmaak_f64 v[76:77], v[38:39], v[76:77], 0xbe927e4fa17f65f6
	v_fmac_f64_e32 v[78:79], 0xbfc5555555555555, v[92:93]
	v_fma_f64 v[32:33], v[30:31], -v[32:33], v[50:51]
	v_mul_f64_e32 v[50:51], v[48:49], v[48:49]
	v_fma_f64 v[36:37], v[34:35], -v[36:37], v[56:57]
	v_fmaak_f64 v[56:57], v[38:39], v[76:77], 0x3efa01a019f4ec90
	v_fmaak_f64 v[76:77], v[48:49], v[90:91], 0xbe927e4fa17f65f6
	v_add_f64_e64 v[30:31], v[30:31], -v[66:67]
	s_delay_alu instid0(VALU_DEP_3) | instskip(NEXT) | instid1(VALU_DEP_3)
	v_fmaak_f64 v[56:57], v[38:39], v[56:57], 0xbf56c16c16c16967
	v_fmaak_f64 v[76:77], v[48:49], v[76:77], 0x3efa01a019f4ec90
	s_delay_alu instid0(VALU_DEP_2) | instskip(NEXT) | instid1(VALU_DEP_2)
	v_fmaak_f64 v[38:39], v[38:39], v[56:57], 0x3fa5555555555555
	v_fmaak_f64 v[56:57], v[48:49], v[76:77], 0xbf56c16c16c16967
	v_add_f64_e64 v[34:35], v[34:35], -v[78:79]
	s_delay_alu instid0(VALU_DEP_3) | instskip(NEXT) | instid1(VALU_DEP_3)
	v_fmac_f64_e32 v[32:33], v[70:71], v[38:39]
	v_fmaak_f64 v[38:39], v[48:49], v[56:57], 0x3fa5555555555555
	v_xor_b32_e32 v6, 0x80000000, v31
	s_delay_alu instid0(VALU_DEP_2)
	v_fmac_f64_e32 v[36:37], v[50:51], v[38:39]
	v_and_b32_e32 v38, 1, v40
	v_mul_f64_e32 v[52:53], 0.5, v[44:45]
	v_mul_f64_e64 v[80:81], v[26:27], -v[44:45]
	v_fmamk_f64 v[82:83], v[44:45], 0x3de5e0b2f9a43bb8, v[16:17]
	v_and_b32_e32 v39, 1, v1
	v_cmp_eq_u32_e64 s3, 0, v38
	v_dual_fma_f64 v[74:75], v[46:47], v[74:75], -v[24:25] :: v_dual_lshlrev_b32 v1, 30, v1
	s_delay_alu instid0(VALU_DEP_3) | instskip(SKIP_3) | instid1(VALU_DEP_3)
	v_cmp_eq_u32_e64 s5, 0, v39
	v_fmaak_f64 v[82:83], v[44:45], v[82:83], 0x3ec71de3796cde01
	v_add_nc_u64_e32 v[38:39], s[14:15], v[18:19]
	v_add_nc_u64_e32 v[18:19], s[26:27], v[18:19]
	v_fmaak_f64 v[82:83], v[44:45], v[82:83], 0xbf2a01a019e83e5c
	v_add_f64_e32 v[32:33], v[58:59], v[32:33]
	s_delay_alu instid0(VALU_DEP_2)
	v_fmaak_f64 v[82:83], v[44:45], v[82:83], 0x3f81111111110bb3
	v_add_f64_e32 v[36:37], v[64:65], v[36:37]
	v_mul_f64_e32 v[94:95], v[46:47], v[46:47]
	v_add_f64_e64 v[60:61], -v[52:53], 1.0
	v_fmac_f64_e32 v[74:75], 0xbfc5555555555555, v[86:87]
	v_cndmask_b32_e32 v13, v30, v32, vcc_lo
	v_cndmask_b32_e32 v6, v6, v33, vcc_lo
	v_cmp_ge_i64_e32 vcc_lo, v[2:3], v[10:11]
	s_delay_alu instid0(VALU_DEP_3) | instskip(SKIP_3) | instid1(VALU_DEP_2)
	v_dual_cndmask_b32 v2, 0, v13, s2 :: v_dual_cndmask_b32 v7, v34, v36, s7
	v_mul_f64_e32 v[72:73], 0.5, v[28:29]
	v_add_f64_e64 v[84:85], -v[60:61], 1.0
	s_or_b32 s28, vcc_lo, s28
	v_fmac_f64_e32 v[72:73], v[80:81], v[82:83]
	s_delay_alu instid0(VALU_DEP_2) | instskip(SKIP_2) | instid1(VALU_DEP_4)
	v_add_f64_e64 v[52:53], v[84:85], -v[52:53]
	v_fmamk_f64 v[84:85], v[46:47], 0xbda907db46cc5e42, v[14:15]
	v_fmamk_f64 v[82:83], v[44:45], 0xbda907db46cc5e42, v[14:15]
	v_fma_f64 v[72:73], v[44:45], v[72:73], -v[28:29]
	s_delay_alu instid0(VALU_DEP_4) | instskip(NEXT) | instid1(VALU_DEP_3)
	v_fma_f64 v[28:29], v[26:27], -v[28:29], v[52:53]
	v_fmaak_f64 v[52:53], v[44:45], v[82:83], 0xbe927e4fa17f65f6
	s_delay_alu instid0(VALU_DEP_1) | instskip(NEXT) | instid1(VALU_DEP_1)
	v_fmaak_f64 v[52:53], v[44:45], v[52:53], 0x3efa01a019f4ec90
	v_fmaak_f64 v[52:53], v[44:45], v[52:53], 0xbf56c16c16c16967
	v_fmac_f64_e32 v[72:73], 0xbfc5555555555555, v[80:81]
	s_delay_alu instid0(VALU_DEP_1) | instskip(SKIP_1) | instid1(VALU_DEP_2)
	v_add_f64_e64 v[26:27], v[26:27], -v[72:73]
	v_mul_f64_e32 v[54:55], 0.5, v[46:47]
	v_xor_b32_e32 v8, 0x80000000, v27
	s_delay_alu instid0(VALU_DEP_2) | instskip(NEXT) | instid1(VALU_DEP_1)
	v_add_f64_e64 v[62:63], -v[54:55], 1.0
	v_add_f64_e64 v[88:89], -v[62:63], 1.0
	s_delay_alu instid0(VALU_DEP_1) | instskip(SKIP_2) | instid1(VALU_DEP_3)
	v_add_f64_e64 v[54:55], v[88:89], -v[54:55]
	v_mul_f64_e32 v[88:89], v[44:45], v[44:45]
	v_fmaak_f64 v[44:45], v[44:45], v[52:53], 0x3fa5555555555555
	v_fma_f64 v[24:25], v[22:23], -v[24:25], v[54:55]
	v_fmaak_f64 v[54:55], v[46:47], v[84:85], 0xbe927e4fa17f65f6
	s_delay_alu instid0(VALU_DEP_3) | instskip(SKIP_1) | instid1(VALU_DEP_3)
	v_fmac_f64_e32 v[28:29], v[88:89], v[44:45]
	v_add_f64_e64 v[22:23], v[22:23], -v[74:75]
	v_fmaak_f64 v[54:55], v[46:47], v[54:55], 0x3efa01a019f4ec90
	s_delay_alu instid0(VALU_DEP_1) | instskip(NEXT) | instid1(VALU_DEP_1)
	v_fmaak_f64 v[54:55], v[46:47], v[54:55], 0xbf56c16c16c16967
	v_fmaak_f64 v[46:47], v[46:47], v[54:55], 0x3fa5555555555555
	s_delay_alu instid0(VALU_DEP_1) | instskip(SKIP_2) | instid1(VALU_DEP_3)
	v_fmac_f64_e32 v[24:25], v[94:95], v[46:47]
	v_add_f64_e32 v[28:29], v[60:61], v[28:29]
	v_xor_b32_e32 v23, 0x80000000, v23
	v_add_f64_e32 v[24:25], v[62:63], v[24:25]
	s_delay_alu instid0(VALU_DEP_3) | instskip(NEXT) | instid1(VALU_DEP_1)
	v_dual_cndmask_b32 v3, v8, v29, s3 :: v_dual_cndmask_b32 v26, v26, v28, s3
	v_bitop3_b32 v5, v3, v5, 0x80000000 bitop3:0x78
	s_delay_alu instid0(VALU_DEP_2) | instskip(SKIP_3) | instid1(VALU_DEP_4)
	v_dual_cndmask_b32 v8, 0, v26, s4 :: v_dual_cndmask_b32 v9, v22, v24, s5
	v_xor_b32_e32 v24, 0x80000000, v35
	v_dual_cndmask_b32 v23, v23, v25, s5 :: v_dual_lshlrev_b32 v22, 30, v42
	v_bitop3_b32 v25, v6, v4, 0x80000000 bitop3:0x78
	v_cndmask_b32_e64 v6, 0, v9, s6
	s_delay_alu instid0(VALU_DEP_4) | instskip(NEXT) | instid1(VALU_DEP_4)
	v_cndmask_b32_e64 v24, v24, v37, s7
	v_bitop3_b32 v1, v23, v1, 0x80000000 bitop3:0x78
	v_cndmask_b32_e64 v4, 0, v7, s8
	v_cndmask_b32_e64 v9, 0x7ff80000, v5, s4
	;; [unrolled: 1-line block ×3, first 2 shown]
	v_bitop3_b32 v13, v24, v22, 0x80000000 bitop3:0x78
	v_cndmask_b32_e64 v7, 0x7ff80000, v1, s6
	s_delay_alu instid0(VALU_DEP_2)
	v_cndmask_b32_e64 v5, 0x7ff80000, v13, s8
	s_clause 0x1
	global_store_b128 v[38:39], v[6:9], off
	global_store_b128 v[38:39], v[2:5], off offset:16
	s_wait_xcnt 0x0
	s_and_not1_b32 exec_lo, exec_lo, s28
	s_cbranch_execz .LBB213_20
.LBB213_4:                              ; =>This Inner Loop Header: Depth=1
	v_add_nc_u64_e32 v[22:23], s[12:13], v[18:19]
                                        ; implicit-def: $vgpr1
                                        ; implicit-def: $vgpr24_vgpr25
	s_clause 0x1
	global_load_b128 v[6:9], v[22:23], off
	global_load_b128 v[2:5], v[22:23], off offset:16
                                        ; implicit-def: $vgpr22_vgpr23
	s_wait_loadcnt 0x1
	v_cmp_ngt_f64_e64 s2, 0x41d00000, |v[6:7]|
	s_wait_xcnt 0x0
	s_and_saveexec_b32 s3, s2
	s_delay_alu instid0(SALU_CYCLE_1)
	s_xor_b32 s2, exec_lo, s3
	s_cbranch_execz .LBB213_6
; %bb.5:                                ;   in Loop: Header=BB213_4 Depth=1
	v_ldexp_f64 v[22:23], |v[6:7]|, 0xffffff80
	v_cmp_le_f64_e64 vcc_lo, 0x7b000000, |v[6:7]|
	v_trig_preop_f64 v[24:25], |v[6:7]|, 0
	v_and_b32_e32 v1, 0x7fffffff, v7
	v_trig_preop_f64 v[26:27], |v[6:7]|, 1
	v_trig_preop_f64 v[36:37], |v[6:7]|, 2
	s_delay_alu instid0(VALU_DEP_3) | instskip(NEXT) | instid1(VALU_DEP_1)
	v_dual_cndmask_b32 v23, v1, v23 :: v_dual_cndmask_b32 v22, v6, v22
	v_mul_f64_e32 v[28:29], v[24:25], v[22:23]
	s_delay_alu instid0(VALU_DEP_4) | instskip(NEXT) | instid1(VALU_DEP_4)
	v_mul_f64_e32 v[30:31], v[26:27], v[22:23]
	v_mul_f64_e32 v[42:43], v[36:37], v[22:23]
	s_delay_alu instid0(VALU_DEP_3) | instskip(NEXT) | instid1(VALU_DEP_3)
	v_fma_f64 v[24:25], v[24:25], v[22:23], -v[28:29]
	v_fma_f64 v[26:27], v[26:27], v[22:23], -v[30:31]
	s_delay_alu instid0(VALU_DEP_3) | instskip(NEXT) | instid1(VALU_DEP_3)
	v_fma_f64 v[22:23], v[36:37], v[22:23], -v[42:43]
	v_add_f64_e32 v[32:33], v[30:31], v[24:25]
	s_delay_alu instid0(VALU_DEP_1) | instskip(SKIP_1) | instid1(VALU_DEP_2)
	v_add_f64_e64 v[34:35], v[32:33], -v[30:31]
	v_add_f64_e32 v[40:41], v[28:29], v[32:33]
	v_add_f64_e64 v[38:39], v[32:33], -v[34:35]
	v_add_f64_e64 v[24:25], v[24:25], -v[34:35]
	s_delay_alu instid0(VALU_DEP_3) | instskip(NEXT) | instid1(VALU_DEP_3)
	v_ldexp_f64 v[34:35], v[40:41], -2
	v_add_f64_e64 v[30:31], v[30:31], -v[38:39]
	v_add_f64_e32 v[38:39], v[42:43], v[26:27]
	s_delay_alu instid0(VALU_DEP_3) | instskip(NEXT) | instid1(VALU_DEP_3)
	v_cmp_neq_f64_e64 vcc_lo, 0x7ff00000, |v[34:35]|
	v_add_f64_e32 v[24:25], v[24:25], v[30:31]
	v_fract_f64_e32 v[30:31], v[34:35]
	s_delay_alu instid0(VALU_DEP_1) | instskip(NEXT) | instid1(VALU_DEP_1)
	v_ldexp_f64 v[30:31], v[30:31], 2
	v_dual_add_f64 v[28:29], v[40:41], -v[28:29] :: v_dual_cndmask_b32 v30, 0, v30, vcc_lo
	s_delay_alu instid0(VALU_DEP_1) | instskip(SKIP_1) | instid1(VALU_DEP_1)
	v_dual_add_f64 v[28:29], v[32:33], -v[28:29] :: v_dual_cndmask_b32 v31, 0, v31, vcc_lo
	v_add_f64_e32 v[32:33], v[38:39], v[24:25]
	v_add_f64_e32 v[34:35], v[28:29], v[32:33]
	v_add_f64_e64 v[44:45], v[32:33], -v[38:39]
	s_delay_alu instid0(VALU_DEP_2) | instskip(NEXT) | instid1(VALU_DEP_2)
	v_add_f64_e32 v[40:41], v[34:35], v[30:31]
	v_add_f64_e64 v[50:51], v[32:33], -v[44:45]
	v_add_f64_e64 v[24:25], v[24:25], -v[44:45]
	;; [unrolled: 1-line block ×3, first 2 shown]
	s_delay_alu instid0(VALU_DEP_4) | instskip(SKIP_1) | instid1(VALU_DEP_3)
	v_cmp_gt_f64_e32 vcc_lo, 0, v[40:41]
	v_add_f64_e64 v[40:41], v[38:39], -v[42:43]
	v_add_f64_e64 v[28:29], v[32:33], -v[28:29]
	v_cndmask_b32_e64 v13, 0, 0x40100000, vcc_lo
	s_delay_alu instid0(VALU_DEP_3) | instskip(SKIP_2) | instid1(VALU_DEP_4)
	v_add_f64_e64 v[48:49], v[38:39], -v[40:41]
	v_add_f64_e64 v[26:27], v[26:27], -v[40:41]
	;; [unrolled: 1-line block ×3, first 2 shown]
	v_add_f64_e32 v[30:31], v[30:31], v[12:13]
	s_delay_alu instid0(VALU_DEP_4) | instskip(NEXT) | instid1(VALU_DEP_3)
	v_add_f64_e64 v[40:41], v[42:43], -v[48:49]
	v_add_f64_e32 v[24:25], v[24:25], v[38:39]
	s_delay_alu instid0(VALU_DEP_3) | instskip(NEXT) | instid1(VALU_DEP_3)
	v_add_f64_e32 v[46:47], v[34:35], v[30:31]
	v_add_f64_e32 v[26:27], v[26:27], v[40:41]
	s_delay_alu instid0(VALU_DEP_2) | instskip(NEXT) | instid1(VALU_DEP_2)
	v_cvt_i32_f64_e32 v1, v[46:47]
	v_add_f64_e32 v[24:25], v[26:27], v[24:25]
	s_delay_alu instid0(VALU_DEP_2) | instskip(NEXT) | instid1(VALU_DEP_2)
	v_cvt_f64_i32_e32 v[44:45], v1
	v_add_f64_e32 v[22:23], v[22:23], v[24:25]
	s_delay_alu instid0(VALU_DEP_2) | instskip(NEXT) | instid1(VALU_DEP_2)
	v_add_f64_e64 v[30:31], v[30:31], -v[44:45]
	v_add_f64_e32 v[22:23], v[28:29], v[22:23]
	s_delay_alu instid0(VALU_DEP_2) | instskip(NEXT) | instid1(VALU_DEP_1)
	v_add_f64_e32 v[26:27], v[34:35], v[30:31]
	v_add_f64_e64 v[24:25], v[26:27], -v[30:31]
	v_cmp_le_f64_e32 vcc_lo, 0.5, v[26:27]
	s_delay_alu instid0(VALU_DEP_2) | instskip(SKIP_2) | instid1(VALU_DEP_3)
	v_add_f64_e64 v[24:25], v[34:35], -v[24:25]
	v_cndmask_b32_e64 v13, 0, 0x3ff00000, vcc_lo
	v_add_co_ci_u32_e64 v1, null, 0, v1, vcc_lo
	v_add_f64_e32 v[22:23], v[22:23], v[24:25]
	s_delay_alu instid0(VALU_DEP_3) | instskip(NEXT) | instid1(VALU_DEP_1)
	v_add_f64_e64 v[24:25], v[26:27], -v[12:13]
	v_add_f64_e32 v[26:27], v[24:25], v[22:23]
	s_delay_alu instid0(VALU_DEP_1) | instskip(SKIP_1) | instid1(VALU_DEP_2)
	v_mul_f64_e32 v[28:29], 0x3ff921fb54442d18, v[26:27]
	v_add_f64_e64 v[24:25], v[26:27], -v[24:25]
	v_fma_f64 v[30:31], v[26:27], s[20:21], -v[28:29]
	s_delay_alu instid0(VALU_DEP_2) | instskip(NEXT) | instid1(VALU_DEP_2)
	v_add_f64_e64 v[22:23], v[22:23], -v[24:25]
	v_fmac_f64_e32 v[30:31], 0x3c91a62633145c07, v[26:27]
	s_delay_alu instid0(VALU_DEP_1) | instskip(NEXT) | instid1(VALU_DEP_1)
	v_fmac_f64_e32 v[30:31], 0x3ff921fb54442d18, v[22:23]
	v_add_f64_e32 v[22:23], v[28:29], v[30:31]
	s_delay_alu instid0(VALU_DEP_1) | instskip(NEXT) | instid1(VALU_DEP_1)
	v_add_f64_e64 v[24:25], v[22:23], -v[28:29]
	v_add_f64_e64 v[24:25], v[30:31], -v[24:25]
.LBB213_6:                              ;   in Loop: Header=BB213_4 Depth=1
	s_and_not1_saveexec_b32 s2, s2
	s_cbranch_execz .LBB213_8
; %bb.7:                                ;   in Loop: Header=BB213_4 Depth=1
	v_mul_f64_e64 v[22:23], |v[6:7]|, s[22:23]
	s_delay_alu instid0(VALU_DEP_1) | instskip(NEXT) | instid1(VALU_DEP_1)
	v_rndne_f64_e32 v[26:27], v[22:23]
	v_fma_f64 v[22:23], v[26:27], s[24:25], |v[6:7]|
	v_mul_f64_e32 v[24:25], 0xbc91a62633145c00, v[26:27]
	v_cvt_i32_f64_e32 v1, v[26:27]
	s_delay_alu instid0(VALU_DEP_3) | instskip(NEXT) | instid1(VALU_DEP_3)
	v_fmamk_f64 v[32:33], v[26:27], 0xbc91a62633145c00, v[22:23]
	v_add_f64_e32 v[28:29], v[22:23], v[24:25]
	s_delay_alu instid0(VALU_DEP_1) | instskip(NEXT) | instid1(VALU_DEP_3)
	v_add_f64_e64 v[30:31], v[22:23], -v[28:29]
	v_add_f64_e64 v[22:23], v[28:29], -v[32:33]
	s_delay_alu instid0(VALU_DEP_2) | instskip(SKIP_1) | instid1(VALU_DEP_2)
	v_add_f64_e32 v[28:29], v[30:31], v[24:25]
	v_fmamk_f64 v[24:25], v[26:27], 0x3c91a62633145c00, v[24:25]
	v_add_f64_e32 v[22:23], v[22:23], v[28:29]
	s_delay_alu instid0(VALU_DEP_1) | instskip(NEXT) | instid1(VALU_DEP_1)
	v_add_f64_e64 v[24:25], v[22:23], -v[24:25]
	v_fmac_f64_e32 v[24:25], 0xb97b839a252049c0, v[26:27]
	s_delay_alu instid0(VALU_DEP_1) | instskip(NEXT) | instid1(VALU_DEP_1)
	v_add_f64_e32 v[22:23], v[32:33], v[24:25]
	v_add_f64_e64 v[28:29], v[22:23], -v[32:33]
	s_delay_alu instid0(VALU_DEP_1)
	v_add_f64_e64 v[24:25], v[24:25], -v[28:29]
.LBB213_8:                              ;   in Loop: Header=BB213_4 Depth=1
	s_or_b32 exec_lo, exec_lo, s2
	v_cmp_ngt_f64_e64 s2, 0x41d00000, |v[8:9]|
                                        ; implicit-def: $vgpr40
                                        ; implicit-def: $vgpr26_vgpr27
                                        ; implicit-def: $vgpr28_vgpr29
	s_and_saveexec_b32 s3, s2
	s_delay_alu instid0(SALU_CYCLE_1)
	s_xor_b32 s2, exec_lo, s3
	s_cbranch_execz .LBB213_10
; %bb.9:                                ;   in Loop: Header=BB213_4 Depth=1
	v_ldexp_f64 v[26:27], |v[8:9]|, 0xffffff80
	v_cmp_le_f64_e64 vcc_lo, 0x7b000000, |v[8:9]|
	v_trig_preop_f64 v[28:29], |v[8:9]|, 0
	v_and_b32_e32 v13, 0x7fffffff, v9
	v_trig_preop_f64 v[30:31], |v[8:9]|, 1
	v_trig_preop_f64 v[40:41], |v[8:9]|, 2
	s_delay_alu instid0(VALU_DEP_3) | instskip(NEXT) | instid1(VALU_DEP_1)
	v_dual_cndmask_b32 v27, v13, v27 :: v_dual_cndmask_b32 v26, v8, v26
	v_mul_f64_e32 v[32:33], v[28:29], v[26:27]
	s_delay_alu instid0(VALU_DEP_4) | instskip(NEXT) | instid1(VALU_DEP_4)
	v_mul_f64_e32 v[34:35], v[30:31], v[26:27]
	v_mul_f64_e32 v[46:47], v[40:41], v[26:27]
	s_delay_alu instid0(VALU_DEP_3) | instskip(NEXT) | instid1(VALU_DEP_3)
	v_fma_f64 v[28:29], v[28:29], v[26:27], -v[32:33]
	v_fma_f64 v[30:31], v[30:31], v[26:27], -v[34:35]
	s_delay_alu instid0(VALU_DEP_3) | instskip(NEXT) | instid1(VALU_DEP_3)
	v_fma_f64 v[26:27], v[40:41], v[26:27], -v[46:47]
	v_add_f64_e32 v[36:37], v[34:35], v[28:29]
	s_delay_alu instid0(VALU_DEP_1) | instskip(SKIP_1) | instid1(VALU_DEP_2)
	v_add_f64_e64 v[38:39], v[36:37], -v[34:35]
	v_add_f64_e32 v[44:45], v[32:33], v[36:37]
	v_add_f64_e64 v[42:43], v[36:37], -v[38:39]
	v_add_f64_e64 v[28:29], v[28:29], -v[38:39]
	s_delay_alu instid0(VALU_DEP_3) | instskip(NEXT) | instid1(VALU_DEP_3)
	v_ldexp_f64 v[38:39], v[44:45], -2
	v_add_f64_e64 v[34:35], v[34:35], -v[42:43]
	v_add_f64_e32 v[42:43], v[46:47], v[30:31]
	s_delay_alu instid0(VALU_DEP_3) | instskip(NEXT) | instid1(VALU_DEP_3)
	v_cmp_neq_f64_e64 vcc_lo, 0x7ff00000, |v[38:39]|
	v_add_f64_e32 v[28:29], v[28:29], v[34:35]
	v_fract_f64_e32 v[34:35], v[38:39]
	s_delay_alu instid0(VALU_DEP_1) | instskip(NEXT) | instid1(VALU_DEP_1)
	v_ldexp_f64 v[34:35], v[34:35], 2
	v_dual_add_f64 v[32:33], v[44:45], -v[32:33] :: v_dual_cndmask_b32 v34, 0, v34, vcc_lo
	s_delay_alu instid0(VALU_DEP_1) | instskip(SKIP_1) | instid1(VALU_DEP_1)
	v_dual_add_f64 v[32:33], v[36:37], -v[32:33] :: v_dual_cndmask_b32 v35, 0, v35, vcc_lo
	v_add_f64_e32 v[36:37], v[42:43], v[28:29]
	v_add_f64_e32 v[38:39], v[32:33], v[36:37]
	v_add_f64_e64 v[48:49], v[36:37], -v[42:43]
	s_delay_alu instid0(VALU_DEP_2) | instskip(NEXT) | instid1(VALU_DEP_2)
	v_add_f64_e32 v[44:45], v[38:39], v[34:35]
	v_add_f64_e64 v[54:55], v[36:37], -v[48:49]
	v_add_f64_e64 v[28:29], v[28:29], -v[48:49]
	;; [unrolled: 1-line block ×3, first 2 shown]
	s_delay_alu instid0(VALU_DEP_4) | instskip(SKIP_1) | instid1(VALU_DEP_3)
	v_cmp_gt_f64_e32 vcc_lo, 0, v[44:45]
	v_add_f64_e64 v[44:45], v[42:43], -v[46:47]
	v_add_f64_e64 v[32:33], v[36:37], -v[32:33]
	v_cndmask_b32_e64 v13, 0, 0x40100000, vcc_lo
	s_delay_alu instid0(VALU_DEP_3) | instskip(SKIP_2) | instid1(VALU_DEP_4)
	v_add_f64_e64 v[52:53], v[42:43], -v[44:45]
	v_add_f64_e64 v[30:31], v[30:31], -v[44:45]
	;; [unrolled: 1-line block ×3, first 2 shown]
	v_add_f64_e32 v[34:35], v[34:35], v[12:13]
	s_delay_alu instid0(VALU_DEP_4) | instskip(NEXT) | instid1(VALU_DEP_3)
	v_add_f64_e64 v[44:45], v[46:47], -v[52:53]
	v_add_f64_e32 v[28:29], v[28:29], v[42:43]
	s_delay_alu instid0(VALU_DEP_3) | instskip(NEXT) | instid1(VALU_DEP_3)
	v_add_f64_e32 v[50:51], v[38:39], v[34:35]
	v_add_f64_e32 v[30:31], v[30:31], v[44:45]
	s_delay_alu instid0(VALU_DEP_2) | instskip(NEXT) | instid1(VALU_DEP_2)
	v_cvt_i32_f64_e32 v13, v[50:51]
	v_add_f64_e32 v[28:29], v[30:31], v[28:29]
	s_delay_alu instid0(VALU_DEP_2) | instskip(NEXT) | instid1(VALU_DEP_2)
	v_cvt_f64_i32_e32 v[48:49], v13
	v_add_f64_e32 v[26:27], v[26:27], v[28:29]
	s_delay_alu instid0(VALU_DEP_2) | instskip(NEXT) | instid1(VALU_DEP_2)
	v_add_f64_e64 v[34:35], v[34:35], -v[48:49]
	v_add_f64_e32 v[26:27], v[32:33], v[26:27]
	s_delay_alu instid0(VALU_DEP_2) | instskip(NEXT) | instid1(VALU_DEP_1)
	v_add_f64_e32 v[30:31], v[38:39], v[34:35]
	v_add_f64_e64 v[28:29], v[30:31], -v[34:35]
	v_cmp_le_f64_e32 vcc_lo, 0.5, v[30:31]
	s_delay_alu instid0(VALU_DEP_2) | instskip(SKIP_2) | instid1(VALU_DEP_3)
	v_add_f64_e64 v[28:29], v[38:39], -v[28:29]
	v_add_co_ci_u32_e64 v40, null, 0, v13, vcc_lo
	v_cndmask_b32_e64 v13, 0, 0x3ff00000, vcc_lo
	v_add_f64_e32 v[26:27], v[26:27], v[28:29]
	s_delay_alu instid0(VALU_DEP_2) | instskip(NEXT) | instid1(VALU_DEP_1)
	v_add_f64_e64 v[28:29], v[30:31], -v[12:13]
	v_add_f64_e32 v[30:31], v[28:29], v[26:27]
	s_delay_alu instid0(VALU_DEP_1) | instskip(SKIP_1) | instid1(VALU_DEP_2)
	v_mul_f64_e32 v[32:33], 0x3ff921fb54442d18, v[30:31]
	v_add_f64_e64 v[28:29], v[30:31], -v[28:29]
	v_fma_f64 v[34:35], v[30:31], s[20:21], -v[32:33]
	s_delay_alu instid0(VALU_DEP_2) | instskip(NEXT) | instid1(VALU_DEP_2)
	v_add_f64_e64 v[26:27], v[26:27], -v[28:29]
	v_fmac_f64_e32 v[34:35], 0x3c91a62633145c07, v[30:31]
	s_delay_alu instid0(VALU_DEP_1) | instskip(NEXT) | instid1(VALU_DEP_1)
	v_fmac_f64_e32 v[34:35], 0x3ff921fb54442d18, v[26:27]
	v_add_f64_e32 v[26:27], v[32:33], v[34:35]
	s_delay_alu instid0(VALU_DEP_1) | instskip(NEXT) | instid1(VALU_DEP_1)
	v_add_f64_e64 v[28:29], v[26:27], -v[32:33]
	v_add_f64_e64 v[28:29], v[34:35], -v[28:29]
.LBB213_10:                             ;   in Loop: Header=BB213_4 Depth=1
	s_and_not1_saveexec_b32 s2, s2
	s_cbranch_execz .LBB213_12
; %bb.11:                               ;   in Loop: Header=BB213_4 Depth=1
	v_mul_f64_e64 v[26:27], |v[8:9]|, s[22:23]
	s_delay_alu instid0(VALU_DEP_1) | instskip(NEXT) | instid1(VALU_DEP_1)
	v_rndne_f64_e32 v[30:31], v[26:27]
	v_fma_f64 v[26:27], v[30:31], s[24:25], |v[8:9]|
	v_mul_f64_e32 v[28:29], 0xbc91a62633145c00, v[30:31]
	v_cvt_i32_f64_e32 v40, v[30:31]
	s_delay_alu instid0(VALU_DEP_3) | instskip(NEXT) | instid1(VALU_DEP_3)
	v_fmamk_f64 v[36:37], v[30:31], 0xbc91a62633145c00, v[26:27]
	v_add_f64_e32 v[32:33], v[26:27], v[28:29]
	s_delay_alu instid0(VALU_DEP_1) | instskip(NEXT) | instid1(VALU_DEP_3)
	v_add_f64_e64 v[34:35], v[26:27], -v[32:33]
	v_add_f64_e64 v[26:27], v[32:33], -v[36:37]
	s_delay_alu instid0(VALU_DEP_2) | instskip(SKIP_1) | instid1(VALU_DEP_2)
	v_add_f64_e32 v[32:33], v[34:35], v[28:29]
	v_fmamk_f64 v[28:29], v[30:31], 0x3c91a62633145c00, v[28:29]
	v_add_f64_e32 v[26:27], v[26:27], v[32:33]
	s_delay_alu instid0(VALU_DEP_1) | instskip(NEXT) | instid1(VALU_DEP_1)
	v_add_f64_e64 v[28:29], v[26:27], -v[28:29]
	v_fmac_f64_e32 v[28:29], 0xb97b839a252049c0, v[30:31]
	s_delay_alu instid0(VALU_DEP_1) | instskip(NEXT) | instid1(VALU_DEP_1)
	v_add_f64_e32 v[26:27], v[36:37], v[28:29]
	v_add_f64_e64 v[32:33], v[26:27], -v[36:37]
	s_delay_alu instid0(VALU_DEP_1)
	v_add_f64_e64 v[28:29], v[28:29], -v[32:33]
.LBB213_12:                             ;   in Loop: Header=BB213_4 Depth=1
	s_or_b32 exec_lo, exec_lo, s2
	s_wait_loadcnt 0x0
	v_cmp_ngt_f64_e64 s2, 0x41d00000, |v[2:3]|
                                        ; implicit-def: $vgpr41
                                        ; implicit-def: $vgpr30_vgpr31
                                        ; implicit-def: $vgpr32_vgpr33
	s_and_saveexec_b32 s3, s2
	s_delay_alu instid0(SALU_CYCLE_1)
	s_xor_b32 s2, exec_lo, s3
	s_cbranch_execz .LBB213_14
; %bb.13:                               ;   in Loop: Header=BB213_4 Depth=1
	v_ldexp_f64 v[30:31], |v[2:3]|, 0xffffff80
	v_cmp_le_f64_e64 vcc_lo, 0x7b000000, |v[2:3]|
	v_trig_preop_f64 v[32:33], |v[2:3]|, 0
	v_and_b32_e32 v13, 0x7fffffff, v3
	v_trig_preop_f64 v[34:35], |v[2:3]|, 1
	v_trig_preop_f64 v[46:47], |v[2:3]|, 2
	s_delay_alu instid0(VALU_DEP_3) | instskip(NEXT) | instid1(VALU_DEP_1)
	v_dual_cndmask_b32 v31, v13, v31 :: v_dual_cndmask_b32 v30, v2, v30
	v_mul_f64_e32 v[36:37], v[32:33], v[30:31]
	s_delay_alu instid0(VALU_DEP_4) | instskip(NEXT) | instid1(VALU_DEP_4)
	v_mul_f64_e32 v[38:39], v[34:35], v[30:31]
	v_mul_f64_e32 v[52:53], v[46:47], v[30:31]
	s_delay_alu instid0(VALU_DEP_3) | instskip(NEXT) | instid1(VALU_DEP_3)
	v_fma_f64 v[32:33], v[32:33], v[30:31], -v[36:37]
	v_fma_f64 v[34:35], v[34:35], v[30:31], -v[38:39]
	s_delay_alu instid0(VALU_DEP_3) | instskip(NEXT) | instid1(VALU_DEP_3)
	v_fma_f64 v[30:31], v[46:47], v[30:31], -v[52:53]
	v_add_f64_e32 v[42:43], v[38:39], v[32:33]
	s_delay_alu instid0(VALU_DEP_1) | instskip(SKIP_1) | instid1(VALU_DEP_2)
	v_add_f64_e64 v[44:45], v[42:43], -v[38:39]
	v_add_f64_e32 v[50:51], v[36:37], v[42:43]
	v_add_f64_e64 v[48:49], v[42:43], -v[44:45]
	v_add_f64_e64 v[32:33], v[32:33], -v[44:45]
	s_delay_alu instid0(VALU_DEP_3) | instskip(SKIP_1) | instid1(VALU_DEP_4)
	v_ldexp_f64 v[44:45], v[50:51], -2
	v_add_f64_e64 v[36:37], v[50:51], -v[36:37]
	v_add_f64_e64 v[38:39], v[38:39], -v[48:49]
	v_add_f64_e32 v[48:49], v[52:53], v[34:35]
	s_delay_alu instid0(VALU_DEP_4) | instskip(NEXT) | instid1(VALU_DEP_3)
	v_cmp_neq_f64_e64 vcc_lo, 0x7ff00000, |v[44:45]|
	v_add_f64_e32 v[32:33], v[32:33], v[38:39]
	v_fract_f64_e32 v[38:39], v[44:45]
	s_delay_alu instid0(VALU_DEP_1) | instskip(NEXT) | instid1(VALU_DEP_1)
	v_ldexp_f64 v[38:39], v[38:39], 2
	v_dual_add_f64 v[36:37], v[42:43], -v[36:37] :: v_dual_cndmask_b32 v39, 0, v39, vcc_lo
	s_delay_alu instid0(VALU_DEP_2) | instskip(NEXT) | instid1(VALU_DEP_1)
	v_dual_add_f64 v[42:43], v[48:49], v[32:33] :: v_dual_cndmask_b32 v38, 0, v38, vcc_lo
	v_add_f64_e32 v[44:45], v[36:37], v[42:43]
	v_add_f64_e64 v[54:55], v[42:43], -v[48:49]
	s_delay_alu instid0(VALU_DEP_2) | instskip(NEXT) | instid1(VALU_DEP_2)
	v_add_f64_e32 v[50:51], v[44:45], v[38:39]
	v_add_f64_e64 v[60:61], v[42:43], -v[54:55]
	v_add_f64_e64 v[32:33], v[32:33], -v[54:55]
	;; [unrolled: 1-line block ×3, first 2 shown]
	s_delay_alu instid0(VALU_DEP_4) | instskip(SKIP_1) | instid1(VALU_DEP_3)
	v_cmp_gt_f64_e32 vcc_lo, 0, v[50:51]
	v_add_f64_e64 v[50:51], v[48:49], -v[52:53]
	v_add_f64_e64 v[36:37], v[42:43], -v[36:37]
	v_cndmask_b32_e64 v13, 0, 0x40100000, vcc_lo
	s_delay_alu instid0(VALU_DEP_3) | instskip(SKIP_2) | instid1(VALU_DEP_4)
	v_add_f64_e64 v[58:59], v[48:49], -v[50:51]
	v_add_f64_e64 v[34:35], v[34:35], -v[50:51]
	;; [unrolled: 1-line block ×3, first 2 shown]
	v_add_f64_e32 v[38:39], v[38:39], v[12:13]
	s_delay_alu instid0(VALU_DEP_4) | instskip(NEXT) | instid1(VALU_DEP_3)
	v_add_f64_e64 v[50:51], v[52:53], -v[58:59]
	v_add_f64_e32 v[32:33], v[32:33], v[48:49]
	s_delay_alu instid0(VALU_DEP_3) | instskip(NEXT) | instid1(VALU_DEP_3)
	v_add_f64_e32 v[56:57], v[44:45], v[38:39]
	v_add_f64_e32 v[34:35], v[34:35], v[50:51]
	s_delay_alu instid0(VALU_DEP_2) | instskip(NEXT) | instid1(VALU_DEP_2)
	v_cvt_i32_f64_e32 v13, v[56:57]
	v_add_f64_e32 v[32:33], v[34:35], v[32:33]
	s_delay_alu instid0(VALU_DEP_2) | instskip(NEXT) | instid1(VALU_DEP_2)
	v_cvt_f64_i32_e32 v[54:55], v13
	v_add_f64_e32 v[30:31], v[30:31], v[32:33]
	s_delay_alu instid0(VALU_DEP_2) | instskip(NEXT) | instid1(VALU_DEP_2)
	v_add_f64_e64 v[38:39], v[38:39], -v[54:55]
	v_add_f64_e32 v[30:31], v[36:37], v[30:31]
	s_delay_alu instid0(VALU_DEP_2) | instskip(NEXT) | instid1(VALU_DEP_1)
	v_add_f64_e32 v[34:35], v[44:45], v[38:39]
	v_add_f64_e64 v[32:33], v[34:35], -v[38:39]
	v_cmp_le_f64_e32 vcc_lo, 0.5, v[34:35]
	s_delay_alu instid0(VALU_DEP_2) | instskip(SKIP_2) | instid1(VALU_DEP_3)
	v_add_f64_e64 v[32:33], v[44:45], -v[32:33]
	v_add_co_ci_u32_e64 v41, null, 0, v13, vcc_lo
	v_cndmask_b32_e64 v13, 0, 0x3ff00000, vcc_lo
	v_add_f64_e32 v[30:31], v[30:31], v[32:33]
	s_delay_alu instid0(VALU_DEP_2) | instskip(NEXT) | instid1(VALU_DEP_1)
	v_add_f64_e64 v[32:33], v[34:35], -v[12:13]
	v_add_f64_e32 v[34:35], v[32:33], v[30:31]
	s_delay_alu instid0(VALU_DEP_1) | instskip(SKIP_1) | instid1(VALU_DEP_2)
	v_mul_f64_e32 v[36:37], 0x3ff921fb54442d18, v[34:35]
	v_add_f64_e64 v[32:33], v[34:35], -v[32:33]
	v_fma_f64 v[38:39], v[34:35], s[20:21], -v[36:37]
	s_delay_alu instid0(VALU_DEP_2) | instskip(NEXT) | instid1(VALU_DEP_2)
	v_add_f64_e64 v[30:31], v[30:31], -v[32:33]
	v_fmac_f64_e32 v[38:39], 0x3c91a62633145c07, v[34:35]
	s_delay_alu instid0(VALU_DEP_1) | instskip(NEXT) | instid1(VALU_DEP_1)
	v_fmac_f64_e32 v[38:39], 0x3ff921fb54442d18, v[30:31]
	v_add_f64_e32 v[30:31], v[36:37], v[38:39]
	s_delay_alu instid0(VALU_DEP_1) | instskip(NEXT) | instid1(VALU_DEP_1)
	v_add_f64_e64 v[32:33], v[30:31], -v[36:37]
	v_add_f64_e64 v[32:33], v[38:39], -v[32:33]
.LBB213_14:                             ;   in Loop: Header=BB213_4 Depth=1
	s_and_not1_saveexec_b32 s2, s2
	s_cbranch_execz .LBB213_16
; %bb.15:                               ;   in Loop: Header=BB213_4 Depth=1
	v_mul_f64_e64 v[30:31], |v[2:3]|, s[22:23]
	s_delay_alu instid0(VALU_DEP_1) | instskip(NEXT) | instid1(VALU_DEP_1)
	v_rndne_f64_e32 v[34:35], v[30:31]
	v_fma_f64 v[30:31], v[34:35], s[24:25], |v[2:3]|
	v_mul_f64_e32 v[32:33], 0xbc91a62633145c00, v[34:35]
	v_cvt_i32_f64_e32 v41, v[34:35]
	s_delay_alu instid0(VALU_DEP_3) | instskip(NEXT) | instid1(VALU_DEP_3)
	v_fmamk_f64 v[42:43], v[34:35], 0xbc91a62633145c00, v[30:31]
	v_add_f64_e32 v[36:37], v[30:31], v[32:33]
	s_delay_alu instid0(VALU_DEP_1) | instskip(NEXT) | instid1(VALU_DEP_3)
	v_add_f64_e64 v[38:39], v[30:31], -v[36:37]
	v_add_f64_e64 v[30:31], v[36:37], -v[42:43]
	s_delay_alu instid0(VALU_DEP_2) | instskip(SKIP_1) | instid1(VALU_DEP_2)
	v_add_f64_e32 v[36:37], v[38:39], v[32:33]
	v_fmamk_f64 v[32:33], v[34:35], 0x3c91a62633145c00, v[32:33]
	v_add_f64_e32 v[30:31], v[30:31], v[36:37]
	s_delay_alu instid0(VALU_DEP_1) | instskip(NEXT) | instid1(VALU_DEP_1)
	v_add_f64_e64 v[32:33], v[30:31], -v[32:33]
	v_fmac_f64_e32 v[32:33], 0xb97b839a252049c0, v[34:35]
	s_delay_alu instid0(VALU_DEP_1) | instskip(NEXT) | instid1(VALU_DEP_1)
	v_add_f64_e32 v[30:31], v[42:43], v[32:33]
	v_add_f64_e64 v[36:37], v[30:31], -v[42:43]
	s_delay_alu instid0(VALU_DEP_1)
	v_add_f64_e64 v[32:33], v[32:33], -v[36:37]
.LBB213_16:                             ;   in Loop: Header=BB213_4 Depth=1
	s_or_b32 exec_lo, exec_lo, s2
	v_cmp_ngt_f64_e64 s2, 0x41d00000, |v[4:5]|
                                        ; implicit-def: $vgpr42
                                        ; implicit-def: $vgpr34_vgpr35
                                        ; implicit-def: $vgpr36_vgpr37
	s_and_saveexec_b32 s3, s2
	s_delay_alu instid0(SALU_CYCLE_1)
	s_xor_b32 s2, exec_lo, s3
	s_cbranch_execz .LBB213_18
; %bb.17:                               ;   in Loop: Header=BB213_4 Depth=1
	v_ldexp_f64 v[34:35], |v[4:5]|, 0xffffff80
	v_cmp_le_f64_e64 vcc_lo, 0x7b000000, |v[4:5]|
	v_trig_preop_f64 v[36:37], |v[4:5]|, 0
	v_and_b32_e32 v13, 0x7fffffff, v5
	v_trig_preop_f64 v[38:39], |v[4:5]|, 1
	v_trig_preop_f64 v[50:51], |v[4:5]|, 2
	s_delay_alu instid0(VALU_DEP_3) | instskip(NEXT) | instid1(VALU_DEP_1)
	v_dual_cndmask_b32 v35, v13, v35 :: v_dual_cndmask_b32 v34, v4, v34
	v_mul_f64_e32 v[42:43], v[36:37], v[34:35]
	s_delay_alu instid0(VALU_DEP_4) | instskip(NEXT) | instid1(VALU_DEP_4)
	v_mul_f64_e32 v[44:45], v[38:39], v[34:35]
	v_mul_f64_e32 v[56:57], v[50:51], v[34:35]
	s_delay_alu instid0(VALU_DEP_3) | instskip(NEXT) | instid1(VALU_DEP_3)
	v_fma_f64 v[36:37], v[36:37], v[34:35], -v[42:43]
	v_fma_f64 v[38:39], v[38:39], v[34:35], -v[44:45]
	s_delay_alu instid0(VALU_DEP_3) | instskip(NEXT) | instid1(VALU_DEP_3)
	v_fma_f64 v[34:35], v[50:51], v[34:35], -v[56:57]
	v_add_f64_e32 v[46:47], v[44:45], v[36:37]
	s_delay_alu instid0(VALU_DEP_1) | instskip(SKIP_1) | instid1(VALU_DEP_2)
	v_add_f64_e64 v[48:49], v[46:47], -v[44:45]
	v_add_f64_e32 v[54:55], v[42:43], v[46:47]
	v_add_f64_e64 v[52:53], v[46:47], -v[48:49]
	v_add_f64_e64 v[36:37], v[36:37], -v[48:49]
	s_delay_alu instid0(VALU_DEP_3) | instskip(NEXT) | instid1(VALU_DEP_3)
	v_ldexp_f64 v[48:49], v[54:55], -2
	v_add_f64_e64 v[44:45], v[44:45], -v[52:53]
	v_add_f64_e32 v[52:53], v[56:57], v[38:39]
	s_delay_alu instid0(VALU_DEP_3) | instskip(NEXT) | instid1(VALU_DEP_3)
	v_cmp_neq_f64_e64 vcc_lo, 0x7ff00000, |v[48:49]|
	v_add_f64_e32 v[36:37], v[36:37], v[44:45]
	v_fract_f64_e32 v[44:45], v[48:49]
	s_delay_alu instid0(VALU_DEP_1) | instskip(NEXT) | instid1(VALU_DEP_1)
	v_ldexp_f64 v[44:45], v[44:45], 2
	v_dual_add_f64 v[42:43], v[54:55], -v[42:43] :: v_dual_cndmask_b32 v45, 0, v45, vcc_lo
	s_delay_alu instid0(VALU_DEP_1) | instskip(SKIP_1) | instid1(VALU_DEP_1)
	v_dual_add_f64 v[42:43], v[46:47], -v[42:43] :: v_dual_cndmask_b32 v44, 0, v44, vcc_lo
	v_add_f64_e32 v[46:47], v[52:53], v[36:37]
	v_add_f64_e32 v[48:49], v[42:43], v[46:47]
	v_add_f64_e64 v[58:59], v[46:47], -v[52:53]
	s_delay_alu instid0(VALU_DEP_2) | instskip(NEXT) | instid1(VALU_DEP_2)
	v_add_f64_e32 v[54:55], v[48:49], v[44:45]
	v_add_f64_e64 v[64:65], v[46:47], -v[58:59]
	v_add_f64_e64 v[36:37], v[36:37], -v[58:59]
	;; [unrolled: 1-line block ×3, first 2 shown]
	s_delay_alu instid0(VALU_DEP_4) | instskip(SKIP_1) | instid1(VALU_DEP_3)
	v_cmp_gt_f64_e32 vcc_lo, 0, v[54:55]
	v_add_f64_e64 v[54:55], v[52:53], -v[56:57]
	v_add_f64_e64 v[42:43], v[46:47], -v[42:43]
	v_cndmask_b32_e64 v13, 0, 0x40100000, vcc_lo
	s_delay_alu instid0(VALU_DEP_3) | instskip(SKIP_2) | instid1(VALU_DEP_4)
	v_add_f64_e64 v[62:63], v[52:53], -v[54:55]
	v_add_f64_e64 v[38:39], v[38:39], -v[54:55]
	;; [unrolled: 1-line block ×3, first 2 shown]
	v_add_f64_e32 v[44:45], v[44:45], v[12:13]
	s_delay_alu instid0(VALU_DEP_4) | instskip(NEXT) | instid1(VALU_DEP_3)
	v_add_f64_e64 v[54:55], v[56:57], -v[62:63]
	v_add_f64_e32 v[36:37], v[36:37], v[52:53]
	s_delay_alu instid0(VALU_DEP_3) | instskip(NEXT) | instid1(VALU_DEP_3)
	v_add_f64_e32 v[60:61], v[48:49], v[44:45]
	v_add_f64_e32 v[38:39], v[38:39], v[54:55]
	s_delay_alu instid0(VALU_DEP_2) | instskip(NEXT) | instid1(VALU_DEP_2)
	v_cvt_i32_f64_e32 v13, v[60:61]
	v_add_f64_e32 v[36:37], v[38:39], v[36:37]
	s_delay_alu instid0(VALU_DEP_2) | instskip(NEXT) | instid1(VALU_DEP_2)
	v_cvt_f64_i32_e32 v[58:59], v13
	v_add_f64_e32 v[34:35], v[34:35], v[36:37]
	s_delay_alu instid0(VALU_DEP_2) | instskip(NEXT) | instid1(VALU_DEP_2)
	v_add_f64_e64 v[44:45], v[44:45], -v[58:59]
	v_add_f64_e32 v[34:35], v[42:43], v[34:35]
	s_delay_alu instid0(VALU_DEP_2) | instskip(NEXT) | instid1(VALU_DEP_1)
	v_add_f64_e32 v[38:39], v[48:49], v[44:45]
	v_add_f64_e64 v[36:37], v[38:39], -v[44:45]
	v_cmp_le_f64_e32 vcc_lo, 0.5, v[38:39]
	s_delay_alu instid0(VALU_DEP_2) | instskip(SKIP_2) | instid1(VALU_DEP_3)
	v_add_f64_e64 v[36:37], v[48:49], -v[36:37]
	v_add_co_ci_u32_e64 v42, null, 0, v13, vcc_lo
	v_cndmask_b32_e64 v13, 0, 0x3ff00000, vcc_lo
	v_add_f64_e32 v[34:35], v[34:35], v[36:37]
	s_delay_alu instid0(VALU_DEP_2) | instskip(NEXT) | instid1(VALU_DEP_1)
	v_add_f64_e64 v[36:37], v[38:39], -v[12:13]
	v_add_f64_e32 v[38:39], v[36:37], v[34:35]
	s_delay_alu instid0(VALU_DEP_1) | instskip(SKIP_1) | instid1(VALU_DEP_2)
	v_mul_f64_e32 v[44:45], 0x3ff921fb54442d18, v[38:39]
	v_add_f64_e64 v[36:37], v[38:39], -v[36:37]
	v_fma_f64 v[46:47], v[38:39], s[20:21], -v[44:45]
	s_delay_alu instid0(VALU_DEP_2) | instskip(NEXT) | instid1(VALU_DEP_2)
	v_add_f64_e64 v[34:35], v[34:35], -v[36:37]
	v_fmac_f64_e32 v[46:47], 0x3c91a62633145c07, v[38:39]
	s_delay_alu instid0(VALU_DEP_1) | instskip(NEXT) | instid1(VALU_DEP_1)
	v_fmac_f64_e32 v[46:47], 0x3ff921fb54442d18, v[34:35]
	v_add_f64_e32 v[34:35], v[44:45], v[46:47]
	s_delay_alu instid0(VALU_DEP_1) | instskip(NEXT) | instid1(VALU_DEP_1)
	v_add_f64_e64 v[36:37], v[34:35], -v[44:45]
	v_add_f64_e64 v[36:37], v[46:47], -v[36:37]
.LBB213_18:                             ;   in Loop: Header=BB213_4 Depth=1
	s_and_not1_saveexec_b32 s2, s2
	s_cbranch_execz .LBB213_3
; %bb.19:                               ;   in Loop: Header=BB213_4 Depth=1
	v_mul_f64_e64 v[34:35], |v[4:5]|, s[22:23]
	s_delay_alu instid0(VALU_DEP_1) | instskip(NEXT) | instid1(VALU_DEP_1)
	v_rndne_f64_e32 v[38:39], v[34:35]
	v_fma_f64 v[34:35], v[38:39], s[24:25], |v[4:5]|
	v_mul_f64_e32 v[36:37], 0xbc91a62633145c00, v[38:39]
	s_delay_alu instid0(VALU_DEP_2) | instskip(NEXT) | instid1(VALU_DEP_2)
	v_fmamk_f64 v[46:47], v[38:39], 0xbc91a62633145c00, v[34:35]
	v_add_f64_e32 v[42:43], v[34:35], v[36:37]
	s_delay_alu instid0(VALU_DEP_1) | instskip(NEXT) | instid1(VALU_DEP_3)
	v_add_f64_e64 v[44:45], v[34:35], -v[42:43]
	v_add_f64_e64 v[34:35], v[42:43], -v[46:47]
	s_delay_alu instid0(VALU_DEP_2) | instskip(SKIP_1) | instid1(VALU_DEP_2)
	v_add_f64_e32 v[42:43], v[44:45], v[36:37]
	v_fmamk_f64 v[36:37], v[38:39], 0x3c91a62633145c00, v[36:37]
	v_add_f64_e32 v[34:35], v[34:35], v[42:43]
	s_delay_alu instid0(VALU_DEP_1) | instskip(NEXT) | instid1(VALU_DEP_1)
	v_add_f64_e64 v[36:37], v[34:35], -v[36:37]
	v_fmac_f64_e32 v[36:37], 0xb97b839a252049c0, v[38:39]
	s_delay_alu instid0(VALU_DEP_1) | instskip(NEXT) | instid1(VALU_DEP_1)
	v_add_f64_e32 v[34:35], v[46:47], v[36:37]
	v_add_f64_e64 v[42:43], v[34:35], -v[46:47]
	s_delay_alu instid0(VALU_DEP_1)
	v_add_f64_e64 v[36:37], v[36:37], -v[42:43]
	v_cvt_i32_f64_e32 v42, v[38:39]
	s_branch .LBB213_3
.LBB213_20:
	s_or_b32 exec_lo, exec_lo, s9
	s_mov_b32 s2, 0
.LBB213_21:
	s_delay_alu instid0(SALU_CYCLE_1)
	s_and_not1_b32 vcc_lo, exec_lo, s2
	s_cbranch_vccnz .LBB213_57
; %bb.22:
	v_cmp_lt_i64_e64 s2, s[16:17], 1
	s_and_b32 vcc_lo, exec_lo, s2
	s_cbranch_vccnz .LBB213_57
; %bb.23:
	s_load_b32 s0, s[0:1], 0xc5c
	v_min_i64 v[2:3], 0x10000, s[16:17]
	v_min_u64 v[6:7], 0x10000, s[16:17]
	v_dual_mov_b32 v4, 0 :: v_dual_lshlrev_b32 v14, 3, v0
	s_mov_b32 s9, 0
	v_mov_b64_e32 v[8:9], 0x3e21eeb69037ab78
	s_mov_b32 s7, s9
	s_delay_alu instid0(VALU_DEP_2)
	v_dual_mov_b32 v15, v4 :: v_dual_mov_b32 v1, v4
	s_wait_xcnt 0x0
	s_mov_b32 s1, s9
	s_mov_b32 s3, s9
	v_mov_b64_e32 v[32:33], 0xbe5ae600b42fdfa7
	v_add_nc_u64_e32 v[10:11], s[12:13], v[14:15]
	s_mov_b64 s[4:5], 0x3ff921fb54442d18
                                        ; implicit-def: $vgpr34_vgpr35
                                        ; implicit-def: $vgpr34_vgpr35
	;; [unrolled: 1-line block ×7, first 2 shown]
	s_wait_kmcnt 0x0
	s_and_b32 s8, s0, 0xffff
	s_delay_alu instid0(SALU_CYCLE_1)
	v_add_nc_u64_e32 v[12:13], s[8:9], v[0:1]
	v_mad_nc_u64_u32 v[26:27], s8, 24, v[14:15]
	s_lshl_b32 s6, s8, 4
	v_mov_b32_e32 v31, v4
	v_add_nc_u64_e32 v[22:23], s[6:7], v[14:15]
	s_mul_i32 s2, s8, 3
	s_lshl_b32 s0, s8, 1
	v_lshlrev_b32_e32 v30, 3, v12
	v_add_nc_u64_e32 v[14:15], s[14:15], v[14:15]
	v_add_nc_u64_e32 v[16:17], s[2:3], v[0:1]
	;; [unrolled: 1-line block ×9, first 2 shown]
	s_lshl_b32 s6, s8, 2
	s_lshl_b32 s8, s8, 5
	s_mov_b64 s[12:13], 0
	s_branch .LBB213_25
.LBB213_24:                             ;   in Loop: Header=BB213_25 Depth=1
	s_wait_xcnt 0x0
	s_or_b32 exec_lo, exec_lo, s1
	s_add_nc_u64 s[12:13], s[12:13], s[6:7]
	v_add_nc_u64_e32 v[10:11], s[8:9], v[10:11]
	v_cmp_ge_i64_e32 vcc_lo, s[12:13], v[2:3]
	v_add_nc_u64_e32 v[14:15], s[8:9], v[14:15]
	v_add_nc_u64_e32 v[24:25], s[8:9], v[24:25]
	;; [unrolled: 1-line block ×7, first 2 shown]
	s_cbranch_vccnz .LBB213_57
.LBB213_25:                             ; =>This Inner Loop Header: Depth=1
	v_add_nc_u64_e32 v[34:35], s[12:13], v[0:1]
	v_mov_b64_e32 v[38:39], 0
	v_mov_b64_e32 v[40:41], 0
	s_delay_alu instid0(VALU_DEP_3)
	v_cmp_lt_u64_e64 s2, v[34:35], v[6:7]
	s_and_saveexec_b32 s0, s2
	s_cbranch_execz .LBB213_27
; %bb.26:                               ;   in Loop: Header=BB213_25 Depth=1
	v_add_nc_u64_e32 v[34:35], s[10:11], v[10:11]
	global_load_b64 v[40:41], v[34:35], off
	s_wait_loadcnt 0x0
	v_and_b32_e32 v41, 0x7fffffff, v41
.LBB213_27:                             ;   in Loop: Header=BB213_25 Depth=1
	s_wait_xcnt 0x0
	s_or_b32 exec_lo, exec_lo, s0
	v_add_nc_u64_e32 v[34:35], s[12:13], v[12:13]
	s_delay_alu instid0(VALU_DEP_1)
	v_cmp_lt_u64_e64 s1, v[34:35], v[6:7]
	s_and_saveexec_b32 s0, s1
	s_cbranch_execz .LBB213_29
; %bb.28:                               ;   in Loop: Header=BB213_25 Depth=1
	v_add_nc_u64_e32 v[34:35], s[10:11], v[28:29]
	global_load_b64 v[38:39], v[34:35], off
	s_wait_loadcnt 0x0
	v_and_b32_e32 v39, 0x7fffffff, v39
.LBB213_29:                             ;   in Loop: Header=BB213_25 Depth=1
	s_wait_xcnt 0x0
	s_or_b32 exec_lo, exec_lo, s0
	v_add_nc_u64_e32 v[36:37], s[12:13], v[18:19]
	v_mov_b64_e32 v[34:35], 0
	s_delay_alu instid0(VALU_DEP_2)
	v_cmp_lt_u64_e64 s0, v[36:37], v[6:7]
	v_mov_b64_e32 v[36:37], 0
	s_and_saveexec_b32 s3, s0
	s_cbranch_execz .LBB213_31
; %bb.30:                               ;   in Loop: Header=BB213_25 Depth=1
	v_add_nc_u64_e32 v[36:37], s[10:11], v[20:21]
	global_load_b64 v[36:37], v[36:37], off
	s_wait_loadcnt 0x0
	v_and_b32_e32 v37, 0x7fffffff, v37
.LBB213_31:                             ;   in Loop: Header=BB213_25 Depth=1
	s_or_b32 exec_lo, exec_lo, s3
	v_add_nc_u64_e32 v[42:43], s[12:13], v[16:17]
	s_delay_alu instid0(VALU_DEP_1)
	v_cmp_lt_u64_e32 vcc_lo, v[42:43], v[6:7]
	s_and_saveexec_b32 s3, vcc_lo
	s_cbranch_execz .LBB213_33
; %bb.32:                               ;   in Loop: Header=BB213_25 Depth=1
	v_add_nc_u64_e32 v[34:35], s[10:11], v[24:25]
	global_load_b64 v[34:35], v[34:35], off
	s_wait_loadcnt 0x0
	v_and_b32_e32 v35, 0x7fffffff, v35
.LBB213_33:                             ;   in Loop: Header=BB213_25 Depth=1
	s_or_b32 exec_lo, exec_lo, s3
	s_delay_alu instid0(SALU_CYCLE_1)
	s_mov_b32 s14, exec_lo
                                        ; implicit-def: $vgpr58
                                        ; implicit-def: $vgpr42_vgpr43
                                        ; implicit-def: $vgpr44_vgpr45
	v_cmpx_ngt_f64_e32 0x41d00000, v[40:41]
	s_xor_b32 s14, exec_lo, s14
	s_cbranch_execz .LBB213_35
; %bb.34:                               ;   in Loop: Header=BB213_25 Depth=1
	v_ldexp_f64 v[42:43], v[40:41], 0xffffff80
	v_cmp_le_f64_e64 s3, 0x7b000000, v[40:41]
	v_trig_preop_f64 v[44:45], v[40:41], 0
	v_trig_preop_f64 v[46:47], v[40:41], 1
	;; [unrolled: 1-line block ×3, first 2 shown]
	s_delay_alu instid0(VALU_DEP_4) | instskip(NEXT) | instid1(VALU_DEP_1)
	v_dual_cndmask_b32 v43, v41, v43, s3 :: v_dual_cndmask_b32 v42, v40, v42, s3
	v_mul_f64_e32 v[48:49], v[44:45], v[42:43]
	s_delay_alu instid0(VALU_DEP_4) | instskip(NEXT) | instid1(VALU_DEP_4)
	v_mul_f64_e32 v[50:51], v[46:47], v[42:43]
	v_mul_f64_e32 v[62:63], v[56:57], v[42:43]
	s_delay_alu instid0(VALU_DEP_3) | instskip(NEXT) | instid1(VALU_DEP_3)
	v_fma_f64 v[44:45], v[44:45], v[42:43], -v[48:49]
	v_fma_f64 v[46:47], v[46:47], v[42:43], -v[50:51]
	s_delay_alu instid0(VALU_DEP_3) | instskip(NEXT) | instid1(VALU_DEP_3)
	v_fma_f64 v[42:43], v[56:57], v[42:43], -v[62:63]
	v_add_f64_e32 v[52:53], v[50:51], v[44:45]
	s_delay_alu instid0(VALU_DEP_1) | instskip(SKIP_1) | instid1(VALU_DEP_2)
	v_add_f64_e64 v[54:55], v[52:53], -v[50:51]
	v_add_f64_e32 v[60:61], v[48:49], v[52:53]
	v_add_f64_e64 v[58:59], v[52:53], -v[54:55]
	v_add_f64_e64 v[44:45], v[44:45], -v[54:55]
	s_delay_alu instid0(VALU_DEP_3) | instskip(NEXT) | instid1(VALU_DEP_3)
	v_ldexp_f64 v[54:55], v[60:61], -2
	v_add_f64_e64 v[50:51], v[50:51], -v[58:59]
	v_add_f64_e32 v[58:59], v[62:63], v[46:47]
	s_delay_alu instid0(VALU_DEP_3) | instskip(NEXT) | instid1(VALU_DEP_3)
	v_cmp_neq_f64_e64 s3, 0x7ff00000, |v[54:55]|
	v_add_f64_e32 v[44:45], v[44:45], v[50:51]
	v_fract_f64_e32 v[50:51], v[54:55]
	s_delay_alu instid0(VALU_DEP_1) | instskip(NEXT) | instid1(VALU_DEP_1)
	v_ldexp_f64 v[50:51], v[50:51], 2
	v_dual_add_f64 v[48:49], v[60:61], -v[48:49] :: v_dual_cndmask_b32 v50, 0, v50, s3
	s_delay_alu instid0(VALU_DEP_1) | instskip(SKIP_1) | instid1(VALU_DEP_1)
	v_dual_add_f64 v[48:49], v[52:53], -v[48:49] :: v_dual_cndmask_b32 v51, 0, v51, s3
	v_add_f64_e32 v[52:53], v[58:59], v[44:45]
	v_add_f64_e32 v[54:55], v[48:49], v[52:53]
	v_add_f64_e64 v[64:65], v[52:53], -v[58:59]
	s_delay_alu instid0(VALU_DEP_2) | instskip(NEXT) | instid1(VALU_DEP_2)
	v_add_f64_e32 v[60:61], v[54:55], v[50:51]
	v_add_f64_e64 v[70:71], v[52:53], -v[64:65]
	v_add_f64_e64 v[44:45], v[44:45], -v[64:65]
	;; [unrolled: 1-line block ×3, first 2 shown]
	s_delay_alu instid0(VALU_DEP_4) | instskip(SKIP_1) | instid1(VALU_DEP_3)
	v_cmp_gt_f64_e64 s3, 0, v[60:61]
	v_add_f64_e64 v[60:61], v[58:59], -v[62:63]
	v_add_f64_e64 v[48:49], v[52:53], -v[48:49]
	s_delay_alu instid0(VALU_DEP_3) | instskip(NEXT) | instid1(VALU_DEP_3)
	v_cndmask_b32_e64 v5, 0, 0x40100000, s3
	v_add_f64_e64 v[68:69], v[58:59], -v[60:61]
	v_add_f64_e64 v[46:47], v[46:47], -v[60:61]
	;; [unrolled: 1-line block ×3, first 2 shown]
	s_delay_alu instid0(VALU_DEP_4) | instskip(NEXT) | instid1(VALU_DEP_4)
	v_add_f64_e32 v[50:51], v[50:51], v[4:5]
	v_add_f64_e64 v[60:61], v[62:63], -v[68:69]
	s_delay_alu instid0(VALU_DEP_3) | instskip(NEXT) | instid1(VALU_DEP_3)
	v_add_f64_e32 v[44:45], v[44:45], v[58:59]
	v_add_f64_e32 v[66:67], v[54:55], v[50:51]
	s_delay_alu instid0(VALU_DEP_3) | instskip(NEXT) | instid1(VALU_DEP_2)
	v_add_f64_e32 v[46:47], v[46:47], v[60:61]
	v_cvt_i32_f64_e32 v5, v[66:67]
	s_delay_alu instid0(VALU_DEP_2) | instskip(NEXT) | instid1(VALU_DEP_2)
	v_add_f64_e32 v[44:45], v[46:47], v[44:45]
	v_cvt_f64_i32_e32 v[64:65], v5
	s_delay_alu instid0(VALU_DEP_2) | instskip(NEXT) | instid1(VALU_DEP_2)
	v_add_f64_e32 v[42:43], v[42:43], v[44:45]
	v_add_f64_e64 v[50:51], v[50:51], -v[64:65]
	s_delay_alu instid0(VALU_DEP_2) | instskip(NEXT) | instid1(VALU_DEP_2)
	v_add_f64_e32 v[42:43], v[48:49], v[42:43]
	v_add_f64_e32 v[46:47], v[54:55], v[50:51]
	s_delay_alu instid0(VALU_DEP_1) | instskip(SKIP_1) | instid1(VALU_DEP_2)
	v_add_f64_e64 v[44:45], v[46:47], -v[50:51]
	v_cmp_le_f64_e64 s3, 0.5, v[46:47]
	v_add_f64_e64 v[44:45], v[54:55], -v[44:45]
	s_delay_alu instid0(VALU_DEP_2) | instskip(SKIP_1) | instid1(VALU_DEP_3)
	v_add_co_ci_u32_e64 v58, null, 0, v5, s3
	v_cndmask_b32_e64 v5, 0, 0x3ff00000, s3
	v_add_f64_e32 v[42:43], v[42:43], v[44:45]
	s_delay_alu instid0(VALU_DEP_2) | instskip(NEXT) | instid1(VALU_DEP_1)
	v_add_f64_e64 v[44:45], v[46:47], -v[4:5]
	v_add_f64_e32 v[46:47], v[44:45], v[42:43]
	s_delay_alu instid0(VALU_DEP_1) | instskip(SKIP_1) | instid1(VALU_DEP_2)
	v_mul_f64_e32 v[48:49], 0x3ff921fb54442d18, v[46:47]
	v_add_f64_e64 v[44:45], v[46:47], -v[44:45]
	v_fma_f64 v[50:51], v[46:47], s[4:5], -v[48:49]
	s_delay_alu instid0(VALU_DEP_2) | instskip(NEXT) | instid1(VALU_DEP_2)
	v_add_f64_e64 v[42:43], v[42:43], -v[44:45]
	v_fmac_f64_e32 v[50:51], 0x3c91a62633145c07, v[46:47]
	s_delay_alu instid0(VALU_DEP_1) | instskip(NEXT) | instid1(VALU_DEP_1)
	v_fmac_f64_e32 v[50:51], 0x3ff921fb54442d18, v[42:43]
	v_add_f64_e32 v[42:43], v[48:49], v[50:51]
	s_delay_alu instid0(VALU_DEP_1) | instskip(NEXT) | instid1(VALU_DEP_1)
	v_add_f64_e64 v[44:45], v[42:43], -v[48:49]
	v_add_f64_e64 v[44:45], v[50:51], -v[44:45]
.LBB213_35:                             ;   in Loop: Header=BB213_25 Depth=1
	s_and_not1_saveexec_b32 s3, s14
	s_cbranch_execz .LBB213_37
; %bb.36:                               ;   in Loop: Header=BB213_25 Depth=1
	v_mul_f64_e32 v[42:43], 0x3fe45f306dc9c883, v[40:41]
	s_delay_alu instid0(VALU_DEP_1) | instskip(NEXT) | instid1(VALU_DEP_1)
	v_rndne_f64_e32 v[46:47], v[42:43]
	v_mul_f64_e32 v[42:43], 0xbc91a62633145c00, v[46:47]
	v_fmamk_f64 v[44:45], v[46:47], 0xbff921fb54442d18, v[40:41]
	v_cvt_i32_f64_e32 v58, v[46:47]
	s_delay_alu instid0(VALU_DEP_2) | instskip(NEXT) | instid1(VALU_DEP_1)
	v_add_f64_e32 v[48:49], v[44:45], v[42:43]
	v_add_f64_e64 v[50:51], v[44:45], -v[48:49]
	v_fmamk_f64 v[44:45], v[46:47], 0xbc91a62633145c00, v[44:45]
	s_delay_alu instid0(VALU_DEP_1) | instskip(NEXT) | instid1(VALU_DEP_3)
	v_add_f64_e64 v[48:49], v[48:49], -v[44:45]
	v_add_f64_e32 v[50:51], v[50:51], v[42:43]
	v_fmamk_f64 v[42:43], v[46:47], 0x3c91a62633145c00, v[42:43]
	s_delay_alu instid0(VALU_DEP_2) | instskip(NEXT) | instid1(VALU_DEP_1)
	v_add_f64_e32 v[48:49], v[48:49], v[50:51]
	v_add_f64_e64 v[48:49], v[48:49], -v[42:43]
	s_delay_alu instid0(VALU_DEP_1) | instskip(NEXT) | instid1(VALU_DEP_1)
	v_fmac_f64_e32 v[48:49], 0xb97b839a252049c0, v[46:47]
	v_add_f64_e32 v[42:43], v[44:45], v[48:49]
	s_delay_alu instid0(VALU_DEP_1) | instskip(NEXT) | instid1(VALU_DEP_1)
	v_add_f64_e64 v[44:45], v[42:43], -v[44:45]
	v_add_f64_e64 v[44:45], v[48:49], -v[44:45]
.LBB213_37:                             ;   in Loop: Header=BB213_25 Depth=1
	s_or_b32 exec_lo, exec_lo, s3
	s_delay_alu instid0(SALU_CYCLE_1)
	s_mov_b32 s14, exec_lo
                                        ; implicit-def: $vgpr59
                                        ; implicit-def: $vgpr46_vgpr47
                                        ; implicit-def: $vgpr48_vgpr49
	v_cmpx_ngt_f64_e32 0x41d00000, v[38:39]
	s_xor_b32 s14, exec_lo, s14
	s_cbranch_execz .LBB213_39
; %bb.38:                               ;   in Loop: Header=BB213_25 Depth=1
	v_ldexp_f64 v[46:47], v[38:39], 0xffffff80
	v_cmp_le_f64_e64 s3, 0x7b000000, v[38:39]
	v_trig_preop_f64 v[48:49], v[38:39], 0
	v_trig_preop_f64 v[50:51], v[38:39], 1
	;; [unrolled: 1-line block ×3, first 2 shown]
	s_delay_alu instid0(VALU_DEP_4) | instskip(NEXT) | instid1(VALU_DEP_1)
	v_dual_cndmask_b32 v47, v39, v47, s3 :: v_dual_cndmask_b32 v46, v38, v46, s3
	v_mul_f64_e32 v[52:53], v[48:49], v[46:47]
	s_delay_alu instid0(VALU_DEP_4) | instskip(NEXT) | instid1(VALU_DEP_4)
	v_mul_f64_e32 v[54:55], v[50:51], v[46:47]
	v_mul_f64_e32 v[68:69], v[62:63], v[46:47]
	s_delay_alu instid0(VALU_DEP_3) | instskip(NEXT) | instid1(VALU_DEP_3)
	v_fma_f64 v[48:49], v[48:49], v[46:47], -v[52:53]
	v_fma_f64 v[50:51], v[50:51], v[46:47], -v[54:55]
	s_delay_alu instid0(VALU_DEP_3) | instskip(NEXT) | instid1(VALU_DEP_3)
	v_fma_f64 v[46:47], v[62:63], v[46:47], -v[68:69]
	v_add_f64_e32 v[56:57], v[54:55], v[48:49]
	s_delay_alu instid0(VALU_DEP_1) | instskip(SKIP_1) | instid1(VALU_DEP_2)
	v_add_f64_e64 v[60:61], v[56:57], -v[54:55]
	v_add_f64_e32 v[66:67], v[52:53], v[56:57]
	v_add_f64_e64 v[64:65], v[56:57], -v[60:61]
	v_add_f64_e64 v[48:49], v[48:49], -v[60:61]
	s_delay_alu instid0(VALU_DEP_3) | instskip(SKIP_1) | instid1(VALU_DEP_4)
	v_ldexp_f64 v[60:61], v[66:67], -2
	v_add_f64_e64 v[52:53], v[66:67], -v[52:53]
	v_add_f64_e64 v[54:55], v[54:55], -v[64:65]
	v_add_f64_e32 v[64:65], v[68:69], v[50:51]
	s_delay_alu instid0(VALU_DEP_4) | instskip(NEXT) | instid1(VALU_DEP_3)
	v_cmp_neq_f64_e64 s3, 0x7ff00000, |v[60:61]|
	v_add_f64_e32 v[48:49], v[48:49], v[54:55]
	v_fract_f64_e32 v[54:55], v[60:61]
	s_delay_alu instid0(VALU_DEP_1) | instskip(NEXT) | instid1(VALU_DEP_1)
	v_ldexp_f64 v[54:55], v[54:55], 2
	v_dual_add_f64 v[52:53], v[56:57], -v[52:53] :: v_dual_cndmask_b32 v55, 0, v55, s3
	s_delay_alu instid0(VALU_DEP_2) | instskip(NEXT) | instid1(VALU_DEP_1)
	v_dual_add_f64 v[56:57], v[64:65], v[48:49] :: v_dual_cndmask_b32 v54, 0, v54, s3
	v_add_f64_e32 v[60:61], v[52:53], v[56:57]
	v_add_f64_e64 v[70:71], v[56:57], -v[64:65]
	s_delay_alu instid0(VALU_DEP_2) | instskip(NEXT) | instid1(VALU_DEP_2)
	v_add_f64_e32 v[66:67], v[60:61], v[54:55]
	v_add_f64_e64 v[76:77], v[56:57], -v[70:71]
	v_add_f64_e64 v[48:49], v[48:49], -v[70:71]
	;; [unrolled: 1-line block ×3, first 2 shown]
	s_delay_alu instid0(VALU_DEP_4) | instskip(SKIP_1) | instid1(VALU_DEP_3)
	v_cmp_gt_f64_e64 s3, 0, v[66:67]
	v_add_f64_e64 v[66:67], v[64:65], -v[68:69]
	v_add_f64_e64 v[52:53], v[56:57], -v[52:53]
	s_delay_alu instid0(VALU_DEP_3) | instskip(NEXT) | instid1(VALU_DEP_3)
	v_cndmask_b32_e64 v5, 0, 0x40100000, s3
	v_add_f64_e64 v[74:75], v[64:65], -v[66:67]
	v_add_f64_e64 v[50:51], v[50:51], -v[66:67]
	;; [unrolled: 1-line block ×3, first 2 shown]
	s_delay_alu instid0(VALU_DEP_4) | instskip(NEXT) | instid1(VALU_DEP_4)
	v_add_f64_e32 v[54:55], v[54:55], v[4:5]
	v_add_f64_e64 v[66:67], v[68:69], -v[74:75]
	s_delay_alu instid0(VALU_DEP_3) | instskip(NEXT) | instid1(VALU_DEP_3)
	v_add_f64_e32 v[48:49], v[48:49], v[64:65]
	v_add_f64_e32 v[72:73], v[60:61], v[54:55]
	s_delay_alu instid0(VALU_DEP_3) | instskip(NEXT) | instid1(VALU_DEP_2)
	v_add_f64_e32 v[50:51], v[50:51], v[66:67]
	v_cvt_i32_f64_e32 v5, v[72:73]
	s_delay_alu instid0(VALU_DEP_2) | instskip(NEXT) | instid1(VALU_DEP_2)
	v_add_f64_e32 v[48:49], v[50:51], v[48:49]
	v_cvt_f64_i32_e32 v[70:71], v5
	s_delay_alu instid0(VALU_DEP_2) | instskip(NEXT) | instid1(VALU_DEP_2)
	v_add_f64_e32 v[46:47], v[46:47], v[48:49]
	v_add_f64_e64 v[54:55], v[54:55], -v[70:71]
	s_delay_alu instid0(VALU_DEP_2) | instskip(NEXT) | instid1(VALU_DEP_2)
	v_add_f64_e32 v[46:47], v[52:53], v[46:47]
	v_add_f64_e32 v[50:51], v[60:61], v[54:55]
	s_delay_alu instid0(VALU_DEP_1) | instskip(SKIP_1) | instid1(VALU_DEP_2)
	v_add_f64_e64 v[48:49], v[50:51], -v[54:55]
	v_cmp_le_f64_e64 s3, 0.5, v[50:51]
	v_add_f64_e64 v[48:49], v[60:61], -v[48:49]
	s_delay_alu instid0(VALU_DEP_2) | instskip(SKIP_1) | instid1(VALU_DEP_3)
	v_add_co_ci_u32_e64 v59, null, 0, v5, s3
	v_cndmask_b32_e64 v5, 0, 0x3ff00000, s3
	v_add_f64_e32 v[46:47], v[46:47], v[48:49]
	s_delay_alu instid0(VALU_DEP_2) | instskip(NEXT) | instid1(VALU_DEP_1)
	v_add_f64_e64 v[48:49], v[50:51], -v[4:5]
	v_add_f64_e32 v[50:51], v[48:49], v[46:47]
	s_delay_alu instid0(VALU_DEP_1) | instskip(SKIP_1) | instid1(VALU_DEP_2)
	v_mul_f64_e32 v[52:53], 0x3ff921fb54442d18, v[50:51]
	v_add_f64_e64 v[48:49], v[50:51], -v[48:49]
	v_fma_f64 v[54:55], v[50:51], s[4:5], -v[52:53]
	s_delay_alu instid0(VALU_DEP_2) | instskip(NEXT) | instid1(VALU_DEP_2)
	v_add_f64_e64 v[46:47], v[46:47], -v[48:49]
	v_fmac_f64_e32 v[54:55], 0x3c91a62633145c07, v[50:51]
	s_delay_alu instid0(VALU_DEP_1) | instskip(NEXT) | instid1(VALU_DEP_1)
	v_fmac_f64_e32 v[54:55], 0x3ff921fb54442d18, v[46:47]
	v_add_f64_e32 v[46:47], v[52:53], v[54:55]
	s_delay_alu instid0(VALU_DEP_1) | instskip(NEXT) | instid1(VALU_DEP_1)
	v_add_f64_e64 v[48:49], v[46:47], -v[52:53]
	v_add_f64_e64 v[48:49], v[54:55], -v[48:49]
.LBB213_39:                             ;   in Loop: Header=BB213_25 Depth=1
	s_and_not1_saveexec_b32 s3, s14
	s_cbranch_execz .LBB213_41
; %bb.40:                               ;   in Loop: Header=BB213_25 Depth=1
	v_mul_f64_e32 v[46:47], 0x3fe45f306dc9c883, v[38:39]
	s_delay_alu instid0(VALU_DEP_1) | instskip(NEXT) | instid1(VALU_DEP_1)
	v_rndne_f64_e32 v[50:51], v[46:47]
	v_mul_f64_e32 v[46:47], 0xbc91a62633145c00, v[50:51]
	v_fmamk_f64 v[48:49], v[50:51], 0xbff921fb54442d18, v[38:39]
	v_cvt_i32_f64_e32 v59, v[50:51]
	s_delay_alu instid0(VALU_DEP_2) | instskip(NEXT) | instid1(VALU_DEP_1)
	v_add_f64_e32 v[52:53], v[48:49], v[46:47]
	v_add_f64_e64 v[54:55], v[48:49], -v[52:53]
	v_fmamk_f64 v[48:49], v[50:51], 0xbc91a62633145c00, v[48:49]
	s_delay_alu instid0(VALU_DEP_1) | instskip(NEXT) | instid1(VALU_DEP_3)
	v_add_f64_e64 v[52:53], v[52:53], -v[48:49]
	v_add_f64_e32 v[54:55], v[54:55], v[46:47]
	v_fmamk_f64 v[46:47], v[50:51], 0x3c91a62633145c00, v[46:47]
	s_delay_alu instid0(VALU_DEP_2) | instskip(NEXT) | instid1(VALU_DEP_1)
	v_add_f64_e32 v[52:53], v[52:53], v[54:55]
	v_add_f64_e64 v[52:53], v[52:53], -v[46:47]
	s_delay_alu instid0(VALU_DEP_1) | instskip(NEXT) | instid1(VALU_DEP_1)
	v_fmac_f64_e32 v[52:53], 0xb97b839a252049c0, v[50:51]
	v_add_f64_e32 v[46:47], v[48:49], v[52:53]
	s_delay_alu instid0(VALU_DEP_1) | instskip(NEXT) | instid1(VALU_DEP_1)
	v_add_f64_e64 v[48:49], v[46:47], -v[48:49]
	v_add_f64_e64 v[48:49], v[52:53], -v[48:49]
.LBB213_41:                             ;   in Loop: Header=BB213_25 Depth=1
	s_or_b32 exec_lo, exec_lo, s3
	s_delay_alu instid0(SALU_CYCLE_1)
	s_mov_b32 s14, exec_lo
                                        ; implicit-def: $vgpr60
                                        ; implicit-def: $vgpr50_vgpr51
                                        ; implicit-def: $vgpr52_vgpr53
	v_cmpx_ngt_f64_e32 0x41d00000, v[36:37]
	s_xor_b32 s14, exec_lo, s14
	s_cbranch_execz .LBB213_43
; %bb.42:                               ;   in Loop: Header=BB213_25 Depth=1
	v_ldexp_f64 v[50:51], v[36:37], 0xffffff80
	v_cmp_le_f64_e64 s3, 0x7b000000, v[36:37]
	v_trig_preop_f64 v[52:53], v[36:37], 0
	v_trig_preop_f64 v[54:55], v[36:37], 1
	;; [unrolled: 1-line block ×3, first 2 shown]
	s_delay_alu instid0(VALU_DEP_4) | instskip(NEXT) | instid1(VALU_DEP_1)
	v_dual_cndmask_b32 v51, v37, v51, s3 :: v_dual_cndmask_b32 v50, v36, v50, s3
	v_mul_f64_e32 v[56:57], v[52:53], v[50:51]
	s_delay_alu instid0(VALU_DEP_4) | instskip(NEXT) | instid1(VALU_DEP_4)
	v_mul_f64_e32 v[60:61], v[54:55], v[50:51]
	v_mul_f64_e32 v[72:73], v[66:67], v[50:51]
	s_delay_alu instid0(VALU_DEP_3) | instskip(NEXT) | instid1(VALU_DEP_3)
	v_fma_f64 v[52:53], v[52:53], v[50:51], -v[56:57]
	v_fma_f64 v[54:55], v[54:55], v[50:51], -v[60:61]
	s_delay_alu instid0(VALU_DEP_3) | instskip(NEXT) | instid1(VALU_DEP_3)
	v_fma_f64 v[50:51], v[66:67], v[50:51], -v[72:73]
	v_add_f64_e32 v[62:63], v[60:61], v[52:53]
	s_delay_alu instid0(VALU_DEP_1) | instskip(SKIP_1) | instid1(VALU_DEP_2)
	v_add_f64_e64 v[64:65], v[62:63], -v[60:61]
	v_add_f64_e32 v[70:71], v[56:57], v[62:63]
	v_add_f64_e64 v[68:69], v[62:63], -v[64:65]
	v_add_f64_e64 v[52:53], v[52:53], -v[64:65]
	s_delay_alu instid0(VALU_DEP_3) | instskip(NEXT) | instid1(VALU_DEP_3)
	v_ldexp_f64 v[64:65], v[70:71], -2
	v_add_f64_e64 v[60:61], v[60:61], -v[68:69]
	v_add_f64_e32 v[68:69], v[72:73], v[54:55]
	s_delay_alu instid0(VALU_DEP_3) | instskip(NEXT) | instid1(VALU_DEP_3)
	v_cmp_neq_f64_e64 s3, 0x7ff00000, |v[64:65]|
	v_add_f64_e32 v[52:53], v[52:53], v[60:61]
	v_fract_f64_e32 v[60:61], v[64:65]
	s_delay_alu instid0(VALU_DEP_1) | instskip(NEXT) | instid1(VALU_DEP_1)
	v_ldexp_f64 v[60:61], v[60:61], 2
	v_cndmask_b32_e64 v61, 0, v61, s3
	v_add_f64_e64 v[56:57], v[70:71], -v[56:57]
	s_delay_alu instid0(VALU_DEP_3) | instskip(NEXT) | instid1(VALU_DEP_2)
	v_cndmask_b32_e64 v60, 0, v60, s3
	v_add_f64_e64 v[56:57], v[62:63], -v[56:57]
	v_add_f64_e32 v[62:63], v[68:69], v[52:53]
	s_delay_alu instid0(VALU_DEP_1) | instskip(SKIP_1) | instid1(VALU_DEP_2)
	v_add_f64_e32 v[64:65], v[56:57], v[62:63]
	v_add_f64_e64 v[74:75], v[62:63], -v[68:69]
	v_add_f64_e32 v[70:71], v[64:65], v[60:61]
	s_delay_alu instid0(VALU_DEP_2) | instskip(SKIP_2) | instid1(VALU_DEP_4)
	v_add_f64_e64 v[80:81], v[62:63], -v[74:75]
	v_add_f64_e64 v[52:53], v[52:53], -v[74:75]
	v_add_f64_e64 v[56:57], v[64:65], -v[56:57]
	v_cmp_gt_f64_e64 s3, 0, v[70:71]
	v_add_f64_e64 v[70:71], v[68:69], -v[72:73]
	s_delay_alu instid0(VALU_DEP_3) | instskip(NEXT) | instid1(VALU_DEP_3)
	v_add_f64_e64 v[56:57], v[62:63], -v[56:57]
	v_cndmask_b32_e64 v5, 0, 0x40100000, s3
	s_delay_alu instid0(VALU_DEP_3) | instskip(SKIP_2) | instid1(VALU_DEP_4)
	v_add_f64_e64 v[78:79], v[68:69], -v[70:71]
	v_add_f64_e64 v[54:55], v[54:55], -v[70:71]
	;; [unrolled: 1-line block ×3, first 2 shown]
	v_add_f64_e32 v[60:61], v[60:61], v[4:5]
	s_delay_alu instid0(VALU_DEP_4) | instskip(NEXT) | instid1(VALU_DEP_3)
	v_add_f64_e64 v[70:71], v[72:73], -v[78:79]
	v_add_f64_e32 v[52:53], v[52:53], v[68:69]
	s_delay_alu instid0(VALU_DEP_3) | instskip(NEXT) | instid1(VALU_DEP_3)
	v_add_f64_e32 v[76:77], v[64:65], v[60:61]
	v_add_f64_e32 v[54:55], v[54:55], v[70:71]
	s_delay_alu instid0(VALU_DEP_2) | instskip(NEXT) | instid1(VALU_DEP_2)
	v_cvt_i32_f64_e32 v76, v[76:77]
	v_add_f64_e32 v[52:53], v[54:55], v[52:53]
	s_delay_alu instid0(VALU_DEP_2) | instskip(NEXT) | instid1(VALU_DEP_2)
	v_cvt_f64_i32_e32 v[74:75], v76
	v_add_f64_e32 v[50:51], v[50:51], v[52:53]
	s_delay_alu instid0(VALU_DEP_2) | instskip(NEXT) | instid1(VALU_DEP_2)
	v_add_f64_e64 v[60:61], v[60:61], -v[74:75]
	v_add_f64_e32 v[50:51], v[56:57], v[50:51]
	s_delay_alu instid0(VALU_DEP_2) | instskip(NEXT) | instid1(VALU_DEP_1)
	v_add_f64_e32 v[54:55], v[64:65], v[60:61]
	v_add_f64_e64 v[52:53], v[54:55], -v[60:61]
	v_cmp_le_f64_e64 s3, 0.5, v[54:55]
	s_delay_alu instid0(VALU_DEP_2) | instskip(NEXT) | instid1(VALU_DEP_2)
	v_add_f64_e64 v[52:53], v[64:65], -v[52:53]
	v_cndmask_b32_e64 v5, 0, 0x3ff00000, s3
	s_delay_alu instid0(VALU_DEP_2) | instskip(NEXT) | instid1(VALU_DEP_2)
	v_add_f64_e32 v[50:51], v[50:51], v[52:53]
	v_add_f64_e64 v[52:53], v[54:55], -v[4:5]
	s_delay_alu instid0(VALU_DEP_1) | instskip(NEXT) | instid1(VALU_DEP_1)
	v_add_f64_e32 v[54:55], v[52:53], v[50:51]
	v_mul_f64_e32 v[56:57], 0x3ff921fb54442d18, v[54:55]
	v_add_f64_e64 v[52:53], v[54:55], -v[52:53]
	s_delay_alu instid0(VALU_DEP_2) | instskip(NEXT) | instid1(VALU_DEP_2)
	v_fma_f64 v[60:61], v[54:55], s[4:5], -v[56:57]
	v_add_f64_e64 v[50:51], v[50:51], -v[52:53]
	s_delay_alu instid0(VALU_DEP_2) | instskip(NEXT) | instid1(VALU_DEP_1)
	v_fmac_f64_e32 v[60:61], 0x3c91a62633145c07, v[54:55]
	v_fmac_f64_e32 v[60:61], 0x3ff921fb54442d18, v[50:51]
	s_delay_alu instid0(VALU_DEP_1) | instskip(NEXT) | instid1(VALU_DEP_1)
	v_add_f64_e32 v[50:51], v[56:57], v[60:61]
	v_add_f64_e64 v[52:53], v[50:51], -v[56:57]
	s_delay_alu instid0(VALU_DEP_1)
	v_add_f64_e64 v[52:53], v[60:61], -v[52:53]
	v_add_co_ci_u32_e64 v60, null, 0, v76, s3
.LBB213_43:                             ;   in Loop: Header=BB213_25 Depth=1
	s_and_not1_saveexec_b32 s3, s14
	s_cbranch_execz .LBB213_45
; %bb.44:                               ;   in Loop: Header=BB213_25 Depth=1
	v_mul_f64_e32 v[50:51], 0x3fe45f306dc9c883, v[36:37]
	s_delay_alu instid0(VALU_DEP_1) | instskip(NEXT) | instid1(VALU_DEP_1)
	v_rndne_f64_e32 v[54:55], v[50:51]
	v_mul_f64_e32 v[50:51], 0xbc91a62633145c00, v[54:55]
	v_fmamk_f64 v[52:53], v[54:55], 0xbff921fb54442d18, v[36:37]
	s_delay_alu instid0(VALU_DEP_1) | instskip(NEXT) | instid1(VALU_DEP_1)
	v_add_f64_e32 v[56:57], v[52:53], v[50:51]
	v_add_f64_e64 v[60:61], v[52:53], -v[56:57]
	v_fmamk_f64 v[52:53], v[54:55], 0xbc91a62633145c00, v[52:53]
	s_delay_alu instid0(VALU_DEP_1) | instskip(NEXT) | instid1(VALU_DEP_3)
	v_add_f64_e64 v[56:57], v[56:57], -v[52:53]
	v_add_f64_e32 v[60:61], v[60:61], v[50:51]
	v_fmamk_f64 v[50:51], v[54:55], 0x3c91a62633145c00, v[50:51]
	s_delay_alu instid0(VALU_DEP_2) | instskip(SKIP_1) | instid1(VALU_DEP_2)
	v_add_f64_e32 v[56:57], v[56:57], v[60:61]
	v_cvt_i32_f64_e32 v60, v[54:55]
	v_add_f64_e64 v[56:57], v[56:57], -v[50:51]
	s_delay_alu instid0(VALU_DEP_1) | instskip(NEXT) | instid1(VALU_DEP_1)
	v_fmac_f64_e32 v[56:57], 0xb97b839a252049c0, v[54:55]
	v_add_f64_e32 v[50:51], v[52:53], v[56:57]
	s_delay_alu instid0(VALU_DEP_1) | instskip(NEXT) | instid1(VALU_DEP_1)
	v_add_f64_e64 v[52:53], v[50:51], -v[52:53]
	v_add_f64_e64 v[52:53], v[56:57], -v[52:53]
.LBB213_45:                             ;   in Loop: Header=BB213_25 Depth=1
	s_or_b32 exec_lo, exec_lo, s3
	s_delay_alu instid0(SALU_CYCLE_1)
	s_mov_b32 s14, exec_lo
                                        ; implicit-def: $vgpr61
                                        ; implicit-def: $vgpr54_vgpr55
                                        ; implicit-def: $vgpr56_vgpr57
	v_cmpx_ngt_f64_e32 0x41d00000, v[34:35]
	s_xor_b32 s14, exec_lo, s14
	s_cbranch_execnz .LBB213_51
; %bb.46:                               ;   in Loop: Header=BB213_25 Depth=1
	s_and_not1_saveexec_b32 s3, s14
	s_cbranch_execnz .LBB213_52
.LBB213_47:                             ;   in Loop: Header=BB213_25 Depth=1
	s_or_b32 exec_lo, exec_lo, s3
	s_and_saveexec_b32 s3, s2
	s_delay_alu instid0(SALU_CYCLE_1)
	s_xor_b32 s14, exec_lo, s3
	s_cbranch_execnz .LBB213_53
.LBB213_48:                             ;   in Loop: Header=BB213_25 Depth=1
	s_or_b32 exec_lo, exec_lo, s14
	s_and_saveexec_b32 s3, s1
	s_cbranch_execnz .LBB213_54
.LBB213_49:                             ;   in Loop: Header=BB213_25 Depth=1
	s_or_b32 exec_lo, exec_lo, s3
	s_and_saveexec_b32 s2, s0
	s_cbranch_execnz .LBB213_55
.LBB213_50:                             ;   in Loop: Header=BB213_25 Depth=1
	s_or_b32 exec_lo, exec_lo, s2
	s_and_saveexec_b32 s1, vcc_lo
	s_cbranch_execz .LBB213_24
	s_branch .LBB213_56
.LBB213_51:                             ;   in Loop: Header=BB213_25 Depth=1
	v_ldexp_f64 v[54:55], v[34:35], 0xffffff80
	v_cmp_le_f64_e64 s3, 0x7b000000, v[34:35]
	v_trig_preop_f64 v[56:57], v[34:35], 0
	v_trig_preop_f64 v[62:63], v[34:35], 1
	;; [unrolled: 1-line block ×3, first 2 shown]
	s_delay_alu instid0(VALU_DEP_4) | instskip(NEXT) | instid1(VALU_DEP_1)
	v_dual_cndmask_b32 v55, v35, v55, s3 :: v_dual_cndmask_b32 v54, v34, v54, s3
	v_mul_f64_e32 v[64:65], v[56:57], v[54:55]
	s_delay_alu instid0(VALU_DEP_4) | instskip(NEXT) | instid1(VALU_DEP_4)
	v_mul_f64_e32 v[66:67], v[62:63], v[54:55]
	v_mul_f64_e32 v[78:79], v[72:73], v[54:55]
	s_delay_alu instid0(VALU_DEP_3) | instskip(NEXT) | instid1(VALU_DEP_3)
	v_fma_f64 v[56:57], v[56:57], v[54:55], -v[64:65]
	v_fma_f64 v[62:63], v[62:63], v[54:55], -v[66:67]
	s_delay_alu instid0(VALU_DEP_3) | instskip(NEXT) | instid1(VALU_DEP_3)
	v_fma_f64 v[54:55], v[72:73], v[54:55], -v[78:79]
	v_add_f64_e32 v[68:69], v[66:67], v[56:57]
	s_delay_alu instid0(VALU_DEP_1) | instskip(SKIP_1) | instid1(VALU_DEP_2)
	v_add_f64_e64 v[70:71], v[68:69], -v[66:67]
	v_add_f64_e32 v[76:77], v[64:65], v[68:69]
	v_add_f64_e64 v[74:75], v[68:69], -v[70:71]
	v_add_f64_e64 v[56:57], v[56:57], -v[70:71]
	s_delay_alu instid0(VALU_DEP_3) | instskip(NEXT) | instid1(VALU_DEP_3)
	v_ldexp_f64 v[70:71], v[76:77], -2
	v_add_f64_e64 v[66:67], v[66:67], -v[74:75]
	v_add_f64_e32 v[74:75], v[78:79], v[62:63]
	s_delay_alu instid0(VALU_DEP_3) | instskip(NEXT) | instid1(VALU_DEP_3)
	v_cmp_neq_f64_e64 s3, 0x7ff00000, |v[70:71]|
	v_add_f64_e32 v[56:57], v[56:57], v[66:67]
	v_fract_f64_e32 v[66:67], v[70:71]
	s_delay_alu instid0(VALU_DEP_1) | instskip(NEXT) | instid1(VALU_DEP_1)
	v_ldexp_f64 v[66:67], v[66:67], 2
	v_dual_add_f64 v[64:65], v[76:77], -v[64:65] :: v_dual_cndmask_b32 v66, 0, v66, s3
	s_delay_alu instid0(VALU_DEP_1) | instskip(SKIP_1) | instid1(VALU_DEP_1)
	v_dual_add_f64 v[64:65], v[68:69], -v[64:65] :: v_dual_cndmask_b32 v67, 0, v67, s3
	v_add_f64_e32 v[68:69], v[74:75], v[56:57]
	v_add_f64_e32 v[70:71], v[64:65], v[68:69]
	v_add_f64_e64 v[80:81], v[68:69], -v[74:75]
	s_delay_alu instid0(VALU_DEP_2) | instskip(NEXT) | instid1(VALU_DEP_2)
	v_add_f64_e32 v[76:77], v[70:71], v[66:67]
	v_add_f64_e64 v[86:87], v[68:69], -v[80:81]
	v_add_f64_e64 v[56:57], v[56:57], -v[80:81]
	;; [unrolled: 1-line block ×3, first 2 shown]
	s_delay_alu instid0(VALU_DEP_4) | instskip(SKIP_1) | instid1(VALU_DEP_3)
	v_cmp_gt_f64_e64 s3, 0, v[76:77]
	v_add_f64_e64 v[76:77], v[74:75], -v[78:79]
	v_add_f64_e64 v[64:65], v[68:69], -v[64:65]
	s_delay_alu instid0(VALU_DEP_3) | instskip(NEXT) | instid1(VALU_DEP_3)
	v_cndmask_b32_e64 v5, 0, 0x40100000, s3
	v_add_f64_e64 v[84:85], v[74:75], -v[76:77]
	v_add_f64_e64 v[62:63], v[62:63], -v[76:77]
	;; [unrolled: 1-line block ×3, first 2 shown]
	s_delay_alu instid0(VALU_DEP_4) | instskip(NEXT) | instid1(VALU_DEP_4)
	v_add_f64_e32 v[66:67], v[66:67], v[4:5]
	v_add_f64_e64 v[76:77], v[78:79], -v[84:85]
	s_delay_alu instid0(VALU_DEP_3) | instskip(NEXT) | instid1(VALU_DEP_3)
	v_add_f64_e32 v[56:57], v[56:57], v[74:75]
	v_add_f64_e32 v[82:83], v[70:71], v[66:67]
	s_delay_alu instid0(VALU_DEP_3) | instskip(NEXT) | instid1(VALU_DEP_2)
	v_add_f64_e32 v[62:63], v[62:63], v[76:77]
	v_cvt_i32_f64_e32 v5, v[82:83]
	s_delay_alu instid0(VALU_DEP_2) | instskip(NEXT) | instid1(VALU_DEP_2)
	v_add_f64_e32 v[56:57], v[62:63], v[56:57]
	v_cvt_f64_i32_e32 v[80:81], v5
	s_delay_alu instid0(VALU_DEP_2) | instskip(NEXT) | instid1(VALU_DEP_2)
	v_add_f64_e32 v[54:55], v[54:55], v[56:57]
	v_add_f64_e64 v[66:67], v[66:67], -v[80:81]
	s_delay_alu instid0(VALU_DEP_2) | instskip(NEXT) | instid1(VALU_DEP_2)
	v_add_f64_e32 v[54:55], v[64:65], v[54:55]
	v_add_f64_e32 v[62:63], v[70:71], v[66:67]
	s_delay_alu instid0(VALU_DEP_1) | instskip(SKIP_1) | instid1(VALU_DEP_2)
	v_add_f64_e64 v[56:57], v[62:63], -v[66:67]
	v_cmp_le_f64_e64 s3, 0.5, v[62:63]
	v_add_f64_e64 v[56:57], v[70:71], -v[56:57]
	s_delay_alu instid0(VALU_DEP_2) | instskip(SKIP_1) | instid1(VALU_DEP_3)
	v_add_co_ci_u32_e64 v61, null, 0, v5, s3
	v_cndmask_b32_e64 v5, 0, 0x3ff00000, s3
	v_add_f64_e32 v[54:55], v[54:55], v[56:57]
	s_delay_alu instid0(VALU_DEP_2) | instskip(NEXT) | instid1(VALU_DEP_1)
	v_add_f64_e64 v[56:57], v[62:63], -v[4:5]
	v_add_f64_e32 v[62:63], v[56:57], v[54:55]
	s_delay_alu instid0(VALU_DEP_1) | instskip(SKIP_1) | instid1(VALU_DEP_2)
	v_mul_f64_e32 v[64:65], 0x3ff921fb54442d18, v[62:63]
	v_add_f64_e64 v[56:57], v[62:63], -v[56:57]
	v_fma_f64 v[66:67], v[62:63], s[4:5], -v[64:65]
	s_delay_alu instid0(VALU_DEP_2) | instskip(NEXT) | instid1(VALU_DEP_2)
	v_add_f64_e64 v[54:55], v[54:55], -v[56:57]
	v_fmac_f64_e32 v[66:67], 0x3c91a62633145c07, v[62:63]
	s_delay_alu instid0(VALU_DEP_1) | instskip(NEXT) | instid1(VALU_DEP_1)
	v_fmac_f64_e32 v[66:67], 0x3ff921fb54442d18, v[54:55]
	v_add_f64_e32 v[54:55], v[64:65], v[66:67]
	s_delay_alu instid0(VALU_DEP_1) | instskip(NEXT) | instid1(VALU_DEP_1)
	v_add_f64_e64 v[56:57], v[54:55], -v[64:65]
	v_add_f64_e64 v[56:57], v[66:67], -v[56:57]
	s_and_not1_saveexec_b32 s3, s14
	s_cbranch_execz .LBB213_47
.LBB213_52:                             ;   in Loop: Header=BB213_25 Depth=1
	v_mul_f64_e32 v[54:55], 0x3fe45f306dc9c883, v[34:35]
	s_delay_alu instid0(VALU_DEP_1) | instskip(NEXT) | instid1(VALU_DEP_1)
	v_rndne_f64_e32 v[62:63], v[54:55]
	v_mul_f64_e32 v[54:55], 0xbc91a62633145c00, v[62:63]
	v_fmamk_f64 v[56:57], v[62:63], 0xbff921fb54442d18, v[34:35]
	v_cvt_i32_f64_e32 v61, v[62:63]
	s_delay_alu instid0(VALU_DEP_2) | instskip(NEXT) | instid1(VALU_DEP_1)
	v_add_f64_e32 v[64:65], v[56:57], v[54:55]
	v_add_f64_e64 v[66:67], v[56:57], -v[64:65]
	v_fmamk_f64 v[56:57], v[62:63], 0xbc91a62633145c00, v[56:57]
	s_delay_alu instid0(VALU_DEP_1) | instskip(NEXT) | instid1(VALU_DEP_3)
	v_add_f64_e64 v[64:65], v[64:65], -v[56:57]
	v_add_f64_e32 v[66:67], v[66:67], v[54:55]
	v_fmamk_f64 v[54:55], v[62:63], 0x3c91a62633145c00, v[54:55]
	s_delay_alu instid0(VALU_DEP_2) | instskip(NEXT) | instid1(VALU_DEP_1)
	v_add_f64_e32 v[64:65], v[64:65], v[66:67]
	v_add_f64_e64 v[64:65], v[64:65], -v[54:55]
	s_delay_alu instid0(VALU_DEP_1) | instskip(NEXT) | instid1(VALU_DEP_1)
	v_fmac_f64_e32 v[64:65], 0xb97b839a252049c0, v[62:63]
	v_add_f64_e32 v[54:55], v[56:57], v[64:65]
	s_delay_alu instid0(VALU_DEP_1) | instskip(NEXT) | instid1(VALU_DEP_1)
	v_add_f64_e64 v[56:57], v[54:55], -v[56:57]
	v_add_f64_e64 v[56:57], v[64:65], -v[56:57]
	s_or_b32 exec_lo, exec_lo, s3
	s_and_saveexec_b32 s3, s2
	s_delay_alu instid0(SALU_CYCLE_1)
	s_xor_b32 s14, exec_lo, s3
	s_cbranch_execz .LBB213_48
.LBB213_53:                             ;   in Loop: Header=BB213_25 Depth=1
	s_delay_alu instid0(VALU_DEP_4) | instskip(SKIP_2) | instid1(VALU_DEP_3)
	v_dual_mul_f64 v[68:69], 0.5, v[44:45] :: v_dual_bitop2_b32 v5, 1, v58 bitop3:0x40
	v_cmp_lg_f64_e64 s3, 0x7ff00000, v[40:41]
	v_lshlrev_b32_e32 v41, 30, v58
	v_cmp_eq_u32_e64 s2, 0, v5
	v_mul_f64_e32 v[62:63], v[42:43], v[42:43]
	s_delay_alu instid0(VALU_DEP_1) | instskip(SKIP_2) | instid1(VALU_DEP_1)
	v_mul_f64_e32 v[64:65], 0.5, v[62:63]
	v_mul_f64_e64 v[70:71], v[42:43], -v[62:63]
	v_fmamk_f64 v[74:75], v[62:63], 0x3de5e0b2f9a43bb8, v[32:33]
	v_fmaak_f64 v[74:75], v[62:63], v[74:75], 0x3ec71de3796cde01
	s_delay_alu instid0(VALU_DEP_1) | instskip(NEXT) | instid1(VALU_DEP_1)
	v_fmaak_f64 v[74:75], v[62:63], v[74:75], 0xbf2a01a019e83e5c
	v_fmaak_f64 v[74:75], v[62:63], v[74:75], 0x3f81111111110bb3
	v_add_f64_e64 v[66:67], -v[64:65], 1.0
	s_delay_alu instid0(VALU_DEP_2) | instskip(SKIP_1) | instid1(VALU_DEP_3)
	v_fmac_f64_e32 v[68:69], v[70:71], v[74:75]
	v_mul_f64_e32 v[74:75], v[62:63], v[62:63]
	v_add_f64_e64 v[72:73], -v[66:67], 1.0
	s_delay_alu instid0(VALU_DEP_3) | instskip(NEXT) | instid1(VALU_DEP_2)
	v_fma_f64 v[68:69], v[62:63], v[68:69], -v[44:45]
	v_add_f64_e64 v[64:65], v[72:73], -v[64:65]
	v_fmamk_f64 v[72:73], v[62:63], 0xbda907db46cc5e42, v[8:9]
	s_delay_alu instid0(VALU_DEP_3) | instskip(NEXT) | instid1(VALU_DEP_3)
	v_fmac_f64_e32 v[68:69], 0xbfc5555555555555, v[70:71]
	v_fma_f64 v[44:45], v[42:43], -v[44:45], v[64:65]
	s_delay_alu instid0(VALU_DEP_3) | instskip(NEXT) | instid1(VALU_DEP_3)
	v_fmaak_f64 v[64:65], v[62:63], v[72:73], 0xbe927e4fa17f65f6
	v_add_f64_e64 v[42:43], v[42:43], -v[68:69]
	s_delay_alu instid0(VALU_DEP_2) | instskip(NEXT) | instid1(VALU_DEP_1)
	v_fmaak_f64 v[64:65], v[62:63], v[64:65], 0x3efa01a019f4ec90
	v_fmaak_f64 v[64:65], v[62:63], v[64:65], 0xbf56c16c16c16967
	s_delay_alu instid0(VALU_DEP_1) | instskip(NEXT) | instid1(VALU_DEP_1)
	v_fmaak_f64 v[62:63], v[62:63], v[64:65], 0x3fa5555555555555
	v_fmac_f64_e32 v[44:45], v[74:75], v[62:63]
	v_xor_b32_e32 v40, 0x80000000, v43
	s_delay_alu instid0(VALU_DEP_2) | instskip(NEXT) | instid1(VALU_DEP_1)
	v_add_f64_e32 v[44:45], v[66:67], v[44:45]
	v_dual_cndmask_b32 v40, v40, v45, s2 :: v_dual_cndmask_b32 v5, v42, v44, s2
	s_delay_alu instid0(VALU_DEP_1) | instskip(SKIP_1) | instid1(VALU_DEP_3)
	v_bitop3_b32 v43, v40, v41, 0x80000000 bitop3:0x78
	v_add_nc_u64_e32 v[40:41], s[10:11], v[14:15]
	v_cndmask_b32_e64 v42, 0, v5, s3
	s_delay_alu instid0(VALU_DEP_3)
	v_cndmask_b32_e64 v43, 0x7ff80000, v43, s3
	global_store_b64 v[40:41], v[42:43], off
	s_wait_xcnt 0x0
	s_or_b32 exec_lo, exec_lo, s14
	s_and_saveexec_b32 s3, s1
	s_cbranch_execz .LBB213_49
.LBB213_54:                             ;   in Loop: Header=BB213_25 Depth=1
	v_mul_f64_e32 v[40:41], v[46:47], v[46:47]
	v_cmp_lg_f64_e64 s2, 0x7ff00000, v[38:39]
	v_dual_lshlrev_b32 v39, 30, v59 :: v_dual_bitop2_b32 v5, 1, v59 bitop3:0x40
	s_delay_alu instid0(VALU_DEP_1) | instskip(SKIP_4) | instid1(VALU_DEP_1)
	v_cmp_eq_u32_e64 s1, 0, v5
	v_mul_f64_e32 v[62:63], 0.5, v[48:49]
	v_mul_f64_e32 v[42:43], 0.5, v[40:41]
	v_mul_f64_e64 v[64:65], v[46:47], -v[40:41]
	v_fmamk_f64 v[68:69], v[40:41], 0x3de5e0b2f9a43bb8, v[32:33]
	v_fmaak_f64 v[68:69], v[40:41], v[68:69], 0x3ec71de3796cde01
	s_delay_alu instid0(VALU_DEP_1) | instskip(NEXT) | instid1(VALU_DEP_1)
	v_fmaak_f64 v[68:69], v[40:41], v[68:69], 0xbf2a01a019e83e5c
	v_fmaak_f64 v[68:69], v[40:41], v[68:69], 0x3f81111111110bb3
	v_add_f64_e64 v[44:45], -v[42:43], 1.0
	s_delay_alu instid0(VALU_DEP_2) | instskip(SKIP_1) | instid1(VALU_DEP_3)
	v_fmac_f64_e32 v[62:63], v[64:65], v[68:69]
	v_mul_f64_e32 v[68:69], v[40:41], v[40:41]
	v_add_f64_e64 v[66:67], -v[44:45], 1.0
	s_delay_alu instid0(VALU_DEP_3) | instskip(NEXT) | instid1(VALU_DEP_2)
	v_fma_f64 v[62:63], v[40:41], v[62:63], -v[48:49]
	v_add_f64_e64 v[42:43], v[66:67], -v[42:43]
	v_fmamk_f64 v[66:67], v[40:41], 0xbda907db46cc5e42, v[8:9]
	s_delay_alu instid0(VALU_DEP_3) | instskip(NEXT) | instid1(VALU_DEP_3)
	v_fmac_f64_e32 v[62:63], 0xbfc5555555555555, v[64:65]
	v_fma_f64 v[42:43], v[46:47], -v[48:49], v[42:43]
	s_delay_alu instid0(VALU_DEP_3) | instskip(NEXT) | instid1(VALU_DEP_1)
	v_fmaak_f64 v[48:49], v[40:41], v[66:67], 0xbe927e4fa17f65f6
	v_fmaak_f64 v[48:49], v[40:41], v[48:49], 0x3efa01a019f4ec90
	s_delay_alu instid0(VALU_DEP_1) | instskip(NEXT) | instid1(VALU_DEP_1)
	v_fmaak_f64 v[48:49], v[40:41], v[48:49], 0xbf56c16c16c16967
	v_fmaak_f64 v[40:41], v[40:41], v[48:49], 0x3fa5555555555555
	s_delay_alu instid0(VALU_DEP_1) | instskip(SKIP_1) | instid1(VALU_DEP_2)
	v_fmac_f64_e32 v[42:43], v[68:69], v[40:41]
	v_add_f64_e64 v[40:41], v[46:47], -v[62:63]
	v_add_f64_e32 v[42:43], v[44:45], v[42:43]
	s_delay_alu instid0(VALU_DEP_2) | instskip(NEXT) | instid1(VALU_DEP_1)
	v_xor_b32_e32 v38, 0x80000000, v41
	v_dual_cndmask_b32 v38, v38, v43, s1 :: v_dual_cndmask_b32 v5, v40, v42, s1
	s_delay_alu instid0(VALU_DEP_1) | instskip(SKIP_1) | instid1(VALU_DEP_3)
	v_bitop3_b32 v41, v38, v39, 0x80000000 bitop3:0x78
	v_add_nc_u64_e32 v[38:39], s[10:11], v[30:31]
	v_cndmask_b32_e64 v40, 0, v5, s2
	s_delay_alu instid0(VALU_DEP_3)
	v_cndmask_b32_e64 v41, 0x7ff80000, v41, s2
	global_store_b64 v[38:39], v[40:41], off
	s_wait_xcnt 0x0
	s_or_b32 exec_lo, exec_lo, s3
	s_and_saveexec_b32 s2, s0
	s_cbranch_execz .LBB213_50
.LBB213_55:                             ;   in Loop: Header=BB213_25 Depth=1
	v_dual_mul_f64 v[38:39], v[50:51], v[50:51] :: v_dual_bitop2_b32 v5, 1, v60 bitop3:0x40
	v_cmp_lg_f64_e64 s1, 0x7ff00000, v[36:37]
	s_delay_alu instid0(VALU_DEP_4) | instskip(SKIP_1) | instid1(VALU_DEP_4)
	v_mul_f64_e32 v[44:45], 0.5, v[52:53]
	v_lshlrev_b32_e32 v37, 30, v60
	v_cmp_eq_u32_e64 s0, 0, v5
	v_mul_f64_e32 v[40:41], 0.5, v[38:39]
	v_mul_f64_e64 v[46:47], v[50:51], -v[38:39]
	v_fmamk_f64 v[58:59], v[38:39], 0x3de5e0b2f9a43bb8, v[32:33]
	s_delay_alu instid0(VALU_DEP_1) | instskip(NEXT) | instid1(VALU_DEP_1)
	v_fmaak_f64 v[58:59], v[38:39], v[58:59], 0x3ec71de3796cde01
	v_fmaak_f64 v[58:59], v[38:39], v[58:59], 0xbf2a01a019e83e5c
	s_delay_alu instid0(VALU_DEP_1) | instskip(SKIP_1) | instid1(VALU_DEP_2)
	v_fmaak_f64 v[58:59], v[38:39], v[58:59], 0x3f81111111110bb3
	v_add_f64_e64 v[42:43], -v[40:41], 1.0
	v_fmac_f64_e32 v[44:45], v[46:47], v[58:59]
	v_mul_f64_e32 v[58:59], v[38:39], v[38:39]
	s_delay_alu instid0(VALU_DEP_3) | instskip(NEXT) | instid1(VALU_DEP_3)
	v_add_f64_e64 v[48:49], -v[42:43], 1.0
	v_fma_f64 v[44:45], v[38:39], v[44:45], -v[52:53]
	s_delay_alu instid0(VALU_DEP_2) | instskip(SKIP_1) | instid1(VALU_DEP_3)
	v_add_f64_e64 v[40:41], v[48:49], -v[40:41]
	v_fmamk_f64 v[48:49], v[38:39], 0xbda907db46cc5e42, v[8:9]
	v_fmac_f64_e32 v[44:45], 0xbfc5555555555555, v[46:47]
	s_delay_alu instid0(VALU_DEP_2) | instskip(NEXT) | instid1(VALU_DEP_1)
	v_fmaak_f64 v[48:49], v[38:39], v[48:49], 0xbe927e4fa17f65f6
	v_fmaak_f64 v[48:49], v[38:39], v[48:49], 0x3efa01a019f4ec90
	s_delay_alu instid0(VALU_DEP_1) | instskip(NEXT) | instid1(VALU_DEP_1)
	v_fmaak_f64 v[48:49], v[38:39], v[48:49], 0xbf56c16c16c16967
	v_fmaak_f64 v[38:39], v[38:39], v[48:49], 0x3fa5555555555555
	v_fma_f64 v[40:41], v[50:51], -v[52:53], v[40:41]
	s_delay_alu instid0(VALU_DEP_1) | instskip(SKIP_1) | instid1(VALU_DEP_2)
	v_fmac_f64_e32 v[40:41], v[58:59], v[38:39]
	v_add_f64_e64 v[38:39], v[50:51], -v[44:45]
	v_add_f64_e32 v[40:41], v[42:43], v[40:41]
	s_delay_alu instid0(VALU_DEP_2) | instskip(NEXT) | instid1(VALU_DEP_1)
	v_xor_b32_e32 v36, 0x80000000, v39
	v_dual_cndmask_b32 v36, v36, v41, s0 :: v_dual_cndmask_b32 v5, v38, v40, s0
	s_delay_alu instid0(VALU_DEP_1) | instskip(SKIP_1) | instid1(VALU_DEP_3)
	v_bitop3_b32 v39, v36, v37, 0x80000000 bitop3:0x78
	v_add_nc_u64_e32 v[36:37], s[10:11], v[22:23]
	v_cndmask_b32_e64 v38, 0, v5, s1
	s_delay_alu instid0(VALU_DEP_3)
	v_cndmask_b32_e64 v39, 0x7ff80000, v39, s1
	global_store_b64 v[36:37], v[38:39], off
	s_wait_xcnt 0x0
	s_or_b32 exec_lo, exec_lo, s2
	s_and_saveexec_b32 s1, vcc_lo
	s_cbranch_execz .LBB213_24
.LBB213_56:                             ;   in Loop: Header=BB213_25 Depth=1
	v_dual_mul_f64 v[36:37], v[54:55], v[54:55] :: v_dual_bitop2_b32 v5, 1, v61 bitop3:0x40
	v_cmp_lg_f64_e64 s0, 0x7ff00000, v[34:35]
	v_lshlrev_b32_e32 v35, 30, v61
	s_delay_alu instid0(VALU_DEP_3) | instskip(SKIP_4) | instid1(VALU_DEP_1)
	v_cmp_eq_u32_e32 vcc_lo, 0, v5
	v_mul_f64_e32 v[42:43], 0.5, v[56:57]
	v_mul_f64_e32 v[38:39], 0.5, v[36:37]
	v_mul_f64_e64 v[44:45], v[54:55], -v[36:37]
	v_fmamk_f64 v[48:49], v[36:37], 0x3de5e0b2f9a43bb8, v[32:33]
	v_fmaak_f64 v[48:49], v[36:37], v[48:49], 0x3ec71de3796cde01
	s_delay_alu instid0(VALU_DEP_1) | instskip(NEXT) | instid1(VALU_DEP_1)
	v_fmaak_f64 v[48:49], v[36:37], v[48:49], 0xbf2a01a019e83e5c
	v_fmaak_f64 v[48:49], v[36:37], v[48:49], 0x3f81111111110bb3
	v_add_f64_e64 v[40:41], -v[38:39], 1.0
	s_delay_alu instid0(VALU_DEP_2) | instskip(SKIP_1) | instid1(VALU_DEP_3)
	v_fmac_f64_e32 v[42:43], v[44:45], v[48:49]
	v_mul_f64_e32 v[48:49], v[36:37], v[36:37]
	v_add_f64_e64 v[46:47], -v[40:41], 1.0
	s_delay_alu instid0(VALU_DEP_3) | instskip(NEXT) | instid1(VALU_DEP_2)
	v_fma_f64 v[42:43], v[36:37], v[42:43], -v[56:57]
	v_add_f64_e64 v[38:39], v[46:47], -v[38:39]
	v_fmamk_f64 v[46:47], v[36:37], 0xbda907db46cc5e42, v[8:9]
	s_delay_alu instid0(VALU_DEP_3) | instskip(NEXT) | instid1(VALU_DEP_2)
	v_fmac_f64_e32 v[42:43], 0xbfc5555555555555, v[44:45]
	v_fmaak_f64 v[46:47], v[36:37], v[46:47], 0xbe927e4fa17f65f6
	s_delay_alu instid0(VALU_DEP_1) | instskip(NEXT) | instid1(VALU_DEP_1)
	v_fmaak_f64 v[46:47], v[36:37], v[46:47], 0x3efa01a019f4ec90
	v_fmaak_f64 v[46:47], v[36:37], v[46:47], 0xbf56c16c16c16967
	s_delay_alu instid0(VALU_DEP_1) | instskip(SKIP_1) | instid1(VALU_DEP_1)
	v_fmaak_f64 v[36:37], v[36:37], v[46:47], 0x3fa5555555555555
	v_fma_f64 v[38:39], v[54:55], -v[56:57], v[38:39]
	v_fmac_f64_e32 v[38:39], v[48:49], v[36:37]
	v_add_f64_e64 v[36:37], v[54:55], -v[42:43]
	s_delay_alu instid0(VALU_DEP_2) | instskip(NEXT) | instid1(VALU_DEP_2)
	v_add_f64_e32 v[38:39], v[40:41], v[38:39]
	v_xor_b32_e32 v34, 0x80000000, v37
	s_delay_alu instid0(VALU_DEP_1) | instskip(NEXT) | instid1(VALU_DEP_1)
	v_dual_cndmask_b32 v34, v34, v39 :: v_dual_cndmask_b32 v5, v36, v38
	v_bitop3_b32 v37, v34, v35, 0x80000000 bitop3:0x78
	v_add_nc_u64_e32 v[34:35], s[10:11], v[26:27]
	s_delay_alu instid0(VALU_DEP_3) | instskip(NEXT) | instid1(VALU_DEP_3)
	v_cndmask_b32_e64 v36, 0, v5, s0
	v_cndmask_b32_e64 v37, 0x7ff80000, v37, s0
	global_store_b64 v[34:35], v[36:37], off
	s_branch .LBB213_24
.LBB213_57:
	s_sendmsg sendmsg(MSG_DEALLOC_VGPRS)
	s_endpgm
	.section	.rodata,"a",@progbits
	.p2align	6, 0x0
	.amdhsa_kernel _ZN2at6native12_GLOBAL__N_125multi_tensor_apply_kernelINS1_18TensorListMetadataILi2EEENS1_14UnaryOpFunctorIdLi2ELi1ELi1EEEJNS0_3CosIdEEEEEvT_T0_DpT1_
		.amdhsa_group_segment_fixed_size 0
		.amdhsa_private_segment_fixed_size 0
		.amdhsa_kernarg_size 3408
		.amdhsa_user_sgpr_count 2
		.amdhsa_user_sgpr_dispatch_ptr 0
		.amdhsa_user_sgpr_queue_ptr 0
		.amdhsa_user_sgpr_kernarg_segment_ptr 1
		.amdhsa_user_sgpr_dispatch_id 0
		.amdhsa_user_sgpr_kernarg_preload_length 0
		.amdhsa_user_sgpr_kernarg_preload_offset 0
		.amdhsa_user_sgpr_private_segment_size 0
		.amdhsa_wavefront_size32 1
		.amdhsa_uses_dynamic_stack 0
		.amdhsa_enable_private_segment 0
		.amdhsa_system_sgpr_workgroup_id_x 1
		.amdhsa_system_sgpr_workgroup_id_y 0
		.amdhsa_system_sgpr_workgroup_id_z 0
		.amdhsa_system_sgpr_workgroup_info 0
		.amdhsa_system_vgpr_workitem_id 0
		.amdhsa_next_free_vgpr 96
		.amdhsa_next_free_sgpr 29
		.amdhsa_named_barrier_count 0
		.amdhsa_reserve_vcc 1
		.amdhsa_float_round_mode_32 0
		.amdhsa_float_round_mode_16_64 0
		.amdhsa_float_denorm_mode_32 3
		.amdhsa_float_denorm_mode_16_64 3
		.amdhsa_fp16_overflow 0
		.amdhsa_memory_ordered 1
		.amdhsa_forward_progress 1
		.amdhsa_inst_pref_size 80
		.amdhsa_round_robin_scheduling 0
		.amdhsa_exception_fp_ieee_invalid_op 0
		.amdhsa_exception_fp_denorm_src 0
		.amdhsa_exception_fp_ieee_div_zero 0
		.amdhsa_exception_fp_ieee_overflow 0
		.amdhsa_exception_fp_ieee_underflow 0
		.amdhsa_exception_fp_ieee_inexact 0
		.amdhsa_exception_int_div_zero 0
	.end_amdhsa_kernel
	.section	.text._ZN2at6native12_GLOBAL__N_125multi_tensor_apply_kernelINS1_18TensorListMetadataILi2EEENS1_14UnaryOpFunctorIdLi2ELi1ELi1EEEJNS0_3CosIdEEEEEvT_T0_DpT1_,"axG",@progbits,_ZN2at6native12_GLOBAL__N_125multi_tensor_apply_kernelINS1_18TensorListMetadataILi2EEENS1_14UnaryOpFunctorIdLi2ELi1ELi1EEEJNS0_3CosIdEEEEEvT_T0_DpT1_,comdat
.Lfunc_end213:
	.size	_ZN2at6native12_GLOBAL__N_125multi_tensor_apply_kernelINS1_18TensorListMetadataILi2EEENS1_14UnaryOpFunctorIdLi2ELi1ELi1EEEJNS0_3CosIdEEEEEvT_T0_DpT1_, .Lfunc_end213-_ZN2at6native12_GLOBAL__N_125multi_tensor_apply_kernelINS1_18TensorListMetadataILi2EEENS1_14UnaryOpFunctorIdLi2ELi1ELi1EEEJNS0_3CosIdEEEEEvT_T0_DpT1_
                                        ; -- End function
	.set _ZN2at6native12_GLOBAL__N_125multi_tensor_apply_kernelINS1_18TensorListMetadataILi2EEENS1_14UnaryOpFunctorIdLi2ELi1ELi1EEEJNS0_3CosIdEEEEEvT_T0_DpT1_.num_vgpr, 96
	.set _ZN2at6native12_GLOBAL__N_125multi_tensor_apply_kernelINS1_18TensorListMetadataILi2EEENS1_14UnaryOpFunctorIdLi2ELi1ELi1EEEJNS0_3CosIdEEEEEvT_T0_DpT1_.num_agpr, 0
	.set _ZN2at6native12_GLOBAL__N_125multi_tensor_apply_kernelINS1_18TensorListMetadataILi2EEENS1_14UnaryOpFunctorIdLi2ELi1ELi1EEEJNS0_3CosIdEEEEEvT_T0_DpT1_.numbered_sgpr, 29
	.set _ZN2at6native12_GLOBAL__N_125multi_tensor_apply_kernelINS1_18TensorListMetadataILi2EEENS1_14UnaryOpFunctorIdLi2ELi1ELi1EEEJNS0_3CosIdEEEEEvT_T0_DpT1_.num_named_barrier, 0
	.set _ZN2at6native12_GLOBAL__N_125multi_tensor_apply_kernelINS1_18TensorListMetadataILi2EEENS1_14UnaryOpFunctorIdLi2ELi1ELi1EEEJNS0_3CosIdEEEEEvT_T0_DpT1_.private_seg_size, 0
	.set _ZN2at6native12_GLOBAL__N_125multi_tensor_apply_kernelINS1_18TensorListMetadataILi2EEENS1_14UnaryOpFunctorIdLi2ELi1ELi1EEEJNS0_3CosIdEEEEEvT_T0_DpT1_.uses_vcc, 1
	.set _ZN2at6native12_GLOBAL__N_125multi_tensor_apply_kernelINS1_18TensorListMetadataILi2EEENS1_14UnaryOpFunctorIdLi2ELi1ELi1EEEJNS0_3CosIdEEEEEvT_T0_DpT1_.uses_flat_scratch, 0
	.set _ZN2at6native12_GLOBAL__N_125multi_tensor_apply_kernelINS1_18TensorListMetadataILi2EEENS1_14UnaryOpFunctorIdLi2ELi1ELi1EEEJNS0_3CosIdEEEEEvT_T0_DpT1_.has_dyn_sized_stack, 0
	.set _ZN2at6native12_GLOBAL__N_125multi_tensor_apply_kernelINS1_18TensorListMetadataILi2EEENS1_14UnaryOpFunctorIdLi2ELi1ELi1EEEJNS0_3CosIdEEEEEvT_T0_DpT1_.has_recursion, 0
	.set _ZN2at6native12_GLOBAL__N_125multi_tensor_apply_kernelINS1_18TensorListMetadataILi2EEENS1_14UnaryOpFunctorIdLi2ELi1ELi1EEEJNS0_3CosIdEEEEEvT_T0_DpT1_.has_indirect_call, 0
	.section	.AMDGPU.csdata,"",@progbits
; Kernel info:
; codeLenInByte = 10148
; TotalNumSgprs: 31
; NumVgprs: 96
; ScratchSize: 0
; MemoryBound: 1
; FloatMode: 240
; IeeeMode: 1
; LDSByteSize: 0 bytes/workgroup (compile time only)
; SGPRBlocks: 0
; VGPRBlocks: 5
; NumSGPRsForWavesPerEU: 31
; NumVGPRsForWavesPerEU: 96
; NamedBarCnt: 0
; Occupancy: 10
; WaveLimiterHint : 0
; COMPUTE_PGM_RSRC2:SCRATCH_EN: 0
; COMPUTE_PGM_RSRC2:USER_SGPR: 2
; COMPUTE_PGM_RSRC2:TRAP_HANDLER: 0
; COMPUTE_PGM_RSRC2:TGID_X_EN: 1
; COMPUTE_PGM_RSRC2:TGID_Y_EN: 0
; COMPUTE_PGM_RSRC2:TGID_Z_EN: 0
; COMPUTE_PGM_RSRC2:TIDIG_COMP_CNT: 0
	.section	.text._ZN2at6native12_GLOBAL__N_125multi_tensor_apply_kernelINS1_18TensorListMetadataILi2EEENS1_14UnaryOpFunctorIfLi2ELi1ELi1EEEJNS0_3CosIfEEEEEvT_T0_DpT1_,"axG",@progbits,_ZN2at6native12_GLOBAL__N_125multi_tensor_apply_kernelINS1_18TensorListMetadataILi2EEENS1_14UnaryOpFunctorIfLi2ELi1ELi1EEEJNS0_3CosIfEEEEEvT_T0_DpT1_,comdat
	.globl	_ZN2at6native12_GLOBAL__N_125multi_tensor_apply_kernelINS1_18TensorListMetadataILi2EEENS1_14UnaryOpFunctorIfLi2ELi1ELi1EEEJNS0_3CosIfEEEEEvT_T0_DpT1_ ; -- Begin function _ZN2at6native12_GLOBAL__N_125multi_tensor_apply_kernelINS1_18TensorListMetadataILi2EEENS1_14UnaryOpFunctorIfLi2ELi1ELi1EEEJNS0_3CosIfEEEEEvT_T0_DpT1_
	.p2align	8
	.type	_ZN2at6native12_GLOBAL__N_125multi_tensor_apply_kernelINS1_18TensorListMetadataILi2EEENS1_14UnaryOpFunctorIfLi2ELi1ELi1EEEJNS0_3CosIfEEEEEvT_T0_DpT1_,@function
_ZN2at6native12_GLOBAL__N_125multi_tensor_apply_kernelINS1_18TensorListMetadataILi2EEENS1_14UnaryOpFunctorIfLi2ELi1ELi1EEEJNS0_3CosIfEEEEEvT_T0_DpT1_: ; @_ZN2at6native12_GLOBAL__N_125multi_tensor_apply_kernelINS1_18TensorListMetadataILi2EEENS1_14UnaryOpFunctorIfLi2ELi1ELi1EEEJNS0_3CosIfEEEEEvT_T0_DpT1_
; %bb.0:
	s_bfe_u32 s2, ttmp6, 0x4000c
	s_and_b32 s3, ttmp6, 15
	s_add_co_i32 s2, s2, 1
	s_getreg_b32 s4, hwreg(HW_REG_IB_STS2, 6, 4)
	s_mul_i32 s2, ttmp9, s2
	s_delay_alu instid0(SALU_CYCLE_1)
	s_add_co_i32 s3, s3, s2
	s_cmp_eq_u32 s4, 0
	s_cselect_b32 s2, ttmp9, s3
	s_mov_b32 s3, 0
	s_load_u8 s11, s[0:1], s2 offset:0x600
	s_add_nc_u64 s[4:5], s[0:1], s[2:3]
	s_mul_u64 s[6:7], s[2:3], 3
	s_mov_b32 s15, s3
	s_add_nc_u64 s[6:7], s[4:5], s[6:7]
	s_load_b32 s10, s[6:7], 0x740
	s_wait_kmcnt 0x0
	s_clause 0x2
	s_load_b64 s[4:5], s[0:1], s11 offset:0x0 scale_offset
	s_load_b64 s[8:9], s[0:1], s11 offset:0x200 scale_offset
	;; [unrolled: 1-line block ×3, first 2 shown]
	s_wait_xcnt 0x0
	s_ashr_i32 s11, s10, 31
	s_delay_alu instid0(SALU_CYCLE_1)
	s_lshl_b64 s[6:7], s[10:11], 18
	s_wait_kmcnt 0x0
	s_and_b64 s[18:19], s[8:9], 15
	s_add_nc_u64 s[16:17], s[4:5], s[6:7]
	s_and_b32 s14, s12, 3
	s_and_b32 s2, s16, 15
	s_or_b64 s[14:15], s[18:19], s[14:15]
	s_lshl_b64 s[10:11], s[10:11], 16
	s_or_b64 s[2:3], s[14:15], s[2:3]
	s_sub_nc_u64 s[10:11], s[12:13], s[10:11]
	s_cmp_eq_u64 s[2:3], 0
	s_mov_b32 s2, -1
	s_cbranch_scc0 .LBB214_21
; %bb.1:
	v_min_i64 v[6:7], 0x10000, s[10:11]
	v_dual_mov_b32 v9, 0 :: v_dual_lshlrev_b32 v8, 2, v0
	s_mov_b32 s18, exec_lo
	s_delay_alu instid0(VALU_DEP_1)
	v_cmpx_lt_i64_e64 v[8:9], v[6:7]
	s_cbranch_execz .LBB214_20
; %bb.2:
	s_load_b32 s2, s[0:1], 0xc5c
	v_dual_mov_b32 v1, v9 :: v_dual_lshlrev_b32 v8, 4, v0
	s_mov_b32 s13, 0
	s_mov_b32 s19, 0x7fffff
	s_mov_b64 s[14:15], 0xfe5163ab
	s_delay_alu instid0(VALU_DEP_1)
	v_mov_b64_e32 v[12:13], v[0:1]
	v_add_nc_u64_e32 v[10:11], s[6:7], v[8:9]
	s_mov_b32 s20, 0xb94c1982
	s_mov_b32 s21, 0x37d75334
	;; [unrolled: 1-line block ×4, first 2 shown]
	s_wait_kmcnt 0x0
	s_and_b32 s12, s2, 0xffff
	s_delay_alu instid0(SALU_CYCLE_1)
	s_lshl_b32 s16, s12, 4
	s_branch .LBB214_4
.LBB214_3:                              ;   in Loop: Header=BB214_4 Depth=1
	s_or_b32 exec_lo, exec_lo, s2
	v_dual_mul_f32 v20, v17, v17 :: v_dual_bitop2_b32 v21, 1, v18 bitop3:0x40
	v_dual_lshlrev_b32 v18, 30, v18 :: v_dual_mul_f32 v22, v16, v16
	v_dual_mul_f32 v27, v8, v8 :: v_dual_bitop2_b32 v25, 1, v15 bitop3:0x40
	s_delay_alu instid0(VALU_DEP_3) | instskip(NEXT) | instid1(VALU_DEP_3)
	v_dual_fmaak_f32 v23, s20, v20, 0x3c0881c4 :: v_dual_mul_f32 v26, v1, v1
	v_dual_fmaak_f32 v24, s21, v20, 0xbab64f3b :: v_dual_fmaak_f32 v29, s21, v22, 0xbab64f3b
	v_fmaak_f32 v28, s20, v22, 0x3c0881c4
	s_delay_alu instid0(VALU_DEP_3) | instskip(NEXT) | instid1(VALU_DEP_4)
	v_fmaak_f32 v23, v20, v23, 0xbe2aaa9d
	v_fmaak_f32 v30, s20, v26, 0x3c0881c4
	v_cmp_eq_u32_e32 vcc_lo, 0, v21
	v_add_nc_u64_e32 v[12:13], s[12:13], v[12:13]
	v_fmaak_f32 v28, v22, v28, 0xbe2aaa9d
	v_dual_fmaak_f32 v24, v20, v24, 0x3d2aabf7 :: v_dual_mul_f32 v23, v20, v23
	v_fmaak_f32 v31, s21, v26, 0xbab64f3b
	v_cmp_class_f32_e64 s2, v5, 0x1f8
	v_lshlrev_b32_e32 v15, 30, v15
	s_delay_alu instid0(VALU_DEP_4) | instskip(SKIP_1) | instid1(VALU_DEP_1)
	v_fmac_f32_e32 v17, v17, v23
	v_fmaak_f32 v23, v26, v30, 0xbe2aaa9d
	v_dual_mul_f32 v21, v26, v23 :: v_dual_fmaak_f32 v24, v20, v24, 0xbf000004
	s_delay_alu instid0(VALU_DEP_1) | instskip(NEXT) | instid1(VALU_DEP_2)
	v_fmac_f32_e32 v1, v1, v21
	v_fma_f32 v20, v20, v24, 1.0
	v_dual_mul_f32 v24, v22, v28 :: v_dual_fmaak_f32 v29, v22, v29, 0x3d2aabf7
	s_delay_alu instid0(VALU_DEP_1) | instskip(NEXT) | instid1(VALU_DEP_2)
	v_fmac_f32_e32 v16, v16, v24
	v_fmaak_f32 v28, v22, v29, 0xbf000004
	s_delay_alu instid0(VALU_DEP_1) | instskip(SKIP_3) | instid1(VALU_DEP_4)
	v_fma_f32 v22, v22, v28, 1.0
	v_cndmask_b32_e64 v17, -v17, v20, vcc_lo
	v_cmp_eq_u32_e32 vcc_lo, 0, v25
	v_fmaak_f32 v20, v26, v31, 0x3d2aabf7
	v_cndmask_b32_e64 v16, -v16, v22, vcc_lo
	s_delay_alu instid0(VALU_DEP_4) | instskip(SKIP_2) | instid1(VALU_DEP_4)
	v_bitop3_b32 v17, v18, v17, 0x80000000 bitop3:0x6c
	v_fmaak_f32 v18, s20, v27, 0x3c0881c4
	v_dual_lshlrev_b32 v14, 30, v14 :: v_dual_bitop2_b32 v22, 1, v14 bitop3:0x40
	v_bitop3_b32 v16, v15, v16, 0x80000000 bitop3:0x6c
	s_delay_alu instid0(VALU_DEP_3) | instskip(SKIP_1) | instid1(VALU_DEP_4)
	v_fmaak_f32 v18, v27, v18, 0xbe2aaa9d
	v_fmaak_f32 v23, s21, v27, 0xbab64f3b
	v_cmp_eq_u32_e32 vcc_lo, 0, v22
	s_delay_alu instid0(VALU_DEP_2) | instskip(SKIP_1) | instid1(VALU_DEP_2)
	v_dual_mul_f32 v18, v27, v18 :: v_dual_fmaak_f32 v21, v27, v23, 0x3d2aabf7
	v_fmaak_f32 v20, v26, v20, 0xbf000004
	v_dual_fmac_f32 v8, v8, v18 :: v_dual_fmaak_f32 v21, v27, v21, 0xbf000004
	s_delay_alu instid0(VALU_DEP_2) | instskip(NEXT) | instid1(VALU_DEP_2)
	v_fma_f32 v20, v26, v20, 1.0
	v_fma_f32 v18, v27, v21, 1.0
	s_delay_alu instid0(VALU_DEP_2) | instskip(SKIP_1) | instid1(VALU_DEP_2)
	v_dual_cndmask_b32 v1, -v1, v20, vcc_lo :: v_dual_bitop2_b32 v20, 1, v19 bitop3:0x40
	v_cmp_class_f32_e64 vcc_lo, v4, 0x1f8
	v_bitop3_b32 v1, v14, v1, 0x80000000 bitop3:0x6c
	v_lshlrev_b64_e32 v[14:15], 2, v[12:13]
	v_cndmask_b32_e32 v4, 0x7fc00000, v17, vcc_lo
	v_cmp_eq_u32_e32 vcc_lo, 0, v20
	v_dual_lshlrev_b32 v17, 30, v19 :: v_dual_cndmask_b32 v8, -v8, v18, vcc_lo
	v_cmp_class_f32_e64 vcc_lo, v3, 0x1f8
	v_cndmask_b32_e32 v3, 0x7fc00000, v16, vcc_lo
	v_cmp_class_f32_e64 vcc_lo, v2, 0x1f8
	v_cndmask_b32_e32 v2, 0x7fc00000, v1, vcc_lo
	v_bitop3_b32 v1, v17, v8, 0x80000000 bitop3:0x6c
	v_cmp_ge_i64_e32 vcc_lo, v[14:15], v[6:7]
	v_add_nc_u64_e32 v[14:15], s[8:9], v[10:11]
	v_add_nc_u64_e32 v[10:11], s[16:17], v[10:11]
	s_delay_alu instid0(VALU_DEP_4)
	v_cndmask_b32_e64 v5, 0x7fc00000, v1, s2
	s_or_b32 s22, vcc_lo, s22
	global_store_b128 v[14:15], v[2:5], off
	s_wait_xcnt 0x0
	s_and_not1_b32 exec_lo, exec_lo, s22
	s_cbranch_execz .LBB214_20
.LBB214_4:                              ; =>This Inner Loop Header: Depth=1
	v_add_nc_u64_e32 v[2:3], s[4:5], v[10:11]
                                        ; implicit-def: $vgpr14
                                        ; implicit-def: $vgpr1
	s_mov_b32 s3, exec_lo
	global_load_b128 v[2:5], v[2:3], off
	s_wait_loadcnt 0x0
	s_wait_xcnt 0x0
	v_cmpx_ngt_f32_e64 0x48000000, |v2|
	s_xor_b32 s23, exec_lo, s3
	s_cbranch_execz .LBB214_6
; %bb.5:                                ;   in Loop: Header=BB214_4 Depth=1
	v_and_b32_e32 v1, 0x7fffffff, v2
	v_dual_mov_b32 v25, v9 :: v_dual_mov_b32 v27, v9
	s_delay_alu instid0(VALU_DEP_2) | instskip(SKIP_1) | instid1(VALU_DEP_2)
	v_and_or_b32 v8, v1, s19, 0x800000
	v_lshrrev_b32_e32 v1, 23, v1
	v_mul_u64_e32 v[14:15], s[14:15], v[8:9]
	v_mov_b32_e32 v17, v9
	s_delay_alu instid0(VALU_DEP_3) | instskip(NEXT) | instid1(VALU_DEP_1)
	v_add_nc_u32_e32 v1, 0xffffff88, v1
	v_cmp_lt_u32_e32 vcc_lo, 63, v1
	s_delay_alu instid0(VALU_DEP_4) | instskip(SKIP_1) | instid1(VALU_DEP_2)
	v_mov_b32_e32 v16, v15
	v_cndmask_b32_e64 v15, 0, 0xffffffc0, vcc_lo
	v_mad_nc_u64_u32 v[16:17], 0x3c439041, v8, v[16:17]
	s_delay_alu instid0(VALU_DEP_2) | instskip(NEXT) | instid1(VALU_DEP_1)
	v_dual_mov_b32 v19, v9 :: v_dual_add_nc_u32 v1, v15, v1
	v_cmp_lt_u32_e64 s2, 31, v1
	s_delay_alu instid0(VALU_DEP_3) | instskip(NEXT) | instid1(VALU_DEP_2)
	v_mov_b32_e32 v18, v17
	v_cndmask_b32_e64 v15, 0, 0xffffffe0, s2
	s_delay_alu instid0(VALU_DEP_2) | instskip(NEXT) | instid1(VALU_DEP_2)
	v_mad_nc_u64_u32 v[18:19], 0xdb629599, v8, v[18:19]
	v_dual_mov_b32 v21, v9 :: v_dual_add_nc_u32 v1, v15, v1
	s_delay_alu instid0(VALU_DEP_1) | instskip(NEXT) | instid1(VALU_DEP_3)
	v_cmp_lt_u32_e64 s3, 31, v1
	v_mov_b32_e32 v20, v19
	s_delay_alu instid0(VALU_DEP_1) | instskip(NEXT) | instid1(VALU_DEP_1)
	v_mad_nc_u64_u32 v[20:21], 0xf534ddc0, v8, v[20:21]
	v_dual_mov_b32 v23, v9 :: v_dual_mov_b32 v22, v21
	s_delay_alu instid0(VALU_DEP_1) | instskip(NEXT) | instid1(VALU_DEP_1)
	v_mad_nc_u64_u32 v[22:23], 0xfc2757d1, v8, v[22:23]
	v_dual_mov_b32 v24, v23 :: v_dual_cndmask_b32 v21, v22, v18
	s_delay_alu instid0(VALU_DEP_1) | instskip(NEXT) | instid1(VALU_DEP_1)
	v_mad_nc_u64_u32 v[24:25], 0x4e441529, v8, v[24:25]
	v_mov_b32_e32 v26, v25
	s_delay_alu instid0(VALU_DEP_1) | instskip(SKIP_1) | instid1(VALU_DEP_2)
	v_mad_nc_u64_u32 v[26:27], 0xa2f9836e, v8, v[26:27]
	v_cndmask_b32_e64 v8, 0, 0xffffffe0, s3
	v_dual_cndmask_b32 v15, v24, v20, vcc_lo :: v_dual_cndmask_b32 v17, v26, v22, vcc_lo
	s_delay_alu instid0(VALU_DEP_2) | instskip(NEXT) | instid1(VALU_DEP_2)
	v_dual_cndmask_b32 v19, v27, v24, vcc_lo :: v_dual_add_nc_u32 v1, v8, v1
	v_dual_cndmask_b32 v8, v20, v16, vcc_lo :: v_dual_cndmask_b32 v16, v17, v15, s2
	s_delay_alu instid0(VALU_DEP_2) | instskip(NEXT) | instid1(VALU_DEP_2)
	v_cndmask_b32_e64 v17, v19, v17, s2
	v_dual_cndmask_b32 v15, v15, v21, s2 :: v_dual_cndmask_b32 v20, v21, v8, s2
	s_delay_alu instid0(VALU_DEP_2) | instskip(NEXT) | instid1(VALU_DEP_2)
	v_dual_sub_nc_u32 v19, 32, v1 :: v_dual_cndmask_b32 v17, v17, v16, s3
	v_dual_cndmask_b32 v16, v16, v15, s3 :: v_dual_cndmask_b32 v15, v15, v20, s3
	s_delay_alu instid0(VALU_DEP_1) | instskip(SKIP_2) | instid1(VALU_DEP_4)
	v_alignbit_b32 v21, v17, v16, v19
	v_cndmask_b32_e32 v14, v18, v14, vcc_lo
	v_cmp_eq_u32_e32 vcc_lo, 0, v1
	v_alignbit_b32 v18, v16, v15, v19
	s_delay_alu instid0(VALU_DEP_3) | instskip(NEXT) | instid1(VALU_DEP_2)
	v_dual_cndmask_b32 v1, v21, v17, vcc_lo :: v_dual_cndmask_b32 v8, v8, v14, s2
	v_cndmask_b32_e32 v14, v18, v16, vcc_lo
	s_delay_alu instid0(VALU_DEP_2) | instskip(NEXT) | instid1(VALU_DEP_2)
	v_bfe_u32 v16, v1, 29, 1
	v_alignbit_b32 v17, v1, v14, 30
	s_delay_alu instid0(VALU_DEP_2) | instskip(NEXT) | instid1(VALU_DEP_1)
	v_sub_nc_u32_e32 v18, 0, v16
	v_dual_cndmask_b32 v8, v20, v8, s3 :: v_dual_bitop2_b32 v17, v17, v18 bitop3:0x14
	s_delay_alu instid0(VALU_DEP_1) | instskip(NEXT) | instid1(VALU_DEP_1)
	v_alignbit_b32 v19, v15, v8, v19
	v_cndmask_b32_e32 v15, v19, v15, vcc_lo
	s_delay_alu instid0(VALU_DEP_3) | instskip(NEXT) | instid1(VALU_DEP_2)
	v_clz_i32_u32_e32 v19, v17
	v_alignbit_b32 v14, v14, v15, 30
	s_delay_alu instid0(VALU_DEP_2) | instskip(SKIP_1) | instid1(VALU_DEP_2)
	v_min_u32_e32 v19, 32, v19
	v_alignbit_b32 v8, v15, v8, 30
	v_dual_sub_nc_u32 v15, 31, v19 :: v_dual_bitop2_b32 v14, v14, v18 bitop3:0x14
	s_delay_alu instid0(VALU_DEP_2) | instskip(SKIP_1) | instid1(VALU_DEP_3)
	v_dual_lshrrev_b32 v18, 29, v1 :: v_dual_bitop2_b32 v8, v8, v18 bitop3:0x14
	v_lshlrev_b32_e32 v20, 23, v19
	v_alignbit_b32 v17, v17, v14, v15
	s_delay_alu instid0(VALU_DEP_3) | instskip(NEXT) | instid1(VALU_DEP_4)
	v_alignbit_b32 v8, v14, v8, v15
	v_lshlrev_b32_e32 v14, 31, v18
	s_delay_alu instid0(VALU_DEP_2) | instskip(NEXT) | instid1(VALU_DEP_2)
	v_alignbit_b32 v15, v17, v8, 9
	v_dual_lshrrev_b32 v17, 9, v17 :: v_dual_bitop2_b32 v18, 0.5, v14 bitop3:0x54
	v_or_b32_e32 v14, 0x33000000, v14
	s_delay_alu instid0(VALU_DEP_3) | instskip(NEXT) | instid1(VALU_DEP_3)
	v_clz_i32_u32_e32 v21, v15
	v_sub_nc_u32_e32 v18, v18, v20
	s_delay_alu instid0(VALU_DEP_2) | instskip(NEXT) | instid1(VALU_DEP_1)
	v_min_u32_e32 v20, 32, v21
	v_add_lshl_u32 v19, v20, v19, 23
	s_delay_alu instid0(VALU_DEP_3) | instskip(SKIP_1) | instid1(VALU_DEP_2)
	v_or_b32_e32 v17, v17, v18
	v_not_b32_e32 v18, v20
	v_dual_mul_f32 v21, 0x3fc90fda, v17 :: v_dual_sub_nc_u32 v14, v14, v19
	s_delay_alu instid0(VALU_DEP_2) | instskip(NEXT) | instid1(VALU_DEP_2)
	v_alignbit_b32 v8, v15, v8, v18
	v_fma_f32 v15, 0x3fc90fda, v17, -v21
	s_delay_alu instid0(VALU_DEP_1) | instskip(NEXT) | instid1(VALU_DEP_1)
	v_dual_fmac_f32 v15, 0x33a22168, v17 :: v_dual_lshrrev_b32 v8, 9, v8
	v_or_b32_e32 v8, v14, v8
	s_delay_alu instid0(VALU_DEP_1) | instskip(NEXT) | instid1(VALU_DEP_1)
	v_dual_fmac_f32 v15, 0x3fc90fda, v8 :: v_dual_lshrrev_b32 v8, 30, v1
	v_dual_add_f32 v1, v21, v15 :: v_dual_add_nc_u32 v14, v16, v8
.LBB214_6:                              ;   in Loop: Header=BB214_4 Depth=1
	s_and_not1_saveexec_b32 s2, s23
; %bb.7:                                ;   in Loop: Header=BB214_4 Depth=1
	v_mul_f32_e64 v1, 0x3f22f983, |v2|
	s_delay_alu instid0(VALU_DEP_1) | instskip(NEXT) | instid1(VALU_DEP_1)
	v_rndne_f32_e32 v8, v1
	v_fma_f32 v1, 0xbfc90fda, v8, |v2|
	v_cvt_i32_f32_e32 v14, v8
	s_delay_alu instid0(VALU_DEP_2) | instskip(NEXT) | instid1(VALU_DEP_1)
	v_fmac_f32_e32 v1, 0xb3a22168, v8
	v_fmac_f32_e32 v1, 0xa7c234c4, v8
; %bb.8:                                ;   in Loop: Header=BB214_4 Depth=1
	s_or_b32 exec_lo, exec_lo, s2
                                        ; implicit-def: $vgpr15
                                        ; implicit-def: $vgpr16
	s_delay_alu instid0(SALU_CYCLE_1)
	s_mov_b32 s3, exec_lo
	v_cmpx_ngt_f32_e64 0x48000000, |v3|
	s_xor_b32 s23, exec_lo, s3
	s_cbranch_execz .LBB214_10
; %bb.9:                                ;   in Loop: Header=BB214_4 Depth=1
	v_and_b32_e32 v15, 0x7fffffff, v3
	v_mov_b32_e32 v27, v9
	s_delay_alu instid0(VALU_DEP_2) | instskip(SKIP_1) | instid1(VALU_DEP_2)
	v_and_or_b32 v8, v15, s19, 0x800000
	v_lshrrev_b32_e32 v15, 23, v15
	v_mul_u64_e32 v[16:17], s[14:15], v[8:9]
	v_mov_b32_e32 v19, v9
	s_delay_alu instid0(VALU_DEP_3) | instskip(NEXT) | instid1(VALU_DEP_1)
	v_add_nc_u32_e32 v15, 0xffffff88, v15
	v_cmp_lt_u32_e32 vcc_lo, 63, v15
	s_delay_alu instid0(VALU_DEP_4) | instskip(SKIP_1) | instid1(VALU_DEP_2)
	v_mov_b32_e32 v18, v17
	v_cndmask_b32_e64 v17, 0, 0xffffffc0, vcc_lo
	v_mad_nc_u64_u32 v[18:19], 0x3c439041, v8, v[18:19]
	s_delay_alu instid0(VALU_DEP_1) | instskip(NEXT) | instid1(VALU_DEP_1)
	v_dual_mov_b32 v21, v9 :: v_dual_mov_b32 v20, v19
	v_mad_nc_u64_u32 v[20:21], 0xdb629599, v8, v[20:21]
	s_delay_alu instid0(VALU_DEP_1) | instskip(NEXT) | instid1(VALU_DEP_2)
	v_dual_mov_b32 v23, v9 :: v_dual_mov_b32 v22, v21
	v_cndmask_b32_e32 v16, v20, v16, vcc_lo
	s_delay_alu instid0(VALU_DEP_2) | instskip(NEXT) | instid1(VALU_DEP_1)
	v_mad_nc_u64_u32 v[22:23], 0xf534ddc0, v8, v[22:23]
	v_dual_mov_b32 v25, v9 :: v_dual_mov_b32 v24, v23
	s_delay_alu instid0(VALU_DEP_1) | instskip(NEXT) | instid1(VALU_DEP_1)
	v_mad_nc_u64_u32 v[24:25], 0xfc2757d1, v8, v[24:25]
	v_dual_mov_b32 v26, v25 :: v_dual_cndmask_b32 v23, v24, v20
	s_delay_alu instid0(VALU_DEP_1) | instskip(SKIP_1) | instid1(VALU_DEP_2)
	v_mad_nc_u64_u32 v[26:27], 0x4e441529, v8, v[26:27]
	v_add_nc_u32_e32 v15, v17, v15
	v_dual_mov_b32 v29, v9 :: v_dual_mov_b32 v28, v27
	s_delay_alu instid0(VALU_DEP_2) | instskip(NEXT) | instid1(VALU_DEP_2)
	v_cmp_lt_u32_e64 s2, 31, v15
	v_mad_nc_u64_u32 v[28:29], 0xa2f9836e, v8, v[28:29]
	s_delay_alu instid0(VALU_DEP_2) | instskip(NEXT) | instid1(VALU_DEP_1)
	v_cndmask_b32_e64 v17, 0, 0xffffffe0, s2
	v_dual_cndmask_b32 v17, v26, v22 :: v_dual_add_nc_u32 v8, v17, v15
	s_delay_alu instid0(VALU_DEP_3) | instskip(NEXT) | instid1(VALU_DEP_2)
	v_cndmask_b32_e32 v19, v28, v24, vcc_lo
	v_cmp_lt_u32_e64 s3, 31, v8
	v_cndmask_b32_e32 v21, v29, v26, vcc_lo
	s_delay_alu instid0(VALU_DEP_2) | instskip(NEXT) | instid1(VALU_DEP_1)
	v_cndmask_b32_e64 v15, 0, 0xffffffe0, s3
	v_dual_cndmask_b32 v15, v22, v18 :: v_dual_add_nc_u32 v8, v15, v8
	s_delay_alu instid0(VALU_DEP_3) | instskip(NEXT) | instid1(VALU_DEP_2)
	v_dual_cndmask_b32 v18, v19, v17, s2 :: v_dual_cndmask_b32 v19, v21, v19, s2
	v_dual_cndmask_b32 v17, v17, v23, s2 :: v_dual_sub_nc_u32 v21, 32, v8
	s_delay_alu instid0(VALU_DEP_3) | instskip(SKIP_1) | instid1(VALU_DEP_3)
	v_cndmask_b32_e64 v22, v23, v15, s2
	v_cmp_eq_u32_e32 vcc_lo, 0, v8
	v_dual_cndmask_b32 v19, v19, v18, s3 :: v_dual_cndmask_b32 v18, v18, v17, s3
	s_delay_alu instid0(VALU_DEP_1) | instskip(NEXT) | instid1(VALU_DEP_1)
	v_alignbit_b32 v23, v19, v18, v21
	v_dual_cndmask_b32 v17, v17, v22, s3 :: v_dual_cndmask_b32 v8, v23, v19, vcc_lo
	s_delay_alu instid0(VALU_DEP_1) | instskip(NEXT) | instid1(VALU_DEP_1)
	v_alignbit_b32 v20, v18, v17, v21
	v_dual_cndmask_b32 v15, v15, v16, s2 :: v_dual_cndmask_b32 v16, v20, v18, vcc_lo
	s_delay_alu instid0(VALU_DEP_3) | instskip(NEXT) | instid1(VALU_DEP_2)
	v_bfe_u32 v18, v8, 29, 1
	v_cndmask_b32_e64 v15, v22, v15, s3
	s_delay_alu instid0(VALU_DEP_3) | instskip(NEXT) | instid1(VALU_DEP_3)
	v_alignbit_b32 v19, v8, v16, 30
	v_sub_nc_u32_e32 v20, 0, v18
	s_delay_alu instid0(VALU_DEP_3) | instskip(NEXT) | instid1(VALU_DEP_1)
	v_alignbit_b32 v21, v17, v15, v21
	v_dual_cndmask_b32 v17, v21, v17, vcc_lo :: v_dual_bitop2_b32 v19, v19, v20 bitop3:0x14
	s_delay_alu instid0(VALU_DEP_1) | instskip(NEXT) | instid1(VALU_DEP_2)
	v_clz_i32_u32_e32 v21, v19
	v_alignbit_b32 v16, v16, v17, 30
	v_alignbit_b32 v15, v17, v15, 30
	s_delay_alu instid0(VALU_DEP_3) | instskip(NEXT) | instid1(VALU_DEP_3)
	v_min_u32_e32 v21, 32, v21
	v_xor_b32_e32 v16, v16, v20
	s_delay_alu instid0(VALU_DEP_3) | instskip(SKIP_1) | instid1(VALU_DEP_4)
	v_xor_b32_e32 v15, v15, v20
	v_dual_lshrrev_b32 v20, 29, v8 :: v_dual_lshrrev_b32 v8, 30, v8
	v_dual_sub_nc_u32 v17, 31, v21 :: v_dual_lshlrev_b32 v22, 23, v21
	s_delay_alu instid0(VALU_DEP_1) | instskip(NEXT) | instid1(VALU_DEP_4)
	v_alignbit_b32 v19, v19, v16, v17
	v_alignbit_b32 v15, v16, v15, v17
	s_delay_alu instid0(VALU_DEP_4) | instskip(NEXT) | instid1(VALU_DEP_2)
	v_lshlrev_b32_e32 v16, 31, v20
	v_alignbit_b32 v17, v19, v15, 9
	s_delay_alu instid0(VALU_DEP_2) | instskip(SKIP_1) | instid1(VALU_DEP_3)
	v_dual_lshrrev_b32 v19, 9, v19 :: v_dual_bitop2_b32 v20, 0.5, v16 bitop3:0x54
	v_or_b32_e32 v16, 0x33000000, v16
	v_clz_i32_u32_e32 v23, v17
	s_delay_alu instid0(VALU_DEP_3) | instskip(NEXT) | instid1(VALU_DEP_2)
	v_sub_nc_u32_e32 v20, v20, v22
	v_min_u32_e32 v22, 32, v23
	s_delay_alu instid0(VALU_DEP_1) | instskip(NEXT) | instid1(VALU_DEP_3)
	v_add_lshl_u32 v21, v22, v21, 23
	v_or_b32_e32 v19, v19, v20
	v_not_b32_e32 v20, v22
	s_delay_alu instid0(VALU_DEP_2) | instskip(NEXT) | instid1(VALU_DEP_2)
	v_dual_mul_f32 v23, 0x3fc90fda, v19 :: v_dual_sub_nc_u32 v16, v16, v21
	v_alignbit_b32 v15, v17, v15, v20
	s_delay_alu instid0(VALU_DEP_2) | instskip(NEXT) | instid1(VALU_DEP_2)
	v_fma_f32 v17, 0x3fc90fda, v19, -v23
	v_lshrrev_b32_e32 v15, 9, v15
	s_delay_alu instid0(VALU_DEP_2) | instskip(NEXT) | instid1(VALU_DEP_2)
	v_fmac_f32_e32 v17, 0x33a22168, v19
	v_or_b32_e32 v15, v16, v15
	s_delay_alu instid0(VALU_DEP_1) | instskip(NEXT) | instid1(VALU_DEP_1)
	v_fmac_f32_e32 v17, 0x3fc90fda, v15
	v_dual_add_f32 v16, v23, v17 :: v_dual_add_nc_u32 v15, v18, v8
.LBB214_10:                             ;   in Loop: Header=BB214_4 Depth=1
	s_and_not1_saveexec_b32 s2, s23
; %bb.11:                               ;   in Loop: Header=BB214_4 Depth=1
	v_mul_f32_e64 v8, 0x3f22f983, |v3|
	s_delay_alu instid0(VALU_DEP_1) | instskip(NEXT) | instid1(VALU_DEP_1)
	v_rndne_f32_e32 v8, v8
	v_fma_f32 v16, 0xbfc90fda, v8, |v3|
	v_cvt_i32_f32_e32 v15, v8
	s_delay_alu instid0(VALU_DEP_2) | instskip(NEXT) | instid1(VALU_DEP_1)
	v_fmac_f32_e32 v16, 0xb3a22168, v8
	v_fmac_f32_e32 v16, 0xa7c234c4, v8
; %bb.12:                               ;   in Loop: Header=BB214_4 Depth=1
	s_or_b32 exec_lo, exec_lo, s2
                                        ; implicit-def: $vgpr18
                                        ; implicit-def: $vgpr17
	s_delay_alu instid0(SALU_CYCLE_1)
	s_mov_b32 s3, exec_lo
	v_cmpx_ngt_f32_e64 0x48000000, |v4|
	s_xor_b32 s23, exec_lo, s3
	s_cbranch_execz .LBB214_14
; %bb.13:                               ;   in Loop: Header=BB214_4 Depth=1
	v_and_b32_e32 v17, 0x7fffffff, v4
	v_dual_mov_b32 v29, v9 :: v_dual_mov_b32 v31, v9
	s_delay_alu instid0(VALU_DEP_2) | instskip(SKIP_1) | instid1(VALU_DEP_2)
	v_and_or_b32 v8, v17, s19, 0x800000
	v_lshrrev_b32_e32 v17, 23, v17
	v_mul_u64_e32 v[18:19], s[14:15], v[8:9]
	v_mov_b32_e32 v21, v9
	s_delay_alu instid0(VALU_DEP_3) | instskip(NEXT) | instid1(VALU_DEP_1)
	v_add_nc_u32_e32 v17, 0xffffff88, v17
	v_cmp_lt_u32_e32 vcc_lo, 63, v17
	s_delay_alu instid0(VALU_DEP_4) | instskip(SKIP_1) | instid1(VALU_DEP_2)
	v_mov_b32_e32 v20, v19
	v_cndmask_b32_e64 v19, 0, 0xffffffc0, vcc_lo
	v_mad_nc_u64_u32 v[20:21], 0x3c439041, v8, v[20:21]
	s_delay_alu instid0(VALU_DEP_2) | instskip(NEXT) | instid1(VALU_DEP_1)
	v_dual_mov_b32 v23, v9 :: v_dual_add_nc_u32 v17, v19, v17
	v_cmp_lt_u32_e64 s2, 31, v17
	s_delay_alu instid0(VALU_DEP_3) | instskip(NEXT) | instid1(VALU_DEP_2)
	v_mov_b32_e32 v22, v21
	v_cndmask_b32_e64 v19, 0, 0xffffffe0, s2
	s_delay_alu instid0(VALU_DEP_2) | instskip(NEXT) | instid1(VALU_DEP_1)
	v_mad_nc_u64_u32 v[22:23], 0xdb629599, v8, v[22:23]
	v_dual_mov_b32 v25, v9 :: v_dual_mov_b32 v24, v23
	s_delay_alu instid0(VALU_DEP_2) | instskip(NEXT) | instid1(VALU_DEP_2)
	v_cndmask_b32_e32 v18, v22, v18, vcc_lo
	v_mad_nc_u64_u32 v[24:25], 0xf534ddc0, v8, v[24:25]
	s_delay_alu instid0(VALU_DEP_1) | instskip(NEXT) | instid1(VALU_DEP_1)
	v_dual_mov_b32 v27, v9 :: v_dual_mov_b32 v26, v25
	v_mad_nc_u64_u32 v[26:27], 0xfc2757d1, v8, v[26:27]
	s_delay_alu instid0(VALU_DEP_1) | instskip(NEXT) | instid1(VALU_DEP_1)
	v_dual_mov_b32 v28, v27 :: v_dual_cndmask_b32 v25, v26, v22
	v_mad_nc_u64_u32 v[28:29], 0x4e441529, v8, v[28:29]
	s_delay_alu instid0(VALU_DEP_1) | instskip(NEXT) | instid1(VALU_DEP_1)
	v_mov_b32_e32 v30, v29
	v_mad_nc_u64_u32 v[30:31], 0xa2f9836e, v8, v[30:31]
	s_delay_alu instid0(VALU_DEP_3) | instskip(NEXT) | instid1(VALU_DEP_1)
	v_dual_cndmask_b32 v19, v28, v24 :: v_dual_add_nc_u32 v8, v19, v17
	v_cmp_lt_u32_e64 s3, 31, v8
	s_delay_alu instid0(VALU_DEP_1) | instskip(NEXT) | instid1(VALU_DEP_4)
	v_cndmask_b32_e64 v17, 0, 0xffffffe0, s3
	v_dual_cndmask_b32 v21, v30, v26, vcc_lo :: v_dual_cndmask_b32 v23, v31, v28, vcc_lo
	s_delay_alu instid0(VALU_DEP_2) | instskip(NEXT) | instid1(VALU_DEP_2)
	v_add_nc_u32_e32 v8, v17, v8
	v_dual_cndmask_b32 v17, v24, v20, vcc_lo :: v_dual_cndmask_b32 v20, v21, v19, s2
	s_delay_alu instid0(VALU_DEP_3) | instskip(NEXT) | instid1(VALU_DEP_3)
	v_cndmask_b32_e64 v21, v23, v21, s2
	v_dual_cndmask_b32 v19, v19, v25, s2 :: v_dual_sub_nc_u32 v23, 32, v8
	s_delay_alu instid0(VALU_DEP_3) | instskip(SKIP_1) | instid1(VALU_DEP_3)
	v_cndmask_b32_e64 v24, v25, v17, s2
	v_cmp_eq_u32_e32 vcc_lo, 0, v8
	v_dual_cndmask_b32 v21, v21, v20, s3 :: v_dual_cndmask_b32 v20, v20, v19, s3
	s_delay_alu instid0(VALU_DEP_1) | instskip(NEXT) | instid1(VALU_DEP_1)
	v_alignbit_b32 v25, v21, v20, v23
	v_dual_cndmask_b32 v19, v19, v24, s3 :: v_dual_cndmask_b32 v8, v25, v21, vcc_lo
	s_delay_alu instid0(VALU_DEP_1) | instskip(NEXT) | instid1(VALU_DEP_1)
	v_alignbit_b32 v22, v20, v19, v23
	v_dual_cndmask_b32 v17, v17, v18, s2 :: v_dual_cndmask_b32 v18, v22, v20, vcc_lo
	s_delay_alu instid0(VALU_DEP_3) | instskip(NEXT) | instid1(VALU_DEP_2)
	v_bfe_u32 v20, v8, 29, 1
	v_cndmask_b32_e64 v17, v24, v17, s3
	s_delay_alu instid0(VALU_DEP_3) | instskip(NEXT) | instid1(VALU_DEP_3)
	v_alignbit_b32 v21, v8, v18, 30
	v_sub_nc_u32_e32 v22, 0, v20
	s_delay_alu instid0(VALU_DEP_3) | instskip(NEXT) | instid1(VALU_DEP_1)
	v_alignbit_b32 v23, v19, v17, v23
	v_dual_cndmask_b32 v19, v23, v19, vcc_lo :: v_dual_bitop2_b32 v21, v21, v22 bitop3:0x14
	s_delay_alu instid0(VALU_DEP_1) | instskip(NEXT) | instid1(VALU_DEP_2)
	v_clz_i32_u32_e32 v23, v21
	v_alignbit_b32 v18, v18, v19, 30
	v_alignbit_b32 v17, v19, v17, 30
	s_delay_alu instid0(VALU_DEP_3) | instskip(NEXT) | instid1(VALU_DEP_3)
	v_min_u32_e32 v23, 32, v23
	v_xor_b32_e32 v18, v18, v22
	s_delay_alu instid0(VALU_DEP_3) | instskip(NEXT) | instid1(VALU_DEP_3)
	v_dual_lshrrev_b32 v22, 29, v8 :: v_dual_bitop2_b32 v17, v17, v22 bitop3:0x14
	v_dual_lshrrev_b32 v8, 30, v8 :: v_dual_sub_nc_u32 v19, 31, v23
	v_lshlrev_b32_e32 v24, 23, v23
	s_delay_alu instid0(VALU_DEP_2) | instskip(NEXT) | instid1(VALU_DEP_4)
	v_alignbit_b32 v21, v21, v18, v19
	v_alignbit_b32 v17, v18, v17, v19
	v_lshlrev_b32_e32 v18, 31, v22
	s_delay_alu instid0(VALU_DEP_2) | instskip(NEXT) | instid1(VALU_DEP_2)
	v_alignbit_b32 v19, v21, v17, 9
	v_dual_lshrrev_b32 v21, 9, v21 :: v_dual_bitop2_b32 v22, 0.5, v18 bitop3:0x54
	v_or_b32_e32 v18, 0x33000000, v18
	s_delay_alu instid0(VALU_DEP_3) | instskip(NEXT) | instid1(VALU_DEP_3)
	v_clz_i32_u32_e32 v25, v19
	v_sub_nc_u32_e32 v22, v22, v24
	s_delay_alu instid0(VALU_DEP_2) | instskip(NEXT) | instid1(VALU_DEP_1)
	v_min_u32_e32 v24, 32, v25
	v_add_lshl_u32 v23, v24, v23, 23
	s_delay_alu instid0(VALU_DEP_3) | instskip(SKIP_1) | instid1(VALU_DEP_2)
	v_or_b32_e32 v21, v21, v22
	v_not_b32_e32 v22, v24
	v_dual_mul_f32 v25, 0x3fc90fda, v21 :: v_dual_sub_nc_u32 v18, v18, v23
	s_delay_alu instid0(VALU_DEP_2) | instskip(NEXT) | instid1(VALU_DEP_2)
	v_alignbit_b32 v17, v19, v17, v22
	v_fma_f32 v19, 0x3fc90fda, v21, -v25
	s_delay_alu instid0(VALU_DEP_2) | instskip(NEXT) | instid1(VALU_DEP_2)
	v_lshrrev_b32_e32 v17, 9, v17
	v_fmac_f32_e32 v19, 0x33a22168, v21
	s_delay_alu instid0(VALU_DEP_2) | instskip(NEXT) | instid1(VALU_DEP_1)
	v_dual_add_nc_u32 v18, v20, v8 :: v_dual_bitop2_b32 v17, v18, v17 bitop3:0x54
	v_fmac_f32_e32 v19, 0x3fc90fda, v17
	s_delay_alu instid0(VALU_DEP_1)
	v_add_f32_e32 v17, v25, v19
.LBB214_14:                             ;   in Loop: Header=BB214_4 Depth=1
	s_and_not1_saveexec_b32 s2, s23
; %bb.15:                               ;   in Loop: Header=BB214_4 Depth=1
	v_mul_f32_e64 v8, 0x3f22f983, |v4|
	s_delay_alu instid0(VALU_DEP_1) | instskip(NEXT) | instid1(VALU_DEP_1)
	v_rndne_f32_e32 v8, v8
	v_fma_f32 v17, 0xbfc90fda, v8, |v4|
	v_cvt_i32_f32_e32 v18, v8
	s_delay_alu instid0(VALU_DEP_2) | instskip(NEXT) | instid1(VALU_DEP_1)
	v_fmac_f32_e32 v17, 0xb3a22168, v8
	v_fmac_f32_e32 v17, 0xa7c234c4, v8
; %bb.16:                               ;   in Loop: Header=BB214_4 Depth=1
	s_or_b32 exec_lo, exec_lo, s2
                                        ; implicit-def: $vgpr19
                                        ; implicit-def: $vgpr8
	s_delay_alu instid0(SALU_CYCLE_1)
	s_mov_b32 s3, exec_lo
	v_cmpx_ngt_f32_e64 0x48000000, |v5|
	s_xor_b32 s23, exec_lo, s3
	s_cbranch_execz .LBB214_18
; %bb.17:                               ;   in Loop: Header=BB214_4 Depth=1
	v_and_b32_e32 v19, 0x7fffffff, v5
	v_mov_b32_e32 v31, v9
	s_delay_alu instid0(VALU_DEP_2) | instskip(SKIP_1) | instid1(VALU_DEP_2)
	v_and_or_b32 v8, v19, s19, 0x800000
	v_lshrrev_b32_e32 v19, 23, v19
	v_mul_u64_e32 v[20:21], s[14:15], v[8:9]
	v_mov_b32_e32 v23, v9
	s_delay_alu instid0(VALU_DEP_3) | instskip(NEXT) | instid1(VALU_DEP_1)
	v_add_nc_u32_e32 v19, 0xffffff88, v19
	v_cmp_lt_u32_e32 vcc_lo, 63, v19
	s_delay_alu instid0(VALU_DEP_4) | instskip(SKIP_1) | instid1(VALU_DEP_2)
	v_mov_b32_e32 v22, v21
	v_cndmask_b32_e64 v21, 0, 0xffffffc0, vcc_lo
	v_mad_nc_u64_u32 v[22:23], 0x3c439041, v8, v[22:23]
	s_delay_alu instid0(VALU_DEP_1) | instskip(NEXT) | instid1(VALU_DEP_1)
	v_dual_mov_b32 v25, v9 :: v_dual_mov_b32 v24, v23
	v_mad_nc_u64_u32 v[24:25], 0xdb629599, v8, v[24:25]
	s_delay_alu instid0(VALU_DEP_1) | instskip(NEXT) | instid1(VALU_DEP_2)
	v_dual_mov_b32 v27, v9 :: v_dual_mov_b32 v26, v25
	v_cndmask_b32_e32 v20, v24, v20, vcc_lo
	s_delay_alu instid0(VALU_DEP_2) | instskip(NEXT) | instid1(VALU_DEP_1)
	v_mad_nc_u64_u32 v[26:27], 0xf534ddc0, v8, v[26:27]
	v_dual_mov_b32 v29, v9 :: v_dual_mov_b32 v28, v27
	s_delay_alu instid0(VALU_DEP_1) | instskip(NEXT) | instid1(VALU_DEP_1)
	v_mad_nc_u64_u32 v[28:29], 0xfc2757d1, v8, v[28:29]
	v_dual_mov_b32 v30, v29 :: v_dual_cndmask_b32 v27, v28, v24
	s_delay_alu instid0(VALU_DEP_1) | instskip(SKIP_1) | instid1(VALU_DEP_2)
	v_mad_nc_u64_u32 v[30:31], 0x4e441529, v8, v[30:31]
	v_add_nc_u32_e32 v19, v21, v19
	v_dual_mov_b32 v33, v9 :: v_dual_mov_b32 v32, v31
	s_delay_alu instid0(VALU_DEP_2) | instskip(NEXT) | instid1(VALU_DEP_2)
	v_cmp_lt_u32_e64 s2, 31, v19
	v_mad_nc_u64_u32 v[32:33], 0xa2f9836e, v8, v[32:33]
	s_delay_alu instid0(VALU_DEP_2) | instskip(NEXT) | instid1(VALU_DEP_1)
	v_cndmask_b32_e64 v21, 0, 0xffffffe0, s2
	v_dual_cndmask_b32 v21, v30, v26 :: v_dual_add_nc_u32 v8, v21, v19
	s_delay_alu instid0(VALU_DEP_3) | instskip(NEXT) | instid1(VALU_DEP_2)
	v_cndmask_b32_e32 v23, v32, v28, vcc_lo
	v_cmp_lt_u32_e64 s3, 31, v8
	v_cndmask_b32_e32 v25, v33, v30, vcc_lo
	s_delay_alu instid0(VALU_DEP_2) | instskip(NEXT) | instid1(VALU_DEP_1)
	v_cndmask_b32_e64 v19, 0, 0xffffffe0, s3
	v_dual_cndmask_b32 v19, v26, v22 :: v_dual_add_nc_u32 v8, v19, v8
	s_delay_alu instid0(VALU_DEP_3) | instskip(NEXT) | instid1(VALU_DEP_2)
	v_dual_cndmask_b32 v22, v23, v21, s2 :: v_dual_cndmask_b32 v23, v25, v23, s2
	v_dual_cndmask_b32 v21, v21, v27, s2 :: v_dual_sub_nc_u32 v25, 32, v8
	s_delay_alu instid0(VALU_DEP_3) | instskip(SKIP_1) | instid1(VALU_DEP_3)
	v_cndmask_b32_e64 v26, v27, v19, s2
	v_cmp_eq_u32_e32 vcc_lo, 0, v8
	v_dual_cndmask_b32 v23, v23, v22, s3 :: v_dual_cndmask_b32 v22, v22, v21, s3
	s_delay_alu instid0(VALU_DEP_1) | instskip(NEXT) | instid1(VALU_DEP_1)
	v_alignbit_b32 v27, v23, v22, v25
	v_dual_cndmask_b32 v21, v21, v26, s3 :: v_dual_cndmask_b32 v8, v27, v23, vcc_lo
	s_delay_alu instid0(VALU_DEP_1) | instskip(NEXT) | instid1(VALU_DEP_1)
	v_alignbit_b32 v24, v22, v21, v25
	v_dual_cndmask_b32 v19, v19, v20, s2 :: v_dual_cndmask_b32 v20, v24, v22, vcc_lo
	s_delay_alu instid0(VALU_DEP_3) | instskip(NEXT) | instid1(VALU_DEP_2)
	v_bfe_u32 v22, v8, 29, 1
	v_cndmask_b32_e64 v19, v26, v19, s3
	s_delay_alu instid0(VALU_DEP_3) | instskip(NEXT) | instid1(VALU_DEP_3)
	v_alignbit_b32 v23, v8, v20, 30
	v_sub_nc_u32_e32 v24, 0, v22
	s_delay_alu instid0(VALU_DEP_3) | instskip(NEXT) | instid1(VALU_DEP_1)
	v_alignbit_b32 v25, v21, v19, v25
	v_dual_cndmask_b32 v21, v25, v21, vcc_lo :: v_dual_bitop2_b32 v23, v23, v24 bitop3:0x14
	s_delay_alu instid0(VALU_DEP_1) | instskip(NEXT) | instid1(VALU_DEP_2)
	v_clz_i32_u32_e32 v25, v23
	v_alignbit_b32 v20, v20, v21, 30
	v_alignbit_b32 v19, v21, v19, 30
	s_delay_alu instid0(VALU_DEP_3) | instskip(NEXT) | instid1(VALU_DEP_3)
	v_min_u32_e32 v25, 32, v25
	v_xor_b32_e32 v20, v20, v24
	s_delay_alu instid0(VALU_DEP_3) | instskip(NEXT) | instid1(VALU_DEP_3)
	v_xor_b32_e32 v19, v19, v24
	v_dual_lshrrev_b32 v24, 29, v8 :: v_dual_lshlrev_b32 v26, 23, v25
	v_sub_nc_u32_e32 v21, 31, v25
	s_delay_alu instid0(VALU_DEP_1) | instskip(NEXT) | instid1(VALU_DEP_4)
	v_alignbit_b32 v23, v23, v20, v21
	v_alignbit_b32 v19, v20, v19, v21
	s_delay_alu instid0(VALU_DEP_4) | instskip(NEXT) | instid1(VALU_DEP_2)
	v_lshlrev_b32_e32 v20, 31, v24
	v_alignbit_b32 v21, v23, v19, 9
	s_delay_alu instid0(VALU_DEP_2) | instskip(SKIP_1) | instid1(VALU_DEP_3)
	v_dual_lshrrev_b32 v23, 9, v23 :: v_dual_bitop2_b32 v24, 0.5, v20 bitop3:0x54
	v_or_b32_e32 v20, 0x33000000, v20
	v_clz_i32_u32_e32 v27, v21
	s_delay_alu instid0(VALU_DEP_3) | instskip(NEXT) | instid1(VALU_DEP_2)
	v_sub_nc_u32_e32 v24, v24, v26
	v_min_u32_e32 v26, 32, v27
	s_delay_alu instid0(VALU_DEP_1) | instskip(NEXT) | instid1(VALU_DEP_3)
	v_add_lshl_u32 v25, v26, v25, 23
	v_or_b32_e32 v23, v23, v24
	v_not_b32_e32 v24, v26
	s_delay_alu instid0(VALU_DEP_2) | instskip(NEXT) | instid1(VALU_DEP_2)
	v_dual_mul_f32 v27, 0x3fc90fda, v23 :: v_dual_sub_nc_u32 v20, v20, v25
	v_alignbit_b32 v19, v21, v19, v24
	s_delay_alu instid0(VALU_DEP_2) | instskip(NEXT) | instid1(VALU_DEP_2)
	v_fma_f32 v21, 0x3fc90fda, v23, -v27
	v_lshrrev_b32_e32 v19, 9, v19
	s_delay_alu instid0(VALU_DEP_2) | instskip(NEXT) | instid1(VALU_DEP_2)
	v_fmac_f32_e32 v21, 0x33a22168, v23
	v_or_b32_e32 v19, v20, v19
	s_delay_alu instid0(VALU_DEP_1) | instskip(NEXT) | instid1(VALU_DEP_1)
	v_fmac_f32_e32 v21, 0x3fc90fda, v19
	v_dual_add_f32 v8, v27, v21 :: v_dual_lshrrev_b32 v19, 30, v8
	s_delay_alu instid0(VALU_DEP_1)
	v_add_nc_u32_e32 v19, v22, v19
.LBB214_18:                             ;   in Loop: Header=BB214_4 Depth=1
	s_and_not1_saveexec_b32 s2, s23
	s_cbranch_execz .LBB214_3
; %bb.19:                               ;   in Loop: Header=BB214_4 Depth=1
	v_mul_f32_e64 v8, 0x3f22f983, |v5|
	s_delay_alu instid0(VALU_DEP_1) | instskip(NEXT) | instid1(VALU_DEP_1)
	v_rndne_f32_e32 v19, v8
	v_fma_f32 v8, 0xbfc90fda, v19, |v5|
	s_delay_alu instid0(VALU_DEP_1) | instskip(NEXT) | instid1(VALU_DEP_1)
	v_fmac_f32_e32 v8, 0xb3a22168, v19
	v_fmac_f32_e32 v8, 0xa7c234c4, v19
	v_cvt_i32_f32_e32 v19, v19
	s_branch .LBB214_3
.LBB214_20:
	s_or_b32 exec_lo, exec_lo, s18
	s_mov_b32 s2, 0
.LBB214_21:
	s_delay_alu instid0(SALU_CYCLE_1)
	s_and_not1_b32 vcc_lo, exec_lo, s2
	s_cbranch_vccnz .LBB214_57
; %bb.22:
	v_cmp_lt_i64_e64 s2, s[10:11], 1
	s_and_b32 vcc_lo, exec_lo, s2
	s_cbranch_vccnz .LBB214_57
; %bb.23:
	s_load_b32 s0, s[0:1], 0xc5c
	v_min_i64 v[2:3], 0x10000, s[10:11]
	v_min_u64 v[6:7], 0x10000, s[10:11]
	v_dual_mov_b32 v5, 0 :: v_dual_lshlrev_b32 v4, 2, v0
	s_mov_b32 s13, 0
	s_mov_b32 s16, 0x7fffff
	;; [unrolled: 1-line block ×3, first 2 shown]
	s_delay_alu instid0(VALU_DEP_1)
	v_mov_b32_e32 v1, v5
	v_add_nc_u64_e32 v[8:9], s[4:5], v[4:5]
	v_add_nc_u64_e32 v[10:11], s[8:9], v[4:5]
	s_wait_xcnt 0x0
	s_mov_b32 s1, s13
	s_mov_b32 s3, s13
	;; [unrolled: 1-line block ×5, first 2 shown]
	s_wait_kmcnt 0x0
	s_and_b32 s12, s0, 0xffff
	s_delay_alu instid0(SALU_CYCLE_1)
	v_add_nc_u64_e32 v[12:13], s[12:13], v[0:1]
	v_mad_nc_u64_u32 v[24:25], s12, 12, v[4:5]
	s_lshl_b32 s14, s12, 3
	s_lshl_b32 s0, s12, 1
	v_add_nc_u64_e32 v[20:21], s[14:15], v[4:5]
	s_mul_i32 s2, s12, 3
	s_lshl_b32 s10, s12, 2
	v_lshlrev_b32_e32 v4, 2, v12
	v_add_nc_u64_e32 v[14:15], s[2:3], v[0:1]
	v_add_nc_u64_e32 v[16:17], s[0:1], v[0:1]
	s_lshl_b32 s12, s12, 4
	v_add_nc_u64_e32 v[18:19], s[4:5], v[20:21]
	v_add_nc_u64_e32 v[20:21], s[8:9], v[20:21]
	;; [unrolled: 1-line block ×6, first 2 shown]
	s_mov_b64 s[8:9], 0xfe5163ab
	s_mov_b64 s[14:15], 0
	s_branch .LBB214_25
.LBB214_24:                             ;   in Loop: Header=BB214_25 Depth=1
	s_wait_xcnt 0x0
	s_or_b32 exec_lo, exec_lo, s0
	s_add_nc_u64 s[14:15], s[14:15], s[10:11]
	v_add_nc_u64_e32 v[8:9], s[12:13], v[8:9]
	v_cmp_ge_i64_e32 vcc_lo, s[14:15], v[2:3]
	v_add_nc_u64_e32 v[10:11], s[12:13], v[10:11]
	v_add_nc_u64_e32 v[22:23], s[12:13], v[22:23]
	;; [unrolled: 1-line block ×7, first 2 shown]
	s_cbranch_vccnz .LBB214_57
.LBB214_25:                             ; =>This Inner Loop Header: Depth=1
	v_add_nc_u64_e32 v[30:31], s[14:15], v[0:1]
	v_mov_b32_e32 v33, 0
	s_delay_alu instid0(VALU_DEP_2)
	v_cmp_lt_u64_e64 s2, v[30:31], v[6:7]
	s_and_saveexec_b32 s0, s2
	s_cbranch_execz .LBB214_27
; %bb.26:                               ;   in Loop: Header=BB214_25 Depth=1
	v_add_nc_u64_e32 v[30:31], s[6:7], v[8:9]
	global_load_b32 v4, v[30:31], off
	s_wait_loadcnt 0x0
	v_and_b32_e32 v33, 0x7fffffff, v4
.LBB214_27:                             ;   in Loop: Header=BB214_25 Depth=1
	s_wait_xcnt 0x0
	s_or_b32 exec_lo, exec_lo, s0
	v_add_nc_u64_e32 v[30:31], s[14:15], v[12:13]
	v_mov_b32_e32 v32, 0
	s_delay_alu instid0(VALU_DEP_2)
	v_cmp_lt_u64_e64 s1, v[30:31], v[6:7]
	v_mov_b32_e32 v30, 0
	s_and_saveexec_b32 s0, s1
	s_cbranch_execz .LBB214_29
; %bb.28:                               ;   in Loop: Header=BB214_25 Depth=1
	v_add_nc_u64_e32 v[34:35], s[6:7], v[26:27]
	global_load_b32 v4, v[34:35], off
	s_wait_loadcnt 0x0
	v_and_b32_e32 v32, 0x7fffffff, v4
.LBB214_29:                             ;   in Loop: Header=BB214_25 Depth=1
	s_wait_xcnt 0x0
	s_or_b32 exec_lo, exec_lo, s0
	v_add_nc_u64_e32 v[34:35], s[14:15], v[16:17]
	s_delay_alu instid0(VALU_DEP_1)
	v_cmp_lt_u64_e64 s0, v[34:35], v[6:7]
	s_and_saveexec_b32 s3, s0
	s_cbranch_execz .LBB214_31
; %bb.30:                               ;   in Loop: Header=BB214_25 Depth=1
	v_add_nc_u64_e32 v[30:31], s[6:7], v[18:19]
	global_load_b32 v4, v[30:31], off
	s_wait_loadcnt 0x0
	v_and_b32_e32 v30, 0x7fffffff, v4
.LBB214_31:                             ;   in Loop: Header=BB214_25 Depth=1
	s_or_b32 exec_lo, exec_lo, s3
	v_add_nc_u64_e32 v[34:35], s[14:15], v[14:15]
	v_mov_b32_e32 v31, 0
	s_delay_alu instid0(VALU_DEP_2)
	v_cmp_lt_u64_e32 vcc_lo, v[34:35], v[6:7]
	s_and_saveexec_b32 s3, vcc_lo
	s_cbranch_execz .LBB214_33
; %bb.32:                               ;   in Loop: Header=BB214_25 Depth=1
	v_add_nc_u64_e32 v[34:35], s[6:7], v[22:23]
	global_load_b32 v4, v[34:35], off
	s_wait_loadcnt 0x0
	v_and_b32_e32 v31, 0x7fffffff, v4
.LBB214_33:                             ;   in Loop: Header=BB214_25 Depth=1
	s_wait_xcnt 0x0
	s_or_b32 exec_lo, exec_lo, s3
                                        ; implicit-def: $vgpr35
                                        ; implicit-def: $vgpr34
	s_delay_alu instid0(SALU_CYCLE_1)
	s_mov_b32 s4, exec_lo
	v_cmpx_ngt_f32_e32 0x48000000, v33
	s_xor_b32 s19, exec_lo, s4
	s_cbranch_execz .LBB214_35
; %bb.34:                               ;   in Loop: Header=BB214_25 Depth=1
	v_and_or_b32 v4, v33, s16, 0x800000
	v_mov_b32_e32 v45, v5
	s_delay_alu instid0(VALU_DEP_2) | instskip(NEXT) | instid1(VALU_DEP_1)
	v_mul_u64_e32 v[34:35], s[8:9], v[4:5]
	v_dual_mov_b32 v37, v5 :: v_dual_mov_b32 v36, v35
	v_lshrrev_b32_e32 v35, 23, v33
	s_delay_alu instid0(VALU_DEP_2) | instskip(SKIP_1) | instid1(VALU_DEP_3)
	v_mad_nc_u64_u32 v[36:37], 0x3c439041, v4, v[36:37]
	v_mov_b32_e32 v39, v5
	v_add_nc_u32_e32 v35, 0xffffff88, v35
	s_delay_alu instid0(VALU_DEP_1) | instskip(NEXT) | instid1(VALU_DEP_4)
	v_cmp_lt_u32_e64 s3, 63, v35
	v_mov_b32_e32 v38, v37
	s_delay_alu instid0(VALU_DEP_2) | instskip(NEXT) | instid1(VALU_DEP_2)
	v_cndmask_b32_e64 v37, 0, 0xffffffc0, s3
	v_mad_nc_u64_u32 v[38:39], 0xdb629599, v4, v[38:39]
	s_delay_alu instid0(VALU_DEP_1) | instskip(NEXT) | instid1(VALU_DEP_2)
	v_dual_mov_b32 v41, v5 :: v_dual_mov_b32 v40, v39
	v_cndmask_b32_e64 v34, v38, v34, s3
	s_delay_alu instid0(VALU_DEP_2) | instskip(NEXT) | instid1(VALU_DEP_1)
	v_mad_nc_u64_u32 v[40:41], 0xf534ddc0, v4, v[40:41]
	v_dual_mov_b32 v43, v5 :: v_dual_mov_b32 v42, v41
	s_delay_alu instid0(VALU_DEP_1) | instskip(NEXT) | instid1(VALU_DEP_1)
	v_mad_nc_u64_u32 v[42:43], 0xfc2757d1, v4, v[42:43]
	v_mov_b32_e32 v44, v43
	s_delay_alu instid0(VALU_DEP_1) | instskip(SKIP_2) | instid1(VALU_DEP_2)
	v_mad_nc_u64_u32 v[44:45], 0x4e441529, v4, v[44:45]
	v_add_nc_u32_e32 v35, v37, v35
	v_mov_b32_e32 v47, v5
	v_cmp_lt_u32_e64 s4, 31, v35
	s_delay_alu instid0(VALU_DEP_4) | instskip(NEXT) | instid1(VALU_DEP_2)
	v_mov_b32_e32 v46, v45
	v_cndmask_b32_e64 v37, 0, 0xffffffe0, s4
	s_delay_alu instid0(VALU_DEP_2) | instskip(NEXT) | instid1(VALU_DEP_2)
	v_mad_nc_u64_u32 v[46:47], 0xa2f9836e, v4, v[46:47]
	v_dual_add_nc_u32 v4, v37, v35 :: v_dual_cndmask_b32 v37, v44, v40, s3
	s_delay_alu instid0(VALU_DEP_2) | instskip(NEXT) | instid1(VALU_DEP_2)
	v_cndmask_b32_e64 v39, v46, v42, s3
	v_cmp_lt_u32_e64 s5, 31, v4
	s_delay_alu instid0(VALU_DEP_4) | instskip(NEXT) | instid1(VALU_DEP_2)
	v_dual_cndmask_b32 v41, v47, v44, s3 :: v_dual_cndmask_b32 v42, v42, v38, s3
	v_cndmask_b32_e64 v35, 0, 0xffffffe0, s5
	s_delay_alu instid0(VALU_DEP_1) | instskip(SKIP_1) | instid1(VALU_DEP_4)
	v_add_nc_u32_e32 v4, v35, v4
	v_dual_cndmask_b32 v35, v40, v36, s3 :: v_dual_cndmask_b32 v36, v39, v37, s4
	v_cndmask_b32_e64 v39, v41, v39, s4
	s_delay_alu instid0(VALU_DEP_3) | instskip(NEXT) | instid1(VALU_DEP_3)
	v_dual_cndmask_b32 v37, v37, v42, s4 :: v_dual_sub_nc_u32 v40, 32, v4
	v_cndmask_b32_e64 v41, v42, v35, s4
	v_cmp_eq_u32_e64 s3, 0, v4
	s_delay_alu instid0(VALU_DEP_3) | instskip(NEXT) | instid1(VALU_DEP_1)
	v_dual_cndmask_b32 v39, v39, v36, s5 :: v_dual_cndmask_b32 v36, v36, v37, s5
	v_alignbit_b32 v42, v39, v36, v40
	s_delay_alu instid0(VALU_DEP_1) | instskip(NEXT) | instid1(VALU_DEP_1)
	v_dual_cndmask_b32 v37, v37, v41, s5 :: v_dual_cndmask_b32 v4, v42, v39, s3
	v_alignbit_b32 v38, v36, v37, v40
	s_delay_alu instid0(VALU_DEP_1) | instskip(NEXT) | instid1(VALU_DEP_3)
	v_dual_cndmask_b32 v34, v35, v34, s4 :: v_dual_cndmask_b32 v35, v38, v36, s3
	v_bfe_u32 v36, v4, 29, 1
	s_delay_alu instid0(VALU_DEP_2) | instskip(NEXT) | instid1(VALU_DEP_3)
	v_cndmask_b32_e64 v34, v41, v34, s5
	v_alignbit_b32 v38, v4, v35, 30
	s_delay_alu instid0(VALU_DEP_3) | instskip(NEXT) | instid1(VALU_DEP_3)
	v_sub_nc_u32_e32 v39, 0, v36
	v_alignbit_b32 v40, v37, v34, v40
	s_delay_alu instid0(VALU_DEP_1) | instskip(NEXT) | instid1(VALU_DEP_1)
	v_dual_cndmask_b32 v37, v40, v37, s3 :: v_dual_bitop2_b32 v38, v38, v39 bitop3:0x14
	v_clz_i32_u32_e32 v40, v38
	s_delay_alu instid0(VALU_DEP_2) | instskip(SKIP_1) | instid1(VALU_DEP_3)
	v_alignbit_b32 v35, v35, v37, 30
	v_alignbit_b32 v34, v37, v34, 30
	v_min_u32_e32 v40, 32, v40
	s_delay_alu instid0(VALU_DEP_3) | instskip(NEXT) | instid1(VALU_DEP_3)
	v_xor_b32_e32 v35, v35, v39
	v_dual_lshrrev_b32 v39, 29, v4 :: v_dual_bitop2_b32 v34, v34, v39 bitop3:0x14
	v_lshrrev_b32_e32 v4, 30, v4
	s_delay_alu instid0(VALU_DEP_4) | instskip(NEXT) | instid1(VALU_DEP_1)
	v_dual_sub_nc_u32 v37, 31, v40 :: v_dual_lshlrev_b32 v41, 23, v40
	v_alignbit_b32 v38, v38, v35, v37
	s_delay_alu instid0(VALU_DEP_4) | instskip(SKIP_1) | instid1(VALU_DEP_2)
	v_alignbit_b32 v34, v35, v34, v37
	v_lshlrev_b32_e32 v35, 31, v39
	v_alignbit_b32 v37, v38, v34, 9
	s_delay_alu instid0(VALU_DEP_2) | instskip(SKIP_1) | instid1(VALU_DEP_3)
	v_dual_lshrrev_b32 v38, 9, v38 :: v_dual_bitop2_b32 v39, 0.5, v35 bitop3:0x54
	v_or_b32_e32 v35, 0x33000000, v35
	v_clz_i32_u32_e32 v42, v37
	s_delay_alu instid0(VALU_DEP_3) | instskip(NEXT) | instid1(VALU_DEP_2)
	v_sub_nc_u32_e32 v39, v39, v41
	v_min_u32_e32 v41, 32, v42
	s_delay_alu instid0(VALU_DEP_1) | instskip(NEXT) | instid1(VALU_DEP_3)
	v_add_lshl_u32 v40, v41, v40, 23
	v_or_b32_e32 v38, v38, v39
	v_not_b32_e32 v39, v41
	s_delay_alu instid0(VALU_DEP_2) | instskip(NEXT) | instid1(VALU_DEP_2)
	v_dual_mul_f32 v42, 0x3fc90fda, v38 :: v_dual_sub_nc_u32 v35, v35, v40
	v_alignbit_b32 v34, v37, v34, v39
	s_delay_alu instid0(VALU_DEP_2) | instskip(NEXT) | instid1(VALU_DEP_2)
	v_fma_f32 v37, 0x3fc90fda, v38, -v42
	v_lshrrev_b32_e32 v34, 9, v34
	s_delay_alu instid0(VALU_DEP_2) | instskip(NEXT) | instid1(VALU_DEP_2)
	v_fmac_f32_e32 v37, 0x33a22168, v38
	v_dual_add_nc_u32 v35, v36, v4 :: v_dual_bitop2_b32 v34, v35, v34 bitop3:0x54
	s_delay_alu instid0(VALU_DEP_1) | instskip(NEXT) | instid1(VALU_DEP_1)
	v_fmac_f32_e32 v37, 0x3fc90fda, v34
	v_add_f32_e32 v34, v42, v37
.LBB214_35:                             ;   in Loop: Header=BB214_25 Depth=1
	s_and_not1_saveexec_b32 s3, s19
; %bb.36:                               ;   in Loop: Header=BB214_25 Depth=1
	v_mul_f32_e32 v4, 0x3f22f983, v33
	s_delay_alu instid0(VALU_DEP_1) | instskip(NEXT) | instid1(VALU_DEP_1)
	v_rndne_f32_e32 v4, v4
	v_fmamk_f32 v34, v4, 0xbfc90fda, v33
	v_cvt_i32_f32_e32 v35, v4
	s_delay_alu instid0(VALU_DEP_2) | instskip(NEXT) | instid1(VALU_DEP_1)
	v_fmac_f32_e32 v34, 0xb3a22168, v4
	v_fmac_f32_e32 v34, 0xa7c234c4, v4
; %bb.37:                               ;   in Loop: Header=BB214_25 Depth=1
	s_or_b32 exec_lo, exec_lo, s3
                                        ; implicit-def: $vgpr37
                                        ; implicit-def: $vgpr36
	s_delay_alu instid0(SALU_CYCLE_1)
	s_mov_b32 s4, exec_lo
	v_cmpx_ngt_f32_e32 0x48000000, v32
	s_xor_b32 s19, exec_lo, s4
	s_cbranch_execz .LBB214_39
; %bb.38:                               ;   in Loop: Header=BB214_25 Depth=1
	v_and_or_b32 v4, v32, s16, 0x800000
	v_dual_mov_b32 v47, v5 :: v_dual_mov_b32 v49, v5
	s_delay_alu instid0(VALU_DEP_2) | instskip(NEXT) | instid1(VALU_DEP_1)
	v_mul_u64_e32 v[36:37], s[8:9], v[4:5]
	v_dual_mov_b32 v39, v5 :: v_dual_mov_b32 v38, v37
	v_lshrrev_b32_e32 v37, 23, v32
	s_delay_alu instid0(VALU_DEP_2) | instskip(SKIP_1) | instid1(VALU_DEP_3)
	v_mad_nc_u64_u32 v[38:39], 0x3c439041, v4, v[38:39]
	v_mov_b32_e32 v41, v5
	v_add_nc_u32_e32 v37, 0xffffff88, v37
	s_delay_alu instid0(VALU_DEP_1) | instskip(NEXT) | instid1(VALU_DEP_4)
	v_cmp_lt_u32_e64 s3, 63, v37
	v_mov_b32_e32 v40, v39
	s_delay_alu instid0(VALU_DEP_2) | instskip(NEXT) | instid1(VALU_DEP_2)
	v_cndmask_b32_e64 v39, 0, 0xffffffc0, s3
	v_mad_nc_u64_u32 v[40:41], 0xdb629599, v4, v[40:41]
	s_delay_alu instid0(VALU_DEP_2) | instskip(NEXT) | instid1(VALU_DEP_1)
	v_dual_mov_b32 v43, v5 :: v_dual_add_nc_u32 v37, v39, v37
	v_cmp_lt_u32_e64 s4, 31, v37
	s_delay_alu instid0(VALU_DEP_3) | instskip(NEXT) | instid1(VALU_DEP_2)
	v_mov_b32_e32 v42, v41
	v_cndmask_b32_e64 v39, 0, 0xffffffe0, s4
	v_cndmask_b32_e64 v36, v40, v36, s3
	s_delay_alu instid0(VALU_DEP_3) | instskip(NEXT) | instid1(VALU_DEP_1)
	v_mad_nc_u64_u32 v[42:43], 0xf534ddc0, v4, v[42:43]
	v_dual_mov_b32 v45, v5 :: v_dual_mov_b32 v44, v43
	s_delay_alu instid0(VALU_DEP_1) | instskip(NEXT) | instid1(VALU_DEP_1)
	v_mad_nc_u64_u32 v[44:45], 0xfc2757d1, v4, v[44:45]
	v_mov_b32_e32 v46, v45
	s_delay_alu instid0(VALU_DEP_1) | instskip(NEXT) | instid1(VALU_DEP_1)
	v_mad_nc_u64_u32 v[46:47], 0x4e441529, v4, v[46:47]
	v_mov_b32_e32 v48, v47
	s_delay_alu instid0(VALU_DEP_1) | instskip(NEXT) | instid1(VALU_DEP_3)
	v_mad_nc_u64_u32 v[48:49], 0xa2f9836e, v4, v[48:49]
	v_dual_add_nc_u32 v4, v39, v37 :: v_dual_cndmask_b32 v39, v46, v42, s3
	s_delay_alu instid0(VALU_DEP_2) | instskip(NEXT) | instid1(VALU_DEP_2)
	v_cndmask_b32_e64 v41, v48, v44, s3
	v_cmp_lt_u32_e64 s5, 31, v4
	s_delay_alu instid0(VALU_DEP_4) | instskip(NEXT) | instid1(VALU_DEP_2)
	v_dual_cndmask_b32 v43, v49, v46, s3 :: v_dual_cndmask_b32 v44, v44, v40, s3
	v_cndmask_b32_e64 v37, 0, 0xffffffe0, s5
	s_delay_alu instid0(VALU_DEP_1) | instskip(NEXT) | instid1(VALU_DEP_3)
	v_dual_add_nc_u32 v4, v37, v4 :: v_dual_cndmask_b32 v37, v42, v38, s3
	v_dual_cndmask_b32 v38, v41, v39, s4 :: v_dual_cndmask_b32 v41, v43, v41, s4
	s_delay_alu instid0(VALU_DEP_4) | instskip(NEXT) | instid1(VALU_DEP_3)
	v_cndmask_b32_e64 v39, v39, v44, s4
	v_dual_sub_nc_u32 v42, 32, v4 :: v_dual_cndmask_b32 v43, v44, v37, s4
	v_cmp_eq_u32_e64 s3, 0, v4
	s_delay_alu instid0(VALU_DEP_3) | instskip(NEXT) | instid1(VALU_DEP_1)
	v_dual_cndmask_b32 v41, v41, v38, s5 :: v_dual_cndmask_b32 v38, v38, v39, s5
	v_alignbit_b32 v44, v41, v38, v42
	s_delay_alu instid0(VALU_DEP_1) | instskip(NEXT) | instid1(VALU_DEP_1)
	v_dual_cndmask_b32 v39, v39, v43, s5 :: v_dual_cndmask_b32 v4, v44, v41, s3
	v_alignbit_b32 v40, v38, v39, v42
	s_delay_alu instid0(VALU_DEP_1) | instskip(NEXT) | instid1(VALU_DEP_3)
	v_dual_cndmask_b32 v36, v37, v36, s4 :: v_dual_cndmask_b32 v37, v40, v38, s3
	v_bfe_u32 v38, v4, 29, 1
	s_delay_alu instid0(VALU_DEP_2) | instskip(NEXT) | instid1(VALU_DEP_3)
	v_cndmask_b32_e64 v36, v43, v36, s5
	v_alignbit_b32 v40, v4, v37, 30
	s_delay_alu instid0(VALU_DEP_3) | instskip(NEXT) | instid1(VALU_DEP_3)
	v_sub_nc_u32_e32 v41, 0, v38
	v_alignbit_b32 v42, v39, v36, v42
	s_delay_alu instid0(VALU_DEP_1) | instskip(NEXT) | instid1(VALU_DEP_1)
	v_dual_cndmask_b32 v39, v42, v39, s3 :: v_dual_bitop2_b32 v40, v40, v41 bitop3:0x14
	v_clz_i32_u32_e32 v42, v40
	s_delay_alu instid0(VALU_DEP_2) | instskip(SKIP_1) | instid1(VALU_DEP_3)
	v_alignbit_b32 v37, v37, v39, 30
	v_alignbit_b32 v36, v39, v36, 30
	v_min_u32_e32 v42, 32, v42
	s_delay_alu instid0(VALU_DEP_3) | instskip(NEXT) | instid1(VALU_DEP_3)
	v_xor_b32_e32 v37, v37, v41
	v_dual_lshrrev_b32 v41, 29, v4 :: v_dual_bitop2_b32 v36, v36, v41 bitop3:0x14
	s_delay_alu instid0(VALU_DEP_3) | instskip(NEXT) | instid1(VALU_DEP_1)
	v_dual_sub_nc_u32 v39, 31, v42 :: v_dual_lshlrev_b32 v43, 23, v42
	v_alignbit_b32 v40, v40, v37, v39
	s_delay_alu instid0(VALU_DEP_3) | instskip(NEXT) | instid1(VALU_DEP_4)
	v_alignbit_b32 v36, v37, v36, v39
	v_lshlrev_b32_e32 v37, 31, v41
	s_delay_alu instid0(VALU_DEP_2) | instskip(NEXT) | instid1(VALU_DEP_2)
	v_alignbit_b32 v39, v40, v36, 9
	v_dual_lshrrev_b32 v40, 9, v40 :: v_dual_bitop2_b32 v41, 0.5, v37 bitop3:0x54
	v_or_b32_e32 v37, 0x33000000, v37
	s_delay_alu instid0(VALU_DEP_3) | instskip(NEXT) | instid1(VALU_DEP_3)
	v_clz_i32_u32_e32 v44, v39
	v_sub_nc_u32_e32 v41, v41, v43
	s_delay_alu instid0(VALU_DEP_2) | instskip(NEXT) | instid1(VALU_DEP_1)
	v_min_u32_e32 v43, 32, v44
	v_add_lshl_u32 v42, v43, v42, 23
	s_delay_alu instid0(VALU_DEP_3) | instskip(SKIP_1) | instid1(VALU_DEP_2)
	v_or_b32_e32 v40, v40, v41
	v_not_b32_e32 v41, v43
	v_dual_mul_f32 v44, 0x3fc90fda, v40 :: v_dual_sub_nc_u32 v37, v37, v42
	s_delay_alu instid0(VALU_DEP_2) | instskip(NEXT) | instid1(VALU_DEP_2)
	v_alignbit_b32 v36, v39, v36, v41
	v_fma_f32 v39, 0x3fc90fda, v40, -v44
	s_delay_alu instid0(VALU_DEP_2) | instskip(NEXT) | instid1(VALU_DEP_2)
	v_lshrrev_b32_e32 v36, 9, v36
	v_fmac_f32_e32 v39, 0x33a22168, v40
	s_delay_alu instid0(VALU_DEP_2) | instskip(NEXT) | instid1(VALU_DEP_1)
	v_or_b32_e32 v36, v37, v36
	v_fmac_f32_e32 v39, 0x3fc90fda, v36
	s_delay_alu instid0(VALU_DEP_1) | instskip(NEXT) | instid1(VALU_DEP_1)
	v_dual_lshrrev_b32 v4, 30, v4 :: v_dual_add_f32 v36, v44, v39
	v_add_nc_u32_e32 v37, v38, v4
.LBB214_39:                             ;   in Loop: Header=BB214_25 Depth=1
	s_and_not1_saveexec_b32 s3, s19
; %bb.40:                               ;   in Loop: Header=BB214_25 Depth=1
	v_mul_f32_e32 v4, 0x3f22f983, v32
	s_delay_alu instid0(VALU_DEP_1) | instskip(NEXT) | instid1(VALU_DEP_1)
	v_rndne_f32_e32 v4, v4
	v_fmamk_f32 v36, v4, 0xbfc90fda, v32
	v_cvt_i32_f32_e32 v37, v4
	s_delay_alu instid0(VALU_DEP_2) | instskip(NEXT) | instid1(VALU_DEP_1)
	v_fmac_f32_e32 v36, 0xb3a22168, v4
	v_fmac_f32_e32 v36, 0xa7c234c4, v4
; %bb.41:                               ;   in Loop: Header=BB214_25 Depth=1
	s_or_b32 exec_lo, exec_lo, s3
                                        ; implicit-def: $vgpr39
                                        ; implicit-def: $vgpr38
	s_delay_alu instid0(SALU_CYCLE_1)
	s_mov_b32 s4, exec_lo
	v_cmpx_ngt_f32_e32 0x48000000, v30
	s_xor_b32 s19, exec_lo, s4
	s_cbranch_execz .LBB214_43
; %bb.42:                               ;   in Loop: Header=BB214_25 Depth=1
	v_and_or_b32 v4, v30, s16, 0x800000
	v_mov_b32_e32 v49, v5
	s_delay_alu instid0(VALU_DEP_2) | instskip(NEXT) | instid1(VALU_DEP_1)
	v_mul_u64_e32 v[38:39], s[8:9], v[4:5]
	v_dual_mov_b32 v41, v5 :: v_dual_mov_b32 v40, v39
	v_lshrrev_b32_e32 v39, 23, v30
	s_delay_alu instid0(VALU_DEP_2) | instskip(SKIP_1) | instid1(VALU_DEP_3)
	v_mad_nc_u64_u32 v[40:41], 0x3c439041, v4, v[40:41]
	v_mov_b32_e32 v43, v5
	v_add_nc_u32_e32 v39, 0xffffff88, v39
	s_delay_alu instid0(VALU_DEP_1) | instskip(NEXT) | instid1(VALU_DEP_4)
	v_cmp_lt_u32_e64 s3, 63, v39
	v_mov_b32_e32 v42, v41
	s_delay_alu instid0(VALU_DEP_2) | instskip(NEXT) | instid1(VALU_DEP_2)
	v_cndmask_b32_e64 v41, 0, 0xffffffc0, s3
	v_mad_nc_u64_u32 v[42:43], 0xdb629599, v4, v[42:43]
	s_delay_alu instid0(VALU_DEP_1) | instskip(NEXT) | instid1(VALU_DEP_2)
	v_dual_mov_b32 v45, v5 :: v_dual_mov_b32 v44, v43
	v_cndmask_b32_e64 v38, v42, v38, s3
	s_delay_alu instid0(VALU_DEP_2) | instskip(NEXT) | instid1(VALU_DEP_1)
	v_mad_nc_u64_u32 v[44:45], 0xf534ddc0, v4, v[44:45]
	v_dual_mov_b32 v47, v5 :: v_dual_mov_b32 v46, v45
	s_delay_alu instid0(VALU_DEP_1) | instskip(NEXT) | instid1(VALU_DEP_1)
	v_mad_nc_u64_u32 v[46:47], 0xfc2757d1, v4, v[46:47]
	v_mov_b32_e32 v48, v47
	s_delay_alu instid0(VALU_DEP_1) | instskip(SKIP_2) | instid1(VALU_DEP_2)
	v_mad_nc_u64_u32 v[48:49], 0x4e441529, v4, v[48:49]
	v_add_nc_u32_e32 v39, v41, v39
	v_mov_b32_e32 v51, v5
	v_cmp_lt_u32_e64 s4, 31, v39
	s_delay_alu instid0(VALU_DEP_4) | instskip(NEXT) | instid1(VALU_DEP_2)
	v_mov_b32_e32 v50, v49
	v_cndmask_b32_e64 v41, 0, 0xffffffe0, s4
	s_delay_alu instid0(VALU_DEP_2) | instskip(NEXT) | instid1(VALU_DEP_2)
	v_mad_nc_u64_u32 v[50:51], 0xa2f9836e, v4, v[50:51]
	v_dual_add_nc_u32 v4, v41, v39 :: v_dual_cndmask_b32 v41, v48, v44, s3
	s_delay_alu instid0(VALU_DEP_2) | instskip(NEXT) | instid1(VALU_DEP_2)
	v_cndmask_b32_e64 v43, v50, v46, s3
	v_cmp_lt_u32_e64 s5, 31, v4
	s_delay_alu instid0(VALU_DEP_4) | instskip(NEXT) | instid1(VALU_DEP_2)
	v_dual_cndmask_b32 v45, v51, v48, s3 :: v_dual_cndmask_b32 v46, v46, v42, s3
	v_cndmask_b32_e64 v39, 0, 0xffffffe0, s5
	s_delay_alu instid0(VALU_DEP_1) | instskip(SKIP_1) | instid1(VALU_DEP_4)
	v_add_nc_u32_e32 v4, v39, v4
	v_dual_cndmask_b32 v39, v44, v40, s3 :: v_dual_cndmask_b32 v40, v43, v41, s4
	v_cndmask_b32_e64 v43, v45, v43, s4
	s_delay_alu instid0(VALU_DEP_3) | instskip(NEXT) | instid1(VALU_DEP_3)
	v_dual_cndmask_b32 v41, v41, v46, s4 :: v_dual_sub_nc_u32 v44, 32, v4
	v_cndmask_b32_e64 v45, v46, v39, s4
	v_cmp_eq_u32_e64 s3, 0, v4
	s_delay_alu instid0(VALU_DEP_3) | instskip(NEXT) | instid1(VALU_DEP_1)
	v_dual_cndmask_b32 v43, v43, v40, s5 :: v_dual_cndmask_b32 v40, v40, v41, s5
	v_alignbit_b32 v46, v43, v40, v44
	s_delay_alu instid0(VALU_DEP_1) | instskip(NEXT) | instid1(VALU_DEP_1)
	v_dual_cndmask_b32 v41, v41, v45, s5 :: v_dual_cndmask_b32 v4, v46, v43, s3
	v_alignbit_b32 v42, v40, v41, v44
	s_delay_alu instid0(VALU_DEP_1) | instskip(NEXT) | instid1(VALU_DEP_3)
	v_dual_cndmask_b32 v38, v39, v38, s4 :: v_dual_cndmask_b32 v39, v42, v40, s3
	v_bfe_u32 v40, v4, 29, 1
	s_delay_alu instid0(VALU_DEP_2) | instskip(NEXT) | instid1(VALU_DEP_3)
	v_cndmask_b32_e64 v38, v45, v38, s5
	v_alignbit_b32 v42, v4, v39, 30
	s_delay_alu instid0(VALU_DEP_3) | instskip(NEXT) | instid1(VALU_DEP_3)
	v_sub_nc_u32_e32 v43, 0, v40
	v_alignbit_b32 v44, v41, v38, v44
	s_delay_alu instid0(VALU_DEP_1) | instskip(NEXT) | instid1(VALU_DEP_1)
	v_dual_cndmask_b32 v41, v44, v41, s3 :: v_dual_bitop2_b32 v42, v42, v43 bitop3:0x14
	v_clz_i32_u32_e32 v44, v42
	s_delay_alu instid0(VALU_DEP_2) | instskip(SKIP_1) | instid1(VALU_DEP_3)
	v_alignbit_b32 v39, v39, v41, 30
	v_alignbit_b32 v38, v41, v38, 30
	v_min_u32_e32 v44, 32, v44
	s_delay_alu instid0(VALU_DEP_3) | instskip(NEXT) | instid1(VALU_DEP_3)
	v_xor_b32_e32 v39, v39, v43
	v_dual_lshrrev_b32 v43, 29, v4 :: v_dual_bitop2_b32 v38, v38, v43 bitop3:0x14
	v_lshrrev_b32_e32 v4, 30, v4
	s_delay_alu instid0(VALU_DEP_4) | instskip(NEXT) | instid1(VALU_DEP_1)
	v_dual_sub_nc_u32 v41, 31, v44 :: v_dual_lshlrev_b32 v45, 23, v44
	v_alignbit_b32 v42, v42, v39, v41
	s_delay_alu instid0(VALU_DEP_4) | instskip(SKIP_1) | instid1(VALU_DEP_2)
	v_alignbit_b32 v38, v39, v38, v41
	v_lshlrev_b32_e32 v39, 31, v43
	v_alignbit_b32 v41, v42, v38, 9
	s_delay_alu instid0(VALU_DEP_2) | instskip(SKIP_1) | instid1(VALU_DEP_3)
	v_dual_lshrrev_b32 v42, 9, v42 :: v_dual_bitop2_b32 v43, 0.5, v39 bitop3:0x54
	v_or_b32_e32 v39, 0x33000000, v39
	v_clz_i32_u32_e32 v46, v41
	s_delay_alu instid0(VALU_DEP_3) | instskip(NEXT) | instid1(VALU_DEP_2)
	v_sub_nc_u32_e32 v43, v43, v45
	v_min_u32_e32 v45, 32, v46
	s_delay_alu instid0(VALU_DEP_1) | instskip(NEXT) | instid1(VALU_DEP_3)
	v_add_lshl_u32 v44, v45, v44, 23
	v_or_b32_e32 v42, v42, v43
	v_not_b32_e32 v43, v45
	s_delay_alu instid0(VALU_DEP_2) | instskip(NEXT) | instid1(VALU_DEP_2)
	v_dual_mul_f32 v46, 0x3fc90fda, v42 :: v_dual_sub_nc_u32 v39, v39, v44
	v_alignbit_b32 v38, v41, v38, v43
	s_delay_alu instid0(VALU_DEP_2) | instskip(NEXT) | instid1(VALU_DEP_2)
	v_fma_f32 v41, 0x3fc90fda, v42, -v46
	v_lshrrev_b32_e32 v38, 9, v38
	s_delay_alu instid0(VALU_DEP_2) | instskip(NEXT) | instid1(VALU_DEP_2)
	v_fmac_f32_e32 v41, 0x33a22168, v42
	v_dual_add_nc_u32 v39, v40, v4 :: v_dual_bitop2_b32 v38, v39, v38 bitop3:0x54
	s_delay_alu instid0(VALU_DEP_1) | instskip(NEXT) | instid1(VALU_DEP_1)
	v_fmac_f32_e32 v41, 0x3fc90fda, v38
	v_add_f32_e32 v38, v46, v41
.LBB214_43:                             ;   in Loop: Header=BB214_25 Depth=1
	s_and_not1_saveexec_b32 s3, s19
; %bb.44:                               ;   in Loop: Header=BB214_25 Depth=1
	v_mul_f32_e32 v4, 0x3f22f983, v30
	s_delay_alu instid0(VALU_DEP_1) | instskip(NEXT) | instid1(VALU_DEP_1)
	v_rndne_f32_e32 v4, v4
	v_fmamk_f32 v38, v4, 0xbfc90fda, v30
	v_cvt_i32_f32_e32 v39, v4
	s_delay_alu instid0(VALU_DEP_2) | instskip(NEXT) | instid1(VALU_DEP_1)
	v_fmac_f32_e32 v38, 0xb3a22168, v4
	v_fmac_f32_e32 v38, 0xa7c234c4, v4
; %bb.45:                               ;   in Loop: Header=BB214_25 Depth=1
	s_or_b32 exec_lo, exec_lo, s3
                                        ; implicit-def: $vgpr40
                                        ; implicit-def: $vgpr4
	s_delay_alu instid0(SALU_CYCLE_1)
	s_mov_b32 s4, exec_lo
	v_cmpx_ngt_f32_e32 0x48000000, v31
	s_xor_b32 s19, exec_lo, s4
	s_cbranch_execnz .LBB214_51
; %bb.46:                               ;   in Loop: Header=BB214_25 Depth=1
	s_and_not1_saveexec_b32 s3, s19
	s_cbranch_execnz .LBB214_52
.LBB214_47:                             ;   in Loop: Header=BB214_25 Depth=1
	s_or_b32 exec_lo, exec_lo, s3
	s_and_saveexec_b32 s3, s2
	s_delay_alu instid0(SALU_CYCLE_1)
	s_xor_b32 s3, exec_lo, s3
	s_cbranch_execnz .LBB214_53
.LBB214_48:                             ;   in Loop: Header=BB214_25 Depth=1
	s_or_b32 exec_lo, exec_lo, s3
	s_and_saveexec_b32 s2, s1
	s_cbranch_execnz .LBB214_54
.LBB214_49:                             ;   in Loop: Header=BB214_25 Depth=1
	s_or_b32 exec_lo, exec_lo, s2
	s_and_saveexec_b32 s1, s0
	s_cbranch_execnz .LBB214_55
.LBB214_50:                             ;   in Loop: Header=BB214_25 Depth=1
	s_or_b32 exec_lo, exec_lo, s1
	s_and_saveexec_b32 s0, vcc_lo
	s_cbranch_execz .LBB214_24
	s_branch .LBB214_56
.LBB214_51:                             ;   in Loop: Header=BB214_25 Depth=1
	v_and_or_b32 v4, v31, s16, 0x800000
	v_dual_mov_b32 v51, v5 :: v_dual_mov_b32 v53, v5
	s_delay_alu instid0(VALU_DEP_2) | instskip(NEXT) | instid1(VALU_DEP_1)
	v_mul_u64_e32 v[40:41], s[8:9], v[4:5]
	v_dual_mov_b32 v43, v5 :: v_dual_mov_b32 v42, v41
	v_lshrrev_b32_e32 v41, 23, v31
	s_delay_alu instid0(VALU_DEP_2) | instskip(SKIP_1) | instid1(VALU_DEP_3)
	v_mad_nc_u64_u32 v[42:43], 0x3c439041, v4, v[42:43]
	v_mov_b32_e32 v45, v5
	v_add_nc_u32_e32 v41, 0xffffff88, v41
	s_delay_alu instid0(VALU_DEP_1) | instskip(NEXT) | instid1(VALU_DEP_4)
	v_cmp_lt_u32_e64 s3, 63, v41
	v_mov_b32_e32 v44, v43
	s_delay_alu instid0(VALU_DEP_2) | instskip(NEXT) | instid1(VALU_DEP_2)
	v_cndmask_b32_e64 v43, 0, 0xffffffc0, s3
	v_mad_nc_u64_u32 v[44:45], 0xdb629599, v4, v[44:45]
	s_delay_alu instid0(VALU_DEP_2) | instskip(NEXT) | instid1(VALU_DEP_1)
	v_dual_mov_b32 v47, v5 :: v_dual_add_nc_u32 v41, v43, v41
	v_cmp_lt_u32_e64 s4, 31, v41
	s_delay_alu instid0(VALU_DEP_3) | instskip(NEXT) | instid1(VALU_DEP_2)
	v_mov_b32_e32 v46, v45
	v_cndmask_b32_e64 v43, 0, 0xffffffe0, s4
	v_cndmask_b32_e64 v40, v44, v40, s3
	s_delay_alu instid0(VALU_DEP_3) | instskip(NEXT) | instid1(VALU_DEP_1)
	v_mad_nc_u64_u32 v[46:47], 0xf534ddc0, v4, v[46:47]
	v_dual_mov_b32 v49, v5 :: v_dual_mov_b32 v48, v47
	s_delay_alu instid0(VALU_DEP_1) | instskip(NEXT) | instid1(VALU_DEP_1)
	v_mad_nc_u64_u32 v[48:49], 0xfc2757d1, v4, v[48:49]
	v_mov_b32_e32 v50, v49
	s_delay_alu instid0(VALU_DEP_1) | instskip(NEXT) | instid1(VALU_DEP_1)
	v_mad_nc_u64_u32 v[50:51], 0x4e441529, v4, v[50:51]
	v_mov_b32_e32 v52, v51
	s_delay_alu instid0(VALU_DEP_1) | instskip(NEXT) | instid1(VALU_DEP_3)
	v_mad_nc_u64_u32 v[52:53], 0xa2f9836e, v4, v[52:53]
	v_dual_add_nc_u32 v4, v43, v41 :: v_dual_cndmask_b32 v43, v50, v46, s3
	s_delay_alu instid0(VALU_DEP_2) | instskip(NEXT) | instid1(VALU_DEP_2)
	v_cndmask_b32_e64 v45, v52, v48, s3
	v_cmp_lt_u32_e64 s5, 31, v4
	s_delay_alu instid0(VALU_DEP_4) | instskip(NEXT) | instid1(VALU_DEP_2)
	v_dual_cndmask_b32 v47, v53, v50, s3 :: v_dual_cndmask_b32 v48, v48, v44, s3
	v_cndmask_b32_e64 v41, 0, 0xffffffe0, s5
	s_delay_alu instid0(VALU_DEP_1) | instskip(NEXT) | instid1(VALU_DEP_3)
	v_dual_add_nc_u32 v4, v41, v4 :: v_dual_cndmask_b32 v41, v46, v42, s3
	v_dual_cndmask_b32 v42, v45, v43, s4 :: v_dual_cndmask_b32 v45, v47, v45, s4
	s_delay_alu instid0(VALU_DEP_4) | instskip(NEXT) | instid1(VALU_DEP_3)
	v_cndmask_b32_e64 v43, v43, v48, s4
	v_dual_sub_nc_u32 v46, 32, v4 :: v_dual_cndmask_b32 v47, v48, v41, s4
	v_cmp_eq_u32_e64 s3, 0, v4
	s_delay_alu instid0(VALU_DEP_3) | instskip(NEXT) | instid1(VALU_DEP_1)
	v_dual_cndmask_b32 v45, v45, v42, s5 :: v_dual_cndmask_b32 v42, v42, v43, s5
	v_alignbit_b32 v48, v45, v42, v46
	s_delay_alu instid0(VALU_DEP_1) | instskip(NEXT) | instid1(VALU_DEP_1)
	v_dual_cndmask_b32 v43, v43, v47, s5 :: v_dual_cndmask_b32 v4, v48, v45, s3
	v_alignbit_b32 v44, v42, v43, v46
	s_delay_alu instid0(VALU_DEP_1) | instskip(NEXT) | instid1(VALU_DEP_3)
	v_dual_cndmask_b32 v40, v41, v40, s4 :: v_dual_cndmask_b32 v41, v44, v42, s3
	v_bfe_u32 v42, v4, 29, 1
	s_delay_alu instid0(VALU_DEP_2) | instskip(NEXT) | instid1(VALU_DEP_3)
	v_cndmask_b32_e64 v40, v47, v40, s5
	v_alignbit_b32 v44, v4, v41, 30
	s_delay_alu instid0(VALU_DEP_3) | instskip(NEXT) | instid1(VALU_DEP_3)
	v_sub_nc_u32_e32 v45, 0, v42
	v_alignbit_b32 v46, v43, v40, v46
	s_delay_alu instid0(VALU_DEP_1) | instskip(NEXT) | instid1(VALU_DEP_1)
	v_dual_cndmask_b32 v43, v46, v43, s3 :: v_dual_bitop2_b32 v44, v44, v45 bitop3:0x14
	v_clz_i32_u32_e32 v46, v44
	s_delay_alu instid0(VALU_DEP_2) | instskip(SKIP_1) | instid1(VALU_DEP_3)
	v_alignbit_b32 v41, v41, v43, 30
	v_alignbit_b32 v40, v43, v40, 30
	v_min_u32_e32 v46, 32, v46
	s_delay_alu instid0(VALU_DEP_3) | instskip(NEXT) | instid1(VALU_DEP_3)
	v_xor_b32_e32 v41, v41, v45
	v_dual_lshrrev_b32 v45, 29, v4 :: v_dual_bitop2_b32 v40, v40, v45 bitop3:0x14
	s_delay_alu instid0(VALU_DEP_3) | instskip(NEXT) | instid1(VALU_DEP_1)
	v_dual_sub_nc_u32 v43, 31, v46 :: v_dual_lshlrev_b32 v47, 23, v46
	v_alignbit_b32 v44, v44, v41, v43
	s_delay_alu instid0(VALU_DEP_3) | instskip(NEXT) | instid1(VALU_DEP_4)
	v_alignbit_b32 v40, v41, v40, v43
	v_lshlrev_b32_e32 v41, 31, v45
	s_delay_alu instid0(VALU_DEP_2) | instskip(NEXT) | instid1(VALU_DEP_2)
	v_alignbit_b32 v43, v44, v40, 9
	v_dual_lshrrev_b32 v44, 9, v44 :: v_dual_bitop2_b32 v45, 0.5, v41 bitop3:0x54
	v_or_b32_e32 v41, 0x33000000, v41
	s_delay_alu instid0(VALU_DEP_3) | instskip(NEXT) | instid1(VALU_DEP_3)
	v_clz_i32_u32_e32 v48, v43
	v_sub_nc_u32_e32 v45, v45, v47
	s_delay_alu instid0(VALU_DEP_2) | instskip(NEXT) | instid1(VALU_DEP_1)
	v_min_u32_e32 v47, 32, v48
	v_add_lshl_u32 v46, v47, v46, 23
	s_delay_alu instid0(VALU_DEP_3) | instskip(SKIP_1) | instid1(VALU_DEP_2)
	v_or_b32_e32 v44, v44, v45
	v_not_b32_e32 v45, v47
	v_dual_mul_f32 v48, 0x3fc90fda, v44 :: v_dual_sub_nc_u32 v41, v41, v46
	s_delay_alu instid0(VALU_DEP_2) | instskip(NEXT) | instid1(VALU_DEP_2)
	v_alignbit_b32 v40, v43, v40, v45
	v_fma_f32 v43, 0x3fc90fda, v44, -v48
	s_delay_alu instid0(VALU_DEP_2) | instskip(NEXT) | instid1(VALU_DEP_2)
	v_lshrrev_b32_e32 v40, 9, v40
	v_fmac_f32_e32 v43, 0x33a22168, v44
	s_delay_alu instid0(VALU_DEP_2) | instskip(NEXT) | instid1(VALU_DEP_1)
	v_or_b32_e32 v40, v41, v40
	v_fmac_f32_e32 v43, 0x3fc90fda, v40
	v_lshrrev_b32_e32 v40, 30, v4
	s_delay_alu instid0(VALU_DEP_1)
	v_dual_add_nc_u32 v40, v42, v40 :: v_dual_add_f32 v4, v48, v43
	s_and_not1_saveexec_b32 s3, s19
	s_cbranch_execz .LBB214_47
.LBB214_52:                             ;   in Loop: Header=BB214_25 Depth=1
	v_mul_f32_e32 v4, 0x3f22f983, v31
	s_delay_alu instid0(VALU_DEP_1) | instskip(NEXT) | instid1(VALU_DEP_1)
	v_rndne_f32_e32 v40, v4
	v_fmamk_f32 v4, v40, 0xbfc90fda, v31
	s_delay_alu instid0(VALU_DEP_1) | instskip(NEXT) | instid1(VALU_DEP_1)
	v_fmac_f32_e32 v4, 0xb3a22168, v40
	v_fmac_f32_e32 v4, 0xa7c234c4, v40
	v_cvt_i32_f32_e32 v40, v40
	s_or_b32 exec_lo, exec_lo, s3
	s_and_saveexec_b32 s3, s2
	s_delay_alu instid0(SALU_CYCLE_1)
	s_xor_b32 s3, exec_lo, s3
	s_cbranch_execz .LBB214_48
.LBB214_53:                             ;   in Loop: Header=BB214_25 Depth=1
	v_dual_mul_f32 v41, v34, v34 :: v_dual_bitop2_b32 v44, 1, v35 bitop3:0x40
	s_delay_alu instid0(VALU_DEP_1) | instskip(NEXT) | instid1(VALU_DEP_2)
	v_dual_fmaak_f32 v42, s17, v41, 0x3c0881c4 :: v_dual_lshlrev_b32 v35, 30, v35
	v_cmp_eq_u32_e64 s2, 0, v44
	s_delay_alu instid0(VALU_DEP_2) | instskip(NEXT) | instid1(VALU_DEP_1)
	v_fmaak_f32 v42, v41, v42, 0xbe2aaa9d
	v_dual_fmaak_f32 v43, s18, v41, 0xbab64f3b :: v_dual_mul_f32 v42, v41, v42
	s_delay_alu instid0(VALU_DEP_1) | instskip(NEXT) | instid1(VALU_DEP_1)
	v_dual_fmaak_f32 v43, v41, v43, 0x3d2aabf7 :: v_dual_fmac_f32 v34, v34, v42
	v_fmaak_f32 v43, v41, v43, 0xbf000004
	s_delay_alu instid0(VALU_DEP_1) | instskip(NEXT) | instid1(VALU_DEP_1)
	v_fma_f32 v41, v41, v43, 1.0
	v_cndmask_b32_e64 v34, -v34, v41, s2
	v_cmp_lg_f32_e64 s2, 0x7f800000, v33
	s_delay_alu instid0(VALU_DEP_2) | instskip(SKIP_1) | instid1(VALU_DEP_2)
	v_bitop3_b32 v41, v35, v34, 0x80000000 bitop3:0x6c
	v_add_nc_u64_e32 v[34:35], s[6:7], v[10:11]
	v_cndmask_b32_e64 v33, 0x7fc00000, v41, s2
	global_store_b32 v[34:35], v33, off
	s_wait_xcnt 0x0
	s_or_b32 exec_lo, exec_lo, s3
	s_and_saveexec_b32 s2, s1
	s_cbranch_execz .LBB214_49
.LBB214_54:                             ;   in Loop: Header=BB214_25 Depth=1
	v_dual_mul_f32 v33, v36, v36 :: v_dual_bitop2_b32 v41, 1, v37 bitop3:0x40
	s_delay_alu instid0(VALU_DEP_1) | instskip(NEXT) | instid1(VALU_DEP_2)
	v_fmaak_f32 v34, s17, v33, 0x3c0881c4
	v_cmp_eq_u32_e64 s1, 0, v41
	s_delay_alu instid0(VALU_DEP_2) | instskip(NEXT) | instid1(VALU_DEP_1)
	v_fmaak_f32 v34, v33, v34, 0xbe2aaa9d
	v_dual_fmaak_f32 v35, s18, v33, 0xbab64f3b :: v_dual_mul_f32 v34, v33, v34
	s_delay_alu instid0(VALU_DEP_1) | instskip(NEXT) | instid1(VALU_DEP_1)
	v_dual_fmaak_f32 v35, v33, v35, 0x3d2aabf7 :: v_dual_fmac_f32 v36, v36, v34
	v_dual_fmaak_f32 v35, v33, v35, 0xbf000004 :: v_dual_lshlrev_b32 v34, 30, v37
	s_delay_alu instid0(VALU_DEP_1) | instskip(NEXT) | instid1(VALU_DEP_1)
	v_fma_f32 v33, v33, v35, 1.0
	v_cndmask_b32_e64 v33, -v36, v33, s1
	v_cmp_lg_f32_e64 s1, 0x7f800000, v32
	s_delay_alu instid0(VALU_DEP_2) | instskip(SKIP_1) | instid1(VALU_DEP_2)
	v_bitop3_b32 v33, v34, v33, 0x80000000 bitop3:0x6c
	v_add_nc_u64_e32 v[34:35], s[6:7], v[28:29]
	v_cndmask_b32_e64 v32, 0x7fc00000, v33, s1
	global_store_b32 v[34:35], v32, off
	s_wait_xcnt 0x0
	s_or_b32 exec_lo, exec_lo, s2
	s_and_saveexec_b32 s1, s0
	s_cbranch_execz .LBB214_50
.LBB214_55:                             ;   in Loop: Header=BB214_25 Depth=1
	v_dual_mul_f32 v32, v38, v38 :: v_dual_bitop2_b32 v35, 1, v39 bitop3:0x40
	s_delay_alu instid0(VALU_DEP_1) | instskip(NEXT) | instid1(VALU_DEP_2)
	v_fmaak_f32 v33, s17, v32, 0x3c0881c4
	v_cmp_eq_u32_e64 s0, 0, v35
	s_delay_alu instid0(VALU_DEP_2) | instskip(NEXT) | instid1(VALU_DEP_1)
	v_fmaak_f32 v33, v32, v33, 0xbe2aaa9d
	v_dual_fmaak_f32 v34, s18, v32, 0xbab64f3b :: v_dual_mul_f32 v33, v32, v33
	s_delay_alu instid0(VALU_DEP_1) | instskip(NEXT) | instid1(VALU_DEP_2)
	v_fmaak_f32 v34, v32, v34, 0x3d2aabf7
	v_dual_fmac_f32 v38, v38, v33 :: v_dual_lshlrev_b32 v33, 30, v39
	s_delay_alu instid0(VALU_DEP_2) | instskip(NEXT) | instid1(VALU_DEP_1)
	v_fmaak_f32 v34, v32, v34, 0xbf000004
	v_fma_f32 v32, v32, v34, 1.0
	s_delay_alu instid0(VALU_DEP_1) | instskip(SKIP_1) | instid1(VALU_DEP_2)
	v_cndmask_b32_e64 v32, -v38, v32, s0
	v_cmp_lg_f32_e64 s0, 0x7f800000, v30
	v_bitop3_b32 v34, v33, v32, 0x80000000 bitop3:0x6c
	v_add_nc_u64_e32 v[32:33], s[6:7], v[20:21]
	s_delay_alu instid0(VALU_DEP_2)
	v_cndmask_b32_e64 v30, 0x7fc00000, v34, s0
	global_store_b32 v[32:33], v30, off
	s_wait_xcnt 0x0
	s_or_b32 exec_lo, exec_lo, s1
	s_and_saveexec_b32 s0, vcc_lo
	s_cbranch_execz .LBB214_24
.LBB214_56:                             ;   in Loop: Header=BB214_25 Depth=1
	v_mul_f32_e32 v30, v4, v4
	s_delay_alu instid0(VALU_DEP_1) | instskip(NEXT) | instid1(VALU_DEP_1)
	v_fmaak_f32 v32, s17, v30, 0x3c0881c4
	v_fmaak_f32 v32, v30, v32, 0xbe2aaa9d
	s_delay_alu instid0(VALU_DEP_1) | instskip(NEXT) | instid1(VALU_DEP_1)
	v_dual_fmaak_f32 v33, s18, v30, 0xbab64f3b :: v_dual_mul_f32 v32, v30, v32
	v_dual_fmaak_f32 v33, v30, v33, 0x3d2aabf7 :: v_dual_fmac_f32 v4, v4, v32
	s_delay_alu instid0(VALU_DEP_1) | instskip(NEXT) | instid1(VALU_DEP_1)
	v_fmaak_f32 v33, v30, v33, 0xbf000004
	v_fma_f32 v30, v30, v33, 1.0
	v_and_b32_e32 v34, 1, v40
	v_add_nc_u64_e32 v[32:33], s[6:7], v[24:25]
	s_delay_alu instid0(VALU_DEP_2) | instskip(NEXT) | instid1(VALU_DEP_4)
	v_cmp_eq_u32_e32 vcc_lo, 0, v34
	v_dual_cndmask_b32 v4, -v4, v30, vcc_lo :: v_dual_lshlrev_b32 v30, 30, v40
	v_cmp_lg_f32_e32 vcc_lo, 0x7f800000, v31
	s_delay_alu instid0(VALU_DEP_2) | instskip(NEXT) | instid1(VALU_DEP_1)
	v_bitop3_b32 v4, v30, v4, 0x80000000 bitop3:0x6c
	v_cndmask_b32_e32 v4, 0x7fc00000, v4, vcc_lo
	global_store_b32 v[32:33], v4, off
	s_branch .LBB214_24
.LBB214_57:
	s_endpgm
	.section	.rodata,"a",@progbits
	.p2align	6, 0x0
	.amdhsa_kernel _ZN2at6native12_GLOBAL__N_125multi_tensor_apply_kernelINS1_18TensorListMetadataILi2EEENS1_14UnaryOpFunctorIfLi2ELi1ELi1EEEJNS0_3CosIfEEEEEvT_T0_DpT1_
		.amdhsa_group_segment_fixed_size 0
		.amdhsa_private_segment_fixed_size 0
		.amdhsa_kernarg_size 3408
		.amdhsa_user_sgpr_count 2
		.amdhsa_user_sgpr_dispatch_ptr 0
		.amdhsa_user_sgpr_queue_ptr 0
		.amdhsa_user_sgpr_kernarg_segment_ptr 1
		.amdhsa_user_sgpr_dispatch_id 0
		.amdhsa_user_sgpr_kernarg_preload_length 0
		.amdhsa_user_sgpr_kernarg_preload_offset 0
		.amdhsa_user_sgpr_private_segment_size 0
		.amdhsa_wavefront_size32 1
		.amdhsa_uses_dynamic_stack 0
		.amdhsa_enable_private_segment 0
		.amdhsa_system_sgpr_workgroup_id_x 1
		.amdhsa_system_sgpr_workgroup_id_y 0
		.amdhsa_system_sgpr_workgroup_id_z 0
		.amdhsa_system_sgpr_workgroup_info 0
		.amdhsa_system_vgpr_workitem_id 0
		.amdhsa_next_free_vgpr 54
		.amdhsa_next_free_sgpr 24
		.amdhsa_named_barrier_count 0
		.amdhsa_reserve_vcc 1
		.amdhsa_float_round_mode_32 0
		.amdhsa_float_round_mode_16_64 0
		.amdhsa_float_denorm_mode_32 3
		.amdhsa_float_denorm_mode_16_64 3
		.amdhsa_fp16_overflow 0
		.amdhsa_memory_ordered 1
		.amdhsa_forward_progress 1
		.amdhsa_inst_pref_size 68
		.amdhsa_round_robin_scheduling 0
		.amdhsa_exception_fp_ieee_invalid_op 0
		.amdhsa_exception_fp_denorm_src 0
		.amdhsa_exception_fp_ieee_div_zero 0
		.amdhsa_exception_fp_ieee_overflow 0
		.amdhsa_exception_fp_ieee_underflow 0
		.amdhsa_exception_fp_ieee_inexact 0
		.amdhsa_exception_int_div_zero 0
	.end_amdhsa_kernel
	.section	.text._ZN2at6native12_GLOBAL__N_125multi_tensor_apply_kernelINS1_18TensorListMetadataILi2EEENS1_14UnaryOpFunctorIfLi2ELi1ELi1EEEJNS0_3CosIfEEEEEvT_T0_DpT1_,"axG",@progbits,_ZN2at6native12_GLOBAL__N_125multi_tensor_apply_kernelINS1_18TensorListMetadataILi2EEENS1_14UnaryOpFunctorIfLi2ELi1ELi1EEEJNS0_3CosIfEEEEEvT_T0_DpT1_,comdat
.Lfunc_end214:
	.size	_ZN2at6native12_GLOBAL__N_125multi_tensor_apply_kernelINS1_18TensorListMetadataILi2EEENS1_14UnaryOpFunctorIfLi2ELi1ELi1EEEJNS0_3CosIfEEEEEvT_T0_DpT1_, .Lfunc_end214-_ZN2at6native12_GLOBAL__N_125multi_tensor_apply_kernelINS1_18TensorListMetadataILi2EEENS1_14UnaryOpFunctorIfLi2ELi1ELi1EEEJNS0_3CosIfEEEEEvT_T0_DpT1_
                                        ; -- End function
	.set _ZN2at6native12_GLOBAL__N_125multi_tensor_apply_kernelINS1_18TensorListMetadataILi2EEENS1_14UnaryOpFunctorIfLi2ELi1ELi1EEEJNS0_3CosIfEEEEEvT_T0_DpT1_.num_vgpr, 54
	.set _ZN2at6native12_GLOBAL__N_125multi_tensor_apply_kernelINS1_18TensorListMetadataILi2EEENS1_14UnaryOpFunctorIfLi2ELi1ELi1EEEJNS0_3CosIfEEEEEvT_T0_DpT1_.num_agpr, 0
	.set _ZN2at6native12_GLOBAL__N_125multi_tensor_apply_kernelINS1_18TensorListMetadataILi2EEENS1_14UnaryOpFunctorIfLi2ELi1ELi1EEEJNS0_3CosIfEEEEEvT_T0_DpT1_.numbered_sgpr, 24
	.set _ZN2at6native12_GLOBAL__N_125multi_tensor_apply_kernelINS1_18TensorListMetadataILi2EEENS1_14UnaryOpFunctorIfLi2ELi1ELi1EEEJNS0_3CosIfEEEEEvT_T0_DpT1_.num_named_barrier, 0
	.set _ZN2at6native12_GLOBAL__N_125multi_tensor_apply_kernelINS1_18TensorListMetadataILi2EEENS1_14UnaryOpFunctorIfLi2ELi1ELi1EEEJNS0_3CosIfEEEEEvT_T0_DpT1_.private_seg_size, 0
	.set _ZN2at6native12_GLOBAL__N_125multi_tensor_apply_kernelINS1_18TensorListMetadataILi2EEENS1_14UnaryOpFunctorIfLi2ELi1ELi1EEEJNS0_3CosIfEEEEEvT_T0_DpT1_.uses_vcc, 1
	.set _ZN2at6native12_GLOBAL__N_125multi_tensor_apply_kernelINS1_18TensorListMetadataILi2EEENS1_14UnaryOpFunctorIfLi2ELi1ELi1EEEJNS0_3CosIfEEEEEvT_T0_DpT1_.uses_flat_scratch, 0
	.set _ZN2at6native12_GLOBAL__N_125multi_tensor_apply_kernelINS1_18TensorListMetadataILi2EEENS1_14UnaryOpFunctorIfLi2ELi1ELi1EEEJNS0_3CosIfEEEEEvT_T0_DpT1_.has_dyn_sized_stack, 0
	.set _ZN2at6native12_GLOBAL__N_125multi_tensor_apply_kernelINS1_18TensorListMetadataILi2EEENS1_14UnaryOpFunctorIfLi2ELi1ELi1EEEJNS0_3CosIfEEEEEvT_T0_DpT1_.has_recursion, 0
	.set _ZN2at6native12_GLOBAL__N_125multi_tensor_apply_kernelINS1_18TensorListMetadataILi2EEENS1_14UnaryOpFunctorIfLi2ELi1ELi1EEEJNS0_3CosIfEEEEEvT_T0_DpT1_.has_indirect_call, 0
	.section	.AMDGPU.csdata,"",@progbits
; Kernel info:
; codeLenInByte = 8688
; TotalNumSgprs: 26
; NumVgprs: 54
; ScratchSize: 0
; MemoryBound: 0
; FloatMode: 240
; IeeeMode: 1
; LDSByteSize: 0 bytes/workgroup (compile time only)
; SGPRBlocks: 0
; VGPRBlocks: 3
; NumSGPRsForWavesPerEU: 26
; NumVGPRsForWavesPerEU: 54
; NamedBarCnt: 0
; Occupancy: 16
; WaveLimiterHint : 0
; COMPUTE_PGM_RSRC2:SCRATCH_EN: 0
; COMPUTE_PGM_RSRC2:USER_SGPR: 2
; COMPUTE_PGM_RSRC2:TRAP_HANDLER: 0
; COMPUTE_PGM_RSRC2:TGID_X_EN: 1
; COMPUTE_PGM_RSRC2:TGID_Y_EN: 0
; COMPUTE_PGM_RSRC2:TGID_Z_EN: 0
; COMPUTE_PGM_RSRC2:TIDIG_COMP_CNT: 0
	.section	.text._ZN2at6native12_GLOBAL__N_125multi_tensor_apply_kernelINS1_18TensorListMetadataILi2EEENS1_14UnaryOpFunctorIN3c107complexIdEELi2ELi1ELi1EEEJNS0_3CosIS8_EEEEEvT_T0_DpT1_,"axG",@progbits,_ZN2at6native12_GLOBAL__N_125multi_tensor_apply_kernelINS1_18TensorListMetadataILi2EEENS1_14UnaryOpFunctorIN3c107complexIdEELi2ELi1ELi1EEEJNS0_3CosIS8_EEEEEvT_T0_DpT1_,comdat
	.globl	_ZN2at6native12_GLOBAL__N_125multi_tensor_apply_kernelINS1_18TensorListMetadataILi2EEENS1_14UnaryOpFunctorIN3c107complexIdEELi2ELi1ELi1EEEJNS0_3CosIS8_EEEEEvT_T0_DpT1_ ; -- Begin function _ZN2at6native12_GLOBAL__N_125multi_tensor_apply_kernelINS1_18TensorListMetadataILi2EEENS1_14UnaryOpFunctorIN3c107complexIdEELi2ELi1ELi1EEEJNS0_3CosIS8_EEEEEvT_T0_DpT1_
	.p2align	8
	.type	_ZN2at6native12_GLOBAL__N_125multi_tensor_apply_kernelINS1_18TensorListMetadataILi2EEENS1_14UnaryOpFunctorIN3c107complexIdEELi2ELi1ELi1EEEJNS0_3CosIS8_EEEEEvT_T0_DpT1_,@function
_ZN2at6native12_GLOBAL__N_125multi_tensor_apply_kernelINS1_18TensorListMetadataILi2EEENS1_14UnaryOpFunctorIN3c107complexIdEELi2ELi1ELi1EEEJNS0_3CosIS8_EEEEEvT_T0_DpT1_: ; @_ZN2at6native12_GLOBAL__N_125multi_tensor_apply_kernelINS1_18TensorListMetadataILi2EEENS1_14UnaryOpFunctorIN3c107complexIdEELi2ELi1ELi1EEEJNS0_3CosIS8_EEEEEvT_T0_DpT1_
; %bb.0:
	s_mov_b64 s[10:11], s[0:1]
	s_bfe_u32 s0, ttmp6, 0x4000c
	s_and_b32 s1, ttmp6, 15
	s_add_co_i32 s0, s0, 1
	s_getreg_b32 s2, hwreg(HW_REG_IB_STS2, 6, 4)
	s_mul_i32 s0, ttmp9, s0
	v_mov_b32_e32 v60, v0
	s_add_co_i32 s1, s1, s0
	s_cmp_eq_u32 s2, 0
	s_mov_b32 s32, 0
	s_cselect_b32 s0, ttmp9, s1
	s_mov_b32 s1, 0
	s_load_u8 s14, s[10:11], s0 offset:0x600
	s_add_nc_u64 s[2:3], s[10:11], s[0:1]
	s_mul_u64 s[4:5], s[0:1], 3
	s_delay_alu instid0(SALU_CYCLE_1)
	s_add_nc_u64 s[2:3], s[2:3], s[4:5]
	s_load_b32 s4, s[2:3], 0x740
	s_wait_kmcnt 0x0
	s_clause 0x2
	s_load_b64 s[6:7], s[10:11], s14 offset:0x0 scale_offset
	s_load_b64 s[8:9], s[10:11], s14 offset:0x200 scale_offset
	;; [unrolled: 1-line block ×3, first 2 shown]
	s_ashr_i32 s5, s4, 31
	s_delay_alu instid0(SALU_CYCLE_1)
	s_lshl_b64 s[2:3], s[4:5], 20
	s_lshl_b64 s[4:5], s[4:5], 16
	s_wait_kmcnt 0x0
	s_add_nc_u64 s[16:17], s[8:9], s[2:3]
	s_add_nc_u64 s[14:15], s[6:7], s[2:3]
	s_and_b32 s2, s12, 3
	s_and_b64 s[6:7], s[16:17], 63
	s_mov_b32 s3, s1
	s_and_b32 s0, s14, 63
	s_or_b64 s[2:3], s[6:7], s[2:3]
	s_sub_nc_u64 s[12:13], s[12:13], s[4:5]
	s_or_b64 s[0:1], s[2:3], s[0:1]
	s_delay_alu instid0(SALU_CYCLE_1)
	s_cmp_eq_u64 s[0:1], 0
	s_mov_b32 s0, -1
	s_cbranch_scc0 .LBB215_5
; %bb.1:
	v_min_i64 v[62:63], 0x10000, s[12:13]
	v_dual_mov_b32 v77, 0 :: v_dual_lshlrev_b32 v76, 2, v60
	s_mov_b32 s28, exec_lo
	s_delay_alu instid0(VALU_DEP_1)
	v_cmpx_lt_i64_e64 v[76:77], v[62:63]
	s_cbranch_execz .LBB215_4
; %bb.2:
	s_load_b32 s0, s[10:11], 0xc5c
	v_dual_mov_b32 v61, v77 :: v_dual_lshlrev_b32 v76, 6, v60
	s_mov_b32 s19, 0
	s_mov_b64 s[22:23], s[14:15]
	s_mov_b32 s25, s19
	s_delay_alu instid0(VALU_DEP_1)
	v_mov_b64_e32 v[78:79], v[60:61]
	s_mov_b32 s29, s19
	s_mov_b64 s[26:27], s[16:17]
	s_get_pc_i64 s[20:21]
	s_add_nc_u64 s[20:21], s[20:21], _ZN6thrust23THRUST_200600_302600_NS6detail7complex5ccoshERKNS0_7complexIdEE@rel64+4
	s_wait_kmcnt 0x0
	s_and_b32 s18, s0, 0xffff
	s_delay_alu instid0(SALU_CYCLE_1)
	s_lshl_b32 s24, s18, 6
.LBB215_3:                              ; =>This Inner Loop Header: Depth=1
	v_add_nc_u64_e32 v[0:1], s[22:23], v[76:77]
	s_clause 0x3
	global_load_b128 v[2:5], v[0:1], off
	global_load_b128 v[40:43], v[0:1], off offset:16
	global_load_b128 v[44:47], v[0:1], off offset:48
	;; [unrolled: 1-line block ×3, first 2 shown]
	s_wait_loadcnt 0x3
	s_wait_xcnt 0x0
	v_xor_b32_e32 v1, 0x80000000, v5
	v_mov_b32_e32 v0, v4
	s_swap_pc_i64 s[30:31], s[20:21]
	s_delay_alu instid0(VALU_DEP_1)
	v_dual_mov_b32 v72, v0 :: v_dual_mov_b32 v73, v1
	v_dual_mov_b32 v74, v2 :: v_dual_mov_b32 v75, v3
	v_xor_b32_e32 v1, 0x80000000, v43
	v_dual_mov_b32 v0, v42 :: v_dual_mov_b32 v2, v40
	v_mov_b32_e32 v3, v41
	s_swap_pc_i64 s[30:31], s[20:21]
	s_delay_alu instid0(VALU_DEP_2) | instskip(NEXT) | instid1(VALU_DEP_2)
	v_dual_mov_b32 v40, v0 :: v_dual_mov_b32 v41, v1
	v_dual_mov_b32 v42, v2 :: v_dual_mov_b32 v43, v3
	v_xor_b32_e32 v1, 0x80000000, v59
	v_dual_mov_b32 v0, v58 :: v_dual_mov_b32 v2, v56
	v_mov_b32_e32 v3, v57
	s_swap_pc_i64 s[30:31], s[20:21]
	s_delay_alu instid0(VALU_DEP_2) | instskip(NEXT) | instid1(VALU_DEP_2)
	v_dual_mov_b32 v56, v0 :: v_dual_mov_b32 v57, v1
	v_dual_mov_b32 v58, v2 :: v_dual_mov_b32 v59, v3
	v_xor_b32_e32 v1, 0x80000000, v47
	v_dual_mov_b32 v0, v46 :: v_dual_mov_b32 v2, v44
	v_mov_b32_e32 v3, v45
	s_swap_pc_i64 s[30:31], s[20:21]
	v_add_nc_u64_e32 v[78:79], s[18:19], v[78:79]
	s_add_nc_u64 s[22:23], s[22:23], s[24:25]
	s_delay_alu instid0(VALU_DEP_1) | instskip(NEXT) | instid1(VALU_DEP_1)
	v_lshlrev_b64_e32 v[4:5], 2, v[78:79]
	v_cmp_ge_i64_e32 vcc_lo, v[4:5], v[62:63]
	v_add_nc_u64_e32 v[4:5], s[26:27], v[76:77]
	s_add_nc_u64 s[26:27], s[26:27], s[24:25]
	s_clause 0x1
	global_store_b128 v[4:5], v[72:75], off
	global_store_b128 v[4:5], v[40:43], off offset:16
	s_or_b32 s29, vcc_lo, s29
	s_clause 0x1
	global_store_b128 v[4:5], v[56:59], off offset:32
	global_store_b128 v[4:5], v[0:3], off offset:48
	s_wait_xcnt 0x0
	s_and_not1_b32 exec_lo, exec_lo, s29
	s_cbranch_execnz .LBB215_3
.LBB215_4:
	s_or_b32 exec_lo, exec_lo, s28
	s_mov_b32 s0, 0
.LBB215_5:
	s_delay_alu instid0(SALU_CYCLE_1)
	s_and_not1_b32 vcc_lo, exec_lo, s0
	s_cbranch_vccnz .LBB215_25
; %bb.6:
	v_cmp_lt_i64_e64 s0, s[12:13], 1
	s_and_b32 vcc_lo, exec_lo, s0
	s_cbranch_vccnz .LBB215_25
; %bb.7:
	v_min_i64 v[62:63], 0x10000, s[12:13]
	v_min_u64 v[72:73], 0x10000, s[12:13]
	s_load_b32 s0, s[10:11], 0xc5c
	v_mov_b32_e32 v61, 0
	s_mov_b32 s19, 0
	s_mov_b64 s[28:29], 0
	s_mov_b32 s21, s19
	s_mov_b32 s23, s19
	s_mov_b32 s27, s19
	s_get_pc_i64 s[24:25]
	s_add_nc_u64 s[24:25], s[24:25], _ZN6thrust23THRUST_200600_302600_NS6detail7complex5ccoshERKNS0_7complexIdEE@rel64+4
	s_wait_kmcnt 0x0
	s_and_b32 s18, s0, 0xffff
	s_delay_alu instid0(SALU_CYCLE_1)
	s_lshl_b32 s20, s18, 1
	s_mul_i32 s22, s18, 3
	s_lshl_b32 s26, s18, 2
	s_branch .LBB215_9
.LBB215_8:                              ;   in Loop: Header=BB215_9 Depth=1
	s_wait_xcnt 0x0
	s_or_b32 exec_lo, exec_lo, s11
	s_add_nc_u64 s[28:29], s[28:29], s[26:27]
	s_delay_alu instid0(SALU_CYCLE_1)
	v_cmp_ge_i64_e32 vcc_lo, s[28:29], v[62:63]
	s_cbranch_vccnz .LBB215_25
.LBB215_9:                              ; =>This Inner Loop Header: Depth=1
	v_add_nc_u64_e32 v[84:85], s[28:29], v[60:61]
	s_wait_loadcnt 0x0
	v_mov_b64_e32 v[46:47], 0
	v_mov_b64_e32 v[4:5], 0
	;; [unrolled: 1-line block ×3, first 2 shown]
	s_delay_alu instid0(VALU_DEP_4)
	v_cmp_lt_u64_e32 vcc_lo, v[84:85], v[72:73]
	s_and_saveexec_b32 s0, vcc_lo
	s_cbranch_execz .LBB215_11
; %bb.10:                               ;   in Loop: Header=BB215_9 Depth=1
	v_lshl_add_u64 v[0:1], v[84:85], 4, s[14:15]
	global_load_b128 v[2:5], v[0:1], off
.LBB215_11:                             ;   in Loop: Header=BB215_9 Depth=1
	s_wait_xcnt 0x0
	s_or_b32 exec_lo, exec_lo, s0
	v_add_nc_u64_e32 v[78:79], s[18:19], v[84:85]
	v_mov_b64_e32 v[44:45], 0
	s_delay_alu instid0(VALU_DEP_2)
	v_cmp_lt_u64_e64 s12, v[78:79], v[72:73]
	s_and_saveexec_b32 s0, s12
	s_cbranch_execz .LBB215_13
; %bb.12:                               ;   in Loop: Header=BB215_9 Depth=1
	v_lshl_add_u64 v[0:1], v[78:79], 4, s[14:15]
	global_load_b128 v[44:47], v[0:1], off
.LBB215_13:                             ;   in Loop: Header=BB215_9 Depth=1
	s_wait_xcnt 0x0
	s_or_b32 exec_lo, exec_lo, s0
	v_add_nc_u64_e32 v[76:77], s[20:21], v[84:85]
	v_mov_b64_e32 v[42:43], 0
	v_mov_b64_e32 v[58:59], 0
	;; [unrolled: 1-line block ×3, first 2 shown]
	s_delay_alu instid0(VALU_DEP_4)
	v_cmp_lt_u64_e64 s11, v[76:77], v[72:73]
	s_and_saveexec_b32 s0, s11
	s_cbranch_execz .LBB215_15
; %bb.14:                               ;   in Loop: Header=BB215_9 Depth=1
	v_lshl_add_u64 v[0:1], v[76:77], 4, s[14:15]
	global_load_b128 v[56:59], v[0:1], off
.LBB215_15:                             ;   in Loop: Header=BB215_9 Depth=1
	s_wait_xcnt 0x0
	s_or_b32 exec_lo, exec_lo, s0
	v_add_nc_u64_e32 v[74:75], s[22:23], v[84:85]
	v_mov_b64_e32 v[40:41], 0
	s_delay_alu instid0(VALU_DEP_2)
	v_cmp_lt_u64_e64 s10, v[74:75], v[72:73]
	s_and_saveexec_b32 s0, s10
	s_cbranch_execnz .LBB215_20
; %bb.16:                               ;   in Loop: Header=BB215_9 Depth=1
	s_or_b32 exec_lo, exec_lo, s0
	s_and_saveexec_b32 s13, vcc_lo
	s_cbranch_execnz .LBB215_21
.LBB215_17:                             ;   in Loop: Header=BB215_9 Depth=1
	s_or_b32 exec_lo, exec_lo, s13
	s_and_saveexec_b32 s13, s12
	s_cbranch_execnz .LBB215_22
.LBB215_18:                             ;   in Loop: Header=BB215_9 Depth=1
	s_or_b32 exec_lo, exec_lo, s13
	s_and_saveexec_b32 s12, s11
	s_cbranch_execnz .LBB215_23
.LBB215_19:                             ;   in Loop: Header=BB215_9 Depth=1
	s_or_b32 exec_lo, exec_lo, s12
	s_and_saveexec_b32 s11, s10
	s_cbranch_execz .LBB215_8
	s_branch .LBB215_24
.LBB215_20:                             ;   in Loop: Header=BB215_9 Depth=1
	v_lshl_add_u64 v[0:1], v[74:75], 4, s[14:15]
	global_load_b128 v[40:43], v[0:1], off
	s_wait_xcnt 0x0
	s_or_b32 exec_lo, exec_lo, s0
	s_and_saveexec_b32 s13, vcc_lo
	s_cbranch_execz .LBB215_17
.LBB215_21:                             ;   in Loop: Header=BB215_9 Depth=1
	s_wait_loadcnt 0x0
	v_xor_b32_e32 v1, 0x80000000, v5
	v_mov_b32_e32 v0, v4
	s_swap_pc_i64 s[30:31], s[24:25]
	v_lshl_add_u64 v[4:5], v[84:85], 4, s[16:17]
	global_store_b128 v[4:5], v[0:3], off
	s_wait_xcnt 0x0
	s_or_b32 exec_lo, exec_lo, s13
	s_and_saveexec_b32 s13, s12
	s_cbranch_execz .LBB215_18
.LBB215_22:                             ;   in Loop: Header=BB215_9 Depth=1
	s_wait_loadcnt 0x0
	v_xor_b32_e32 v1, 0x80000000, v47
	v_dual_mov_b32 v0, v46 :: v_dual_mov_b32 v2, v44
	v_mov_b32_e32 v3, v45
	s_swap_pc_i64 s[30:31], s[24:25]
	v_lshl_add_u64 v[4:5], v[78:79], 4, s[16:17]
	global_store_b128 v[4:5], v[0:3], off
	s_wait_xcnt 0x0
	s_or_b32 exec_lo, exec_lo, s13
	s_and_saveexec_b32 s12, s11
	s_cbranch_execz .LBB215_19
.LBB215_23:                             ;   in Loop: Header=BB215_9 Depth=1
	s_wait_loadcnt 0x0
	v_xor_b32_e32 v1, 0x80000000, v59
	v_dual_mov_b32 v0, v58 :: v_dual_mov_b32 v2, v56
	v_mov_b32_e32 v3, v57
	s_swap_pc_i64 s[30:31], s[24:25]
	v_lshl_add_u64 v[4:5], v[76:77], 4, s[16:17]
	global_store_b128 v[4:5], v[0:3], off
	s_wait_xcnt 0x0
	s_or_b32 exec_lo, exec_lo, s12
	s_and_saveexec_b32 s11, s10
	s_cbranch_execz .LBB215_8
.LBB215_24:                             ;   in Loop: Header=BB215_9 Depth=1
	s_wait_loadcnt 0x0
	v_xor_b32_e32 v1, 0x80000000, v43
	v_dual_mov_b32 v0, v42 :: v_dual_mov_b32 v2, v40
	v_mov_b32_e32 v3, v41
	s_swap_pc_i64 s[30:31], s[24:25]
	v_lshl_add_u64 v[4:5], v[74:75], 4, s[16:17]
	global_store_b128 v[4:5], v[0:3], off
	s_branch .LBB215_8
.LBB215_25:
	s_endpgm
	.section	.rodata,"a",@progbits
	.p2align	6, 0x0
	.amdhsa_kernel _ZN2at6native12_GLOBAL__N_125multi_tensor_apply_kernelINS1_18TensorListMetadataILi2EEENS1_14UnaryOpFunctorIN3c107complexIdEELi2ELi1ELi1EEEJNS0_3CosIS8_EEEEEvT_T0_DpT1_
		.amdhsa_group_segment_fixed_size 0
		.amdhsa_private_segment_fixed_size 0
		.amdhsa_kernarg_size 3408
		.amdhsa_user_sgpr_count 2
		.amdhsa_user_sgpr_dispatch_ptr 0
		.amdhsa_user_sgpr_queue_ptr 0
		.amdhsa_user_sgpr_kernarg_segment_ptr 1
		.amdhsa_user_sgpr_dispatch_id 0
		.amdhsa_user_sgpr_kernarg_preload_length 0
		.amdhsa_user_sgpr_kernarg_preload_offset 0
		.amdhsa_user_sgpr_private_segment_size 0
		.amdhsa_wavefront_size32 1
		.amdhsa_uses_dynamic_stack 0
		.amdhsa_enable_private_segment 0
		.amdhsa_system_sgpr_workgroup_id_x 1
		.amdhsa_system_sgpr_workgroup_id_y 0
		.amdhsa_system_sgpr_workgroup_id_z 0
		.amdhsa_system_sgpr_workgroup_info 0
		.amdhsa_system_vgpr_workitem_id 0
		.amdhsa_next_free_vgpr 86
		.amdhsa_next_free_sgpr 33
		.amdhsa_named_barrier_count 0
		.amdhsa_reserve_vcc 1
		.amdhsa_float_round_mode_32 0
		.amdhsa_float_round_mode_16_64 0
		.amdhsa_float_denorm_mode_32 3
		.amdhsa_float_denorm_mode_16_64 3
		.amdhsa_fp16_overflow 0
		.amdhsa_memory_ordered 1
		.amdhsa_forward_progress 1
		.amdhsa_inst_pref_size 11
		.amdhsa_round_robin_scheduling 0
		.amdhsa_exception_fp_ieee_invalid_op 0
		.amdhsa_exception_fp_denorm_src 0
		.amdhsa_exception_fp_ieee_div_zero 0
		.amdhsa_exception_fp_ieee_overflow 0
		.amdhsa_exception_fp_ieee_underflow 0
		.amdhsa_exception_fp_ieee_inexact 0
		.amdhsa_exception_int_div_zero 0
	.end_amdhsa_kernel
	.section	.text._ZN2at6native12_GLOBAL__N_125multi_tensor_apply_kernelINS1_18TensorListMetadataILi2EEENS1_14UnaryOpFunctorIN3c107complexIdEELi2ELi1ELi1EEEJNS0_3CosIS8_EEEEEvT_T0_DpT1_,"axG",@progbits,_ZN2at6native12_GLOBAL__N_125multi_tensor_apply_kernelINS1_18TensorListMetadataILi2EEENS1_14UnaryOpFunctorIN3c107complexIdEELi2ELi1ELi1EEEJNS0_3CosIS8_EEEEEvT_T0_DpT1_,comdat
.Lfunc_end215:
	.size	_ZN2at6native12_GLOBAL__N_125multi_tensor_apply_kernelINS1_18TensorListMetadataILi2EEENS1_14UnaryOpFunctorIN3c107complexIdEELi2ELi1ELi1EEEJNS0_3CosIS8_EEEEEvT_T0_DpT1_, .Lfunc_end215-_ZN2at6native12_GLOBAL__N_125multi_tensor_apply_kernelINS1_18TensorListMetadataILi2EEENS1_14UnaryOpFunctorIN3c107complexIdEELi2ELi1ELi1EEEJNS0_3CosIS8_EEEEEvT_T0_DpT1_
                                        ; -- End function
	.set _ZN2at6native12_GLOBAL__N_125multi_tensor_apply_kernelINS1_18TensorListMetadataILi2EEENS1_14UnaryOpFunctorIN3c107complexIdEELi2ELi1ELi1EEEJNS0_3CosIS8_EEEEEvT_T0_DpT1_.num_vgpr, max(86, .L_ZN6thrust23THRUST_200600_302600_NS6detail7complex5ccoshERKNS0_7complexIdEE.num_vgpr)
	.set _ZN2at6native12_GLOBAL__N_125multi_tensor_apply_kernelINS1_18TensorListMetadataILi2EEENS1_14UnaryOpFunctorIN3c107complexIdEELi2ELi1ELi1EEEJNS0_3CosIS8_EEEEEvT_T0_DpT1_.num_agpr, max(0, .L_ZN6thrust23THRUST_200600_302600_NS6detail7complex5ccoshERKNS0_7complexIdEE.num_agpr)
	.set _ZN2at6native12_GLOBAL__N_125multi_tensor_apply_kernelINS1_18TensorListMetadataILi2EEENS1_14UnaryOpFunctorIN3c107complexIdEELi2ELi1ELi1EEEJNS0_3CosIS8_EEEEEvT_T0_DpT1_.numbered_sgpr, max(33, .L_ZN6thrust23THRUST_200600_302600_NS6detail7complex5ccoshERKNS0_7complexIdEE.numbered_sgpr)
	.set _ZN2at6native12_GLOBAL__N_125multi_tensor_apply_kernelINS1_18TensorListMetadataILi2EEENS1_14UnaryOpFunctorIN3c107complexIdEELi2ELi1ELi1EEEJNS0_3CosIS8_EEEEEvT_T0_DpT1_.num_named_barrier, max(0, .L_ZN6thrust23THRUST_200600_302600_NS6detail7complex5ccoshERKNS0_7complexIdEE.num_named_barrier)
	.set _ZN2at6native12_GLOBAL__N_125multi_tensor_apply_kernelINS1_18TensorListMetadataILi2EEENS1_14UnaryOpFunctorIN3c107complexIdEELi2ELi1ELi1EEEJNS0_3CosIS8_EEEEEvT_T0_DpT1_.private_seg_size, 0+max(.L_ZN6thrust23THRUST_200600_302600_NS6detail7complex5ccoshERKNS0_7complexIdEE.private_seg_size)
	.set _ZN2at6native12_GLOBAL__N_125multi_tensor_apply_kernelINS1_18TensorListMetadataILi2EEENS1_14UnaryOpFunctorIN3c107complexIdEELi2ELi1ELi1EEEJNS0_3CosIS8_EEEEEvT_T0_DpT1_.uses_vcc, or(1, .L_ZN6thrust23THRUST_200600_302600_NS6detail7complex5ccoshERKNS0_7complexIdEE.uses_vcc)
	.set _ZN2at6native12_GLOBAL__N_125multi_tensor_apply_kernelINS1_18TensorListMetadataILi2EEENS1_14UnaryOpFunctorIN3c107complexIdEELi2ELi1ELi1EEEJNS0_3CosIS8_EEEEEvT_T0_DpT1_.uses_flat_scratch, or(0, .L_ZN6thrust23THRUST_200600_302600_NS6detail7complex5ccoshERKNS0_7complexIdEE.uses_flat_scratch)
	.set _ZN2at6native12_GLOBAL__N_125multi_tensor_apply_kernelINS1_18TensorListMetadataILi2EEENS1_14UnaryOpFunctorIN3c107complexIdEELi2ELi1ELi1EEEJNS0_3CosIS8_EEEEEvT_T0_DpT1_.has_dyn_sized_stack, or(0, .L_ZN6thrust23THRUST_200600_302600_NS6detail7complex5ccoshERKNS0_7complexIdEE.has_dyn_sized_stack)
	.set _ZN2at6native12_GLOBAL__N_125multi_tensor_apply_kernelINS1_18TensorListMetadataILi2EEENS1_14UnaryOpFunctorIN3c107complexIdEELi2ELi1ELi1EEEJNS0_3CosIS8_EEEEEvT_T0_DpT1_.has_recursion, or(0, .L_ZN6thrust23THRUST_200600_302600_NS6detail7complex5ccoshERKNS0_7complexIdEE.has_recursion)
	.set _ZN2at6native12_GLOBAL__N_125multi_tensor_apply_kernelINS1_18TensorListMetadataILi2EEENS1_14UnaryOpFunctorIN3c107complexIdEELi2ELi1ELi1EEEJNS0_3CosIS8_EEEEEvT_T0_DpT1_.has_indirect_call, or(0, .L_ZN6thrust23THRUST_200600_302600_NS6detail7complex5ccoshERKNS0_7complexIdEE.has_indirect_call)
	.section	.AMDGPU.csdata,"",@progbits
; Kernel info:
; codeLenInByte = 1348
; TotalNumSgprs: 35
; NumVgprs: 86
; ScratchSize: 0
; MemoryBound: 1
; FloatMode: 240
; IeeeMode: 1
; LDSByteSize: 0 bytes/workgroup (compile time only)
; SGPRBlocks: 0
; VGPRBlocks: 5
; NumSGPRsForWavesPerEU: 35
; NumVGPRsForWavesPerEU: 86
; NamedBarCnt: 0
; Occupancy: 10
; WaveLimiterHint : 0
; COMPUTE_PGM_RSRC2:SCRATCH_EN: 0
; COMPUTE_PGM_RSRC2:USER_SGPR: 2
; COMPUTE_PGM_RSRC2:TRAP_HANDLER: 0
; COMPUTE_PGM_RSRC2:TGID_X_EN: 1
; COMPUTE_PGM_RSRC2:TGID_Y_EN: 0
; COMPUTE_PGM_RSRC2:TGID_Z_EN: 0
; COMPUTE_PGM_RSRC2:TIDIG_COMP_CNT: 0
	.section	.text._ZN2at6native12_GLOBAL__N_125multi_tensor_apply_kernelINS1_18TensorListMetadataILi2EEENS1_14UnaryOpFunctorIN3c107complexIfEELi2ELi1ELi1EEEJNS0_3CosIS8_EEEEEvT_T0_DpT1_,"axG",@progbits,_ZN2at6native12_GLOBAL__N_125multi_tensor_apply_kernelINS1_18TensorListMetadataILi2EEENS1_14UnaryOpFunctorIN3c107complexIfEELi2ELi1ELi1EEEJNS0_3CosIS8_EEEEEvT_T0_DpT1_,comdat
	.globl	_ZN2at6native12_GLOBAL__N_125multi_tensor_apply_kernelINS1_18TensorListMetadataILi2EEENS1_14UnaryOpFunctorIN3c107complexIfEELi2ELi1ELi1EEEJNS0_3CosIS8_EEEEEvT_T0_DpT1_ ; -- Begin function _ZN2at6native12_GLOBAL__N_125multi_tensor_apply_kernelINS1_18TensorListMetadataILi2EEENS1_14UnaryOpFunctorIN3c107complexIfEELi2ELi1ELi1EEEJNS0_3CosIS8_EEEEEvT_T0_DpT1_
	.p2align	8
	.type	_ZN2at6native12_GLOBAL__N_125multi_tensor_apply_kernelINS1_18TensorListMetadataILi2EEENS1_14UnaryOpFunctorIN3c107complexIfEELi2ELi1ELi1EEEJNS0_3CosIS8_EEEEEvT_T0_DpT1_,@function
_ZN2at6native12_GLOBAL__N_125multi_tensor_apply_kernelINS1_18TensorListMetadataILi2EEENS1_14UnaryOpFunctorIN3c107complexIfEELi2ELi1ELi1EEEJNS0_3CosIS8_EEEEEvT_T0_DpT1_: ; @_ZN2at6native12_GLOBAL__N_125multi_tensor_apply_kernelINS1_18TensorListMetadataILi2EEENS1_14UnaryOpFunctorIN3c107complexIfEELi2ELi1ELi1EEEJNS0_3CosIS8_EEEEEvT_T0_DpT1_
; %bb.0:
	s_mov_b64 s[10:11], s[0:1]
	s_bfe_u32 s0, ttmp6, 0x4000c
	s_and_b32 s1, ttmp6, 15
	s_add_co_i32 s0, s0, 1
	s_getreg_b32 s2, hwreg(HW_REG_IB_STS2, 6, 4)
	s_mul_i32 s0, ttmp9, s0
	v_mov_b32_e32 v22, v0
	s_add_co_i32 s1, s1, s0
	s_cmp_eq_u32 s2, 0
	s_mov_b32 s32, 0
	s_cselect_b32 s0, ttmp9, s1
	s_mov_b32 s1, 0
	s_load_u8 s14, s[10:11], s0 offset:0x600
	s_add_nc_u64 s[2:3], s[10:11], s[0:1]
	s_mul_u64 s[4:5], s[0:1], 3
	s_delay_alu instid0(SALU_CYCLE_1)
	s_add_nc_u64 s[2:3], s[2:3], s[4:5]
	s_load_b32 s4, s[2:3], 0x740
	s_wait_kmcnt 0x0
	s_clause 0x2
	s_load_b64 s[6:7], s[10:11], s14 offset:0x0 scale_offset
	s_load_b64 s[8:9], s[10:11], s14 offset:0x200 scale_offset
	s_load_b64 s[12:13], s[10:11], s14 offset:0x400 scale_offset
	s_ashr_i32 s5, s4, 31
	s_delay_alu instid0(SALU_CYCLE_1)
	s_lshl_b64 s[2:3], s[4:5], 19
	s_lshl_b64 s[4:5], s[4:5], 16
	s_wait_kmcnt 0x0
	s_add_nc_u64 s[16:17], s[8:9], s[2:3]
	s_add_nc_u64 s[14:15], s[6:7], s[2:3]
	s_and_b32 s2, s12, 3
	s_and_b64 s[6:7], s[16:17], 31
	s_mov_b32 s3, s1
	s_and_b32 s0, s14, 31
	s_or_b64 s[2:3], s[6:7], s[2:3]
	s_sub_nc_u64 s[12:13], s[12:13], s[4:5]
	s_or_b64 s[0:1], s[2:3], s[0:1]
	s_delay_alu instid0(SALU_CYCLE_1)
	s_cmp_eq_u64 s[0:1], 0
	s_mov_b32 s0, -1
	s_cbranch_scc0 .LBB216_5
; %bb.1:
	v_min_i64 v[32:33], 0x10000, s[12:13]
	v_dual_mov_b32 v35, 0 :: v_dual_lshlrev_b32 v34, 2, v22
	s_mov_b32 s28, exec_lo
	s_delay_alu instid0(VALU_DEP_1)
	v_cmpx_lt_i64_e64 v[34:35], v[32:33]
	s_cbranch_execz .LBB216_4
; %bb.2:
	s_load_b32 s0, s[10:11], 0xc5c
	v_dual_mov_b32 v23, v35 :: v_dual_lshlrev_b32 v34, 5, v22
	s_mov_b32 s19, 0
	s_mov_b64 s[22:23], s[14:15]
	s_mov_b32 s25, s19
	s_delay_alu instid0(VALU_DEP_1)
	v_mov_b64_e32 v[36:37], v[22:23]
	s_mov_b32 s29, s19
	s_mov_b64 s[26:27], s[16:17]
	s_get_pc_i64 s[20:21]
	s_add_nc_u64 s[20:21], s[20:21], _ZN6thrust23THRUST_200600_302600_NS6detail7complex6ccoshfERKNS0_7complexIfEE@rel64+4
	s_wait_kmcnt 0x0
	s_and_b32 s18, s0, 0xffff
	s_delay_alu instid0(SALU_CYCLE_1)
	s_lshl_b32 s24, s18, 5
.LBB216_3:                              ; =>This Inner Loop Header: Depth=1
	v_add_nc_u64_e32 v[0:1], s[22:23], v[34:35]
	s_clause 0x1
	global_load_b128 v[24:27], v[0:1], off
	global_load_b128 v[28:31], v[0:1], off offset:16
	s_wait_loadcnt 0x1
	s_wait_xcnt 0x0
	v_xor_b32_e32 v0, 0x80000000, v25
	v_mov_b32_e32 v1, v24
	s_swap_pc_i64 s[30:31], s[20:21]
	s_delay_alu instid0(VALU_DEP_1) | instskip(SKIP_3) | instid1(VALU_DEP_1)
	v_dual_mov_b32 v24, v0 :: v_dual_mov_b32 v25, v1
	v_xor_b32_e32 v0, 0x80000000, v27
	v_mov_b32_e32 v1, v26
	s_swap_pc_i64 s[30:31], s[20:21]
	v_dual_mov_b32 v26, v0 :: v_dual_mov_b32 v27, v1
	v_xor_b32_e32 v0, 0x80000000, v29
	v_mov_b32_e32 v1, v28
	s_swap_pc_i64 s[30:31], s[20:21]
	s_delay_alu instid0(VALU_DEP_1) | instskip(SKIP_4) | instid1(VALU_DEP_2)
	v_dual_mov_b32 v28, v0 :: v_dual_mov_b32 v29, v1
	v_xor_b32_e32 v0, 0x80000000, v31
	v_mov_b32_e32 v1, v30
	s_swap_pc_i64 s[30:31], s[20:21]
	v_add_nc_u64_e32 v[36:37], s[18:19], v[36:37]
	v_dual_mov_b32 v30, v0 :: v_dual_mov_b32 v31, v1
	s_add_nc_u64 s[22:23], s[22:23], s[24:25]
	s_delay_alu instid0(VALU_DEP_2) | instskip(NEXT) | instid1(VALU_DEP_1)
	v_lshlrev_b64_e32 v[0:1], 2, v[36:37]
	v_cmp_ge_i64_e32 vcc_lo, v[0:1], v[32:33]
	v_add_nc_u64_e32 v[0:1], s[26:27], v[34:35]
	s_add_nc_u64 s[26:27], s[26:27], s[24:25]
	s_clause 0x1
	global_store_b128 v[0:1], v[24:27], off
	global_store_b128 v[0:1], v[28:31], off offset:16
	s_or_b32 s29, vcc_lo, s29
	s_wait_xcnt 0x0
	s_and_not1_b32 exec_lo, exec_lo, s29
	s_cbranch_execnz .LBB216_3
.LBB216_4:
	s_or_b32 exec_lo, exec_lo, s28
	s_mov_b32 s0, 0
.LBB216_5:
	s_delay_alu instid0(SALU_CYCLE_1)
	s_and_not1_b32 vcc_lo, exec_lo, s0
	s_cbranch_vccnz .LBB216_25
; %bb.6:
	v_cmp_lt_i64_e64 s0, s[12:13], 1
	s_and_b32 vcc_lo, exec_lo, s0
	s_cbranch_vccnz .LBB216_25
; %bb.7:
	v_min_i64 v[24:25], 0x10000, s[12:13]
	v_min_u64 v[26:27], 0x10000, s[12:13]
	s_load_b32 s0, s[10:11], 0xc5c
	v_mov_b32_e32 v23, 0
	s_mov_b32 s19, 0
	s_mov_b64 s[28:29], 0
	s_mov_b32 s21, s19
	s_mov_b32 s23, s19
	;; [unrolled: 1-line block ×3, first 2 shown]
	s_get_pc_i64 s[24:25]
	s_add_nc_u64 s[24:25], s[24:25], _ZN6thrust23THRUST_200600_302600_NS6detail7complex6ccoshfERKNS0_7complexIfEE@rel64+4
	s_wait_kmcnt 0x0
	s_and_b32 s18, s0, 0xffff
	s_delay_alu instid0(SALU_CYCLE_1)
	s_lshl_b32 s20, s18, 1
	s_mul_i32 s22, s18, 3
	s_lshl_b32 s26, s18, 2
	s_branch .LBB216_9
.LBB216_8:                              ;   in Loop: Header=BB216_9 Depth=1
	s_wait_xcnt 0x0
	s_or_b32 exec_lo, exec_lo, s11
	s_add_nc_u64 s[28:29], s[28:29], s[26:27]
	s_delay_alu instid0(SALU_CYCLE_1)
	v_cmp_ge_i64_e32 vcc_lo, s[28:29], v[24:25]
	s_cbranch_vccnz .LBB216_25
.LBB216_9:                              ; =>This Inner Loop Header: Depth=1
	v_add_nc_u64_e32 v[36:37], s[28:29], v[22:23]
	s_wait_loadcnt 0x0
	v_dual_mov_b32 v2, 0 :: v_dual_mov_b32 v3, 0
	s_delay_alu instid0(VALU_DEP_2)
	v_cmp_lt_u64_e32 vcc_lo, v[36:37], v[26:27]
	s_and_saveexec_b32 s0, vcc_lo
	s_cbranch_execz .LBB216_11
; %bb.10:                               ;   in Loop: Header=BB216_9 Depth=1
	v_lshl_add_u64 v[0:1], v[36:37], 3, s[14:15]
	global_load_b64 v[2:3], v[0:1], off
.LBB216_11:                             ;   in Loop: Header=BB216_9 Depth=1
	s_wait_xcnt 0x0
	s_or_b32 exec_lo, exec_lo, s0
	v_add_nc_u64_e32 v[34:35], s[18:19], v[36:37]
	v_dual_mov_b32 v28, 0 :: v_dual_mov_b32 v40, 0
	v_mov_b32_e32 v41, 0
	s_delay_alu instid0(VALU_DEP_3)
	v_cmp_lt_u64_e64 s12, v[34:35], v[26:27]
	s_and_saveexec_b32 s0, s12
	s_cbranch_execz .LBB216_13
; %bb.12:                               ;   in Loop: Header=BB216_9 Depth=1
	v_lshl_add_u64 v[0:1], v[34:35], 3, s[14:15]
	global_load_b64 v[40:41], v[0:1], off
.LBB216_13:                             ;   in Loop: Header=BB216_9 Depth=1
	s_wait_xcnt 0x0
	s_or_b32 exec_lo, exec_lo, s0
	v_add_nc_u64_e32 v[32:33], s[20:21], v[36:37]
	v_mov_b32_e32 v29, 0
	s_delay_alu instid0(VALU_DEP_2)
	v_cmp_lt_u64_e64 s11, v[32:33], v[26:27]
	s_and_saveexec_b32 s0, s11
	s_cbranch_execz .LBB216_15
; %bb.14:                               ;   in Loop: Header=BB216_9 Depth=1
	v_lshl_add_u64 v[0:1], v[32:33], 3, s[14:15]
	global_load_b64 v[28:29], v[0:1], off
.LBB216_15:                             ;   in Loop: Header=BB216_9 Depth=1
	s_wait_xcnt 0x0
	s_or_b32 exec_lo, exec_lo, s0
	v_add_nc_u64_e32 v[30:31], s[22:23], v[36:37]
	v_dual_mov_b32 v38, 0 :: v_dual_mov_b32 v39, 0
	s_delay_alu instid0(VALU_DEP_2)
	v_cmp_lt_u64_e64 s10, v[30:31], v[26:27]
	s_and_saveexec_b32 s0, s10
	s_cbranch_execnz .LBB216_20
; %bb.16:                               ;   in Loop: Header=BB216_9 Depth=1
	s_or_b32 exec_lo, exec_lo, s0
	s_and_saveexec_b32 s13, vcc_lo
	s_cbranch_execnz .LBB216_21
.LBB216_17:                             ;   in Loop: Header=BB216_9 Depth=1
	s_or_b32 exec_lo, exec_lo, s13
	s_and_saveexec_b32 s13, s12
	s_cbranch_execnz .LBB216_22
.LBB216_18:                             ;   in Loop: Header=BB216_9 Depth=1
	s_or_b32 exec_lo, exec_lo, s13
	s_and_saveexec_b32 s12, s11
	s_cbranch_execnz .LBB216_23
.LBB216_19:                             ;   in Loop: Header=BB216_9 Depth=1
	s_or_b32 exec_lo, exec_lo, s12
	s_and_saveexec_b32 s11, s10
	s_cbranch_execz .LBB216_8
	s_branch .LBB216_24
.LBB216_20:                             ;   in Loop: Header=BB216_9 Depth=1
	v_lshl_add_u64 v[0:1], v[30:31], 3, s[14:15]
	global_load_b64 v[38:39], v[0:1], off
	s_wait_xcnt 0x0
	s_or_b32 exec_lo, exec_lo, s0
	s_and_saveexec_b32 s13, vcc_lo
	s_cbranch_execz .LBB216_17
.LBB216_21:                             ;   in Loop: Header=BB216_9 Depth=1
	s_wait_loadcnt 0x0
	v_xor_b32_e32 v0, 0x80000000, v3
	v_mov_b32_e32 v1, v2
	s_swap_pc_i64 s[30:31], s[24:25]
	v_lshl_add_u64 v[2:3], v[36:37], 3, s[16:17]
	global_store_b64 v[2:3], v[0:1], off
	s_wait_xcnt 0x0
	s_or_b32 exec_lo, exec_lo, s13
	s_and_saveexec_b32 s13, s12
	s_cbranch_execz .LBB216_18
.LBB216_22:                             ;   in Loop: Header=BB216_9 Depth=1
	s_wait_loadcnt 0x0
	v_xor_b32_e32 v0, 0x80000000, v41
	v_mov_b32_e32 v1, v40
	s_swap_pc_i64 s[30:31], s[24:25]
	v_lshl_add_u64 v[2:3], v[34:35], 3, s[16:17]
	global_store_b64 v[2:3], v[0:1], off
	s_wait_xcnt 0x0
	s_or_b32 exec_lo, exec_lo, s13
	s_and_saveexec_b32 s12, s11
	s_cbranch_execz .LBB216_19
.LBB216_23:                             ;   in Loop: Header=BB216_9 Depth=1
	s_wait_loadcnt 0x0
	v_xor_b32_e32 v0, 0x80000000, v29
	v_mov_b32_e32 v1, v28
	s_swap_pc_i64 s[30:31], s[24:25]
	v_lshl_add_u64 v[2:3], v[32:33], 3, s[16:17]
	global_store_b64 v[2:3], v[0:1], off
	s_wait_xcnt 0x0
	s_or_b32 exec_lo, exec_lo, s12
	s_and_saveexec_b32 s11, s10
	s_cbranch_execz .LBB216_8
.LBB216_24:                             ;   in Loop: Header=BB216_9 Depth=1
	s_wait_loadcnt 0x0
	v_xor_b32_e32 v0, 0x80000000, v39
	v_mov_b32_e32 v1, v38
	s_swap_pc_i64 s[30:31], s[24:25]
	v_lshl_add_u64 v[2:3], v[30:31], 3, s[16:17]
	global_store_b64 v[2:3], v[0:1], off
	s_branch .LBB216_8
.LBB216_25:
	s_endpgm
	.section	.rodata,"a",@progbits
	.p2align	6, 0x0
	.amdhsa_kernel _ZN2at6native12_GLOBAL__N_125multi_tensor_apply_kernelINS1_18TensorListMetadataILi2EEENS1_14UnaryOpFunctorIN3c107complexIfEELi2ELi1ELi1EEEJNS0_3CosIS8_EEEEEvT_T0_DpT1_
		.amdhsa_group_segment_fixed_size 0
		.amdhsa_private_segment_fixed_size 0
		.amdhsa_kernarg_size 3408
		.amdhsa_user_sgpr_count 2
		.amdhsa_user_sgpr_dispatch_ptr 0
		.amdhsa_user_sgpr_queue_ptr 0
		.amdhsa_user_sgpr_kernarg_segment_ptr 1
		.amdhsa_user_sgpr_dispatch_id 0
		.amdhsa_user_sgpr_kernarg_preload_length 0
		.amdhsa_user_sgpr_kernarg_preload_offset 0
		.amdhsa_user_sgpr_private_segment_size 0
		.amdhsa_wavefront_size32 1
		.amdhsa_uses_dynamic_stack 0
		.amdhsa_enable_private_segment 0
		.amdhsa_system_sgpr_workgroup_id_x 1
		.amdhsa_system_sgpr_workgroup_id_y 0
		.amdhsa_system_sgpr_workgroup_id_z 0
		.amdhsa_system_sgpr_workgroup_info 0
		.amdhsa_system_vgpr_workitem_id 0
		.amdhsa_next_free_vgpr 42
		.amdhsa_next_free_sgpr 33
		.amdhsa_named_barrier_count 0
		.amdhsa_reserve_vcc 1
		.amdhsa_float_round_mode_32 0
		.amdhsa_float_round_mode_16_64 0
		.amdhsa_float_denorm_mode_32 3
		.amdhsa_float_denorm_mode_16_64 3
		.amdhsa_fp16_overflow 0
		.amdhsa_memory_ordered 1
		.amdhsa_forward_progress 1
		.amdhsa_inst_pref_size 10
		.amdhsa_round_robin_scheduling 0
		.amdhsa_exception_fp_ieee_invalid_op 0
		.amdhsa_exception_fp_denorm_src 0
		.amdhsa_exception_fp_ieee_div_zero 0
		.amdhsa_exception_fp_ieee_overflow 0
		.amdhsa_exception_fp_ieee_underflow 0
		.amdhsa_exception_fp_ieee_inexact 0
		.amdhsa_exception_int_div_zero 0
	.end_amdhsa_kernel
	.section	.text._ZN2at6native12_GLOBAL__N_125multi_tensor_apply_kernelINS1_18TensorListMetadataILi2EEENS1_14UnaryOpFunctorIN3c107complexIfEELi2ELi1ELi1EEEJNS0_3CosIS8_EEEEEvT_T0_DpT1_,"axG",@progbits,_ZN2at6native12_GLOBAL__N_125multi_tensor_apply_kernelINS1_18TensorListMetadataILi2EEENS1_14UnaryOpFunctorIN3c107complexIfEELi2ELi1ELi1EEEJNS0_3CosIS8_EEEEEvT_T0_DpT1_,comdat
.Lfunc_end216:
	.size	_ZN2at6native12_GLOBAL__N_125multi_tensor_apply_kernelINS1_18TensorListMetadataILi2EEENS1_14UnaryOpFunctorIN3c107complexIfEELi2ELi1ELi1EEEJNS0_3CosIS8_EEEEEvT_T0_DpT1_, .Lfunc_end216-_ZN2at6native12_GLOBAL__N_125multi_tensor_apply_kernelINS1_18TensorListMetadataILi2EEENS1_14UnaryOpFunctorIN3c107complexIfEELi2ELi1ELi1EEEJNS0_3CosIS8_EEEEEvT_T0_DpT1_
                                        ; -- End function
	.set _ZN2at6native12_GLOBAL__N_125multi_tensor_apply_kernelINS1_18TensorListMetadataILi2EEENS1_14UnaryOpFunctorIN3c107complexIfEELi2ELi1ELi1EEEJNS0_3CosIS8_EEEEEvT_T0_DpT1_.num_vgpr, max(42, .L_ZN6thrust23THRUST_200600_302600_NS6detail7complex6ccoshfERKNS0_7complexIfEE.num_vgpr)
	.set _ZN2at6native12_GLOBAL__N_125multi_tensor_apply_kernelINS1_18TensorListMetadataILi2EEENS1_14UnaryOpFunctorIN3c107complexIfEELi2ELi1ELi1EEEJNS0_3CosIS8_EEEEEvT_T0_DpT1_.num_agpr, max(0, .L_ZN6thrust23THRUST_200600_302600_NS6detail7complex6ccoshfERKNS0_7complexIfEE.num_agpr)
	.set _ZN2at6native12_GLOBAL__N_125multi_tensor_apply_kernelINS1_18TensorListMetadataILi2EEENS1_14UnaryOpFunctorIN3c107complexIfEELi2ELi1ELi1EEEJNS0_3CosIS8_EEEEEvT_T0_DpT1_.numbered_sgpr, max(33, .L_ZN6thrust23THRUST_200600_302600_NS6detail7complex6ccoshfERKNS0_7complexIfEE.numbered_sgpr)
	.set _ZN2at6native12_GLOBAL__N_125multi_tensor_apply_kernelINS1_18TensorListMetadataILi2EEENS1_14UnaryOpFunctorIN3c107complexIfEELi2ELi1ELi1EEEJNS0_3CosIS8_EEEEEvT_T0_DpT1_.num_named_barrier, max(0, .L_ZN6thrust23THRUST_200600_302600_NS6detail7complex6ccoshfERKNS0_7complexIfEE.num_named_barrier)
	.set _ZN2at6native12_GLOBAL__N_125multi_tensor_apply_kernelINS1_18TensorListMetadataILi2EEENS1_14UnaryOpFunctorIN3c107complexIfEELi2ELi1ELi1EEEJNS0_3CosIS8_EEEEEvT_T0_DpT1_.private_seg_size, 0+max(.L_ZN6thrust23THRUST_200600_302600_NS6detail7complex6ccoshfERKNS0_7complexIfEE.private_seg_size)
	.set _ZN2at6native12_GLOBAL__N_125multi_tensor_apply_kernelINS1_18TensorListMetadataILi2EEENS1_14UnaryOpFunctorIN3c107complexIfEELi2ELi1ELi1EEEJNS0_3CosIS8_EEEEEvT_T0_DpT1_.uses_vcc, or(1, .L_ZN6thrust23THRUST_200600_302600_NS6detail7complex6ccoshfERKNS0_7complexIfEE.uses_vcc)
	.set _ZN2at6native12_GLOBAL__N_125multi_tensor_apply_kernelINS1_18TensorListMetadataILi2EEENS1_14UnaryOpFunctorIN3c107complexIfEELi2ELi1ELi1EEEJNS0_3CosIS8_EEEEEvT_T0_DpT1_.uses_flat_scratch, or(0, .L_ZN6thrust23THRUST_200600_302600_NS6detail7complex6ccoshfERKNS0_7complexIfEE.uses_flat_scratch)
	.set _ZN2at6native12_GLOBAL__N_125multi_tensor_apply_kernelINS1_18TensorListMetadataILi2EEENS1_14UnaryOpFunctorIN3c107complexIfEELi2ELi1ELi1EEEJNS0_3CosIS8_EEEEEvT_T0_DpT1_.has_dyn_sized_stack, or(0, .L_ZN6thrust23THRUST_200600_302600_NS6detail7complex6ccoshfERKNS0_7complexIfEE.has_dyn_sized_stack)
	.set _ZN2at6native12_GLOBAL__N_125multi_tensor_apply_kernelINS1_18TensorListMetadataILi2EEENS1_14UnaryOpFunctorIN3c107complexIfEELi2ELi1ELi1EEEJNS0_3CosIS8_EEEEEvT_T0_DpT1_.has_recursion, or(0, .L_ZN6thrust23THRUST_200600_302600_NS6detail7complex6ccoshfERKNS0_7complexIfEE.has_recursion)
	.set _ZN2at6native12_GLOBAL__N_125multi_tensor_apply_kernelINS1_18TensorListMetadataILi2EEENS1_14UnaryOpFunctorIN3c107complexIfEELi2ELi1ELi1EEEJNS0_3CosIS8_EEEEEvT_T0_DpT1_.has_indirect_call, or(0, .L_ZN6thrust23THRUST_200600_302600_NS6detail7complex6ccoshfERKNS0_7complexIfEE.has_indirect_call)
	.section	.AMDGPU.csdata,"",@progbits
; Kernel info:
; codeLenInByte = 1208
; TotalNumSgprs: 35
; NumVgprs: 42
; ScratchSize: 0
; MemoryBound: 0
; FloatMode: 240
; IeeeMode: 1
; LDSByteSize: 0 bytes/workgroup (compile time only)
; SGPRBlocks: 0
; VGPRBlocks: 2
; NumSGPRsForWavesPerEU: 35
; NumVGPRsForWavesPerEU: 42
; NamedBarCnt: 0
; Occupancy: 16
; WaveLimiterHint : 0
; COMPUTE_PGM_RSRC2:SCRATCH_EN: 0
; COMPUTE_PGM_RSRC2:USER_SGPR: 2
; COMPUTE_PGM_RSRC2:TRAP_HANDLER: 0
; COMPUTE_PGM_RSRC2:TGID_X_EN: 1
; COMPUTE_PGM_RSRC2:TGID_Y_EN: 0
; COMPUTE_PGM_RSRC2:TGID_Z_EN: 0
; COMPUTE_PGM_RSRC2:TIDIG_COMP_CNT: 0
	.section	.text._ZN2at6native12_GLOBAL__N_125multi_tensor_apply_kernelINS1_18TensorListMetadataILi2EEENS1_14UnaryOpFunctorIN3c104HalfELi2ELi1ELi1EEEJNS0_3CosIfEEEEEvT_T0_DpT1_,"axG",@progbits,_ZN2at6native12_GLOBAL__N_125multi_tensor_apply_kernelINS1_18TensorListMetadataILi2EEENS1_14UnaryOpFunctorIN3c104HalfELi2ELi1ELi1EEEJNS0_3CosIfEEEEEvT_T0_DpT1_,comdat
	.globl	_ZN2at6native12_GLOBAL__N_125multi_tensor_apply_kernelINS1_18TensorListMetadataILi2EEENS1_14UnaryOpFunctorIN3c104HalfELi2ELi1ELi1EEEJNS0_3CosIfEEEEEvT_T0_DpT1_ ; -- Begin function _ZN2at6native12_GLOBAL__N_125multi_tensor_apply_kernelINS1_18TensorListMetadataILi2EEENS1_14UnaryOpFunctorIN3c104HalfELi2ELi1ELi1EEEJNS0_3CosIfEEEEEvT_T0_DpT1_
	.p2align	8
	.type	_ZN2at6native12_GLOBAL__N_125multi_tensor_apply_kernelINS1_18TensorListMetadataILi2EEENS1_14UnaryOpFunctorIN3c104HalfELi2ELi1ELi1EEEJNS0_3CosIfEEEEEvT_T0_DpT1_,@function
_ZN2at6native12_GLOBAL__N_125multi_tensor_apply_kernelINS1_18TensorListMetadataILi2EEENS1_14UnaryOpFunctorIN3c104HalfELi2ELi1ELi1EEEJNS0_3CosIfEEEEEvT_T0_DpT1_: ; @_ZN2at6native12_GLOBAL__N_125multi_tensor_apply_kernelINS1_18TensorListMetadataILi2EEENS1_14UnaryOpFunctorIN3c104HalfELi2ELi1ELi1EEEJNS0_3CosIfEEEEEvT_T0_DpT1_
; %bb.0:
	s_bfe_u32 s2, ttmp6, 0x4000c
	s_and_b32 s3, ttmp6, 15
	s_add_co_i32 s2, s2, 1
	s_getreg_b32 s4, hwreg(HW_REG_IB_STS2, 6, 4)
	s_mul_i32 s2, ttmp9, s2
	s_delay_alu instid0(SALU_CYCLE_1)
	s_add_co_i32 s3, s3, s2
	s_cmp_eq_u32 s4, 0
	s_cselect_b32 s2, ttmp9, s3
	s_mov_b32 s3, 0
	s_load_u8 s11, s[0:1], s2 offset:0x600
	s_add_nc_u64 s[4:5], s[0:1], s[2:3]
	s_mul_u64 s[6:7], s[2:3], 3
	s_mov_b32 s15, s3
	s_add_nc_u64 s[6:7], s[4:5], s[6:7]
	s_load_b32 s10, s[6:7], 0x740
	s_wait_kmcnt 0x0
	s_clause 0x2
	s_load_b64 s[4:5], s[0:1], s11 offset:0x0 scale_offset
	s_load_b64 s[8:9], s[0:1], s11 offset:0x200 scale_offset
	s_load_b64 s[12:13], s[0:1], s11 offset:0x400 scale_offset
	s_wait_xcnt 0x0
	s_ashr_i32 s11, s10, 31
	s_delay_alu instid0(SALU_CYCLE_1)
	s_lshl_b64 s[6:7], s[10:11], 17
	s_wait_kmcnt 0x0
	s_and_b64 s[18:19], s[8:9], 7
	s_add_nc_u64 s[16:17], s[4:5], s[6:7]
	s_and_b32 s14, s12, 3
	s_and_b32 s2, s16, 7
	s_or_b64 s[14:15], s[18:19], s[14:15]
	s_lshl_b64 s[10:11], s[10:11], 16
	s_or_b64 s[2:3], s[14:15], s[2:3]
	s_sub_nc_u64 s[10:11], s[12:13], s[10:11]
	s_cmp_eq_u64 s[2:3], 0
	s_mov_b32 s2, -1
	s_cbranch_scc0 .LBB217_21
; %bb.1:
	v_min_i64 v[2:3], 0x10000, s[10:11]
	v_dual_mov_b32 v5, 0 :: v_dual_lshlrev_b32 v4, 2, v0
	s_mov_b32 s18, exec_lo
	s_delay_alu instid0(VALU_DEP_1)
	v_cmpx_lt_i64_e64 v[4:5], v[2:3]
	s_cbranch_execz .LBB217_20
; %bb.2:
	s_load_b32 s2, s[0:1], 0xc5c
	v_dual_mov_b32 v1, v5 :: v_dual_lshlrev_b32 v4, 3, v0
	s_mov_b32 s13, 0
	s_mov_b32 s19, 0x7fffff
	s_mov_b64 s[14:15], 0xfe5163ab
	s_delay_alu instid0(VALU_DEP_1)
	v_mov_b64_e32 v[8:9], v[0:1]
	v_add_nc_u64_e32 v[6:7], s[6:7], v[4:5]
	s_mov_b32 s20, 0xb94c1982
	s_mov_b32 s21, 0x37d75334
	;; [unrolled: 1-line block ×4, first 2 shown]
	s_wait_kmcnt 0x0
	s_and_b32 s12, s2, 0xffff
	s_delay_alu instid0(SALU_CYCLE_1)
	s_lshl_b32 s16, s12, 3
	s_branch .LBB217_4
.LBB217_3:                              ;   in Loop: Header=BB217_4 Depth=1
	s_or_b32 exec_lo, exec_lo, s2
	v_dual_mul_f32 v20, v16, v16 :: v_dual_bitop2_b32 v21, 1, v18 bitop3:0x40
	v_lshlrev_b32_e32 v18, 30, v18
	v_dual_mul_f32 v22, v14, v14 :: v_dual_bitop2_b32 v25, 1, v15 bitop3:0x40
	s_delay_alu instid0(VALU_DEP_3) | instskip(SKIP_2) | instid1(VALU_DEP_4)
	v_fmaak_f32 v23, s20, v20, 0x3c0881c4
	v_dual_fmaak_f32 v24, s21, v20, 0xbab64f3b :: v_dual_mul_f32 v27, v19, v19
	v_mul_f32_e32 v26, v1, v1
	v_dual_fmaak_f32 v28, s20, v22, 0x3c0881c4 :: v_dual_lshlrev_b32 v15, 30, v15
	s_delay_alu instid0(VALU_DEP_4) | instskip(NEXT) | instid1(VALU_DEP_4)
	v_fmaak_f32 v23, v20, v23, 0xbe2aaa9d
	v_fmaak_f32 v24, v20, v24, 0x3d2aabf7
	v_cmp_eq_u32_e32 vcc_lo, 0, v21
	s_delay_alu instid0(VALU_DEP_4) | instskip(NEXT) | instid1(VALU_DEP_4)
	v_fmaak_f32 v28, v22, v28, 0xbe2aaa9d
	v_dual_fmaak_f32 v30, s20, v26, 0x3c0881c4 :: v_dual_mul_f32 v23, v20, v23
	v_fmaak_f32 v29, s21, v22, 0xbab64f3b
	v_fmaak_f32 v24, v20, v24, 0xbf000004
	v_add_nc_u64_e32 v[8:9], s[12:13], v[8:9]
	s_delay_alu instid0(VALU_DEP_3) | instskip(NEXT) | instid1(VALU_DEP_3)
	v_dual_fmac_f32 v16, v16, v23 :: v_dual_fmaak_f32 v29, v22, v29, 0x3d2aabf7
	v_fma_f32 v20, v20, v24, 1.0
	v_mul_f32_e32 v23, v22, v28
	v_fmaak_f32 v31, s21, v26, 0xbab64f3b
	v_fmaak_f32 v28, s20, v27, 0x3c0881c4
	;; [unrolled: 1-line block ×3, first 2 shown]
	s_delay_alu instid0(VALU_DEP_4) | instskip(SKIP_1) | instid1(VALU_DEP_3)
	v_dual_fmac_f32 v14, v14, v23 :: v_dual_cndmask_b32 v16, -v16, v20, vcc_lo
	v_cmp_eq_u32_e32 vcc_lo, 0, v25
	v_fma_f32 v20, v22, v24, 1.0
	v_fmaak_f32 v22, v26, v30, 0xbe2aaa9d
	v_fmaak_f32 v21, s21, v27, 0xbab64f3b
	s_delay_alu instid0(VALU_DEP_3) | instskip(SKIP_1) | instid1(VALU_DEP_4)
	v_cndmask_b32_e64 v14, -v14, v20, vcc_lo
	v_bitop3_b32 v16, v18, v16, 0x80000000 bitop3:0x6c
	v_mul_f32_e32 v22, v26, v22
	s_delay_alu instid0(VALU_DEP_4) | instskip(SKIP_1) | instid1(VALU_DEP_4)
	v_dual_fmaak_f32 v18, v26, v31, 0x3d2aabf7 :: v_dual_fmaak_f32 v21, v27, v21, 0x3d2aabf7
	v_fmaak_f32 v20, v27, v28, 0xbe2aaa9d
	v_cvt_f16_f32_e32 v16, v16
	s_delay_alu instid0(VALU_DEP_4) | instskip(NEXT) | instid1(VALU_DEP_4)
	v_fmac_f32_e32 v1, v1, v22
	v_dual_fmaak_f32 v18, v26, v18, 0xbf000004 :: v_dual_fmaak_f32 v21, v27, v21, 0xbf000004
	s_delay_alu instid0(VALU_DEP_4) | instskip(SKIP_1) | instid1(VALU_DEP_3)
	v_mul_f32_e32 v20, v27, v20
	v_bitop3_b32 v14, v15, v14, 0x80000000 bitop3:0x6c
	v_fma_f32 v18, v26, v18, 1.0
	v_and_b32_e32 v22, 1, v12
	s_delay_alu instid0(VALU_DEP_4)
	v_fmac_f32_e32 v19, v19, v20
	v_fma_f32 v21, v27, v21, 1.0
	v_and_b32_e32 v20, 1, v4
	v_lshlrev_b32_e32 v12, 30, v12
	v_cmp_eq_u32_e32 vcc_lo, 0, v22
	v_dual_lshlrev_b32 v4, 30, v4 :: v_dual_cndmask_b32 v1, -v1, v18, vcc_lo
	s_delay_alu instid0(VALU_DEP_4) | instskip(NEXT) | instid1(VALU_DEP_2)
	v_cmp_eq_u32_e32 vcc_lo, 0, v20
	v_bitop3_b32 v1, v12, v1, 0x80000000 bitop3:0x6c
	v_cndmask_b32_e64 v18, -v19, v21, vcc_lo
	v_cmp_class_f16_e64 vcc_lo, v11, 0x1f8
	v_cvt_f16_f32_e32 v11, v14
	v_lshlrev_b64_e32 v[14:15], 2, v[8:9]
	v_cvt_f16_f32_e32 v1, v1
	v_bitop3_b32 v4, v4, v18, 0x80000000 bitop3:0x6c
	v_cndmask_b32_e32 v12, 0x7e00, v16, vcc_lo
	v_cmp_class_f16_e64 vcc_lo, v13, 0x1f8
	s_delay_alu instid0(VALU_DEP_3) | instskip(SKIP_2) | instid1(VALU_DEP_3)
	v_cvt_f16_f32_e32 v4, v4
	v_cndmask_b32_e32 v16, 0x7e00, v11, vcc_lo
	v_cmp_class_f16_e64 vcc_lo, v17, 0x1f8
	v_cndmask_b32_e32 v4, 0x7e00, v4, vcc_lo
	v_cmp_class_f16_e64 vcc_lo, v10, 0x1f8
	v_add_nc_u64_e32 v[10:11], s[8:9], v[6:7]
	v_add_nc_u64_e32 v[6:7], s[16:17], v[6:7]
	s_delay_alu instid0(VALU_DEP_4) | instskip(SKIP_2) | instid1(VALU_DEP_2)
	v_pack_b32_f16 v13, v12, v4
	v_cndmask_b32_e32 v1, 0x7e00, v1, vcc_lo
	v_cmp_ge_i64_e32 vcc_lo, v[14:15], v[2:3]
	v_pack_b32_f16 v12, v1, v16
	s_or_b32 s22, vcc_lo, s22
	global_store_b64 v[10:11], v[12:13], off
	s_wait_xcnt 0x0
	s_and_not1_b32 exec_lo, exec_lo, s22
	s_cbranch_execz .LBB217_20
.LBB217_4:                              ; =>This Inner Loop Header: Depth=1
	v_add_nc_u64_e32 v[10:11], s[4:5], v[6:7]
                                        ; implicit-def: $vgpr12
	s_mov_b32 s2, exec_lo
	global_load_b64 v[10:11], v[10:11], off
	s_wait_loadcnt 0x0
	v_cvt_f32_f16_e64 v1, |v10|
	s_wait_xcnt 0x0
	s_delay_alu instid0(VALU_DEP_1)
	v_cmpx_ngt_f32_e32 0x48000000, v1
	s_xor_b32 s23, exec_lo, s2
	s_cbranch_execz .LBB217_6
; %bb.5:                                ;   in Loop: Header=BB217_4 Depth=1
	v_and_or_b32 v4, v1, s19, 0x800000
	v_dual_lshrrev_b32 v1, 23, v1 :: v_dual_mov_b32 v23, v5
	s_delay_alu instid0(VALU_DEP_2) | instskip(SKIP_1) | instid1(VALU_DEP_3)
	v_mul_u64_e32 v[12:13], s[14:15], v[4:5]
	v_mov_b32_e32 v15, v5
	v_add_nc_u32_e32 v1, 0xffffff88, v1
	s_delay_alu instid0(VALU_DEP_1) | instskip(NEXT) | instid1(VALU_DEP_4)
	v_cmp_lt_u32_e32 vcc_lo, 63, v1
	v_mov_b32_e32 v14, v13
	v_cndmask_b32_e64 v13, 0, 0xffffffc0, vcc_lo
	s_delay_alu instid0(VALU_DEP_2) | instskip(NEXT) | instid1(VALU_DEP_1)
	v_mad_nc_u64_u32 v[14:15], 0x3c439041, v4, v[14:15]
	v_dual_mov_b32 v17, v5 :: v_dual_mov_b32 v16, v15
	s_delay_alu instid0(VALU_DEP_1) | instskip(NEXT) | instid1(VALU_DEP_1)
	v_mad_nc_u64_u32 v[16:17], 0xdb629599, v4, v[16:17]
	v_dual_mov_b32 v19, v5 :: v_dual_mov_b32 v18, v17
	s_delay_alu instid0(VALU_DEP_2) | instskip(NEXT) | instid1(VALU_DEP_2)
	v_cndmask_b32_e32 v12, v16, v12, vcc_lo
	v_mad_nc_u64_u32 v[18:19], 0xf534ddc0, v4, v[18:19]
	s_delay_alu instid0(VALU_DEP_1) | instskip(NEXT) | instid1(VALU_DEP_1)
	v_dual_mov_b32 v21, v5 :: v_dual_mov_b32 v20, v19
	v_mad_nc_u64_u32 v[20:21], 0xfc2757d1, v4, v[20:21]
	s_delay_alu instid0(VALU_DEP_1) | instskip(NEXT) | instid1(VALU_DEP_1)
	v_dual_mov_b32 v22, v21 :: v_dual_cndmask_b32 v19, v20, v16
	v_mad_nc_u64_u32 v[22:23], 0x4e441529, v4, v[22:23]
	v_add_nc_u32_e32 v1, v13, v1
	s_delay_alu instid0(VALU_DEP_2) | instskip(NEXT) | instid1(VALU_DEP_2)
	v_dual_mov_b32 v25, v5 :: v_dual_mov_b32 v24, v23
	v_cmp_lt_u32_e64 s2, 31, v1
	s_delay_alu instid0(VALU_DEP_1) | instskip(NEXT) | instid1(VALU_DEP_1)
	v_cndmask_b32_e64 v13, 0, 0xffffffe0, s2
	v_dual_add_nc_u32 v1, v13, v1 :: v_dual_cndmask_b32 v13, v22, v18, vcc_lo
	s_delay_alu instid0(VALU_DEP_4) | instskip(NEXT) | instid1(VALU_DEP_1)
	v_mad_nc_u64_u32 v[24:25], 0xa2f9836e, v4, v[24:25]
	v_cndmask_b32_e32 v15, v24, v20, vcc_lo
	s_delay_alu instid0(VALU_DEP_3) | instskip(NEXT) | instid1(VALU_DEP_3)
	v_cmp_lt_u32_e64 s3, 31, v1
	v_cndmask_b32_e32 v17, v25, v22, vcc_lo
	s_delay_alu instid0(VALU_DEP_2) | instskip(NEXT) | instid1(VALU_DEP_1)
	v_cndmask_b32_e64 v4, 0, 0xffffffe0, s3
	v_dual_cndmask_b32 v4, v18, v14 :: v_dual_add_nc_u32 v1, v4, v1
	s_delay_alu instid0(VALU_DEP_3) | instskip(NEXT) | instid1(VALU_DEP_2)
	v_dual_cndmask_b32 v14, v15, v13, s2 :: v_dual_cndmask_b32 v15, v17, v15, s2
	v_dual_cndmask_b32 v13, v13, v19, s2 :: v_dual_sub_nc_u32 v17, 32, v1
	s_delay_alu instid0(VALU_DEP_3) | instskip(SKIP_1) | instid1(VALU_DEP_3)
	v_cndmask_b32_e64 v18, v19, v4, s2
	v_cmp_eq_u32_e32 vcc_lo, 0, v1
	v_dual_cndmask_b32 v15, v15, v14, s3 :: v_dual_cndmask_b32 v14, v14, v13, s3
	v_cndmask_b32_e64 v4, v4, v12, s2
	s_delay_alu instid0(VALU_DEP_2) | instskip(NEXT) | instid1(VALU_DEP_1)
	v_alignbit_b32 v19, v15, v14, v17
	v_dual_cndmask_b32 v13, v13, v18, s3 :: v_dual_cndmask_b32 v1, v19, v15, vcc_lo
	s_delay_alu instid0(VALU_DEP_1) | instskip(NEXT) | instid1(VALU_DEP_1)
	v_alignbit_b32 v16, v14, v13, v17
	v_cndmask_b32_e32 v12, v16, v14, vcc_lo
	s_delay_alu instid0(VALU_DEP_3) | instskip(NEXT) | instid1(VALU_DEP_1)
	v_bfe_u32 v14, v1, 29, 1
	v_dual_sub_nc_u32 v16, 0, v14 :: v_dual_cndmask_b32 v4, v18, v4, s3
	s_delay_alu instid0(VALU_DEP_3) | instskip(NEXT) | instid1(VALU_DEP_2)
	v_alignbit_b32 v15, v1, v12, 30
	v_alignbit_b32 v17, v13, v4, v17
	s_delay_alu instid0(VALU_DEP_1) | instskip(NEXT) | instid1(VALU_DEP_1)
	v_dual_cndmask_b32 v13, v17, v13, vcc_lo :: v_dual_bitop2_b32 v15, v15, v16 bitop3:0x14
	v_clz_i32_u32_e32 v17, v15
	s_delay_alu instid0(VALU_DEP_2) | instskip(NEXT) | instid1(VALU_DEP_2)
	v_alignbit_b32 v12, v12, v13, 30
	v_min_u32_e32 v17, 32, v17
	v_alignbit_b32 v4, v13, v4, 30
	s_delay_alu instid0(VALU_DEP_2) | instskip(NEXT) | instid1(VALU_DEP_2)
	v_dual_sub_nc_u32 v13, 31, v17 :: v_dual_bitop2_b32 v12, v12, v16 bitop3:0x14
	v_dual_lshrrev_b32 v16, 29, v1 :: v_dual_bitop2_b32 v4, v4, v16 bitop3:0x14
	v_lshlrev_b32_e32 v18, 23, v17
	s_delay_alu instid0(VALU_DEP_3) | instskip(NEXT) | instid1(VALU_DEP_3)
	v_alignbit_b32 v15, v15, v12, v13
	v_alignbit_b32 v4, v12, v4, v13
	s_delay_alu instid0(VALU_DEP_4) | instskip(NEXT) | instid1(VALU_DEP_2)
	v_lshlrev_b32_e32 v12, 31, v16
	v_alignbit_b32 v13, v15, v4, 9
	s_delay_alu instid0(VALU_DEP_2) | instskip(SKIP_1) | instid1(VALU_DEP_3)
	v_dual_lshrrev_b32 v15, 9, v15 :: v_dual_bitop2_b32 v16, 0.5, v12 bitop3:0x54
	v_or_b32_e32 v12, 0x33000000, v12
	v_clz_i32_u32_e32 v19, v13
	s_delay_alu instid0(VALU_DEP_3) | instskip(NEXT) | instid1(VALU_DEP_2)
	v_sub_nc_u32_e32 v16, v16, v18
	v_min_u32_e32 v18, 32, v19
	s_delay_alu instid0(VALU_DEP_1) | instskip(NEXT) | instid1(VALU_DEP_3)
	v_add_lshl_u32 v17, v18, v17, 23
	v_or_b32_e32 v15, v15, v16
	v_not_b32_e32 v16, v18
	s_delay_alu instid0(VALU_DEP_2) | instskip(NEXT) | instid1(VALU_DEP_2)
	v_dual_mul_f32 v19, 0x3fc90fda, v15 :: v_dual_sub_nc_u32 v12, v12, v17
	v_alignbit_b32 v4, v13, v4, v16
	s_delay_alu instid0(VALU_DEP_2) | instskip(NEXT) | instid1(VALU_DEP_1)
	v_fma_f32 v13, 0x3fc90fda, v15, -v19
	v_dual_fmac_f32 v13, 0x33a22168, v15 :: v_dual_lshrrev_b32 v4, 9, v4
	s_delay_alu instid0(VALU_DEP_1) | instskip(NEXT) | instid1(VALU_DEP_1)
	v_or_b32_e32 v4, v12, v4
	v_dual_fmac_f32 v13, 0x3fc90fda, v4 :: v_dual_lshrrev_b32 v4, 30, v1
	s_delay_alu instid0(VALU_DEP_1)
	v_dual_add_f32 v1, v19, v13 :: v_dual_add_nc_u32 v12, v14, v4
.LBB217_6:                              ;   in Loop: Header=BB217_4 Depth=1
	s_and_not1_saveexec_b32 s2, s23
; %bb.7:                                ;   in Loop: Header=BB217_4 Depth=1
	s_delay_alu instid0(VALU_DEP_1) | instskip(NEXT) | instid1(VALU_DEP_1)
	v_mul_f32_e32 v4, 0x3f22f983, v1
	v_rndne_f32_e32 v4, v4
	s_delay_alu instid0(VALU_DEP_1) | instskip(SKIP_1) | instid1(VALU_DEP_2)
	v_fmac_f32_e32 v1, 0xbfc90fda, v4
	v_cvt_i32_f32_e32 v12, v4
	v_fmac_f32_e32 v1, 0xb3a22168, v4
	s_delay_alu instid0(VALU_DEP_1)
	v_fmac_f32_e32 v1, 0xa7c234c4, v4
; %bb.8:                                ;   in Loop: Header=BB217_4 Depth=1
	s_or_b32 exec_lo, exec_lo, s2
	v_lshrrev_b32_e32 v13, 16, v10
                                        ; implicit-def: $vgpr15
	s_mov_b32 s2, exec_lo
	s_delay_alu instid0(VALU_DEP_1) | instskip(NEXT) | instid1(VALU_DEP_1)
	v_cvt_f32_f16_e64 v14, |v13|
	v_cmpx_ngt_f32_e32 0x48000000, v14
	s_xor_b32 s23, exec_lo, s2
	s_cbranch_execz .LBB217_10
; %bb.9:                                ;   in Loop: Header=BB217_4 Depth=1
	v_and_or_b32 v4, v14, s19, 0x800000
	v_dual_mov_b32 v15, v5 :: v_dual_mov_b32 v27, v5
	s_delay_alu instid0(VALU_DEP_2) | instskip(NEXT) | instid1(VALU_DEP_1)
	v_mul_u64_e32 v[16:17], s[14:15], v[4:5]
	v_dual_mov_b32 v19, v5 :: v_dual_mov_b32 v18, v17
	v_lshrrev_b32_e32 v17, 23, v14
	s_delay_alu instid0(VALU_DEP_2) | instskip(SKIP_1) | instid1(VALU_DEP_3)
	v_mad_nc_u64_u32 v[18:19], 0x3c439041, v4, v[18:19]
	v_mov_b32_e32 v21, v5
	v_add_nc_u32_e32 v17, 0xffffff88, v17
	s_delay_alu instid0(VALU_DEP_1) | instskip(NEXT) | instid1(VALU_DEP_4)
	v_cmp_lt_u32_e32 vcc_lo, 63, v17
	v_mov_b32_e32 v20, v19
	v_cndmask_b32_e64 v19, 0, 0xffffffc0, vcc_lo
	s_delay_alu instid0(VALU_DEP_2) | instskip(NEXT) | instid1(VALU_DEP_2)
	v_mad_nc_u64_u32 v[20:21], 0xdb629599, v4, v[20:21]
	v_dual_mov_b32 v23, v5 :: v_dual_add_nc_u32 v17, v19, v17
	s_delay_alu instid0(VALU_DEP_1) | instskip(NEXT) | instid1(VALU_DEP_3)
	v_cmp_lt_u32_e64 s2, 31, v17
	v_dual_mov_b32 v22, v21 :: v_dual_cndmask_b32 v16, v20, v16, vcc_lo
	s_delay_alu instid0(VALU_DEP_1) | instskip(NEXT) | instid1(VALU_DEP_1)
	v_mad_nc_u64_u32 v[22:23], 0xf534ddc0, v4, v[22:23]
	v_dual_mov_b32 v25, v5 :: v_dual_mov_b32 v24, v23
	s_delay_alu instid0(VALU_DEP_1) | instskip(NEXT) | instid1(VALU_DEP_1)
	v_mad_nc_u64_u32 v[24:25], 0xfc2757d1, v4, v[24:25]
	v_dual_mov_b32 v14, v25 :: v_dual_cndmask_b32 v21, v24, v20
	s_delay_alu instid0(VALU_DEP_1) | instskip(NEXT) | instid1(VALU_DEP_1)
	v_mad_nc_u64_u32 v[14:15], 0x4e441529, v4, v[14:15]
	v_mov_b32_e32 v26, v15
	v_cndmask_b32_e64 v15, 0, 0xffffffe0, s2
	s_delay_alu instid0(VALU_DEP_2) | instskip(NEXT) | instid1(VALU_DEP_2)
	v_mad_nc_u64_u32 v[26:27], 0xa2f9836e, v4, v[26:27]
	v_dual_cndmask_b32 v17, v14, v22 :: v_dual_add_nc_u32 v4, v15, v17
	s_delay_alu instid0(VALU_DEP_1) | instskip(NEXT) | instid1(VALU_DEP_1)
	v_cmp_lt_u32_e64 s3, 31, v4
	v_cndmask_b32_e64 v15, 0, 0xffffffe0, s3
	s_delay_alu instid0(VALU_DEP_4) | instskip(NEXT) | instid1(VALU_DEP_2)
	v_dual_cndmask_b32 v19, v26, v24 :: v_dual_cndmask_b32 v14, v27, v14
	v_dual_cndmask_b32 v15, v22, v18 :: v_dual_add_nc_u32 v4, v15, v4
	s_delay_alu instid0(VALU_DEP_2) | instskip(NEXT) | instid1(VALU_DEP_2)
	v_dual_cndmask_b32 v18, v19, v17, s2 :: v_dual_cndmask_b32 v14, v14, v19, s2
	v_dual_cndmask_b32 v17, v17, v21, s2 :: v_dual_sub_nc_u32 v19, 32, v4
	s_delay_alu instid0(VALU_DEP_3) | instskip(SKIP_1) | instid1(VALU_DEP_4)
	v_cndmask_b32_e64 v21, v21, v15, s2
	v_cmp_eq_u32_e32 vcc_lo, 0, v4
	v_cndmask_b32_e64 v14, v14, v18, s3
	s_delay_alu instid0(VALU_DEP_4) | instskip(NEXT) | instid1(VALU_DEP_1)
	v_cndmask_b32_e64 v18, v18, v17, s3
	v_alignbit_b32 v22, v14, v18, v19
	s_delay_alu instid0(VALU_DEP_1) | instskip(NEXT) | instid1(VALU_DEP_1)
	v_dual_cndmask_b32 v17, v17, v21, s3 :: v_dual_cndmask_b32 v4, v22, v14, vcc_lo
	v_alignbit_b32 v20, v18, v17, v19
	v_cndmask_b32_e64 v14, v15, v16, s2
	s_delay_alu instid0(VALU_DEP_3) | instskip(NEXT) | instid1(VALU_DEP_3)
	v_bfe_u32 v16, v4, 29, 1
	v_cndmask_b32_e32 v15, v20, v18, vcc_lo
	s_delay_alu instid0(VALU_DEP_2) | instskip(NEXT) | instid1(VALU_DEP_2)
	v_dual_cndmask_b32 v14, v21, v14, s3 :: v_dual_sub_nc_u32 v20, 0, v16
	v_alignbit_b32 v18, v4, v15, 30
	s_delay_alu instid0(VALU_DEP_2) | instskip(NEXT) | instid1(VALU_DEP_1)
	v_alignbit_b32 v19, v17, v14, v19
	v_dual_cndmask_b32 v17, v19, v17, vcc_lo :: v_dual_bitop2_b32 v18, v18, v20 bitop3:0x14
	s_delay_alu instid0(VALU_DEP_1) | instskip(NEXT) | instid1(VALU_DEP_2)
	v_clz_i32_u32_e32 v19, v18
	v_alignbit_b32 v15, v15, v17, 30
	v_alignbit_b32 v14, v17, v14, 30
	s_delay_alu instid0(VALU_DEP_3) | instskip(NEXT) | instid1(VALU_DEP_3)
	v_min_u32_e32 v19, 32, v19
	v_xor_b32_e32 v15, v15, v20
	s_delay_alu instid0(VALU_DEP_3) | instskip(SKIP_1) | instid1(VALU_DEP_4)
	v_xor_b32_e32 v14, v14, v20
	v_dual_lshrrev_b32 v20, 29, v4 :: v_dual_lshrrev_b32 v4, 30, v4
	v_dual_sub_nc_u32 v17, 31, v19 :: v_dual_lshlrev_b32 v21, 23, v19
	s_delay_alu instid0(VALU_DEP_1) | instskip(NEXT) | instid1(VALU_DEP_4)
	v_alignbit_b32 v18, v18, v15, v17
	v_alignbit_b32 v14, v15, v14, v17
	s_delay_alu instid0(VALU_DEP_4) | instskip(NEXT) | instid1(VALU_DEP_2)
	v_lshlrev_b32_e32 v15, 31, v20
	v_alignbit_b32 v17, v18, v14, 9
	s_delay_alu instid0(VALU_DEP_2) | instskip(SKIP_1) | instid1(VALU_DEP_3)
	v_dual_lshrrev_b32 v18, 9, v18 :: v_dual_bitop2_b32 v20, 0.5, v15 bitop3:0x54
	v_or_b32_e32 v15, 0x33000000, v15
	v_clz_i32_u32_e32 v22, v17
	s_delay_alu instid0(VALU_DEP_3) | instskip(NEXT) | instid1(VALU_DEP_2)
	v_sub_nc_u32_e32 v20, v20, v21
	v_min_u32_e32 v21, 32, v22
	s_delay_alu instid0(VALU_DEP_1) | instskip(NEXT) | instid1(VALU_DEP_1)
	v_add_lshl_u32 v19, v21, v19, 23
	v_dual_sub_nc_u32 v15, v15, v19 :: v_dual_bitop2_b32 v18, v18, v20 bitop3:0x54
	v_not_b32_e32 v20, v21
	s_delay_alu instid0(VALU_DEP_1) | instskip(NEXT) | instid1(VALU_DEP_1)
	v_alignbit_b32 v14, v17, v14, v20
	v_lshrrev_b32_e32 v14, 9, v14
	s_delay_alu instid0(VALU_DEP_4) | instskip(NEXT) | instid1(VALU_DEP_2)
	v_mul_f32_e32 v22, 0x3fc90fda, v18
	v_dual_add_nc_u32 v15, v16, v4 :: v_dual_bitop2_b32 v14, v15, v14 bitop3:0x54
	s_delay_alu instid0(VALU_DEP_2) | instskip(NEXT) | instid1(VALU_DEP_1)
	v_fma_f32 v17, 0x3fc90fda, v18, -v22
	v_fmac_f32_e32 v17, 0x33a22168, v18
	s_delay_alu instid0(VALU_DEP_1) | instskip(NEXT) | instid1(VALU_DEP_1)
	v_fmac_f32_e32 v17, 0x3fc90fda, v14
	v_add_f32_e32 v14, v22, v17
.LBB217_10:                             ;   in Loop: Header=BB217_4 Depth=1
	s_and_not1_saveexec_b32 s2, s23
; %bb.11:                               ;   in Loop: Header=BB217_4 Depth=1
	s_delay_alu instid0(VALU_DEP_1) | instskip(NEXT) | instid1(VALU_DEP_1)
	v_mul_f32_e32 v4, 0x3f22f983, v14
	v_rndne_f32_e32 v4, v4
	s_delay_alu instid0(VALU_DEP_1) | instskip(SKIP_1) | instid1(VALU_DEP_2)
	v_fmac_f32_e32 v14, 0xbfc90fda, v4
	v_cvt_i32_f32_e32 v15, v4
	v_fmac_f32_e32 v14, 0xb3a22168, v4
	s_delay_alu instid0(VALU_DEP_1)
	v_fmac_f32_e32 v14, 0xa7c234c4, v4
; %bb.12:                               ;   in Loop: Header=BB217_4 Depth=1
	s_or_b32 exec_lo, exec_lo, s2
	v_cvt_f32_f16_e64 v16, |v11|
                                        ; implicit-def: $vgpr18
	s_mov_b32 s2, exec_lo
	s_delay_alu instid0(VALU_DEP_1)
	v_cmpx_ngt_f32_e32 0x48000000, v16
	s_xor_b32 s23, exec_lo, s2
	s_cbranch_execz .LBB217_14
; %bb.13:                               ;   in Loop: Header=BB217_4 Depth=1
	v_and_or_b32 v4, v16, s19, 0x800000
	v_mov_b32_e32 v17, v5
	s_delay_alu instid0(VALU_DEP_2) | instskip(NEXT) | instid1(VALU_DEP_1)
	v_mul_u64_e32 v[18:19], s[14:15], v[4:5]
	v_dual_mov_b32 v21, v5 :: v_dual_mov_b32 v20, v19
	v_lshrrev_b32_e32 v19, 23, v16
	s_delay_alu instid0(VALU_DEP_2) | instskip(SKIP_1) | instid1(VALU_DEP_3)
	v_mad_nc_u64_u32 v[20:21], 0x3c439041, v4, v[20:21]
	v_mov_b32_e32 v23, v5
	v_add_nc_u32_e32 v19, 0xffffff88, v19
	s_delay_alu instid0(VALU_DEP_1) | instskip(NEXT) | instid1(VALU_DEP_4)
	v_cmp_lt_u32_e32 vcc_lo, 63, v19
	v_mov_b32_e32 v22, v21
	v_cndmask_b32_e64 v21, 0, 0xffffffc0, vcc_lo
	s_delay_alu instid0(VALU_DEP_2) | instskip(NEXT) | instid1(VALU_DEP_1)
	v_mad_nc_u64_u32 v[22:23], 0xdb629599, v4, v[22:23]
	v_dual_mov_b32 v25, v5 :: v_dual_mov_b32 v24, v23
	s_delay_alu instid0(VALU_DEP_2) | instskip(NEXT) | instid1(VALU_DEP_2)
	v_cndmask_b32_e32 v18, v22, v18, vcc_lo
	v_mad_nc_u64_u32 v[24:25], 0xf534ddc0, v4, v[24:25]
	s_delay_alu instid0(VALU_DEP_1) | instskip(NEXT) | instid1(VALU_DEP_1)
	v_dual_mov_b32 v27, v5 :: v_dual_mov_b32 v26, v25
	v_mad_nc_u64_u32 v[26:27], 0xfc2757d1, v4, v[26:27]
	s_delay_alu instid0(VALU_DEP_1) | instskip(NEXT) | instid1(VALU_DEP_1)
	v_dual_mov_b32 v16, v27 :: v_dual_cndmask_b32 v23, v26, v22
	v_mad_nc_u64_u32 v[16:17], 0x4e441529, v4, v[16:17]
	s_delay_alu instid0(VALU_DEP_1) | instskip(NEXT) | instid1(VALU_DEP_1)
	v_dual_mov_b32 v29, v5 :: v_dual_mov_b32 v28, v17
	v_mad_nc_u64_u32 v[28:29], 0xa2f9836e, v4, v[28:29]
	s_delay_alu instid0(VALU_DEP_1) | instskip(NEXT) | instid1(VALU_DEP_1)
	v_dual_add_nc_u32 v19, v21, v19 :: v_dual_cndmask_b32 v21, v28, v26, vcc_lo
	v_cmp_lt_u32_e64 s2, 31, v19
	s_delay_alu instid0(VALU_DEP_1) | instskip(NEXT) | instid1(VALU_DEP_1)
	v_cndmask_b32_e64 v17, 0, 0xffffffe0, s2
	v_dual_cndmask_b32 v19, v16, v24 :: v_dual_add_nc_u32 v4, v17, v19
	v_cndmask_b32_e32 v16, v29, v16, vcc_lo
	s_delay_alu instid0(VALU_DEP_2) | instskip(NEXT) | instid1(VALU_DEP_2)
	v_cmp_lt_u32_e64 s3, 31, v4
	v_cndmask_b32_e64 v16, v16, v21, s2
	s_delay_alu instid0(VALU_DEP_2) | instskip(NEXT) | instid1(VALU_DEP_1)
	v_cndmask_b32_e64 v17, 0, 0xffffffe0, s3
	v_add_nc_u32_e32 v4, v17, v4
	v_dual_cndmask_b32 v17, v24, v20, vcc_lo :: v_dual_cndmask_b32 v20, v21, v19, s2
	s_delay_alu instid0(VALU_DEP_2) | instskip(NEXT) | instid1(VALU_DEP_2)
	v_dual_cndmask_b32 v19, v19, v23, s2 :: v_dual_sub_nc_u32 v21, 32, v4
	v_dual_cndmask_b32 v23, v23, v17, s2 :: v_dual_cndmask_b32 v16, v16, v20, s3
	s_delay_alu instid0(VALU_DEP_2) | instskip(SKIP_1) | instid1(VALU_DEP_2)
	v_cndmask_b32_e64 v20, v20, v19, s3
	v_cmp_eq_u32_e32 vcc_lo, 0, v4
	v_alignbit_b32 v24, v16, v20, v21
	s_delay_alu instid0(VALU_DEP_1) | instskip(NEXT) | instid1(VALU_DEP_1)
	v_dual_cndmask_b32 v19, v19, v23, s3 :: v_dual_cndmask_b32 v4, v24, v16, vcc_lo
	v_alignbit_b32 v22, v20, v19, v21
	v_cndmask_b32_e64 v16, v17, v18, s2
	s_delay_alu instid0(VALU_DEP_3) | instskip(NEXT) | instid1(VALU_DEP_3)
	v_bfe_u32 v18, v4, 29, 1
	v_cndmask_b32_e32 v17, v22, v20, vcc_lo
	s_delay_alu instid0(VALU_DEP_2) | instskip(NEXT) | instid1(VALU_DEP_2)
	v_dual_cndmask_b32 v16, v23, v16, s3 :: v_dual_sub_nc_u32 v22, 0, v18
	v_alignbit_b32 v20, v4, v17, 30
	s_delay_alu instid0(VALU_DEP_2) | instskip(NEXT) | instid1(VALU_DEP_1)
	v_alignbit_b32 v21, v19, v16, v21
	v_dual_cndmask_b32 v19, v21, v19, vcc_lo :: v_dual_bitop2_b32 v20, v20, v22 bitop3:0x14
	s_delay_alu instid0(VALU_DEP_1) | instskip(NEXT) | instid1(VALU_DEP_2)
	v_clz_i32_u32_e32 v21, v20
	v_alignbit_b32 v17, v17, v19, 30
	v_alignbit_b32 v16, v19, v16, 30
	s_delay_alu instid0(VALU_DEP_3) | instskip(NEXT) | instid1(VALU_DEP_3)
	v_min_u32_e32 v21, 32, v21
	v_xor_b32_e32 v17, v17, v22
	s_delay_alu instid0(VALU_DEP_3) | instskip(NEXT) | instid1(VALU_DEP_3)
	v_dual_lshrrev_b32 v22, 29, v4 :: v_dual_bitop2_b32 v16, v16, v22 bitop3:0x14
	v_dual_sub_nc_u32 v19, 31, v21 :: v_dual_lshlrev_b32 v23, 23, v21
	s_delay_alu instid0(VALU_DEP_1) | instskip(NEXT) | instid1(VALU_DEP_3)
	v_alignbit_b32 v20, v20, v17, v19
	v_alignbit_b32 v16, v17, v16, v19
	s_delay_alu instid0(VALU_DEP_4) | instskip(NEXT) | instid1(VALU_DEP_2)
	v_lshlrev_b32_e32 v17, 31, v22
	v_alignbit_b32 v19, v20, v16, 9
	s_delay_alu instid0(VALU_DEP_2) | instskip(SKIP_1) | instid1(VALU_DEP_3)
	v_dual_lshrrev_b32 v20, 9, v20 :: v_dual_bitop2_b32 v22, 0.5, v17 bitop3:0x54
	v_or_b32_e32 v17, 0x33000000, v17
	v_clz_i32_u32_e32 v24, v19
	s_delay_alu instid0(VALU_DEP_3) | instskip(NEXT) | instid1(VALU_DEP_2)
	v_sub_nc_u32_e32 v22, v22, v23
	v_min_u32_e32 v23, 32, v24
	s_delay_alu instid0(VALU_DEP_1) | instskip(NEXT) | instid1(VALU_DEP_1)
	v_add_lshl_u32 v21, v23, v21, 23
	v_dual_sub_nc_u32 v17, v17, v21 :: v_dual_bitop2_b32 v20, v20, v22 bitop3:0x54
	v_not_b32_e32 v22, v23
	s_delay_alu instid0(VALU_DEP_1) | instskip(NEXT) | instid1(VALU_DEP_1)
	v_alignbit_b32 v16, v19, v16, v22
	v_lshrrev_b32_e32 v16, 9, v16
	s_delay_alu instid0(VALU_DEP_4) | instskip(NEXT) | instid1(VALU_DEP_2)
	v_mul_f32_e32 v24, 0x3fc90fda, v20
	v_or_b32_e32 v16, v17, v16
	s_delay_alu instid0(VALU_DEP_2) | instskip(NEXT) | instid1(VALU_DEP_1)
	v_fma_f32 v19, 0x3fc90fda, v20, -v24
	v_fmac_f32_e32 v19, 0x33a22168, v20
	s_delay_alu instid0(VALU_DEP_1) | instskip(NEXT) | instid1(VALU_DEP_1)
	v_fmac_f32_e32 v19, 0x3fc90fda, v16
	v_dual_lshrrev_b32 v4, 30, v4 :: v_dual_add_f32 v16, v24, v19
	s_delay_alu instid0(VALU_DEP_1)
	v_add_nc_u32_e32 v18, v18, v4
.LBB217_14:                             ;   in Loop: Header=BB217_4 Depth=1
	s_and_not1_saveexec_b32 s2, s23
; %bb.15:                               ;   in Loop: Header=BB217_4 Depth=1
	s_delay_alu instid0(VALU_DEP_2) | instskip(NEXT) | instid1(VALU_DEP_1)
	v_mul_f32_e32 v4, 0x3f22f983, v16
	v_rndne_f32_e32 v4, v4
	s_delay_alu instid0(VALU_DEP_1) | instskip(SKIP_1) | instid1(VALU_DEP_2)
	v_fmac_f32_e32 v16, 0xbfc90fda, v4
	v_cvt_i32_f32_e32 v18, v4
	v_fmac_f32_e32 v16, 0xb3a22168, v4
	s_delay_alu instid0(VALU_DEP_1)
	v_fmac_f32_e32 v16, 0xa7c234c4, v4
; %bb.16:                               ;   in Loop: Header=BB217_4 Depth=1
	s_or_b32 exec_lo, exec_lo, s2
	v_lshrrev_b32_e32 v17, 16, v11
                                        ; implicit-def: $vgpr4
	s_mov_b32 s2, exec_lo
	s_delay_alu instid0(VALU_DEP_1) | instskip(NEXT) | instid1(VALU_DEP_1)
	v_cvt_f32_f16_e64 v19, |v17|
	v_cmpx_ngt_f32_e32 0x48000000, v19
	s_xor_b32 s23, exec_lo, s2
	s_cbranch_execz .LBB217_18
; %bb.17:                               ;   in Loop: Header=BB217_4 Depth=1
	v_and_or_b32 v4, v19, s19, 0x800000
	v_dual_lshrrev_b32 v19, 23, v19 :: v_dual_mov_b32 v31, v5
	s_delay_alu instid0(VALU_DEP_2) | instskip(SKIP_1) | instid1(VALU_DEP_3)
	v_mul_u64_e32 v[20:21], s[14:15], v[4:5]
	v_mov_b32_e32 v23, v5
	v_add_nc_u32_e32 v19, 0xffffff88, v19
	s_delay_alu instid0(VALU_DEP_1) | instskip(NEXT) | instid1(VALU_DEP_4)
	v_cmp_lt_u32_e32 vcc_lo, 63, v19
	v_mov_b32_e32 v22, v21
	v_cndmask_b32_e64 v21, 0, 0xffffffc0, vcc_lo
	s_delay_alu instid0(VALU_DEP_2) | instskip(NEXT) | instid1(VALU_DEP_1)
	v_mad_nc_u64_u32 v[22:23], 0x3c439041, v4, v[22:23]
	v_dual_mov_b32 v25, v5 :: v_dual_mov_b32 v24, v23
	s_delay_alu instid0(VALU_DEP_1) | instskip(NEXT) | instid1(VALU_DEP_1)
	v_mad_nc_u64_u32 v[24:25], 0xdb629599, v4, v[24:25]
	v_dual_mov_b32 v27, v5 :: v_dual_mov_b32 v26, v25
	s_delay_alu instid0(VALU_DEP_2) | instskip(NEXT) | instid1(VALU_DEP_2)
	v_cndmask_b32_e32 v20, v24, v20, vcc_lo
	v_mad_nc_u64_u32 v[26:27], 0xf534ddc0, v4, v[26:27]
	s_delay_alu instid0(VALU_DEP_1) | instskip(NEXT) | instid1(VALU_DEP_1)
	v_dual_mov_b32 v29, v5 :: v_dual_mov_b32 v28, v27
	v_mad_nc_u64_u32 v[28:29], 0xfc2757d1, v4, v[28:29]
	s_delay_alu instid0(VALU_DEP_1) | instskip(NEXT) | instid1(VALU_DEP_1)
	v_dual_mov_b32 v30, v29 :: v_dual_cndmask_b32 v27, v28, v24
	v_mad_nc_u64_u32 v[30:31], 0x4e441529, v4, v[30:31]
	v_add_nc_u32_e32 v19, v21, v19
	s_delay_alu instid0(VALU_DEP_2) | instskip(NEXT) | instid1(VALU_DEP_2)
	v_dual_mov_b32 v33, v5 :: v_dual_mov_b32 v32, v31
	v_cmp_lt_u32_e64 s2, 31, v19
	s_delay_alu instid0(VALU_DEP_2) | instskip(NEXT) | instid1(VALU_DEP_2)
	v_mad_nc_u64_u32 v[32:33], 0xa2f9836e, v4, v[32:33]
	v_cndmask_b32_e64 v21, 0, 0xffffffe0, s2
	s_delay_alu instid0(VALU_DEP_1) | instskip(NEXT) | instid1(VALU_DEP_3)
	v_dual_cndmask_b32 v21, v30, v26 :: v_dual_add_nc_u32 v4, v21, v19
	v_cndmask_b32_e32 v23, v32, v28, vcc_lo
	s_delay_alu instid0(VALU_DEP_2) | instskip(SKIP_1) | instid1(VALU_DEP_2)
	v_cmp_lt_u32_e64 s3, 31, v4
	v_cndmask_b32_e32 v25, v33, v30, vcc_lo
	v_cndmask_b32_e64 v19, 0, 0xffffffe0, s3
	s_delay_alu instid0(VALU_DEP_1) | instskip(NEXT) | instid1(VALU_DEP_3)
	v_dual_cndmask_b32 v19, v26, v22 :: v_dual_add_nc_u32 v4, v19, v4
	v_dual_cndmask_b32 v22, v23, v21, s2 :: v_dual_cndmask_b32 v23, v25, v23, s2
	s_delay_alu instid0(VALU_DEP_2) | instskip(NEXT) | instid1(VALU_DEP_3)
	v_dual_cndmask_b32 v21, v21, v27, s2 :: v_dual_sub_nc_u32 v25, 32, v4
	v_cndmask_b32_e64 v26, v27, v19, s2
	v_cmp_eq_u32_e32 vcc_lo, 0, v4
	s_delay_alu instid0(VALU_DEP_3) | instskip(NEXT) | instid1(VALU_DEP_1)
	v_dual_cndmask_b32 v23, v23, v22, s3 :: v_dual_cndmask_b32 v22, v22, v21, s3
	v_alignbit_b32 v27, v23, v22, v25
	s_delay_alu instid0(VALU_DEP_1) | instskip(NEXT) | instid1(VALU_DEP_1)
	v_dual_cndmask_b32 v21, v21, v26, s3 :: v_dual_cndmask_b32 v4, v27, v23, vcc_lo
	v_alignbit_b32 v24, v22, v21, v25
	s_delay_alu instid0(VALU_DEP_1) | instskip(NEXT) | instid1(VALU_DEP_3)
	v_dual_cndmask_b32 v19, v19, v20, s2 :: v_dual_cndmask_b32 v20, v24, v22, vcc_lo
	v_bfe_u32 v22, v4, 29, 1
	s_delay_alu instid0(VALU_DEP_2) | instskip(NEXT) | instid1(VALU_DEP_3)
	v_cndmask_b32_e64 v19, v26, v19, s3
	v_alignbit_b32 v23, v4, v20, 30
	s_delay_alu instid0(VALU_DEP_3) | instskip(NEXT) | instid1(VALU_DEP_3)
	v_sub_nc_u32_e32 v24, 0, v22
	v_alignbit_b32 v25, v21, v19, v25
	s_delay_alu instid0(VALU_DEP_1) | instskip(NEXT) | instid1(VALU_DEP_1)
	v_dual_cndmask_b32 v21, v25, v21, vcc_lo :: v_dual_bitop2_b32 v23, v23, v24 bitop3:0x14
	v_clz_i32_u32_e32 v25, v23
	s_delay_alu instid0(VALU_DEP_2) | instskip(SKIP_1) | instid1(VALU_DEP_3)
	v_alignbit_b32 v20, v20, v21, 30
	v_alignbit_b32 v19, v21, v19, 30
	v_min_u32_e32 v25, 32, v25
	s_delay_alu instid0(VALU_DEP_3) | instskip(NEXT) | instid1(VALU_DEP_3)
	v_xor_b32_e32 v20, v20, v24
	v_xor_b32_e32 v19, v19, v24
	v_dual_lshrrev_b32 v24, 29, v4 :: v_dual_lshrrev_b32 v4, 30, v4
	s_delay_alu instid0(VALU_DEP_4) | instskip(NEXT) | instid1(VALU_DEP_2)
	v_dual_sub_nc_u32 v21, 31, v25 :: v_dual_lshlrev_b32 v26, 23, v25
	v_add_nc_u32_e32 v4, v22, v4
	s_delay_alu instid0(VALU_DEP_2) | instskip(SKIP_2) | instid1(VALU_DEP_2)
	v_alignbit_b32 v23, v23, v20, v21
	v_alignbit_b32 v19, v20, v19, v21
	v_lshlrev_b32_e32 v20, 31, v24
	v_alignbit_b32 v21, v23, v19, 9
	s_delay_alu instid0(VALU_DEP_2) | instskip(SKIP_1) | instid1(VALU_DEP_3)
	v_dual_lshrrev_b32 v23, 9, v23 :: v_dual_bitop2_b32 v24, 0.5, v20 bitop3:0x54
	v_or_b32_e32 v20, 0x33000000, v20
	v_clz_i32_u32_e32 v27, v21
	s_delay_alu instid0(VALU_DEP_3) | instskip(NEXT) | instid1(VALU_DEP_2)
	v_sub_nc_u32_e32 v24, v24, v26
	v_min_u32_e32 v26, 32, v27
	s_delay_alu instid0(VALU_DEP_1) | instskip(NEXT) | instid1(VALU_DEP_3)
	v_add_lshl_u32 v25, v26, v25, 23
	v_or_b32_e32 v23, v23, v24
	v_not_b32_e32 v24, v26
	s_delay_alu instid0(VALU_DEP_2) | instskip(NEXT) | instid1(VALU_DEP_2)
	v_dual_mul_f32 v27, 0x3fc90fda, v23 :: v_dual_sub_nc_u32 v20, v20, v25
	v_alignbit_b32 v19, v21, v19, v24
	s_delay_alu instid0(VALU_DEP_2) | instskip(NEXT) | instid1(VALU_DEP_2)
	v_fma_f32 v21, 0x3fc90fda, v23, -v27
	v_lshrrev_b32_e32 v19, 9, v19
	s_delay_alu instid0(VALU_DEP_2) | instskip(NEXT) | instid1(VALU_DEP_2)
	v_fmac_f32_e32 v21, 0x33a22168, v23
	v_or_b32_e32 v19, v20, v19
	s_delay_alu instid0(VALU_DEP_1) | instskip(NEXT) | instid1(VALU_DEP_1)
	v_fmac_f32_e32 v21, 0x3fc90fda, v19
	v_add_f32_e32 v19, v27, v21
.LBB217_18:                             ;   in Loop: Header=BB217_4 Depth=1
	s_and_not1_saveexec_b32 s2, s23
	s_cbranch_execz .LBB217_3
; %bb.19:                               ;   in Loop: Header=BB217_4 Depth=1
	s_delay_alu instid0(VALU_DEP_1) | instskip(NEXT) | instid1(VALU_DEP_1)
	v_mul_f32_e32 v4, 0x3f22f983, v19
	v_rndne_f32_e32 v4, v4
	s_delay_alu instid0(VALU_DEP_1) | instskip(NEXT) | instid1(VALU_DEP_1)
	v_fmac_f32_e32 v19, 0xbfc90fda, v4
	v_fmac_f32_e32 v19, 0xb3a22168, v4
	s_delay_alu instid0(VALU_DEP_1)
	v_fmac_f32_e32 v19, 0xa7c234c4, v4
	v_cvt_i32_f32_e32 v4, v4
	s_branch .LBB217_3
.LBB217_20:
	s_or_b32 exec_lo, exec_lo, s18
	s_mov_b32 s2, 0
.LBB217_21:
	s_delay_alu instid0(SALU_CYCLE_1)
	s_and_not1_b32 vcc_lo, exec_lo, s2
	s_cbranch_vccnz .LBB217_57
; %bb.22:
	v_cmp_lt_i64_e64 s2, s[10:11], 1
	s_and_b32 vcc_lo, exec_lo, s2
	s_cbranch_vccnz .LBB217_57
; %bb.23:
	s_load_b32 s0, s[0:1], 0xc5c
	v_min_i64 v[2:3], 0x10000, s[10:11]
	v_min_u64 v[6:7], 0x10000, s[10:11]
	v_dual_mov_b32 v5, 0 :: v_dual_lshlrev_b32 v4, 1, v0
	s_mov_b32 s13, 0
	s_mov_b64 s[14:15], 0
	s_mov_b32 s11, s13
	s_delay_alu instid0(VALU_DEP_1)
	v_mov_b32_e32 v1, v5
	v_add_nc_u64_e32 v[8:9], s[4:5], v[4:5]
	v_add_nc_u64_e32 v[10:11], s[8:9], v[4:5]
	s_wait_xcnt 0x0
	s_mov_b32 s1, s13
	s_mov_b32 s3, s13
	;; [unrolled: 1-line block ×5, first 2 shown]
	s_wait_kmcnt 0x0
	s_and_b32 s12, s0, 0xffff
	s_delay_alu instid0(SALU_CYCLE_1)
	v_add_nc_u64_e32 v[12:13], s[12:13], v[0:1]
	v_mad_nc_u64_u32 v[24:25], s12, 6, v[4:5]
	s_lshl_b32 s10, s12, 2
	s_lshl_b32 s0, s12, 1
	v_add_nc_u64_e32 v[20:21], s[10:11], v[4:5]
	s_mul_i32 s2, s12, 3
	s_lshl_b32 s12, s12, 3
	v_lshlrev_b32_e32 v4, 1, v12
	v_add_nc_u64_e32 v[14:15], s[2:3], v[0:1]
	v_add_nc_u64_e32 v[16:17], s[0:1], v[0:1]
	s_delay_alu instid0(VALU_DEP_4)
	v_add_nc_u64_e32 v[18:19], s[4:5], v[20:21]
	v_add_nc_u64_e32 v[20:21], s[8:9], v[20:21]
	;; [unrolled: 1-line block ×6, first 2 shown]
	s_mov_b64 s[8:9], 0xfe5163ab
	s_branch .LBB217_25
.LBB217_24:                             ;   in Loop: Header=BB217_25 Depth=1
	s_wait_xcnt 0x0
	s_or_b32 exec_lo, exec_lo, s0
	s_add_nc_u64 s[14:15], s[14:15], s[10:11]
	v_add_nc_u64_e32 v[8:9], s[12:13], v[8:9]
	v_cmp_ge_i64_e32 vcc_lo, s[14:15], v[2:3]
	v_add_nc_u64_e32 v[10:11], s[12:13], v[10:11]
	v_add_nc_u64_e32 v[22:23], s[12:13], v[22:23]
	;; [unrolled: 1-line block ×7, first 2 shown]
	s_cbranch_vccnz .LBB217_57
.LBB217_25:                             ; =>This Inner Loop Header: Depth=1
	v_add_nc_u64_e32 v[30:31], s[14:15], v[0:1]
	v_mov_b32_e32 v33, 0
	s_delay_alu instid0(VALU_DEP_2)
	v_cmp_lt_u64_e64 s2, v[30:31], v[6:7]
	s_and_saveexec_b32 s0, s2
	s_cbranch_execz .LBB217_27
; %bb.26:                               ;   in Loop: Header=BB217_25 Depth=1
	v_add_nc_u64_e32 v[30:31], s[6:7], v[8:9]
	global_load_u16 v4, v[30:31], off
	s_wait_loadcnt 0x0
	v_and_b32_e32 v33, 0x7fff, v4
.LBB217_27:                             ;   in Loop: Header=BB217_25 Depth=1
	s_wait_xcnt 0x0
	s_or_b32 exec_lo, exec_lo, s0
	v_add_nc_u64_e32 v[30:31], s[14:15], v[12:13]
	v_mov_b32_e32 v32, 0
	s_delay_alu instid0(VALU_DEP_2)
	v_cmp_lt_u64_e64 s1, v[30:31], v[6:7]
	v_mov_b32_e32 v31, 0
	s_and_saveexec_b32 s0, s1
	s_cbranch_execz .LBB217_29
; %bb.28:                               ;   in Loop: Header=BB217_25 Depth=1
	v_add_nc_u64_e32 v[34:35], s[6:7], v[26:27]
	global_load_u16 v4, v[34:35], off
	s_wait_loadcnt 0x0
	v_and_b32_e32 v32, 0x7fff, v4
.LBB217_29:                             ;   in Loop: Header=BB217_25 Depth=1
	s_wait_xcnt 0x0
	s_or_b32 exec_lo, exec_lo, s0
	v_add_nc_u64_e32 v[34:35], s[14:15], v[16:17]
	s_delay_alu instid0(VALU_DEP_1)
	v_cmp_lt_u64_e64 s0, v[34:35], v[6:7]
	s_and_saveexec_b32 s3, s0
	s_cbranch_execz .LBB217_31
; %bb.30:                               ;   in Loop: Header=BB217_25 Depth=1
	v_add_nc_u64_e32 v[30:31], s[6:7], v[18:19]
	global_load_u16 v4, v[30:31], off
	s_wait_loadcnt 0x0
	v_and_b32_e32 v31, 0x7fff, v4
.LBB217_31:                             ;   in Loop: Header=BB217_25 Depth=1
	s_or_b32 exec_lo, exec_lo, s3
	v_add_nc_u64_e32 v[34:35], s[14:15], v[14:15]
	v_mov_b32_e32 v30, 0
	s_delay_alu instid0(VALU_DEP_2)
	v_cmp_lt_u64_e32 vcc_lo, v[34:35], v[6:7]
	s_and_saveexec_b32 s3, vcc_lo
	s_cbranch_execz .LBB217_33
; %bb.32:                               ;   in Loop: Header=BB217_25 Depth=1
	v_add_nc_u64_e32 v[34:35], s[6:7], v[22:23]
	global_load_u16 v4, v[34:35], off
	s_wait_loadcnt 0x0
	v_and_b32_e32 v30, 0x7fff, v4
.LBB217_33:                             ;   in Loop: Header=BB217_25 Depth=1
	s_wait_xcnt 0x0
	s_or_b32 exec_lo, exec_lo, s3
	v_cvt_f32_f16_e32 v34, v33
                                        ; implicit-def: $vgpr35
	s_mov_b32 s4, exec_lo
	s_delay_alu instid0(VALU_DEP_1)
	v_cmpx_ngt_f32_e32 0x48000000, v34
	s_xor_b32 s19, exec_lo, s4
	s_cbranch_execz .LBB217_35
; %bb.34:                               ;   in Loop: Header=BB217_25 Depth=1
	v_and_or_b32 v4, v34, s16, 0x800000
	v_dual_mov_b32 v35, v5 :: v_dual_mov_b32 v47, v5
	s_delay_alu instid0(VALU_DEP_2) | instskip(NEXT) | instid1(VALU_DEP_1)
	v_mul_u64_e32 v[36:37], s[8:9], v[4:5]
	v_dual_mov_b32 v39, v5 :: v_dual_mov_b32 v38, v37
	v_lshrrev_b32_e32 v37, 23, v34
	s_delay_alu instid0(VALU_DEP_2) | instskip(SKIP_1) | instid1(VALU_DEP_3)
	v_mad_nc_u64_u32 v[38:39], 0x3c439041, v4, v[38:39]
	v_mov_b32_e32 v41, v5
	v_add_nc_u32_e32 v37, 0xffffff88, v37
	s_delay_alu instid0(VALU_DEP_1) | instskip(NEXT) | instid1(VALU_DEP_4)
	v_cmp_lt_u32_e64 s3, 63, v37
	v_mov_b32_e32 v40, v39
	s_delay_alu instid0(VALU_DEP_2) | instskip(NEXT) | instid1(VALU_DEP_2)
	v_cndmask_b32_e64 v39, 0, 0xffffffc0, s3
	v_mad_nc_u64_u32 v[40:41], 0xdb629599, v4, v[40:41]
	s_delay_alu instid0(VALU_DEP_2) | instskip(NEXT) | instid1(VALU_DEP_1)
	v_dual_mov_b32 v43, v5 :: v_dual_add_nc_u32 v37, v39, v37
	v_cmp_lt_u32_e64 s4, 31, v37
	s_delay_alu instid0(VALU_DEP_3) | instskip(NEXT) | instid1(VALU_DEP_1)
	v_dual_mov_b32 v42, v41 :: v_dual_cndmask_b32 v36, v40, v36, s3
	v_mad_nc_u64_u32 v[42:43], 0xf534ddc0, v4, v[42:43]
	s_delay_alu instid0(VALU_DEP_1) | instskip(NEXT) | instid1(VALU_DEP_1)
	v_dual_mov_b32 v45, v5 :: v_dual_mov_b32 v44, v43
	v_mad_nc_u64_u32 v[44:45], 0xfc2757d1, v4, v[44:45]
	s_delay_alu instid0(VALU_DEP_1) | instskip(NEXT) | instid1(VALU_DEP_1)
	v_dual_mov_b32 v34, v45 :: v_dual_cndmask_b32 v41, v44, v40, s3
	v_mad_nc_u64_u32 v[34:35], 0x4e441529, v4, v[34:35]
	s_delay_alu instid0(VALU_DEP_1) | instskip(SKIP_1) | instid1(VALU_DEP_2)
	v_mov_b32_e32 v46, v35
	v_cndmask_b32_e64 v35, 0, 0xffffffe0, s4
	v_mad_nc_u64_u32 v[46:47], 0xa2f9836e, v4, v[46:47]
	s_delay_alu instid0(VALU_DEP_2) | instskip(NEXT) | instid1(VALU_DEP_1)
	v_dual_add_nc_u32 v4, v35, v37 :: v_dual_cndmask_b32 v37, v34, v42, s3
	v_cmp_lt_u32_e64 s5, 31, v4
	s_delay_alu instid0(VALU_DEP_1) | instskip(NEXT) | instid1(VALU_DEP_4)
	v_cndmask_b32_e64 v35, 0, 0xffffffe0, s5
	v_dual_cndmask_b32 v39, v46, v44, s3 :: v_dual_cndmask_b32 v34, v47, v34, s3
	s_delay_alu instid0(VALU_DEP_2) | instskip(NEXT) | instid1(VALU_DEP_2)
	v_dual_add_nc_u32 v4, v35, v4 :: v_dual_cndmask_b32 v35, v42, v38, s3
	v_dual_cndmask_b32 v38, v39, v37, s4 :: v_dual_cndmask_b32 v34, v34, v39, s4
	s_delay_alu instid0(VALU_DEP_2) | instskip(NEXT) | instid1(VALU_DEP_3)
	v_dual_cndmask_b32 v37, v37, v41, s4 :: v_dual_sub_nc_u32 v39, 32, v4
	v_cndmask_b32_e64 v41, v41, v35, s4
	v_cmp_eq_u32_e64 s3, 0, v4
	s_delay_alu instid0(VALU_DEP_4) | instskip(NEXT) | instid1(VALU_DEP_4)
	v_cndmask_b32_e64 v34, v34, v38, s5
	v_cndmask_b32_e64 v38, v38, v37, s5
	s_delay_alu instid0(VALU_DEP_1) | instskip(NEXT) | instid1(VALU_DEP_1)
	v_alignbit_b32 v42, v34, v38, v39
	v_dual_cndmask_b32 v37, v37, v41, s5 :: v_dual_cndmask_b32 v4, v42, v34, s3
	s_delay_alu instid0(VALU_DEP_1) | instskip(SKIP_1) | instid1(VALU_DEP_3)
	v_alignbit_b32 v40, v38, v37, v39
	v_cndmask_b32_e64 v34, v35, v36, s4
	v_bfe_u32 v36, v4, 29, 1
	s_delay_alu instid0(VALU_DEP_3) | instskip(NEXT) | instid1(VALU_DEP_2)
	v_cndmask_b32_e64 v35, v40, v38, s3
	v_dual_cndmask_b32 v34, v41, v34, s5 :: v_dual_sub_nc_u32 v40, 0, v36
	s_delay_alu instid0(VALU_DEP_2) | instskip(NEXT) | instid1(VALU_DEP_2)
	v_alignbit_b32 v38, v4, v35, 30
	v_alignbit_b32 v39, v37, v34, v39
	s_delay_alu instid0(VALU_DEP_1) | instskip(NEXT) | instid1(VALU_DEP_1)
	v_dual_cndmask_b32 v37, v39, v37, s3 :: v_dual_bitop2_b32 v38, v38, v40 bitop3:0x14
	v_clz_i32_u32_e32 v39, v38
	s_delay_alu instid0(VALU_DEP_2) | instskip(SKIP_1) | instid1(VALU_DEP_3)
	v_alignbit_b32 v35, v35, v37, 30
	v_alignbit_b32 v34, v37, v34, 30
	v_min_u32_e32 v39, 32, v39
	s_delay_alu instid0(VALU_DEP_3) | instskip(NEXT) | instid1(VALU_DEP_3)
	v_xor_b32_e32 v35, v35, v40
	v_xor_b32_e32 v34, v34, v40
	v_dual_lshrrev_b32 v40, 29, v4 :: v_dual_lshrrev_b32 v4, 30, v4
	s_delay_alu instid0(VALU_DEP_4) | instskip(NEXT) | instid1(VALU_DEP_1)
	v_dual_sub_nc_u32 v37, 31, v39 :: v_dual_lshlrev_b32 v41, 23, v39
	v_alignbit_b32 v38, v38, v35, v37
	s_delay_alu instid0(VALU_DEP_4) | instskip(NEXT) | instid1(VALU_DEP_4)
	v_alignbit_b32 v34, v35, v34, v37
	v_lshlrev_b32_e32 v35, 31, v40
	s_delay_alu instid0(VALU_DEP_2) | instskip(NEXT) | instid1(VALU_DEP_2)
	v_alignbit_b32 v37, v38, v34, 9
	v_dual_lshrrev_b32 v38, 9, v38 :: v_dual_bitop2_b32 v40, 0.5, v35 bitop3:0x54
	v_or_b32_e32 v35, 0x33000000, v35
	s_delay_alu instid0(VALU_DEP_3) | instskip(NEXT) | instid1(VALU_DEP_3)
	v_clz_i32_u32_e32 v42, v37
	v_sub_nc_u32_e32 v40, v40, v41
	s_delay_alu instid0(VALU_DEP_2) | instskip(NEXT) | instid1(VALU_DEP_1)
	v_min_u32_e32 v41, 32, v42
	v_add_lshl_u32 v39, v41, v39, 23
	s_delay_alu instid0(VALU_DEP_1) | instskip(SKIP_1) | instid1(VALU_DEP_1)
	v_dual_sub_nc_u32 v35, v35, v39 :: v_dual_bitop2_b32 v38, v38, v40 bitop3:0x54
	v_not_b32_e32 v40, v41
	v_alignbit_b32 v34, v37, v34, v40
	s_delay_alu instid0(VALU_DEP_1) | instskip(NEXT) | instid1(VALU_DEP_4)
	v_lshrrev_b32_e32 v34, 9, v34
	v_mul_f32_e32 v42, 0x3fc90fda, v38
	s_delay_alu instid0(VALU_DEP_2) | instskip(NEXT) | instid1(VALU_DEP_2)
	v_dual_add_nc_u32 v35, v36, v4 :: v_dual_bitop2_b32 v34, v35, v34 bitop3:0x54
	v_fma_f32 v37, 0x3fc90fda, v38, -v42
	s_delay_alu instid0(VALU_DEP_1) | instskip(NEXT) | instid1(VALU_DEP_1)
	v_fmac_f32_e32 v37, 0x33a22168, v38
	v_fmac_f32_e32 v37, 0x3fc90fda, v34
	s_delay_alu instid0(VALU_DEP_1)
	v_add_f32_e32 v34, v42, v37
.LBB217_35:                             ;   in Loop: Header=BB217_25 Depth=1
	s_and_not1_saveexec_b32 s3, s19
; %bb.36:                               ;   in Loop: Header=BB217_25 Depth=1
	s_delay_alu instid0(VALU_DEP_1) | instskip(NEXT) | instid1(VALU_DEP_1)
	v_mul_f32_e32 v4, 0x3f22f983, v34
	v_rndne_f32_e32 v4, v4
	s_delay_alu instid0(VALU_DEP_1) | instskip(SKIP_1) | instid1(VALU_DEP_2)
	v_fmac_f32_e32 v34, 0xbfc90fda, v4
	v_cvt_i32_f32_e32 v35, v4
	v_fmac_f32_e32 v34, 0xb3a22168, v4
	s_delay_alu instid0(VALU_DEP_1)
	v_fmac_f32_e32 v34, 0xa7c234c4, v4
; %bb.37:                               ;   in Loop: Header=BB217_25 Depth=1
	s_or_b32 exec_lo, exec_lo, s3
	v_cvt_f32_f16_e32 v36, v32
                                        ; implicit-def: $vgpr37
	s_mov_b32 s4, exec_lo
	s_delay_alu instid0(VALU_DEP_1)
	v_cmpx_ngt_f32_e32 0x48000000, v36
	s_xor_b32 s19, exec_lo, s4
	s_cbranch_execz .LBB217_39
; %bb.38:                               ;   in Loop: Header=BB217_25 Depth=1
	v_and_or_b32 v4, v36, s16, 0x800000
	v_mov_b32_e32 v37, v5
	s_delay_alu instid0(VALU_DEP_2) | instskip(NEXT) | instid1(VALU_DEP_1)
	v_mul_u64_e32 v[38:39], s[8:9], v[4:5]
	v_dual_mov_b32 v41, v5 :: v_dual_mov_b32 v40, v39
	v_lshrrev_b32_e32 v39, 23, v36
	s_delay_alu instid0(VALU_DEP_2) | instskip(SKIP_1) | instid1(VALU_DEP_3)
	v_mad_nc_u64_u32 v[40:41], 0x3c439041, v4, v[40:41]
	v_mov_b32_e32 v43, v5
	v_add_nc_u32_e32 v39, 0xffffff88, v39
	s_delay_alu instid0(VALU_DEP_1) | instskip(NEXT) | instid1(VALU_DEP_4)
	v_cmp_lt_u32_e64 s3, 63, v39
	v_mov_b32_e32 v42, v41
	s_delay_alu instid0(VALU_DEP_2) | instskip(NEXT) | instid1(VALU_DEP_2)
	v_cndmask_b32_e64 v41, 0, 0xffffffc0, s3
	v_mad_nc_u64_u32 v[42:43], 0xdb629599, v4, v[42:43]
	s_delay_alu instid0(VALU_DEP_1) | instskip(NEXT) | instid1(VALU_DEP_2)
	v_dual_mov_b32 v45, v5 :: v_dual_mov_b32 v44, v43
	v_cndmask_b32_e64 v38, v42, v38, s3
	s_delay_alu instid0(VALU_DEP_2) | instskip(NEXT) | instid1(VALU_DEP_1)
	v_mad_nc_u64_u32 v[44:45], 0xf534ddc0, v4, v[44:45]
	v_dual_mov_b32 v47, v5 :: v_dual_mov_b32 v46, v45
	s_delay_alu instid0(VALU_DEP_1) | instskip(NEXT) | instid1(VALU_DEP_1)
	v_mad_nc_u64_u32 v[46:47], 0xfc2757d1, v4, v[46:47]
	v_dual_mov_b32 v36, v47 :: v_dual_cndmask_b32 v43, v46, v42, s3
	s_delay_alu instid0(VALU_DEP_1) | instskip(NEXT) | instid1(VALU_DEP_1)
	v_mad_nc_u64_u32 v[36:37], 0x4e441529, v4, v[36:37]
	v_dual_mov_b32 v49, v5 :: v_dual_mov_b32 v48, v37
	s_delay_alu instid0(VALU_DEP_1) | instskip(NEXT) | instid1(VALU_DEP_1)
	v_mad_nc_u64_u32 v[48:49], 0xa2f9836e, v4, v[48:49]
	v_dual_add_nc_u32 v39, v41, v39 :: v_dual_cndmask_b32 v41, v48, v46, s3
	s_delay_alu instid0(VALU_DEP_1) | instskip(NEXT) | instid1(VALU_DEP_1)
	v_cmp_lt_u32_e64 s4, 31, v39
	v_cndmask_b32_e64 v37, 0, 0xffffffe0, s4
	s_delay_alu instid0(VALU_DEP_1) | instskip(SKIP_1) | instid1(VALU_DEP_2)
	v_dual_add_nc_u32 v4, v37, v39 :: v_dual_cndmask_b32 v39, v36, v44, s3
	v_cndmask_b32_e64 v36, v49, v36, s3
	v_cmp_lt_u32_e64 s5, 31, v4
	s_delay_alu instid0(VALU_DEP_2) | instskip(NEXT) | instid1(VALU_DEP_2)
	v_cndmask_b32_e64 v36, v36, v41, s4
	v_cndmask_b32_e64 v37, 0, 0xffffffe0, s5
	s_delay_alu instid0(VALU_DEP_1) | instskip(SKIP_1) | instid1(VALU_DEP_2)
	v_add_nc_u32_e32 v4, v37, v4
	v_dual_cndmask_b32 v37, v44, v40, s3 :: v_dual_cndmask_b32 v40, v41, v39, s4
	v_dual_cndmask_b32 v39, v39, v43, s4 :: v_dual_sub_nc_u32 v41, 32, v4
	s_delay_alu instid0(VALU_DEP_2) | instskip(NEXT) | instid1(VALU_DEP_2)
	v_dual_cndmask_b32 v43, v43, v37, s4 :: v_dual_cndmask_b32 v36, v36, v40, s5
	v_cndmask_b32_e64 v40, v40, v39, s5
	v_cmp_eq_u32_e64 s3, 0, v4
	s_delay_alu instid0(VALU_DEP_2) | instskip(NEXT) | instid1(VALU_DEP_1)
	v_alignbit_b32 v44, v36, v40, v41
	v_dual_cndmask_b32 v39, v39, v43, s5 :: v_dual_cndmask_b32 v4, v44, v36, s3
	s_delay_alu instid0(VALU_DEP_1) | instskip(SKIP_1) | instid1(VALU_DEP_3)
	v_alignbit_b32 v42, v40, v39, v41
	v_cndmask_b32_e64 v36, v37, v38, s4
	v_bfe_u32 v38, v4, 29, 1
	s_delay_alu instid0(VALU_DEP_3) | instskip(NEXT) | instid1(VALU_DEP_2)
	v_cndmask_b32_e64 v37, v42, v40, s3
	v_dual_cndmask_b32 v36, v43, v36, s5 :: v_dual_sub_nc_u32 v42, 0, v38
	s_delay_alu instid0(VALU_DEP_2) | instskip(NEXT) | instid1(VALU_DEP_2)
	v_alignbit_b32 v40, v4, v37, 30
	v_alignbit_b32 v41, v39, v36, v41
	s_delay_alu instid0(VALU_DEP_1) | instskip(NEXT) | instid1(VALU_DEP_1)
	v_dual_cndmask_b32 v39, v41, v39, s3 :: v_dual_bitop2_b32 v40, v40, v42 bitop3:0x14
	v_clz_i32_u32_e32 v41, v40
	s_delay_alu instid0(VALU_DEP_2) | instskip(SKIP_1) | instid1(VALU_DEP_3)
	v_alignbit_b32 v37, v37, v39, 30
	v_alignbit_b32 v36, v39, v36, 30
	v_min_u32_e32 v41, 32, v41
	s_delay_alu instid0(VALU_DEP_3) | instskip(NEXT) | instid1(VALU_DEP_3)
	v_xor_b32_e32 v37, v37, v42
	v_dual_lshrrev_b32 v42, 29, v4 :: v_dual_bitop2_b32 v36, v36, v42 bitop3:0x14
	s_delay_alu instid0(VALU_DEP_3) | instskip(NEXT) | instid1(VALU_DEP_1)
	v_dual_sub_nc_u32 v39, 31, v41 :: v_dual_lshlrev_b32 v43, 23, v41
	v_alignbit_b32 v40, v40, v37, v39
	s_delay_alu instid0(VALU_DEP_3) | instskip(NEXT) | instid1(VALU_DEP_4)
	v_alignbit_b32 v36, v37, v36, v39
	v_lshlrev_b32_e32 v37, 31, v42
	s_delay_alu instid0(VALU_DEP_2) | instskip(NEXT) | instid1(VALU_DEP_2)
	v_alignbit_b32 v39, v40, v36, 9
	v_dual_lshrrev_b32 v40, 9, v40 :: v_dual_bitop2_b32 v42, 0.5, v37 bitop3:0x54
	v_or_b32_e32 v37, 0x33000000, v37
	s_delay_alu instid0(VALU_DEP_3) | instskip(NEXT) | instid1(VALU_DEP_3)
	v_clz_i32_u32_e32 v44, v39
	v_sub_nc_u32_e32 v42, v42, v43
	s_delay_alu instid0(VALU_DEP_2) | instskip(NEXT) | instid1(VALU_DEP_1)
	v_min_u32_e32 v43, 32, v44
	v_add_lshl_u32 v41, v43, v41, 23
	s_delay_alu instid0(VALU_DEP_1) | instskip(SKIP_1) | instid1(VALU_DEP_1)
	v_dual_sub_nc_u32 v37, v37, v41 :: v_dual_bitop2_b32 v40, v40, v42 bitop3:0x54
	v_not_b32_e32 v42, v43
	v_alignbit_b32 v36, v39, v36, v42
	s_delay_alu instid0(VALU_DEP_1) | instskip(NEXT) | instid1(VALU_DEP_4)
	v_lshrrev_b32_e32 v36, 9, v36
	v_mul_f32_e32 v44, 0x3fc90fda, v40
	s_delay_alu instid0(VALU_DEP_2) | instskip(NEXT) | instid1(VALU_DEP_2)
	v_or_b32_e32 v36, v37, v36
	v_fma_f32 v39, 0x3fc90fda, v40, -v44
	s_delay_alu instid0(VALU_DEP_1) | instskip(NEXT) | instid1(VALU_DEP_1)
	v_fmac_f32_e32 v39, 0x33a22168, v40
	v_fmac_f32_e32 v39, 0x3fc90fda, v36
	s_delay_alu instid0(VALU_DEP_1) | instskip(NEXT) | instid1(VALU_DEP_1)
	v_dual_lshrrev_b32 v4, 30, v4 :: v_dual_add_f32 v36, v44, v39
	v_add_nc_u32_e32 v37, v38, v4
.LBB217_39:                             ;   in Loop: Header=BB217_25 Depth=1
	s_and_not1_saveexec_b32 s3, s19
; %bb.40:                               ;   in Loop: Header=BB217_25 Depth=1
	s_delay_alu instid0(VALU_DEP_2) | instskip(NEXT) | instid1(VALU_DEP_1)
	v_mul_f32_e32 v4, 0x3f22f983, v36
	v_rndne_f32_e32 v4, v4
	s_delay_alu instid0(VALU_DEP_1) | instskip(SKIP_1) | instid1(VALU_DEP_2)
	v_fmac_f32_e32 v36, 0xbfc90fda, v4
	v_cvt_i32_f32_e32 v37, v4
	v_fmac_f32_e32 v36, 0xb3a22168, v4
	s_delay_alu instid0(VALU_DEP_1)
	v_fmac_f32_e32 v36, 0xa7c234c4, v4
; %bb.41:                               ;   in Loop: Header=BB217_25 Depth=1
	s_or_b32 exec_lo, exec_lo, s3
	v_cvt_f32_f16_e32 v38, v31
                                        ; implicit-def: $vgpr39
	s_mov_b32 s4, exec_lo
	s_delay_alu instid0(VALU_DEP_1)
	v_cmpx_ngt_f32_e32 0x48000000, v38
	s_xor_b32 s19, exec_lo, s4
	s_cbranch_execz .LBB217_43
; %bb.42:                               ;   in Loop: Header=BB217_25 Depth=1
	v_and_or_b32 v4, v38, s16, 0x800000
	v_dual_mov_b32 v39, v5 :: v_dual_mov_b32 v51, v5
	s_delay_alu instid0(VALU_DEP_2) | instskip(NEXT) | instid1(VALU_DEP_1)
	v_mul_u64_e32 v[40:41], s[8:9], v[4:5]
	v_dual_mov_b32 v43, v5 :: v_dual_mov_b32 v42, v41
	v_lshrrev_b32_e32 v41, 23, v38
	s_delay_alu instid0(VALU_DEP_2) | instskip(SKIP_1) | instid1(VALU_DEP_3)
	v_mad_nc_u64_u32 v[42:43], 0x3c439041, v4, v[42:43]
	v_mov_b32_e32 v45, v5
	v_add_nc_u32_e32 v41, 0xffffff88, v41
	s_delay_alu instid0(VALU_DEP_1) | instskip(NEXT) | instid1(VALU_DEP_4)
	v_cmp_lt_u32_e64 s3, 63, v41
	v_mov_b32_e32 v44, v43
	s_delay_alu instid0(VALU_DEP_2) | instskip(NEXT) | instid1(VALU_DEP_2)
	v_cndmask_b32_e64 v43, 0, 0xffffffc0, s3
	v_mad_nc_u64_u32 v[44:45], 0xdb629599, v4, v[44:45]
	s_delay_alu instid0(VALU_DEP_2) | instskip(NEXT) | instid1(VALU_DEP_1)
	v_dual_mov_b32 v47, v5 :: v_dual_add_nc_u32 v41, v43, v41
	v_cmp_lt_u32_e64 s4, 31, v41
	s_delay_alu instid0(VALU_DEP_3) | instskip(NEXT) | instid1(VALU_DEP_1)
	v_dual_mov_b32 v46, v45 :: v_dual_cndmask_b32 v40, v44, v40, s3
	v_mad_nc_u64_u32 v[46:47], 0xf534ddc0, v4, v[46:47]
	s_delay_alu instid0(VALU_DEP_1) | instskip(NEXT) | instid1(VALU_DEP_1)
	v_dual_mov_b32 v49, v5 :: v_dual_mov_b32 v48, v47
	v_mad_nc_u64_u32 v[48:49], 0xfc2757d1, v4, v[48:49]
	s_delay_alu instid0(VALU_DEP_1) | instskip(NEXT) | instid1(VALU_DEP_1)
	v_dual_mov_b32 v38, v49 :: v_dual_cndmask_b32 v45, v48, v44, s3
	v_mad_nc_u64_u32 v[38:39], 0x4e441529, v4, v[38:39]
	s_delay_alu instid0(VALU_DEP_1) | instskip(SKIP_1) | instid1(VALU_DEP_2)
	v_mov_b32_e32 v50, v39
	v_cndmask_b32_e64 v39, 0, 0xffffffe0, s4
	v_mad_nc_u64_u32 v[50:51], 0xa2f9836e, v4, v[50:51]
	s_delay_alu instid0(VALU_DEP_2) | instskip(NEXT) | instid1(VALU_DEP_1)
	v_dual_add_nc_u32 v4, v39, v41 :: v_dual_cndmask_b32 v41, v38, v46, s3
	v_cmp_lt_u32_e64 s5, 31, v4
	s_delay_alu instid0(VALU_DEP_1) | instskip(NEXT) | instid1(VALU_DEP_4)
	v_cndmask_b32_e64 v39, 0, 0xffffffe0, s5
	v_dual_cndmask_b32 v43, v50, v48, s3 :: v_dual_cndmask_b32 v38, v51, v38, s3
	s_delay_alu instid0(VALU_DEP_2) | instskip(NEXT) | instid1(VALU_DEP_2)
	v_dual_add_nc_u32 v4, v39, v4 :: v_dual_cndmask_b32 v39, v46, v42, s3
	v_dual_cndmask_b32 v42, v43, v41, s4 :: v_dual_cndmask_b32 v38, v38, v43, s4
	s_delay_alu instid0(VALU_DEP_2) | instskip(NEXT) | instid1(VALU_DEP_3)
	v_dual_cndmask_b32 v41, v41, v45, s4 :: v_dual_sub_nc_u32 v43, 32, v4
	v_cndmask_b32_e64 v45, v45, v39, s4
	v_cmp_eq_u32_e64 s3, 0, v4
	s_delay_alu instid0(VALU_DEP_4) | instskip(NEXT) | instid1(VALU_DEP_4)
	v_cndmask_b32_e64 v38, v38, v42, s5
	v_cndmask_b32_e64 v42, v42, v41, s5
	s_delay_alu instid0(VALU_DEP_1) | instskip(NEXT) | instid1(VALU_DEP_1)
	v_alignbit_b32 v46, v38, v42, v43
	v_dual_cndmask_b32 v41, v41, v45, s5 :: v_dual_cndmask_b32 v4, v46, v38, s3
	s_delay_alu instid0(VALU_DEP_1) | instskip(SKIP_1) | instid1(VALU_DEP_3)
	v_alignbit_b32 v44, v42, v41, v43
	v_cndmask_b32_e64 v38, v39, v40, s4
	v_bfe_u32 v40, v4, 29, 1
	s_delay_alu instid0(VALU_DEP_3) | instskip(NEXT) | instid1(VALU_DEP_2)
	v_cndmask_b32_e64 v39, v44, v42, s3
	v_dual_cndmask_b32 v38, v45, v38, s5 :: v_dual_sub_nc_u32 v44, 0, v40
	s_delay_alu instid0(VALU_DEP_2) | instskip(NEXT) | instid1(VALU_DEP_2)
	v_alignbit_b32 v42, v4, v39, 30
	v_alignbit_b32 v43, v41, v38, v43
	s_delay_alu instid0(VALU_DEP_1) | instskip(NEXT) | instid1(VALU_DEP_1)
	v_dual_cndmask_b32 v41, v43, v41, s3 :: v_dual_bitop2_b32 v42, v42, v44 bitop3:0x14
	v_clz_i32_u32_e32 v43, v42
	s_delay_alu instid0(VALU_DEP_2) | instskip(SKIP_1) | instid1(VALU_DEP_3)
	v_alignbit_b32 v39, v39, v41, 30
	v_alignbit_b32 v38, v41, v38, 30
	v_min_u32_e32 v43, 32, v43
	s_delay_alu instid0(VALU_DEP_3) | instskip(NEXT) | instid1(VALU_DEP_3)
	v_xor_b32_e32 v39, v39, v44
	v_xor_b32_e32 v38, v38, v44
	v_dual_lshrrev_b32 v44, 29, v4 :: v_dual_lshrrev_b32 v4, 30, v4
	s_delay_alu instid0(VALU_DEP_4) | instskip(NEXT) | instid1(VALU_DEP_1)
	v_dual_sub_nc_u32 v41, 31, v43 :: v_dual_lshlrev_b32 v45, 23, v43
	v_alignbit_b32 v42, v42, v39, v41
	s_delay_alu instid0(VALU_DEP_4) | instskip(NEXT) | instid1(VALU_DEP_4)
	v_alignbit_b32 v38, v39, v38, v41
	v_lshlrev_b32_e32 v39, 31, v44
	s_delay_alu instid0(VALU_DEP_2) | instskip(NEXT) | instid1(VALU_DEP_2)
	v_alignbit_b32 v41, v42, v38, 9
	v_dual_lshrrev_b32 v42, 9, v42 :: v_dual_bitop2_b32 v44, 0.5, v39 bitop3:0x54
	v_or_b32_e32 v39, 0x33000000, v39
	s_delay_alu instid0(VALU_DEP_3) | instskip(NEXT) | instid1(VALU_DEP_3)
	v_clz_i32_u32_e32 v46, v41
	v_sub_nc_u32_e32 v44, v44, v45
	s_delay_alu instid0(VALU_DEP_2) | instskip(NEXT) | instid1(VALU_DEP_1)
	v_min_u32_e32 v45, 32, v46
	v_add_lshl_u32 v43, v45, v43, 23
	s_delay_alu instid0(VALU_DEP_1) | instskip(SKIP_1) | instid1(VALU_DEP_1)
	v_dual_sub_nc_u32 v39, v39, v43 :: v_dual_bitop2_b32 v42, v42, v44 bitop3:0x54
	v_not_b32_e32 v44, v45
	v_alignbit_b32 v38, v41, v38, v44
	s_delay_alu instid0(VALU_DEP_1) | instskip(NEXT) | instid1(VALU_DEP_4)
	v_lshrrev_b32_e32 v38, 9, v38
	v_mul_f32_e32 v46, 0x3fc90fda, v42
	s_delay_alu instid0(VALU_DEP_2) | instskip(NEXT) | instid1(VALU_DEP_2)
	v_dual_add_nc_u32 v39, v40, v4 :: v_dual_bitop2_b32 v38, v39, v38 bitop3:0x54
	v_fma_f32 v41, 0x3fc90fda, v42, -v46
	s_delay_alu instid0(VALU_DEP_1) | instskip(NEXT) | instid1(VALU_DEP_1)
	v_fmac_f32_e32 v41, 0x33a22168, v42
	v_fmac_f32_e32 v41, 0x3fc90fda, v38
	s_delay_alu instid0(VALU_DEP_1)
	v_add_f32_e32 v38, v46, v41
.LBB217_43:                             ;   in Loop: Header=BB217_25 Depth=1
	s_and_not1_saveexec_b32 s3, s19
; %bb.44:                               ;   in Loop: Header=BB217_25 Depth=1
	s_delay_alu instid0(VALU_DEP_1) | instskip(NEXT) | instid1(VALU_DEP_1)
	v_mul_f32_e32 v4, 0x3f22f983, v38
	v_rndne_f32_e32 v4, v4
	s_delay_alu instid0(VALU_DEP_1) | instskip(SKIP_1) | instid1(VALU_DEP_2)
	v_fmac_f32_e32 v38, 0xbfc90fda, v4
	v_cvt_i32_f32_e32 v39, v4
	v_fmac_f32_e32 v38, 0xb3a22168, v4
	s_delay_alu instid0(VALU_DEP_1)
	v_fmac_f32_e32 v38, 0xa7c234c4, v4
; %bb.45:                               ;   in Loop: Header=BB217_25 Depth=1
	s_or_b32 exec_lo, exec_lo, s3
	v_cvt_f32_f16_e32 v40, v30
                                        ; implicit-def: $vgpr4
	s_mov_b32 s4, exec_lo
	s_delay_alu instid0(VALU_DEP_1)
	v_cmpx_ngt_f32_e32 0x48000000, v40
	s_xor_b32 s19, exec_lo, s4
	s_cbranch_execnz .LBB217_51
; %bb.46:                               ;   in Loop: Header=BB217_25 Depth=1
	s_and_not1_saveexec_b32 s3, s19
	s_cbranch_execnz .LBB217_52
.LBB217_47:                             ;   in Loop: Header=BB217_25 Depth=1
	s_or_b32 exec_lo, exec_lo, s3
	s_and_saveexec_b32 s3, s2
	s_delay_alu instid0(SALU_CYCLE_1)
	s_xor_b32 s3, exec_lo, s3
	s_cbranch_execnz .LBB217_53
.LBB217_48:                             ;   in Loop: Header=BB217_25 Depth=1
	s_or_b32 exec_lo, exec_lo, s3
	s_and_saveexec_b32 s2, s1
	s_cbranch_execnz .LBB217_54
.LBB217_49:                             ;   in Loop: Header=BB217_25 Depth=1
	s_or_b32 exec_lo, exec_lo, s2
	s_and_saveexec_b32 s1, s0
	s_cbranch_execnz .LBB217_55
.LBB217_50:                             ;   in Loop: Header=BB217_25 Depth=1
	s_or_b32 exec_lo, exec_lo, s1
	s_and_saveexec_b32 s0, vcc_lo
	s_cbranch_execz .LBB217_24
	s_branch .LBB217_56
.LBB217_51:                             ;   in Loop: Header=BB217_25 Depth=1
	v_and_or_b32 v4, v40, s16, 0x800000
	v_mov_b32_e32 v41, v5
	s_delay_alu instid0(VALU_DEP_2) | instskip(NEXT) | instid1(VALU_DEP_1)
	v_mul_u64_e32 v[42:43], s[8:9], v[4:5]
	v_dual_mov_b32 v45, v5 :: v_dual_mov_b32 v44, v43
	v_lshrrev_b32_e32 v43, 23, v40
	s_delay_alu instid0(VALU_DEP_2) | instskip(SKIP_1) | instid1(VALU_DEP_3)
	v_mad_nc_u64_u32 v[44:45], 0x3c439041, v4, v[44:45]
	v_mov_b32_e32 v47, v5
	v_add_nc_u32_e32 v43, 0xffffff88, v43
	s_delay_alu instid0(VALU_DEP_1) | instskip(NEXT) | instid1(VALU_DEP_4)
	v_cmp_lt_u32_e64 s3, 63, v43
	v_mov_b32_e32 v46, v45
	s_delay_alu instid0(VALU_DEP_2) | instskip(NEXT) | instid1(VALU_DEP_2)
	v_cndmask_b32_e64 v45, 0, 0xffffffc0, s3
	v_mad_nc_u64_u32 v[46:47], 0xdb629599, v4, v[46:47]
	s_delay_alu instid0(VALU_DEP_1) | instskip(NEXT) | instid1(VALU_DEP_2)
	v_dual_mov_b32 v49, v5 :: v_dual_mov_b32 v48, v47
	v_cndmask_b32_e64 v42, v46, v42, s3
	s_delay_alu instid0(VALU_DEP_2) | instskip(NEXT) | instid1(VALU_DEP_1)
	v_mad_nc_u64_u32 v[48:49], 0xf534ddc0, v4, v[48:49]
	v_dual_mov_b32 v51, v5 :: v_dual_mov_b32 v50, v49
	s_delay_alu instid0(VALU_DEP_1) | instskip(NEXT) | instid1(VALU_DEP_1)
	v_mad_nc_u64_u32 v[50:51], 0xfc2757d1, v4, v[50:51]
	v_dual_mov_b32 v40, v51 :: v_dual_cndmask_b32 v47, v50, v46, s3
	s_delay_alu instid0(VALU_DEP_1) | instskip(NEXT) | instid1(VALU_DEP_1)
	v_mad_nc_u64_u32 v[40:41], 0x4e441529, v4, v[40:41]
	v_dual_mov_b32 v53, v5 :: v_dual_mov_b32 v52, v41
	s_delay_alu instid0(VALU_DEP_1) | instskip(NEXT) | instid1(VALU_DEP_1)
	v_mad_nc_u64_u32 v[52:53], 0xa2f9836e, v4, v[52:53]
	v_dual_add_nc_u32 v43, v45, v43 :: v_dual_cndmask_b32 v45, v52, v50, s3
	s_delay_alu instid0(VALU_DEP_1) | instskip(NEXT) | instid1(VALU_DEP_1)
	v_cmp_lt_u32_e64 s4, 31, v43
	v_cndmask_b32_e64 v41, 0, 0xffffffe0, s4
	s_delay_alu instid0(VALU_DEP_1) | instskip(SKIP_1) | instid1(VALU_DEP_2)
	v_dual_add_nc_u32 v4, v41, v43 :: v_dual_cndmask_b32 v43, v40, v48, s3
	v_cndmask_b32_e64 v40, v53, v40, s3
	v_cmp_lt_u32_e64 s5, 31, v4
	s_delay_alu instid0(VALU_DEP_2) | instskip(NEXT) | instid1(VALU_DEP_2)
	v_cndmask_b32_e64 v40, v40, v45, s4
	v_cndmask_b32_e64 v41, 0, 0xffffffe0, s5
	s_delay_alu instid0(VALU_DEP_1) | instskip(SKIP_1) | instid1(VALU_DEP_2)
	v_add_nc_u32_e32 v4, v41, v4
	v_dual_cndmask_b32 v41, v48, v44, s3 :: v_dual_cndmask_b32 v44, v45, v43, s4
	v_dual_cndmask_b32 v43, v43, v47, s4 :: v_dual_sub_nc_u32 v45, 32, v4
	s_delay_alu instid0(VALU_DEP_2) | instskip(NEXT) | instid1(VALU_DEP_2)
	v_dual_cndmask_b32 v47, v47, v41, s4 :: v_dual_cndmask_b32 v40, v40, v44, s5
	v_cndmask_b32_e64 v44, v44, v43, s5
	v_cmp_eq_u32_e64 s3, 0, v4
	s_delay_alu instid0(VALU_DEP_2) | instskip(NEXT) | instid1(VALU_DEP_1)
	v_alignbit_b32 v48, v40, v44, v45
	v_dual_cndmask_b32 v43, v43, v47, s5 :: v_dual_cndmask_b32 v4, v48, v40, s3
	s_delay_alu instid0(VALU_DEP_1) | instskip(SKIP_1) | instid1(VALU_DEP_3)
	v_alignbit_b32 v46, v44, v43, v45
	v_cndmask_b32_e64 v40, v41, v42, s4
	v_bfe_u32 v42, v4, 29, 1
	s_delay_alu instid0(VALU_DEP_3) | instskip(NEXT) | instid1(VALU_DEP_2)
	v_cndmask_b32_e64 v41, v46, v44, s3
	v_dual_cndmask_b32 v40, v47, v40, s5 :: v_dual_sub_nc_u32 v46, 0, v42
	s_delay_alu instid0(VALU_DEP_2) | instskip(NEXT) | instid1(VALU_DEP_2)
	v_alignbit_b32 v44, v4, v41, 30
	v_alignbit_b32 v45, v43, v40, v45
	s_delay_alu instid0(VALU_DEP_1) | instskip(NEXT) | instid1(VALU_DEP_1)
	v_dual_cndmask_b32 v43, v45, v43, s3 :: v_dual_bitop2_b32 v44, v44, v46 bitop3:0x14
	v_clz_i32_u32_e32 v45, v44
	s_delay_alu instid0(VALU_DEP_2) | instskip(SKIP_1) | instid1(VALU_DEP_3)
	v_alignbit_b32 v41, v41, v43, 30
	v_alignbit_b32 v40, v43, v40, 30
	v_min_u32_e32 v45, 32, v45
	s_delay_alu instid0(VALU_DEP_3) | instskip(NEXT) | instid1(VALU_DEP_3)
	v_xor_b32_e32 v41, v41, v46
	v_dual_lshrrev_b32 v46, 29, v4 :: v_dual_bitop2_b32 v40, v40, v46 bitop3:0x14
	s_delay_alu instid0(VALU_DEP_3) | instskip(NEXT) | instid1(VALU_DEP_1)
	v_dual_sub_nc_u32 v43, 31, v45 :: v_dual_lshlrev_b32 v47, 23, v45
	v_alignbit_b32 v44, v44, v41, v43
	s_delay_alu instid0(VALU_DEP_3) | instskip(NEXT) | instid1(VALU_DEP_4)
	v_alignbit_b32 v40, v41, v40, v43
	v_lshlrev_b32_e32 v41, 31, v46
	s_delay_alu instid0(VALU_DEP_2) | instskip(NEXT) | instid1(VALU_DEP_2)
	v_alignbit_b32 v43, v44, v40, 9
	v_dual_lshrrev_b32 v44, 9, v44 :: v_dual_bitop2_b32 v46, 0.5, v41 bitop3:0x54
	v_or_b32_e32 v41, 0x33000000, v41
	s_delay_alu instid0(VALU_DEP_3) | instskip(NEXT) | instid1(VALU_DEP_3)
	v_clz_i32_u32_e32 v48, v43
	v_sub_nc_u32_e32 v46, v46, v47
	s_delay_alu instid0(VALU_DEP_2) | instskip(NEXT) | instid1(VALU_DEP_1)
	v_min_u32_e32 v47, 32, v48
	v_add_lshl_u32 v45, v47, v45, 23
	s_delay_alu instid0(VALU_DEP_1) | instskip(SKIP_1) | instid1(VALU_DEP_1)
	v_dual_sub_nc_u32 v41, v41, v45 :: v_dual_bitop2_b32 v44, v44, v46 bitop3:0x54
	v_not_b32_e32 v46, v47
	v_alignbit_b32 v40, v43, v40, v46
	s_delay_alu instid0(VALU_DEP_1) | instskip(NEXT) | instid1(VALU_DEP_4)
	v_lshrrev_b32_e32 v40, 9, v40
	v_mul_f32_e32 v48, 0x3fc90fda, v44
	s_delay_alu instid0(VALU_DEP_2) | instskip(NEXT) | instid1(VALU_DEP_2)
	v_or_b32_e32 v40, v41, v40
	v_fma_f32 v43, 0x3fc90fda, v44, -v48
	s_delay_alu instid0(VALU_DEP_1) | instskip(NEXT) | instid1(VALU_DEP_1)
	v_fmac_f32_e32 v43, 0x33a22168, v44
	v_fmac_f32_e32 v43, 0x3fc90fda, v40
	s_delay_alu instid0(VALU_DEP_1) | instskip(NEXT) | instid1(VALU_DEP_1)
	v_dual_lshrrev_b32 v4, 30, v4 :: v_dual_add_f32 v40, v48, v43
	v_add_nc_u32_e32 v4, v42, v4
	s_and_not1_saveexec_b32 s3, s19
	s_cbranch_execz .LBB217_47
.LBB217_52:                             ;   in Loop: Header=BB217_25 Depth=1
	s_delay_alu instid0(VALU_DEP_2) | instskip(NEXT) | instid1(VALU_DEP_1)
	v_mul_f32_e32 v4, 0x3f22f983, v40
	v_rndne_f32_e32 v4, v4
	s_delay_alu instid0(VALU_DEP_1) | instskip(NEXT) | instid1(VALU_DEP_1)
	v_fmac_f32_e32 v40, 0xbfc90fda, v4
	v_fmac_f32_e32 v40, 0xb3a22168, v4
	s_delay_alu instid0(VALU_DEP_1) | instskip(SKIP_3) | instid1(SALU_CYCLE_1)
	v_fmac_f32_e32 v40, 0xa7c234c4, v4
	v_cvt_i32_f32_e32 v4, v4
	s_or_b32 exec_lo, exec_lo, s3
	s_and_saveexec_b32 s3, s2
	s_xor_b32 s3, exec_lo, s3
	s_cbranch_execz .LBB217_48
.LBB217_53:                             ;   in Loop: Header=BB217_25 Depth=1
	v_dual_mul_f32 v41, v34, v34 :: v_dual_bitop2_b32 v44, 1, v35 bitop3:0x40
	s_delay_alu instid0(VALU_DEP_1) | instskip(NEXT) | instid1(VALU_DEP_2)
	v_dual_fmaak_f32 v42, s17, v41, 0x3c0881c4 :: v_dual_lshlrev_b32 v35, 30, v35
	v_cmp_eq_u32_e64 s2, 0, v44
	s_delay_alu instid0(VALU_DEP_2) | instskip(NEXT) | instid1(VALU_DEP_1)
	v_fmaak_f32 v42, v41, v42, 0xbe2aaa9d
	v_dual_fmaak_f32 v43, s18, v41, 0xbab64f3b :: v_dual_mul_f32 v42, v41, v42
	s_delay_alu instid0(VALU_DEP_1) | instskip(NEXT) | instid1(VALU_DEP_1)
	v_dual_fmaak_f32 v43, v41, v43, 0x3d2aabf7 :: v_dual_fmac_f32 v34, v34, v42
	v_fmaak_f32 v43, v41, v43, 0xbf000004
	s_delay_alu instid0(VALU_DEP_1) | instskip(NEXT) | instid1(VALU_DEP_1)
	v_fma_f32 v41, v41, v43, 1.0
	v_cndmask_b32_e64 v34, -v34, v41, s2
	v_cmp_lg_f16_e64 s2, 0x7c00, v33
	s_delay_alu instid0(VALU_DEP_2) | instskip(NEXT) | instid1(VALU_DEP_1)
	v_bitop3_b32 v34, v35, v34, 0x80000000 bitop3:0x6c
	v_cvt_f16_f32_e32 v41, v34
	v_add_nc_u64_e32 v[34:35], s[6:7], v[10:11]
	s_delay_alu instid0(VALU_DEP_2)
	v_cndmask_b32_e64 v33, 0x7e00, v41, s2
	global_store_b16 v[34:35], v33, off
	s_wait_xcnt 0x0
	s_or_b32 exec_lo, exec_lo, s3
	s_and_saveexec_b32 s2, s1
	s_cbranch_execz .LBB217_49
.LBB217_54:                             ;   in Loop: Header=BB217_25 Depth=1
	v_dual_mul_f32 v33, v36, v36 :: v_dual_bitop2_b32 v41, 1, v37 bitop3:0x40
	s_delay_alu instid0(VALU_DEP_1) | instskip(NEXT) | instid1(VALU_DEP_2)
	v_fmaak_f32 v34, s17, v33, 0x3c0881c4
	v_cmp_eq_u32_e64 s1, 0, v41
	s_delay_alu instid0(VALU_DEP_2) | instskip(NEXT) | instid1(VALU_DEP_1)
	v_fmaak_f32 v34, v33, v34, 0xbe2aaa9d
	v_dual_fmaak_f32 v35, s18, v33, 0xbab64f3b :: v_dual_mul_f32 v34, v33, v34
	s_delay_alu instid0(VALU_DEP_1) | instskip(NEXT) | instid1(VALU_DEP_1)
	v_dual_fmaak_f32 v35, v33, v35, 0x3d2aabf7 :: v_dual_fmac_f32 v36, v36, v34
	v_dual_fmaak_f32 v35, v33, v35, 0xbf000004 :: v_dual_lshlrev_b32 v34, 30, v37
	s_delay_alu instid0(VALU_DEP_1) | instskip(NEXT) | instid1(VALU_DEP_1)
	v_fma_f32 v33, v33, v35, 1.0
	v_cndmask_b32_e64 v33, -v36, v33, s1
	v_cmp_lg_f16_e64 s1, 0x7c00, v32
	s_delay_alu instid0(VALU_DEP_2) | instskip(SKIP_1) | instid1(VALU_DEP_2)
	v_bitop3_b32 v33, v34, v33, 0x80000000 bitop3:0x6c
	v_add_nc_u64_e32 v[34:35], s[6:7], v[28:29]
	v_cvt_f16_f32_e32 v33, v33
	s_delay_alu instid0(VALU_DEP_1)
	v_cndmask_b32_e64 v32, 0x7e00, v33, s1
	global_store_b16 v[34:35], v32, off
	s_wait_xcnt 0x0
	s_or_b32 exec_lo, exec_lo, s2
	s_and_saveexec_b32 s1, s0
	s_cbranch_execz .LBB217_50
.LBB217_55:                             ;   in Loop: Header=BB217_25 Depth=1
	v_dual_mul_f32 v32, v38, v38 :: v_dual_bitop2_b32 v35, 1, v39 bitop3:0x40
	s_delay_alu instid0(VALU_DEP_1) | instskip(NEXT) | instid1(VALU_DEP_2)
	v_fmaak_f32 v33, s17, v32, 0x3c0881c4
	v_cmp_eq_u32_e64 s0, 0, v35
	s_delay_alu instid0(VALU_DEP_2) | instskip(NEXT) | instid1(VALU_DEP_1)
	v_fmaak_f32 v33, v32, v33, 0xbe2aaa9d
	v_dual_fmaak_f32 v34, s18, v32, 0xbab64f3b :: v_dual_mul_f32 v33, v32, v33
	s_delay_alu instid0(VALU_DEP_1) | instskip(NEXT) | instid1(VALU_DEP_2)
	v_fmaak_f32 v34, v32, v34, 0x3d2aabf7
	v_dual_fmac_f32 v38, v38, v33 :: v_dual_lshlrev_b32 v33, 30, v39
	s_delay_alu instid0(VALU_DEP_2) | instskip(NEXT) | instid1(VALU_DEP_1)
	v_fmaak_f32 v34, v32, v34, 0xbf000004
	v_fma_f32 v32, v32, v34, 1.0
	s_delay_alu instid0(VALU_DEP_1) | instskip(SKIP_1) | instid1(VALU_DEP_2)
	v_cndmask_b32_e64 v32, -v38, v32, s0
	v_cmp_lg_f16_e64 s0, 0x7c00, v31
	v_bitop3_b32 v32, v33, v32, 0x80000000 bitop3:0x6c
	s_delay_alu instid0(VALU_DEP_1) | instskip(SKIP_1) | instid1(VALU_DEP_2)
	v_cvt_f16_f32_e32 v34, v32
	v_add_nc_u64_e32 v[32:33], s[6:7], v[20:21]
	v_cndmask_b32_e64 v31, 0x7e00, v34, s0
	global_store_b16 v[32:33], v31, off
	s_wait_xcnt 0x0
	s_or_b32 exec_lo, exec_lo, s1
	s_and_saveexec_b32 s0, vcc_lo
	s_cbranch_execz .LBB217_24
.LBB217_56:                             ;   in Loop: Header=BB217_25 Depth=1
	v_mul_f32_e32 v31, v40, v40
	s_delay_alu instid0(VALU_DEP_1) | instskip(NEXT) | instid1(VALU_DEP_1)
	v_fmaak_f32 v32, s17, v31, 0x3c0881c4
	v_fmaak_f32 v32, v31, v32, 0xbe2aaa9d
	s_delay_alu instid0(VALU_DEP_1) | instskip(NEXT) | instid1(VALU_DEP_1)
	v_dual_fmaak_f32 v33, s18, v31, 0xbab64f3b :: v_dual_mul_f32 v32, v31, v32
	v_dual_fmaak_f32 v33, v31, v33, 0x3d2aabf7 :: v_dual_fmac_f32 v40, v40, v32
	s_delay_alu instid0(VALU_DEP_1) | instskip(SKIP_1) | instid1(VALU_DEP_2)
	v_fmaak_f32 v33, v31, v33, 0xbf000004
	v_dual_lshlrev_b32 v4, 30, v4 :: v_dual_bitop2_b32 v34, 1, v4 bitop3:0x40
	v_fma_f32 v31, v31, v33, 1.0
	s_delay_alu instid0(VALU_DEP_2) | instskip(SKIP_1) | instid1(VALU_DEP_3)
	v_cmp_eq_u32_e32 vcc_lo, 0, v34
	v_add_nc_u64_e32 v[32:33], s[6:7], v[24:25]
	v_cndmask_b32_e64 v31, -v40, v31, vcc_lo
	v_cmp_lg_f16_e32 vcc_lo, 0x7c00, v30
	s_delay_alu instid0(VALU_DEP_2) | instskip(NEXT) | instid1(VALU_DEP_1)
	v_bitop3_b32 v4, v4, v31, 0x80000000 bitop3:0x6c
	v_cvt_f16_f32_e32 v4, v4
	s_delay_alu instid0(VALU_DEP_1)
	v_cndmask_b32_e32 v4, 0x7e00, v4, vcc_lo
	global_store_b16 v[32:33], v4, off
	s_branch .LBB217_24
.LBB217_57:
	s_endpgm
	.section	.rodata,"a",@progbits
	.p2align	6, 0x0
	.amdhsa_kernel _ZN2at6native12_GLOBAL__N_125multi_tensor_apply_kernelINS1_18TensorListMetadataILi2EEENS1_14UnaryOpFunctorIN3c104HalfELi2ELi1ELi1EEEJNS0_3CosIfEEEEEvT_T0_DpT1_
		.amdhsa_group_segment_fixed_size 0
		.amdhsa_private_segment_fixed_size 0
		.amdhsa_kernarg_size 3408
		.amdhsa_user_sgpr_count 2
		.amdhsa_user_sgpr_dispatch_ptr 0
		.amdhsa_user_sgpr_queue_ptr 0
		.amdhsa_user_sgpr_kernarg_segment_ptr 1
		.amdhsa_user_sgpr_dispatch_id 0
		.amdhsa_user_sgpr_kernarg_preload_length 0
		.amdhsa_user_sgpr_kernarg_preload_offset 0
		.amdhsa_user_sgpr_private_segment_size 0
		.amdhsa_wavefront_size32 1
		.amdhsa_uses_dynamic_stack 0
		.amdhsa_enable_private_segment 0
		.amdhsa_system_sgpr_workgroup_id_x 1
		.amdhsa_system_sgpr_workgroup_id_y 0
		.amdhsa_system_sgpr_workgroup_id_z 0
		.amdhsa_system_sgpr_workgroup_info 0
		.amdhsa_system_vgpr_workitem_id 0
		.amdhsa_next_free_vgpr 54
		.amdhsa_next_free_sgpr 24
		.amdhsa_named_barrier_count 0
		.amdhsa_reserve_vcc 1
		.amdhsa_float_round_mode_32 0
		.amdhsa_float_round_mode_16_64 0
		.amdhsa_float_denorm_mode_32 3
		.amdhsa_float_denorm_mode_16_64 3
		.amdhsa_fp16_overflow 0
		.amdhsa_memory_ordered 1
		.amdhsa_forward_progress 1
		.amdhsa_inst_pref_size 69
		.amdhsa_round_robin_scheduling 0
		.amdhsa_exception_fp_ieee_invalid_op 0
		.amdhsa_exception_fp_denorm_src 0
		.amdhsa_exception_fp_ieee_div_zero 0
		.amdhsa_exception_fp_ieee_overflow 0
		.amdhsa_exception_fp_ieee_underflow 0
		.amdhsa_exception_fp_ieee_inexact 0
		.amdhsa_exception_int_div_zero 0
	.end_amdhsa_kernel
	.section	.text._ZN2at6native12_GLOBAL__N_125multi_tensor_apply_kernelINS1_18TensorListMetadataILi2EEENS1_14UnaryOpFunctorIN3c104HalfELi2ELi1ELi1EEEJNS0_3CosIfEEEEEvT_T0_DpT1_,"axG",@progbits,_ZN2at6native12_GLOBAL__N_125multi_tensor_apply_kernelINS1_18TensorListMetadataILi2EEENS1_14UnaryOpFunctorIN3c104HalfELi2ELi1ELi1EEEJNS0_3CosIfEEEEEvT_T0_DpT1_,comdat
.Lfunc_end217:
	.size	_ZN2at6native12_GLOBAL__N_125multi_tensor_apply_kernelINS1_18TensorListMetadataILi2EEENS1_14UnaryOpFunctorIN3c104HalfELi2ELi1ELi1EEEJNS0_3CosIfEEEEEvT_T0_DpT1_, .Lfunc_end217-_ZN2at6native12_GLOBAL__N_125multi_tensor_apply_kernelINS1_18TensorListMetadataILi2EEENS1_14UnaryOpFunctorIN3c104HalfELi2ELi1ELi1EEEJNS0_3CosIfEEEEEvT_T0_DpT1_
                                        ; -- End function
	.set _ZN2at6native12_GLOBAL__N_125multi_tensor_apply_kernelINS1_18TensorListMetadataILi2EEENS1_14UnaryOpFunctorIN3c104HalfELi2ELi1ELi1EEEJNS0_3CosIfEEEEEvT_T0_DpT1_.num_vgpr, 54
	.set _ZN2at6native12_GLOBAL__N_125multi_tensor_apply_kernelINS1_18TensorListMetadataILi2EEENS1_14UnaryOpFunctorIN3c104HalfELi2ELi1ELi1EEEJNS0_3CosIfEEEEEvT_T0_DpT1_.num_agpr, 0
	.set _ZN2at6native12_GLOBAL__N_125multi_tensor_apply_kernelINS1_18TensorListMetadataILi2EEENS1_14UnaryOpFunctorIN3c104HalfELi2ELi1ELi1EEEJNS0_3CosIfEEEEEvT_T0_DpT1_.numbered_sgpr, 24
	.set _ZN2at6native12_GLOBAL__N_125multi_tensor_apply_kernelINS1_18TensorListMetadataILi2EEENS1_14UnaryOpFunctorIN3c104HalfELi2ELi1ELi1EEEJNS0_3CosIfEEEEEvT_T0_DpT1_.num_named_barrier, 0
	.set _ZN2at6native12_GLOBAL__N_125multi_tensor_apply_kernelINS1_18TensorListMetadataILi2EEENS1_14UnaryOpFunctorIN3c104HalfELi2ELi1ELi1EEEJNS0_3CosIfEEEEEvT_T0_DpT1_.private_seg_size, 0
	.set _ZN2at6native12_GLOBAL__N_125multi_tensor_apply_kernelINS1_18TensorListMetadataILi2EEENS1_14UnaryOpFunctorIN3c104HalfELi2ELi1ELi1EEEJNS0_3CosIfEEEEEvT_T0_DpT1_.uses_vcc, 1
	.set _ZN2at6native12_GLOBAL__N_125multi_tensor_apply_kernelINS1_18TensorListMetadataILi2EEENS1_14UnaryOpFunctorIN3c104HalfELi2ELi1ELi1EEEJNS0_3CosIfEEEEEvT_T0_DpT1_.uses_flat_scratch, 0
	.set _ZN2at6native12_GLOBAL__N_125multi_tensor_apply_kernelINS1_18TensorListMetadataILi2EEENS1_14UnaryOpFunctorIN3c104HalfELi2ELi1ELi1EEEJNS0_3CosIfEEEEEvT_T0_DpT1_.has_dyn_sized_stack, 0
	.set _ZN2at6native12_GLOBAL__N_125multi_tensor_apply_kernelINS1_18TensorListMetadataILi2EEENS1_14UnaryOpFunctorIN3c104HalfELi2ELi1ELi1EEEJNS0_3CosIfEEEEEvT_T0_DpT1_.has_recursion, 0
	.set _ZN2at6native12_GLOBAL__N_125multi_tensor_apply_kernelINS1_18TensorListMetadataILi2EEENS1_14UnaryOpFunctorIN3c104HalfELi2ELi1ELi1EEEJNS0_3CosIfEEEEEvT_T0_DpT1_.has_indirect_call, 0
	.section	.AMDGPU.csdata,"",@progbits
; Kernel info:
; codeLenInByte = 8788
; TotalNumSgprs: 26
; NumVgprs: 54
; ScratchSize: 0
; MemoryBound: 0
; FloatMode: 240
; IeeeMode: 1
; LDSByteSize: 0 bytes/workgroup (compile time only)
; SGPRBlocks: 0
; VGPRBlocks: 3
; NumSGPRsForWavesPerEU: 26
; NumVGPRsForWavesPerEU: 54
; NamedBarCnt: 0
; Occupancy: 16
; WaveLimiterHint : 0
; COMPUTE_PGM_RSRC2:SCRATCH_EN: 0
; COMPUTE_PGM_RSRC2:USER_SGPR: 2
; COMPUTE_PGM_RSRC2:TRAP_HANDLER: 0
; COMPUTE_PGM_RSRC2:TGID_X_EN: 1
; COMPUTE_PGM_RSRC2:TGID_Y_EN: 0
; COMPUTE_PGM_RSRC2:TGID_Z_EN: 0
; COMPUTE_PGM_RSRC2:TIDIG_COMP_CNT: 0
	.section	.text._ZN2at6native12_GLOBAL__N_125multi_tensor_apply_kernelINS1_18TensorListMetadataILi2EEENS1_14UnaryOpFunctorIN3c108BFloat16ELi2ELi1ELi1EEEJNS0_3CosIfEEEEEvT_T0_DpT1_,"axG",@progbits,_ZN2at6native12_GLOBAL__N_125multi_tensor_apply_kernelINS1_18TensorListMetadataILi2EEENS1_14UnaryOpFunctorIN3c108BFloat16ELi2ELi1ELi1EEEJNS0_3CosIfEEEEEvT_T0_DpT1_,comdat
	.globl	_ZN2at6native12_GLOBAL__N_125multi_tensor_apply_kernelINS1_18TensorListMetadataILi2EEENS1_14UnaryOpFunctorIN3c108BFloat16ELi2ELi1ELi1EEEJNS0_3CosIfEEEEEvT_T0_DpT1_ ; -- Begin function _ZN2at6native12_GLOBAL__N_125multi_tensor_apply_kernelINS1_18TensorListMetadataILi2EEENS1_14UnaryOpFunctorIN3c108BFloat16ELi2ELi1ELi1EEEJNS0_3CosIfEEEEEvT_T0_DpT1_
	.p2align	8
	.type	_ZN2at6native12_GLOBAL__N_125multi_tensor_apply_kernelINS1_18TensorListMetadataILi2EEENS1_14UnaryOpFunctorIN3c108BFloat16ELi2ELi1ELi1EEEJNS0_3CosIfEEEEEvT_T0_DpT1_,@function
_ZN2at6native12_GLOBAL__N_125multi_tensor_apply_kernelINS1_18TensorListMetadataILi2EEENS1_14UnaryOpFunctorIN3c108BFloat16ELi2ELi1ELi1EEEJNS0_3CosIfEEEEEvT_T0_DpT1_: ; @_ZN2at6native12_GLOBAL__N_125multi_tensor_apply_kernelINS1_18TensorListMetadataILi2EEENS1_14UnaryOpFunctorIN3c108BFloat16ELi2ELi1ELi1EEEJNS0_3CosIfEEEEEvT_T0_DpT1_
; %bb.0:
	s_bfe_u32 s2, ttmp6, 0x4000c
	s_and_b32 s3, ttmp6, 15
	s_add_co_i32 s2, s2, 1
	s_getreg_b32 s4, hwreg(HW_REG_IB_STS2, 6, 4)
	s_mul_i32 s2, ttmp9, s2
	s_delay_alu instid0(SALU_CYCLE_1)
	s_add_co_i32 s3, s3, s2
	s_cmp_eq_u32 s4, 0
	s_cselect_b32 s2, ttmp9, s3
	s_mov_b32 s3, 0
	s_load_u8 s11, s[0:1], s2 offset:0x600
	s_add_nc_u64 s[4:5], s[0:1], s[2:3]
	s_mul_u64 s[6:7], s[2:3], 3
	s_mov_b32 s15, s3
	s_add_nc_u64 s[6:7], s[4:5], s[6:7]
	s_load_b32 s10, s[6:7], 0x740
	s_wait_kmcnt 0x0
	s_clause 0x2
	s_load_b64 s[4:5], s[0:1], s11 offset:0x0 scale_offset
	s_load_b64 s[8:9], s[0:1], s11 offset:0x200 scale_offset
	;; [unrolled: 1-line block ×3, first 2 shown]
	s_wait_xcnt 0x0
	s_ashr_i32 s11, s10, 31
	s_delay_alu instid0(SALU_CYCLE_1)
	s_lshl_b64 s[6:7], s[10:11], 17
	s_wait_kmcnt 0x0
	s_and_b64 s[18:19], s[8:9], 7
	s_add_nc_u64 s[16:17], s[4:5], s[6:7]
	s_and_b32 s14, s12, 3
	s_and_b32 s2, s16, 7
	s_or_b64 s[14:15], s[18:19], s[14:15]
	s_lshl_b64 s[10:11], s[10:11], 16
	s_or_b64 s[2:3], s[14:15], s[2:3]
	s_sub_nc_u64 s[10:11], s[12:13], s[10:11]
	s_cmp_eq_u64 s[2:3], 0
	s_mov_b32 s2, -1
	s_cbranch_scc0 .LBB218_21
; %bb.1:
	v_min_i64 v[2:3], 0x10000, s[10:11]
	v_dual_mov_b32 v5, 0 :: v_dual_lshlrev_b32 v4, 2, v0
	s_mov_b32 s18, exec_lo
	s_delay_alu instid0(VALU_DEP_1)
	v_cmpx_lt_i64_e64 v[4:5], v[2:3]
	s_cbranch_execz .LBB218_20
; %bb.2:
	s_load_b32 s2, s[0:1], 0xc5c
	v_dual_mov_b32 v1, v5 :: v_dual_lshlrev_b32 v4, 3, v0
	s_mov_b32 s13, 0
	s_mov_b32 s19, 0x7fffff
	s_mov_b64 s[14:15], 0xfe5163ab
	s_delay_alu instid0(VALU_DEP_1)
	v_mov_b64_e32 v[8:9], v[0:1]
	v_add_nc_u64_e32 v[6:7], s[6:7], v[4:5]
	s_mov_b32 s20, 0xb94c1982
	s_mov_b32 s21, 0x37d75334
	;; [unrolled: 1-line block ×4, first 2 shown]
	s_wait_kmcnt 0x0
	s_and_b32 s12, s2, 0xffff
	s_delay_alu instid0(SALU_CYCLE_1)
	s_lshl_b32 s16, s12, 3
	s_branch .LBB218_4
.LBB218_3:                              ;   in Loop: Header=BB218_4 Depth=1
	s_or_b32 exec_lo, exec_lo, s2
	v_dual_mul_f32 v20, v17, v17 :: v_dual_bitop2_b32 v21, 1, v18 bitop3:0x40
	v_dual_lshlrev_b32 v18, 30, v18 :: v_dual_mul_f32 v22, v15, v15
	v_add_nc_u64_e32 v[8:9], s[12:13], v[8:9]
	s_delay_alu instid0(VALU_DEP_3)
	v_fmaak_f32 v23, s20, v20, 0x3c0881c4
	v_fmaak_f32 v24, s21, v20, 0xbab64f3b
	v_cmp_eq_u32_e32 vcc_lo, 0, v21
	v_fmaak_f32 v28, s20, v22, 0x3c0881c4
	v_fmaak_f32 v29, s21, v22, 0xbab64f3b
	;; [unrolled: 1-line block ×3, first 2 shown]
	v_mul_f32_e32 v26, v12, v12
	s_delay_alu instid0(VALU_DEP_4) | instskip(NEXT) | instid1(VALU_DEP_3)
	v_fmaak_f32 v28, v22, v28, 0xbe2aaa9d
	v_dual_mul_f32 v23, v20, v23 :: v_dual_bitop2_b32 v25, 1, v16 bitop3:0x40
	v_dual_fmaak_f32 v24, v20, v24, 0x3d2aabf7 :: v_dual_fmaak_f32 v29, v22, v29, 0x3d2aabf7
	s_delay_alu instid0(VALU_DEP_4) | instskip(NEXT) | instid1(VALU_DEP_3)
	v_dual_mul_f32 v27, v4, v4 :: v_dual_fmaak_f32 v30, s20, v26, 0x3c0881c4
	v_dual_fmac_f32 v17, v17, v23 :: v_dual_mul_f32 v23, v22, v28
	s_delay_alu instid0(VALU_DEP_3) | instskip(SKIP_1) | instid1(VALU_DEP_4)
	v_fmaak_f32 v24, v20, v24, 0xbf000004
	v_dual_fmaak_f32 v31, s21, v26, 0xbab64f3b :: v_dual_lshlrev_b32 v16, 30, v16
	v_fmaak_f32 v28, s20, v27, 0x3c0881c4
	s_delay_alu instid0(VALU_DEP_4) | instskip(NEXT) | instid1(VALU_DEP_4)
	v_fmac_f32_e32 v15, v15, v23
	v_fma_f32 v20, v20, v24, 1.0
	v_fmaak_f32 v24, v22, v29, 0xbf000004
	s_delay_alu instid0(VALU_DEP_2) | instskip(NEXT) | instid1(VALU_DEP_2)
	v_cndmask_b32_e64 v17, -v17, v20, vcc_lo
	v_fma_f32 v20, v22, v24, 1.0
	v_fmaak_f32 v22, v26, v30, 0xbe2aaa9d
	v_cmp_eq_u32_e32 vcc_lo, 0, v25
	s_delay_alu instid0(VALU_DEP_2) | instskip(NEXT) | instid1(VALU_DEP_4)
	v_dual_fmaak_f32 v21, s21, v27, 0xbab64f3b :: v_dual_mul_f32 v22, v26, v22
	v_cndmask_b32_e64 v15, -v15, v20, vcc_lo
	v_bitop3_b32 v17, v18, v17, 0x80000000 bitop3:0x6c
	s_delay_alu instid0(VALU_DEP_3) | instskip(NEXT) | instid1(VALU_DEP_4)
	v_dual_fmaak_f32 v18, v26, v31, 0x3d2aabf7 :: v_dual_fmaak_f32 v21, v27, v21, 0x3d2aabf7
	v_dual_fmac_f32 v12, v12, v22 :: v_dual_bitop2_b32 v22, 1, v13 bitop3:0x40
	v_dual_fmaak_f32 v20, v27, v28, 0xbe2aaa9d :: v_dual_lshlrev_b32 v13, 30, v13
	s_delay_alu instid0(VALU_DEP_3) | instskip(NEXT) | instid1(VALU_DEP_3)
	v_dual_fmaak_f32 v18, v26, v18, 0xbf000004 :: v_dual_fmaak_f32 v21, v27, v21, 0xbf000004
	v_cmp_eq_u32_e32 vcc_lo, 0, v22
	v_bitop3_b32 v15, v16, v15, 0x80000000 bitop3:0x6c
	s_delay_alu instid0(VALU_DEP_3) | instskip(SKIP_2) | instid1(VALU_DEP_3)
	v_fma_f32 v18, v26, v18, 1.0
	v_mul_f32_e32 v20, v27, v20
	v_fma_f32 v21, v27, v21, 1.0
	v_cndmask_b32_e64 v12, -v12, v18, vcc_lo
	s_delay_alu instid0(VALU_DEP_3) | instskip(SKIP_1) | instid1(VALU_DEP_2)
	v_dual_fmac_f32 v4, v4, v20 :: v_dual_bitop2_b32 v20, 1, v19 bitop3:0x40
	v_lshlrev_b32_e32 v18, 30, v19
	v_cmp_eq_u32_e32 vcc_lo, 0, v20
	s_delay_alu instid0(VALU_DEP_3) | instskip(SKIP_2) | instid1(VALU_DEP_3)
	v_cndmask_b32_e64 v4, -v4, v21, vcc_lo
	v_cmp_class_f32_e64 vcc_lo, v10, 0x1f8
	v_bitop3_b32 v10, v13, v12, 0x80000000 bitop3:0x6c
	v_bitop3_b32 v4, v18, v4, 0x80000000 bitop3:0x6c
	v_cndmask_b32_e32 v16, 0x7fc00000, v17, vcc_lo
	v_cmp_class_f32_e64 vcc_lo, v14, 0x1f8
	v_cndmask_b32_e32 v12, 0x7fc00000, v15, vcc_lo
	v_cmp_class_f32_e64 vcc_lo, v1, 0x1f8
	;; [unrolled: 2-line block ×3, first 2 shown]
	v_bfe_u32 v10, v16, 16, 1
	v_bfe_u32 v11, v12, 16, 1
	s_delay_alu instid0(VALU_DEP_4) | instskip(SKIP_1) | instid1(VALU_DEP_4)
	v_bfe_u32 v13, v1, 16, 1
	v_cndmask_b32_e32 v4, 0x7fc00000, v4, vcc_lo
	v_add3_u32 v10, v16, v10, 0x7fff
	s_delay_alu instid0(VALU_DEP_4)
	v_add3_u32 v11, v12, v11, 0x7fff
	v_cmp_o_f32_e32 vcc_lo, v12, v12
	v_add3_u32 v13, v1, v13, 0x7fff
	v_bfe_u32 v14, v4, 16, 1
	v_lshrrev_b32_e32 v15, 16, v10
	v_and_b32_e32 v10, 0xffff0000, v11
	s_delay_alu instid0(VALU_DEP_4) | instskip(NEXT) | instid1(VALU_DEP_4)
	v_lshrrev_b32_e32 v11, 16, v13
	v_add3_u32 v14, v4, v14, 0x7fff
	s_delay_alu instid0(VALU_DEP_3) | instskip(SKIP_1) | instid1(VALU_DEP_3)
	v_cndmask_b32_e32 v12, 0x7fc00000, v10, vcc_lo
	v_cmp_o_f32_e32 vcc_lo, v1, v1
	v_and_b32_e32 v13, 0xffff0000, v14
	v_cndmask_b32_e32 v1, 0x7fc0, v11, vcc_lo
	v_cmp_o_f32_e32 vcc_lo, v4, v4
	v_lshlrev_b64_e32 v[10:11], 2, v[8:9]
	s_delay_alu instid0(VALU_DEP_3) | instskip(SKIP_2) | instid1(VALU_DEP_3)
	v_or_b32_e32 v1, v12, v1
	v_cndmask_b32_e32 v4, 0x7fc00000, v13, vcc_lo
	v_cmp_o_f32_e32 vcc_lo, v16, v16
	v_or3_b32 v12, v1, 0, 0
	v_cndmask_b32_e32 v13, 0x7fc0, v15, vcc_lo
	v_cmp_ge_i64_e32 vcc_lo, v[10:11], v[2:3]
	v_add_nc_u64_e32 v[10:11], s[8:9], v[6:7]
	v_add_nc_u64_e32 v[6:7], s[16:17], v[6:7]
	s_delay_alu instid0(VALU_DEP_4)
	v_or3_b32 v13, 0, v13, v4
	s_or_b32 s22, vcc_lo, s22
	global_store_b64 v[10:11], v[12:13], off
	s_wait_xcnt 0x0
	s_and_not1_b32 exec_lo, exec_lo, s22
	s_cbranch_execz .LBB218_20
.LBB218_4:                              ; =>This Inner Loop Header: Depth=1
	v_add_nc_u64_e32 v[10:11], s[4:5], v[6:7]
                                        ; implicit-def: $vgpr13
                                        ; implicit-def: $vgpr12
	s_mov_b32 s3, exec_lo
	global_load_b64 v[10:11], v[10:11], off
	s_wait_loadcnt 0x0
	v_lshlrev_b32_e32 v1, 16, v10
	s_wait_xcnt 0x0
	s_delay_alu instid0(VALU_DEP_1)
	v_cmpx_ngt_f32_e64 0x48000000, |v1|
	s_xor_b32 s23, exec_lo, s3
	s_cbranch_execz .LBB218_6
; %bb.5:                                ;   in Loop: Header=BB218_4 Depth=1
	v_and_b32_e32 v22, 0x7fffffff, v1
	v_dual_mov_b32 v23, v5 :: v_dual_mov_b32 v25, v5
	s_delay_alu instid0(VALU_DEP_2) | instskip(NEXT) | instid1(VALU_DEP_1)
	v_and_or_b32 v4, v22, s19, 0x800000
	v_mul_u64_e32 v[12:13], s[14:15], v[4:5]
	s_delay_alu instid0(VALU_DEP_1) | instskip(SKIP_1) | instid1(VALU_DEP_2)
	v_dual_mov_b32 v15, v5 :: v_dual_mov_b32 v14, v13
	v_lshrrev_b32_e32 v13, 23, v22
	v_mad_nc_u64_u32 v[14:15], 0x3c439041, v4, v[14:15]
	v_mov_b32_e32 v17, v5
	s_delay_alu instid0(VALU_DEP_3) | instskip(NEXT) | instid1(VALU_DEP_1)
	v_add_nc_u32_e32 v13, 0xffffff88, v13
	v_cmp_lt_u32_e32 vcc_lo, 63, v13
	s_delay_alu instid0(VALU_DEP_4) | instskip(SKIP_1) | instid1(VALU_DEP_2)
	v_mov_b32_e32 v16, v15
	v_cndmask_b32_e64 v15, 0, 0xffffffc0, vcc_lo
	v_mad_nc_u64_u32 v[16:17], 0xdb629599, v4, v[16:17]
	s_delay_alu instid0(VALU_DEP_2) | instskip(NEXT) | instid1(VALU_DEP_1)
	v_dual_mov_b32 v19, v5 :: v_dual_add_nc_u32 v13, v15, v13
	v_cmp_lt_u32_e64 s2, 31, v13
	s_delay_alu instid0(VALU_DEP_3) | instskip(NEXT) | instid1(VALU_DEP_2)
	v_mov_b32_e32 v18, v17
	v_cndmask_b32_e64 v15, 0, 0xffffffe0, s2
	v_cndmask_b32_e32 v12, v16, v12, vcc_lo
	s_delay_alu instid0(VALU_DEP_3) | instskip(NEXT) | instid1(VALU_DEP_1)
	v_mad_nc_u64_u32 v[18:19], 0xf534ddc0, v4, v[18:19]
	v_dual_mov_b32 v21, v5 :: v_dual_mov_b32 v20, v19
	s_delay_alu instid0(VALU_DEP_1) | instskip(NEXT) | instid1(VALU_DEP_1)
	v_mad_nc_u64_u32 v[20:21], 0xfc2757d1, v4, v[20:21]
	v_mov_b32_e32 v22, v21
	s_delay_alu instid0(VALU_DEP_1) | instskip(NEXT) | instid1(VALU_DEP_1)
	v_mad_nc_u64_u32 v[22:23], 0x4e441529, v4, v[22:23]
	v_mov_b32_e32 v24, v23
	s_delay_alu instid0(VALU_DEP_1) | instskip(NEXT) | instid1(VALU_DEP_3)
	v_mad_nc_u64_u32 v[24:25], 0xa2f9836e, v4, v[24:25]
	v_dual_cndmask_b32 v15, v22, v18 :: v_dual_add_nc_u32 v4, v15, v13
	s_delay_alu instid0(VALU_DEP_2) | instskip(NEXT) | instid1(VALU_DEP_2)
	v_cndmask_b32_e32 v17, v24, v20, vcc_lo
	v_cmp_lt_u32_e64 s3, 31, v4
	s_delay_alu instid0(VALU_DEP_4) | instskip(NEXT) | instid1(VALU_DEP_2)
	v_dual_cndmask_b32 v19, v25, v22 :: v_dual_cndmask_b32 v20, v20, v16
	v_cndmask_b32_e64 v13, 0, 0xffffffe0, s3
	s_delay_alu instid0(VALU_DEP_1) | instskip(NEXT) | instid1(VALU_DEP_3)
	v_dual_cndmask_b32 v13, v18, v14 :: v_dual_add_nc_u32 v4, v13, v4
	v_dual_cndmask_b32 v14, v17, v15, s2 :: v_dual_cndmask_b32 v17, v19, v17, s2
	s_delay_alu instid0(VALU_DEP_4) | instskip(NEXT) | instid1(VALU_DEP_3)
	v_cndmask_b32_e64 v15, v15, v20, s2
	v_dual_sub_nc_u32 v18, 32, v4 :: v_dual_cndmask_b32 v19, v20, v13, s2
	v_cmp_eq_u32_e32 vcc_lo, 0, v4
	s_delay_alu instid0(VALU_DEP_3) | instskip(NEXT) | instid1(VALU_DEP_1)
	v_dual_cndmask_b32 v17, v17, v14, s3 :: v_dual_cndmask_b32 v14, v14, v15, s3
	v_alignbit_b32 v20, v17, v14, v18
	s_delay_alu instid0(VALU_DEP_1) | instskip(NEXT) | instid1(VALU_DEP_1)
	v_dual_cndmask_b32 v15, v15, v19, s3 :: v_dual_cndmask_b32 v4, v20, v17, vcc_lo
	v_alignbit_b32 v16, v14, v15, v18
	s_delay_alu instid0(VALU_DEP_1) | instskip(NEXT) | instid1(VALU_DEP_3)
	v_dual_cndmask_b32 v12, v13, v12, s2 :: v_dual_cndmask_b32 v13, v16, v14, vcc_lo
	v_bfe_u32 v14, v4, 29, 1
	s_delay_alu instid0(VALU_DEP_2) | instskip(NEXT) | instid1(VALU_DEP_3)
	v_cndmask_b32_e64 v12, v19, v12, s3
	v_alignbit_b32 v16, v4, v13, 30
	s_delay_alu instid0(VALU_DEP_3) | instskip(NEXT) | instid1(VALU_DEP_3)
	v_sub_nc_u32_e32 v17, 0, v14
	v_alignbit_b32 v18, v15, v12, v18
	s_delay_alu instid0(VALU_DEP_1) | instskip(NEXT) | instid1(VALU_DEP_1)
	v_dual_cndmask_b32 v15, v18, v15, vcc_lo :: v_dual_bitop2_b32 v16, v16, v17 bitop3:0x14
	v_clz_i32_u32_e32 v18, v16
	s_delay_alu instid0(VALU_DEP_2) | instskip(SKIP_1) | instid1(VALU_DEP_3)
	v_alignbit_b32 v13, v13, v15, 30
	v_alignbit_b32 v12, v15, v12, 30
	v_min_u32_e32 v18, 32, v18
	s_delay_alu instid0(VALU_DEP_3) | instskip(NEXT) | instid1(VALU_DEP_3)
	v_xor_b32_e32 v13, v13, v17
	v_dual_lshrrev_b32 v17, 29, v4 :: v_dual_bitop2_b32 v12, v12, v17 bitop3:0x14
	s_delay_alu instid0(VALU_DEP_3) | instskip(NEXT) | instid1(VALU_DEP_1)
	v_dual_sub_nc_u32 v15, 31, v18 :: v_dual_lshlrev_b32 v19, 23, v18
	v_alignbit_b32 v16, v16, v13, v15
	s_delay_alu instid0(VALU_DEP_3) | instskip(NEXT) | instid1(VALU_DEP_4)
	v_alignbit_b32 v12, v13, v12, v15
	v_lshlrev_b32_e32 v13, 31, v17
	s_delay_alu instid0(VALU_DEP_2) | instskip(NEXT) | instid1(VALU_DEP_2)
	v_alignbit_b32 v15, v16, v12, 9
	v_dual_lshrrev_b32 v16, 9, v16 :: v_dual_bitop2_b32 v17, 0.5, v13 bitop3:0x54
	v_or_b32_e32 v13, 0x33000000, v13
	s_delay_alu instid0(VALU_DEP_3) | instskip(NEXT) | instid1(VALU_DEP_3)
	v_clz_i32_u32_e32 v20, v15
	v_sub_nc_u32_e32 v17, v17, v19
	s_delay_alu instid0(VALU_DEP_2) | instskip(NEXT) | instid1(VALU_DEP_1)
	v_min_u32_e32 v19, 32, v20
	v_add_lshl_u32 v18, v19, v18, 23
	s_delay_alu instid0(VALU_DEP_3) | instskip(SKIP_1) | instid1(VALU_DEP_2)
	v_or_b32_e32 v16, v16, v17
	v_not_b32_e32 v17, v19
	v_dual_mul_f32 v20, 0x3fc90fda, v16 :: v_dual_sub_nc_u32 v13, v13, v18
	s_delay_alu instid0(VALU_DEP_2) | instskip(NEXT) | instid1(VALU_DEP_2)
	v_alignbit_b32 v12, v15, v12, v17
	v_fma_f32 v15, 0x3fc90fda, v16, -v20
	s_delay_alu instid0(VALU_DEP_2) | instskip(NEXT) | instid1(VALU_DEP_2)
	v_lshrrev_b32_e32 v12, 9, v12
	v_fmac_f32_e32 v15, 0x33a22168, v16
	s_delay_alu instid0(VALU_DEP_2) | instskip(NEXT) | instid1(VALU_DEP_1)
	v_or_b32_e32 v12, v13, v12
	v_fmac_f32_e32 v15, 0x3fc90fda, v12
	s_delay_alu instid0(VALU_DEP_1) | instskip(NEXT) | instid1(VALU_DEP_1)
	v_dual_lshrrev_b32 v4, 30, v4 :: v_dual_add_f32 v12, v20, v15
	v_add_nc_u32_e32 v13, v14, v4
.LBB218_6:                              ;   in Loop: Header=BB218_4 Depth=1
	s_and_not1_saveexec_b32 s2, s23
; %bb.7:                                ;   in Loop: Header=BB218_4 Depth=1
	v_mul_f32_e64 v4, 0x3f22f983, |v1|
	s_delay_alu instid0(VALU_DEP_1) | instskip(NEXT) | instid1(VALU_DEP_1)
	v_rndne_f32_e32 v4, v4
	v_fma_f32 v12, 0xbfc90fda, v4, |v1|
	v_cvt_i32_f32_e32 v13, v4
	s_delay_alu instid0(VALU_DEP_2) | instskip(NEXT) | instid1(VALU_DEP_1)
	v_fmac_f32_e32 v12, 0xb3a22168, v4
	v_fmac_f32_e32 v12, 0xa7c234c4, v4
; %bb.8:                                ;   in Loop: Header=BB218_4 Depth=1
	s_or_b32 exec_lo, exec_lo, s2
	v_and_b32_e32 v14, 0xffff0000, v10
                                        ; implicit-def: $vgpr16
                                        ; implicit-def: $vgpr15
	s_mov_b32 s3, exec_lo
	s_delay_alu instid0(VALU_DEP_1)
	v_cmpx_ngt_f32_e64 0x48000000, |v14|
	s_xor_b32 s23, exec_lo, s3
	s_cbranch_execz .LBB218_10
; %bb.9:                                ;   in Loop: Header=BB218_4 Depth=1
	v_and_b32_e32 v15, 0x7fffffff, v14
	v_mov_b32_e32 v27, v5
	s_delay_alu instid0(VALU_DEP_2) | instskip(SKIP_1) | instid1(VALU_DEP_2)
	v_and_or_b32 v4, v15, s19, 0x800000
	v_lshrrev_b32_e32 v15, 23, v15
	v_mul_u64_e32 v[16:17], s[14:15], v[4:5]
	v_mov_b32_e32 v19, v5
	s_delay_alu instid0(VALU_DEP_3) | instskip(NEXT) | instid1(VALU_DEP_1)
	v_add_nc_u32_e32 v15, 0xffffff88, v15
	v_cmp_lt_u32_e32 vcc_lo, 63, v15
	s_delay_alu instid0(VALU_DEP_4) | instskip(SKIP_1) | instid1(VALU_DEP_2)
	v_mov_b32_e32 v18, v17
	v_cndmask_b32_e64 v17, 0, 0xffffffc0, vcc_lo
	v_mad_nc_u64_u32 v[18:19], 0x3c439041, v4, v[18:19]
	s_delay_alu instid0(VALU_DEP_1) | instskip(NEXT) | instid1(VALU_DEP_1)
	v_dual_mov_b32 v21, v5 :: v_dual_mov_b32 v20, v19
	v_mad_nc_u64_u32 v[20:21], 0xdb629599, v4, v[20:21]
	s_delay_alu instid0(VALU_DEP_1) | instskip(NEXT) | instid1(VALU_DEP_2)
	v_dual_mov_b32 v23, v5 :: v_dual_mov_b32 v22, v21
	v_cndmask_b32_e32 v16, v20, v16, vcc_lo
	s_delay_alu instid0(VALU_DEP_2) | instskip(NEXT) | instid1(VALU_DEP_1)
	v_mad_nc_u64_u32 v[22:23], 0xf534ddc0, v4, v[22:23]
	v_dual_mov_b32 v25, v5 :: v_dual_mov_b32 v24, v23
	s_delay_alu instid0(VALU_DEP_1) | instskip(NEXT) | instid1(VALU_DEP_1)
	v_mad_nc_u64_u32 v[24:25], 0xfc2757d1, v4, v[24:25]
	v_dual_mov_b32 v26, v25 :: v_dual_cndmask_b32 v23, v24, v20
	s_delay_alu instid0(VALU_DEP_1) | instskip(SKIP_1) | instid1(VALU_DEP_2)
	v_mad_nc_u64_u32 v[26:27], 0x4e441529, v4, v[26:27]
	v_add_nc_u32_e32 v15, v17, v15
	v_dual_mov_b32 v29, v5 :: v_dual_mov_b32 v28, v27
	s_delay_alu instid0(VALU_DEP_2) | instskip(NEXT) | instid1(VALU_DEP_2)
	v_cmp_lt_u32_e64 s2, 31, v15
	v_mad_nc_u64_u32 v[28:29], 0xa2f9836e, v4, v[28:29]
	s_delay_alu instid0(VALU_DEP_2) | instskip(NEXT) | instid1(VALU_DEP_1)
	v_cndmask_b32_e64 v17, 0, 0xffffffe0, s2
	v_dual_cndmask_b32 v17, v26, v22 :: v_dual_add_nc_u32 v4, v17, v15
	s_delay_alu instid0(VALU_DEP_3) | instskip(NEXT) | instid1(VALU_DEP_2)
	v_cndmask_b32_e32 v19, v28, v24, vcc_lo
	v_cmp_lt_u32_e64 s3, 31, v4
	v_cndmask_b32_e32 v21, v29, v26, vcc_lo
	s_delay_alu instid0(VALU_DEP_2) | instskip(NEXT) | instid1(VALU_DEP_1)
	v_cndmask_b32_e64 v15, 0, 0xffffffe0, s3
	v_dual_cndmask_b32 v15, v22, v18 :: v_dual_add_nc_u32 v4, v15, v4
	s_delay_alu instid0(VALU_DEP_3) | instskip(NEXT) | instid1(VALU_DEP_2)
	v_dual_cndmask_b32 v18, v19, v17, s2 :: v_dual_cndmask_b32 v19, v21, v19, s2
	v_dual_cndmask_b32 v17, v17, v23, s2 :: v_dual_sub_nc_u32 v21, 32, v4
	s_delay_alu instid0(VALU_DEP_3) | instskip(SKIP_1) | instid1(VALU_DEP_3)
	v_cndmask_b32_e64 v22, v23, v15, s2
	v_cmp_eq_u32_e32 vcc_lo, 0, v4
	v_dual_cndmask_b32 v19, v19, v18, s3 :: v_dual_cndmask_b32 v18, v18, v17, s3
	s_delay_alu instid0(VALU_DEP_1) | instskip(NEXT) | instid1(VALU_DEP_1)
	v_alignbit_b32 v23, v19, v18, v21
	v_dual_cndmask_b32 v17, v17, v22, s3 :: v_dual_cndmask_b32 v4, v23, v19, vcc_lo
	s_delay_alu instid0(VALU_DEP_1) | instskip(NEXT) | instid1(VALU_DEP_1)
	v_alignbit_b32 v20, v18, v17, v21
	v_dual_cndmask_b32 v15, v15, v16, s2 :: v_dual_cndmask_b32 v16, v20, v18, vcc_lo
	s_delay_alu instid0(VALU_DEP_3) | instskip(NEXT) | instid1(VALU_DEP_2)
	v_bfe_u32 v18, v4, 29, 1
	v_cndmask_b32_e64 v15, v22, v15, s3
	s_delay_alu instid0(VALU_DEP_3) | instskip(NEXT) | instid1(VALU_DEP_3)
	v_alignbit_b32 v19, v4, v16, 30
	v_sub_nc_u32_e32 v20, 0, v18
	s_delay_alu instid0(VALU_DEP_3) | instskip(NEXT) | instid1(VALU_DEP_1)
	v_alignbit_b32 v21, v17, v15, v21
	v_dual_cndmask_b32 v17, v21, v17, vcc_lo :: v_dual_bitop2_b32 v19, v19, v20 bitop3:0x14
	s_delay_alu instid0(VALU_DEP_1) | instskip(NEXT) | instid1(VALU_DEP_2)
	v_clz_i32_u32_e32 v21, v19
	v_alignbit_b32 v16, v16, v17, 30
	v_alignbit_b32 v15, v17, v15, 30
	s_delay_alu instid0(VALU_DEP_3) | instskip(NEXT) | instid1(VALU_DEP_3)
	v_min_u32_e32 v21, 32, v21
	v_xor_b32_e32 v16, v16, v20
	s_delay_alu instid0(VALU_DEP_3) | instskip(SKIP_1) | instid1(VALU_DEP_4)
	v_xor_b32_e32 v15, v15, v20
	v_dual_lshrrev_b32 v20, 29, v4 :: v_dual_lshrrev_b32 v4, 30, v4
	v_dual_sub_nc_u32 v17, 31, v21 :: v_dual_lshlrev_b32 v22, 23, v21
	s_delay_alu instid0(VALU_DEP_1) | instskip(NEXT) | instid1(VALU_DEP_4)
	v_alignbit_b32 v19, v19, v16, v17
	v_alignbit_b32 v15, v16, v15, v17
	s_delay_alu instid0(VALU_DEP_4) | instskip(NEXT) | instid1(VALU_DEP_2)
	v_lshlrev_b32_e32 v16, 31, v20
	v_alignbit_b32 v17, v19, v15, 9
	s_delay_alu instid0(VALU_DEP_2) | instskip(SKIP_1) | instid1(VALU_DEP_3)
	v_dual_lshrrev_b32 v19, 9, v19 :: v_dual_bitop2_b32 v20, 0.5, v16 bitop3:0x54
	v_or_b32_e32 v16, 0x33000000, v16
	v_clz_i32_u32_e32 v23, v17
	s_delay_alu instid0(VALU_DEP_3) | instskip(NEXT) | instid1(VALU_DEP_2)
	v_sub_nc_u32_e32 v20, v20, v22
	v_min_u32_e32 v22, 32, v23
	s_delay_alu instid0(VALU_DEP_1) | instskip(NEXT) | instid1(VALU_DEP_3)
	v_add_lshl_u32 v21, v22, v21, 23
	v_or_b32_e32 v19, v19, v20
	v_not_b32_e32 v20, v22
	s_delay_alu instid0(VALU_DEP_2) | instskip(NEXT) | instid1(VALU_DEP_2)
	v_dual_mul_f32 v23, 0x3fc90fda, v19 :: v_dual_sub_nc_u32 v16, v16, v21
	v_alignbit_b32 v15, v17, v15, v20
	s_delay_alu instid0(VALU_DEP_2) | instskip(NEXT) | instid1(VALU_DEP_2)
	v_fma_f32 v17, 0x3fc90fda, v19, -v23
	v_lshrrev_b32_e32 v15, 9, v15
	s_delay_alu instid0(VALU_DEP_2) | instskip(NEXT) | instid1(VALU_DEP_2)
	v_fmac_f32_e32 v17, 0x33a22168, v19
	v_dual_add_nc_u32 v16, v18, v4 :: v_dual_bitop2_b32 v15, v16, v15 bitop3:0x54
	s_delay_alu instid0(VALU_DEP_1) | instskip(NEXT) | instid1(VALU_DEP_1)
	v_fmac_f32_e32 v17, 0x3fc90fda, v15
	v_add_f32_e32 v15, v23, v17
.LBB218_10:                             ;   in Loop: Header=BB218_4 Depth=1
	s_and_not1_saveexec_b32 s2, s23
; %bb.11:                               ;   in Loop: Header=BB218_4 Depth=1
	v_mul_f32_e64 v4, 0x3f22f983, |v14|
	s_delay_alu instid0(VALU_DEP_1) | instskip(NEXT) | instid1(VALU_DEP_1)
	v_rndne_f32_e32 v4, v4
	v_fma_f32 v15, 0xbfc90fda, v4, |v14|
	v_cvt_i32_f32_e32 v16, v4
	s_delay_alu instid0(VALU_DEP_2) | instskip(NEXT) | instid1(VALU_DEP_1)
	v_fmac_f32_e32 v15, 0xb3a22168, v4
	v_fmac_f32_e32 v15, 0xa7c234c4, v4
; %bb.12:                               ;   in Loop: Header=BB218_4 Depth=1
	s_or_b32 exec_lo, exec_lo, s2
	v_alignbit_b32 v4, v11, v10, 16
                                        ; implicit-def: $vgpr18
                                        ; implicit-def: $vgpr17
	s_mov_b32 s3, exec_lo
	s_delay_alu instid0(VALU_DEP_1) | instskip(NEXT) | instid1(VALU_DEP_1)
	v_and_b32_e32 v10, 0xffff0000, v4
	v_cmpx_ngt_f32_e64 0x48000000, |v10|
	s_xor_b32 s23, exec_lo, s3
	s_cbranch_execz .LBB218_14
; %bb.13:                               ;   in Loop: Header=BB218_4 Depth=1
	v_and_b32_e32 v17, 0x7fffffff, v10
	v_dual_mov_b32 v29, v5 :: v_dual_mov_b32 v31, v5
	s_delay_alu instid0(VALU_DEP_2) | instskip(SKIP_1) | instid1(VALU_DEP_2)
	v_and_or_b32 v4, v17, s19, 0x800000
	v_lshrrev_b32_e32 v17, 23, v17
	v_mul_u64_e32 v[18:19], s[14:15], v[4:5]
	v_mov_b32_e32 v21, v5
	s_delay_alu instid0(VALU_DEP_3) | instskip(NEXT) | instid1(VALU_DEP_1)
	v_add_nc_u32_e32 v17, 0xffffff88, v17
	v_cmp_lt_u32_e32 vcc_lo, 63, v17
	s_delay_alu instid0(VALU_DEP_4) | instskip(SKIP_1) | instid1(VALU_DEP_2)
	v_mov_b32_e32 v20, v19
	v_cndmask_b32_e64 v19, 0, 0xffffffc0, vcc_lo
	v_mad_nc_u64_u32 v[20:21], 0x3c439041, v4, v[20:21]
	s_delay_alu instid0(VALU_DEP_2) | instskip(NEXT) | instid1(VALU_DEP_1)
	v_dual_mov_b32 v23, v5 :: v_dual_add_nc_u32 v17, v19, v17
	v_cmp_lt_u32_e64 s2, 31, v17
	s_delay_alu instid0(VALU_DEP_3) | instskip(NEXT) | instid1(VALU_DEP_2)
	v_mov_b32_e32 v22, v21
	v_cndmask_b32_e64 v19, 0, 0xffffffe0, s2
	s_delay_alu instid0(VALU_DEP_2) | instskip(NEXT) | instid1(VALU_DEP_1)
	v_mad_nc_u64_u32 v[22:23], 0xdb629599, v4, v[22:23]
	v_dual_mov_b32 v25, v5 :: v_dual_mov_b32 v24, v23
	s_delay_alu instid0(VALU_DEP_2) | instskip(NEXT) | instid1(VALU_DEP_2)
	v_cndmask_b32_e32 v18, v22, v18, vcc_lo
	v_mad_nc_u64_u32 v[24:25], 0xf534ddc0, v4, v[24:25]
	s_delay_alu instid0(VALU_DEP_1) | instskip(NEXT) | instid1(VALU_DEP_1)
	v_dual_mov_b32 v27, v5 :: v_dual_mov_b32 v26, v25
	v_mad_nc_u64_u32 v[26:27], 0xfc2757d1, v4, v[26:27]
	s_delay_alu instid0(VALU_DEP_1) | instskip(NEXT) | instid1(VALU_DEP_1)
	v_dual_mov_b32 v28, v27 :: v_dual_cndmask_b32 v25, v26, v22
	v_mad_nc_u64_u32 v[28:29], 0x4e441529, v4, v[28:29]
	s_delay_alu instid0(VALU_DEP_1) | instskip(NEXT) | instid1(VALU_DEP_1)
	v_mov_b32_e32 v30, v29
	v_mad_nc_u64_u32 v[30:31], 0xa2f9836e, v4, v[30:31]
	s_delay_alu instid0(VALU_DEP_3) | instskip(NEXT) | instid1(VALU_DEP_1)
	v_dual_cndmask_b32 v19, v28, v24 :: v_dual_add_nc_u32 v4, v19, v17
	v_cmp_lt_u32_e64 s3, 31, v4
	s_delay_alu instid0(VALU_DEP_1) | instskip(NEXT) | instid1(VALU_DEP_4)
	v_cndmask_b32_e64 v17, 0, 0xffffffe0, s3
	v_dual_cndmask_b32 v21, v30, v26, vcc_lo :: v_dual_cndmask_b32 v23, v31, v28, vcc_lo
	s_delay_alu instid0(VALU_DEP_2) | instskip(NEXT) | instid1(VALU_DEP_2)
	v_add_nc_u32_e32 v4, v17, v4
	v_dual_cndmask_b32 v17, v24, v20, vcc_lo :: v_dual_cndmask_b32 v20, v21, v19, s2
	s_delay_alu instid0(VALU_DEP_3) | instskip(NEXT) | instid1(VALU_DEP_3)
	v_cndmask_b32_e64 v21, v23, v21, s2
	v_dual_cndmask_b32 v19, v19, v25, s2 :: v_dual_sub_nc_u32 v23, 32, v4
	s_delay_alu instid0(VALU_DEP_3) | instskip(SKIP_1) | instid1(VALU_DEP_3)
	v_cndmask_b32_e64 v24, v25, v17, s2
	v_cmp_eq_u32_e32 vcc_lo, 0, v4
	v_dual_cndmask_b32 v21, v21, v20, s3 :: v_dual_cndmask_b32 v20, v20, v19, s3
	s_delay_alu instid0(VALU_DEP_1) | instskip(NEXT) | instid1(VALU_DEP_1)
	v_alignbit_b32 v25, v21, v20, v23
	v_dual_cndmask_b32 v19, v19, v24, s3 :: v_dual_cndmask_b32 v4, v25, v21, vcc_lo
	s_delay_alu instid0(VALU_DEP_1) | instskip(NEXT) | instid1(VALU_DEP_1)
	v_alignbit_b32 v22, v20, v19, v23
	v_dual_cndmask_b32 v17, v17, v18, s2 :: v_dual_cndmask_b32 v18, v22, v20, vcc_lo
	s_delay_alu instid0(VALU_DEP_3) | instskip(NEXT) | instid1(VALU_DEP_2)
	v_bfe_u32 v20, v4, 29, 1
	v_cndmask_b32_e64 v17, v24, v17, s3
	s_delay_alu instid0(VALU_DEP_3) | instskip(NEXT) | instid1(VALU_DEP_3)
	v_alignbit_b32 v21, v4, v18, 30
	v_sub_nc_u32_e32 v22, 0, v20
	s_delay_alu instid0(VALU_DEP_3) | instskip(NEXT) | instid1(VALU_DEP_1)
	v_alignbit_b32 v23, v19, v17, v23
	v_dual_cndmask_b32 v19, v23, v19, vcc_lo :: v_dual_bitop2_b32 v21, v21, v22 bitop3:0x14
	s_delay_alu instid0(VALU_DEP_1) | instskip(NEXT) | instid1(VALU_DEP_2)
	v_clz_i32_u32_e32 v23, v21
	v_alignbit_b32 v18, v18, v19, 30
	v_alignbit_b32 v17, v19, v17, 30
	s_delay_alu instid0(VALU_DEP_3) | instskip(NEXT) | instid1(VALU_DEP_3)
	v_min_u32_e32 v23, 32, v23
	v_xor_b32_e32 v18, v18, v22
	s_delay_alu instid0(VALU_DEP_3) | instskip(NEXT) | instid1(VALU_DEP_3)
	v_dual_lshrrev_b32 v22, 29, v4 :: v_dual_bitop2_b32 v17, v17, v22 bitop3:0x14
	v_dual_lshrrev_b32 v4, 30, v4 :: v_dual_sub_nc_u32 v19, 31, v23
	v_lshlrev_b32_e32 v24, 23, v23
	s_delay_alu instid0(VALU_DEP_2) | instskip(NEXT) | instid1(VALU_DEP_4)
	v_alignbit_b32 v21, v21, v18, v19
	v_alignbit_b32 v17, v18, v17, v19
	v_lshlrev_b32_e32 v18, 31, v22
	s_delay_alu instid0(VALU_DEP_2) | instskip(NEXT) | instid1(VALU_DEP_2)
	v_alignbit_b32 v19, v21, v17, 9
	v_dual_lshrrev_b32 v21, 9, v21 :: v_dual_bitop2_b32 v22, 0.5, v18 bitop3:0x54
	v_or_b32_e32 v18, 0x33000000, v18
	s_delay_alu instid0(VALU_DEP_3) | instskip(NEXT) | instid1(VALU_DEP_3)
	v_clz_i32_u32_e32 v25, v19
	v_sub_nc_u32_e32 v22, v22, v24
	s_delay_alu instid0(VALU_DEP_2) | instskip(NEXT) | instid1(VALU_DEP_1)
	v_min_u32_e32 v24, 32, v25
	v_add_lshl_u32 v23, v24, v23, 23
	s_delay_alu instid0(VALU_DEP_3) | instskip(SKIP_1) | instid1(VALU_DEP_2)
	v_or_b32_e32 v21, v21, v22
	v_not_b32_e32 v22, v24
	v_dual_mul_f32 v25, 0x3fc90fda, v21 :: v_dual_sub_nc_u32 v18, v18, v23
	s_delay_alu instid0(VALU_DEP_2) | instskip(NEXT) | instid1(VALU_DEP_2)
	v_alignbit_b32 v17, v19, v17, v22
	v_fma_f32 v19, 0x3fc90fda, v21, -v25
	s_delay_alu instid0(VALU_DEP_2) | instskip(NEXT) | instid1(VALU_DEP_2)
	v_lshrrev_b32_e32 v17, 9, v17
	v_fmac_f32_e32 v19, 0x33a22168, v21
	s_delay_alu instid0(VALU_DEP_2) | instskip(NEXT) | instid1(VALU_DEP_1)
	v_dual_add_nc_u32 v18, v20, v4 :: v_dual_bitop2_b32 v17, v18, v17 bitop3:0x54
	v_fmac_f32_e32 v19, 0x3fc90fda, v17
	s_delay_alu instid0(VALU_DEP_1)
	v_add_f32_e32 v17, v25, v19
.LBB218_14:                             ;   in Loop: Header=BB218_4 Depth=1
	s_and_not1_saveexec_b32 s2, s23
; %bb.15:                               ;   in Loop: Header=BB218_4 Depth=1
	v_mul_f32_e64 v4, 0x3f22f983, |v10|
	s_delay_alu instid0(VALU_DEP_1) | instskip(NEXT) | instid1(VALU_DEP_1)
	v_rndne_f32_e32 v4, v4
	v_fma_f32 v17, 0xbfc90fda, v4, |v10|
	v_cvt_i32_f32_e32 v18, v4
	s_delay_alu instid0(VALU_DEP_2) | instskip(NEXT) | instid1(VALU_DEP_1)
	v_fmac_f32_e32 v17, 0xb3a22168, v4
	v_fmac_f32_e32 v17, 0xa7c234c4, v4
; %bb.16:                               ;   in Loop: Header=BB218_4 Depth=1
	s_or_b32 exec_lo, exec_lo, s2
	v_and_b32_e32 v11, 0xffff0000, v11
                                        ; implicit-def: $vgpr19
                                        ; implicit-def: $vgpr4
	s_mov_b32 s3, exec_lo
	s_delay_alu instid0(VALU_DEP_1)
	v_cmpx_ngt_f32_e64 0x48000000, |v11|
	s_xor_b32 s23, exec_lo, s3
	s_cbranch_execz .LBB218_18
; %bb.17:                               ;   in Loop: Header=BB218_4 Depth=1
	v_and_b32_e32 v19, 0x7fffffff, v11
	v_mov_b32_e32 v31, v5
	s_delay_alu instid0(VALU_DEP_2) | instskip(SKIP_1) | instid1(VALU_DEP_2)
	v_and_or_b32 v4, v19, s19, 0x800000
	v_lshrrev_b32_e32 v19, 23, v19
	v_mul_u64_e32 v[20:21], s[14:15], v[4:5]
	v_mov_b32_e32 v23, v5
	s_delay_alu instid0(VALU_DEP_3) | instskip(NEXT) | instid1(VALU_DEP_1)
	v_add_nc_u32_e32 v19, 0xffffff88, v19
	v_cmp_lt_u32_e32 vcc_lo, 63, v19
	s_delay_alu instid0(VALU_DEP_4) | instskip(SKIP_1) | instid1(VALU_DEP_2)
	v_mov_b32_e32 v22, v21
	v_cndmask_b32_e64 v21, 0, 0xffffffc0, vcc_lo
	v_mad_nc_u64_u32 v[22:23], 0x3c439041, v4, v[22:23]
	s_delay_alu instid0(VALU_DEP_1) | instskip(NEXT) | instid1(VALU_DEP_1)
	v_dual_mov_b32 v25, v5 :: v_dual_mov_b32 v24, v23
	v_mad_nc_u64_u32 v[24:25], 0xdb629599, v4, v[24:25]
	s_delay_alu instid0(VALU_DEP_1) | instskip(NEXT) | instid1(VALU_DEP_2)
	v_dual_mov_b32 v27, v5 :: v_dual_mov_b32 v26, v25
	v_cndmask_b32_e32 v20, v24, v20, vcc_lo
	s_delay_alu instid0(VALU_DEP_2) | instskip(NEXT) | instid1(VALU_DEP_1)
	v_mad_nc_u64_u32 v[26:27], 0xf534ddc0, v4, v[26:27]
	v_dual_mov_b32 v29, v5 :: v_dual_mov_b32 v28, v27
	s_delay_alu instid0(VALU_DEP_1) | instskip(NEXT) | instid1(VALU_DEP_1)
	v_mad_nc_u64_u32 v[28:29], 0xfc2757d1, v4, v[28:29]
	v_dual_mov_b32 v30, v29 :: v_dual_cndmask_b32 v27, v28, v24
	s_delay_alu instid0(VALU_DEP_1) | instskip(SKIP_1) | instid1(VALU_DEP_2)
	v_mad_nc_u64_u32 v[30:31], 0x4e441529, v4, v[30:31]
	v_add_nc_u32_e32 v19, v21, v19
	v_dual_mov_b32 v33, v5 :: v_dual_mov_b32 v32, v31
	s_delay_alu instid0(VALU_DEP_2) | instskip(NEXT) | instid1(VALU_DEP_2)
	v_cmp_lt_u32_e64 s2, 31, v19
	v_mad_nc_u64_u32 v[32:33], 0xa2f9836e, v4, v[32:33]
	s_delay_alu instid0(VALU_DEP_2) | instskip(NEXT) | instid1(VALU_DEP_1)
	v_cndmask_b32_e64 v21, 0, 0xffffffe0, s2
	v_dual_cndmask_b32 v21, v30, v26 :: v_dual_add_nc_u32 v4, v21, v19
	s_delay_alu instid0(VALU_DEP_3) | instskip(NEXT) | instid1(VALU_DEP_2)
	v_cndmask_b32_e32 v23, v32, v28, vcc_lo
	v_cmp_lt_u32_e64 s3, 31, v4
	v_cndmask_b32_e32 v25, v33, v30, vcc_lo
	s_delay_alu instid0(VALU_DEP_2) | instskip(NEXT) | instid1(VALU_DEP_1)
	v_cndmask_b32_e64 v19, 0, 0xffffffe0, s3
	v_dual_cndmask_b32 v19, v26, v22 :: v_dual_add_nc_u32 v4, v19, v4
	s_delay_alu instid0(VALU_DEP_3) | instskip(NEXT) | instid1(VALU_DEP_2)
	v_dual_cndmask_b32 v22, v23, v21, s2 :: v_dual_cndmask_b32 v23, v25, v23, s2
	v_dual_cndmask_b32 v21, v21, v27, s2 :: v_dual_sub_nc_u32 v25, 32, v4
	s_delay_alu instid0(VALU_DEP_3) | instskip(SKIP_1) | instid1(VALU_DEP_3)
	v_cndmask_b32_e64 v26, v27, v19, s2
	v_cmp_eq_u32_e32 vcc_lo, 0, v4
	v_dual_cndmask_b32 v23, v23, v22, s3 :: v_dual_cndmask_b32 v22, v22, v21, s3
	s_delay_alu instid0(VALU_DEP_1) | instskip(NEXT) | instid1(VALU_DEP_1)
	v_alignbit_b32 v27, v23, v22, v25
	v_dual_cndmask_b32 v21, v21, v26, s3 :: v_dual_cndmask_b32 v4, v27, v23, vcc_lo
	s_delay_alu instid0(VALU_DEP_1) | instskip(NEXT) | instid1(VALU_DEP_1)
	v_alignbit_b32 v24, v22, v21, v25
	v_dual_cndmask_b32 v19, v19, v20, s2 :: v_dual_cndmask_b32 v20, v24, v22, vcc_lo
	s_delay_alu instid0(VALU_DEP_3) | instskip(NEXT) | instid1(VALU_DEP_2)
	v_bfe_u32 v22, v4, 29, 1
	v_cndmask_b32_e64 v19, v26, v19, s3
	s_delay_alu instid0(VALU_DEP_3) | instskip(NEXT) | instid1(VALU_DEP_3)
	v_alignbit_b32 v23, v4, v20, 30
	v_sub_nc_u32_e32 v24, 0, v22
	s_delay_alu instid0(VALU_DEP_3) | instskip(NEXT) | instid1(VALU_DEP_1)
	v_alignbit_b32 v25, v21, v19, v25
	v_dual_cndmask_b32 v21, v25, v21, vcc_lo :: v_dual_bitop2_b32 v23, v23, v24 bitop3:0x14
	s_delay_alu instid0(VALU_DEP_1) | instskip(NEXT) | instid1(VALU_DEP_2)
	v_clz_i32_u32_e32 v25, v23
	v_alignbit_b32 v20, v20, v21, 30
	v_alignbit_b32 v19, v21, v19, 30
	s_delay_alu instid0(VALU_DEP_3) | instskip(NEXT) | instid1(VALU_DEP_3)
	v_min_u32_e32 v25, 32, v25
	v_xor_b32_e32 v20, v20, v24
	s_delay_alu instid0(VALU_DEP_3) | instskip(NEXT) | instid1(VALU_DEP_3)
	v_xor_b32_e32 v19, v19, v24
	v_dual_lshrrev_b32 v24, 29, v4 :: v_dual_lshlrev_b32 v26, 23, v25
	v_sub_nc_u32_e32 v21, 31, v25
	s_delay_alu instid0(VALU_DEP_1) | instskip(NEXT) | instid1(VALU_DEP_4)
	v_alignbit_b32 v23, v23, v20, v21
	v_alignbit_b32 v19, v20, v19, v21
	s_delay_alu instid0(VALU_DEP_4) | instskip(NEXT) | instid1(VALU_DEP_2)
	v_lshlrev_b32_e32 v20, 31, v24
	v_alignbit_b32 v21, v23, v19, 9
	s_delay_alu instid0(VALU_DEP_2) | instskip(SKIP_1) | instid1(VALU_DEP_3)
	v_dual_lshrrev_b32 v23, 9, v23 :: v_dual_bitop2_b32 v24, 0.5, v20 bitop3:0x54
	v_or_b32_e32 v20, 0x33000000, v20
	v_clz_i32_u32_e32 v27, v21
	s_delay_alu instid0(VALU_DEP_3) | instskip(NEXT) | instid1(VALU_DEP_2)
	v_sub_nc_u32_e32 v24, v24, v26
	v_min_u32_e32 v26, 32, v27
	s_delay_alu instid0(VALU_DEP_1) | instskip(NEXT) | instid1(VALU_DEP_3)
	v_add_lshl_u32 v25, v26, v25, 23
	v_or_b32_e32 v23, v23, v24
	v_not_b32_e32 v24, v26
	s_delay_alu instid0(VALU_DEP_2) | instskip(NEXT) | instid1(VALU_DEP_2)
	v_dual_mul_f32 v27, 0x3fc90fda, v23 :: v_dual_sub_nc_u32 v20, v20, v25
	v_alignbit_b32 v19, v21, v19, v24
	s_delay_alu instid0(VALU_DEP_2) | instskip(NEXT) | instid1(VALU_DEP_2)
	v_fma_f32 v21, 0x3fc90fda, v23, -v27
	v_lshrrev_b32_e32 v19, 9, v19
	s_delay_alu instid0(VALU_DEP_2) | instskip(NEXT) | instid1(VALU_DEP_2)
	v_fmac_f32_e32 v21, 0x33a22168, v23
	v_or_b32_e32 v19, v20, v19
	s_delay_alu instid0(VALU_DEP_1) | instskip(NEXT) | instid1(VALU_DEP_1)
	v_fmac_f32_e32 v21, 0x3fc90fda, v19
	v_dual_add_f32 v4, v27, v21 :: v_dual_lshrrev_b32 v19, 30, v4
	s_delay_alu instid0(VALU_DEP_1)
	v_add_nc_u32_e32 v19, v22, v19
.LBB218_18:                             ;   in Loop: Header=BB218_4 Depth=1
	s_and_not1_saveexec_b32 s2, s23
	s_cbranch_execz .LBB218_3
; %bb.19:                               ;   in Loop: Header=BB218_4 Depth=1
	v_mul_f32_e64 v4, 0x3f22f983, |v11|
	s_delay_alu instid0(VALU_DEP_1) | instskip(NEXT) | instid1(VALU_DEP_1)
	v_rndne_f32_e32 v19, v4
	v_fma_f32 v4, 0xbfc90fda, v19, |v11|
	s_delay_alu instid0(VALU_DEP_1) | instskip(NEXT) | instid1(VALU_DEP_1)
	v_fmac_f32_e32 v4, 0xb3a22168, v19
	v_fmac_f32_e32 v4, 0xa7c234c4, v19
	v_cvt_i32_f32_e32 v19, v19
	s_branch .LBB218_3
.LBB218_20:
	s_or_b32 exec_lo, exec_lo, s18
	s_mov_b32 s2, 0
.LBB218_21:
	s_delay_alu instid0(SALU_CYCLE_1)
	s_and_not1_b32 vcc_lo, exec_lo, s2
	s_cbranch_vccnz .LBB218_57
; %bb.22:
	v_cmp_lt_i64_e64 s2, s[10:11], 1
	s_and_b32 vcc_lo, exec_lo, s2
	s_cbranch_vccnz .LBB218_57
; %bb.23:
	s_load_b32 s0, s[0:1], 0xc5c
	v_min_i64 v[2:3], 0x10000, s[10:11]
	v_min_u64 v[6:7], 0x10000, s[10:11]
	v_dual_mov_b32 v5, 0 :: v_dual_lshlrev_b32 v4, 1, v0
	s_mov_b32 s13, 0
	s_mov_b64 s[14:15], 0
	s_mov_b32 s11, s13
	s_delay_alu instid0(VALU_DEP_1)
	v_mov_b32_e32 v1, v5
	v_add_nc_u64_e32 v[8:9], s[4:5], v[4:5]
	v_add_nc_u64_e32 v[10:11], s[8:9], v[4:5]
	s_wait_xcnt 0x0
	s_mov_b32 s1, s13
	s_mov_b32 s3, s13
	s_mov_b32 s16, 0x7fffff
	s_mov_b32 s17, 0xb94c1982
	s_mov_b32 s18, 0x37d75334
	s_wait_kmcnt 0x0
	s_and_b32 s12, s0, 0xffff
	s_delay_alu instid0(SALU_CYCLE_1)
	v_add_nc_u64_e32 v[12:13], s[12:13], v[0:1]
	v_mad_nc_u64_u32 v[24:25], s12, 6, v[4:5]
	s_lshl_b32 s10, s12, 2
	s_lshl_b32 s0, s12, 1
	v_add_nc_u64_e32 v[20:21], s[10:11], v[4:5]
	s_mul_i32 s2, s12, 3
	s_lshl_b32 s12, s12, 3
	v_lshlrev_b32_e32 v4, 1, v12
	v_add_nc_u64_e32 v[14:15], s[2:3], v[0:1]
	v_add_nc_u64_e32 v[16:17], s[0:1], v[0:1]
	s_delay_alu instid0(VALU_DEP_4)
	v_add_nc_u64_e32 v[18:19], s[4:5], v[20:21]
	v_add_nc_u64_e32 v[20:21], s[8:9], v[20:21]
	;; [unrolled: 1-line block ×6, first 2 shown]
	s_mov_b64 s[8:9], 0xfe5163ab
	s_branch .LBB218_25
.LBB218_24:                             ;   in Loop: Header=BB218_25 Depth=1
	s_wait_xcnt 0x0
	s_or_b32 exec_lo, exec_lo, s0
	s_add_nc_u64 s[14:15], s[14:15], s[10:11]
	v_add_nc_u64_e32 v[8:9], s[12:13], v[8:9]
	v_cmp_ge_i64_e32 vcc_lo, s[14:15], v[2:3]
	v_add_nc_u64_e32 v[10:11], s[12:13], v[10:11]
	v_add_nc_u64_e32 v[22:23], s[12:13], v[22:23]
	;; [unrolled: 1-line block ×7, first 2 shown]
	s_cbranch_vccnz .LBB218_57
.LBB218_25:                             ; =>This Inner Loop Header: Depth=1
	v_add_nc_u64_e32 v[30:31], s[14:15], v[0:1]
	v_mov_b32_e32 v33, 0
	s_delay_alu instid0(VALU_DEP_2)
	v_cmp_lt_u64_e64 s2, v[30:31], v[6:7]
	s_and_saveexec_b32 s0, s2
	s_cbranch_execz .LBB218_27
; %bb.26:                               ;   in Loop: Header=BB218_25 Depth=1
	v_add_nc_u64_e32 v[30:31], s[6:7], v[8:9]
	global_load_u16 v4, v[30:31], off
	s_wait_loadcnt 0x0
	v_lshlrev_b32_e32 v4, 16, v4
	s_delay_alu instid0(VALU_DEP_1)
	v_and_b32_e32 v33, 0x7fffffff, v4
.LBB218_27:                             ;   in Loop: Header=BB218_25 Depth=1
	s_wait_xcnt 0x0
	s_or_b32 exec_lo, exec_lo, s0
	v_add_nc_u64_e32 v[30:31], s[14:15], v[12:13]
	v_mov_b32_e32 v32, 0
	s_delay_alu instid0(VALU_DEP_2)
	v_cmp_lt_u64_e64 s1, v[30:31], v[6:7]
	v_mov_b32_e32 v31, 0
	s_and_saveexec_b32 s0, s1
	s_cbranch_execz .LBB218_29
; %bb.28:                               ;   in Loop: Header=BB218_25 Depth=1
	v_add_nc_u64_e32 v[34:35], s[6:7], v[26:27]
	global_load_u16 v4, v[34:35], off
	s_wait_loadcnt 0x0
	v_lshlrev_b32_e32 v4, 16, v4
	s_delay_alu instid0(VALU_DEP_1)
	v_and_b32_e32 v32, 0x7fffffff, v4
.LBB218_29:                             ;   in Loop: Header=BB218_25 Depth=1
	s_wait_xcnt 0x0
	s_or_b32 exec_lo, exec_lo, s0
	v_add_nc_u64_e32 v[34:35], s[14:15], v[16:17]
	s_delay_alu instid0(VALU_DEP_1)
	v_cmp_lt_u64_e64 s0, v[34:35], v[6:7]
	s_and_saveexec_b32 s3, s0
	s_cbranch_execz .LBB218_31
; %bb.30:                               ;   in Loop: Header=BB218_25 Depth=1
	v_add_nc_u64_e32 v[30:31], s[6:7], v[18:19]
	global_load_u16 v4, v[30:31], off
	s_wait_loadcnt 0x0
	v_lshlrev_b32_e32 v4, 16, v4
	s_wait_xcnt 0x0
	s_delay_alu instid0(VALU_DEP_1)
	v_and_b32_e32 v31, 0x7fffffff, v4
.LBB218_31:                             ;   in Loop: Header=BB218_25 Depth=1
	s_or_b32 exec_lo, exec_lo, s3
	v_add_nc_u64_e32 v[34:35], s[14:15], v[14:15]
	v_mov_b32_e32 v30, 0
	s_delay_alu instid0(VALU_DEP_2)
	v_cmp_lt_u64_e32 vcc_lo, v[34:35], v[6:7]
	s_and_saveexec_b32 s3, vcc_lo
	s_cbranch_execz .LBB218_33
; %bb.32:                               ;   in Loop: Header=BB218_25 Depth=1
	v_add_nc_u64_e32 v[34:35], s[6:7], v[22:23]
	global_load_u16 v4, v[34:35], off
	s_wait_loadcnt 0x0
	v_lshlrev_b32_e32 v4, 16, v4
	s_delay_alu instid0(VALU_DEP_1)
	v_and_b32_e32 v30, 0x7fffffff, v4
.LBB218_33:                             ;   in Loop: Header=BB218_25 Depth=1
	s_wait_xcnt 0x0
	s_or_b32 exec_lo, exec_lo, s3
                                        ; implicit-def: $vgpr35
                                        ; implicit-def: $vgpr34
	s_delay_alu instid0(SALU_CYCLE_1)
	s_mov_b32 s4, exec_lo
	v_cmpx_ngt_f32_e32 0x48000000, v33
	s_xor_b32 s19, exec_lo, s4
	s_cbranch_execz .LBB218_35
; %bb.34:                               ;   in Loop: Header=BB218_25 Depth=1
	v_and_or_b32 v4, v33, s16, 0x800000
	v_mov_b32_e32 v45, v5
	s_delay_alu instid0(VALU_DEP_2) | instskip(NEXT) | instid1(VALU_DEP_1)
	v_mul_u64_e32 v[34:35], s[8:9], v[4:5]
	v_dual_mov_b32 v37, v5 :: v_dual_mov_b32 v36, v35
	v_lshrrev_b32_e32 v35, 23, v33
	s_delay_alu instid0(VALU_DEP_2) | instskip(SKIP_1) | instid1(VALU_DEP_3)
	v_mad_nc_u64_u32 v[36:37], 0x3c439041, v4, v[36:37]
	v_mov_b32_e32 v39, v5
	v_add_nc_u32_e32 v35, 0xffffff88, v35
	s_delay_alu instid0(VALU_DEP_1) | instskip(NEXT) | instid1(VALU_DEP_4)
	v_cmp_lt_u32_e64 s3, 63, v35
	v_mov_b32_e32 v38, v37
	s_delay_alu instid0(VALU_DEP_2) | instskip(NEXT) | instid1(VALU_DEP_2)
	v_cndmask_b32_e64 v37, 0, 0xffffffc0, s3
	v_mad_nc_u64_u32 v[38:39], 0xdb629599, v4, v[38:39]
	s_delay_alu instid0(VALU_DEP_1) | instskip(NEXT) | instid1(VALU_DEP_2)
	v_dual_mov_b32 v41, v5 :: v_dual_mov_b32 v40, v39
	v_cndmask_b32_e64 v34, v38, v34, s3
	s_delay_alu instid0(VALU_DEP_2) | instskip(NEXT) | instid1(VALU_DEP_1)
	v_mad_nc_u64_u32 v[40:41], 0xf534ddc0, v4, v[40:41]
	v_dual_mov_b32 v43, v5 :: v_dual_mov_b32 v42, v41
	s_delay_alu instid0(VALU_DEP_1) | instskip(NEXT) | instid1(VALU_DEP_1)
	v_mad_nc_u64_u32 v[42:43], 0xfc2757d1, v4, v[42:43]
	v_mov_b32_e32 v44, v43
	s_delay_alu instid0(VALU_DEP_1) | instskip(SKIP_2) | instid1(VALU_DEP_2)
	v_mad_nc_u64_u32 v[44:45], 0x4e441529, v4, v[44:45]
	v_add_nc_u32_e32 v35, v37, v35
	v_mov_b32_e32 v47, v5
	v_cmp_lt_u32_e64 s4, 31, v35
	s_delay_alu instid0(VALU_DEP_4) | instskip(NEXT) | instid1(VALU_DEP_2)
	v_mov_b32_e32 v46, v45
	v_cndmask_b32_e64 v37, 0, 0xffffffe0, s4
	s_delay_alu instid0(VALU_DEP_2) | instskip(NEXT) | instid1(VALU_DEP_2)
	v_mad_nc_u64_u32 v[46:47], 0xa2f9836e, v4, v[46:47]
	v_dual_add_nc_u32 v4, v37, v35 :: v_dual_cndmask_b32 v37, v44, v40, s3
	s_delay_alu instid0(VALU_DEP_2) | instskip(NEXT) | instid1(VALU_DEP_2)
	v_cndmask_b32_e64 v39, v46, v42, s3
	v_cmp_lt_u32_e64 s5, 31, v4
	s_delay_alu instid0(VALU_DEP_4) | instskip(NEXT) | instid1(VALU_DEP_2)
	v_dual_cndmask_b32 v41, v47, v44, s3 :: v_dual_cndmask_b32 v42, v42, v38, s3
	v_cndmask_b32_e64 v35, 0, 0xffffffe0, s5
	s_delay_alu instid0(VALU_DEP_1) | instskip(SKIP_1) | instid1(VALU_DEP_4)
	v_add_nc_u32_e32 v4, v35, v4
	v_dual_cndmask_b32 v35, v40, v36, s3 :: v_dual_cndmask_b32 v36, v39, v37, s4
	v_cndmask_b32_e64 v39, v41, v39, s4
	s_delay_alu instid0(VALU_DEP_3) | instskip(NEXT) | instid1(VALU_DEP_3)
	v_dual_cndmask_b32 v37, v37, v42, s4 :: v_dual_sub_nc_u32 v40, 32, v4
	v_cndmask_b32_e64 v41, v42, v35, s4
	v_cmp_eq_u32_e64 s3, 0, v4
	s_delay_alu instid0(VALU_DEP_3) | instskip(NEXT) | instid1(VALU_DEP_1)
	v_dual_cndmask_b32 v39, v39, v36, s5 :: v_dual_cndmask_b32 v36, v36, v37, s5
	v_alignbit_b32 v42, v39, v36, v40
	s_delay_alu instid0(VALU_DEP_1) | instskip(NEXT) | instid1(VALU_DEP_1)
	v_dual_cndmask_b32 v37, v37, v41, s5 :: v_dual_cndmask_b32 v4, v42, v39, s3
	v_alignbit_b32 v38, v36, v37, v40
	s_delay_alu instid0(VALU_DEP_1) | instskip(NEXT) | instid1(VALU_DEP_3)
	v_dual_cndmask_b32 v34, v35, v34, s4 :: v_dual_cndmask_b32 v35, v38, v36, s3
	v_bfe_u32 v36, v4, 29, 1
	s_delay_alu instid0(VALU_DEP_2) | instskip(NEXT) | instid1(VALU_DEP_3)
	v_cndmask_b32_e64 v34, v41, v34, s5
	v_alignbit_b32 v38, v4, v35, 30
	s_delay_alu instid0(VALU_DEP_3) | instskip(NEXT) | instid1(VALU_DEP_3)
	v_sub_nc_u32_e32 v39, 0, v36
	v_alignbit_b32 v40, v37, v34, v40
	s_delay_alu instid0(VALU_DEP_1) | instskip(NEXT) | instid1(VALU_DEP_1)
	v_dual_cndmask_b32 v37, v40, v37, s3 :: v_dual_bitop2_b32 v38, v38, v39 bitop3:0x14
	v_clz_i32_u32_e32 v40, v38
	s_delay_alu instid0(VALU_DEP_2) | instskip(SKIP_1) | instid1(VALU_DEP_3)
	v_alignbit_b32 v35, v35, v37, 30
	v_alignbit_b32 v34, v37, v34, 30
	v_min_u32_e32 v40, 32, v40
	s_delay_alu instid0(VALU_DEP_3) | instskip(NEXT) | instid1(VALU_DEP_3)
	v_xor_b32_e32 v35, v35, v39
	v_dual_lshrrev_b32 v39, 29, v4 :: v_dual_bitop2_b32 v34, v34, v39 bitop3:0x14
	v_lshrrev_b32_e32 v4, 30, v4
	s_delay_alu instid0(VALU_DEP_4) | instskip(NEXT) | instid1(VALU_DEP_1)
	v_dual_sub_nc_u32 v37, 31, v40 :: v_dual_lshlrev_b32 v41, 23, v40
	v_alignbit_b32 v38, v38, v35, v37
	s_delay_alu instid0(VALU_DEP_4) | instskip(SKIP_1) | instid1(VALU_DEP_2)
	v_alignbit_b32 v34, v35, v34, v37
	v_lshlrev_b32_e32 v35, 31, v39
	v_alignbit_b32 v37, v38, v34, 9
	s_delay_alu instid0(VALU_DEP_2) | instskip(SKIP_1) | instid1(VALU_DEP_3)
	v_dual_lshrrev_b32 v38, 9, v38 :: v_dual_bitop2_b32 v39, 0.5, v35 bitop3:0x54
	v_or_b32_e32 v35, 0x33000000, v35
	v_clz_i32_u32_e32 v42, v37
	s_delay_alu instid0(VALU_DEP_3) | instskip(NEXT) | instid1(VALU_DEP_2)
	v_sub_nc_u32_e32 v39, v39, v41
	v_min_u32_e32 v41, 32, v42
	s_delay_alu instid0(VALU_DEP_1) | instskip(NEXT) | instid1(VALU_DEP_3)
	v_add_lshl_u32 v40, v41, v40, 23
	v_or_b32_e32 v38, v38, v39
	v_not_b32_e32 v39, v41
	s_delay_alu instid0(VALU_DEP_2) | instskip(NEXT) | instid1(VALU_DEP_2)
	v_dual_mul_f32 v42, 0x3fc90fda, v38 :: v_dual_sub_nc_u32 v35, v35, v40
	v_alignbit_b32 v34, v37, v34, v39
	s_delay_alu instid0(VALU_DEP_2) | instskip(NEXT) | instid1(VALU_DEP_2)
	v_fma_f32 v37, 0x3fc90fda, v38, -v42
	v_lshrrev_b32_e32 v34, 9, v34
	s_delay_alu instid0(VALU_DEP_2) | instskip(NEXT) | instid1(VALU_DEP_2)
	v_fmac_f32_e32 v37, 0x33a22168, v38
	v_dual_add_nc_u32 v35, v36, v4 :: v_dual_bitop2_b32 v34, v35, v34 bitop3:0x54
	s_delay_alu instid0(VALU_DEP_1) | instskip(NEXT) | instid1(VALU_DEP_1)
	v_fmac_f32_e32 v37, 0x3fc90fda, v34
	v_add_f32_e32 v34, v42, v37
.LBB218_35:                             ;   in Loop: Header=BB218_25 Depth=1
	s_and_not1_saveexec_b32 s3, s19
; %bb.36:                               ;   in Loop: Header=BB218_25 Depth=1
	v_mul_f32_e32 v4, 0x3f22f983, v33
	s_delay_alu instid0(VALU_DEP_1) | instskip(NEXT) | instid1(VALU_DEP_1)
	v_rndne_f32_e32 v4, v4
	v_fmamk_f32 v34, v4, 0xbfc90fda, v33
	v_cvt_i32_f32_e32 v35, v4
	s_delay_alu instid0(VALU_DEP_2) | instskip(NEXT) | instid1(VALU_DEP_1)
	v_fmac_f32_e32 v34, 0xb3a22168, v4
	v_fmac_f32_e32 v34, 0xa7c234c4, v4
; %bb.37:                               ;   in Loop: Header=BB218_25 Depth=1
	s_or_b32 exec_lo, exec_lo, s3
                                        ; implicit-def: $vgpr37
                                        ; implicit-def: $vgpr36
	s_delay_alu instid0(SALU_CYCLE_1)
	s_mov_b32 s4, exec_lo
	v_cmpx_ngt_f32_e32 0x48000000, v32
	s_xor_b32 s19, exec_lo, s4
	s_cbranch_execz .LBB218_39
; %bb.38:                               ;   in Loop: Header=BB218_25 Depth=1
	v_and_or_b32 v4, v32, s16, 0x800000
	v_dual_mov_b32 v47, v5 :: v_dual_mov_b32 v49, v5
	s_delay_alu instid0(VALU_DEP_2) | instskip(NEXT) | instid1(VALU_DEP_1)
	v_mul_u64_e32 v[36:37], s[8:9], v[4:5]
	v_dual_mov_b32 v39, v5 :: v_dual_mov_b32 v38, v37
	v_lshrrev_b32_e32 v37, 23, v32
	s_delay_alu instid0(VALU_DEP_2) | instskip(SKIP_1) | instid1(VALU_DEP_3)
	v_mad_nc_u64_u32 v[38:39], 0x3c439041, v4, v[38:39]
	v_mov_b32_e32 v41, v5
	v_add_nc_u32_e32 v37, 0xffffff88, v37
	s_delay_alu instid0(VALU_DEP_1) | instskip(NEXT) | instid1(VALU_DEP_4)
	v_cmp_lt_u32_e64 s3, 63, v37
	v_mov_b32_e32 v40, v39
	s_delay_alu instid0(VALU_DEP_2) | instskip(NEXT) | instid1(VALU_DEP_2)
	v_cndmask_b32_e64 v39, 0, 0xffffffc0, s3
	v_mad_nc_u64_u32 v[40:41], 0xdb629599, v4, v[40:41]
	s_delay_alu instid0(VALU_DEP_2) | instskip(NEXT) | instid1(VALU_DEP_1)
	v_dual_mov_b32 v43, v5 :: v_dual_add_nc_u32 v37, v39, v37
	v_cmp_lt_u32_e64 s4, 31, v37
	s_delay_alu instid0(VALU_DEP_3) | instskip(NEXT) | instid1(VALU_DEP_2)
	v_mov_b32_e32 v42, v41
	v_cndmask_b32_e64 v39, 0, 0xffffffe0, s4
	v_cndmask_b32_e64 v36, v40, v36, s3
	s_delay_alu instid0(VALU_DEP_3) | instskip(NEXT) | instid1(VALU_DEP_1)
	v_mad_nc_u64_u32 v[42:43], 0xf534ddc0, v4, v[42:43]
	v_dual_mov_b32 v45, v5 :: v_dual_mov_b32 v44, v43
	s_delay_alu instid0(VALU_DEP_1) | instskip(NEXT) | instid1(VALU_DEP_1)
	v_mad_nc_u64_u32 v[44:45], 0xfc2757d1, v4, v[44:45]
	v_mov_b32_e32 v46, v45
	s_delay_alu instid0(VALU_DEP_1) | instskip(NEXT) | instid1(VALU_DEP_1)
	v_mad_nc_u64_u32 v[46:47], 0x4e441529, v4, v[46:47]
	v_mov_b32_e32 v48, v47
	s_delay_alu instid0(VALU_DEP_1) | instskip(NEXT) | instid1(VALU_DEP_3)
	v_mad_nc_u64_u32 v[48:49], 0xa2f9836e, v4, v[48:49]
	v_dual_add_nc_u32 v4, v39, v37 :: v_dual_cndmask_b32 v39, v46, v42, s3
	s_delay_alu instid0(VALU_DEP_2) | instskip(NEXT) | instid1(VALU_DEP_2)
	v_cndmask_b32_e64 v41, v48, v44, s3
	v_cmp_lt_u32_e64 s5, 31, v4
	s_delay_alu instid0(VALU_DEP_4) | instskip(NEXT) | instid1(VALU_DEP_2)
	v_dual_cndmask_b32 v43, v49, v46, s3 :: v_dual_cndmask_b32 v44, v44, v40, s3
	v_cndmask_b32_e64 v37, 0, 0xffffffe0, s5
	s_delay_alu instid0(VALU_DEP_1) | instskip(NEXT) | instid1(VALU_DEP_3)
	v_dual_add_nc_u32 v4, v37, v4 :: v_dual_cndmask_b32 v37, v42, v38, s3
	v_dual_cndmask_b32 v38, v41, v39, s4 :: v_dual_cndmask_b32 v41, v43, v41, s4
	s_delay_alu instid0(VALU_DEP_4) | instskip(NEXT) | instid1(VALU_DEP_3)
	v_cndmask_b32_e64 v39, v39, v44, s4
	v_dual_sub_nc_u32 v42, 32, v4 :: v_dual_cndmask_b32 v43, v44, v37, s4
	v_cmp_eq_u32_e64 s3, 0, v4
	s_delay_alu instid0(VALU_DEP_3) | instskip(NEXT) | instid1(VALU_DEP_1)
	v_dual_cndmask_b32 v41, v41, v38, s5 :: v_dual_cndmask_b32 v38, v38, v39, s5
	v_alignbit_b32 v44, v41, v38, v42
	s_delay_alu instid0(VALU_DEP_1) | instskip(NEXT) | instid1(VALU_DEP_1)
	v_dual_cndmask_b32 v39, v39, v43, s5 :: v_dual_cndmask_b32 v4, v44, v41, s3
	v_alignbit_b32 v40, v38, v39, v42
	s_delay_alu instid0(VALU_DEP_1) | instskip(NEXT) | instid1(VALU_DEP_3)
	v_dual_cndmask_b32 v36, v37, v36, s4 :: v_dual_cndmask_b32 v37, v40, v38, s3
	v_bfe_u32 v38, v4, 29, 1
	s_delay_alu instid0(VALU_DEP_2) | instskip(NEXT) | instid1(VALU_DEP_3)
	v_cndmask_b32_e64 v36, v43, v36, s5
	v_alignbit_b32 v40, v4, v37, 30
	s_delay_alu instid0(VALU_DEP_3) | instskip(NEXT) | instid1(VALU_DEP_3)
	v_sub_nc_u32_e32 v41, 0, v38
	v_alignbit_b32 v42, v39, v36, v42
	s_delay_alu instid0(VALU_DEP_1) | instskip(NEXT) | instid1(VALU_DEP_1)
	v_dual_cndmask_b32 v39, v42, v39, s3 :: v_dual_bitop2_b32 v40, v40, v41 bitop3:0x14
	v_clz_i32_u32_e32 v42, v40
	s_delay_alu instid0(VALU_DEP_2) | instskip(SKIP_1) | instid1(VALU_DEP_3)
	v_alignbit_b32 v37, v37, v39, 30
	v_alignbit_b32 v36, v39, v36, 30
	v_min_u32_e32 v42, 32, v42
	s_delay_alu instid0(VALU_DEP_3) | instskip(NEXT) | instid1(VALU_DEP_3)
	v_xor_b32_e32 v37, v37, v41
	v_dual_lshrrev_b32 v41, 29, v4 :: v_dual_bitop2_b32 v36, v36, v41 bitop3:0x14
	s_delay_alu instid0(VALU_DEP_3) | instskip(NEXT) | instid1(VALU_DEP_1)
	v_dual_sub_nc_u32 v39, 31, v42 :: v_dual_lshlrev_b32 v43, 23, v42
	v_alignbit_b32 v40, v40, v37, v39
	s_delay_alu instid0(VALU_DEP_3) | instskip(NEXT) | instid1(VALU_DEP_4)
	v_alignbit_b32 v36, v37, v36, v39
	v_lshlrev_b32_e32 v37, 31, v41
	s_delay_alu instid0(VALU_DEP_2) | instskip(NEXT) | instid1(VALU_DEP_2)
	v_alignbit_b32 v39, v40, v36, 9
	v_dual_lshrrev_b32 v40, 9, v40 :: v_dual_bitop2_b32 v41, 0.5, v37 bitop3:0x54
	v_or_b32_e32 v37, 0x33000000, v37
	s_delay_alu instid0(VALU_DEP_3) | instskip(NEXT) | instid1(VALU_DEP_3)
	v_clz_i32_u32_e32 v44, v39
	v_sub_nc_u32_e32 v41, v41, v43
	s_delay_alu instid0(VALU_DEP_2) | instskip(NEXT) | instid1(VALU_DEP_1)
	v_min_u32_e32 v43, 32, v44
	v_add_lshl_u32 v42, v43, v42, 23
	s_delay_alu instid0(VALU_DEP_3) | instskip(SKIP_1) | instid1(VALU_DEP_2)
	v_or_b32_e32 v40, v40, v41
	v_not_b32_e32 v41, v43
	v_dual_mul_f32 v44, 0x3fc90fda, v40 :: v_dual_sub_nc_u32 v37, v37, v42
	s_delay_alu instid0(VALU_DEP_2) | instskip(NEXT) | instid1(VALU_DEP_2)
	v_alignbit_b32 v36, v39, v36, v41
	v_fma_f32 v39, 0x3fc90fda, v40, -v44
	s_delay_alu instid0(VALU_DEP_2) | instskip(NEXT) | instid1(VALU_DEP_2)
	v_lshrrev_b32_e32 v36, 9, v36
	v_fmac_f32_e32 v39, 0x33a22168, v40
	s_delay_alu instid0(VALU_DEP_2) | instskip(NEXT) | instid1(VALU_DEP_1)
	v_or_b32_e32 v36, v37, v36
	v_fmac_f32_e32 v39, 0x3fc90fda, v36
	s_delay_alu instid0(VALU_DEP_1) | instskip(NEXT) | instid1(VALU_DEP_1)
	v_dual_lshrrev_b32 v4, 30, v4 :: v_dual_add_f32 v36, v44, v39
	v_add_nc_u32_e32 v37, v38, v4
.LBB218_39:                             ;   in Loop: Header=BB218_25 Depth=1
	s_and_not1_saveexec_b32 s3, s19
; %bb.40:                               ;   in Loop: Header=BB218_25 Depth=1
	v_mul_f32_e32 v4, 0x3f22f983, v32
	s_delay_alu instid0(VALU_DEP_1) | instskip(NEXT) | instid1(VALU_DEP_1)
	v_rndne_f32_e32 v4, v4
	v_fmamk_f32 v36, v4, 0xbfc90fda, v32
	v_cvt_i32_f32_e32 v37, v4
	s_delay_alu instid0(VALU_DEP_2) | instskip(NEXT) | instid1(VALU_DEP_1)
	v_fmac_f32_e32 v36, 0xb3a22168, v4
	v_fmac_f32_e32 v36, 0xa7c234c4, v4
; %bb.41:                               ;   in Loop: Header=BB218_25 Depth=1
	s_or_b32 exec_lo, exec_lo, s3
                                        ; implicit-def: $vgpr39
                                        ; implicit-def: $vgpr38
	s_delay_alu instid0(SALU_CYCLE_1)
	s_mov_b32 s4, exec_lo
	v_cmpx_ngt_f32_e32 0x48000000, v31
	s_xor_b32 s19, exec_lo, s4
	s_cbranch_execz .LBB218_43
; %bb.42:                               ;   in Loop: Header=BB218_25 Depth=1
	v_and_or_b32 v4, v31, s16, 0x800000
	v_mov_b32_e32 v49, v5
	s_delay_alu instid0(VALU_DEP_2) | instskip(NEXT) | instid1(VALU_DEP_1)
	v_mul_u64_e32 v[38:39], s[8:9], v[4:5]
	v_dual_mov_b32 v41, v5 :: v_dual_mov_b32 v40, v39
	v_lshrrev_b32_e32 v39, 23, v31
	s_delay_alu instid0(VALU_DEP_2) | instskip(SKIP_1) | instid1(VALU_DEP_3)
	v_mad_nc_u64_u32 v[40:41], 0x3c439041, v4, v[40:41]
	v_mov_b32_e32 v43, v5
	v_add_nc_u32_e32 v39, 0xffffff88, v39
	s_delay_alu instid0(VALU_DEP_1) | instskip(NEXT) | instid1(VALU_DEP_4)
	v_cmp_lt_u32_e64 s3, 63, v39
	v_mov_b32_e32 v42, v41
	s_delay_alu instid0(VALU_DEP_2) | instskip(NEXT) | instid1(VALU_DEP_2)
	v_cndmask_b32_e64 v41, 0, 0xffffffc0, s3
	v_mad_nc_u64_u32 v[42:43], 0xdb629599, v4, v[42:43]
	s_delay_alu instid0(VALU_DEP_1) | instskip(NEXT) | instid1(VALU_DEP_2)
	v_dual_mov_b32 v45, v5 :: v_dual_mov_b32 v44, v43
	v_cndmask_b32_e64 v38, v42, v38, s3
	s_delay_alu instid0(VALU_DEP_2) | instskip(NEXT) | instid1(VALU_DEP_1)
	v_mad_nc_u64_u32 v[44:45], 0xf534ddc0, v4, v[44:45]
	v_dual_mov_b32 v47, v5 :: v_dual_mov_b32 v46, v45
	s_delay_alu instid0(VALU_DEP_1) | instskip(NEXT) | instid1(VALU_DEP_1)
	v_mad_nc_u64_u32 v[46:47], 0xfc2757d1, v4, v[46:47]
	v_mov_b32_e32 v48, v47
	s_delay_alu instid0(VALU_DEP_1) | instskip(SKIP_2) | instid1(VALU_DEP_2)
	v_mad_nc_u64_u32 v[48:49], 0x4e441529, v4, v[48:49]
	v_add_nc_u32_e32 v39, v41, v39
	v_mov_b32_e32 v51, v5
	v_cmp_lt_u32_e64 s4, 31, v39
	s_delay_alu instid0(VALU_DEP_4) | instskip(NEXT) | instid1(VALU_DEP_2)
	v_mov_b32_e32 v50, v49
	v_cndmask_b32_e64 v41, 0, 0xffffffe0, s4
	s_delay_alu instid0(VALU_DEP_2) | instskip(NEXT) | instid1(VALU_DEP_2)
	v_mad_nc_u64_u32 v[50:51], 0xa2f9836e, v4, v[50:51]
	v_dual_add_nc_u32 v4, v41, v39 :: v_dual_cndmask_b32 v41, v48, v44, s3
	s_delay_alu instid0(VALU_DEP_2) | instskip(NEXT) | instid1(VALU_DEP_2)
	v_cndmask_b32_e64 v43, v50, v46, s3
	v_cmp_lt_u32_e64 s5, 31, v4
	s_delay_alu instid0(VALU_DEP_4) | instskip(NEXT) | instid1(VALU_DEP_2)
	v_dual_cndmask_b32 v45, v51, v48, s3 :: v_dual_cndmask_b32 v46, v46, v42, s3
	v_cndmask_b32_e64 v39, 0, 0xffffffe0, s5
	s_delay_alu instid0(VALU_DEP_1) | instskip(SKIP_1) | instid1(VALU_DEP_4)
	v_add_nc_u32_e32 v4, v39, v4
	v_dual_cndmask_b32 v39, v44, v40, s3 :: v_dual_cndmask_b32 v40, v43, v41, s4
	v_cndmask_b32_e64 v43, v45, v43, s4
	s_delay_alu instid0(VALU_DEP_3) | instskip(NEXT) | instid1(VALU_DEP_3)
	v_dual_cndmask_b32 v41, v41, v46, s4 :: v_dual_sub_nc_u32 v44, 32, v4
	v_cndmask_b32_e64 v45, v46, v39, s4
	v_cmp_eq_u32_e64 s3, 0, v4
	s_delay_alu instid0(VALU_DEP_3) | instskip(NEXT) | instid1(VALU_DEP_1)
	v_dual_cndmask_b32 v43, v43, v40, s5 :: v_dual_cndmask_b32 v40, v40, v41, s5
	v_alignbit_b32 v46, v43, v40, v44
	s_delay_alu instid0(VALU_DEP_1) | instskip(NEXT) | instid1(VALU_DEP_1)
	v_dual_cndmask_b32 v41, v41, v45, s5 :: v_dual_cndmask_b32 v4, v46, v43, s3
	v_alignbit_b32 v42, v40, v41, v44
	s_delay_alu instid0(VALU_DEP_1) | instskip(NEXT) | instid1(VALU_DEP_3)
	v_dual_cndmask_b32 v38, v39, v38, s4 :: v_dual_cndmask_b32 v39, v42, v40, s3
	v_bfe_u32 v40, v4, 29, 1
	s_delay_alu instid0(VALU_DEP_2) | instskip(NEXT) | instid1(VALU_DEP_3)
	v_cndmask_b32_e64 v38, v45, v38, s5
	v_alignbit_b32 v42, v4, v39, 30
	s_delay_alu instid0(VALU_DEP_3) | instskip(NEXT) | instid1(VALU_DEP_3)
	v_sub_nc_u32_e32 v43, 0, v40
	v_alignbit_b32 v44, v41, v38, v44
	s_delay_alu instid0(VALU_DEP_1) | instskip(NEXT) | instid1(VALU_DEP_1)
	v_dual_cndmask_b32 v41, v44, v41, s3 :: v_dual_bitop2_b32 v42, v42, v43 bitop3:0x14
	v_clz_i32_u32_e32 v44, v42
	s_delay_alu instid0(VALU_DEP_2) | instskip(SKIP_1) | instid1(VALU_DEP_3)
	v_alignbit_b32 v39, v39, v41, 30
	v_alignbit_b32 v38, v41, v38, 30
	v_min_u32_e32 v44, 32, v44
	s_delay_alu instid0(VALU_DEP_3) | instskip(NEXT) | instid1(VALU_DEP_3)
	v_xor_b32_e32 v39, v39, v43
	v_dual_lshrrev_b32 v43, 29, v4 :: v_dual_bitop2_b32 v38, v38, v43 bitop3:0x14
	v_lshrrev_b32_e32 v4, 30, v4
	s_delay_alu instid0(VALU_DEP_4) | instskip(NEXT) | instid1(VALU_DEP_1)
	v_dual_sub_nc_u32 v41, 31, v44 :: v_dual_lshlrev_b32 v45, 23, v44
	v_alignbit_b32 v42, v42, v39, v41
	s_delay_alu instid0(VALU_DEP_4) | instskip(SKIP_1) | instid1(VALU_DEP_2)
	v_alignbit_b32 v38, v39, v38, v41
	v_lshlrev_b32_e32 v39, 31, v43
	v_alignbit_b32 v41, v42, v38, 9
	s_delay_alu instid0(VALU_DEP_2) | instskip(SKIP_1) | instid1(VALU_DEP_3)
	v_dual_lshrrev_b32 v42, 9, v42 :: v_dual_bitop2_b32 v43, 0.5, v39 bitop3:0x54
	v_or_b32_e32 v39, 0x33000000, v39
	v_clz_i32_u32_e32 v46, v41
	s_delay_alu instid0(VALU_DEP_3) | instskip(NEXT) | instid1(VALU_DEP_2)
	v_sub_nc_u32_e32 v43, v43, v45
	v_min_u32_e32 v45, 32, v46
	s_delay_alu instid0(VALU_DEP_1) | instskip(NEXT) | instid1(VALU_DEP_3)
	v_add_lshl_u32 v44, v45, v44, 23
	v_or_b32_e32 v42, v42, v43
	v_not_b32_e32 v43, v45
	s_delay_alu instid0(VALU_DEP_2) | instskip(NEXT) | instid1(VALU_DEP_2)
	v_dual_mul_f32 v46, 0x3fc90fda, v42 :: v_dual_sub_nc_u32 v39, v39, v44
	v_alignbit_b32 v38, v41, v38, v43
	s_delay_alu instid0(VALU_DEP_2) | instskip(NEXT) | instid1(VALU_DEP_2)
	v_fma_f32 v41, 0x3fc90fda, v42, -v46
	v_lshrrev_b32_e32 v38, 9, v38
	s_delay_alu instid0(VALU_DEP_2) | instskip(NEXT) | instid1(VALU_DEP_2)
	v_fmac_f32_e32 v41, 0x33a22168, v42
	v_dual_add_nc_u32 v39, v40, v4 :: v_dual_bitop2_b32 v38, v39, v38 bitop3:0x54
	s_delay_alu instid0(VALU_DEP_1) | instskip(NEXT) | instid1(VALU_DEP_1)
	v_fmac_f32_e32 v41, 0x3fc90fda, v38
	v_add_f32_e32 v38, v46, v41
.LBB218_43:                             ;   in Loop: Header=BB218_25 Depth=1
	s_and_not1_saveexec_b32 s3, s19
; %bb.44:                               ;   in Loop: Header=BB218_25 Depth=1
	v_mul_f32_e32 v4, 0x3f22f983, v31
	s_delay_alu instid0(VALU_DEP_1) | instskip(NEXT) | instid1(VALU_DEP_1)
	v_rndne_f32_e32 v4, v4
	v_fmamk_f32 v38, v4, 0xbfc90fda, v31
	v_cvt_i32_f32_e32 v39, v4
	s_delay_alu instid0(VALU_DEP_2) | instskip(NEXT) | instid1(VALU_DEP_1)
	v_fmac_f32_e32 v38, 0xb3a22168, v4
	v_fmac_f32_e32 v38, 0xa7c234c4, v4
; %bb.45:                               ;   in Loop: Header=BB218_25 Depth=1
	s_or_b32 exec_lo, exec_lo, s3
                                        ; implicit-def: $vgpr40
                                        ; implicit-def: $vgpr4
	s_delay_alu instid0(SALU_CYCLE_1)
	s_mov_b32 s4, exec_lo
	v_cmpx_ngt_f32_e32 0x48000000, v30
	s_xor_b32 s19, exec_lo, s4
	s_cbranch_execnz .LBB218_51
; %bb.46:                               ;   in Loop: Header=BB218_25 Depth=1
	s_and_not1_saveexec_b32 s3, s19
	s_cbranch_execnz .LBB218_52
.LBB218_47:                             ;   in Loop: Header=BB218_25 Depth=1
	s_or_b32 exec_lo, exec_lo, s3
	s_and_saveexec_b32 s3, s2
	s_delay_alu instid0(SALU_CYCLE_1)
	s_xor_b32 s3, exec_lo, s3
	s_cbranch_execnz .LBB218_53
.LBB218_48:                             ;   in Loop: Header=BB218_25 Depth=1
	s_or_b32 exec_lo, exec_lo, s3
	s_and_saveexec_b32 s2, s1
	s_cbranch_execnz .LBB218_54
.LBB218_49:                             ;   in Loop: Header=BB218_25 Depth=1
	s_or_b32 exec_lo, exec_lo, s2
	s_and_saveexec_b32 s1, s0
	s_cbranch_execnz .LBB218_55
.LBB218_50:                             ;   in Loop: Header=BB218_25 Depth=1
	s_or_b32 exec_lo, exec_lo, s1
	s_and_saveexec_b32 s0, vcc_lo
	s_cbranch_execz .LBB218_24
	s_branch .LBB218_56
.LBB218_51:                             ;   in Loop: Header=BB218_25 Depth=1
	v_and_or_b32 v4, v30, s16, 0x800000
	v_dual_mov_b32 v51, v5 :: v_dual_mov_b32 v53, v5
	s_delay_alu instid0(VALU_DEP_2) | instskip(NEXT) | instid1(VALU_DEP_1)
	v_mul_u64_e32 v[40:41], s[8:9], v[4:5]
	v_dual_mov_b32 v43, v5 :: v_dual_mov_b32 v42, v41
	v_lshrrev_b32_e32 v41, 23, v30
	s_delay_alu instid0(VALU_DEP_2) | instskip(SKIP_1) | instid1(VALU_DEP_3)
	v_mad_nc_u64_u32 v[42:43], 0x3c439041, v4, v[42:43]
	v_mov_b32_e32 v45, v5
	v_add_nc_u32_e32 v41, 0xffffff88, v41
	s_delay_alu instid0(VALU_DEP_1) | instskip(NEXT) | instid1(VALU_DEP_4)
	v_cmp_lt_u32_e64 s3, 63, v41
	v_mov_b32_e32 v44, v43
	s_delay_alu instid0(VALU_DEP_2) | instskip(NEXT) | instid1(VALU_DEP_2)
	v_cndmask_b32_e64 v43, 0, 0xffffffc0, s3
	v_mad_nc_u64_u32 v[44:45], 0xdb629599, v4, v[44:45]
	s_delay_alu instid0(VALU_DEP_2) | instskip(NEXT) | instid1(VALU_DEP_1)
	v_dual_mov_b32 v47, v5 :: v_dual_add_nc_u32 v41, v43, v41
	v_cmp_lt_u32_e64 s4, 31, v41
	s_delay_alu instid0(VALU_DEP_3) | instskip(NEXT) | instid1(VALU_DEP_2)
	v_mov_b32_e32 v46, v45
	v_cndmask_b32_e64 v43, 0, 0xffffffe0, s4
	v_cndmask_b32_e64 v40, v44, v40, s3
	s_delay_alu instid0(VALU_DEP_3) | instskip(NEXT) | instid1(VALU_DEP_1)
	v_mad_nc_u64_u32 v[46:47], 0xf534ddc0, v4, v[46:47]
	v_dual_mov_b32 v49, v5 :: v_dual_mov_b32 v48, v47
	s_delay_alu instid0(VALU_DEP_1) | instskip(NEXT) | instid1(VALU_DEP_1)
	v_mad_nc_u64_u32 v[48:49], 0xfc2757d1, v4, v[48:49]
	v_mov_b32_e32 v50, v49
	s_delay_alu instid0(VALU_DEP_1) | instskip(NEXT) | instid1(VALU_DEP_1)
	v_mad_nc_u64_u32 v[50:51], 0x4e441529, v4, v[50:51]
	v_mov_b32_e32 v52, v51
	s_delay_alu instid0(VALU_DEP_1) | instskip(NEXT) | instid1(VALU_DEP_3)
	v_mad_nc_u64_u32 v[52:53], 0xa2f9836e, v4, v[52:53]
	v_dual_add_nc_u32 v4, v43, v41 :: v_dual_cndmask_b32 v43, v50, v46, s3
	s_delay_alu instid0(VALU_DEP_2) | instskip(NEXT) | instid1(VALU_DEP_2)
	v_cndmask_b32_e64 v45, v52, v48, s3
	v_cmp_lt_u32_e64 s5, 31, v4
	s_delay_alu instid0(VALU_DEP_4) | instskip(NEXT) | instid1(VALU_DEP_2)
	v_dual_cndmask_b32 v47, v53, v50, s3 :: v_dual_cndmask_b32 v48, v48, v44, s3
	v_cndmask_b32_e64 v41, 0, 0xffffffe0, s5
	s_delay_alu instid0(VALU_DEP_1) | instskip(NEXT) | instid1(VALU_DEP_3)
	v_dual_add_nc_u32 v4, v41, v4 :: v_dual_cndmask_b32 v41, v46, v42, s3
	v_dual_cndmask_b32 v42, v45, v43, s4 :: v_dual_cndmask_b32 v45, v47, v45, s4
	s_delay_alu instid0(VALU_DEP_4) | instskip(NEXT) | instid1(VALU_DEP_3)
	v_cndmask_b32_e64 v43, v43, v48, s4
	v_dual_sub_nc_u32 v46, 32, v4 :: v_dual_cndmask_b32 v47, v48, v41, s4
	v_cmp_eq_u32_e64 s3, 0, v4
	s_delay_alu instid0(VALU_DEP_3) | instskip(NEXT) | instid1(VALU_DEP_1)
	v_dual_cndmask_b32 v45, v45, v42, s5 :: v_dual_cndmask_b32 v42, v42, v43, s5
	v_alignbit_b32 v48, v45, v42, v46
	s_delay_alu instid0(VALU_DEP_1) | instskip(NEXT) | instid1(VALU_DEP_1)
	v_dual_cndmask_b32 v43, v43, v47, s5 :: v_dual_cndmask_b32 v4, v48, v45, s3
	v_alignbit_b32 v44, v42, v43, v46
	s_delay_alu instid0(VALU_DEP_1) | instskip(NEXT) | instid1(VALU_DEP_3)
	v_dual_cndmask_b32 v40, v41, v40, s4 :: v_dual_cndmask_b32 v41, v44, v42, s3
	v_bfe_u32 v42, v4, 29, 1
	s_delay_alu instid0(VALU_DEP_2) | instskip(NEXT) | instid1(VALU_DEP_3)
	v_cndmask_b32_e64 v40, v47, v40, s5
	v_alignbit_b32 v44, v4, v41, 30
	s_delay_alu instid0(VALU_DEP_3) | instskip(NEXT) | instid1(VALU_DEP_3)
	v_sub_nc_u32_e32 v45, 0, v42
	v_alignbit_b32 v46, v43, v40, v46
	s_delay_alu instid0(VALU_DEP_1) | instskip(NEXT) | instid1(VALU_DEP_1)
	v_dual_cndmask_b32 v43, v46, v43, s3 :: v_dual_bitop2_b32 v44, v44, v45 bitop3:0x14
	v_clz_i32_u32_e32 v46, v44
	s_delay_alu instid0(VALU_DEP_2) | instskip(SKIP_1) | instid1(VALU_DEP_3)
	v_alignbit_b32 v41, v41, v43, 30
	v_alignbit_b32 v40, v43, v40, 30
	v_min_u32_e32 v46, 32, v46
	s_delay_alu instid0(VALU_DEP_3) | instskip(NEXT) | instid1(VALU_DEP_3)
	v_xor_b32_e32 v41, v41, v45
	v_dual_lshrrev_b32 v45, 29, v4 :: v_dual_bitop2_b32 v40, v40, v45 bitop3:0x14
	s_delay_alu instid0(VALU_DEP_3) | instskip(NEXT) | instid1(VALU_DEP_1)
	v_dual_sub_nc_u32 v43, 31, v46 :: v_dual_lshlrev_b32 v47, 23, v46
	v_alignbit_b32 v44, v44, v41, v43
	s_delay_alu instid0(VALU_DEP_3) | instskip(NEXT) | instid1(VALU_DEP_4)
	v_alignbit_b32 v40, v41, v40, v43
	v_lshlrev_b32_e32 v41, 31, v45
	s_delay_alu instid0(VALU_DEP_2) | instskip(NEXT) | instid1(VALU_DEP_2)
	v_alignbit_b32 v43, v44, v40, 9
	v_dual_lshrrev_b32 v44, 9, v44 :: v_dual_bitop2_b32 v45, 0.5, v41 bitop3:0x54
	v_or_b32_e32 v41, 0x33000000, v41
	s_delay_alu instid0(VALU_DEP_3) | instskip(NEXT) | instid1(VALU_DEP_3)
	v_clz_i32_u32_e32 v48, v43
	v_sub_nc_u32_e32 v45, v45, v47
	s_delay_alu instid0(VALU_DEP_2) | instskip(NEXT) | instid1(VALU_DEP_1)
	v_min_u32_e32 v47, 32, v48
	v_add_lshl_u32 v46, v47, v46, 23
	s_delay_alu instid0(VALU_DEP_3) | instskip(SKIP_1) | instid1(VALU_DEP_2)
	v_or_b32_e32 v44, v44, v45
	v_not_b32_e32 v45, v47
	v_dual_mul_f32 v48, 0x3fc90fda, v44 :: v_dual_sub_nc_u32 v41, v41, v46
	s_delay_alu instid0(VALU_DEP_2) | instskip(NEXT) | instid1(VALU_DEP_2)
	v_alignbit_b32 v40, v43, v40, v45
	v_fma_f32 v43, 0x3fc90fda, v44, -v48
	s_delay_alu instid0(VALU_DEP_2) | instskip(NEXT) | instid1(VALU_DEP_2)
	v_lshrrev_b32_e32 v40, 9, v40
	v_fmac_f32_e32 v43, 0x33a22168, v44
	s_delay_alu instid0(VALU_DEP_2) | instskip(NEXT) | instid1(VALU_DEP_1)
	v_or_b32_e32 v40, v41, v40
	v_fmac_f32_e32 v43, 0x3fc90fda, v40
	v_lshrrev_b32_e32 v40, 30, v4
	s_delay_alu instid0(VALU_DEP_1)
	v_dual_add_nc_u32 v40, v42, v40 :: v_dual_add_f32 v4, v48, v43
	s_and_not1_saveexec_b32 s3, s19
	s_cbranch_execz .LBB218_47
.LBB218_52:                             ;   in Loop: Header=BB218_25 Depth=1
	v_mul_f32_e32 v4, 0x3f22f983, v30
	s_delay_alu instid0(VALU_DEP_1) | instskip(NEXT) | instid1(VALU_DEP_1)
	v_rndne_f32_e32 v40, v4
	v_fmamk_f32 v4, v40, 0xbfc90fda, v30
	s_delay_alu instid0(VALU_DEP_1) | instskip(NEXT) | instid1(VALU_DEP_1)
	v_fmac_f32_e32 v4, 0xb3a22168, v40
	v_fmac_f32_e32 v4, 0xa7c234c4, v40
	v_cvt_i32_f32_e32 v40, v40
	s_or_b32 exec_lo, exec_lo, s3
	s_and_saveexec_b32 s3, s2
	s_delay_alu instid0(SALU_CYCLE_1)
	s_xor_b32 s3, exec_lo, s3
	s_cbranch_execz .LBB218_48
.LBB218_53:                             ;   in Loop: Header=BB218_25 Depth=1
	v_dual_mul_f32 v41, v34, v34 :: v_dual_bitop2_b32 v44, 1, v35 bitop3:0x40
	s_delay_alu instid0(VALU_DEP_1) | instskip(NEXT) | instid1(VALU_DEP_2)
	v_dual_fmaak_f32 v42, s17, v41, 0x3c0881c4 :: v_dual_lshlrev_b32 v35, 30, v35
	v_cmp_eq_u32_e64 s2, 0, v44
	s_delay_alu instid0(VALU_DEP_2) | instskip(NEXT) | instid1(VALU_DEP_1)
	v_fmaak_f32 v42, v41, v42, 0xbe2aaa9d
	v_dual_fmaak_f32 v43, s18, v41, 0xbab64f3b :: v_dual_mul_f32 v42, v41, v42
	s_delay_alu instid0(VALU_DEP_1) | instskip(NEXT) | instid1(VALU_DEP_1)
	v_dual_fmaak_f32 v43, v41, v43, 0x3d2aabf7 :: v_dual_fmac_f32 v34, v34, v42
	v_fmaak_f32 v43, v41, v43, 0xbf000004
	s_delay_alu instid0(VALU_DEP_1) | instskip(NEXT) | instid1(VALU_DEP_1)
	v_fma_f32 v41, v41, v43, 1.0
	v_cndmask_b32_e64 v34, -v34, v41, s2
	v_cmp_lg_f32_e64 s2, 0x7f800000, v33
	s_delay_alu instid0(VALU_DEP_2) | instskip(NEXT) | instid1(VALU_DEP_1)
	v_bitop3_b32 v34, v35, v34, 0x80000000 bitop3:0x6c
	v_cndmask_b32_e64 v33, 0x7fc00000, v34, s2
	s_delay_alu instid0(VALU_DEP_1) | instskip(SKIP_1) | instid1(VALU_DEP_2)
	v_bfe_u32 v34, v33, 16, 1
	v_cmp_o_f32_e64 s2, v33, v33
	v_add3_u32 v34, v33, v34, 0x7fff
	s_delay_alu instid0(VALU_DEP_1) | instskip(SKIP_1) | instid1(VALU_DEP_2)
	v_lshrrev_b32_e32 v41, 16, v34
	v_add_nc_u64_e32 v[34:35], s[6:7], v[10:11]
	v_cndmask_b32_e64 v33, 0x7fc0, v41, s2
	global_store_b16 v[34:35], v33, off
	s_wait_xcnt 0x0
	s_or_b32 exec_lo, exec_lo, s3
	s_and_saveexec_b32 s2, s1
	s_cbranch_execz .LBB218_49
.LBB218_54:                             ;   in Loop: Header=BB218_25 Depth=1
	v_dual_mul_f32 v33, v36, v36 :: v_dual_bitop2_b32 v41, 1, v37 bitop3:0x40
	s_delay_alu instid0(VALU_DEP_1) | instskip(NEXT) | instid1(VALU_DEP_2)
	v_fmaak_f32 v34, s17, v33, 0x3c0881c4
	v_cmp_eq_u32_e64 s1, 0, v41
	s_delay_alu instid0(VALU_DEP_2) | instskip(NEXT) | instid1(VALU_DEP_1)
	v_fmaak_f32 v34, v33, v34, 0xbe2aaa9d
	v_dual_fmaak_f32 v35, s18, v33, 0xbab64f3b :: v_dual_mul_f32 v34, v33, v34
	s_delay_alu instid0(VALU_DEP_1) | instskip(NEXT) | instid1(VALU_DEP_1)
	v_dual_fmaak_f32 v35, v33, v35, 0x3d2aabf7 :: v_dual_fmac_f32 v36, v36, v34
	v_dual_fmaak_f32 v35, v33, v35, 0xbf000004 :: v_dual_lshlrev_b32 v34, 30, v37
	s_delay_alu instid0(VALU_DEP_1) | instskip(NEXT) | instid1(VALU_DEP_1)
	v_fma_f32 v33, v33, v35, 1.0
	v_cndmask_b32_e64 v33, -v36, v33, s1
	v_cmp_lg_f32_e64 s1, 0x7f800000, v32
	s_delay_alu instid0(VALU_DEP_2) | instskip(NEXT) | instid1(VALU_DEP_1)
	v_bitop3_b32 v33, v34, v33, 0x80000000 bitop3:0x6c
	v_cndmask_b32_e64 v34, 0x7fc00000, v33, s1
	s_delay_alu instid0(VALU_DEP_1) | instskip(SKIP_1) | instid1(VALU_DEP_2)
	v_bfe_u32 v32, v34, 16, 1
	v_cmp_o_f32_e64 s1, v34, v34
	v_add3_u32 v32, v34, v32, 0x7fff
	s_delay_alu instid0(VALU_DEP_1) | instskip(SKIP_1) | instid1(VALU_DEP_2)
	v_lshrrev_b32_e32 v35, 16, v32
	v_add_nc_u64_e32 v[32:33], s[6:7], v[28:29]
	v_cndmask_b32_e64 v34, 0x7fc0, v35, s1
	global_store_b16 v[32:33], v34, off
	s_wait_xcnt 0x0
	s_or_b32 exec_lo, exec_lo, s2
	s_and_saveexec_b32 s1, s0
	s_cbranch_execz .LBB218_50
.LBB218_55:                             ;   in Loop: Header=BB218_25 Depth=1
	v_dual_mul_f32 v32, v38, v38 :: v_dual_bitop2_b32 v35, 1, v39 bitop3:0x40
	s_delay_alu instid0(VALU_DEP_1) | instskip(NEXT) | instid1(VALU_DEP_2)
	v_fmaak_f32 v33, s17, v32, 0x3c0881c4
	v_cmp_eq_u32_e64 s0, 0, v35
	s_delay_alu instid0(VALU_DEP_2) | instskip(NEXT) | instid1(VALU_DEP_1)
	v_fmaak_f32 v33, v32, v33, 0xbe2aaa9d
	v_dual_fmaak_f32 v34, s18, v32, 0xbab64f3b :: v_dual_mul_f32 v33, v32, v33
	s_delay_alu instid0(VALU_DEP_1) | instskip(NEXT) | instid1(VALU_DEP_2)
	v_fmaak_f32 v34, v32, v34, 0x3d2aabf7
	v_dual_fmac_f32 v38, v38, v33 :: v_dual_lshlrev_b32 v33, 30, v39
	s_delay_alu instid0(VALU_DEP_2) | instskip(NEXT) | instid1(VALU_DEP_1)
	v_fmaak_f32 v34, v32, v34, 0xbf000004
	v_fma_f32 v32, v32, v34, 1.0
	s_delay_alu instid0(VALU_DEP_1) | instskip(SKIP_1) | instid1(VALU_DEP_2)
	v_cndmask_b32_e64 v32, -v38, v32, s0
	v_cmp_lg_f32_e64 s0, 0x7f800000, v31
	v_bitop3_b32 v32, v33, v32, 0x80000000 bitop3:0x6c
	s_delay_alu instid0(VALU_DEP_1) | instskip(NEXT) | instid1(VALU_DEP_1)
	v_cndmask_b32_e64 v31, 0x7fc00000, v32, s0
	v_bfe_u32 v32, v31, 16, 1
	v_cmp_o_f32_e64 s0, v31, v31
	s_delay_alu instid0(VALU_DEP_2) | instskip(NEXT) | instid1(VALU_DEP_1)
	v_add3_u32 v32, v31, v32, 0x7fff
	v_lshrrev_b32_e32 v34, 16, v32
	v_add_nc_u64_e32 v[32:33], s[6:7], v[20:21]
	s_delay_alu instid0(VALU_DEP_2)
	v_cndmask_b32_e64 v31, 0x7fc0, v34, s0
	global_store_b16 v[32:33], v31, off
	s_wait_xcnt 0x0
	s_or_b32 exec_lo, exec_lo, s1
	s_and_saveexec_b32 s0, vcc_lo
	s_cbranch_execz .LBB218_24
.LBB218_56:                             ;   in Loop: Header=BB218_25 Depth=1
	v_mul_f32_e32 v31, v4, v4
	s_delay_alu instid0(VALU_DEP_1) | instskip(NEXT) | instid1(VALU_DEP_1)
	v_fmaak_f32 v32, s17, v31, 0x3c0881c4
	v_fmaak_f32 v32, v31, v32, 0xbe2aaa9d
	s_delay_alu instid0(VALU_DEP_1) | instskip(NEXT) | instid1(VALU_DEP_1)
	v_dual_fmaak_f32 v33, s18, v31, 0xbab64f3b :: v_dual_mul_f32 v32, v31, v32
	v_dual_fmaak_f32 v33, v31, v33, 0x3d2aabf7 :: v_dual_fmac_f32 v4, v4, v32
	s_delay_alu instid0(VALU_DEP_1) | instskip(NEXT) | instid1(VALU_DEP_1)
	v_fmaak_f32 v33, v31, v33, 0xbf000004
	v_fma_f32 v31, v31, v33, 1.0
	v_and_b32_e32 v34, 1, v40
	s_delay_alu instid0(VALU_DEP_1) | instskip(NEXT) | instid1(VALU_DEP_3)
	v_cmp_eq_u32_e32 vcc_lo, 0, v34
	v_dual_cndmask_b32 v4, -v4, v31, vcc_lo :: v_dual_lshlrev_b32 v31, 30, v40
	v_cmp_lg_f32_e32 vcc_lo, 0x7f800000, v30
	s_delay_alu instid0(VALU_DEP_2) | instskip(NEXT) | instid1(VALU_DEP_1)
	v_bitop3_b32 v4, v31, v4, 0x80000000 bitop3:0x6c
	v_cndmask_b32_e32 v4, 0x7fc00000, v4, vcc_lo
	s_delay_alu instid0(VALU_DEP_1) | instskip(SKIP_1) | instid1(VALU_DEP_2)
	v_bfe_u32 v30, v4, 16, 1
	v_cmp_o_f32_e32 vcc_lo, v4, v4
	v_add3_u32 v30, v4, v30, 0x7fff
	s_delay_alu instid0(VALU_DEP_1) | instskip(SKIP_1) | instid1(VALU_DEP_2)
	v_lshrrev_b32_e32 v32, 16, v30
	v_add_nc_u64_e32 v[30:31], s[6:7], v[24:25]
	v_cndmask_b32_e32 v4, 0x7fc0, v32, vcc_lo
	global_store_b16 v[30:31], v4, off
	s_branch .LBB218_24
.LBB218_57:
	s_endpgm
	.section	.rodata,"a",@progbits
	.p2align	6, 0x0
	.amdhsa_kernel _ZN2at6native12_GLOBAL__N_125multi_tensor_apply_kernelINS1_18TensorListMetadataILi2EEENS1_14UnaryOpFunctorIN3c108BFloat16ELi2ELi1ELi1EEEJNS0_3CosIfEEEEEvT_T0_DpT1_
		.amdhsa_group_segment_fixed_size 0
		.amdhsa_private_segment_fixed_size 0
		.amdhsa_kernarg_size 3408
		.amdhsa_user_sgpr_count 2
		.amdhsa_user_sgpr_dispatch_ptr 0
		.amdhsa_user_sgpr_queue_ptr 0
		.amdhsa_user_sgpr_kernarg_segment_ptr 1
		.amdhsa_user_sgpr_dispatch_id 0
		.amdhsa_user_sgpr_kernarg_preload_length 0
		.amdhsa_user_sgpr_kernarg_preload_offset 0
		.amdhsa_user_sgpr_private_segment_size 0
		.amdhsa_wavefront_size32 1
		.amdhsa_uses_dynamic_stack 0
		.amdhsa_enable_private_segment 0
		.amdhsa_system_sgpr_workgroup_id_x 1
		.amdhsa_system_sgpr_workgroup_id_y 0
		.amdhsa_system_sgpr_workgroup_id_z 0
		.amdhsa_system_sgpr_workgroup_info 0
		.amdhsa_system_vgpr_workitem_id 0
		.amdhsa_next_free_vgpr 54
		.amdhsa_next_free_sgpr 24
		.amdhsa_named_barrier_count 0
		.amdhsa_reserve_vcc 1
		.amdhsa_float_round_mode_32 0
		.amdhsa_float_round_mode_16_64 0
		.amdhsa_float_denorm_mode_32 3
		.amdhsa_float_denorm_mode_16_64 3
		.amdhsa_fp16_overflow 0
		.amdhsa_memory_ordered 1
		.amdhsa_forward_progress 1
		.amdhsa_inst_pref_size 72
		.amdhsa_round_robin_scheduling 0
		.amdhsa_exception_fp_ieee_invalid_op 0
		.amdhsa_exception_fp_denorm_src 0
		.amdhsa_exception_fp_ieee_div_zero 0
		.amdhsa_exception_fp_ieee_overflow 0
		.amdhsa_exception_fp_ieee_underflow 0
		.amdhsa_exception_fp_ieee_inexact 0
		.amdhsa_exception_int_div_zero 0
	.end_amdhsa_kernel
	.section	.text._ZN2at6native12_GLOBAL__N_125multi_tensor_apply_kernelINS1_18TensorListMetadataILi2EEENS1_14UnaryOpFunctorIN3c108BFloat16ELi2ELi1ELi1EEEJNS0_3CosIfEEEEEvT_T0_DpT1_,"axG",@progbits,_ZN2at6native12_GLOBAL__N_125multi_tensor_apply_kernelINS1_18TensorListMetadataILi2EEENS1_14UnaryOpFunctorIN3c108BFloat16ELi2ELi1ELi1EEEJNS0_3CosIfEEEEEvT_T0_DpT1_,comdat
.Lfunc_end218:
	.size	_ZN2at6native12_GLOBAL__N_125multi_tensor_apply_kernelINS1_18TensorListMetadataILi2EEENS1_14UnaryOpFunctorIN3c108BFloat16ELi2ELi1ELi1EEEJNS0_3CosIfEEEEEvT_T0_DpT1_, .Lfunc_end218-_ZN2at6native12_GLOBAL__N_125multi_tensor_apply_kernelINS1_18TensorListMetadataILi2EEENS1_14UnaryOpFunctorIN3c108BFloat16ELi2ELi1ELi1EEEJNS0_3CosIfEEEEEvT_T0_DpT1_
                                        ; -- End function
	.set _ZN2at6native12_GLOBAL__N_125multi_tensor_apply_kernelINS1_18TensorListMetadataILi2EEENS1_14UnaryOpFunctorIN3c108BFloat16ELi2ELi1ELi1EEEJNS0_3CosIfEEEEEvT_T0_DpT1_.num_vgpr, 54
	.set _ZN2at6native12_GLOBAL__N_125multi_tensor_apply_kernelINS1_18TensorListMetadataILi2EEENS1_14UnaryOpFunctorIN3c108BFloat16ELi2ELi1ELi1EEEJNS0_3CosIfEEEEEvT_T0_DpT1_.num_agpr, 0
	.set _ZN2at6native12_GLOBAL__N_125multi_tensor_apply_kernelINS1_18TensorListMetadataILi2EEENS1_14UnaryOpFunctorIN3c108BFloat16ELi2ELi1ELi1EEEJNS0_3CosIfEEEEEvT_T0_DpT1_.numbered_sgpr, 24
	.set _ZN2at6native12_GLOBAL__N_125multi_tensor_apply_kernelINS1_18TensorListMetadataILi2EEENS1_14UnaryOpFunctorIN3c108BFloat16ELi2ELi1ELi1EEEJNS0_3CosIfEEEEEvT_T0_DpT1_.num_named_barrier, 0
	.set _ZN2at6native12_GLOBAL__N_125multi_tensor_apply_kernelINS1_18TensorListMetadataILi2EEENS1_14UnaryOpFunctorIN3c108BFloat16ELi2ELi1ELi1EEEJNS0_3CosIfEEEEEvT_T0_DpT1_.private_seg_size, 0
	.set _ZN2at6native12_GLOBAL__N_125multi_tensor_apply_kernelINS1_18TensorListMetadataILi2EEENS1_14UnaryOpFunctorIN3c108BFloat16ELi2ELi1ELi1EEEJNS0_3CosIfEEEEEvT_T0_DpT1_.uses_vcc, 1
	.set _ZN2at6native12_GLOBAL__N_125multi_tensor_apply_kernelINS1_18TensorListMetadataILi2EEENS1_14UnaryOpFunctorIN3c108BFloat16ELi2ELi1ELi1EEEJNS0_3CosIfEEEEEvT_T0_DpT1_.uses_flat_scratch, 0
	.set _ZN2at6native12_GLOBAL__N_125multi_tensor_apply_kernelINS1_18TensorListMetadataILi2EEENS1_14UnaryOpFunctorIN3c108BFloat16ELi2ELi1ELi1EEEJNS0_3CosIfEEEEEvT_T0_DpT1_.has_dyn_sized_stack, 0
	.set _ZN2at6native12_GLOBAL__N_125multi_tensor_apply_kernelINS1_18TensorListMetadataILi2EEENS1_14UnaryOpFunctorIN3c108BFloat16ELi2ELi1ELi1EEEJNS0_3CosIfEEEEEvT_T0_DpT1_.has_recursion, 0
	.set _ZN2at6native12_GLOBAL__N_125multi_tensor_apply_kernelINS1_18TensorListMetadataILi2EEENS1_14UnaryOpFunctorIN3c108BFloat16ELi2ELi1ELi1EEEJNS0_3CosIfEEEEEvT_T0_DpT1_.has_indirect_call, 0
	.section	.AMDGPU.csdata,"",@progbits
; Kernel info:
; codeLenInByte = 9160
; TotalNumSgprs: 26
; NumVgprs: 54
; ScratchSize: 0
; MemoryBound: 0
; FloatMode: 240
; IeeeMode: 1
; LDSByteSize: 0 bytes/workgroup (compile time only)
; SGPRBlocks: 0
; VGPRBlocks: 3
; NumSGPRsForWavesPerEU: 26
; NumVGPRsForWavesPerEU: 54
; NamedBarCnt: 0
; Occupancy: 16
; WaveLimiterHint : 0
; COMPUTE_PGM_RSRC2:SCRATCH_EN: 0
; COMPUTE_PGM_RSRC2:USER_SGPR: 2
; COMPUTE_PGM_RSRC2:TRAP_HANDLER: 0
; COMPUTE_PGM_RSRC2:TGID_X_EN: 1
; COMPUTE_PGM_RSRC2:TGID_Y_EN: 0
; COMPUTE_PGM_RSRC2:TGID_Z_EN: 0
; COMPUTE_PGM_RSRC2:TIDIG_COMP_CNT: 0
	.section	.text._ZN2at6native12_GLOBAL__N_125multi_tensor_apply_kernelINS1_18TensorListMetadataILi1EEENS1_14UnaryOpFunctorIdLi1ELi1ELi0EEEJNS0_3CosIdEEEEEvT_T0_DpT1_,"axG",@progbits,_ZN2at6native12_GLOBAL__N_125multi_tensor_apply_kernelINS1_18TensorListMetadataILi1EEENS1_14UnaryOpFunctorIdLi1ELi1ELi0EEEJNS0_3CosIdEEEEEvT_T0_DpT1_,comdat
	.globl	_ZN2at6native12_GLOBAL__N_125multi_tensor_apply_kernelINS1_18TensorListMetadataILi1EEENS1_14UnaryOpFunctorIdLi1ELi1ELi0EEEJNS0_3CosIdEEEEEvT_T0_DpT1_ ; -- Begin function _ZN2at6native12_GLOBAL__N_125multi_tensor_apply_kernelINS1_18TensorListMetadataILi1EEENS1_14UnaryOpFunctorIdLi1ELi1ELi0EEEJNS0_3CosIdEEEEEvT_T0_DpT1_
	.p2align	8
	.type	_ZN2at6native12_GLOBAL__N_125multi_tensor_apply_kernelINS1_18TensorListMetadataILi1EEENS1_14UnaryOpFunctorIdLi1ELi1ELi0EEEJNS0_3CosIdEEEEEvT_T0_DpT1_,@function
_ZN2at6native12_GLOBAL__N_125multi_tensor_apply_kernelINS1_18TensorListMetadataILi1EEENS1_14UnaryOpFunctorIdLi1ELi1ELi0EEEJNS0_3CosIdEEEEEvT_T0_DpT1_: ; @_ZN2at6native12_GLOBAL__N_125multi_tensor_apply_kernelINS1_18TensorListMetadataILi1EEENS1_14UnaryOpFunctorIdLi1ELi1ELi0EEEJNS0_3CosIdEEEEEvT_T0_DpT1_
; %bb.0:
	s_bfe_u32 s2, ttmp6, 0x4000c
	s_and_b32 s3, ttmp6, 15
	s_add_co_i32 s2, s2, 1
	s_getreg_b32 s4, hwreg(HW_REG_IB_STS2, 6, 4)
	s_mul_i32 s2, ttmp9, s2
	s_delay_alu instid0(SALU_CYCLE_1)
	s_add_co_i32 s3, s3, s2
	s_cmp_eq_u32 s4, 0
	s_cselect_b32 s2, ttmp9, s3
	s_mov_b32 s3, 0
	s_load_u8 s8, s[0:1], s2 offset:0x6e0
	s_add_nc_u64 s[4:5], s[0:1], s[2:3]
	s_mul_u64 s[6:7], s[2:3], 3
	s_delay_alu instid0(SALU_CYCLE_1)
	s_add_nc_u64 s[4:5], s[4:5], s[6:7]
	s_load_b32 s10, s[4:5], 0x820
	s_wait_kmcnt 0x0
	s_clause 0x1
	s_load_b64 s[6:7], s[0:1], s8 offset:0x0 scale_offset
	s_load_b64 s[12:13], s[0:1], s8 offset:0x370 scale_offset
	s_ashr_i32 s11, s10, 31
	s_wait_kmcnt 0x0
	s_and_b64 s[4:5], s[6:7], 31
	s_and_b32 s2, s12, 3
	s_lshl_b64 s[8:9], s[10:11], 19
	s_or_b64 s[2:3], s[4:5], s[2:3]
	s_lshl_b64 s[4:5], s[10:11], 16
	s_cmp_eq_u64 s[2:3], 0
	s_sub_nc_u64 s[10:11], s[12:13], s[4:5]
	s_cbranch_scc1 .LBB219_37
; %bb.1:
	v_cmp_lt_i64_e64 s2, s[10:11], 1
	s_and_b32 vcc_lo, exec_lo, s2
	s_cbranch_vccnz .LBB219_36
; %bb.2:
	s_load_b32 s4, s[0:1], 0xd3c
	v_min_i64 v[2:3], 0x10000, s[10:11]
	v_min_u64 v[4:5], 0x10000, s[10:11]
	v_dual_mov_b32 v6, 0 :: v_dual_lshlrev_b32 v12, 3, v0
	s_mov_b32 s21, 0
	s_add_nc_u64 s[2:3], s[6:7], s[8:9]
	s_mov_b32 s5, s21
	s_delay_alu instid0(VALU_DEP_1)
	v_dual_mov_b32 v1, v6 :: v_dual_mov_b32 v13, v6
	s_mov_b32 s19, s21
	v_mov_b64_e32 v[8:9], 0x3e21eeb69037ab78
	v_mov_b64_e32 v[20:21], 0xbe5ae600b42fdfa7
	s_mov_b64 s[12:13], 0x3ff921fb54442d18
	v_add_nc_u64_e32 v[12:13], s[2:3], v[12:13]
	s_mov_b32 s15, s21
	s_mov_b32 s17, s21
	s_mov_b64 s[22:23], 0
                                        ; implicit-def: $vgpr22_vgpr23
                                        ; implicit-def: $vgpr22_vgpr23
	;; [unrolled: 1-line block ×7, first 2 shown]
	s_wait_kmcnt 0x0
	s_and_b32 s20, s4, 0xffff
	s_delay_alu instid0(SALU_CYCLE_1)
	v_add_nc_u64_e32 v[10:11], s[20:21], v[0:1]
	v_mov_b32_e32 v19, v6
	s_lshl_b32 s4, s20, 1
	s_mul_i32 s18, s20, 3
	v_add_nc_u64_e32 v[16:17], s[4:5], v[0:1]
	v_add_nc_u64_e32 v[14:15], s[18:19], v[0:1]
	s_lshl_b32 s14, s20, 2
	v_lshlrev_b32_e32 v18, 3, v10
	s_lshl_b32 s16, s20, 5
	s_mul_u64 s[18:19], s[20:21], 24
	s_lshl_b32 s20, s20, 4
	s_delay_alu instid0(VALU_DEP_1)
	v_add_nc_u64_e32 v[18:19], s[2:3], v[18:19]
	s_branch .LBB219_4
.LBB219_3:                              ;   in Loop: Header=BB219_4 Depth=1
	s_wait_xcnt 0x0
	s_or_b32 exec_lo, exec_lo, s3
	s_add_nc_u64 s[22:23], s[22:23], s[14:15]
	v_add_nc_u64_e32 v[12:13], s[16:17], v[12:13]
	v_cmp_ge_i64_e32 vcc_lo, s[22:23], v[2:3]
	v_add_nc_u64_e32 v[18:19], s[16:17], v[18:19]
	s_cbranch_vccnz .LBB219_36
.LBB219_4:                              ; =>This Inner Loop Header: Depth=1
	v_add_nc_u64_e32 v[22:23], s[22:23], v[0:1]
	v_mov_b64_e32 v[30:31], 0
	v_mov_b64_e32 v[32:33], 0
	s_delay_alu instid0(VALU_DEP_3)
	v_cmp_lt_u64_e64 s4, v[22:23], v[4:5]
	s_and_saveexec_b32 s2, s4
	s_cbranch_execz .LBB219_6
; %bb.5:                                ;   in Loop: Header=BB219_4 Depth=1
	global_load_b64 v[32:33], v[12:13], off
	s_wait_loadcnt 0x0
	v_and_b32_e32 v33, 0x7fffffff, v33
.LBB219_6:                              ;   in Loop: Header=BB219_4 Depth=1
	s_wait_xcnt 0x0
	s_or_b32 exec_lo, exec_lo, s2
	v_add_nc_u64_e32 v[22:23], s[22:23], v[10:11]
	s_delay_alu instid0(VALU_DEP_1)
	v_cmp_lt_u64_e64 s3, v[22:23], v[4:5]
	s_and_saveexec_b32 s2, s3
	s_cbranch_execz .LBB219_8
; %bb.7:                                ;   in Loop: Header=BB219_4 Depth=1
	global_load_b64 v[30:31], v[18:19], off
	s_wait_loadcnt 0x0
	v_and_b32_e32 v31, 0x7fffffff, v31
.LBB219_8:                              ;   in Loop: Header=BB219_4 Depth=1
	s_wait_xcnt 0x0
	s_or_b32 exec_lo, exec_lo, s2
	v_add_nc_u64_e32 v[24:25], s[22:23], v[16:17]
	v_mov_b64_e32 v[22:23], 0
	v_add_nc_u64_e32 v[26:27], s[20:21], v[12:13]
	v_mov_b64_e32 v[28:29], 0
	s_delay_alu instid0(VALU_DEP_4)
	v_cmp_lt_u64_e64 s2, v[24:25], v[4:5]
	s_and_saveexec_b32 s5, s2
	s_cbranch_execz .LBB219_10
; %bb.9:                                ;   in Loop: Header=BB219_4 Depth=1
	global_load_b64 v[28:29], v[26:27], off
	s_wait_loadcnt 0x0
	v_and_b32_e32 v29, 0x7fffffff, v29
.LBB219_10:                             ;   in Loop: Header=BB219_4 Depth=1
	s_wait_xcnt 0x0
	s_or_b32 exec_lo, exec_lo, s5
	v_add_nc_u64_e32 v[24:25], s[22:23], v[14:15]
	s_delay_alu instid0(VALU_DEP_1)
	v_cmp_lt_u64_e32 vcc_lo, v[24:25], v[4:5]
	v_add_nc_u64_e32 v[24:25], s[18:19], v[12:13]
	s_and_saveexec_b32 s5, vcc_lo
	s_cbranch_execz .LBB219_12
; %bb.11:                               ;   in Loop: Header=BB219_4 Depth=1
	global_load_b64 v[22:23], v[24:25], off
	s_wait_loadcnt 0x0
	v_and_b32_e32 v23, 0x7fffffff, v23
.LBB219_12:                             ;   in Loop: Header=BB219_4 Depth=1
	s_wait_xcnt 0x0
	s_or_b32 exec_lo, exec_lo, s5
	s_delay_alu instid0(SALU_CYCLE_1)
	s_mov_b32 s24, exec_lo
                                        ; implicit-def: $vgpr50
                                        ; implicit-def: $vgpr34_vgpr35
                                        ; implicit-def: $vgpr36_vgpr37
	v_cmpx_ngt_f64_e32 0x41d00000, v[32:33]
	s_xor_b32 s24, exec_lo, s24
	s_cbranch_execz .LBB219_14
; %bb.13:                               ;   in Loop: Header=BB219_4 Depth=1
	v_ldexp_f64 v[34:35], v[32:33], 0xffffff80
	v_cmp_le_f64_e64 s5, 0x7b000000, v[32:33]
	v_trig_preop_f64 v[36:37], v[32:33], 0
	v_trig_preop_f64 v[38:39], v[32:33], 1
	;; [unrolled: 1-line block ×3, first 2 shown]
	s_delay_alu instid0(VALU_DEP_4) | instskip(NEXT) | instid1(VALU_DEP_1)
	v_dual_cndmask_b32 v35, v33, v35, s5 :: v_dual_cndmask_b32 v34, v32, v34, s5
	v_mul_f64_e32 v[40:41], v[36:37], v[34:35]
	s_delay_alu instid0(VALU_DEP_4) | instskip(NEXT) | instid1(VALU_DEP_4)
	v_mul_f64_e32 v[42:43], v[38:39], v[34:35]
	v_mul_f64_e32 v[54:55], v[48:49], v[34:35]
	s_delay_alu instid0(VALU_DEP_3) | instskip(NEXT) | instid1(VALU_DEP_3)
	v_fma_f64 v[36:37], v[36:37], v[34:35], -v[40:41]
	v_fma_f64 v[38:39], v[38:39], v[34:35], -v[42:43]
	s_delay_alu instid0(VALU_DEP_3) | instskip(NEXT) | instid1(VALU_DEP_3)
	v_fma_f64 v[34:35], v[48:49], v[34:35], -v[54:55]
	v_add_f64_e32 v[44:45], v[42:43], v[36:37]
	s_delay_alu instid0(VALU_DEP_1) | instskip(SKIP_1) | instid1(VALU_DEP_2)
	v_add_f64_e64 v[46:47], v[44:45], -v[42:43]
	v_add_f64_e32 v[52:53], v[40:41], v[44:45]
	v_add_f64_e64 v[50:51], v[44:45], -v[46:47]
	v_add_f64_e64 v[36:37], v[36:37], -v[46:47]
	s_delay_alu instid0(VALU_DEP_3) | instskip(NEXT) | instid1(VALU_DEP_3)
	v_ldexp_f64 v[46:47], v[52:53], -2
	v_add_f64_e64 v[42:43], v[42:43], -v[50:51]
	v_add_f64_e32 v[50:51], v[54:55], v[38:39]
	s_delay_alu instid0(VALU_DEP_3) | instskip(NEXT) | instid1(VALU_DEP_3)
	v_cmp_neq_f64_e64 s5, 0x7ff00000, |v[46:47]|
	v_add_f64_e32 v[36:37], v[36:37], v[42:43]
	v_fract_f64_e32 v[42:43], v[46:47]
	s_delay_alu instid0(VALU_DEP_1) | instskip(NEXT) | instid1(VALU_DEP_1)
	v_ldexp_f64 v[42:43], v[42:43], 2
	v_dual_add_f64 v[40:41], v[52:53], -v[40:41] :: v_dual_cndmask_b32 v42, 0, v42, s5
	s_delay_alu instid0(VALU_DEP_1) | instskip(SKIP_1) | instid1(VALU_DEP_1)
	v_dual_add_f64 v[40:41], v[44:45], -v[40:41] :: v_dual_cndmask_b32 v43, 0, v43, s5
	v_add_f64_e32 v[44:45], v[50:51], v[36:37]
	v_add_f64_e32 v[46:47], v[40:41], v[44:45]
	v_add_f64_e64 v[56:57], v[44:45], -v[50:51]
	s_delay_alu instid0(VALU_DEP_2) | instskip(NEXT) | instid1(VALU_DEP_2)
	v_add_f64_e32 v[52:53], v[46:47], v[42:43]
	v_add_f64_e64 v[62:63], v[44:45], -v[56:57]
	v_add_f64_e64 v[36:37], v[36:37], -v[56:57]
	;; [unrolled: 1-line block ×3, first 2 shown]
	s_delay_alu instid0(VALU_DEP_4) | instskip(SKIP_1) | instid1(VALU_DEP_3)
	v_cmp_gt_f64_e64 s5, 0, v[52:53]
	v_add_f64_e64 v[52:53], v[50:51], -v[54:55]
	v_add_f64_e64 v[40:41], v[44:45], -v[40:41]
	s_delay_alu instid0(VALU_DEP_3) | instskip(NEXT) | instid1(VALU_DEP_3)
	v_cndmask_b32_e64 v7, 0, 0x40100000, s5
	v_add_f64_e64 v[60:61], v[50:51], -v[52:53]
	v_add_f64_e64 v[38:39], v[38:39], -v[52:53]
	;; [unrolled: 1-line block ×3, first 2 shown]
	s_delay_alu instid0(VALU_DEP_4) | instskip(NEXT) | instid1(VALU_DEP_4)
	v_add_f64_e32 v[42:43], v[42:43], v[6:7]
	v_add_f64_e64 v[52:53], v[54:55], -v[60:61]
	s_delay_alu instid0(VALU_DEP_3) | instskip(NEXT) | instid1(VALU_DEP_3)
	v_add_f64_e32 v[36:37], v[36:37], v[50:51]
	v_add_f64_e32 v[58:59], v[46:47], v[42:43]
	s_delay_alu instid0(VALU_DEP_3) | instskip(NEXT) | instid1(VALU_DEP_2)
	v_add_f64_e32 v[38:39], v[38:39], v[52:53]
	v_cvt_i32_f64_e32 v7, v[58:59]
	s_delay_alu instid0(VALU_DEP_2) | instskip(NEXT) | instid1(VALU_DEP_2)
	v_add_f64_e32 v[36:37], v[38:39], v[36:37]
	v_cvt_f64_i32_e32 v[56:57], v7
	s_delay_alu instid0(VALU_DEP_2) | instskip(NEXT) | instid1(VALU_DEP_2)
	v_add_f64_e32 v[34:35], v[34:35], v[36:37]
	v_add_f64_e64 v[42:43], v[42:43], -v[56:57]
	s_delay_alu instid0(VALU_DEP_2) | instskip(NEXT) | instid1(VALU_DEP_2)
	v_add_f64_e32 v[34:35], v[40:41], v[34:35]
	v_add_f64_e32 v[38:39], v[46:47], v[42:43]
	s_delay_alu instid0(VALU_DEP_1) | instskip(SKIP_1) | instid1(VALU_DEP_2)
	v_add_f64_e64 v[36:37], v[38:39], -v[42:43]
	v_cmp_le_f64_e64 s5, 0.5, v[38:39]
	v_add_f64_e64 v[36:37], v[46:47], -v[36:37]
	s_delay_alu instid0(VALU_DEP_2) | instskip(SKIP_1) | instid1(VALU_DEP_3)
	v_add_co_ci_u32_e64 v50, null, 0, v7, s5
	v_cndmask_b32_e64 v7, 0, 0x3ff00000, s5
	v_add_f64_e32 v[34:35], v[34:35], v[36:37]
	s_delay_alu instid0(VALU_DEP_2) | instskip(NEXT) | instid1(VALU_DEP_1)
	v_add_f64_e64 v[36:37], v[38:39], -v[6:7]
	v_add_f64_e32 v[38:39], v[36:37], v[34:35]
	s_delay_alu instid0(VALU_DEP_1) | instskip(SKIP_1) | instid1(VALU_DEP_2)
	v_mul_f64_e32 v[40:41], 0x3ff921fb54442d18, v[38:39]
	v_add_f64_e64 v[36:37], v[38:39], -v[36:37]
	v_fma_f64 v[42:43], v[38:39], s[12:13], -v[40:41]
	s_delay_alu instid0(VALU_DEP_2) | instskip(NEXT) | instid1(VALU_DEP_2)
	v_add_f64_e64 v[34:35], v[34:35], -v[36:37]
	v_fmac_f64_e32 v[42:43], 0x3c91a62633145c07, v[38:39]
	s_delay_alu instid0(VALU_DEP_1) | instskip(NEXT) | instid1(VALU_DEP_1)
	v_fmac_f64_e32 v[42:43], 0x3ff921fb54442d18, v[34:35]
	v_add_f64_e32 v[34:35], v[40:41], v[42:43]
	s_delay_alu instid0(VALU_DEP_1) | instskip(NEXT) | instid1(VALU_DEP_1)
	v_add_f64_e64 v[36:37], v[34:35], -v[40:41]
	v_add_f64_e64 v[36:37], v[42:43], -v[36:37]
.LBB219_14:                             ;   in Loop: Header=BB219_4 Depth=1
	s_and_not1_saveexec_b32 s5, s24
	s_cbranch_execz .LBB219_16
; %bb.15:                               ;   in Loop: Header=BB219_4 Depth=1
	v_mul_f64_e32 v[34:35], 0x3fe45f306dc9c883, v[32:33]
	s_delay_alu instid0(VALU_DEP_1) | instskip(NEXT) | instid1(VALU_DEP_1)
	v_rndne_f64_e32 v[38:39], v[34:35]
	v_mul_f64_e32 v[34:35], 0xbc91a62633145c00, v[38:39]
	v_fmamk_f64 v[36:37], v[38:39], 0xbff921fb54442d18, v[32:33]
	v_cvt_i32_f64_e32 v50, v[38:39]
	s_delay_alu instid0(VALU_DEP_2) | instskip(NEXT) | instid1(VALU_DEP_1)
	v_add_f64_e32 v[40:41], v[36:37], v[34:35]
	v_add_f64_e64 v[42:43], v[36:37], -v[40:41]
	v_fmamk_f64 v[36:37], v[38:39], 0xbc91a62633145c00, v[36:37]
	s_delay_alu instid0(VALU_DEP_1) | instskip(NEXT) | instid1(VALU_DEP_3)
	v_add_f64_e64 v[40:41], v[40:41], -v[36:37]
	v_add_f64_e32 v[42:43], v[42:43], v[34:35]
	v_fmamk_f64 v[34:35], v[38:39], 0x3c91a62633145c00, v[34:35]
	s_delay_alu instid0(VALU_DEP_2) | instskip(NEXT) | instid1(VALU_DEP_1)
	v_add_f64_e32 v[40:41], v[40:41], v[42:43]
	v_add_f64_e64 v[40:41], v[40:41], -v[34:35]
	s_delay_alu instid0(VALU_DEP_1) | instskip(NEXT) | instid1(VALU_DEP_1)
	v_fmac_f64_e32 v[40:41], 0xb97b839a252049c0, v[38:39]
	v_add_f64_e32 v[34:35], v[36:37], v[40:41]
	s_delay_alu instid0(VALU_DEP_1) | instskip(NEXT) | instid1(VALU_DEP_1)
	v_add_f64_e64 v[36:37], v[34:35], -v[36:37]
	v_add_f64_e64 v[36:37], v[40:41], -v[36:37]
.LBB219_16:                             ;   in Loop: Header=BB219_4 Depth=1
	s_or_b32 exec_lo, exec_lo, s5
	s_delay_alu instid0(SALU_CYCLE_1)
	s_mov_b32 s24, exec_lo
                                        ; implicit-def: $vgpr51
                                        ; implicit-def: $vgpr38_vgpr39
                                        ; implicit-def: $vgpr40_vgpr41
	v_cmpx_ngt_f64_e32 0x41d00000, v[30:31]
	s_xor_b32 s24, exec_lo, s24
	s_cbranch_execz .LBB219_18
; %bb.17:                               ;   in Loop: Header=BB219_4 Depth=1
	v_ldexp_f64 v[38:39], v[30:31], 0xffffff80
	v_cmp_le_f64_e64 s5, 0x7b000000, v[30:31]
	v_trig_preop_f64 v[40:41], v[30:31], 0
	v_trig_preop_f64 v[42:43], v[30:31], 1
	;; [unrolled: 1-line block ×3, first 2 shown]
	s_delay_alu instid0(VALU_DEP_4) | instskip(NEXT) | instid1(VALU_DEP_1)
	v_dual_cndmask_b32 v39, v31, v39, s5 :: v_dual_cndmask_b32 v38, v30, v38, s5
	v_mul_f64_e32 v[44:45], v[40:41], v[38:39]
	s_delay_alu instid0(VALU_DEP_4) | instskip(NEXT) | instid1(VALU_DEP_4)
	v_mul_f64_e32 v[46:47], v[42:43], v[38:39]
	v_mul_f64_e32 v[60:61], v[54:55], v[38:39]
	s_delay_alu instid0(VALU_DEP_3) | instskip(NEXT) | instid1(VALU_DEP_3)
	v_fma_f64 v[40:41], v[40:41], v[38:39], -v[44:45]
	v_fma_f64 v[42:43], v[42:43], v[38:39], -v[46:47]
	s_delay_alu instid0(VALU_DEP_3) | instskip(NEXT) | instid1(VALU_DEP_3)
	v_fma_f64 v[38:39], v[54:55], v[38:39], -v[60:61]
	v_add_f64_e32 v[48:49], v[46:47], v[40:41]
	s_delay_alu instid0(VALU_DEP_1) | instskip(SKIP_1) | instid1(VALU_DEP_2)
	v_add_f64_e64 v[52:53], v[48:49], -v[46:47]
	v_add_f64_e32 v[58:59], v[44:45], v[48:49]
	v_add_f64_e64 v[56:57], v[48:49], -v[52:53]
	v_add_f64_e64 v[40:41], v[40:41], -v[52:53]
	s_delay_alu instid0(VALU_DEP_3) | instskip(SKIP_1) | instid1(VALU_DEP_4)
	v_ldexp_f64 v[52:53], v[58:59], -2
	v_add_f64_e64 v[44:45], v[58:59], -v[44:45]
	v_add_f64_e64 v[46:47], v[46:47], -v[56:57]
	v_add_f64_e32 v[56:57], v[60:61], v[42:43]
	s_delay_alu instid0(VALU_DEP_4) | instskip(NEXT) | instid1(VALU_DEP_3)
	v_cmp_neq_f64_e64 s5, 0x7ff00000, |v[52:53]|
	v_add_f64_e32 v[40:41], v[40:41], v[46:47]
	v_fract_f64_e32 v[46:47], v[52:53]
	s_delay_alu instid0(VALU_DEP_1) | instskip(NEXT) | instid1(VALU_DEP_1)
	v_ldexp_f64 v[46:47], v[46:47], 2
	v_dual_add_f64 v[44:45], v[48:49], -v[44:45] :: v_dual_cndmask_b32 v47, 0, v47, s5
	s_delay_alu instid0(VALU_DEP_2) | instskip(NEXT) | instid1(VALU_DEP_1)
	v_dual_add_f64 v[48:49], v[56:57], v[40:41] :: v_dual_cndmask_b32 v46, 0, v46, s5
	v_add_f64_e32 v[52:53], v[44:45], v[48:49]
	v_add_f64_e64 v[62:63], v[48:49], -v[56:57]
	s_delay_alu instid0(VALU_DEP_2) | instskip(NEXT) | instid1(VALU_DEP_2)
	v_add_f64_e32 v[58:59], v[52:53], v[46:47]
	v_add_f64_e64 v[68:69], v[48:49], -v[62:63]
	v_add_f64_e64 v[40:41], v[40:41], -v[62:63]
	;; [unrolled: 1-line block ×3, first 2 shown]
	s_delay_alu instid0(VALU_DEP_4) | instskip(SKIP_1) | instid1(VALU_DEP_3)
	v_cmp_gt_f64_e64 s5, 0, v[58:59]
	v_add_f64_e64 v[58:59], v[56:57], -v[60:61]
	v_add_f64_e64 v[44:45], v[48:49], -v[44:45]
	s_delay_alu instid0(VALU_DEP_3) | instskip(NEXT) | instid1(VALU_DEP_3)
	v_cndmask_b32_e64 v7, 0, 0x40100000, s5
	v_add_f64_e64 v[66:67], v[56:57], -v[58:59]
	v_add_f64_e64 v[42:43], v[42:43], -v[58:59]
	;; [unrolled: 1-line block ×3, first 2 shown]
	s_delay_alu instid0(VALU_DEP_4) | instskip(NEXT) | instid1(VALU_DEP_4)
	v_add_f64_e32 v[46:47], v[46:47], v[6:7]
	v_add_f64_e64 v[58:59], v[60:61], -v[66:67]
	s_delay_alu instid0(VALU_DEP_3) | instskip(NEXT) | instid1(VALU_DEP_3)
	v_add_f64_e32 v[40:41], v[40:41], v[56:57]
	v_add_f64_e32 v[64:65], v[52:53], v[46:47]
	s_delay_alu instid0(VALU_DEP_3) | instskip(NEXT) | instid1(VALU_DEP_2)
	v_add_f64_e32 v[42:43], v[42:43], v[58:59]
	v_cvt_i32_f64_e32 v7, v[64:65]
	s_delay_alu instid0(VALU_DEP_2) | instskip(NEXT) | instid1(VALU_DEP_2)
	v_add_f64_e32 v[40:41], v[42:43], v[40:41]
	v_cvt_f64_i32_e32 v[62:63], v7
	s_delay_alu instid0(VALU_DEP_2) | instskip(NEXT) | instid1(VALU_DEP_2)
	v_add_f64_e32 v[38:39], v[38:39], v[40:41]
	v_add_f64_e64 v[46:47], v[46:47], -v[62:63]
	s_delay_alu instid0(VALU_DEP_2) | instskip(NEXT) | instid1(VALU_DEP_2)
	v_add_f64_e32 v[38:39], v[44:45], v[38:39]
	v_add_f64_e32 v[42:43], v[52:53], v[46:47]
	s_delay_alu instid0(VALU_DEP_1) | instskip(SKIP_1) | instid1(VALU_DEP_2)
	v_add_f64_e64 v[40:41], v[42:43], -v[46:47]
	v_cmp_le_f64_e64 s5, 0.5, v[42:43]
	v_add_f64_e64 v[40:41], v[52:53], -v[40:41]
	s_delay_alu instid0(VALU_DEP_2) | instskip(SKIP_1) | instid1(VALU_DEP_3)
	v_add_co_ci_u32_e64 v51, null, 0, v7, s5
	v_cndmask_b32_e64 v7, 0, 0x3ff00000, s5
	v_add_f64_e32 v[38:39], v[38:39], v[40:41]
	s_delay_alu instid0(VALU_DEP_2) | instskip(NEXT) | instid1(VALU_DEP_1)
	v_add_f64_e64 v[40:41], v[42:43], -v[6:7]
	v_add_f64_e32 v[42:43], v[40:41], v[38:39]
	s_delay_alu instid0(VALU_DEP_1) | instskip(SKIP_1) | instid1(VALU_DEP_2)
	v_mul_f64_e32 v[44:45], 0x3ff921fb54442d18, v[42:43]
	v_add_f64_e64 v[40:41], v[42:43], -v[40:41]
	v_fma_f64 v[46:47], v[42:43], s[12:13], -v[44:45]
	s_delay_alu instid0(VALU_DEP_2) | instskip(NEXT) | instid1(VALU_DEP_2)
	v_add_f64_e64 v[38:39], v[38:39], -v[40:41]
	v_fmac_f64_e32 v[46:47], 0x3c91a62633145c07, v[42:43]
	s_delay_alu instid0(VALU_DEP_1) | instskip(NEXT) | instid1(VALU_DEP_1)
	v_fmac_f64_e32 v[46:47], 0x3ff921fb54442d18, v[38:39]
	v_add_f64_e32 v[38:39], v[44:45], v[46:47]
	s_delay_alu instid0(VALU_DEP_1) | instskip(NEXT) | instid1(VALU_DEP_1)
	v_add_f64_e64 v[40:41], v[38:39], -v[44:45]
	v_add_f64_e64 v[40:41], v[46:47], -v[40:41]
.LBB219_18:                             ;   in Loop: Header=BB219_4 Depth=1
	s_and_not1_saveexec_b32 s5, s24
	s_cbranch_execz .LBB219_20
; %bb.19:                               ;   in Loop: Header=BB219_4 Depth=1
	v_mul_f64_e32 v[38:39], 0x3fe45f306dc9c883, v[30:31]
	s_delay_alu instid0(VALU_DEP_1) | instskip(NEXT) | instid1(VALU_DEP_1)
	v_rndne_f64_e32 v[42:43], v[38:39]
	v_mul_f64_e32 v[38:39], 0xbc91a62633145c00, v[42:43]
	v_fmamk_f64 v[40:41], v[42:43], 0xbff921fb54442d18, v[30:31]
	v_cvt_i32_f64_e32 v51, v[42:43]
	s_delay_alu instid0(VALU_DEP_2) | instskip(NEXT) | instid1(VALU_DEP_1)
	v_add_f64_e32 v[44:45], v[40:41], v[38:39]
	v_add_f64_e64 v[46:47], v[40:41], -v[44:45]
	v_fmamk_f64 v[40:41], v[42:43], 0xbc91a62633145c00, v[40:41]
	s_delay_alu instid0(VALU_DEP_1) | instskip(NEXT) | instid1(VALU_DEP_3)
	v_add_f64_e64 v[44:45], v[44:45], -v[40:41]
	v_add_f64_e32 v[46:47], v[46:47], v[38:39]
	v_fmamk_f64 v[38:39], v[42:43], 0x3c91a62633145c00, v[38:39]
	s_delay_alu instid0(VALU_DEP_2) | instskip(NEXT) | instid1(VALU_DEP_1)
	v_add_f64_e32 v[44:45], v[44:45], v[46:47]
	v_add_f64_e64 v[44:45], v[44:45], -v[38:39]
	s_delay_alu instid0(VALU_DEP_1) | instskip(NEXT) | instid1(VALU_DEP_1)
	v_fmac_f64_e32 v[44:45], 0xb97b839a252049c0, v[42:43]
	v_add_f64_e32 v[38:39], v[40:41], v[44:45]
	s_delay_alu instid0(VALU_DEP_1) | instskip(NEXT) | instid1(VALU_DEP_1)
	v_add_f64_e64 v[40:41], v[38:39], -v[40:41]
	v_add_f64_e64 v[40:41], v[44:45], -v[40:41]
.LBB219_20:                             ;   in Loop: Header=BB219_4 Depth=1
	s_or_b32 exec_lo, exec_lo, s5
	s_delay_alu instid0(SALU_CYCLE_1)
	s_mov_b32 s24, exec_lo
                                        ; implicit-def: $vgpr52
                                        ; implicit-def: $vgpr42_vgpr43
                                        ; implicit-def: $vgpr44_vgpr45
	v_cmpx_ngt_f64_e32 0x41d00000, v[28:29]
	s_xor_b32 s24, exec_lo, s24
	s_cbranch_execz .LBB219_22
; %bb.21:                               ;   in Loop: Header=BB219_4 Depth=1
	v_ldexp_f64 v[42:43], v[28:29], 0xffffff80
	v_cmp_le_f64_e64 s5, 0x7b000000, v[28:29]
	v_trig_preop_f64 v[44:45], v[28:29], 0
	v_trig_preop_f64 v[46:47], v[28:29], 1
	;; [unrolled: 1-line block ×3, first 2 shown]
	s_delay_alu instid0(VALU_DEP_4) | instskip(NEXT) | instid1(VALU_DEP_1)
	v_dual_cndmask_b32 v43, v29, v43, s5 :: v_dual_cndmask_b32 v42, v28, v42, s5
	v_mul_f64_e32 v[48:49], v[44:45], v[42:43]
	s_delay_alu instid0(VALU_DEP_4) | instskip(NEXT) | instid1(VALU_DEP_4)
	v_mul_f64_e32 v[52:53], v[46:47], v[42:43]
	v_mul_f64_e32 v[64:65], v[58:59], v[42:43]
	s_delay_alu instid0(VALU_DEP_3) | instskip(NEXT) | instid1(VALU_DEP_3)
	v_fma_f64 v[44:45], v[44:45], v[42:43], -v[48:49]
	v_fma_f64 v[46:47], v[46:47], v[42:43], -v[52:53]
	s_delay_alu instid0(VALU_DEP_3) | instskip(NEXT) | instid1(VALU_DEP_3)
	v_fma_f64 v[42:43], v[58:59], v[42:43], -v[64:65]
	v_add_f64_e32 v[54:55], v[52:53], v[44:45]
	s_delay_alu instid0(VALU_DEP_1) | instskip(SKIP_1) | instid1(VALU_DEP_2)
	v_add_f64_e64 v[56:57], v[54:55], -v[52:53]
	v_add_f64_e32 v[62:63], v[48:49], v[54:55]
	v_add_f64_e64 v[60:61], v[54:55], -v[56:57]
	v_add_f64_e64 v[44:45], v[44:45], -v[56:57]
	s_delay_alu instid0(VALU_DEP_3) | instskip(NEXT) | instid1(VALU_DEP_3)
	v_ldexp_f64 v[56:57], v[62:63], -2
	v_add_f64_e64 v[52:53], v[52:53], -v[60:61]
	v_add_f64_e32 v[60:61], v[64:65], v[46:47]
	s_delay_alu instid0(VALU_DEP_3) | instskip(NEXT) | instid1(VALU_DEP_3)
	v_cmp_neq_f64_e64 s5, 0x7ff00000, |v[56:57]|
	v_add_f64_e32 v[44:45], v[44:45], v[52:53]
	v_fract_f64_e32 v[52:53], v[56:57]
	s_delay_alu instid0(VALU_DEP_1) | instskip(NEXT) | instid1(VALU_DEP_1)
	v_ldexp_f64 v[52:53], v[52:53], 2
	v_cndmask_b32_e64 v53, 0, v53, s5
	v_add_f64_e64 v[48:49], v[62:63], -v[48:49]
	s_delay_alu instid0(VALU_DEP_3) | instskip(NEXT) | instid1(VALU_DEP_2)
	v_cndmask_b32_e64 v52, 0, v52, s5
	v_add_f64_e64 v[48:49], v[54:55], -v[48:49]
	v_add_f64_e32 v[54:55], v[60:61], v[44:45]
	s_delay_alu instid0(VALU_DEP_1) | instskip(SKIP_1) | instid1(VALU_DEP_2)
	v_add_f64_e32 v[56:57], v[48:49], v[54:55]
	v_add_f64_e64 v[66:67], v[54:55], -v[60:61]
	v_add_f64_e32 v[62:63], v[56:57], v[52:53]
	s_delay_alu instid0(VALU_DEP_2) | instskip(SKIP_2) | instid1(VALU_DEP_4)
	v_add_f64_e64 v[72:73], v[54:55], -v[66:67]
	v_add_f64_e64 v[44:45], v[44:45], -v[66:67]
	;; [unrolled: 1-line block ×3, first 2 shown]
	v_cmp_gt_f64_e64 s5, 0, v[62:63]
	v_add_f64_e64 v[62:63], v[60:61], -v[64:65]
	s_delay_alu instid0(VALU_DEP_3) | instskip(NEXT) | instid1(VALU_DEP_3)
	v_add_f64_e64 v[48:49], v[54:55], -v[48:49]
	v_cndmask_b32_e64 v7, 0, 0x40100000, s5
	s_delay_alu instid0(VALU_DEP_3) | instskip(SKIP_2) | instid1(VALU_DEP_4)
	v_add_f64_e64 v[70:71], v[60:61], -v[62:63]
	v_add_f64_e64 v[46:47], v[46:47], -v[62:63]
	;; [unrolled: 1-line block ×3, first 2 shown]
	v_add_f64_e32 v[52:53], v[52:53], v[6:7]
	s_delay_alu instid0(VALU_DEP_4) | instskip(NEXT) | instid1(VALU_DEP_3)
	v_add_f64_e64 v[62:63], v[64:65], -v[70:71]
	v_add_f64_e32 v[44:45], v[44:45], v[60:61]
	s_delay_alu instid0(VALU_DEP_3) | instskip(NEXT) | instid1(VALU_DEP_3)
	v_add_f64_e32 v[68:69], v[56:57], v[52:53]
	v_add_f64_e32 v[46:47], v[46:47], v[62:63]
	s_delay_alu instid0(VALU_DEP_2) | instskip(NEXT) | instid1(VALU_DEP_2)
	v_cvt_i32_f64_e32 v7, v[68:69]
	v_add_f64_e32 v[44:45], v[46:47], v[44:45]
	s_delay_alu instid0(VALU_DEP_2) | instskip(NEXT) | instid1(VALU_DEP_2)
	v_cvt_f64_i32_e32 v[66:67], v7
	v_add_f64_e32 v[42:43], v[42:43], v[44:45]
	s_delay_alu instid0(VALU_DEP_2) | instskip(NEXT) | instid1(VALU_DEP_2)
	v_add_f64_e64 v[52:53], v[52:53], -v[66:67]
	v_add_f64_e32 v[42:43], v[48:49], v[42:43]
	s_delay_alu instid0(VALU_DEP_2) | instskip(NEXT) | instid1(VALU_DEP_1)
	v_add_f64_e32 v[46:47], v[56:57], v[52:53]
	v_add_f64_e64 v[44:45], v[46:47], -v[52:53]
	v_cmp_le_f64_e64 s5, 0.5, v[46:47]
	s_delay_alu instid0(VALU_DEP_2) | instskip(NEXT) | instid1(VALU_DEP_2)
	v_add_f64_e64 v[44:45], v[56:57], -v[44:45]
	v_add_co_ci_u32_e64 v52, null, 0, v7, s5
	v_cndmask_b32_e64 v7, 0, 0x3ff00000, s5
	s_delay_alu instid0(VALU_DEP_3) | instskip(NEXT) | instid1(VALU_DEP_2)
	v_add_f64_e32 v[42:43], v[42:43], v[44:45]
	v_add_f64_e64 v[44:45], v[46:47], -v[6:7]
	s_delay_alu instid0(VALU_DEP_1) | instskip(NEXT) | instid1(VALU_DEP_1)
	v_add_f64_e32 v[46:47], v[44:45], v[42:43]
	v_mul_f64_e32 v[48:49], 0x3ff921fb54442d18, v[46:47]
	v_add_f64_e64 v[44:45], v[46:47], -v[44:45]
	s_delay_alu instid0(VALU_DEP_2) | instskip(NEXT) | instid1(VALU_DEP_2)
	v_fma_f64 v[54:55], v[46:47], s[12:13], -v[48:49]
	v_add_f64_e64 v[42:43], v[42:43], -v[44:45]
	s_delay_alu instid0(VALU_DEP_2) | instskip(NEXT) | instid1(VALU_DEP_1)
	v_fmac_f64_e32 v[54:55], 0x3c91a62633145c07, v[46:47]
	v_fmac_f64_e32 v[54:55], 0x3ff921fb54442d18, v[42:43]
	s_delay_alu instid0(VALU_DEP_1) | instskip(NEXT) | instid1(VALU_DEP_1)
	v_add_f64_e32 v[42:43], v[48:49], v[54:55]
	v_add_f64_e64 v[44:45], v[42:43], -v[48:49]
	s_delay_alu instid0(VALU_DEP_1)
	v_add_f64_e64 v[44:45], v[54:55], -v[44:45]
.LBB219_22:                             ;   in Loop: Header=BB219_4 Depth=1
	s_and_not1_saveexec_b32 s5, s24
	s_cbranch_execz .LBB219_24
; %bb.23:                               ;   in Loop: Header=BB219_4 Depth=1
	v_mul_f64_e32 v[42:43], 0x3fe45f306dc9c883, v[28:29]
	s_delay_alu instid0(VALU_DEP_1) | instskip(NEXT) | instid1(VALU_DEP_1)
	v_rndne_f64_e32 v[46:47], v[42:43]
	v_mul_f64_e32 v[42:43], 0xbc91a62633145c00, v[46:47]
	v_fmamk_f64 v[44:45], v[46:47], 0xbff921fb54442d18, v[28:29]
	s_delay_alu instid0(VALU_DEP_1) | instskip(NEXT) | instid1(VALU_DEP_1)
	v_add_f64_e32 v[48:49], v[44:45], v[42:43]
	v_add_f64_e64 v[52:53], v[44:45], -v[48:49]
	v_fmamk_f64 v[44:45], v[46:47], 0xbc91a62633145c00, v[44:45]
	s_delay_alu instid0(VALU_DEP_1) | instskip(NEXT) | instid1(VALU_DEP_3)
	v_add_f64_e64 v[48:49], v[48:49], -v[44:45]
	v_add_f64_e32 v[52:53], v[52:53], v[42:43]
	v_fmamk_f64 v[42:43], v[46:47], 0x3c91a62633145c00, v[42:43]
	s_delay_alu instid0(VALU_DEP_2) | instskip(SKIP_1) | instid1(VALU_DEP_2)
	v_add_f64_e32 v[48:49], v[48:49], v[52:53]
	v_cvt_i32_f64_e32 v52, v[46:47]
	v_add_f64_e64 v[48:49], v[48:49], -v[42:43]
	s_delay_alu instid0(VALU_DEP_1) | instskip(NEXT) | instid1(VALU_DEP_1)
	v_fmac_f64_e32 v[48:49], 0xb97b839a252049c0, v[46:47]
	v_add_f64_e32 v[42:43], v[44:45], v[48:49]
	s_delay_alu instid0(VALU_DEP_1) | instskip(NEXT) | instid1(VALU_DEP_1)
	v_add_f64_e64 v[44:45], v[42:43], -v[44:45]
	v_add_f64_e64 v[44:45], v[48:49], -v[44:45]
.LBB219_24:                             ;   in Loop: Header=BB219_4 Depth=1
	s_or_b32 exec_lo, exec_lo, s5
	s_delay_alu instid0(SALU_CYCLE_1)
	s_mov_b32 s24, exec_lo
                                        ; implicit-def: $vgpr53
                                        ; implicit-def: $vgpr46_vgpr47
                                        ; implicit-def: $vgpr48_vgpr49
	v_cmpx_ngt_f64_e32 0x41d00000, v[22:23]
	s_xor_b32 s24, exec_lo, s24
	s_cbranch_execnz .LBB219_30
; %bb.25:                               ;   in Loop: Header=BB219_4 Depth=1
	s_and_not1_saveexec_b32 s5, s24
	s_cbranch_execnz .LBB219_31
.LBB219_26:                             ;   in Loop: Header=BB219_4 Depth=1
	s_or_b32 exec_lo, exec_lo, s5
	s_and_saveexec_b32 s5, s4
	s_delay_alu instid0(SALU_CYCLE_1)
	s_xor_b32 s24, exec_lo, s5
	s_cbranch_execnz .LBB219_32
.LBB219_27:                             ;   in Loop: Header=BB219_4 Depth=1
	s_or_b32 exec_lo, exec_lo, s24
	s_and_saveexec_b32 s5, s3
	s_cbranch_execnz .LBB219_33
.LBB219_28:                             ;   in Loop: Header=BB219_4 Depth=1
	s_or_b32 exec_lo, exec_lo, s5
	s_and_saveexec_b32 s4, s2
	s_cbranch_execnz .LBB219_34
.LBB219_29:                             ;   in Loop: Header=BB219_4 Depth=1
	s_or_b32 exec_lo, exec_lo, s4
	s_and_saveexec_b32 s3, vcc_lo
	s_cbranch_execz .LBB219_3
	s_branch .LBB219_35
.LBB219_30:                             ;   in Loop: Header=BB219_4 Depth=1
	v_ldexp_f64 v[46:47], v[22:23], 0xffffff80
	v_cmp_le_f64_e64 s5, 0x7b000000, v[22:23]
	v_trig_preop_f64 v[48:49], v[22:23], 0
	v_trig_preop_f64 v[54:55], v[22:23], 1
	;; [unrolled: 1-line block ×3, first 2 shown]
	s_delay_alu instid0(VALU_DEP_4) | instskip(NEXT) | instid1(VALU_DEP_1)
	v_dual_cndmask_b32 v47, v23, v47, s5 :: v_dual_cndmask_b32 v46, v22, v46, s5
	v_mul_f64_e32 v[56:57], v[48:49], v[46:47]
	s_delay_alu instid0(VALU_DEP_4) | instskip(NEXT) | instid1(VALU_DEP_4)
	v_mul_f64_e32 v[58:59], v[54:55], v[46:47]
	v_mul_f64_e32 v[70:71], v[64:65], v[46:47]
	s_delay_alu instid0(VALU_DEP_3) | instskip(NEXT) | instid1(VALU_DEP_3)
	v_fma_f64 v[48:49], v[48:49], v[46:47], -v[56:57]
	v_fma_f64 v[54:55], v[54:55], v[46:47], -v[58:59]
	s_delay_alu instid0(VALU_DEP_3) | instskip(NEXT) | instid1(VALU_DEP_3)
	v_fma_f64 v[46:47], v[64:65], v[46:47], -v[70:71]
	v_add_f64_e32 v[60:61], v[58:59], v[48:49]
	s_delay_alu instid0(VALU_DEP_1) | instskip(SKIP_1) | instid1(VALU_DEP_2)
	v_add_f64_e64 v[62:63], v[60:61], -v[58:59]
	v_add_f64_e32 v[68:69], v[56:57], v[60:61]
	v_add_f64_e64 v[66:67], v[60:61], -v[62:63]
	v_add_f64_e64 v[48:49], v[48:49], -v[62:63]
	s_delay_alu instid0(VALU_DEP_3) | instskip(NEXT) | instid1(VALU_DEP_3)
	v_ldexp_f64 v[62:63], v[68:69], -2
	v_add_f64_e64 v[58:59], v[58:59], -v[66:67]
	v_add_f64_e32 v[66:67], v[70:71], v[54:55]
	s_delay_alu instid0(VALU_DEP_3) | instskip(NEXT) | instid1(VALU_DEP_3)
	v_cmp_neq_f64_e64 s5, 0x7ff00000, |v[62:63]|
	v_add_f64_e32 v[48:49], v[48:49], v[58:59]
	v_fract_f64_e32 v[58:59], v[62:63]
	s_delay_alu instid0(VALU_DEP_1) | instskip(NEXT) | instid1(VALU_DEP_1)
	v_ldexp_f64 v[58:59], v[58:59], 2
	v_dual_add_f64 v[56:57], v[68:69], -v[56:57] :: v_dual_cndmask_b32 v58, 0, v58, s5
	s_delay_alu instid0(VALU_DEP_1) | instskip(SKIP_1) | instid1(VALU_DEP_1)
	v_dual_add_f64 v[56:57], v[60:61], -v[56:57] :: v_dual_cndmask_b32 v59, 0, v59, s5
	v_add_f64_e32 v[60:61], v[66:67], v[48:49]
	v_add_f64_e32 v[62:63], v[56:57], v[60:61]
	v_add_f64_e64 v[72:73], v[60:61], -v[66:67]
	s_delay_alu instid0(VALU_DEP_2) | instskip(NEXT) | instid1(VALU_DEP_2)
	v_add_f64_e32 v[68:69], v[62:63], v[58:59]
	v_add_f64_e64 v[78:79], v[60:61], -v[72:73]
	v_add_f64_e64 v[48:49], v[48:49], -v[72:73]
	;; [unrolled: 1-line block ×3, first 2 shown]
	s_delay_alu instid0(VALU_DEP_4) | instskip(SKIP_1) | instid1(VALU_DEP_3)
	v_cmp_gt_f64_e64 s5, 0, v[68:69]
	v_add_f64_e64 v[68:69], v[66:67], -v[70:71]
	v_add_f64_e64 v[56:57], v[60:61], -v[56:57]
	s_delay_alu instid0(VALU_DEP_3) | instskip(NEXT) | instid1(VALU_DEP_3)
	v_cndmask_b32_e64 v7, 0, 0x40100000, s5
	v_add_f64_e64 v[76:77], v[66:67], -v[68:69]
	v_add_f64_e64 v[54:55], v[54:55], -v[68:69]
	;; [unrolled: 1-line block ×3, first 2 shown]
	s_delay_alu instid0(VALU_DEP_4) | instskip(NEXT) | instid1(VALU_DEP_4)
	v_add_f64_e32 v[58:59], v[58:59], v[6:7]
	v_add_f64_e64 v[68:69], v[70:71], -v[76:77]
	s_delay_alu instid0(VALU_DEP_3) | instskip(NEXT) | instid1(VALU_DEP_3)
	v_add_f64_e32 v[48:49], v[48:49], v[66:67]
	v_add_f64_e32 v[74:75], v[62:63], v[58:59]
	s_delay_alu instid0(VALU_DEP_3) | instskip(NEXT) | instid1(VALU_DEP_2)
	v_add_f64_e32 v[54:55], v[54:55], v[68:69]
	v_cvt_i32_f64_e32 v7, v[74:75]
	s_delay_alu instid0(VALU_DEP_2) | instskip(NEXT) | instid1(VALU_DEP_2)
	v_add_f64_e32 v[48:49], v[54:55], v[48:49]
	v_cvt_f64_i32_e32 v[72:73], v7
	s_delay_alu instid0(VALU_DEP_2) | instskip(NEXT) | instid1(VALU_DEP_2)
	v_add_f64_e32 v[46:47], v[46:47], v[48:49]
	v_add_f64_e64 v[58:59], v[58:59], -v[72:73]
	s_delay_alu instid0(VALU_DEP_2) | instskip(NEXT) | instid1(VALU_DEP_2)
	v_add_f64_e32 v[46:47], v[56:57], v[46:47]
	v_add_f64_e32 v[54:55], v[62:63], v[58:59]
	s_delay_alu instid0(VALU_DEP_1) | instskip(SKIP_1) | instid1(VALU_DEP_2)
	v_add_f64_e64 v[48:49], v[54:55], -v[58:59]
	v_cmp_le_f64_e64 s5, 0.5, v[54:55]
	v_add_f64_e64 v[48:49], v[62:63], -v[48:49]
	s_delay_alu instid0(VALU_DEP_2) | instskip(SKIP_1) | instid1(VALU_DEP_3)
	v_add_co_ci_u32_e64 v53, null, 0, v7, s5
	v_cndmask_b32_e64 v7, 0, 0x3ff00000, s5
	v_add_f64_e32 v[46:47], v[46:47], v[48:49]
	s_delay_alu instid0(VALU_DEP_2) | instskip(NEXT) | instid1(VALU_DEP_1)
	v_add_f64_e64 v[48:49], v[54:55], -v[6:7]
	v_add_f64_e32 v[54:55], v[48:49], v[46:47]
	s_delay_alu instid0(VALU_DEP_1) | instskip(SKIP_1) | instid1(VALU_DEP_2)
	v_mul_f64_e32 v[56:57], 0x3ff921fb54442d18, v[54:55]
	v_add_f64_e64 v[48:49], v[54:55], -v[48:49]
	v_fma_f64 v[58:59], v[54:55], s[12:13], -v[56:57]
	s_delay_alu instid0(VALU_DEP_2) | instskip(NEXT) | instid1(VALU_DEP_2)
	v_add_f64_e64 v[46:47], v[46:47], -v[48:49]
	v_fmac_f64_e32 v[58:59], 0x3c91a62633145c07, v[54:55]
	s_delay_alu instid0(VALU_DEP_1) | instskip(NEXT) | instid1(VALU_DEP_1)
	v_fmac_f64_e32 v[58:59], 0x3ff921fb54442d18, v[46:47]
	v_add_f64_e32 v[46:47], v[56:57], v[58:59]
	s_delay_alu instid0(VALU_DEP_1) | instskip(NEXT) | instid1(VALU_DEP_1)
	v_add_f64_e64 v[48:49], v[46:47], -v[56:57]
	v_add_f64_e64 v[48:49], v[58:59], -v[48:49]
	s_and_not1_saveexec_b32 s5, s24
	s_cbranch_execz .LBB219_26
.LBB219_31:                             ;   in Loop: Header=BB219_4 Depth=1
	v_mul_f64_e32 v[46:47], 0x3fe45f306dc9c883, v[22:23]
	s_delay_alu instid0(VALU_DEP_1) | instskip(NEXT) | instid1(VALU_DEP_1)
	v_rndne_f64_e32 v[54:55], v[46:47]
	v_mul_f64_e32 v[46:47], 0xbc91a62633145c00, v[54:55]
	v_fmamk_f64 v[48:49], v[54:55], 0xbff921fb54442d18, v[22:23]
	v_cvt_i32_f64_e32 v53, v[54:55]
	s_delay_alu instid0(VALU_DEP_2) | instskip(NEXT) | instid1(VALU_DEP_1)
	v_add_f64_e32 v[56:57], v[48:49], v[46:47]
	v_add_f64_e64 v[58:59], v[48:49], -v[56:57]
	v_fmamk_f64 v[48:49], v[54:55], 0xbc91a62633145c00, v[48:49]
	s_delay_alu instid0(VALU_DEP_1) | instskip(NEXT) | instid1(VALU_DEP_3)
	v_add_f64_e64 v[56:57], v[56:57], -v[48:49]
	v_add_f64_e32 v[58:59], v[58:59], v[46:47]
	v_fmamk_f64 v[46:47], v[54:55], 0x3c91a62633145c00, v[46:47]
	s_delay_alu instid0(VALU_DEP_2) | instskip(NEXT) | instid1(VALU_DEP_1)
	v_add_f64_e32 v[56:57], v[56:57], v[58:59]
	v_add_f64_e64 v[56:57], v[56:57], -v[46:47]
	s_delay_alu instid0(VALU_DEP_1) | instskip(NEXT) | instid1(VALU_DEP_1)
	v_fmac_f64_e32 v[56:57], 0xb97b839a252049c0, v[54:55]
	v_add_f64_e32 v[46:47], v[48:49], v[56:57]
	s_delay_alu instid0(VALU_DEP_1) | instskip(NEXT) | instid1(VALU_DEP_1)
	v_add_f64_e64 v[48:49], v[46:47], -v[48:49]
	v_add_f64_e64 v[48:49], v[56:57], -v[48:49]
	s_or_b32 exec_lo, exec_lo, s5
	s_and_saveexec_b32 s5, s4
	s_delay_alu instid0(SALU_CYCLE_1)
	s_xor_b32 s24, exec_lo, s5
	s_cbranch_execz .LBB219_27
.LBB219_32:                             ;   in Loop: Header=BB219_4 Depth=1
	s_delay_alu instid0(VALU_DEP_4) | instskip(SKIP_2) | instid1(VALU_DEP_3)
	v_dual_mul_f64 v[60:61], 0.5, v[36:37] :: v_dual_bitop2_b32 v7, 1, v50 bitop3:0x40
	v_cmp_lg_f64_e64 s5, 0x7ff00000, v[32:33]
	v_lshlrev_b32_e32 v33, 30, v50
	v_cmp_eq_u32_e64 s4, 0, v7
	v_mul_f64_e32 v[54:55], v[34:35], v[34:35]
	s_delay_alu instid0(VALU_DEP_1) | instskip(SKIP_2) | instid1(VALU_DEP_1)
	v_mul_f64_e32 v[56:57], 0.5, v[54:55]
	v_mul_f64_e64 v[62:63], v[34:35], -v[54:55]
	v_fmamk_f64 v[66:67], v[54:55], 0x3de5e0b2f9a43bb8, v[20:21]
	v_fmaak_f64 v[66:67], v[54:55], v[66:67], 0x3ec71de3796cde01
	s_delay_alu instid0(VALU_DEP_1) | instskip(NEXT) | instid1(VALU_DEP_1)
	v_fmaak_f64 v[66:67], v[54:55], v[66:67], 0xbf2a01a019e83e5c
	v_fmaak_f64 v[66:67], v[54:55], v[66:67], 0x3f81111111110bb3
	v_add_f64_e64 v[58:59], -v[56:57], 1.0
	s_delay_alu instid0(VALU_DEP_2) | instskip(SKIP_1) | instid1(VALU_DEP_3)
	v_fmac_f64_e32 v[60:61], v[62:63], v[66:67]
	v_mul_f64_e32 v[66:67], v[54:55], v[54:55]
	v_add_f64_e64 v[64:65], -v[58:59], 1.0
	s_delay_alu instid0(VALU_DEP_3) | instskip(NEXT) | instid1(VALU_DEP_2)
	v_fma_f64 v[60:61], v[54:55], v[60:61], -v[36:37]
	v_add_f64_e64 v[56:57], v[64:65], -v[56:57]
	v_fmamk_f64 v[64:65], v[54:55], 0xbda907db46cc5e42, v[8:9]
	s_delay_alu instid0(VALU_DEP_3) | instskip(NEXT) | instid1(VALU_DEP_3)
	v_fmac_f64_e32 v[60:61], 0xbfc5555555555555, v[62:63]
	v_fma_f64 v[36:37], v[34:35], -v[36:37], v[56:57]
	s_delay_alu instid0(VALU_DEP_3) | instskip(NEXT) | instid1(VALU_DEP_3)
	v_fmaak_f64 v[56:57], v[54:55], v[64:65], 0xbe927e4fa17f65f6
	v_add_f64_e64 v[34:35], v[34:35], -v[60:61]
	s_delay_alu instid0(VALU_DEP_2) | instskip(NEXT) | instid1(VALU_DEP_1)
	v_fmaak_f64 v[56:57], v[54:55], v[56:57], 0x3efa01a019f4ec90
	v_fmaak_f64 v[56:57], v[54:55], v[56:57], 0xbf56c16c16c16967
	s_delay_alu instid0(VALU_DEP_1) | instskip(NEXT) | instid1(VALU_DEP_1)
	v_fmaak_f64 v[54:55], v[54:55], v[56:57], 0x3fa5555555555555
	v_fmac_f64_e32 v[36:37], v[66:67], v[54:55]
	v_xor_b32_e32 v32, 0x80000000, v35
	s_delay_alu instid0(VALU_DEP_2) | instskip(NEXT) | instid1(VALU_DEP_1)
	v_add_f64_e32 v[36:37], v[58:59], v[36:37]
	v_dual_cndmask_b32 v32, v32, v37, s4 :: v_dual_cndmask_b32 v7, v34, v36, s4
	s_delay_alu instid0(VALU_DEP_1) | instskip(NEXT) | instid1(VALU_DEP_2)
	v_bitop3_b32 v33, v32, v33, 0x80000000 bitop3:0x78
	v_cndmask_b32_e64 v32, 0, v7, s5
	s_delay_alu instid0(VALU_DEP_2)
	v_cndmask_b32_e64 v33, 0x7ff80000, v33, s5
	global_store_b64 v[12:13], v[32:33], off
	s_wait_xcnt 0x0
	s_or_b32 exec_lo, exec_lo, s24
	s_and_saveexec_b32 s5, s3
	s_cbranch_execz .LBB219_28
.LBB219_33:                             ;   in Loop: Header=BB219_4 Depth=1
	v_mul_f64_e32 v[32:33], v[38:39], v[38:39]
	v_cmp_lg_f64_e64 s4, 0x7ff00000, v[30:31]
	v_dual_lshlrev_b32 v31, 30, v51 :: v_dual_bitop2_b32 v7, 1, v51 bitop3:0x40
	s_delay_alu instid0(VALU_DEP_1) | instskip(SKIP_4) | instid1(VALU_DEP_1)
	v_cmp_eq_u32_e64 s3, 0, v7
	v_mul_f64_e32 v[54:55], 0.5, v[40:41]
	v_mul_f64_e32 v[34:35], 0.5, v[32:33]
	v_mul_f64_e64 v[56:57], v[38:39], -v[32:33]
	v_fmamk_f64 v[60:61], v[32:33], 0x3de5e0b2f9a43bb8, v[20:21]
	v_fmaak_f64 v[60:61], v[32:33], v[60:61], 0x3ec71de3796cde01
	s_delay_alu instid0(VALU_DEP_1) | instskip(NEXT) | instid1(VALU_DEP_1)
	v_fmaak_f64 v[60:61], v[32:33], v[60:61], 0xbf2a01a019e83e5c
	v_fmaak_f64 v[60:61], v[32:33], v[60:61], 0x3f81111111110bb3
	v_add_f64_e64 v[36:37], -v[34:35], 1.0
	s_delay_alu instid0(VALU_DEP_2) | instskip(SKIP_1) | instid1(VALU_DEP_3)
	v_fmac_f64_e32 v[54:55], v[56:57], v[60:61]
	v_mul_f64_e32 v[60:61], v[32:33], v[32:33]
	v_add_f64_e64 v[58:59], -v[36:37], 1.0
	s_delay_alu instid0(VALU_DEP_3) | instskip(NEXT) | instid1(VALU_DEP_2)
	v_fma_f64 v[54:55], v[32:33], v[54:55], -v[40:41]
	v_add_f64_e64 v[34:35], v[58:59], -v[34:35]
	v_fmamk_f64 v[58:59], v[32:33], 0xbda907db46cc5e42, v[8:9]
	s_delay_alu instid0(VALU_DEP_3) | instskip(NEXT) | instid1(VALU_DEP_3)
	v_fmac_f64_e32 v[54:55], 0xbfc5555555555555, v[56:57]
	v_fma_f64 v[34:35], v[38:39], -v[40:41], v[34:35]
	s_delay_alu instid0(VALU_DEP_3) | instskip(NEXT) | instid1(VALU_DEP_1)
	v_fmaak_f64 v[40:41], v[32:33], v[58:59], 0xbe927e4fa17f65f6
	v_fmaak_f64 v[40:41], v[32:33], v[40:41], 0x3efa01a019f4ec90
	s_delay_alu instid0(VALU_DEP_1) | instskip(NEXT) | instid1(VALU_DEP_1)
	v_fmaak_f64 v[40:41], v[32:33], v[40:41], 0xbf56c16c16c16967
	v_fmaak_f64 v[32:33], v[32:33], v[40:41], 0x3fa5555555555555
	s_delay_alu instid0(VALU_DEP_1) | instskip(SKIP_1) | instid1(VALU_DEP_2)
	v_fmac_f64_e32 v[34:35], v[60:61], v[32:33]
	v_add_f64_e64 v[32:33], v[38:39], -v[54:55]
	v_add_f64_e32 v[34:35], v[36:37], v[34:35]
	s_delay_alu instid0(VALU_DEP_2) | instskip(NEXT) | instid1(VALU_DEP_1)
	v_xor_b32_e32 v30, 0x80000000, v33
	v_dual_cndmask_b32 v30, v30, v35, s3 :: v_dual_cndmask_b32 v7, v32, v34, s3
	s_delay_alu instid0(VALU_DEP_1) | instskip(NEXT) | instid1(VALU_DEP_2)
	v_bitop3_b32 v31, v30, v31, 0x80000000 bitop3:0x78
	v_cndmask_b32_e64 v30, 0, v7, s4
	s_delay_alu instid0(VALU_DEP_2)
	v_cndmask_b32_e64 v31, 0x7ff80000, v31, s4
	global_store_b64 v[18:19], v[30:31], off
	s_wait_xcnt 0x0
	s_or_b32 exec_lo, exec_lo, s5
	s_and_saveexec_b32 s4, s2
	s_cbranch_execz .LBB219_29
.LBB219_34:                             ;   in Loop: Header=BB219_4 Depth=1
	v_dual_mul_f64 v[30:31], v[42:43], v[42:43] :: v_dual_bitop2_b32 v7, 1, v52 bitop3:0x40
	v_cmp_lg_f64_e64 s3, 0x7ff00000, v[28:29]
	s_delay_alu instid0(VALU_DEP_4) | instskip(SKIP_1) | instid1(VALU_DEP_4)
	v_mul_f64_e32 v[36:37], 0.5, v[44:45]
	v_lshlrev_b32_e32 v29, 30, v52
	v_cmp_eq_u32_e64 s2, 0, v7
	v_mul_f64_e32 v[32:33], 0.5, v[30:31]
	v_mul_f64_e64 v[38:39], v[42:43], -v[30:31]
	v_fmamk_f64 v[50:51], v[30:31], 0x3de5e0b2f9a43bb8, v[20:21]
	s_delay_alu instid0(VALU_DEP_1) | instskip(NEXT) | instid1(VALU_DEP_1)
	v_fmaak_f64 v[50:51], v[30:31], v[50:51], 0x3ec71de3796cde01
	v_fmaak_f64 v[50:51], v[30:31], v[50:51], 0xbf2a01a019e83e5c
	s_delay_alu instid0(VALU_DEP_1) | instskip(SKIP_1) | instid1(VALU_DEP_2)
	v_fmaak_f64 v[50:51], v[30:31], v[50:51], 0x3f81111111110bb3
	v_add_f64_e64 v[34:35], -v[32:33], 1.0
	v_fmac_f64_e32 v[36:37], v[38:39], v[50:51]
	v_mul_f64_e32 v[50:51], v[30:31], v[30:31]
	s_delay_alu instid0(VALU_DEP_3) | instskip(NEXT) | instid1(VALU_DEP_3)
	v_add_f64_e64 v[40:41], -v[34:35], 1.0
	v_fma_f64 v[36:37], v[30:31], v[36:37], -v[44:45]
	s_delay_alu instid0(VALU_DEP_2) | instskip(SKIP_1) | instid1(VALU_DEP_3)
	v_add_f64_e64 v[32:33], v[40:41], -v[32:33]
	v_fmamk_f64 v[40:41], v[30:31], 0xbda907db46cc5e42, v[8:9]
	v_fmac_f64_e32 v[36:37], 0xbfc5555555555555, v[38:39]
	s_delay_alu instid0(VALU_DEP_2) | instskip(NEXT) | instid1(VALU_DEP_1)
	v_fmaak_f64 v[40:41], v[30:31], v[40:41], 0xbe927e4fa17f65f6
	v_fmaak_f64 v[40:41], v[30:31], v[40:41], 0x3efa01a019f4ec90
	s_delay_alu instid0(VALU_DEP_1) | instskip(NEXT) | instid1(VALU_DEP_1)
	v_fmaak_f64 v[40:41], v[30:31], v[40:41], 0xbf56c16c16c16967
	v_fmaak_f64 v[30:31], v[30:31], v[40:41], 0x3fa5555555555555
	v_fma_f64 v[32:33], v[42:43], -v[44:45], v[32:33]
	s_delay_alu instid0(VALU_DEP_1) | instskip(SKIP_1) | instid1(VALU_DEP_2)
	v_fmac_f64_e32 v[32:33], v[50:51], v[30:31]
	v_add_f64_e64 v[30:31], v[42:43], -v[36:37]
	v_add_f64_e32 v[32:33], v[34:35], v[32:33]
	s_delay_alu instid0(VALU_DEP_2) | instskip(NEXT) | instid1(VALU_DEP_1)
	v_xor_b32_e32 v28, 0x80000000, v31
	v_dual_cndmask_b32 v28, v28, v33, s2 :: v_dual_cndmask_b32 v7, v30, v32, s2
	s_delay_alu instid0(VALU_DEP_1) | instskip(NEXT) | instid1(VALU_DEP_2)
	v_bitop3_b32 v29, v28, v29, 0x80000000 bitop3:0x78
	v_cndmask_b32_e64 v28, 0, v7, s3
	s_delay_alu instid0(VALU_DEP_2)
	v_cndmask_b32_e64 v29, 0x7ff80000, v29, s3
	global_store_b64 v[26:27], v[28:29], off
	s_wait_xcnt 0x0
	s_or_b32 exec_lo, exec_lo, s4
	s_and_saveexec_b32 s3, vcc_lo
	s_cbranch_execz .LBB219_3
.LBB219_35:                             ;   in Loop: Header=BB219_4 Depth=1
	v_dual_mul_f64 v[26:27], v[46:47], v[46:47] :: v_dual_bitop2_b32 v7, 1, v53 bitop3:0x40
	v_cmp_lg_f64_e64 s2, 0x7ff00000, v[22:23]
	s_delay_alu instid0(VALU_DEP_3) | instskip(SKIP_1) | instid1(VALU_DEP_4)
	v_mul_f64_e32 v[32:33], 0.5, v[48:49]
	v_lshlrev_b32_e32 v23, 30, v53
	v_cmp_eq_u32_e32 vcc_lo, 0, v7
	v_mul_f64_e32 v[28:29], 0.5, v[26:27]
	v_mul_f64_e64 v[34:35], v[46:47], -v[26:27]
	v_fmamk_f64 v[38:39], v[26:27], 0x3de5e0b2f9a43bb8, v[20:21]
	s_delay_alu instid0(VALU_DEP_1) | instskip(NEXT) | instid1(VALU_DEP_1)
	v_fmaak_f64 v[38:39], v[26:27], v[38:39], 0x3ec71de3796cde01
	v_fmaak_f64 v[38:39], v[26:27], v[38:39], 0xbf2a01a019e83e5c
	s_delay_alu instid0(VALU_DEP_1) | instskip(SKIP_1) | instid1(VALU_DEP_2)
	v_fmaak_f64 v[38:39], v[26:27], v[38:39], 0x3f81111111110bb3
	v_add_f64_e64 v[30:31], -v[28:29], 1.0
	v_fmac_f64_e32 v[32:33], v[34:35], v[38:39]
	v_mul_f64_e32 v[38:39], v[26:27], v[26:27]
	s_delay_alu instid0(VALU_DEP_3) | instskip(NEXT) | instid1(VALU_DEP_3)
	v_add_f64_e64 v[36:37], -v[30:31], 1.0
	v_fma_f64 v[32:33], v[26:27], v[32:33], -v[48:49]
	s_delay_alu instid0(VALU_DEP_2) | instskip(SKIP_1) | instid1(VALU_DEP_3)
	v_add_f64_e64 v[28:29], v[36:37], -v[28:29]
	v_fmamk_f64 v[36:37], v[26:27], 0xbda907db46cc5e42, v[8:9]
	v_fmac_f64_e32 v[32:33], 0xbfc5555555555555, v[34:35]
	s_delay_alu instid0(VALU_DEP_2) | instskip(NEXT) | instid1(VALU_DEP_1)
	v_fmaak_f64 v[36:37], v[26:27], v[36:37], 0xbe927e4fa17f65f6
	v_fmaak_f64 v[36:37], v[26:27], v[36:37], 0x3efa01a019f4ec90
	s_delay_alu instid0(VALU_DEP_1) | instskip(NEXT) | instid1(VALU_DEP_1)
	v_fmaak_f64 v[36:37], v[26:27], v[36:37], 0xbf56c16c16c16967
	v_fmaak_f64 v[26:27], v[26:27], v[36:37], 0x3fa5555555555555
	v_fma_f64 v[28:29], v[46:47], -v[48:49], v[28:29]
	s_delay_alu instid0(VALU_DEP_1) | instskip(SKIP_1) | instid1(VALU_DEP_2)
	v_fmac_f64_e32 v[28:29], v[38:39], v[26:27]
	v_add_f64_e64 v[26:27], v[46:47], -v[32:33]
	v_add_f64_e32 v[28:29], v[30:31], v[28:29]
	s_delay_alu instid0(VALU_DEP_2) | instskip(NEXT) | instid1(VALU_DEP_1)
	v_xor_b32_e32 v22, 0x80000000, v27
	v_cndmask_b32_e32 v22, v22, v29, vcc_lo
	s_delay_alu instid0(VALU_DEP_3) | instskip(NEXT) | instid1(VALU_DEP_2)
	v_cndmask_b32_e32 v7, v26, v28, vcc_lo
	v_bitop3_b32 v23, v22, v23, 0x80000000 bitop3:0x78
	s_delay_alu instid0(VALU_DEP_2) | instskip(NEXT) | instid1(VALU_DEP_2)
	v_cndmask_b32_e64 v22, 0, v7, s2
	v_cndmask_b32_e64 v23, 0x7ff80000, v23, s2
	global_store_b64 v[24:25], v[22:23], off
	s_branch .LBB219_3
.LBB219_36:
	s_cbranch_execz .LBB219_38
	s_branch .LBB219_57
.LBB219_37:
.LBB219_38:
	v_min_i64 v[10:11], 0x10000, s[10:11]
	v_dual_mov_b32 v12, 0 :: v_dual_lshlrev_b32 v2, 2, v0
	s_mov_b32 s2, exec_lo
	s_delay_alu instid0(VALU_DEP_1) | instskip(NEXT) | instid1(VALU_DEP_1)
	v_mov_b32_e32 v3, v12
	v_cmpx_lt_i64_e64 v[2:3], v[10:11]
	s_cbranch_execz .LBB219_57
; %bb.39:
	s_load_b32 s2, s[0:1], 0xd3c
	v_dual_mov_b32 v3, v12 :: v_dual_lshlrev_b32 v2, 5, v0
	s_wait_xcnt 0x0
	s_add_nc_u64 s[0:1], s[6:7], s[8:9]
	v_mov_b64_e32 v[14:15], 0x3e21eeb69037ab78
	v_mov_b64_e32 v[16:17], 0xbe5ae600b42fdfa7
	v_mov_b32_e32 v1, v12
	v_add_nc_u64_e32 v[2:3], s[0:1], v[2:3]
	s_mov_b32 s15, 0
	s_mov_b64 s[8:9], 0x3ff921fb54442d18
	s_mov_b64 s[10:11], 0x3fe45f306dc9c883
	;; [unrolled: 1-line block ×3, first 2 shown]
	s_mov_b32 s17, s15
	s_mov_b32 s7, s15
	v_add_nc_u64_e32 v[18:19], 16, v[2:3]
                                        ; implicit-def: $vgpr2_vgpr3
                                        ; implicit-def: $vgpr2_vgpr3
	;; [unrolled: 1-line block ×7, first 2 shown]
	s_wait_kmcnt 0x0
	s_and_b32 s14, s2, 0xffff
	s_delay_alu instid0(SALU_CYCLE_1)
	s_lshl_b32 s16, s14, 5
	s_branch .LBB219_41
.LBB219_40:                             ;   in Loop: Header=BB219_41 Depth=1
	s_or_b32 exec_lo, exec_lo, s0
	v_dual_mul_f64 v[40:41], v[28:29], v[28:29] :: v_dual_bitop2_b32 v39, 1, v38 bitop3:0x40
	v_mul_f64_e32 v[50:51], 0.5, v[30:31]
	v_cmp_class_f64_e64 s4, v[6:7], 0x1f8
	v_cmp_class_f64_e64 s6, v[4:5], 0x1f8
	v_mul_f64_e32 v[48:49], v[24:25], v[24:25]
	v_cmp_eq_u32_e32 vcc_lo, 0, v39
	v_cmp_class_f64_e64 s0, v[2:3], 0x1f8
	v_lshlrev_b32_e32 v2, 30, v38
	v_mul_f64_e32 v[58:59], 0.5, v[26:27]
	v_cmp_class_f64_e64 s2, v[8:9], 0x1f8
	v_dual_mul_f64 v[60:61], 0.5, v[22:23] :: v_dual_lshlrev_b32 v4, 30, v37
	v_add_nc_u64_e32 v[0:1], s[14:15], v[0:1]
	v_lshlrev_b32_e32 v5, 30, v36
	v_mul_f64_e32 v[42:43], 0.5, v[40:41]
	v_mul_f64_e64 v[52:53], v[28:29], -v[40:41]
	v_fmamk_f64 v[54:55], v[40:41], 0x3de5e0b2f9a43bb8, v[16:17]
	v_fmamk_f64 v[64:65], v[40:41], 0xbda907db46cc5e42, v[14:15]
	v_mul_f64_e32 v[62:63], v[40:41], v[40:41]
	v_mul_f64_e32 v[56:57], 0.5, v[48:49]
	v_mul_f64_e64 v[66:67], v[24:25], -v[48:49]
	v_fmamk_f64 v[68:69], v[48:49], 0x3de5e0b2f9a43bb8, v[16:17]
	v_fmaak_f64 v[54:55], v[40:41], v[54:55], 0x3ec71de3796cde01
	v_fmaak_f64 v[64:65], v[40:41], v[64:65], 0xbe927e4fa17f65f6
	s_delay_alu instid0(VALU_DEP_3) | instskip(NEXT) | instid1(VALU_DEP_3)
	v_fmaak_f64 v[68:69], v[48:49], v[68:69], 0x3ec71de3796cde01
	v_fmaak_f64 v[54:55], v[40:41], v[54:55], 0xbf2a01a019e83e5c
	s_delay_alu instid0(VALU_DEP_3) | instskip(NEXT) | instid1(VALU_DEP_3)
	;; [unrolled: 3-line block ×3, first 2 shown]
	v_fmaak_f64 v[54:55], v[40:41], v[54:55], 0x3f81111111110bb3
	v_fmaak_f64 v[64:65], v[40:41], v[64:65], 0xbf56c16c16c16967
	s_delay_alu instid0(VALU_DEP_3) | instskip(NEXT) | instid1(VALU_DEP_2)
	v_fmaak_f64 v[68:69], v[48:49], v[68:69], 0x3f81111111110bb3
	v_fmaak_f64 v[64:65], v[40:41], v[64:65], 0x3fa5555555555555
	v_add_f64_e64 v[44:45], -v[42:43], 1.0
	v_fmac_f64_e32 v[50:51], v[52:53], v[54:55]
	v_mul_f64_e32 v[54:55], v[32:33], v[32:33]
	v_add_f64_e64 v[72:73], -v[56:57], 1.0
	s_delay_alu instid0(VALU_DEP_4) | instskip(NEXT) | instid1(VALU_DEP_1)
	v_add_f64_e64 v[46:47], -v[44:45], 1.0
	v_add_f64_e64 v[42:43], v[46:47], -v[42:43]
	v_mul_f64_e32 v[46:47], v[20:21], v[20:21]
	s_delay_alu instid0(VALU_DEP_2) | instskip(SKIP_1) | instid1(VALU_DEP_3)
	v_fma_f64 v[42:43], v[28:29], -v[30:31], v[42:43]
	v_fma_f64 v[30:31], v[40:41], v[50:51], -v[30:31]
	v_mul_f64_e32 v[70:71], 0.5, v[46:47]
	v_fmamk_f64 v[76:77], v[46:47], 0x3de5e0b2f9a43bb8, v[16:17]
	v_mul_f64_e32 v[40:41], 0.5, v[34:35]
	s_delay_alu instid0(VALU_DEP_2) | instskip(NEXT) | instid1(VALU_DEP_1)
	v_fmaak_f64 v[76:77], v[46:47], v[76:77], 0x3ec71de3796cde01
	v_fmaak_f64 v[76:77], v[46:47], v[76:77], 0xbf2a01a019e83e5c
	s_delay_alu instid0(VALU_DEP_1) | instskip(SKIP_4) | instid1(VALU_DEP_2)
	v_fmaak_f64 v[50:51], v[46:47], v[76:77], 0x3f81111111110bb3
	v_mul_f64_e32 v[76:77], 0.5, v[54:55]
	v_fmac_f64_e32 v[42:43], v[62:63], v[64:65]
	v_fmac_f64_e32 v[30:31], 0xbfc5555555555555, v[52:53]
	v_add_f64_e64 v[64:65], -v[72:73], 1.0
	v_add_f64_e64 v[28:29], v[28:29], -v[30:31]
	s_delay_alu instid0(VALU_DEP_4)
	v_dual_add_f64 v[30:31], v[44:45], v[42:43] :: v_dual_bitop2_b32 v42, 1, v13 bitop3:0x40
	v_fmac_f64_e32 v[58:59], v[66:67], v[68:69]
	v_dual_mul_f64 v[68:69], v[32:33], -v[54:55] :: v_dual_lshlrev_b32 v13, 30, v13
	v_add_f64_e64 v[62:63], -v[70:71], 1.0
	v_add_f64_e64 v[56:57], v[64:65], -v[56:57]
	v_add_f64_e64 v[64:65], -v[76:77], 1.0
	v_cmp_eq_u32_e64 s5, 0, v42
	v_xor_b32_e32 v6, 0x80000000, v29
	v_cndmask_b32_e32 v28, v28, v30, vcc_lo
	v_mul_f64_e64 v[74:75], v[20:21], -v[46:47]
	v_fma_f64 v[58:59], v[48:49], v[58:59], -v[26:27]
	s_delay_alu instid0(VALU_DEP_4) | instskip(SKIP_2) | instid1(VALU_DEP_1)
	v_cndmask_b32_e32 v6, v6, v31, vcc_lo
	v_fma_f64 v[26:27], v[24:25], -v[26:27], v[56:57]
	v_fmamk_f64 v[56:57], v[46:47], 0xbda907db46cc5e42, v[14:15]
	v_fmaak_f64 v[56:57], v[46:47], v[56:57], 0xbe927e4fa17f65f6
	s_delay_alu instid0(VALU_DEP_1) | instskip(NEXT) | instid1(VALU_DEP_1)
	v_fmaak_f64 v[56:57], v[46:47], v[56:57], 0x3efa01a019f4ec90
	v_fmaak_f64 v[56:57], v[46:47], v[56:57], 0xbf56c16c16c16967
	v_fmac_f64_e32 v[60:61], v[74:75], v[50:51]
	v_fmamk_f64 v[50:51], v[54:55], 0x3de5e0b2f9a43bb8, v[16:17]
	s_delay_alu instid0(VALU_DEP_3) | instskip(SKIP_1) | instid1(VALU_DEP_3)
	v_fmaak_f64 v[56:57], v[46:47], v[56:57], 0x3fa5555555555555
	v_fmac_f64_e32 v[58:59], 0xbfc5555555555555, v[66:67]
	v_fmaak_f64 v[50:51], v[54:55], v[50:51], 0x3ec71de3796cde01
	s_delay_alu instid0(VALU_DEP_1) | instskip(NEXT) | instid1(VALU_DEP_1)
	v_fmaak_f64 v[50:51], v[54:55], v[50:51], 0xbf2a01a019e83e5c
	v_fmaak_f64 v[50:51], v[54:55], v[50:51], 0x3f81111111110bb3
	s_delay_alu instid0(VALU_DEP_1) | instskip(SKIP_4) | instid1(VALU_DEP_4)
	v_fmac_f64_e32 v[40:41], v[68:69], v[50:51]
	v_add_f64_e64 v[50:51], -v[62:63], 1.0
	v_fma_f64 v[60:61], v[46:47], v[60:61], -v[22:23]
	v_mul_f64_e32 v[46:47], v[46:47], v[46:47]
	v_add_f64_e64 v[24:25], v[24:25], -v[58:59]
	v_add_f64_e64 v[50:51], v[50:51], -v[70:71]
	v_add_f64_e64 v[70:71], -v[64:65], 1.0
	v_fmac_f64_e32 v[60:61], 0xbfc5555555555555, v[74:75]
	s_delay_alu instid0(VALU_DEP_4) | instskip(NEXT) | instid1(VALU_DEP_4)
	v_xor_b32_e32 v8, 0x80000000, v25
	v_fma_f64 v[22:23], v[20:21], -v[22:23], v[50:51]
	s_delay_alu instid0(VALU_DEP_3) | instskip(NEXT) | instid1(VALU_DEP_2)
	v_add_f64_e64 v[20:21], v[20:21], -v[60:61]
	v_fmac_f64_e32 v[22:23], v[46:47], v[56:57]
	s_delay_alu instid0(VALU_DEP_1) | instskip(SKIP_2) | instid1(VALU_DEP_1)
	v_add_f64_e32 v[22:23], v[62:63], v[22:23]
	v_add_f64_e64 v[70:71], v[70:71], -v[76:77]
	v_fmamk_f64 v[76:77], v[48:49], 0xbda907db46cc5e42, v[14:15]
	v_fmaak_f64 v[76:77], v[48:49], v[76:77], 0xbe927e4fa17f65f6
	s_delay_alu instid0(VALU_DEP_1) | instskip(NEXT) | instid1(VALU_DEP_1)
	v_fmaak_f64 v[76:77], v[48:49], v[76:77], 0x3efa01a019f4ec90
	v_fmaak_f64 v[76:77], v[48:49], v[76:77], 0xbf56c16c16c16967
	s_delay_alu instid0(VALU_DEP_1) | instskip(SKIP_1) | instid1(VALU_DEP_1)
	v_fmaak_f64 v[76:77], v[48:49], v[76:77], 0x3fa5555555555555
	v_mul_f64_e32 v[48:49], v[48:49], v[48:49]
	v_fmac_f64_e32 v[26:27], v[48:49], v[76:77]
	s_delay_alu instid0(VALU_DEP_1) | instskip(SKIP_2) | instid1(VALU_DEP_2)
	v_add_f64_e32 v[26:27], v[72:73], v[26:27]
	v_fma_f64 v[40:41], v[54:55], v[40:41], -v[34:35]
	v_fma_f64 v[34:35], v[32:33], -v[34:35], v[70:71]
	v_fmac_f64_e32 v[40:41], 0xbfc5555555555555, v[68:69]
	s_delay_alu instid0(VALU_DEP_1) | instskip(SKIP_2) | instid1(VALU_DEP_2)
	v_add_f64_e64 v[32:33], v[32:33], -v[40:41]
	v_and_b32_e32 v40, 1, v37
	v_and_b32_e32 v41, 1, v36
	v_cmp_eq_u32_e64 s1, 0, v40
	s_delay_alu instid0(VALU_DEP_2) | instskip(NEXT) | instid1(VALU_DEP_2)
	v_cmp_eq_u32_e64 s3, 0, v41
	v_cndmask_b32_e64 v3, v24, v26, s1
	v_cndmask_b32_e64 v8, v8, v27, s1
	s_delay_alu instid0(VALU_DEP_3) | instskip(SKIP_2) | instid1(VALU_DEP_4)
	v_cndmask_b32_e64 v9, v20, v22, s3
	v_xor_b32_e32 v22, 0x80000000, v21
	v_lshlrev_b64_e32 v[20:21], 2, v[0:1]
	v_bitop3_b32 v25, v8, v4, 0x80000000 bitop3:0x78
	v_cndmask_b32_e64 v8, 0, v3, s2
	v_fmamk_f64 v[50:51], v[54:55], 0xbda907db46cc5e42, v[14:15]
	v_mul_f64_e32 v[70:71], v[54:55], v[54:55]
	v_cndmask_b32_e64 v22, v22, v23, s3
	v_cmp_ge_i64_e32 vcc_lo, v[20:21], v[10:11]
	s_delay_alu instid0(VALU_DEP_4) | instskip(NEXT) | instid1(VALU_DEP_3)
	v_fmaak_f64 v[50:51], v[54:55], v[50:51], 0xbe927e4fa17f65f6
	v_bitop3_b32 v5, v22, v5, 0x80000000 bitop3:0x78
	s_or_b32 s7, vcc_lo, s7
	v_xor_b32_e32 v24, 0x80000000, v33
	s_delay_alu instid0(VALU_DEP_3) | instskip(NEXT) | instid1(VALU_DEP_1)
	v_fmaak_f64 v[50:51], v[54:55], v[50:51], 0x3efa01a019f4ec90
	v_fmaak_f64 v[50:51], v[54:55], v[50:51], 0xbf56c16c16c16967
	s_delay_alu instid0(VALU_DEP_1) | instskip(NEXT) | instid1(VALU_DEP_1)
	v_fmaak_f64 v[50:51], v[54:55], v[50:51], 0x3fa5555555555555
	v_fmac_f64_e32 v[34:35], v[70:71], v[50:51]
	s_delay_alu instid0(VALU_DEP_1) | instskip(NEXT) | instid1(VALU_DEP_1)
	v_add_f64_e32 v[34:35], v[64:65], v[34:35]
	v_cndmask_b32_e64 v23, v24, v35, s5
	s_delay_alu instid0(VALU_DEP_2)
	v_cndmask_b32_e64 v7, v32, v34, s5
	v_bitop3_b32 v24, v6, v2, 0x80000000 bitop3:0x78
	v_cndmask_b32_e64 v6, 0, v9, s4
	v_cndmask_b32_e64 v9, 0x7ff80000, v25, s2
	v_bitop3_b32 v13, v23, v13, 0x80000000 bitop3:0x78
	v_cndmask_b32_e64 v4, 0, v7, s6
	v_cndmask_b32_e64 v7, 0x7ff80000, v5, s4
	;; [unrolled: 1-line block ×5, first 2 shown]
	s_clause 0x1
	global_store_b128 v[18:19], v[6:9], off offset:-16
	global_store_b128 v[18:19], v[2:5], off
	s_wait_xcnt 0x0
	v_add_nc_u64_e32 v[18:19], s[16:17], v[18:19]
	s_and_not1_b32 exec_lo, exec_lo, s7
	s_cbranch_execz .LBB219_57
.LBB219_41:                             ; =>This Inner Loop Header: Depth=1
	s_clause 0x1
	global_load_b128 v[6:9], v[18:19], off offset:-16
	global_load_b128 v[2:5], v[18:19], off
                                        ; implicit-def: $vgpr36
                                        ; implicit-def: $vgpr20_vgpr21
                                        ; implicit-def: $vgpr22_vgpr23
	s_wait_loadcnt 0x1
	v_cmp_ngt_f64_e64 s0, 0x41d00000, |v[6:7]|
	s_wait_xcnt 0x0
	s_and_saveexec_b32 s1, s0
	s_delay_alu instid0(SALU_CYCLE_1)
	s_xor_b32 s0, exec_lo, s1
	s_cbranch_execz .LBB219_43
; %bb.42:                               ;   in Loop: Header=BB219_41 Depth=1
	v_ldexp_f64 v[20:21], |v[6:7]|, 0xffffff80
	v_cmp_le_f64_e64 vcc_lo, 0x7b000000, |v[6:7]|
	v_trig_preop_f64 v[22:23], |v[6:7]|, 0
	v_and_b32_e32 v13, 0x7fffffff, v7
	v_trig_preop_f64 v[24:25], |v[6:7]|, 1
	v_trig_preop_f64 v[34:35], |v[6:7]|, 2
	s_delay_alu instid0(VALU_DEP_3) | instskip(NEXT) | instid1(VALU_DEP_1)
	v_dual_cndmask_b32 v21, v13, v21 :: v_dual_cndmask_b32 v20, v6, v20
	v_mul_f64_e32 v[26:27], v[22:23], v[20:21]
	s_delay_alu instid0(VALU_DEP_4) | instskip(NEXT) | instid1(VALU_DEP_4)
	v_mul_f64_e32 v[28:29], v[24:25], v[20:21]
	v_mul_f64_e32 v[40:41], v[34:35], v[20:21]
	s_delay_alu instid0(VALU_DEP_3) | instskip(NEXT) | instid1(VALU_DEP_3)
	v_fma_f64 v[22:23], v[22:23], v[20:21], -v[26:27]
	v_fma_f64 v[24:25], v[24:25], v[20:21], -v[28:29]
	s_delay_alu instid0(VALU_DEP_3) | instskip(NEXT) | instid1(VALU_DEP_3)
	v_fma_f64 v[20:21], v[34:35], v[20:21], -v[40:41]
	v_add_f64_e32 v[30:31], v[28:29], v[22:23]
	s_delay_alu instid0(VALU_DEP_1) | instskip(SKIP_1) | instid1(VALU_DEP_2)
	v_add_f64_e64 v[32:33], v[30:31], -v[28:29]
	v_add_f64_e32 v[38:39], v[26:27], v[30:31]
	v_add_f64_e64 v[36:37], v[30:31], -v[32:33]
	v_add_f64_e64 v[22:23], v[22:23], -v[32:33]
	s_delay_alu instid0(VALU_DEP_3) | instskip(NEXT) | instid1(VALU_DEP_3)
	v_ldexp_f64 v[32:33], v[38:39], -2
	v_add_f64_e64 v[28:29], v[28:29], -v[36:37]
	v_add_f64_e32 v[36:37], v[40:41], v[24:25]
	s_delay_alu instid0(VALU_DEP_3) | instskip(NEXT) | instid1(VALU_DEP_3)
	v_cmp_neq_f64_e64 vcc_lo, 0x7ff00000, |v[32:33]|
	v_add_f64_e32 v[22:23], v[22:23], v[28:29]
	v_fract_f64_e32 v[28:29], v[32:33]
	s_delay_alu instid0(VALU_DEP_1) | instskip(NEXT) | instid1(VALU_DEP_1)
	v_ldexp_f64 v[28:29], v[28:29], 2
	v_dual_add_f64 v[26:27], v[38:39], -v[26:27] :: v_dual_cndmask_b32 v28, 0, v28, vcc_lo
	s_delay_alu instid0(VALU_DEP_1) | instskip(SKIP_1) | instid1(VALU_DEP_1)
	v_dual_add_f64 v[26:27], v[30:31], -v[26:27] :: v_dual_cndmask_b32 v29, 0, v29, vcc_lo
	v_add_f64_e32 v[30:31], v[36:37], v[22:23]
	v_add_f64_e32 v[32:33], v[26:27], v[30:31]
	v_add_f64_e64 v[42:43], v[30:31], -v[36:37]
	s_delay_alu instid0(VALU_DEP_2) | instskip(NEXT) | instid1(VALU_DEP_2)
	v_add_f64_e32 v[38:39], v[32:33], v[28:29]
	v_add_f64_e64 v[48:49], v[30:31], -v[42:43]
	v_add_f64_e64 v[22:23], v[22:23], -v[42:43]
	;; [unrolled: 1-line block ×3, first 2 shown]
	s_delay_alu instid0(VALU_DEP_4) | instskip(SKIP_1) | instid1(VALU_DEP_3)
	v_cmp_gt_f64_e32 vcc_lo, 0, v[38:39]
	v_add_f64_e64 v[38:39], v[36:37], -v[40:41]
	v_add_f64_e64 v[26:27], v[30:31], -v[26:27]
	v_cndmask_b32_e64 v13, 0, 0x40100000, vcc_lo
	s_delay_alu instid0(VALU_DEP_3) | instskip(SKIP_2) | instid1(VALU_DEP_4)
	v_add_f64_e64 v[46:47], v[36:37], -v[38:39]
	v_add_f64_e64 v[24:25], v[24:25], -v[38:39]
	;; [unrolled: 1-line block ×3, first 2 shown]
	v_add_f64_e32 v[28:29], v[28:29], v[12:13]
	s_delay_alu instid0(VALU_DEP_4) | instskip(NEXT) | instid1(VALU_DEP_3)
	v_add_f64_e64 v[38:39], v[40:41], -v[46:47]
	v_add_f64_e32 v[22:23], v[22:23], v[36:37]
	s_delay_alu instid0(VALU_DEP_3) | instskip(NEXT) | instid1(VALU_DEP_3)
	v_add_f64_e32 v[44:45], v[32:33], v[28:29]
	v_add_f64_e32 v[24:25], v[24:25], v[38:39]
	s_delay_alu instid0(VALU_DEP_2) | instskip(NEXT) | instid1(VALU_DEP_2)
	v_cvt_i32_f64_e32 v13, v[44:45]
	v_add_f64_e32 v[22:23], v[24:25], v[22:23]
	s_delay_alu instid0(VALU_DEP_2) | instskip(NEXT) | instid1(VALU_DEP_2)
	v_cvt_f64_i32_e32 v[42:43], v13
	v_add_f64_e32 v[20:21], v[20:21], v[22:23]
	s_delay_alu instid0(VALU_DEP_2) | instskip(NEXT) | instid1(VALU_DEP_2)
	v_add_f64_e64 v[28:29], v[28:29], -v[42:43]
	v_add_f64_e32 v[20:21], v[26:27], v[20:21]
	s_delay_alu instid0(VALU_DEP_2) | instskip(NEXT) | instid1(VALU_DEP_1)
	v_add_f64_e32 v[24:25], v[32:33], v[28:29]
	v_add_f64_e64 v[22:23], v[24:25], -v[28:29]
	v_cmp_le_f64_e32 vcc_lo, 0.5, v[24:25]
	s_delay_alu instid0(VALU_DEP_2) | instskip(SKIP_2) | instid1(VALU_DEP_3)
	v_add_f64_e64 v[22:23], v[32:33], -v[22:23]
	v_add_co_ci_u32_e64 v36, null, 0, v13, vcc_lo
	v_cndmask_b32_e64 v13, 0, 0x3ff00000, vcc_lo
	v_add_f64_e32 v[20:21], v[20:21], v[22:23]
	s_delay_alu instid0(VALU_DEP_2) | instskip(NEXT) | instid1(VALU_DEP_1)
	v_add_f64_e64 v[22:23], v[24:25], -v[12:13]
	v_add_f64_e32 v[24:25], v[22:23], v[20:21]
	s_delay_alu instid0(VALU_DEP_1) | instskip(SKIP_1) | instid1(VALU_DEP_2)
	v_mul_f64_e32 v[26:27], 0x3ff921fb54442d18, v[24:25]
	v_add_f64_e64 v[22:23], v[24:25], -v[22:23]
	v_fma_f64 v[28:29], v[24:25], s[8:9], -v[26:27]
	s_delay_alu instid0(VALU_DEP_2) | instskip(NEXT) | instid1(VALU_DEP_2)
	v_add_f64_e64 v[20:21], v[20:21], -v[22:23]
	v_fmac_f64_e32 v[28:29], 0x3c91a62633145c07, v[24:25]
	s_delay_alu instid0(VALU_DEP_1) | instskip(NEXT) | instid1(VALU_DEP_1)
	v_fmac_f64_e32 v[28:29], 0x3ff921fb54442d18, v[20:21]
	v_add_f64_e32 v[20:21], v[26:27], v[28:29]
	s_delay_alu instid0(VALU_DEP_1) | instskip(NEXT) | instid1(VALU_DEP_1)
	v_add_f64_e64 v[22:23], v[20:21], -v[26:27]
	v_add_f64_e64 v[22:23], v[28:29], -v[22:23]
.LBB219_43:                             ;   in Loop: Header=BB219_41 Depth=1
	s_and_not1_saveexec_b32 s0, s0
	s_cbranch_execz .LBB219_45
; %bb.44:                               ;   in Loop: Header=BB219_41 Depth=1
	v_mul_f64_e64 v[20:21], |v[6:7]|, s[10:11]
	s_delay_alu instid0(VALU_DEP_1) | instskip(NEXT) | instid1(VALU_DEP_1)
	v_rndne_f64_e32 v[24:25], v[20:21]
	v_fma_f64 v[20:21], v[24:25], s[12:13], |v[6:7]|
	v_mul_f64_e32 v[22:23], 0xbc91a62633145c00, v[24:25]
	v_cvt_i32_f64_e32 v36, v[24:25]
	s_delay_alu instid0(VALU_DEP_3) | instskip(NEXT) | instid1(VALU_DEP_3)
	v_fmamk_f64 v[30:31], v[24:25], 0xbc91a62633145c00, v[20:21]
	v_add_f64_e32 v[26:27], v[20:21], v[22:23]
	s_delay_alu instid0(VALU_DEP_1) | instskip(NEXT) | instid1(VALU_DEP_3)
	v_add_f64_e64 v[28:29], v[20:21], -v[26:27]
	v_add_f64_e64 v[20:21], v[26:27], -v[30:31]
	s_delay_alu instid0(VALU_DEP_2) | instskip(SKIP_1) | instid1(VALU_DEP_2)
	v_add_f64_e32 v[26:27], v[28:29], v[22:23]
	v_fmamk_f64 v[22:23], v[24:25], 0x3c91a62633145c00, v[22:23]
	v_add_f64_e32 v[20:21], v[20:21], v[26:27]
	s_delay_alu instid0(VALU_DEP_1) | instskip(NEXT) | instid1(VALU_DEP_1)
	v_add_f64_e64 v[22:23], v[20:21], -v[22:23]
	v_fmac_f64_e32 v[22:23], 0xb97b839a252049c0, v[24:25]
	s_delay_alu instid0(VALU_DEP_1) | instskip(NEXT) | instid1(VALU_DEP_1)
	v_add_f64_e32 v[20:21], v[30:31], v[22:23]
	v_add_f64_e64 v[26:27], v[20:21], -v[30:31]
	s_delay_alu instid0(VALU_DEP_1)
	v_add_f64_e64 v[22:23], v[22:23], -v[26:27]
.LBB219_45:                             ;   in Loop: Header=BB219_41 Depth=1
	s_or_b32 exec_lo, exec_lo, s0
	v_cmp_ngt_f64_e64 s0, 0x41d00000, |v[8:9]|
                                        ; implicit-def: $vgpr37
                                        ; implicit-def: $vgpr24_vgpr25
                                        ; implicit-def: $vgpr26_vgpr27
	s_and_saveexec_b32 s1, s0
	s_delay_alu instid0(SALU_CYCLE_1)
	s_xor_b32 s0, exec_lo, s1
	s_cbranch_execz .LBB219_47
; %bb.46:                               ;   in Loop: Header=BB219_41 Depth=1
	v_ldexp_f64 v[24:25], |v[8:9]|, 0xffffff80
	v_cmp_le_f64_e64 vcc_lo, 0x7b000000, |v[8:9]|
	v_trig_preop_f64 v[26:27], |v[8:9]|, 0
	v_and_b32_e32 v13, 0x7fffffff, v9
	v_trig_preop_f64 v[28:29], |v[8:9]|, 1
	v_trig_preop_f64 v[40:41], |v[8:9]|, 2
	s_delay_alu instid0(VALU_DEP_3) | instskip(NEXT) | instid1(VALU_DEP_1)
	v_dual_cndmask_b32 v25, v13, v25 :: v_dual_cndmask_b32 v24, v8, v24
	v_mul_f64_e32 v[30:31], v[26:27], v[24:25]
	s_delay_alu instid0(VALU_DEP_4) | instskip(NEXT) | instid1(VALU_DEP_4)
	v_mul_f64_e32 v[32:33], v[28:29], v[24:25]
	v_mul_f64_e32 v[46:47], v[40:41], v[24:25]
	s_delay_alu instid0(VALU_DEP_3) | instskip(NEXT) | instid1(VALU_DEP_3)
	v_fma_f64 v[26:27], v[26:27], v[24:25], -v[30:31]
	v_fma_f64 v[28:29], v[28:29], v[24:25], -v[32:33]
	s_delay_alu instid0(VALU_DEP_3) | instskip(NEXT) | instid1(VALU_DEP_3)
	v_fma_f64 v[24:25], v[40:41], v[24:25], -v[46:47]
	v_add_f64_e32 v[34:35], v[32:33], v[26:27]
	s_delay_alu instid0(VALU_DEP_1) | instskip(SKIP_1) | instid1(VALU_DEP_2)
	v_add_f64_e64 v[38:39], v[34:35], -v[32:33]
	v_add_f64_e32 v[44:45], v[30:31], v[34:35]
	v_add_f64_e64 v[42:43], v[34:35], -v[38:39]
	v_add_f64_e64 v[26:27], v[26:27], -v[38:39]
	s_delay_alu instid0(VALU_DEP_3) | instskip(SKIP_1) | instid1(VALU_DEP_4)
	v_ldexp_f64 v[38:39], v[44:45], -2
	v_add_f64_e64 v[30:31], v[44:45], -v[30:31]
	v_add_f64_e64 v[32:33], v[32:33], -v[42:43]
	v_add_f64_e32 v[42:43], v[46:47], v[28:29]
	s_delay_alu instid0(VALU_DEP_4) | instskip(NEXT) | instid1(VALU_DEP_3)
	v_cmp_neq_f64_e64 vcc_lo, 0x7ff00000, |v[38:39]|
	v_add_f64_e32 v[26:27], v[26:27], v[32:33]
	v_fract_f64_e32 v[32:33], v[38:39]
	s_delay_alu instid0(VALU_DEP_1) | instskip(NEXT) | instid1(VALU_DEP_1)
	v_ldexp_f64 v[32:33], v[32:33], 2
	v_dual_add_f64 v[30:31], v[34:35], -v[30:31] :: v_dual_cndmask_b32 v33, 0, v33, vcc_lo
	s_delay_alu instid0(VALU_DEP_2) | instskip(NEXT) | instid1(VALU_DEP_1)
	v_dual_add_f64 v[34:35], v[42:43], v[26:27] :: v_dual_cndmask_b32 v32, 0, v32, vcc_lo
	v_add_f64_e32 v[38:39], v[30:31], v[34:35]
	v_add_f64_e64 v[48:49], v[34:35], -v[42:43]
	s_delay_alu instid0(VALU_DEP_2) | instskip(NEXT) | instid1(VALU_DEP_2)
	v_add_f64_e32 v[44:45], v[38:39], v[32:33]
	v_add_f64_e64 v[54:55], v[34:35], -v[48:49]
	v_add_f64_e64 v[26:27], v[26:27], -v[48:49]
	;; [unrolled: 1-line block ×3, first 2 shown]
	s_delay_alu instid0(VALU_DEP_4) | instskip(SKIP_1) | instid1(VALU_DEP_3)
	v_cmp_gt_f64_e32 vcc_lo, 0, v[44:45]
	v_add_f64_e64 v[44:45], v[42:43], -v[46:47]
	v_add_f64_e64 v[30:31], v[34:35], -v[30:31]
	v_cndmask_b32_e64 v13, 0, 0x40100000, vcc_lo
	s_delay_alu instid0(VALU_DEP_3) | instskip(SKIP_2) | instid1(VALU_DEP_4)
	v_add_f64_e64 v[52:53], v[42:43], -v[44:45]
	v_add_f64_e64 v[28:29], v[28:29], -v[44:45]
	;; [unrolled: 1-line block ×3, first 2 shown]
	v_add_f64_e32 v[32:33], v[32:33], v[12:13]
	s_delay_alu instid0(VALU_DEP_4) | instskip(NEXT) | instid1(VALU_DEP_3)
	v_add_f64_e64 v[44:45], v[46:47], -v[52:53]
	v_add_f64_e32 v[26:27], v[26:27], v[42:43]
	s_delay_alu instid0(VALU_DEP_3) | instskip(NEXT) | instid1(VALU_DEP_3)
	v_add_f64_e32 v[50:51], v[38:39], v[32:33]
	v_add_f64_e32 v[28:29], v[28:29], v[44:45]
	s_delay_alu instid0(VALU_DEP_2) | instskip(NEXT) | instid1(VALU_DEP_2)
	v_cvt_i32_f64_e32 v13, v[50:51]
	v_add_f64_e32 v[26:27], v[28:29], v[26:27]
	s_delay_alu instid0(VALU_DEP_2) | instskip(NEXT) | instid1(VALU_DEP_2)
	v_cvt_f64_i32_e32 v[48:49], v13
	v_add_f64_e32 v[24:25], v[24:25], v[26:27]
	s_delay_alu instid0(VALU_DEP_2) | instskip(NEXT) | instid1(VALU_DEP_2)
	v_add_f64_e64 v[32:33], v[32:33], -v[48:49]
	v_add_f64_e32 v[24:25], v[30:31], v[24:25]
	s_delay_alu instid0(VALU_DEP_2) | instskip(NEXT) | instid1(VALU_DEP_1)
	v_add_f64_e32 v[28:29], v[38:39], v[32:33]
	v_add_f64_e64 v[26:27], v[28:29], -v[32:33]
	v_cmp_le_f64_e32 vcc_lo, 0.5, v[28:29]
	s_delay_alu instid0(VALU_DEP_2) | instskip(SKIP_2) | instid1(VALU_DEP_3)
	v_add_f64_e64 v[26:27], v[38:39], -v[26:27]
	v_add_co_ci_u32_e64 v37, null, 0, v13, vcc_lo
	v_cndmask_b32_e64 v13, 0, 0x3ff00000, vcc_lo
	v_add_f64_e32 v[24:25], v[24:25], v[26:27]
	s_delay_alu instid0(VALU_DEP_2) | instskip(NEXT) | instid1(VALU_DEP_1)
	v_add_f64_e64 v[26:27], v[28:29], -v[12:13]
	v_add_f64_e32 v[28:29], v[26:27], v[24:25]
	s_delay_alu instid0(VALU_DEP_1) | instskip(SKIP_1) | instid1(VALU_DEP_2)
	v_mul_f64_e32 v[30:31], 0x3ff921fb54442d18, v[28:29]
	v_add_f64_e64 v[26:27], v[28:29], -v[26:27]
	v_fma_f64 v[32:33], v[28:29], s[8:9], -v[30:31]
	s_delay_alu instid0(VALU_DEP_2) | instskip(NEXT) | instid1(VALU_DEP_2)
	v_add_f64_e64 v[24:25], v[24:25], -v[26:27]
	v_fmac_f64_e32 v[32:33], 0x3c91a62633145c07, v[28:29]
	s_delay_alu instid0(VALU_DEP_1) | instskip(NEXT) | instid1(VALU_DEP_1)
	v_fmac_f64_e32 v[32:33], 0x3ff921fb54442d18, v[24:25]
	v_add_f64_e32 v[24:25], v[30:31], v[32:33]
	s_delay_alu instid0(VALU_DEP_1) | instskip(NEXT) | instid1(VALU_DEP_1)
	v_add_f64_e64 v[26:27], v[24:25], -v[30:31]
	v_add_f64_e64 v[26:27], v[32:33], -v[26:27]
.LBB219_47:                             ;   in Loop: Header=BB219_41 Depth=1
	s_and_not1_saveexec_b32 s0, s0
	s_cbranch_execz .LBB219_49
; %bb.48:                               ;   in Loop: Header=BB219_41 Depth=1
	v_mul_f64_e64 v[24:25], |v[8:9]|, s[10:11]
	s_delay_alu instid0(VALU_DEP_1) | instskip(NEXT) | instid1(VALU_DEP_1)
	v_rndne_f64_e32 v[28:29], v[24:25]
	v_fma_f64 v[24:25], v[28:29], s[12:13], |v[8:9]|
	v_mul_f64_e32 v[26:27], 0xbc91a62633145c00, v[28:29]
	v_cvt_i32_f64_e32 v37, v[28:29]
	s_delay_alu instid0(VALU_DEP_3) | instskip(NEXT) | instid1(VALU_DEP_3)
	v_fmamk_f64 v[34:35], v[28:29], 0xbc91a62633145c00, v[24:25]
	v_add_f64_e32 v[30:31], v[24:25], v[26:27]
	s_delay_alu instid0(VALU_DEP_1) | instskip(NEXT) | instid1(VALU_DEP_3)
	v_add_f64_e64 v[32:33], v[24:25], -v[30:31]
	v_add_f64_e64 v[24:25], v[30:31], -v[34:35]
	s_delay_alu instid0(VALU_DEP_2) | instskip(SKIP_1) | instid1(VALU_DEP_2)
	v_add_f64_e32 v[30:31], v[32:33], v[26:27]
	v_fmamk_f64 v[26:27], v[28:29], 0x3c91a62633145c00, v[26:27]
	v_add_f64_e32 v[24:25], v[24:25], v[30:31]
	s_delay_alu instid0(VALU_DEP_1) | instskip(NEXT) | instid1(VALU_DEP_1)
	v_add_f64_e64 v[26:27], v[24:25], -v[26:27]
	v_fmac_f64_e32 v[26:27], 0xb97b839a252049c0, v[28:29]
	s_delay_alu instid0(VALU_DEP_1) | instskip(NEXT) | instid1(VALU_DEP_1)
	v_add_f64_e32 v[24:25], v[34:35], v[26:27]
	v_add_f64_e64 v[30:31], v[24:25], -v[34:35]
	s_delay_alu instid0(VALU_DEP_1)
	v_add_f64_e64 v[26:27], v[26:27], -v[30:31]
.LBB219_49:                             ;   in Loop: Header=BB219_41 Depth=1
	s_or_b32 exec_lo, exec_lo, s0
	s_wait_loadcnt 0x0
	v_cmp_ngt_f64_e64 s0, 0x41d00000, |v[2:3]|
                                        ; implicit-def: $vgpr38
                                        ; implicit-def: $vgpr28_vgpr29
                                        ; implicit-def: $vgpr30_vgpr31
	s_and_saveexec_b32 s1, s0
	s_delay_alu instid0(SALU_CYCLE_1)
	s_xor_b32 s0, exec_lo, s1
	s_cbranch_execz .LBB219_51
; %bb.50:                               ;   in Loop: Header=BB219_41 Depth=1
	v_ldexp_f64 v[28:29], |v[2:3]|, 0xffffff80
	v_cmp_le_f64_e64 vcc_lo, 0x7b000000, |v[2:3]|
	v_trig_preop_f64 v[30:31], |v[2:3]|, 0
	v_and_b32_e32 v13, 0x7fffffff, v3
	v_trig_preop_f64 v[32:33], |v[2:3]|, 1
	v_trig_preop_f64 v[44:45], |v[2:3]|, 2
	s_delay_alu instid0(VALU_DEP_3) | instskip(NEXT) | instid1(VALU_DEP_1)
	v_dual_cndmask_b32 v29, v13, v29 :: v_dual_cndmask_b32 v28, v2, v28
	v_mul_f64_e32 v[34:35], v[30:31], v[28:29]
	s_delay_alu instid0(VALU_DEP_4) | instskip(NEXT) | instid1(VALU_DEP_4)
	v_mul_f64_e32 v[38:39], v[32:33], v[28:29]
	v_mul_f64_e32 v[50:51], v[44:45], v[28:29]
	s_delay_alu instid0(VALU_DEP_3) | instskip(NEXT) | instid1(VALU_DEP_3)
	v_fma_f64 v[30:31], v[30:31], v[28:29], -v[34:35]
	v_fma_f64 v[32:33], v[32:33], v[28:29], -v[38:39]
	s_delay_alu instid0(VALU_DEP_3) | instskip(NEXT) | instid1(VALU_DEP_3)
	v_fma_f64 v[28:29], v[44:45], v[28:29], -v[50:51]
	v_add_f64_e32 v[40:41], v[38:39], v[30:31]
	s_delay_alu instid0(VALU_DEP_1) | instskip(SKIP_1) | instid1(VALU_DEP_2)
	v_add_f64_e64 v[42:43], v[40:41], -v[38:39]
	v_add_f64_e32 v[48:49], v[34:35], v[40:41]
	v_add_f64_e64 v[46:47], v[40:41], -v[42:43]
	v_add_f64_e64 v[30:31], v[30:31], -v[42:43]
	s_delay_alu instid0(VALU_DEP_3) | instskip(NEXT) | instid1(VALU_DEP_3)
	v_ldexp_f64 v[42:43], v[48:49], -2
	v_add_f64_e64 v[38:39], v[38:39], -v[46:47]
	v_add_f64_e32 v[46:47], v[50:51], v[32:33]
	s_delay_alu instid0(VALU_DEP_3) | instskip(NEXT) | instid1(VALU_DEP_3)
	v_cmp_neq_f64_e64 vcc_lo, 0x7ff00000, |v[42:43]|
	v_add_f64_e32 v[30:31], v[30:31], v[38:39]
	v_fract_f64_e32 v[38:39], v[42:43]
	s_delay_alu instid0(VALU_DEP_1) | instskip(NEXT) | instid1(VALU_DEP_1)
	v_ldexp_f64 v[38:39], v[38:39], 2
	v_cndmask_b32_e32 v39, 0, v39, vcc_lo
	v_add_f64_e64 v[34:35], v[48:49], -v[34:35]
	s_delay_alu instid0(VALU_DEP_3) | instskip(NEXT) | instid1(VALU_DEP_2)
	v_cndmask_b32_e32 v38, 0, v38, vcc_lo
	v_add_f64_e64 v[34:35], v[40:41], -v[34:35]
	v_add_f64_e32 v[40:41], v[46:47], v[30:31]
	s_delay_alu instid0(VALU_DEP_1) | instskip(SKIP_1) | instid1(VALU_DEP_2)
	v_add_f64_e32 v[42:43], v[34:35], v[40:41]
	v_add_f64_e64 v[52:53], v[40:41], -v[46:47]
	v_add_f64_e32 v[48:49], v[42:43], v[38:39]
	s_delay_alu instid0(VALU_DEP_2) | instskip(SKIP_2) | instid1(VALU_DEP_4)
	v_add_f64_e64 v[58:59], v[40:41], -v[52:53]
	v_add_f64_e64 v[30:31], v[30:31], -v[52:53]
	;; [unrolled: 1-line block ×3, first 2 shown]
	v_cmp_gt_f64_e32 vcc_lo, 0, v[48:49]
	v_add_f64_e64 v[48:49], v[46:47], -v[50:51]
	s_delay_alu instid0(VALU_DEP_3) | instskip(SKIP_1) | instid1(VALU_DEP_3)
	v_add_f64_e64 v[34:35], v[40:41], -v[34:35]
	v_cndmask_b32_e64 v13, 0, 0x40100000, vcc_lo
	v_add_f64_e64 v[56:57], v[46:47], -v[48:49]
	v_add_f64_e64 v[32:33], v[32:33], -v[48:49]
	v_add_f64_e64 v[46:47], v[46:47], -v[58:59]
	s_delay_alu instid0(VALU_DEP_4) | instskip(NEXT) | instid1(VALU_DEP_4)
	v_add_f64_e32 v[38:39], v[38:39], v[12:13]
	v_add_f64_e64 v[48:49], v[50:51], -v[56:57]
	s_delay_alu instid0(VALU_DEP_3) | instskip(NEXT) | instid1(VALU_DEP_3)
	v_add_f64_e32 v[30:31], v[30:31], v[46:47]
	v_add_f64_e32 v[54:55], v[42:43], v[38:39]
	s_delay_alu instid0(VALU_DEP_3) | instskip(NEXT) | instid1(VALU_DEP_2)
	v_add_f64_e32 v[32:33], v[32:33], v[48:49]
	v_cvt_i32_f64_e32 v13, v[54:55]
	s_delay_alu instid0(VALU_DEP_2) | instskip(NEXT) | instid1(VALU_DEP_2)
	v_add_f64_e32 v[30:31], v[32:33], v[30:31]
	v_cvt_f64_i32_e32 v[52:53], v13
	s_delay_alu instid0(VALU_DEP_2) | instskip(NEXT) | instid1(VALU_DEP_2)
	v_add_f64_e32 v[28:29], v[28:29], v[30:31]
	v_add_f64_e64 v[38:39], v[38:39], -v[52:53]
	s_delay_alu instid0(VALU_DEP_2) | instskip(NEXT) | instid1(VALU_DEP_2)
	v_add_f64_e32 v[28:29], v[34:35], v[28:29]
	v_add_f64_e32 v[32:33], v[42:43], v[38:39]
	s_delay_alu instid0(VALU_DEP_1) | instskip(SKIP_1) | instid1(VALU_DEP_2)
	v_add_f64_e64 v[30:31], v[32:33], -v[38:39]
	v_cmp_le_f64_e32 vcc_lo, 0.5, v[32:33]
	v_add_f64_e64 v[30:31], v[42:43], -v[30:31]
	v_add_co_ci_u32_e64 v38, null, 0, v13, vcc_lo
	v_cndmask_b32_e64 v13, 0, 0x3ff00000, vcc_lo
	s_delay_alu instid0(VALU_DEP_3) | instskip(NEXT) | instid1(VALU_DEP_2)
	v_add_f64_e32 v[28:29], v[28:29], v[30:31]
	v_add_f64_e64 v[30:31], v[32:33], -v[12:13]
	s_delay_alu instid0(VALU_DEP_1) | instskip(NEXT) | instid1(VALU_DEP_1)
	v_add_f64_e32 v[32:33], v[30:31], v[28:29]
	v_mul_f64_e32 v[34:35], 0x3ff921fb54442d18, v[32:33]
	v_add_f64_e64 v[30:31], v[32:33], -v[30:31]
	s_delay_alu instid0(VALU_DEP_2) | instskip(NEXT) | instid1(VALU_DEP_2)
	v_fma_f64 v[40:41], v[32:33], s[8:9], -v[34:35]
	v_add_f64_e64 v[28:29], v[28:29], -v[30:31]
	s_delay_alu instid0(VALU_DEP_2) | instskip(NEXT) | instid1(VALU_DEP_1)
	v_fmac_f64_e32 v[40:41], 0x3c91a62633145c07, v[32:33]
	v_fmac_f64_e32 v[40:41], 0x3ff921fb54442d18, v[28:29]
	s_delay_alu instid0(VALU_DEP_1) | instskip(NEXT) | instid1(VALU_DEP_1)
	v_add_f64_e32 v[28:29], v[34:35], v[40:41]
	v_add_f64_e64 v[30:31], v[28:29], -v[34:35]
	s_delay_alu instid0(VALU_DEP_1)
	v_add_f64_e64 v[30:31], v[40:41], -v[30:31]
.LBB219_51:                             ;   in Loop: Header=BB219_41 Depth=1
	s_and_not1_saveexec_b32 s0, s0
	s_cbranch_execz .LBB219_53
; %bb.52:                               ;   in Loop: Header=BB219_41 Depth=1
	v_mul_f64_e64 v[28:29], |v[2:3]|, s[10:11]
	s_delay_alu instid0(VALU_DEP_1) | instskip(NEXT) | instid1(VALU_DEP_1)
	v_rndne_f64_e32 v[32:33], v[28:29]
	v_fma_f64 v[28:29], v[32:33], s[12:13], |v[2:3]|
	v_mul_f64_e32 v[30:31], 0xbc91a62633145c00, v[32:33]
	s_delay_alu instid0(VALU_DEP_2) | instskip(NEXT) | instid1(VALU_DEP_2)
	v_fmamk_f64 v[40:41], v[32:33], 0xbc91a62633145c00, v[28:29]
	v_add_f64_e32 v[34:35], v[28:29], v[30:31]
	s_delay_alu instid0(VALU_DEP_1) | instskip(NEXT) | instid1(VALU_DEP_3)
	v_add_f64_e64 v[38:39], v[28:29], -v[34:35]
	v_add_f64_e64 v[28:29], v[34:35], -v[40:41]
	s_delay_alu instid0(VALU_DEP_2) | instskip(SKIP_2) | instid1(VALU_DEP_3)
	v_add_f64_e32 v[34:35], v[38:39], v[30:31]
	v_fmamk_f64 v[30:31], v[32:33], 0x3c91a62633145c00, v[30:31]
	v_cvt_i32_f64_e32 v38, v[32:33]
	v_add_f64_e32 v[28:29], v[28:29], v[34:35]
	s_delay_alu instid0(VALU_DEP_1) | instskip(NEXT) | instid1(VALU_DEP_1)
	v_add_f64_e64 v[30:31], v[28:29], -v[30:31]
	v_fmac_f64_e32 v[30:31], 0xb97b839a252049c0, v[32:33]
	s_delay_alu instid0(VALU_DEP_1) | instskip(NEXT) | instid1(VALU_DEP_1)
	v_add_f64_e32 v[28:29], v[40:41], v[30:31]
	v_add_f64_e64 v[34:35], v[28:29], -v[40:41]
	s_delay_alu instid0(VALU_DEP_1)
	v_add_f64_e64 v[30:31], v[30:31], -v[34:35]
.LBB219_53:                             ;   in Loop: Header=BB219_41 Depth=1
	s_or_b32 exec_lo, exec_lo, s0
	v_cmp_ngt_f64_e64 s0, 0x41d00000, |v[4:5]|
                                        ; implicit-def: $vgpr13
                                        ; implicit-def: $vgpr32_vgpr33
                                        ; implicit-def: $vgpr34_vgpr35
	s_and_saveexec_b32 s1, s0
	s_delay_alu instid0(SALU_CYCLE_1)
	s_xor_b32 s0, exec_lo, s1
	s_cbranch_execz .LBB219_55
; %bb.54:                               ;   in Loop: Header=BB219_41 Depth=1
	v_ldexp_f64 v[32:33], |v[4:5]|, 0xffffff80
	v_cmp_le_f64_e64 vcc_lo, 0x7b000000, |v[4:5]|
	v_trig_preop_f64 v[34:35], |v[4:5]|, 0
	v_and_b32_e32 v13, 0x7fffffff, v5
	v_trig_preop_f64 v[40:41], |v[4:5]|, 1
	v_trig_preop_f64 v[50:51], |v[4:5]|, 2
	s_delay_alu instid0(VALU_DEP_3) | instskip(NEXT) | instid1(VALU_DEP_1)
	v_dual_cndmask_b32 v33, v13, v33 :: v_dual_cndmask_b32 v32, v4, v32
	v_mul_f64_e32 v[42:43], v[34:35], v[32:33]
	s_delay_alu instid0(VALU_DEP_4) | instskip(NEXT) | instid1(VALU_DEP_4)
	v_mul_f64_e32 v[44:45], v[40:41], v[32:33]
	v_mul_f64_e32 v[56:57], v[50:51], v[32:33]
	s_delay_alu instid0(VALU_DEP_3) | instskip(NEXT) | instid1(VALU_DEP_3)
	v_fma_f64 v[34:35], v[34:35], v[32:33], -v[42:43]
	v_fma_f64 v[40:41], v[40:41], v[32:33], -v[44:45]
	s_delay_alu instid0(VALU_DEP_3) | instskip(NEXT) | instid1(VALU_DEP_3)
	v_fma_f64 v[32:33], v[50:51], v[32:33], -v[56:57]
	v_add_f64_e32 v[46:47], v[44:45], v[34:35]
	s_delay_alu instid0(VALU_DEP_1) | instskip(SKIP_1) | instid1(VALU_DEP_2)
	v_add_f64_e64 v[48:49], v[46:47], -v[44:45]
	v_add_f64_e32 v[54:55], v[42:43], v[46:47]
	v_add_f64_e64 v[52:53], v[46:47], -v[48:49]
	v_add_f64_e64 v[34:35], v[34:35], -v[48:49]
	s_delay_alu instid0(VALU_DEP_3) | instskip(NEXT) | instid1(VALU_DEP_3)
	v_ldexp_f64 v[48:49], v[54:55], -2
	v_add_f64_e64 v[44:45], v[44:45], -v[52:53]
	v_add_f64_e32 v[52:53], v[56:57], v[40:41]
	s_delay_alu instid0(VALU_DEP_3) | instskip(NEXT) | instid1(VALU_DEP_3)
	v_cmp_neq_f64_e64 vcc_lo, 0x7ff00000, |v[48:49]|
	v_add_f64_e32 v[34:35], v[34:35], v[44:45]
	v_fract_f64_e32 v[44:45], v[48:49]
	s_delay_alu instid0(VALU_DEP_1) | instskip(NEXT) | instid1(VALU_DEP_1)
	v_ldexp_f64 v[44:45], v[44:45], 2
	v_dual_add_f64 v[42:43], v[54:55], -v[42:43] :: v_dual_cndmask_b32 v44, 0, v44, vcc_lo
	s_delay_alu instid0(VALU_DEP_1) | instskip(SKIP_1) | instid1(VALU_DEP_1)
	v_dual_add_f64 v[42:43], v[46:47], -v[42:43] :: v_dual_cndmask_b32 v45, 0, v45, vcc_lo
	v_add_f64_e32 v[46:47], v[52:53], v[34:35]
	v_add_f64_e32 v[48:49], v[42:43], v[46:47]
	v_add_f64_e64 v[58:59], v[46:47], -v[52:53]
	s_delay_alu instid0(VALU_DEP_2) | instskip(NEXT) | instid1(VALU_DEP_2)
	v_add_f64_e32 v[54:55], v[48:49], v[44:45]
	v_add_f64_e64 v[64:65], v[46:47], -v[58:59]
	v_add_f64_e64 v[34:35], v[34:35], -v[58:59]
	;; [unrolled: 1-line block ×3, first 2 shown]
	s_delay_alu instid0(VALU_DEP_4) | instskip(SKIP_1) | instid1(VALU_DEP_3)
	v_cmp_gt_f64_e32 vcc_lo, 0, v[54:55]
	v_add_f64_e64 v[54:55], v[52:53], -v[56:57]
	v_add_f64_e64 v[42:43], v[46:47], -v[42:43]
	v_cndmask_b32_e64 v13, 0, 0x40100000, vcc_lo
	s_delay_alu instid0(VALU_DEP_3) | instskip(SKIP_2) | instid1(VALU_DEP_4)
	v_add_f64_e64 v[62:63], v[52:53], -v[54:55]
	v_add_f64_e64 v[40:41], v[40:41], -v[54:55]
	;; [unrolled: 1-line block ×3, first 2 shown]
	v_add_f64_e32 v[44:45], v[44:45], v[12:13]
	s_delay_alu instid0(VALU_DEP_4) | instskip(NEXT) | instid1(VALU_DEP_3)
	v_add_f64_e64 v[54:55], v[56:57], -v[62:63]
	v_add_f64_e32 v[34:35], v[34:35], v[52:53]
	s_delay_alu instid0(VALU_DEP_3) | instskip(NEXT) | instid1(VALU_DEP_3)
	v_add_f64_e32 v[60:61], v[48:49], v[44:45]
	v_add_f64_e32 v[40:41], v[40:41], v[54:55]
	s_delay_alu instid0(VALU_DEP_2) | instskip(NEXT) | instid1(VALU_DEP_2)
	v_cvt_i32_f64_e32 v39, v[60:61]
	v_add_f64_e32 v[34:35], v[40:41], v[34:35]
	s_delay_alu instid0(VALU_DEP_2) | instskip(NEXT) | instid1(VALU_DEP_2)
	v_cvt_f64_i32_e32 v[58:59], v39
	v_add_f64_e32 v[32:33], v[32:33], v[34:35]
	s_delay_alu instid0(VALU_DEP_2) | instskip(NEXT) | instid1(VALU_DEP_2)
	v_add_f64_e64 v[44:45], v[44:45], -v[58:59]
	v_add_f64_e32 v[32:33], v[42:43], v[32:33]
	s_delay_alu instid0(VALU_DEP_2) | instskip(NEXT) | instid1(VALU_DEP_1)
	v_add_f64_e32 v[40:41], v[48:49], v[44:45]
	v_add_f64_e64 v[34:35], v[40:41], -v[44:45]
	v_cmp_le_f64_e32 vcc_lo, 0.5, v[40:41]
	s_delay_alu instid0(VALU_DEP_2) | instskip(SKIP_1) | instid1(VALU_DEP_2)
	v_add_f64_e64 v[34:35], v[48:49], -v[34:35]
	v_cndmask_b32_e64 v13, 0, 0x3ff00000, vcc_lo
	v_add_f64_e32 v[32:33], v[32:33], v[34:35]
	s_delay_alu instid0(VALU_DEP_2) | instskip(SKIP_1) | instid1(VALU_DEP_2)
	v_add_f64_e64 v[34:35], v[40:41], -v[12:13]
	v_add_co_ci_u32_e64 v13, null, 0, v39, vcc_lo
	v_add_f64_e32 v[40:41], v[34:35], v[32:33]
	s_delay_alu instid0(VALU_DEP_1) | instskip(SKIP_1) | instid1(VALU_DEP_2)
	v_mul_f64_e32 v[42:43], 0x3ff921fb54442d18, v[40:41]
	v_add_f64_e64 v[34:35], v[40:41], -v[34:35]
	v_fma_f64 v[44:45], v[40:41], s[8:9], -v[42:43]
	s_delay_alu instid0(VALU_DEP_2) | instskip(NEXT) | instid1(VALU_DEP_2)
	v_add_f64_e64 v[32:33], v[32:33], -v[34:35]
	v_fmac_f64_e32 v[44:45], 0x3c91a62633145c07, v[40:41]
	s_delay_alu instid0(VALU_DEP_1) | instskip(NEXT) | instid1(VALU_DEP_1)
	v_fmac_f64_e32 v[44:45], 0x3ff921fb54442d18, v[32:33]
	v_add_f64_e32 v[32:33], v[42:43], v[44:45]
	s_delay_alu instid0(VALU_DEP_1) | instskip(NEXT) | instid1(VALU_DEP_1)
	v_add_f64_e64 v[34:35], v[32:33], -v[42:43]
	v_add_f64_e64 v[34:35], v[44:45], -v[34:35]
.LBB219_55:                             ;   in Loop: Header=BB219_41 Depth=1
	s_and_not1_saveexec_b32 s0, s0
	s_cbranch_execz .LBB219_40
; %bb.56:                               ;   in Loop: Header=BB219_41 Depth=1
	v_mul_f64_e64 v[32:33], |v[4:5]|, s[10:11]
	s_delay_alu instid0(VALU_DEP_1) | instskip(NEXT) | instid1(VALU_DEP_1)
	v_rndne_f64_e32 v[40:41], v[32:33]
	v_fma_f64 v[32:33], v[40:41], s[12:13], |v[4:5]|
	v_mul_f64_e32 v[34:35], 0xbc91a62633145c00, v[40:41]
	v_cvt_i32_f64_e32 v13, v[40:41]
	s_delay_alu instid0(VALU_DEP_3) | instskip(NEXT) | instid1(VALU_DEP_3)
	v_fmamk_f64 v[46:47], v[40:41], 0xbc91a62633145c00, v[32:33]
	v_add_f64_e32 v[42:43], v[32:33], v[34:35]
	s_delay_alu instid0(VALU_DEP_1) | instskip(NEXT) | instid1(VALU_DEP_3)
	v_add_f64_e64 v[44:45], v[32:33], -v[42:43]
	v_add_f64_e64 v[32:33], v[42:43], -v[46:47]
	s_delay_alu instid0(VALU_DEP_2) | instskip(SKIP_1) | instid1(VALU_DEP_2)
	v_add_f64_e32 v[42:43], v[44:45], v[34:35]
	v_fmamk_f64 v[34:35], v[40:41], 0x3c91a62633145c00, v[34:35]
	v_add_f64_e32 v[32:33], v[32:33], v[42:43]
	s_delay_alu instid0(VALU_DEP_1) | instskip(NEXT) | instid1(VALU_DEP_1)
	v_add_f64_e64 v[34:35], v[32:33], -v[34:35]
	v_fmac_f64_e32 v[34:35], 0xb97b839a252049c0, v[40:41]
	s_delay_alu instid0(VALU_DEP_1) | instskip(NEXT) | instid1(VALU_DEP_1)
	v_add_f64_e32 v[32:33], v[46:47], v[34:35]
	v_add_f64_e64 v[42:43], v[32:33], -v[46:47]
	s_delay_alu instid0(VALU_DEP_1)
	v_add_f64_e64 v[34:35], v[34:35], -v[42:43]
	s_branch .LBB219_40
.LBB219_57:
	s_sendmsg sendmsg(MSG_DEALLOC_VGPRS)
	s_endpgm
	.section	.rodata,"a",@progbits
	.p2align	6, 0x0
	.amdhsa_kernel _ZN2at6native12_GLOBAL__N_125multi_tensor_apply_kernelINS1_18TensorListMetadataILi1EEENS1_14UnaryOpFunctorIdLi1ELi1ELi0EEEJNS0_3CosIdEEEEEvT_T0_DpT1_
		.amdhsa_group_segment_fixed_size 0
		.amdhsa_private_segment_fixed_size 0
		.amdhsa_kernarg_size 3632
		.amdhsa_user_sgpr_count 2
		.amdhsa_user_sgpr_dispatch_ptr 0
		.amdhsa_user_sgpr_queue_ptr 0
		.amdhsa_user_sgpr_kernarg_segment_ptr 1
		.amdhsa_user_sgpr_dispatch_id 0
		.amdhsa_user_sgpr_kernarg_preload_length 0
		.amdhsa_user_sgpr_kernarg_preload_offset 0
		.amdhsa_user_sgpr_private_segment_size 0
		.amdhsa_wavefront_size32 1
		.amdhsa_uses_dynamic_stack 0
		.amdhsa_enable_private_segment 0
		.amdhsa_system_sgpr_workgroup_id_x 1
		.amdhsa_system_sgpr_workgroup_id_y 0
		.amdhsa_system_sgpr_workgroup_id_z 0
		.amdhsa_system_sgpr_workgroup_info 0
		.amdhsa_system_vgpr_workitem_id 0
		.amdhsa_next_free_vgpr 80
		.amdhsa_next_free_sgpr 25
		.amdhsa_named_barrier_count 0
		.amdhsa_reserve_vcc 1
		.amdhsa_float_round_mode_32 0
		.amdhsa_float_round_mode_16_64 0
		.amdhsa_float_denorm_mode_32 3
		.amdhsa_float_denorm_mode_16_64 3
		.amdhsa_fp16_overflow 0
		.amdhsa_memory_ordered 1
		.amdhsa_forward_progress 1
		.amdhsa_inst_pref_size 79
		.amdhsa_round_robin_scheduling 0
		.amdhsa_exception_fp_ieee_invalid_op 0
		.amdhsa_exception_fp_denorm_src 0
		.amdhsa_exception_fp_ieee_div_zero 0
		.amdhsa_exception_fp_ieee_overflow 0
		.amdhsa_exception_fp_ieee_underflow 0
		.amdhsa_exception_fp_ieee_inexact 0
		.amdhsa_exception_int_div_zero 0
	.end_amdhsa_kernel
	.section	.text._ZN2at6native12_GLOBAL__N_125multi_tensor_apply_kernelINS1_18TensorListMetadataILi1EEENS1_14UnaryOpFunctorIdLi1ELi1ELi0EEEJNS0_3CosIdEEEEEvT_T0_DpT1_,"axG",@progbits,_ZN2at6native12_GLOBAL__N_125multi_tensor_apply_kernelINS1_18TensorListMetadataILi1EEENS1_14UnaryOpFunctorIdLi1ELi1ELi0EEEJNS0_3CosIdEEEEEvT_T0_DpT1_,comdat
.Lfunc_end219:
	.size	_ZN2at6native12_GLOBAL__N_125multi_tensor_apply_kernelINS1_18TensorListMetadataILi1EEENS1_14UnaryOpFunctorIdLi1ELi1ELi0EEEJNS0_3CosIdEEEEEvT_T0_DpT1_, .Lfunc_end219-_ZN2at6native12_GLOBAL__N_125multi_tensor_apply_kernelINS1_18TensorListMetadataILi1EEENS1_14UnaryOpFunctorIdLi1ELi1ELi0EEEJNS0_3CosIdEEEEEvT_T0_DpT1_
                                        ; -- End function
	.set _ZN2at6native12_GLOBAL__N_125multi_tensor_apply_kernelINS1_18TensorListMetadataILi1EEENS1_14UnaryOpFunctorIdLi1ELi1ELi0EEEJNS0_3CosIdEEEEEvT_T0_DpT1_.num_vgpr, 80
	.set _ZN2at6native12_GLOBAL__N_125multi_tensor_apply_kernelINS1_18TensorListMetadataILi1EEENS1_14UnaryOpFunctorIdLi1ELi1ELi0EEEJNS0_3CosIdEEEEEvT_T0_DpT1_.num_agpr, 0
	.set _ZN2at6native12_GLOBAL__N_125multi_tensor_apply_kernelINS1_18TensorListMetadataILi1EEENS1_14UnaryOpFunctorIdLi1ELi1ELi0EEEJNS0_3CosIdEEEEEvT_T0_DpT1_.numbered_sgpr, 25
	.set _ZN2at6native12_GLOBAL__N_125multi_tensor_apply_kernelINS1_18TensorListMetadataILi1EEENS1_14UnaryOpFunctorIdLi1ELi1ELi0EEEJNS0_3CosIdEEEEEvT_T0_DpT1_.num_named_barrier, 0
	.set _ZN2at6native12_GLOBAL__N_125multi_tensor_apply_kernelINS1_18TensorListMetadataILi1EEENS1_14UnaryOpFunctorIdLi1ELi1ELi0EEEJNS0_3CosIdEEEEEvT_T0_DpT1_.private_seg_size, 0
	.set _ZN2at6native12_GLOBAL__N_125multi_tensor_apply_kernelINS1_18TensorListMetadataILi1EEENS1_14UnaryOpFunctorIdLi1ELi1ELi0EEEJNS0_3CosIdEEEEEvT_T0_DpT1_.uses_vcc, 1
	.set _ZN2at6native12_GLOBAL__N_125multi_tensor_apply_kernelINS1_18TensorListMetadataILi1EEENS1_14UnaryOpFunctorIdLi1ELi1ELi0EEEJNS0_3CosIdEEEEEvT_T0_DpT1_.uses_flat_scratch, 0
	.set _ZN2at6native12_GLOBAL__N_125multi_tensor_apply_kernelINS1_18TensorListMetadataILi1EEENS1_14UnaryOpFunctorIdLi1ELi1ELi0EEEJNS0_3CosIdEEEEEvT_T0_DpT1_.has_dyn_sized_stack, 0
	.set _ZN2at6native12_GLOBAL__N_125multi_tensor_apply_kernelINS1_18TensorListMetadataILi1EEENS1_14UnaryOpFunctorIdLi1ELi1ELi0EEEJNS0_3CosIdEEEEEvT_T0_DpT1_.has_recursion, 0
	.set _ZN2at6native12_GLOBAL__N_125multi_tensor_apply_kernelINS1_18TensorListMetadataILi1EEENS1_14UnaryOpFunctorIdLi1ELi1ELi0EEEJNS0_3CosIdEEEEEvT_T0_DpT1_.has_indirect_call, 0
	.section	.AMDGPU.csdata,"",@progbits
; Kernel info:
; codeLenInByte = 10060
; TotalNumSgprs: 27
; NumVgprs: 80
; ScratchSize: 0
; MemoryBound: 1
; FloatMode: 240
; IeeeMode: 1
; LDSByteSize: 0 bytes/workgroup (compile time only)
; SGPRBlocks: 0
; VGPRBlocks: 4
; NumSGPRsForWavesPerEU: 27
; NumVGPRsForWavesPerEU: 80
; NamedBarCnt: 0
; Occupancy: 12
; WaveLimiterHint : 0
; COMPUTE_PGM_RSRC2:SCRATCH_EN: 0
; COMPUTE_PGM_RSRC2:USER_SGPR: 2
; COMPUTE_PGM_RSRC2:TRAP_HANDLER: 0
; COMPUTE_PGM_RSRC2:TGID_X_EN: 1
; COMPUTE_PGM_RSRC2:TGID_Y_EN: 0
; COMPUTE_PGM_RSRC2:TGID_Z_EN: 0
; COMPUTE_PGM_RSRC2:TIDIG_COMP_CNT: 0
	.section	.text._ZN2at6native12_GLOBAL__N_125multi_tensor_apply_kernelINS1_18TensorListMetadataILi1EEENS1_14UnaryOpFunctorIfLi1ELi1ELi0EEEJNS0_3CosIfEEEEEvT_T0_DpT1_,"axG",@progbits,_ZN2at6native12_GLOBAL__N_125multi_tensor_apply_kernelINS1_18TensorListMetadataILi1EEENS1_14UnaryOpFunctorIfLi1ELi1ELi0EEEJNS0_3CosIfEEEEEvT_T0_DpT1_,comdat
	.globl	_ZN2at6native12_GLOBAL__N_125multi_tensor_apply_kernelINS1_18TensorListMetadataILi1EEENS1_14UnaryOpFunctorIfLi1ELi1ELi0EEEJNS0_3CosIfEEEEEvT_T0_DpT1_ ; -- Begin function _ZN2at6native12_GLOBAL__N_125multi_tensor_apply_kernelINS1_18TensorListMetadataILi1EEENS1_14UnaryOpFunctorIfLi1ELi1ELi0EEEJNS0_3CosIfEEEEEvT_T0_DpT1_
	.p2align	8
	.type	_ZN2at6native12_GLOBAL__N_125multi_tensor_apply_kernelINS1_18TensorListMetadataILi1EEENS1_14UnaryOpFunctorIfLi1ELi1ELi0EEEJNS0_3CosIfEEEEEvT_T0_DpT1_,@function
_ZN2at6native12_GLOBAL__N_125multi_tensor_apply_kernelINS1_18TensorListMetadataILi1EEENS1_14UnaryOpFunctorIfLi1ELi1ELi0EEEJNS0_3CosIfEEEEEvT_T0_DpT1_: ; @_ZN2at6native12_GLOBAL__N_125multi_tensor_apply_kernelINS1_18TensorListMetadataILi1EEENS1_14UnaryOpFunctorIfLi1ELi1ELi0EEEJNS0_3CosIfEEEEEvT_T0_DpT1_
; %bb.0:
	s_bfe_u32 s2, ttmp6, 0x4000c
	s_and_b32 s3, ttmp6, 15
	s_add_co_i32 s2, s2, 1
	s_getreg_b32 s4, hwreg(HW_REG_IB_STS2, 6, 4)
	s_mul_i32 s2, ttmp9, s2
	s_delay_alu instid0(SALU_CYCLE_1)
	s_add_co_i32 s3, s3, s2
	s_cmp_eq_u32 s4, 0
	s_cselect_b32 s2, ttmp9, s3
	s_mov_b32 s3, 0
	s_load_u8 s10, s[0:1], s2 offset:0x6e0
	s_add_nc_u64 s[4:5], s[0:1], s[2:3]
	s_mul_u64 s[6:7], s[2:3], 3
	s_delay_alu instid0(SALU_CYCLE_1)
	s_add_nc_u64 s[4:5], s[4:5], s[6:7]
	s_load_b32 s6, s[4:5], 0x820
	s_wait_kmcnt 0x0
	s_clause 0x1
	s_load_b64 s[8:9], s[0:1], s10 offset:0x0 scale_offset
	s_load_b64 s[12:13], s[0:1], s10 offset:0x370 scale_offset
	s_ashr_i32 s7, s6, 31
	s_wait_kmcnt 0x0
	s_and_b64 s[4:5], s[8:9], 15
	s_and_b32 s2, s12, 3
	s_lshl_b64 s[10:11], s[6:7], 18
	s_or_b64 s[2:3], s[4:5], s[2:3]
	s_lshl_b64 s[4:5], s[6:7], 16
	s_cmp_eq_u64 s[2:3], 0
	s_sub_nc_u64 s[12:13], s[12:13], s[4:5]
	s_cbranch_scc1 .LBB220_37
; %bb.1:
	v_cmp_lt_i64_e64 s2, s[12:13], 1
	s_and_b32 vcc_lo, exec_lo, s2
	s_cbranch_vccnz .LBB220_36
; %bb.2:
	s_load_b32 s4, s[0:1], 0xd3c
	v_min_i64 v[2:3], 0x10000, s[12:13]
	v_min_u64 v[4:5], 0x10000, s[12:13]
	v_dual_mov_b32 v7, 0 :: v_dual_lshlrev_b32 v6, 2, v0
	s_mov_b32 s21, 0
	s_add_nc_u64 s[2:3], s[8:9], s[10:11]
	s_mov_b32 s5, s21
	s_delay_alu instid0(VALU_DEP_1)
	v_mov_b32_e32 v1, v7
	v_add_nc_u64_e32 v[10:11], s[2:3], v[6:7]
	s_mov_b32 s7, s21
	s_mov_b32 s15, s21
	;; [unrolled: 1-line block ×3, first 2 shown]
	s_mov_b64 s[22:23], 0xfe5163ab
	s_mov_b64 s[24:25], 0
	s_mov_b32 s26, 0x7fffff
	s_mov_b32 s27, 0xb94c1982
	s_mov_b32 s28, 0x37d75334
	s_wait_kmcnt 0x0
	s_and_b32 s20, s4, 0xffff
	s_delay_alu instid0(SALU_CYCLE_1)
	v_add_nc_u64_e32 v[8:9], s[20:21], v[0:1]
	s_lshl_b32 s4, s20, 1
	s_mul_i32 s6, s20, 3
	s_lshl_b32 s14, s20, 2
	s_lshl_b32 s16, s20, 4
	s_mul_u64 s[18:19], s[20:21], 12
	s_lshl_b32 s20, s20, 3
	v_lshlrev_b32_e32 v6, 2, v8
	v_add_nc_u64_e32 v[12:13], s[6:7], v[0:1]
	v_add_nc_u64_e32 v[14:15], s[4:5], v[0:1]
	s_delay_alu instid0(VALU_DEP_3)
	v_add_nc_u64_e32 v[16:17], s[2:3], v[6:7]
	s_branch .LBB220_4
.LBB220_3:                              ;   in Loop: Header=BB220_4 Depth=1
	s_wait_xcnt 0x0
	s_or_b32 exec_lo, exec_lo, s2
	s_add_nc_u64 s[24:25], s[24:25], s[14:15]
	v_add_nc_u64_e32 v[10:11], s[16:17], v[10:11]
	v_cmp_ge_i64_e32 vcc_lo, s[24:25], v[2:3]
	v_add_nc_u64_e32 v[16:17], s[16:17], v[16:17]
	s_cbranch_vccnz .LBB220_36
.LBB220_4:                              ; =>This Inner Loop Header: Depth=1
	v_add_nc_u64_e32 v[18:19], s[24:25], v[0:1]
	v_mov_b32_e32 v25, 0
	s_delay_alu instid0(VALU_DEP_2)
	v_cmp_lt_u64_e64 s4, v[18:19], v[4:5]
	s_and_saveexec_b32 s2, s4
	s_cbranch_execz .LBB220_6
; %bb.5:                                ;   in Loop: Header=BB220_4 Depth=1
	global_load_b32 v6, v[10:11], off
	s_wait_loadcnt 0x0
	v_and_b32_e32 v25, 0x7fffffff, v6
.LBB220_6:                              ;   in Loop: Header=BB220_4 Depth=1
	s_wait_xcnt 0x0
	s_or_b32 exec_lo, exec_lo, s2
	v_add_nc_u64_e32 v[18:19], s[24:25], v[8:9]
	v_dual_mov_b32 v22, 0 :: v_dual_mov_b32 v24, 0
	s_delay_alu instid0(VALU_DEP_2)
	v_cmp_lt_u64_e64 s3, v[18:19], v[4:5]
	s_and_saveexec_b32 s2, s3
	s_cbranch_execz .LBB220_8
; %bb.7:                                ;   in Loop: Header=BB220_4 Depth=1
	global_load_b32 v6, v[16:17], off
	s_wait_loadcnt 0x0
	v_and_b32_e32 v24, 0x7fffffff, v6
.LBB220_8:                              ;   in Loop: Header=BB220_4 Depth=1
	s_wait_xcnt 0x0
	s_or_b32 exec_lo, exec_lo, s2
	v_add_nc_u64_e32 v[18:19], s[24:25], v[14:15]
	v_add_nc_u64_e32 v[20:21], s[20:21], v[10:11]
	s_delay_alu instid0(VALU_DEP_2)
	v_cmp_lt_u64_e64 s2, v[18:19], v[4:5]
	s_and_saveexec_b32 s5, s2
	s_cbranch_execz .LBB220_10
; %bb.9:                                ;   in Loop: Header=BB220_4 Depth=1
	global_load_b32 v6, v[20:21], off
	s_wait_loadcnt 0x0
	v_and_b32_e32 v22, 0x7fffffff, v6
.LBB220_10:                             ;   in Loop: Header=BB220_4 Depth=1
	s_wait_xcnt 0x0
	s_or_b32 exec_lo, exec_lo, s5
	v_add_nc_u64_e32 v[18:19], s[24:25], v[12:13]
	v_mov_b32_e32 v23, 0
	s_delay_alu instid0(VALU_DEP_2)
	v_cmp_lt_u64_e32 vcc_lo, v[18:19], v[4:5]
	v_add_nc_u64_e32 v[18:19], s[18:19], v[10:11]
	s_and_saveexec_b32 s5, vcc_lo
	s_cbranch_execz .LBB220_12
; %bb.11:                               ;   in Loop: Header=BB220_4 Depth=1
	global_load_b32 v6, v[18:19], off
	s_wait_loadcnt 0x0
	v_and_b32_e32 v23, 0x7fffffff, v6
.LBB220_12:                             ;   in Loop: Header=BB220_4 Depth=1
	s_wait_xcnt 0x0
	s_or_b32 exec_lo, exec_lo, s5
                                        ; implicit-def: $vgpr27
                                        ; implicit-def: $vgpr26
	s_delay_alu instid0(SALU_CYCLE_1)
	s_mov_b32 s6, exec_lo
	v_cmpx_ngt_f32_e32 0x48000000, v25
	s_xor_b32 s29, exec_lo, s6
	s_cbranch_execz .LBB220_14
; %bb.13:                               ;   in Loop: Header=BB220_4 Depth=1
	v_and_or_b32 v6, v25, s26, 0x800000
	v_dual_mov_b32 v37, v7 :: v_dual_mov_b32 v39, v7
	s_delay_alu instid0(VALU_DEP_2) | instskip(NEXT) | instid1(VALU_DEP_1)
	v_mul_u64_e32 v[26:27], s[22:23], v[6:7]
	v_dual_mov_b32 v29, v7 :: v_dual_mov_b32 v28, v27
	v_lshrrev_b32_e32 v27, 23, v25
	s_delay_alu instid0(VALU_DEP_2) | instskip(SKIP_1) | instid1(VALU_DEP_3)
	v_mad_nc_u64_u32 v[28:29], 0x3c439041, v6, v[28:29]
	v_mov_b32_e32 v31, v7
	v_add_nc_u32_e32 v27, 0xffffff88, v27
	s_delay_alu instid0(VALU_DEP_1) | instskip(NEXT) | instid1(VALU_DEP_4)
	v_cmp_lt_u32_e64 s5, 63, v27
	v_mov_b32_e32 v30, v29
	s_delay_alu instid0(VALU_DEP_2) | instskip(NEXT) | instid1(VALU_DEP_2)
	v_cndmask_b32_e64 v29, 0, 0xffffffc0, s5
	v_mad_nc_u64_u32 v[30:31], 0xdb629599, v6, v[30:31]
	s_delay_alu instid0(VALU_DEP_2) | instskip(NEXT) | instid1(VALU_DEP_1)
	v_dual_mov_b32 v33, v7 :: v_dual_add_nc_u32 v27, v29, v27
	v_cmp_lt_u32_e64 s6, 31, v27
	s_delay_alu instid0(VALU_DEP_3) | instskip(NEXT) | instid1(VALU_DEP_2)
	v_mov_b32_e32 v32, v31
	v_cndmask_b32_e64 v29, 0, 0xffffffe0, s6
	v_cndmask_b32_e64 v26, v30, v26, s5
	s_delay_alu instid0(VALU_DEP_3) | instskip(NEXT) | instid1(VALU_DEP_1)
	v_mad_nc_u64_u32 v[32:33], 0xf534ddc0, v6, v[32:33]
	v_dual_mov_b32 v35, v7 :: v_dual_mov_b32 v34, v33
	s_delay_alu instid0(VALU_DEP_1) | instskip(NEXT) | instid1(VALU_DEP_1)
	v_mad_nc_u64_u32 v[34:35], 0xfc2757d1, v6, v[34:35]
	v_mov_b32_e32 v36, v35
	s_delay_alu instid0(VALU_DEP_1) | instskip(NEXT) | instid1(VALU_DEP_1)
	v_mad_nc_u64_u32 v[36:37], 0x4e441529, v6, v[36:37]
	v_mov_b32_e32 v38, v37
	s_delay_alu instid0(VALU_DEP_1) | instskip(NEXT) | instid1(VALU_DEP_3)
	v_mad_nc_u64_u32 v[38:39], 0xa2f9836e, v6, v[38:39]
	v_dual_add_nc_u32 v6, v29, v27 :: v_dual_cndmask_b32 v29, v36, v32, s5
	s_delay_alu instid0(VALU_DEP_2) | instskip(NEXT) | instid1(VALU_DEP_2)
	v_cndmask_b32_e64 v31, v38, v34, s5
	v_cmp_lt_u32_e64 s7, 31, v6
	s_delay_alu instid0(VALU_DEP_4) | instskip(NEXT) | instid1(VALU_DEP_2)
	v_dual_cndmask_b32 v33, v39, v36, s5 :: v_dual_cndmask_b32 v34, v34, v30, s5
	v_cndmask_b32_e64 v27, 0, 0xffffffe0, s7
	s_delay_alu instid0(VALU_DEP_1) | instskip(NEXT) | instid1(VALU_DEP_3)
	v_dual_add_nc_u32 v6, v27, v6 :: v_dual_cndmask_b32 v27, v32, v28, s5
	v_dual_cndmask_b32 v28, v31, v29, s6 :: v_dual_cndmask_b32 v31, v33, v31, s6
	s_delay_alu instid0(VALU_DEP_4) | instskip(NEXT) | instid1(VALU_DEP_3)
	v_cndmask_b32_e64 v29, v29, v34, s6
	v_dual_sub_nc_u32 v32, 32, v6 :: v_dual_cndmask_b32 v33, v34, v27, s6
	v_cmp_eq_u32_e64 s5, 0, v6
	s_delay_alu instid0(VALU_DEP_3) | instskip(NEXT) | instid1(VALU_DEP_1)
	v_dual_cndmask_b32 v31, v31, v28, s7 :: v_dual_cndmask_b32 v28, v28, v29, s7
	v_alignbit_b32 v34, v31, v28, v32
	s_delay_alu instid0(VALU_DEP_1) | instskip(NEXT) | instid1(VALU_DEP_1)
	v_dual_cndmask_b32 v29, v29, v33, s7 :: v_dual_cndmask_b32 v6, v34, v31, s5
	v_alignbit_b32 v30, v28, v29, v32
	s_delay_alu instid0(VALU_DEP_1) | instskip(NEXT) | instid1(VALU_DEP_3)
	v_dual_cndmask_b32 v26, v27, v26, s6 :: v_dual_cndmask_b32 v27, v30, v28, s5
	v_bfe_u32 v28, v6, 29, 1
	s_delay_alu instid0(VALU_DEP_2) | instskip(NEXT) | instid1(VALU_DEP_3)
	v_cndmask_b32_e64 v26, v33, v26, s7
	v_alignbit_b32 v30, v6, v27, 30
	s_delay_alu instid0(VALU_DEP_3) | instskip(NEXT) | instid1(VALU_DEP_3)
	v_sub_nc_u32_e32 v31, 0, v28
	v_alignbit_b32 v32, v29, v26, v32
	s_delay_alu instid0(VALU_DEP_1) | instskip(NEXT) | instid1(VALU_DEP_1)
	v_dual_cndmask_b32 v29, v32, v29, s5 :: v_dual_bitop2_b32 v30, v30, v31 bitop3:0x14
	v_clz_i32_u32_e32 v32, v30
	s_delay_alu instid0(VALU_DEP_2) | instskip(SKIP_1) | instid1(VALU_DEP_3)
	v_alignbit_b32 v27, v27, v29, 30
	v_alignbit_b32 v26, v29, v26, 30
	v_min_u32_e32 v32, 32, v32
	s_delay_alu instid0(VALU_DEP_3) | instskip(NEXT) | instid1(VALU_DEP_3)
	v_xor_b32_e32 v27, v27, v31
	v_dual_lshrrev_b32 v31, 29, v6 :: v_dual_bitop2_b32 v26, v26, v31 bitop3:0x14
	s_delay_alu instid0(VALU_DEP_3) | instskip(NEXT) | instid1(VALU_DEP_1)
	v_dual_sub_nc_u32 v29, 31, v32 :: v_dual_lshlrev_b32 v33, 23, v32
	v_alignbit_b32 v30, v30, v27, v29
	s_delay_alu instid0(VALU_DEP_3) | instskip(NEXT) | instid1(VALU_DEP_4)
	v_alignbit_b32 v26, v27, v26, v29
	v_lshlrev_b32_e32 v27, 31, v31
	s_delay_alu instid0(VALU_DEP_2) | instskip(NEXT) | instid1(VALU_DEP_2)
	v_alignbit_b32 v29, v30, v26, 9
	v_dual_lshrrev_b32 v30, 9, v30 :: v_dual_bitop2_b32 v31, 0.5, v27 bitop3:0x54
	v_or_b32_e32 v27, 0x33000000, v27
	s_delay_alu instid0(VALU_DEP_3) | instskip(NEXT) | instid1(VALU_DEP_3)
	v_clz_i32_u32_e32 v34, v29
	v_sub_nc_u32_e32 v31, v31, v33
	s_delay_alu instid0(VALU_DEP_2) | instskip(NEXT) | instid1(VALU_DEP_1)
	v_min_u32_e32 v33, 32, v34
	v_add_lshl_u32 v32, v33, v32, 23
	s_delay_alu instid0(VALU_DEP_3) | instskip(SKIP_1) | instid1(VALU_DEP_2)
	v_or_b32_e32 v30, v30, v31
	v_not_b32_e32 v31, v33
	v_dual_mul_f32 v34, 0x3fc90fda, v30 :: v_dual_sub_nc_u32 v27, v27, v32
	s_delay_alu instid0(VALU_DEP_2) | instskip(NEXT) | instid1(VALU_DEP_2)
	v_alignbit_b32 v26, v29, v26, v31
	v_fma_f32 v29, 0x3fc90fda, v30, -v34
	s_delay_alu instid0(VALU_DEP_2) | instskip(NEXT) | instid1(VALU_DEP_2)
	v_lshrrev_b32_e32 v26, 9, v26
	v_fmac_f32_e32 v29, 0x33a22168, v30
	s_delay_alu instid0(VALU_DEP_2) | instskip(NEXT) | instid1(VALU_DEP_1)
	v_or_b32_e32 v26, v27, v26
	v_fmac_f32_e32 v29, 0x3fc90fda, v26
	s_delay_alu instid0(VALU_DEP_1) | instskip(NEXT) | instid1(VALU_DEP_1)
	v_dual_lshrrev_b32 v6, 30, v6 :: v_dual_add_f32 v26, v34, v29
	v_add_nc_u32_e32 v27, v28, v6
.LBB220_14:                             ;   in Loop: Header=BB220_4 Depth=1
	s_and_not1_saveexec_b32 s5, s29
; %bb.15:                               ;   in Loop: Header=BB220_4 Depth=1
	v_mul_f32_e32 v6, 0x3f22f983, v25
	s_delay_alu instid0(VALU_DEP_1) | instskip(NEXT) | instid1(VALU_DEP_1)
	v_rndne_f32_e32 v6, v6
	v_fmamk_f32 v26, v6, 0xbfc90fda, v25
	v_cvt_i32_f32_e32 v27, v6
	s_delay_alu instid0(VALU_DEP_2) | instskip(NEXT) | instid1(VALU_DEP_1)
	v_fmac_f32_e32 v26, 0xb3a22168, v6
	v_fmac_f32_e32 v26, 0xa7c234c4, v6
; %bb.16:                               ;   in Loop: Header=BB220_4 Depth=1
	s_or_b32 exec_lo, exec_lo, s5
                                        ; implicit-def: $vgpr29
                                        ; implicit-def: $vgpr28
	s_delay_alu instid0(SALU_CYCLE_1)
	s_mov_b32 s6, exec_lo
	v_cmpx_ngt_f32_e32 0x48000000, v24
	s_xor_b32 s29, exec_lo, s6
	s_cbranch_execz .LBB220_18
; %bb.17:                               ;   in Loop: Header=BB220_4 Depth=1
	v_and_or_b32 v6, v24, s26, 0x800000
	v_mov_b32_e32 v39, v7
	s_delay_alu instid0(VALU_DEP_2) | instskip(NEXT) | instid1(VALU_DEP_1)
	v_mul_u64_e32 v[28:29], s[22:23], v[6:7]
	v_dual_mov_b32 v31, v7 :: v_dual_mov_b32 v30, v29
	v_lshrrev_b32_e32 v29, 23, v24
	s_delay_alu instid0(VALU_DEP_2) | instskip(SKIP_1) | instid1(VALU_DEP_3)
	v_mad_nc_u64_u32 v[30:31], 0x3c439041, v6, v[30:31]
	v_mov_b32_e32 v33, v7
	v_add_nc_u32_e32 v29, 0xffffff88, v29
	s_delay_alu instid0(VALU_DEP_1) | instskip(NEXT) | instid1(VALU_DEP_4)
	v_cmp_lt_u32_e64 s5, 63, v29
	v_mov_b32_e32 v32, v31
	s_delay_alu instid0(VALU_DEP_2) | instskip(NEXT) | instid1(VALU_DEP_2)
	v_cndmask_b32_e64 v31, 0, 0xffffffc0, s5
	v_mad_nc_u64_u32 v[32:33], 0xdb629599, v6, v[32:33]
	s_delay_alu instid0(VALU_DEP_1) | instskip(NEXT) | instid1(VALU_DEP_2)
	v_dual_mov_b32 v35, v7 :: v_dual_mov_b32 v34, v33
	v_cndmask_b32_e64 v28, v32, v28, s5
	s_delay_alu instid0(VALU_DEP_2) | instskip(NEXT) | instid1(VALU_DEP_1)
	v_mad_nc_u64_u32 v[34:35], 0xf534ddc0, v6, v[34:35]
	v_dual_mov_b32 v37, v7 :: v_dual_mov_b32 v36, v35
	s_delay_alu instid0(VALU_DEP_1) | instskip(NEXT) | instid1(VALU_DEP_1)
	v_mad_nc_u64_u32 v[36:37], 0xfc2757d1, v6, v[36:37]
	v_mov_b32_e32 v38, v37
	s_delay_alu instid0(VALU_DEP_1) | instskip(SKIP_2) | instid1(VALU_DEP_2)
	v_mad_nc_u64_u32 v[38:39], 0x4e441529, v6, v[38:39]
	v_add_nc_u32_e32 v29, v31, v29
	v_mov_b32_e32 v41, v7
	v_cmp_lt_u32_e64 s6, 31, v29
	s_delay_alu instid0(VALU_DEP_4) | instskip(NEXT) | instid1(VALU_DEP_2)
	v_mov_b32_e32 v40, v39
	v_cndmask_b32_e64 v31, 0, 0xffffffe0, s6
	s_delay_alu instid0(VALU_DEP_2) | instskip(NEXT) | instid1(VALU_DEP_2)
	v_mad_nc_u64_u32 v[40:41], 0xa2f9836e, v6, v[40:41]
	v_dual_add_nc_u32 v6, v31, v29 :: v_dual_cndmask_b32 v31, v38, v34, s5
	s_delay_alu instid0(VALU_DEP_2) | instskip(NEXT) | instid1(VALU_DEP_2)
	v_cndmask_b32_e64 v33, v40, v36, s5
	v_cmp_lt_u32_e64 s7, 31, v6
	s_delay_alu instid0(VALU_DEP_4) | instskip(NEXT) | instid1(VALU_DEP_2)
	v_dual_cndmask_b32 v35, v41, v38, s5 :: v_dual_cndmask_b32 v36, v36, v32, s5
	v_cndmask_b32_e64 v29, 0, 0xffffffe0, s7
	s_delay_alu instid0(VALU_DEP_1) | instskip(SKIP_1) | instid1(VALU_DEP_4)
	v_add_nc_u32_e32 v6, v29, v6
	v_dual_cndmask_b32 v29, v34, v30, s5 :: v_dual_cndmask_b32 v30, v33, v31, s6
	v_cndmask_b32_e64 v33, v35, v33, s6
	s_delay_alu instid0(VALU_DEP_3) | instskip(NEXT) | instid1(VALU_DEP_3)
	v_dual_cndmask_b32 v31, v31, v36, s6 :: v_dual_sub_nc_u32 v34, 32, v6
	v_cndmask_b32_e64 v35, v36, v29, s6
	v_cmp_eq_u32_e64 s5, 0, v6
	s_delay_alu instid0(VALU_DEP_3) | instskip(NEXT) | instid1(VALU_DEP_1)
	v_dual_cndmask_b32 v33, v33, v30, s7 :: v_dual_cndmask_b32 v30, v30, v31, s7
	v_alignbit_b32 v36, v33, v30, v34
	s_delay_alu instid0(VALU_DEP_1) | instskip(NEXT) | instid1(VALU_DEP_1)
	v_dual_cndmask_b32 v31, v31, v35, s7 :: v_dual_cndmask_b32 v6, v36, v33, s5
	v_alignbit_b32 v32, v30, v31, v34
	s_delay_alu instid0(VALU_DEP_1) | instskip(NEXT) | instid1(VALU_DEP_3)
	v_dual_cndmask_b32 v28, v29, v28, s6 :: v_dual_cndmask_b32 v29, v32, v30, s5
	v_bfe_u32 v30, v6, 29, 1
	s_delay_alu instid0(VALU_DEP_2) | instskip(NEXT) | instid1(VALU_DEP_3)
	v_cndmask_b32_e64 v28, v35, v28, s7
	v_alignbit_b32 v32, v6, v29, 30
	s_delay_alu instid0(VALU_DEP_3) | instskip(NEXT) | instid1(VALU_DEP_3)
	v_sub_nc_u32_e32 v33, 0, v30
	v_alignbit_b32 v34, v31, v28, v34
	s_delay_alu instid0(VALU_DEP_1) | instskip(NEXT) | instid1(VALU_DEP_1)
	v_dual_cndmask_b32 v31, v34, v31, s5 :: v_dual_bitop2_b32 v32, v32, v33 bitop3:0x14
	v_clz_i32_u32_e32 v34, v32
	s_delay_alu instid0(VALU_DEP_2) | instskip(SKIP_1) | instid1(VALU_DEP_3)
	v_alignbit_b32 v29, v29, v31, 30
	v_alignbit_b32 v28, v31, v28, 30
	v_min_u32_e32 v34, 32, v34
	s_delay_alu instid0(VALU_DEP_3) | instskip(NEXT) | instid1(VALU_DEP_3)
	v_xor_b32_e32 v29, v29, v33
	v_dual_lshrrev_b32 v33, 29, v6 :: v_dual_bitop2_b32 v28, v28, v33 bitop3:0x14
	v_lshrrev_b32_e32 v6, 30, v6
	s_delay_alu instid0(VALU_DEP_4) | instskip(NEXT) | instid1(VALU_DEP_1)
	v_dual_sub_nc_u32 v31, 31, v34 :: v_dual_lshlrev_b32 v35, 23, v34
	v_alignbit_b32 v32, v32, v29, v31
	s_delay_alu instid0(VALU_DEP_4) | instskip(SKIP_1) | instid1(VALU_DEP_2)
	v_alignbit_b32 v28, v29, v28, v31
	v_lshlrev_b32_e32 v29, 31, v33
	v_alignbit_b32 v31, v32, v28, 9
	s_delay_alu instid0(VALU_DEP_2) | instskip(SKIP_1) | instid1(VALU_DEP_3)
	v_dual_lshrrev_b32 v32, 9, v32 :: v_dual_bitop2_b32 v33, 0.5, v29 bitop3:0x54
	v_or_b32_e32 v29, 0x33000000, v29
	v_clz_i32_u32_e32 v36, v31
	s_delay_alu instid0(VALU_DEP_3) | instskip(NEXT) | instid1(VALU_DEP_2)
	v_sub_nc_u32_e32 v33, v33, v35
	v_min_u32_e32 v35, 32, v36
	s_delay_alu instid0(VALU_DEP_1) | instskip(NEXT) | instid1(VALU_DEP_3)
	v_add_lshl_u32 v34, v35, v34, 23
	v_or_b32_e32 v32, v32, v33
	v_not_b32_e32 v33, v35
	s_delay_alu instid0(VALU_DEP_2) | instskip(NEXT) | instid1(VALU_DEP_2)
	v_dual_mul_f32 v36, 0x3fc90fda, v32 :: v_dual_sub_nc_u32 v29, v29, v34
	v_alignbit_b32 v28, v31, v28, v33
	s_delay_alu instid0(VALU_DEP_2) | instskip(NEXT) | instid1(VALU_DEP_2)
	v_fma_f32 v31, 0x3fc90fda, v32, -v36
	v_lshrrev_b32_e32 v28, 9, v28
	s_delay_alu instid0(VALU_DEP_2) | instskip(NEXT) | instid1(VALU_DEP_2)
	v_fmac_f32_e32 v31, 0x33a22168, v32
	v_dual_add_nc_u32 v29, v30, v6 :: v_dual_bitop2_b32 v28, v29, v28 bitop3:0x54
	s_delay_alu instid0(VALU_DEP_1) | instskip(NEXT) | instid1(VALU_DEP_1)
	v_fmac_f32_e32 v31, 0x3fc90fda, v28
	v_add_f32_e32 v28, v36, v31
.LBB220_18:                             ;   in Loop: Header=BB220_4 Depth=1
	s_and_not1_saveexec_b32 s5, s29
; %bb.19:                               ;   in Loop: Header=BB220_4 Depth=1
	v_mul_f32_e32 v6, 0x3f22f983, v24
	s_delay_alu instid0(VALU_DEP_1) | instskip(NEXT) | instid1(VALU_DEP_1)
	v_rndne_f32_e32 v6, v6
	v_fmamk_f32 v28, v6, 0xbfc90fda, v24
	v_cvt_i32_f32_e32 v29, v6
	s_delay_alu instid0(VALU_DEP_2) | instskip(NEXT) | instid1(VALU_DEP_1)
	v_fmac_f32_e32 v28, 0xb3a22168, v6
	v_fmac_f32_e32 v28, 0xa7c234c4, v6
; %bb.20:                               ;   in Loop: Header=BB220_4 Depth=1
	s_or_b32 exec_lo, exec_lo, s5
                                        ; implicit-def: $vgpr31
                                        ; implicit-def: $vgpr30
	s_delay_alu instid0(SALU_CYCLE_1)
	s_mov_b32 s6, exec_lo
	v_cmpx_ngt_f32_e32 0x48000000, v22
	s_xor_b32 s29, exec_lo, s6
	s_cbranch_execz .LBB220_22
; %bb.21:                               ;   in Loop: Header=BB220_4 Depth=1
	v_and_or_b32 v6, v22, s26, 0x800000
	v_dual_mov_b32 v41, v7 :: v_dual_mov_b32 v43, v7
	s_delay_alu instid0(VALU_DEP_2) | instskip(NEXT) | instid1(VALU_DEP_1)
	v_mul_u64_e32 v[30:31], s[22:23], v[6:7]
	v_dual_mov_b32 v33, v7 :: v_dual_mov_b32 v32, v31
	v_lshrrev_b32_e32 v31, 23, v22
	s_delay_alu instid0(VALU_DEP_2) | instskip(SKIP_1) | instid1(VALU_DEP_3)
	v_mad_nc_u64_u32 v[32:33], 0x3c439041, v6, v[32:33]
	v_mov_b32_e32 v35, v7
	v_add_nc_u32_e32 v31, 0xffffff88, v31
	s_delay_alu instid0(VALU_DEP_1) | instskip(NEXT) | instid1(VALU_DEP_4)
	v_cmp_lt_u32_e64 s5, 63, v31
	v_mov_b32_e32 v34, v33
	s_delay_alu instid0(VALU_DEP_2) | instskip(NEXT) | instid1(VALU_DEP_2)
	v_cndmask_b32_e64 v33, 0, 0xffffffc0, s5
	v_mad_nc_u64_u32 v[34:35], 0xdb629599, v6, v[34:35]
	s_delay_alu instid0(VALU_DEP_2) | instskip(NEXT) | instid1(VALU_DEP_1)
	v_dual_mov_b32 v37, v7 :: v_dual_add_nc_u32 v31, v33, v31
	v_cmp_lt_u32_e64 s6, 31, v31
	s_delay_alu instid0(VALU_DEP_3) | instskip(NEXT) | instid1(VALU_DEP_2)
	v_mov_b32_e32 v36, v35
	v_cndmask_b32_e64 v33, 0, 0xffffffe0, s6
	v_cndmask_b32_e64 v30, v34, v30, s5
	s_delay_alu instid0(VALU_DEP_3) | instskip(NEXT) | instid1(VALU_DEP_1)
	v_mad_nc_u64_u32 v[36:37], 0xf534ddc0, v6, v[36:37]
	v_dual_mov_b32 v39, v7 :: v_dual_mov_b32 v38, v37
	s_delay_alu instid0(VALU_DEP_1) | instskip(NEXT) | instid1(VALU_DEP_1)
	v_mad_nc_u64_u32 v[38:39], 0xfc2757d1, v6, v[38:39]
	v_mov_b32_e32 v40, v39
	s_delay_alu instid0(VALU_DEP_1) | instskip(NEXT) | instid1(VALU_DEP_1)
	v_mad_nc_u64_u32 v[40:41], 0x4e441529, v6, v[40:41]
	v_mov_b32_e32 v42, v41
	s_delay_alu instid0(VALU_DEP_1) | instskip(NEXT) | instid1(VALU_DEP_3)
	v_mad_nc_u64_u32 v[42:43], 0xa2f9836e, v6, v[42:43]
	v_dual_add_nc_u32 v6, v33, v31 :: v_dual_cndmask_b32 v33, v40, v36, s5
	s_delay_alu instid0(VALU_DEP_2) | instskip(NEXT) | instid1(VALU_DEP_2)
	v_cndmask_b32_e64 v35, v42, v38, s5
	v_cmp_lt_u32_e64 s7, 31, v6
	s_delay_alu instid0(VALU_DEP_4) | instskip(NEXT) | instid1(VALU_DEP_2)
	v_dual_cndmask_b32 v37, v43, v40, s5 :: v_dual_cndmask_b32 v38, v38, v34, s5
	v_cndmask_b32_e64 v31, 0, 0xffffffe0, s7
	s_delay_alu instid0(VALU_DEP_1) | instskip(NEXT) | instid1(VALU_DEP_3)
	v_dual_add_nc_u32 v6, v31, v6 :: v_dual_cndmask_b32 v31, v36, v32, s5
	v_dual_cndmask_b32 v32, v35, v33, s6 :: v_dual_cndmask_b32 v35, v37, v35, s6
	s_delay_alu instid0(VALU_DEP_4) | instskip(NEXT) | instid1(VALU_DEP_3)
	v_cndmask_b32_e64 v33, v33, v38, s6
	v_dual_sub_nc_u32 v36, 32, v6 :: v_dual_cndmask_b32 v37, v38, v31, s6
	v_cmp_eq_u32_e64 s5, 0, v6
	s_delay_alu instid0(VALU_DEP_3) | instskip(NEXT) | instid1(VALU_DEP_1)
	v_dual_cndmask_b32 v35, v35, v32, s7 :: v_dual_cndmask_b32 v32, v32, v33, s7
	v_alignbit_b32 v38, v35, v32, v36
	s_delay_alu instid0(VALU_DEP_1) | instskip(NEXT) | instid1(VALU_DEP_1)
	v_dual_cndmask_b32 v33, v33, v37, s7 :: v_dual_cndmask_b32 v6, v38, v35, s5
	v_alignbit_b32 v34, v32, v33, v36
	s_delay_alu instid0(VALU_DEP_1) | instskip(NEXT) | instid1(VALU_DEP_3)
	v_dual_cndmask_b32 v30, v31, v30, s6 :: v_dual_cndmask_b32 v31, v34, v32, s5
	v_bfe_u32 v32, v6, 29, 1
	s_delay_alu instid0(VALU_DEP_2) | instskip(NEXT) | instid1(VALU_DEP_3)
	v_cndmask_b32_e64 v30, v37, v30, s7
	v_alignbit_b32 v34, v6, v31, 30
	s_delay_alu instid0(VALU_DEP_3) | instskip(NEXT) | instid1(VALU_DEP_3)
	v_sub_nc_u32_e32 v35, 0, v32
	v_alignbit_b32 v36, v33, v30, v36
	s_delay_alu instid0(VALU_DEP_1) | instskip(NEXT) | instid1(VALU_DEP_1)
	v_dual_cndmask_b32 v33, v36, v33, s5 :: v_dual_bitop2_b32 v34, v34, v35 bitop3:0x14
	v_clz_i32_u32_e32 v36, v34
	s_delay_alu instid0(VALU_DEP_2) | instskip(SKIP_1) | instid1(VALU_DEP_3)
	v_alignbit_b32 v31, v31, v33, 30
	v_alignbit_b32 v30, v33, v30, 30
	v_min_u32_e32 v36, 32, v36
	s_delay_alu instid0(VALU_DEP_3) | instskip(NEXT) | instid1(VALU_DEP_3)
	v_xor_b32_e32 v31, v31, v35
	v_dual_lshrrev_b32 v35, 29, v6 :: v_dual_bitop2_b32 v30, v30, v35 bitop3:0x14
	s_delay_alu instid0(VALU_DEP_3) | instskip(NEXT) | instid1(VALU_DEP_1)
	v_dual_sub_nc_u32 v33, 31, v36 :: v_dual_lshlrev_b32 v37, 23, v36
	v_alignbit_b32 v34, v34, v31, v33
	s_delay_alu instid0(VALU_DEP_3) | instskip(NEXT) | instid1(VALU_DEP_4)
	v_alignbit_b32 v30, v31, v30, v33
	v_lshlrev_b32_e32 v31, 31, v35
	s_delay_alu instid0(VALU_DEP_2) | instskip(NEXT) | instid1(VALU_DEP_2)
	v_alignbit_b32 v33, v34, v30, 9
	v_dual_lshrrev_b32 v34, 9, v34 :: v_dual_bitop2_b32 v35, 0.5, v31 bitop3:0x54
	v_or_b32_e32 v31, 0x33000000, v31
	s_delay_alu instid0(VALU_DEP_3) | instskip(NEXT) | instid1(VALU_DEP_3)
	v_clz_i32_u32_e32 v38, v33
	v_sub_nc_u32_e32 v35, v35, v37
	s_delay_alu instid0(VALU_DEP_2) | instskip(NEXT) | instid1(VALU_DEP_1)
	v_min_u32_e32 v37, 32, v38
	v_add_lshl_u32 v36, v37, v36, 23
	s_delay_alu instid0(VALU_DEP_3) | instskip(SKIP_1) | instid1(VALU_DEP_2)
	v_or_b32_e32 v34, v34, v35
	v_not_b32_e32 v35, v37
	v_dual_mul_f32 v38, 0x3fc90fda, v34 :: v_dual_sub_nc_u32 v31, v31, v36
	s_delay_alu instid0(VALU_DEP_2) | instskip(NEXT) | instid1(VALU_DEP_2)
	v_alignbit_b32 v30, v33, v30, v35
	v_fma_f32 v33, 0x3fc90fda, v34, -v38
	s_delay_alu instid0(VALU_DEP_2) | instskip(NEXT) | instid1(VALU_DEP_2)
	v_lshrrev_b32_e32 v30, 9, v30
	v_fmac_f32_e32 v33, 0x33a22168, v34
	s_delay_alu instid0(VALU_DEP_2) | instskip(NEXT) | instid1(VALU_DEP_1)
	v_or_b32_e32 v30, v31, v30
	v_fmac_f32_e32 v33, 0x3fc90fda, v30
	s_delay_alu instid0(VALU_DEP_1) | instskip(NEXT) | instid1(VALU_DEP_1)
	v_dual_lshrrev_b32 v6, 30, v6 :: v_dual_add_f32 v30, v38, v33
	v_add_nc_u32_e32 v31, v32, v6
.LBB220_22:                             ;   in Loop: Header=BB220_4 Depth=1
	s_and_not1_saveexec_b32 s5, s29
; %bb.23:                               ;   in Loop: Header=BB220_4 Depth=1
	v_mul_f32_e32 v6, 0x3f22f983, v22
	s_delay_alu instid0(VALU_DEP_1) | instskip(NEXT) | instid1(VALU_DEP_1)
	v_rndne_f32_e32 v6, v6
	v_fmamk_f32 v30, v6, 0xbfc90fda, v22
	v_cvt_i32_f32_e32 v31, v6
	s_delay_alu instid0(VALU_DEP_2) | instskip(NEXT) | instid1(VALU_DEP_1)
	v_fmac_f32_e32 v30, 0xb3a22168, v6
	v_fmac_f32_e32 v30, 0xa7c234c4, v6
; %bb.24:                               ;   in Loop: Header=BB220_4 Depth=1
	s_or_b32 exec_lo, exec_lo, s5
                                        ; implicit-def: $vgpr32
                                        ; implicit-def: $vgpr6
	s_delay_alu instid0(SALU_CYCLE_1)
	s_mov_b32 s6, exec_lo
	v_cmpx_ngt_f32_e32 0x48000000, v23
	s_xor_b32 s29, exec_lo, s6
	s_cbranch_execnz .LBB220_30
; %bb.25:                               ;   in Loop: Header=BB220_4 Depth=1
	s_and_not1_saveexec_b32 s5, s29
	s_cbranch_execnz .LBB220_31
.LBB220_26:                             ;   in Loop: Header=BB220_4 Depth=1
	s_or_b32 exec_lo, exec_lo, s5
	s_and_saveexec_b32 s5, s4
	s_delay_alu instid0(SALU_CYCLE_1)
	s_xor_b32 s5, exec_lo, s5
	s_cbranch_execnz .LBB220_32
.LBB220_27:                             ;   in Loop: Header=BB220_4 Depth=1
	s_or_b32 exec_lo, exec_lo, s5
	s_and_saveexec_b32 s4, s3
	s_cbranch_execnz .LBB220_33
.LBB220_28:                             ;   in Loop: Header=BB220_4 Depth=1
	s_or_b32 exec_lo, exec_lo, s4
	s_and_saveexec_b32 s3, s2
	s_cbranch_execnz .LBB220_34
.LBB220_29:                             ;   in Loop: Header=BB220_4 Depth=1
	s_or_b32 exec_lo, exec_lo, s3
	s_and_saveexec_b32 s2, vcc_lo
	s_cbranch_execz .LBB220_3
	s_branch .LBB220_35
.LBB220_30:                             ;   in Loop: Header=BB220_4 Depth=1
	v_and_or_b32 v6, v23, s26, 0x800000
	v_mov_b32_e32 v43, v7
	s_delay_alu instid0(VALU_DEP_2) | instskip(NEXT) | instid1(VALU_DEP_1)
	v_mul_u64_e32 v[32:33], s[22:23], v[6:7]
	v_dual_mov_b32 v35, v7 :: v_dual_mov_b32 v34, v33
	v_lshrrev_b32_e32 v33, 23, v23
	s_delay_alu instid0(VALU_DEP_2) | instskip(SKIP_1) | instid1(VALU_DEP_3)
	v_mad_nc_u64_u32 v[34:35], 0x3c439041, v6, v[34:35]
	v_mov_b32_e32 v37, v7
	v_add_nc_u32_e32 v33, 0xffffff88, v33
	s_delay_alu instid0(VALU_DEP_1) | instskip(NEXT) | instid1(VALU_DEP_4)
	v_cmp_lt_u32_e64 s5, 63, v33
	v_mov_b32_e32 v36, v35
	s_delay_alu instid0(VALU_DEP_2) | instskip(NEXT) | instid1(VALU_DEP_2)
	v_cndmask_b32_e64 v35, 0, 0xffffffc0, s5
	v_mad_nc_u64_u32 v[36:37], 0xdb629599, v6, v[36:37]
	s_delay_alu instid0(VALU_DEP_1) | instskip(NEXT) | instid1(VALU_DEP_2)
	v_dual_mov_b32 v39, v7 :: v_dual_mov_b32 v38, v37
	v_cndmask_b32_e64 v32, v36, v32, s5
	s_delay_alu instid0(VALU_DEP_2) | instskip(NEXT) | instid1(VALU_DEP_1)
	v_mad_nc_u64_u32 v[38:39], 0xf534ddc0, v6, v[38:39]
	v_dual_mov_b32 v41, v7 :: v_dual_mov_b32 v40, v39
	s_delay_alu instid0(VALU_DEP_1) | instskip(NEXT) | instid1(VALU_DEP_1)
	v_mad_nc_u64_u32 v[40:41], 0xfc2757d1, v6, v[40:41]
	v_mov_b32_e32 v42, v41
	s_delay_alu instid0(VALU_DEP_1) | instskip(SKIP_2) | instid1(VALU_DEP_2)
	v_mad_nc_u64_u32 v[42:43], 0x4e441529, v6, v[42:43]
	v_add_nc_u32_e32 v33, v35, v33
	v_mov_b32_e32 v45, v7
	v_cmp_lt_u32_e64 s6, 31, v33
	s_delay_alu instid0(VALU_DEP_4) | instskip(NEXT) | instid1(VALU_DEP_2)
	v_mov_b32_e32 v44, v43
	v_cndmask_b32_e64 v35, 0, 0xffffffe0, s6
	s_delay_alu instid0(VALU_DEP_2) | instskip(NEXT) | instid1(VALU_DEP_2)
	v_mad_nc_u64_u32 v[44:45], 0xa2f9836e, v6, v[44:45]
	v_dual_add_nc_u32 v6, v35, v33 :: v_dual_cndmask_b32 v35, v42, v38, s5
	s_delay_alu instid0(VALU_DEP_2) | instskip(NEXT) | instid1(VALU_DEP_2)
	v_cndmask_b32_e64 v37, v44, v40, s5
	v_cmp_lt_u32_e64 s7, 31, v6
	s_delay_alu instid0(VALU_DEP_4) | instskip(NEXT) | instid1(VALU_DEP_2)
	v_dual_cndmask_b32 v39, v45, v42, s5 :: v_dual_cndmask_b32 v40, v40, v36, s5
	v_cndmask_b32_e64 v33, 0, 0xffffffe0, s7
	s_delay_alu instid0(VALU_DEP_1) | instskip(SKIP_1) | instid1(VALU_DEP_4)
	v_add_nc_u32_e32 v6, v33, v6
	v_dual_cndmask_b32 v33, v38, v34, s5 :: v_dual_cndmask_b32 v34, v37, v35, s6
	v_cndmask_b32_e64 v37, v39, v37, s6
	s_delay_alu instid0(VALU_DEP_3) | instskip(NEXT) | instid1(VALU_DEP_3)
	v_dual_cndmask_b32 v35, v35, v40, s6 :: v_dual_sub_nc_u32 v38, 32, v6
	v_cndmask_b32_e64 v39, v40, v33, s6
	v_cmp_eq_u32_e64 s5, 0, v6
	s_delay_alu instid0(VALU_DEP_3) | instskip(NEXT) | instid1(VALU_DEP_1)
	v_dual_cndmask_b32 v37, v37, v34, s7 :: v_dual_cndmask_b32 v34, v34, v35, s7
	v_alignbit_b32 v40, v37, v34, v38
	s_delay_alu instid0(VALU_DEP_1) | instskip(NEXT) | instid1(VALU_DEP_1)
	v_dual_cndmask_b32 v35, v35, v39, s7 :: v_dual_cndmask_b32 v6, v40, v37, s5
	v_alignbit_b32 v36, v34, v35, v38
	s_delay_alu instid0(VALU_DEP_1) | instskip(NEXT) | instid1(VALU_DEP_3)
	v_dual_cndmask_b32 v32, v33, v32, s6 :: v_dual_cndmask_b32 v33, v36, v34, s5
	v_bfe_u32 v34, v6, 29, 1
	s_delay_alu instid0(VALU_DEP_2) | instskip(NEXT) | instid1(VALU_DEP_3)
	v_cndmask_b32_e64 v32, v39, v32, s7
	v_alignbit_b32 v36, v6, v33, 30
	s_delay_alu instid0(VALU_DEP_3) | instskip(NEXT) | instid1(VALU_DEP_3)
	v_sub_nc_u32_e32 v37, 0, v34
	v_alignbit_b32 v38, v35, v32, v38
	s_delay_alu instid0(VALU_DEP_1) | instskip(NEXT) | instid1(VALU_DEP_1)
	v_dual_cndmask_b32 v35, v38, v35, s5 :: v_dual_bitop2_b32 v36, v36, v37 bitop3:0x14
	v_clz_i32_u32_e32 v38, v36
	s_delay_alu instid0(VALU_DEP_2) | instskip(SKIP_1) | instid1(VALU_DEP_3)
	v_alignbit_b32 v33, v33, v35, 30
	v_alignbit_b32 v32, v35, v32, 30
	v_min_u32_e32 v38, 32, v38
	s_delay_alu instid0(VALU_DEP_3) | instskip(NEXT) | instid1(VALU_DEP_3)
	v_xor_b32_e32 v33, v33, v37
	v_dual_lshrrev_b32 v37, 29, v6 :: v_dual_bitop2_b32 v32, v32, v37 bitop3:0x14
	s_delay_alu instid0(VALU_DEP_3) | instskip(NEXT) | instid1(VALU_DEP_1)
	v_dual_sub_nc_u32 v35, 31, v38 :: v_dual_lshlrev_b32 v39, 23, v38
	v_alignbit_b32 v36, v36, v33, v35
	s_delay_alu instid0(VALU_DEP_3) | instskip(NEXT) | instid1(VALU_DEP_4)
	v_alignbit_b32 v32, v33, v32, v35
	v_lshlrev_b32_e32 v33, 31, v37
	s_delay_alu instid0(VALU_DEP_2) | instskip(NEXT) | instid1(VALU_DEP_2)
	v_alignbit_b32 v35, v36, v32, 9
	v_dual_lshrrev_b32 v36, 9, v36 :: v_dual_bitop2_b32 v37, 0.5, v33 bitop3:0x54
	v_or_b32_e32 v33, 0x33000000, v33
	s_delay_alu instid0(VALU_DEP_3) | instskip(NEXT) | instid1(VALU_DEP_3)
	v_clz_i32_u32_e32 v40, v35
	v_sub_nc_u32_e32 v37, v37, v39
	s_delay_alu instid0(VALU_DEP_2) | instskip(NEXT) | instid1(VALU_DEP_1)
	v_min_u32_e32 v39, 32, v40
	v_add_lshl_u32 v38, v39, v38, 23
	s_delay_alu instid0(VALU_DEP_3) | instskip(SKIP_1) | instid1(VALU_DEP_2)
	v_or_b32_e32 v36, v36, v37
	v_not_b32_e32 v37, v39
	v_dual_mul_f32 v40, 0x3fc90fda, v36 :: v_dual_sub_nc_u32 v33, v33, v38
	s_delay_alu instid0(VALU_DEP_2) | instskip(NEXT) | instid1(VALU_DEP_2)
	v_alignbit_b32 v32, v35, v32, v37
	v_fma_f32 v35, 0x3fc90fda, v36, -v40
	s_delay_alu instid0(VALU_DEP_2) | instskip(NEXT) | instid1(VALU_DEP_2)
	v_lshrrev_b32_e32 v32, 9, v32
	v_fmac_f32_e32 v35, 0x33a22168, v36
	s_delay_alu instid0(VALU_DEP_2) | instskip(NEXT) | instid1(VALU_DEP_1)
	v_or_b32_e32 v32, v33, v32
	v_dual_fmac_f32 v35, 0x3fc90fda, v32 :: v_dual_lshrrev_b32 v32, 30, v6
	s_delay_alu instid0(VALU_DEP_1)
	v_dual_add_nc_u32 v32, v34, v32 :: v_dual_add_f32 v6, v40, v35
	s_and_not1_saveexec_b32 s5, s29
	s_cbranch_execz .LBB220_26
.LBB220_31:                             ;   in Loop: Header=BB220_4 Depth=1
	v_mul_f32_e32 v6, 0x3f22f983, v23
	s_delay_alu instid0(VALU_DEP_1) | instskip(NEXT) | instid1(VALU_DEP_1)
	v_rndne_f32_e32 v32, v6
	v_fmamk_f32 v6, v32, 0xbfc90fda, v23
	s_delay_alu instid0(VALU_DEP_1) | instskip(NEXT) | instid1(VALU_DEP_1)
	v_fmac_f32_e32 v6, 0xb3a22168, v32
	v_fmac_f32_e32 v6, 0xa7c234c4, v32
	v_cvt_i32_f32_e32 v32, v32
	s_or_b32 exec_lo, exec_lo, s5
	s_and_saveexec_b32 s5, s4
	s_delay_alu instid0(SALU_CYCLE_1)
	s_xor_b32 s5, exec_lo, s5
	s_cbranch_execz .LBB220_27
.LBB220_32:                             ;   in Loop: Header=BB220_4 Depth=1
	v_dual_mul_f32 v33, v26, v26 :: v_dual_bitop2_b32 v36, 1, v27 bitop3:0x40
	s_delay_alu instid0(VALU_DEP_1) | instskip(NEXT) | instid1(VALU_DEP_2)
	v_dual_fmaak_f32 v34, s27, v33, 0x3c0881c4 :: v_dual_lshlrev_b32 v27, 30, v27
	v_cmp_eq_u32_e64 s4, 0, v36
	s_delay_alu instid0(VALU_DEP_2) | instskip(NEXT) | instid1(VALU_DEP_1)
	v_fmaak_f32 v34, v33, v34, 0xbe2aaa9d
	v_dual_fmaak_f32 v35, s28, v33, 0xbab64f3b :: v_dual_mul_f32 v34, v33, v34
	s_delay_alu instid0(VALU_DEP_1) | instskip(NEXT) | instid1(VALU_DEP_1)
	v_dual_fmaak_f32 v35, v33, v35, 0x3d2aabf7 :: v_dual_fmac_f32 v26, v26, v34
	v_fmaak_f32 v35, v33, v35, 0xbf000004
	s_delay_alu instid0(VALU_DEP_1) | instskip(NEXT) | instid1(VALU_DEP_1)
	v_fma_f32 v33, v33, v35, 1.0
	v_cndmask_b32_e64 v26, -v26, v33, s4
	v_cmp_lg_f32_e64 s4, 0x7f800000, v25
	s_delay_alu instid0(VALU_DEP_2) | instskip(NEXT) | instid1(VALU_DEP_1)
	v_bitop3_b32 v26, v27, v26, 0x80000000 bitop3:0x6c
	v_cndmask_b32_e64 v25, 0x7fc00000, v26, s4
	global_store_b32 v[10:11], v25, off
	s_wait_xcnt 0x0
	s_or_b32 exec_lo, exec_lo, s5
	s_and_saveexec_b32 s4, s3
	s_cbranch_execz .LBB220_28
.LBB220_33:                             ;   in Loop: Header=BB220_4 Depth=1
	v_dual_mul_f32 v25, v28, v28 :: v_dual_bitop2_b32 v33, 1, v29 bitop3:0x40
	s_delay_alu instid0(VALU_DEP_1) | instskip(NEXT) | instid1(VALU_DEP_2)
	v_fmaak_f32 v26, s27, v25, 0x3c0881c4
	v_cmp_eq_u32_e64 s3, 0, v33
	s_delay_alu instid0(VALU_DEP_2) | instskip(NEXT) | instid1(VALU_DEP_1)
	v_fmaak_f32 v26, v25, v26, 0xbe2aaa9d
	v_dual_fmaak_f32 v27, s28, v25, 0xbab64f3b :: v_dual_mul_f32 v26, v25, v26
	s_delay_alu instid0(VALU_DEP_1) | instskip(NEXT) | instid1(VALU_DEP_1)
	v_dual_fmaak_f32 v27, v25, v27, 0x3d2aabf7 :: v_dual_fmac_f32 v28, v28, v26
	v_dual_fmaak_f32 v27, v25, v27, 0xbf000004 :: v_dual_lshlrev_b32 v26, 30, v29
	s_delay_alu instid0(VALU_DEP_1) | instskip(NEXT) | instid1(VALU_DEP_1)
	v_fma_f32 v25, v25, v27, 1.0
	v_cndmask_b32_e64 v25, -v28, v25, s3
	v_cmp_lg_f32_e64 s3, 0x7f800000, v24
	s_delay_alu instid0(VALU_DEP_2) | instskip(NEXT) | instid1(VALU_DEP_1)
	v_bitop3_b32 v25, v26, v25, 0x80000000 bitop3:0x6c
	v_cndmask_b32_e64 v24, 0x7fc00000, v25, s3
	global_store_b32 v[16:17], v24, off
	s_wait_xcnt 0x0
	s_or_b32 exec_lo, exec_lo, s4
	s_and_saveexec_b32 s3, s2
	s_cbranch_execz .LBB220_29
.LBB220_34:                             ;   in Loop: Header=BB220_4 Depth=1
	v_dual_mul_f32 v24, v30, v30 :: v_dual_bitop2_b32 v27, 1, v31 bitop3:0x40
	s_delay_alu instid0(VALU_DEP_1) | instskip(NEXT) | instid1(VALU_DEP_2)
	v_fmaak_f32 v25, s27, v24, 0x3c0881c4
	v_cmp_eq_u32_e64 s2, 0, v27
	s_delay_alu instid0(VALU_DEP_2) | instskip(NEXT) | instid1(VALU_DEP_1)
	v_fmaak_f32 v25, v24, v25, 0xbe2aaa9d
	v_dual_fmaak_f32 v26, s28, v24, 0xbab64f3b :: v_dual_mul_f32 v25, v24, v25
	s_delay_alu instid0(VALU_DEP_1) | instskip(NEXT) | instid1(VALU_DEP_2)
	v_fmaak_f32 v26, v24, v26, 0x3d2aabf7
	v_dual_fmac_f32 v30, v30, v25 :: v_dual_lshlrev_b32 v25, 30, v31
	s_delay_alu instid0(VALU_DEP_2) | instskip(NEXT) | instid1(VALU_DEP_1)
	v_fmaak_f32 v26, v24, v26, 0xbf000004
	v_fma_f32 v24, v24, v26, 1.0
	s_delay_alu instid0(VALU_DEP_1) | instskip(SKIP_1) | instid1(VALU_DEP_2)
	v_cndmask_b32_e64 v24, -v30, v24, s2
	v_cmp_lg_f32_e64 s2, 0x7f800000, v22
	v_bitop3_b32 v24, v25, v24, 0x80000000 bitop3:0x6c
	s_delay_alu instid0(VALU_DEP_1)
	v_cndmask_b32_e64 v22, 0x7fc00000, v24, s2
	global_store_b32 v[20:21], v22, off
	s_wait_xcnt 0x0
	s_or_b32 exec_lo, exec_lo, s3
	s_and_saveexec_b32 s2, vcc_lo
	s_cbranch_execz .LBB220_3
.LBB220_35:                             ;   in Loop: Header=BB220_4 Depth=1
	v_dual_mul_f32 v20, v6, v6 :: v_dual_bitop2_b32 v24, 1, v32 bitop3:0x40
	s_delay_alu instid0(VALU_DEP_1) | instskip(NEXT) | instid1(VALU_DEP_2)
	v_fmaak_f32 v21, s27, v20, 0x3c0881c4
	v_cmp_eq_u32_e32 vcc_lo, 0, v24
	s_delay_alu instid0(VALU_DEP_2) | instskip(NEXT) | instid1(VALU_DEP_1)
	v_fmaak_f32 v21, v20, v21, 0xbe2aaa9d
	v_dual_fmaak_f32 v22, s28, v20, 0xbab64f3b :: v_dual_mul_f32 v21, v20, v21
	s_delay_alu instid0(VALU_DEP_1) | instskip(NEXT) | instid1(VALU_DEP_2)
	v_fmaak_f32 v22, v20, v22, 0x3d2aabf7
	v_fmac_f32_e32 v6, v6, v21
	s_delay_alu instid0(VALU_DEP_2) | instskip(NEXT) | instid1(VALU_DEP_1)
	v_fmaak_f32 v22, v20, v22, 0xbf000004
	v_fma_f32 v20, v20, v22, 1.0
	s_delay_alu instid0(VALU_DEP_1) | instskip(SKIP_2) | instid1(VALU_DEP_2)
	v_cndmask_b32_e64 v6, -v6, v20, vcc_lo
	v_lshlrev_b32_e32 v20, 30, v32
	v_cmp_lg_f32_e32 vcc_lo, 0x7f800000, v23
	v_bitop3_b32 v6, v20, v6, 0x80000000 bitop3:0x6c
	s_delay_alu instid0(VALU_DEP_1)
	v_cndmask_b32_e32 v6, 0x7fc00000, v6, vcc_lo
	global_store_b32 v[18:19], v6, off
	s_branch .LBB220_3
.LBB220_36:
	s_cbranch_execz .LBB220_38
	s_branch .LBB220_57
.LBB220_37:
.LBB220_38:
	v_min_i64 v[6:7], 0x10000, s[12:13]
	v_dual_mov_b32 v9, 0 :: v_dual_lshlrev_b32 v8, 2, v0
	s_mov_b32 s2, exec_lo
	s_delay_alu instid0(VALU_DEP_1)
	v_cmpx_lt_i64_e64 v[8:9], v[6:7]
	s_cbranch_execz .LBB220_57
; %bb.39:
	s_load_b32 s2, s[0:1], 0xd3c
	v_dual_mov_b32 v1, v9 :: v_dual_lshlrev_b32 v8, 4, v0
	s_wait_xcnt 0x0
	s_add_nc_u64 s[0:1], s[8:9], s[10:11]
	s_mov_b32 s3, 0
	s_mov_b32 s8, 0x7fffff
	v_add_nc_u64_e32 v[2:3], s[0:1], v[8:9]
	s_mov_b64 s[4:5], 0xfe5163ab
	s_mov_b32 s9, 0xb94c1982
	s_mov_b32 s10, 0x37d75334
	;; [unrolled: 1-line block ×4, first 2 shown]
	s_delay_alu instid0(VALU_DEP_1) | instskip(SKIP_2) | instid1(SALU_CYCLE_1)
	v_add_nc_u64_e32 v[10:11], 8, v[2:3]
	s_wait_kmcnt 0x0
	s_and_b32 s2, s2, 0xffff
	s_lshl_b32 s6, s2, 4
	s_branch .LBB220_41
.LBB220_40:                             ;   in Loop: Header=BB220_41 Depth=1
	s_or_b32 exec_lo, exec_lo, s0
	v_dual_mul_f32 v19, v16, v16 :: v_dual_bitop2_b32 v20, 1, v17 bitop3:0x40
	v_dual_mul_f32 v21, v15, v15 :: v_dual_lshlrev_b32 v17, 30, v17
	v_dual_mul_f32 v27, v12, v12 :: v_dual_bitop2_b32 v24, 1, v14 bitop3:0x40
	s_delay_alu instid0(VALU_DEP_2) | instskip(SKIP_2) | instid1(VALU_DEP_3)
	v_dual_fmaak_f32 v22, s9, v19, 0x3c0881c4 :: v_dual_fmaak_f32 v25, s9, v21, 0x3c0881c4
	v_dual_fmaak_f32 v23, s10, v19, 0xbab64f3b :: v_dual_fmaak_f32 v26, s10, v21, 0xbab64f3b
	v_cmp_eq_u32_e32 vcc_lo, 0, v20
	v_dual_fmaak_f32 v22, v19, v22, 0xbe2aaa9d :: v_dual_fmaak_f32 v25, v21, v25, 0xbe2aaa9d
	s_delay_alu instid0(VALU_DEP_3) | instskip(NEXT) | instid1(VALU_DEP_2)
	v_dual_fmaak_f32 v23, v19, v23, 0x3d2aabf7 :: v_dual_fmaak_f32 v26, v21, v26, 0x3d2aabf7
	v_dual_mul_f32 v28, v8, v8 :: v_dual_mul_f32 v22, v19, v22
	s_delay_alu instid0(VALU_DEP_3) | instskip(NEXT) | instid1(VALU_DEP_3)
	v_mul_f32_e32 v25, v21, v25
	v_dual_fmaak_f32 v23, v19, v23, 0xbf000004 :: v_dual_fmaak_f32 v26, v21, v26, 0xbf000004
	s_delay_alu instid0(VALU_DEP_3) | instskip(NEXT) | instid1(VALU_DEP_4)
	v_fmaak_f32 v20, s9, v28, 0x3c0881c4
	v_fmac_f32_e32 v16, v16, v22
	v_fmaak_f32 v22, s9, v27, 0x3c0881c4
	s_delay_alu instid0(VALU_DEP_4) | instskip(SKIP_3) | instid1(VALU_DEP_4)
	v_fma_f32 v19, v19, v23, 1.0
	v_fmac_f32_e32 v15, v15, v25
	v_fma_f32 v21, v21, v26, 1.0
	v_add_nc_u64_e32 v[0:1], s[2:3], v[0:1]
	v_dual_lshlrev_b32 v14, 30, v14 :: v_dual_cndmask_b32 v16, -v16, v19, vcc_lo
	v_cmp_eq_u32_e32 vcc_lo, 0, v24
	v_fmaak_f32 v19, s10, v27, 0xbab64f3b
	v_fmaak_f32 v20, v28, v20, 0xbe2aaa9d
	v_cndmask_b32_e64 v15, -v15, v21, vcc_lo
	v_bitop3_b32 v16, v17, v16, 0x80000000 bitop3:0x6c
	v_fmaak_f32 v17, v27, v22, 0xbe2aaa9d
	v_fmaak_f32 v21, s10, v28, 0xbab64f3b
	s_delay_alu instid0(VALU_DEP_4) | instskip(NEXT) | instid1(VALU_DEP_3)
	v_bitop3_b32 v14, v14, v15, 0x80000000 bitop3:0x6c
	v_mul_f32_e32 v17, v27, v17
	v_fmaak_f32 v19, v27, v19, 0x3d2aabf7
	s_delay_alu instid0(VALU_DEP_4) | instskip(NEXT) | instid1(VALU_DEP_2)
	v_fmaak_f32 v21, v28, v21, 0x3d2aabf7
	v_dual_fmac_f32 v12, v12, v17 :: v_dual_fmaak_f32 v15, v27, v19, 0xbf000004
	v_dual_mul_f32 v19, v28, v20 :: v_dual_bitop2_b32 v20, 1, v13 bitop3:0x40
	s_delay_alu instid0(VALU_DEP_3) | instskip(NEXT) | instid1(VALU_DEP_2)
	v_fmaak_f32 v17, v28, v21, 0xbf000004
	v_dual_fmac_f32 v8, v8, v19 :: v_dual_lshlrev_b32 v13, 30, v13
	s_delay_alu instid0(VALU_DEP_4) | instskip(NEXT) | instid1(VALU_DEP_4)
	v_fma_f32 v15, v27, v15, 1.0
	v_cmp_eq_u32_e32 vcc_lo, 0, v20
	v_and_b32_e32 v19, 1, v18
	v_fma_f32 v17, v28, v17, 1.0
	s_delay_alu instid0(VALU_DEP_4) | instskip(NEXT) | instid1(VALU_DEP_3)
	v_cndmask_b32_e64 v12, -v12, v15, vcc_lo
	v_cmp_eq_u32_e32 vcc_lo, 0, v19
	s_delay_alu instid0(VALU_DEP_3) | instskip(SKIP_1) | instid1(VALU_DEP_2)
	v_dual_lshlrev_b32 v15, 30, v18 :: v_dual_cndmask_b32 v8, -v8, v17, vcc_lo
	v_cmp_class_f32_e64 vcc_lo, v4, 0x1f8
	v_bitop3_b32 v8, v15, v8, 0x80000000 bitop3:0x6c
	v_cndmask_b32_e32 v4, 0x7fc00000, v16, vcc_lo
	v_cmp_class_f32_e64 vcc_lo, v3, 0x1f8
	v_bitop3_b32 v16, v13, v12, 0x80000000 bitop3:0x6c
	v_lshlrev_b64_e32 v[12:13], 2, v[0:1]
	v_cndmask_b32_e32 v3, 0x7fc00000, v14, vcc_lo
	v_cmp_class_f32_e64 vcc_lo, v2, 0x1f8
	s_delay_alu instid0(VALU_DEP_4)
	v_cndmask_b32_e32 v2, 0x7fc00000, v16, vcc_lo
	v_cmp_class_f32_e64 vcc_lo, v5, 0x1f8
	v_cndmask_b32_e32 v5, 0x7fc00000, v8, vcc_lo
	v_cmp_ge_i64_e32 vcc_lo, v[12:13], v[6:7]
	global_store_b128 v[10:11], v[2:5], off offset:-8
	s_wait_xcnt 0x0
	v_add_nc_u64_e32 v[10:11], s[6:7], v[10:11]
	s_or_b32 s11, vcc_lo, s11
	s_delay_alu instid0(SALU_CYCLE_1)
	s_and_not1_b32 exec_lo, exec_lo, s11
	s_cbranch_execz .LBB220_57
.LBB220_41:                             ; =>This Inner Loop Header: Depth=1
	global_load_b128 v[2:5], v[10:11], off offset:-8
                                        ; implicit-def: $vgpr13
                                        ; implicit-def: $vgpr12
	s_mov_b32 s1, exec_lo
	s_wait_loadcnt 0x0
	v_cmpx_ngt_f32_e64 0x48000000, |v2|
	s_xor_b32 s12, exec_lo, s1
	s_cbranch_execz .LBB220_43
; %bb.42:                               ;   in Loop: Header=BB220_41 Depth=1
	v_and_b32_e32 v22, 0x7fffffff, v2
	v_dual_mov_b32 v23, v9 :: v_dual_mov_b32 v25, v9
	s_delay_alu instid0(VALU_DEP_2) | instskip(NEXT) | instid1(VALU_DEP_1)
	v_and_or_b32 v8, v22, s8, 0x800000
	v_mul_u64_e32 v[12:13], s[4:5], v[8:9]
	s_delay_alu instid0(VALU_DEP_1) | instskip(SKIP_1) | instid1(VALU_DEP_2)
	v_dual_mov_b32 v15, v9 :: v_dual_mov_b32 v14, v13
	v_lshrrev_b32_e32 v13, 23, v22
	v_mad_nc_u64_u32 v[14:15], 0x3c439041, v8, v[14:15]
	v_mov_b32_e32 v17, v9
	s_delay_alu instid0(VALU_DEP_3) | instskip(NEXT) | instid1(VALU_DEP_1)
	v_add_nc_u32_e32 v13, 0xffffff88, v13
	v_cmp_lt_u32_e32 vcc_lo, 63, v13
	s_delay_alu instid0(VALU_DEP_4) | instskip(SKIP_1) | instid1(VALU_DEP_2)
	v_mov_b32_e32 v16, v15
	v_cndmask_b32_e64 v15, 0, 0xffffffc0, vcc_lo
	v_mad_nc_u64_u32 v[16:17], 0xdb629599, v8, v[16:17]
	s_delay_alu instid0(VALU_DEP_2) | instskip(NEXT) | instid1(VALU_DEP_1)
	v_dual_mov_b32 v19, v9 :: v_dual_add_nc_u32 v13, v15, v13
	v_cmp_lt_u32_e64 s0, 31, v13
	s_delay_alu instid0(VALU_DEP_3) | instskip(NEXT) | instid1(VALU_DEP_2)
	v_mov_b32_e32 v18, v17
	v_cndmask_b32_e64 v15, 0, 0xffffffe0, s0
	v_cndmask_b32_e32 v12, v16, v12, vcc_lo
	s_delay_alu instid0(VALU_DEP_3) | instskip(NEXT) | instid1(VALU_DEP_1)
	v_mad_nc_u64_u32 v[18:19], 0xf534ddc0, v8, v[18:19]
	v_dual_mov_b32 v21, v9 :: v_dual_mov_b32 v20, v19
	s_delay_alu instid0(VALU_DEP_1) | instskip(NEXT) | instid1(VALU_DEP_1)
	v_mad_nc_u64_u32 v[20:21], 0xfc2757d1, v8, v[20:21]
	v_mov_b32_e32 v22, v21
	s_delay_alu instid0(VALU_DEP_1) | instskip(NEXT) | instid1(VALU_DEP_1)
	v_mad_nc_u64_u32 v[22:23], 0x4e441529, v8, v[22:23]
	v_mov_b32_e32 v24, v23
	s_delay_alu instid0(VALU_DEP_1) | instskip(NEXT) | instid1(VALU_DEP_3)
	v_mad_nc_u64_u32 v[24:25], 0xa2f9836e, v8, v[24:25]
	v_dual_cndmask_b32 v15, v22, v18 :: v_dual_add_nc_u32 v8, v15, v13
	s_delay_alu instid0(VALU_DEP_2) | instskip(NEXT) | instid1(VALU_DEP_2)
	v_cndmask_b32_e32 v17, v24, v20, vcc_lo
	v_cmp_lt_u32_e64 s1, 31, v8
	s_delay_alu instid0(VALU_DEP_4) | instskip(NEXT) | instid1(VALU_DEP_2)
	v_dual_cndmask_b32 v19, v25, v22 :: v_dual_cndmask_b32 v20, v20, v16
	v_cndmask_b32_e64 v13, 0, 0xffffffe0, s1
	s_delay_alu instid0(VALU_DEP_1) | instskip(NEXT) | instid1(VALU_DEP_3)
	v_dual_cndmask_b32 v13, v18, v14 :: v_dual_add_nc_u32 v8, v13, v8
	v_dual_cndmask_b32 v14, v17, v15, s0 :: v_dual_cndmask_b32 v17, v19, v17, s0
	s_delay_alu instid0(VALU_DEP_4) | instskip(NEXT) | instid1(VALU_DEP_3)
	v_cndmask_b32_e64 v15, v15, v20, s0
	v_dual_sub_nc_u32 v18, 32, v8 :: v_dual_cndmask_b32 v19, v20, v13, s0
	v_cmp_eq_u32_e32 vcc_lo, 0, v8
	s_delay_alu instid0(VALU_DEP_3) | instskip(NEXT) | instid1(VALU_DEP_1)
	v_dual_cndmask_b32 v17, v17, v14, s1 :: v_dual_cndmask_b32 v14, v14, v15, s1
	v_alignbit_b32 v20, v17, v14, v18
	s_delay_alu instid0(VALU_DEP_1) | instskip(NEXT) | instid1(VALU_DEP_1)
	v_dual_cndmask_b32 v15, v15, v19, s1 :: v_dual_cndmask_b32 v8, v20, v17, vcc_lo
	v_alignbit_b32 v16, v14, v15, v18
	s_delay_alu instid0(VALU_DEP_1) | instskip(NEXT) | instid1(VALU_DEP_3)
	v_dual_cndmask_b32 v12, v13, v12, s0 :: v_dual_cndmask_b32 v13, v16, v14, vcc_lo
	v_bfe_u32 v14, v8, 29, 1
	s_delay_alu instid0(VALU_DEP_2) | instskip(NEXT) | instid1(VALU_DEP_3)
	v_cndmask_b32_e64 v12, v19, v12, s1
	v_alignbit_b32 v16, v8, v13, 30
	s_delay_alu instid0(VALU_DEP_3) | instskip(NEXT) | instid1(VALU_DEP_3)
	v_sub_nc_u32_e32 v17, 0, v14
	v_alignbit_b32 v18, v15, v12, v18
	s_delay_alu instid0(VALU_DEP_1) | instskip(NEXT) | instid1(VALU_DEP_1)
	v_dual_cndmask_b32 v15, v18, v15, vcc_lo :: v_dual_bitop2_b32 v16, v16, v17 bitop3:0x14
	v_clz_i32_u32_e32 v18, v16
	s_delay_alu instid0(VALU_DEP_2) | instskip(SKIP_1) | instid1(VALU_DEP_3)
	v_alignbit_b32 v13, v13, v15, 30
	v_alignbit_b32 v12, v15, v12, 30
	v_min_u32_e32 v18, 32, v18
	s_delay_alu instid0(VALU_DEP_3) | instskip(NEXT) | instid1(VALU_DEP_3)
	v_xor_b32_e32 v13, v13, v17
	v_dual_lshrrev_b32 v17, 29, v8 :: v_dual_bitop2_b32 v12, v12, v17 bitop3:0x14
	s_delay_alu instid0(VALU_DEP_3) | instskip(NEXT) | instid1(VALU_DEP_1)
	v_dual_sub_nc_u32 v15, 31, v18 :: v_dual_lshlrev_b32 v19, 23, v18
	v_alignbit_b32 v16, v16, v13, v15
	s_delay_alu instid0(VALU_DEP_3) | instskip(NEXT) | instid1(VALU_DEP_4)
	v_alignbit_b32 v12, v13, v12, v15
	v_lshlrev_b32_e32 v13, 31, v17
	s_delay_alu instid0(VALU_DEP_2) | instskip(NEXT) | instid1(VALU_DEP_2)
	v_alignbit_b32 v15, v16, v12, 9
	v_dual_lshrrev_b32 v16, 9, v16 :: v_dual_bitop2_b32 v17, 0.5, v13 bitop3:0x54
	v_or_b32_e32 v13, 0x33000000, v13
	s_delay_alu instid0(VALU_DEP_3) | instskip(NEXT) | instid1(VALU_DEP_3)
	v_clz_i32_u32_e32 v20, v15
	v_sub_nc_u32_e32 v17, v17, v19
	s_delay_alu instid0(VALU_DEP_2) | instskip(NEXT) | instid1(VALU_DEP_1)
	v_min_u32_e32 v19, 32, v20
	v_add_lshl_u32 v18, v19, v18, 23
	s_delay_alu instid0(VALU_DEP_3) | instskip(SKIP_1) | instid1(VALU_DEP_2)
	v_or_b32_e32 v16, v16, v17
	v_not_b32_e32 v17, v19
	v_dual_mul_f32 v20, 0x3fc90fda, v16 :: v_dual_sub_nc_u32 v13, v13, v18
	s_delay_alu instid0(VALU_DEP_2) | instskip(NEXT) | instid1(VALU_DEP_2)
	v_alignbit_b32 v12, v15, v12, v17
	v_fma_f32 v15, 0x3fc90fda, v16, -v20
	s_delay_alu instid0(VALU_DEP_2) | instskip(NEXT) | instid1(VALU_DEP_2)
	v_lshrrev_b32_e32 v12, 9, v12
	v_fmac_f32_e32 v15, 0x33a22168, v16
	s_delay_alu instid0(VALU_DEP_2) | instskip(NEXT) | instid1(VALU_DEP_1)
	v_or_b32_e32 v12, v13, v12
	v_fmac_f32_e32 v15, 0x3fc90fda, v12
	s_delay_alu instid0(VALU_DEP_1) | instskip(NEXT) | instid1(VALU_DEP_1)
	v_dual_lshrrev_b32 v8, 30, v8 :: v_dual_add_f32 v12, v20, v15
	v_add_nc_u32_e32 v13, v14, v8
.LBB220_43:                             ;   in Loop: Header=BB220_41 Depth=1
	s_and_not1_saveexec_b32 s0, s12
; %bb.44:                               ;   in Loop: Header=BB220_41 Depth=1
	v_mul_f32_e64 v8, 0x3f22f983, |v2|
	s_delay_alu instid0(VALU_DEP_1) | instskip(NEXT) | instid1(VALU_DEP_1)
	v_rndne_f32_e32 v8, v8
	v_fma_f32 v12, 0xbfc90fda, v8, |v2|
	v_cvt_i32_f32_e32 v13, v8
	s_delay_alu instid0(VALU_DEP_2) | instskip(NEXT) | instid1(VALU_DEP_1)
	v_fmac_f32_e32 v12, 0xb3a22168, v8
	v_fmac_f32_e32 v12, 0xa7c234c4, v8
; %bb.45:                               ;   in Loop: Header=BB220_41 Depth=1
	s_or_b32 exec_lo, exec_lo, s0
                                        ; implicit-def: $vgpr14
                                        ; implicit-def: $vgpr15
	s_delay_alu instid0(SALU_CYCLE_1)
	s_mov_b32 s1, exec_lo
	v_cmpx_ngt_f32_e64 0x48000000, |v3|
	s_xor_b32 s12, exec_lo, s1
	s_cbranch_execz .LBB220_47
; %bb.46:                               ;   in Loop: Header=BB220_41 Depth=1
	v_and_b32_e32 v24, 0x7fffffff, v3
	v_mov_b32_e32 v25, v9
	s_delay_alu instid0(VALU_DEP_2) | instskip(NEXT) | instid1(VALU_DEP_1)
	v_and_or_b32 v8, v24, s8, 0x800000
	v_mul_u64_e32 v[14:15], s[4:5], v[8:9]
	s_delay_alu instid0(VALU_DEP_1) | instskip(SKIP_1) | instid1(VALU_DEP_2)
	v_dual_mov_b32 v17, v9 :: v_dual_mov_b32 v16, v15
	v_lshrrev_b32_e32 v15, 23, v24
	v_mad_nc_u64_u32 v[16:17], 0x3c439041, v8, v[16:17]
	v_mov_b32_e32 v19, v9
	s_delay_alu instid0(VALU_DEP_3) | instskip(NEXT) | instid1(VALU_DEP_1)
	v_add_nc_u32_e32 v15, 0xffffff88, v15
	v_cmp_lt_u32_e32 vcc_lo, 63, v15
	s_delay_alu instid0(VALU_DEP_4) | instskip(SKIP_1) | instid1(VALU_DEP_2)
	v_mov_b32_e32 v18, v17
	v_cndmask_b32_e64 v17, 0, 0xffffffc0, vcc_lo
	v_mad_nc_u64_u32 v[18:19], 0xdb629599, v8, v[18:19]
	s_delay_alu instid0(VALU_DEP_1) | instskip(NEXT) | instid1(VALU_DEP_2)
	v_dual_mov_b32 v21, v9 :: v_dual_mov_b32 v20, v19
	v_cndmask_b32_e32 v14, v18, v14, vcc_lo
	s_delay_alu instid0(VALU_DEP_2) | instskip(NEXT) | instid1(VALU_DEP_1)
	v_mad_nc_u64_u32 v[20:21], 0xf534ddc0, v8, v[20:21]
	v_dual_mov_b32 v23, v9 :: v_dual_mov_b32 v22, v21
	s_delay_alu instid0(VALU_DEP_1) | instskip(NEXT) | instid1(VALU_DEP_1)
	v_mad_nc_u64_u32 v[22:23], 0xfc2757d1, v8, v[22:23]
	v_mov_b32_e32 v24, v23
	s_delay_alu instid0(VALU_DEP_1) | instskip(SKIP_2) | instid1(VALU_DEP_2)
	v_mad_nc_u64_u32 v[24:25], 0x4e441529, v8, v[24:25]
	v_add_nc_u32_e32 v15, v17, v15
	v_mov_b32_e32 v27, v9
	v_cmp_lt_u32_e64 s0, 31, v15
	s_delay_alu instid0(VALU_DEP_4) | instskip(NEXT) | instid1(VALU_DEP_2)
	v_mov_b32_e32 v26, v25
	v_cndmask_b32_e64 v17, 0, 0xffffffe0, s0
	s_delay_alu instid0(VALU_DEP_2) | instskip(NEXT) | instid1(VALU_DEP_2)
	v_mad_nc_u64_u32 v[26:27], 0xa2f9836e, v8, v[26:27]
	v_dual_cndmask_b32 v17, v24, v20 :: v_dual_add_nc_u32 v8, v17, v15
	s_delay_alu instid0(VALU_DEP_2) | instskip(NEXT) | instid1(VALU_DEP_2)
	v_cndmask_b32_e32 v19, v26, v22, vcc_lo
	v_cmp_lt_u32_e64 s1, 31, v8
	s_delay_alu instid0(VALU_DEP_4) | instskip(NEXT) | instid1(VALU_DEP_2)
	v_dual_cndmask_b32 v21, v27, v24 :: v_dual_cndmask_b32 v22, v22, v18
	v_cndmask_b32_e64 v15, 0, 0xffffffe0, s1
	s_delay_alu instid0(VALU_DEP_1) | instskip(SKIP_1) | instid1(VALU_DEP_4)
	v_add_nc_u32_e32 v8, v15, v8
	v_dual_cndmask_b32 v15, v20, v16, vcc_lo :: v_dual_cndmask_b32 v16, v19, v17, s0
	v_cndmask_b32_e64 v19, v21, v19, s0
	s_delay_alu instid0(VALU_DEP_3) | instskip(NEXT) | instid1(VALU_DEP_3)
	v_dual_cndmask_b32 v17, v17, v22, s0 :: v_dual_sub_nc_u32 v20, 32, v8
	v_cndmask_b32_e64 v21, v22, v15, s0
	v_cmp_eq_u32_e32 vcc_lo, 0, v8
	s_delay_alu instid0(VALU_DEP_3) | instskip(NEXT) | instid1(VALU_DEP_1)
	v_dual_cndmask_b32 v19, v19, v16, s1 :: v_dual_cndmask_b32 v16, v16, v17, s1
	v_alignbit_b32 v22, v19, v16, v20
	s_delay_alu instid0(VALU_DEP_1) | instskip(NEXT) | instid1(VALU_DEP_1)
	v_dual_cndmask_b32 v17, v17, v21, s1 :: v_dual_cndmask_b32 v8, v22, v19, vcc_lo
	v_alignbit_b32 v18, v16, v17, v20
	s_delay_alu instid0(VALU_DEP_1) | instskip(NEXT) | instid1(VALU_DEP_3)
	v_dual_cndmask_b32 v14, v15, v14, s0 :: v_dual_cndmask_b32 v15, v18, v16, vcc_lo
	v_bfe_u32 v16, v8, 29, 1
	s_delay_alu instid0(VALU_DEP_2) | instskip(NEXT) | instid1(VALU_DEP_3)
	v_cndmask_b32_e64 v14, v21, v14, s1
	v_alignbit_b32 v18, v8, v15, 30
	s_delay_alu instid0(VALU_DEP_3) | instskip(NEXT) | instid1(VALU_DEP_3)
	v_sub_nc_u32_e32 v19, 0, v16
	v_alignbit_b32 v20, v17, v14, v20
	s_delay_alu instid0(VALU_DEP_1) | instskip(NEXT) | instid1(VALU_DEP_1)
	v_dual_cndmask_b32 v17, v20, v17, vcc_lo :: v_dual_bitop2_b32 v18, v18, v19 bitop3:0x14
	v_clz_i32_u32_e32 v20, v18
	s_delay_alu instid0(VALU_DEP_2) | instskip(SKIP_1) | instid1(VALU_DEP_3)
	v_alignbit_b32 v15, v15, v17, 30
	v_alignbit_b32 v14, v17, v14, 30
	v_min_u32_e32 v20, 32, v20
	s_delay_alu instid0(VALU_DEP_3) | instskip(NEXT) | instid1(VALU_DEP_3)
	v_xor_b32_e32 v15, v15, v19
	v_dual_lshrrev_b32 v19, 29, v8 :: v_dual_bitop2_b32 v14, v14, v19 bitop3:0x14
	v_lshrrev_b32_e32 v8, 30, v8
	s_delay_alu instid0(VALU_DEP_4) | instskip(NEXT) | instid1(VALU_DEP_1)
	v_dual_sub_nc_u32 v17, 31, v20 :: v_dual_lshlrev_b32 v21, 23, v20
	v_alignbit_b32 v18, v18, v15, v17
	s_delay_alu instid0(VALU_DEP_4) | instskip(SKIP_1) | instid1(VALU_DEP_2)
	v_alignbit_b32 v14, v15, v14, v17
	v_lshlrev_b32_e32 v15, 31, v19
	v_alignbit_b32 v17, v18, v14, 9
	s_delay_alu instid0(VALU_DEP_2) | instskip(SKIP_1) | instid1(VALU_DEP_3)
	v_dual_lshrrev_b32 v18, 9, v18 :: v_dual_bitop2_b32 v19, 0.5, v15 bitop3:0x54
	v_or_b32_e32 v15, 0x33000000, v15
	v_clz_i32_u32_e32 v22, v17
	s_delay_alu instid0(VALU_DEP_3) | instskip(NEXT) | instid1(VALU_DEP_2)
	v_sub_nc_u32_e32 v19, v19, v21
	v_min_u32_e32 v21, 32, v22
	s_delay_alu instid0(VALU_DEP_1) | instskip(NEXT) | instid1(VALU_DEP_3)
	v_add_lshl_u32 v20, v21, v20, 23
	v_or_b32_e32 v18, v18, v19
	v_not_b32_e32 v19, v21
	s_delay_alu instid0(VALU_DEP_2) | instskip(NEXT) | instid1(VALU_DEP_2)
	v_dual_mul_f32 v22, 0x3fc90fda, v18 :: v_dual_sub_nc_u32 v15, v15, v20
	v_alignbit_b32 v14, v17, v14, v19
	s_delay_alu instid0(VALU_DEP_2) | instskip(NEXT) | instid1(VALU_DEP_2)
	v_fma_f32 v17, 0x3fc90fda, v18, -v22
	v_lshrrev_b32_e32 v14, 9, v14
	s_delay_alu instid0(VALU_DEP_2) | instskip(NEXT) | instid1(VALU_DEP_2)
	v_fmac_f32_e32 v17, 0x33a22168, v18
	v_or_b32_e32 v14, v15, v14
	s_delay_alu instid0(VALU_DEP_1) | instskip(NEXT) | instid1(VALU_DEP_1)
	v_dual_fmac_f32 v17, 0x3fc90fda, v14 :: v_dual_add_nc_u32 v14, v16, v8
	v_add_f32_e32 v15, v22, v17
.LBB220_47:                             ;   in Loop: Header=BB220_41 Depth=1
	s_and_not1_saveexec_b32 s0, s12
; %bb.48:                               ;   in Loop: Header=BB220_41 Depth=1
	v_mul_f32_e64 v8, 0x3f22f983, |v3|
	s_delay_alu instid0(VALU_DEP_1) | instskip(NEXT) | instid1(VALU_DEP_1)
	v_rndne_f32_e32 v8, v8
	v_fma_f32 v15, 0xbfc90fda, v8, |v3|
	v_cvt_i32_f32_e32 v14, v8
	s_delay_alu instid0(VALU_DEP_2) | instskip(NEXT) | instid1(VALU_DEP_1)
	v_fmac_f32_e32 v15, 0xb3a22168, v8
	v_fmac_f32_e32 v15, 0xa7c234c4, v8
; %bb.49:                               ;   in Loop: Header=BB220_41 Depth=1
	s_or_b32 exec_lo, exec_lo, s0
                                        ; implicit-def: $vgpr17
                                        ; implicit-def: $vgpr16
	s_delay_alu instid0(SALU_CYCLE_1)
	s_mov_b32 s1, exec_lo
	v_cmpx_ngt_f32_e64 0x48000000, |v4|
	s_xor_b32 s12, exec_lo, s1
	s_cbranch_execz .LBB220_51
; %bb.50:                               ;   in Loop: Header=BB220_41 Depth=1
	v_and_b32_e32 v26, 0x7fffffff, v4
	v_dual_mov_b32 v27, v9 :: v_dual_mov_b32 v29, v9
	s_delay_alu instid0(VALU_DEP_2) | instskip(NEXT) | instid1(VALU_DEP_1)
	v_and_or_b32 v8, v26, s8, 0x800000
	v_mul_u64_e32 v[16:17], s[4:5], v[8:9]
	s_delay_alu instid0(VALU_DEP_1) | instskip(SKIP_1) | instid1(VALU_DEP_2)
	v_dual_mov_b32 v19, v9 :: v_dual_mov_b32 v18, v17
	v_lshrrev_b32_e32 v17, 23, v26
	v_mad_nc_u64_u32 v[18:19], 0x3c439041, v8, v[18:19]
	v_mov_b32_e32 v21, v9
	s_delay_alu instid0(VALU_DEP_3) | instskip(NEXT) | instid1(VALU_DEP_1)
	v_add_nc_u32_e32 v17, 0xffffff88, v17
	v_cmp_lt_u32_e32 vcc_lo, 63, v17
	s_delay_alu instid0(VALU_DEP_4) | instskip(SKIP_1) | instid1(VALU_DEP_2)
	v_mov_b32_e32 v20, v19
	v_cndmask_b32_e64 v19, 0, 0xffffffc0, vcc_lo
	v_mad_nc_u64_u32 v[20:21], 0xdb629599, v8, v[20:21]
	s_delay_alu instid0(VALU_DEP_2) | instskip(NEXT) | instid1(VALU_DEP_1)
	v_dual_mov_b32 v23, v9 :: v_dual_add_nc_u32 v17, v19, v17
	v_cmp_lt_u32_e64 s0, 31, v17
	s_delay_alu instid0(VALU_DEP_3) | instskip(NEXT) | instid1(VALU_DEP_2)
	v_mov_b32_e32 v22, v21
	v_cndmask_b32_e64 v19, 0, 0xffffffe0, s0
	v_cndmask_b32_e32 v16, v20, v16, vcc_lo
	s_delay_alu instid0(VALU_DEP_3) | instskip(NEXT) | instid1(VALU_DEP_1)
	v_mad_nc_u64_u32 v[22:23], 0xf534ddc0, v8, v[22:23]
	v_dual_mov_b32 v25, v9 :: v_dual_mov_b32 v24, v23
	s_delay_alu instid0(VALU_DEP_1) | instskip(NEXT) | instid1(VALU_DEP_1)
	v_mad_nc_u64_u32 v[24:25], 0xfc2757d1, v8, v[24:25]
	v_mov_b32_e32 v26, v25
	s_delay_alu instid0(VALU_DEP_1) | instskip(NEXT) | instid1(VALU_DEP_1)
	v_mad_nc_u64_u32 v[26:27], 0x4e441529, v8, v[26:27]
	v_mov_b32_e32 v28, v27
	s_delay_alu instid0(VALU_DEP_1) | instskip(NEXT) | instid1(VALU_DEP_3)
	v_mad_nc_u64_u32 v[28:29], 0xa2f9836e, v8, v[28:29]
	v_dual_cndmask_b32 v19, v26, v22 :: v_dual_add_nc_u32 v8, v19, v17
	s_delay_alu instid0(VALU_DEP_2) | instskip(NEXT) | instid1(VALU_DEP_2)
	v_cndmask_b32_e32 v21, v28, v24, vcc_lo
	v_cmp_lt_u32_e64 s1, 31, v8
	s_delay_alu instid0(VALU_DEP_4) | instskip(NEXT) | instid1(VALU_DEP_2)
	v_dual_cndmask_b32 v23, v29, v26 :: v_dual_cndmask_b32 v24, v24, v20
	v_cndmask_b32_e64 v17, 0, 0xffffffe0, s1
	s_delay_alu instid0(VALU_DEP_1) | instskip(NEXT) | instid1(VALU_DEP_3)
	v_dual_cndmask_b32 v17, v22, v18 :: v_dual_add_nc_u32 v8, v17, v8
	v_dual_cndmask_b32 v18, v21, v19, s0 :: v_dual_cndmask_b32 v21, v23, v21, s0
	s_delay_alu instid0(VALU_DEP_4) | instskip(NEXT) | instid1(VALU_DEP_3)
	v_cndmask_b32_e64 v19, v19, v24, s0
	v_dual_sub_nc_u32 v22, 32, v8 :: v_dual_cndmask_b32 v23, v24, v17, s0
	v_cmp_eq_u32_e32 vcc_lo, 0, v8
	s_delay_alu instid0(VALU_DEP_3) | instskip(NEXT) | instid1(VALU_DEP_1)
	v_dual_cndmask_b32 v21, v21, v18, s1 :: v_dual_cndmask_b32 v18, v18, v19, s1
	v_alignbit_b32 v24, v21, v18, v22
	s_delay_alu instid0(VALU_DEP_1) | instskip(NEXT) | instid1(VALU_DEP_1)
	v_dual_cndmask_b32 v19, v19, v23, s1 :: v_dual_cndmask_b32 v8, v24, v21, vcc_lo
	v_alignbit_b32 v20, v18, v19, v22
	s_delay_alu instid0(VALU_DEP_1) | instskip(NEXT) | instid1(VALU_DEP_3)
	v_dual_cndmask_b32 v16, v17, v16, s0 :: v_dual_cndmask_b32 v17, v20, v18, vcc_lo
	v_bfe_u32 v18, v8, 29, 1
	s_delay_alu instid0(VALU_DEP_2) | instskip(NEXT) | instid1(VALU_DEP_3)
	v_cndmask_b32_e64 v16, v23, v16, s1
	v_alignbit_b32 v20, v8, v17, 30
	s_delay_alu instid0(VALU_DEP_3) | instskip(NEXT) | instid1(VALU_DEP_3)
	v_sub_nc_u32_e32 v21, 0, v18
	v_alignbit_b32 v22, v19, v16, v22
	s_delay_alu instid0(VALU_DEP_1) | instskip(NEXT) | instid1(VALU_DEP_1)
	v_dual_cndmask_b32 v19, v22, v19, vcc_lo :: v_dual_bitop2_b32 v20, v20, v21 bitop3:0x14
	v_clz_i32_u32_e32 v22, v20
	s_delay_alu instid0(VALU_DEP_2) | instskip(SKIP_1) | instid1(VALU_DEP_3)
	v_alignbit_b32 v17, v17, v19, 30
	v_alignbit_b32 v16, v19, v16, 30
	v_min_u32_e32 v22, 32, v22
	s_delay_alu instid0(VALU_DEP_3) | instskip(NEXT) | instid1(VALU_DEP_3)
	v_xor_b32_e32 v17, v17, v21
	v_dual_lshrrev_b32 v21, 29, v8 :: v_dual_bitop2_b32 v16, v16, v21 bitop3:0x14
	s_delay_alu instid0(VALU_DEP_3) | instskip(NEXT) | instid1(VALU_DEP_1)
	v_dual_sub_nc_u32 v19, 31, v22 :: v_dual_lshlrev_b32 v23, 23, v22
	v_alignbit_b32 v20, v20, v17, v19
	s_delay_alu instid0(VALU_DEP_3) | instskip(NEXT) | instid1(VALU_DEP_4)
	v_alignbit_b32 v16, v17, v16, v19
	v_lshlrev_b32_e32 v17, 31, v21
	s_delay_alu instid0(VALU_DEP_2) | instskip(NEXT) | instid1(VALU_DEP_2)
	v_alignbit_b32 v19, v20, v16, 9
	v_dual_lshrrev_b32 v20, 9, v20 :: v_dual_bitop2_b32 v21, 0.5, v17 bitop3:0x54
	v_or_b32_e32 v17, 0x33000000, v17
	s_delay_alu instid0(VALU_DEP_3) | instskip(NEXT) | instid1(VALU_DEP_3)
	v_clz_i32_u32_e32 v24, v19
	v_sub_nc_u32_e32 v21, v21, v23
	s_delay_alu instid0(VALU_DEP_2) | instskip(NEXT) | instid1(VALU_DEP_1)
	v_min_u32_e32 v23, 32, v24
	v_add_lshl_u32 v22, v23, v22, 23
	s_delay_alu instid0(VALU_DEP_3) | instskip(SKIP_1) | instid1(VALU_DEP_2)
	v_or_b32_e32 v20, v20, v21
	v_not_b32_e32 v21, v23
	v_dual_mul_f32 v24, 0x3fc90fda, v20 :: v_dual_sub_nc_u32 v17, v17, v22
	s_delay_alu instid0(VALU_DEP_2) | instskip(NEXT) | instid1(VALU_DEP_2)
	v_alignbit_b32 v16, v19, v16, v21
	v_fma_f32 v19, 0x3fc90fda, v20, -v24
	s_delay_alu instid0(VALU_DEP_2) | instskip(NEXT) | instid1(VALU_DEP_2)
	v_lshrrev_b32_e32 v16, 9, v16
	v_fmac_f32_e32 v19, 0x33a22168, v20
	s_delay_alu instid0(VALU_DEP_2) | instskip(NEXT) | instid1(VALU_DEP_1)
	v_or_b32_e32 v16, v17, v16
	v_fmac_f32_e32 v19, 0x3fc90fda, v16
	s_delay_alu instid0(VALU_DEP_1) | instskip(NEXT) | instid1(VALU_DEP_1)
	v_dual_lshrrev_b32 v8, 30, v8 :: v_dual_add_f32 v16, v24, v19
	v_add_nc_u32_e32 v17, v18, v8
.LBB220_51:                             ;   in Loop: Header=BB220_41 Depth=1
	s_and_not1_saveexec_b32 s0, s12
; %bb.52:                               ;   in Loop: Header=BB220_41 Depth=1
	v_mul_f32_e64 v8, 0x3f22f983, |v4|
	s_delay_alu instid0(VALU_DEP_1) | instskip(NEXT) | instid1(VALU_DEP_1)
	v_rndne_f32_e32 v8, v8
	v_fma_f32 v16, 0xbfc90fda, v8, |v4|
	v_cvt_i32_f32_e32 v17, v8
	s_delay_alu instid0(VALU_DEP_2) | instskip(NEXT) | instid1(VALU_DEP_1)
	v_fmac_f32_e32 v16, 0xb3a22168, v8
	v_fmac_f32_e32 v16, 0xa7c234c4, v8
; %bb.53:                               ;   in Loop: Header=BB220_41 Depth=1
	s_or_b32 exec_lo, exec_lo, s0
                                        ; implicit-def: $vgpr18
                                        ; implicit-def: $vgpr8
	s_delay_alu instid0(SALU_CYCLE_1)
	s_mov_b32 s1, exec_lo
	v_cmpx_ngt_f32_e64 0x48000000, |v5|
	s_xor_b32 s12, exec_lo, s1
	s_cbranch_execz .LBB220_55
; %bb.54:                               ;   in Loop: Header=BB220_41 Depth=1
	v_and_b32_e32 v28, 0x7fffffff, v5
	v_mov_b32_e32 v29, v9
	s_delay_alu instid0(VALU_DEP_2) | instskip(NEXT) | instid1(VALU_DEP_1)
	v_and_or_b32 v8, v28, s8, 0x800000
	v_mul_u64_e32 v[18:19], s[4:5], v[8:9]
	s_delay_alu instid0(VALU_DEP_1) | instskip(SKIP_1) | instid1(VALU_DEP_2)
	v_dual_mov_b32 v21, v9 :: v_dual_mov_b32 v20, v19
	v_lshrrev_b32_e32 v19, 23, v28
	v_mad_nc_u64_u32 v[20:21], 0x3c439041, v8, v[20:21]
	v_mov_b32_e32 v23, v9
	s_delay_alu instid0(VALU_DEP_3) | instskip(NEXT) | instid1(VALU_DEP_1)
	v_add_nc_u32_e32 v19, 0xffffff88, v19
	v_cmp_lt_u32_e32 vcc_lo, 63, v19
	s_delay_alu instid0(VALU_DEP_4) | instskip(SKIP_1) | instid1(VALU_DEP_2)
	v_mov_b32_e32 v22, v21
	v_cndmask_b32_e64 v21, 0, 0xffffffc0, vcc_lo
	v_mad_nc_u64_u32 v[22:23], 0xdb629599, v8, v[22:23]
	s_delay_alu instid0(VALU_DEP_1) | instskip(NEXT) | instid1(VALU_DEP_2)
	v_dual_mov_b32 v25, v9 :: v_dual_mov_b32 v24, v23
	v_cndmask_b32_e32 v18, v22, v18, vcc_lo
	s_delay_alu instid0(VALU_DEP_2) | instskip(NEXT) | instid1(VALU_DEP_1)
	v_mad_nc_u64_u32 v[24:25], 0xf534ddc0, v8, v[24:25]
	v_dual_mov_b32 v27, v9 :: v_dual_mov_b32 v26, v25
	s_delay_alu instid0(VALU_DEP_1) | instskip(NEXT) | instid1(VALU_DEP_1)
	v_mad_nc_u64_u32 v[26:27], 0xfc2757d1, v8, v[26:27]
	v_mov_b32_e32 v28, v27
	s_delay_alu instid0(VALU_DEP_1) | instskip(SKIP_2) | instid1(VALU_DEP_2)
	v_mad_nc_u64_u32 v[28:29], 0x4e441529, v8, v[28:29]
	v_add_nc_u32_e32 v19, v21, v19
	v_mov_b32_e32 v31, v9
	v_cmp_lt_u32_e64 s0, 31, v19
	s_delay_alu instid0(VALU_DEP_4) | instskip(NEXT) | instid1(VALU_DEP_2)
	v_mov_b32_e32 v30, v29
	v_cndmask_b32_e64 v21, 0, 0xffffffe0, s0
	s_delay_alu instid0(VALU_DEP_2) | instskip(NEXT) | instid1(VALU_DEP_2)
	v_mad_nc_u64_u32 v[30:31], 0xa2f9836e, v8, v[30:31]
	v_dual_cndmask_b32 v21, v28, v24 :: v_dual_add_nc_u32 v8, v21, v19
	s_delay_alu instid0(VALU_DEP_2) | instskip(NEXT) | instid1(VALU_DEP_2)
	v_cndmask_b32_e32 v23, v30, v26, vcc_lo
	v_cmp_lt_u32_e64 s1, 31, v8
	s_delay_alu instid0(VALU_DEP_4) | instskip(NEXT) | instid1(VALU_DEP_2)
	v_dual_cndmask_b32 v25, v31, v28 :: v_dual_cndmask_b32 v26, v26, v22
	v_cndmask_b32_e64 v19, 0, 0xffffffe0, s1
	s_delay_alu instid0(VALU_DEP_1) | instskip(SKIP_1) | instid1(VALU_DEP_4)
	v_add_nc_u32_e32 v8, v19, v8
	v_dual_cndmask_b32 v19, v24, v20, vcc_lo :: v_dual_cndmask_b32 v20, v23, v21, s0
	v_cndmask_b32_e64 v23, v25, v23, s0
	s_delay_alu instid0(VALU_DEP_3) | instskip(NEXT) | instid1(VALU_DEP_3)
	v_dual_cndmask_b32 v21, v21, v26, s0 :: v_dual_sub_nc_u32 v24, 32, v8
	v_cndmask_b32_e64 v25, v26, v19, s0
	v_cmp_eq_u32_e32 vcc_lo, 0, v8
	s_delay_alu instid0(VALU_DEP_3) | instskip(NEXT) | instid1(VALU_DEP_1)
	v_dual_cndmask_b32 v23, v23, v20, s1 :: v_dual_cndmask_b32 v20, v20, v21, s1
	v_alignbit_b32 v26, v23, v20, v24
	s_delay_alu instid0(VALU_DEP_1) | instskip(NEXT) | instid1(VALU_DEP_1)
	v_dual_cndmask_b32 v21, v21, v25, s1 :: v_dual_cndmask_b32 v8, v26, v23, vcc_lo
	v_alignbit_b32 v22, v20, v21, v24
	s_delay_alu instid0(VALU_DEP_1) | instskip(NEXT) | instid1(VALU_DEP_3)
	v_dual_cndmask_b32 v18, v19, v18, s0 :: v_dual_cndmask_b32 v19, v22, v20, vcc_lo
	v_bfe_u32 v20, v8, 29, 1
	s_delay_alu instid0(VALU_DEP_2) | instskip(NEXT) | instid1(VALU_DEP_3)
	v_cndmask_b32_e64 v18, v25, v18, s1
	v_alignbit_b32 v22, v8, v19, 30
	s_delay_alu instid0(VALU_DEP_3) | instskip(NEXT) | instid1(VALU_DEP_3)
	v_sub_nc_u32_e32 v23, 0, v20
	v_alignbit_b32 v24, v21, v18, v24
	s_delay_alu instid0(VALU_DEP_1) | instskip(NEXT) | instid1(VALU_DEP_1)
	v_dual_cndmask_b32 v21, v24, v21, vcc_lo :: v_dual_bitop2_b32 v22, v22, v23 bitop3:0x14
	v_clz_i32_u32_e32 v24, v22
	s_delay_alu instid0(VALU_DEP_2) | instskip(SKIP_1) | instid1(VALU_DEP_3)
	v_alignbit_b32 v19, v19, v21, 30
	v_alignbit_b32 v18, v21, v18, 30
	v_min_u32_e32 v24, 32, v24
	s_delay_alu instid0(VALU_DEP_3) | instskip(NEXT) | instid1(VALU_DEP_3)
	v_xor_b32_e32 v19, v19, v23
	v_dual_lshrrev_b32 v23, 29, v8 :: v_dual_bitop2_b32 v18, v18, v23 bitop3:0x14
	s_delay_alu instid0(VALU_DEP_3) | instskip(NEXT) | instid1(VALU_DEP_1)
	v_dual_sub_nc_u32 v21, 31, v24 :: v_dual_lshlrev_b32 v25, 23, v24
	v_alignbit_b32 v22, v22, v19, v21
	s_delay_alu instid0(VALU_DEP_3) | instskip(NEXT) | instid1(VALU_DEP_4)
	v_alignbit_b32 v18, v19, v18, v21
	v_lshlrev_b32_e32 v19, 31, v23
	s_delay_alu instid0(VALU_DEP_2) | instskip(NEXT) | instid1(VALU_DEP_2)
	v_alignbit_b32 v21, v22, v18, 9
	v_dual_lshrrev_b32 v22, 9, v22 :: v_dual_bitop2_b32 v23, 0.5, v19 bitop3:0x54
	v_or_b32_e32 v19, 0x33000000, v19
	s_delay_alu instid0(VALU_DEP_3) | instskip(NEXT) | instid1(VALU_DEP_3)
	v_clz_i32_u32_e32 v26, v21
	v_sub_nc_u32_e32 v23, v23, v25
	s_delay_alu instid0(VALU_DEP_2) | instskip(NEXT) | instid1(VALU_DEP_1)
	v_min_u32_e32 v25, 32, v26
	v_add_lshl_u32 v24, v25, v24, 23
	s_delay_alu instid0(VALU_DEP_3) | instskip(SKIP_1) | instid1(VALU_DEP_2)
	v_or_b32_e32 v22, v22, v23
	v_not_b32_e32 v23, v25
	v_dual_mul_f32 v26, 0x3fc90fda, v22 :: v_dual_sub_nc_u32 v19, v19, v24
	s_delay_alu instid0(VALU_DEP_2) | instskip(NEXT) | instid1(VALU_DEP_2)
	v_alignbit_b32 v18, v21, v18, v23
	v_fma_f32 v21, 0x3fc90fda, v22, -v26
	s_delay_alu instid0(VALU_DEP_2) | instskip(NEXT) | instid1(VALU_DEP_2)
	v_lshrrev_b32_e32 v18, 9, v18
	v_fmac_f32_e32 v21, 0x33a22168, v22
	s_delay_alu instid0(VALU_DEP_2) | instskip(NEXT) | instid1(VALU_DEP_1)
	v_or_b32_e32 v18, v19, v18
	v_dual_fmac_f32 v21, 0x3fc90fda, v18 :: v_dual_lshrrev_b32 v18, 30, v8
	s_delay_alu instid0(VALU_DEP_1)
	v_dual_add_nc_u32 v18, v20, v18 :: v_dual_add_f32 v8, v26, v21
.LBB220_55:                             ;   in Loop: Header=BB220_41 Depth=1
	s_and_not1_saveexec_b32 s0, s12
	s_cbranch_execz .LBB220_40
; %bb.56:                               ;   in Loop: Header=BB220_41 Depth=1
	v_mul_f32_e64 v8, 0x3f22f983, |v5|
	s_delay_alu instid0(VALU_DEP_1) | instskip(NEXT) | instid1(VALU_DEP_1)
	v_rndne_f32_e32 v18, v8
	v_fma_f32 v8, 0xbfc90fda, v18, |v5|
	s_delay_alu instid0(VALU_DEP_1) | instskip(NEXT) | instid1(VALU_DEP_1)
	v_fmac_f32_e32 v8, 0xb3a22168, v18
	v_fmac_f32_e32 v8, 0xa7c234c4, v18
	v_cvt_i32_f32_e32 v18, v18
	s_branch .LBB220_40
.LBB220_57:
	s_endpgm
	.section	.rodata,"a",@progbits
	.p2align	6, 0x0
	.amdhsa_kernel _ZN2at6native12_GLOBAL__N_125multi_tensor_apply_kernelINS1_18TensorListMetadataILi1EEENS1_14UnaryOpFunctorIfLi1ELi1ELi0EEEJNS0_3CosIfEEEEEvT_T0_DpT1_
		.amdhsa_group_segment_fixed_size 0
		.amdhsa_private_segment_fixed_size 0
		.amdhsa_kernarg_size 3632
		.amdhsa_user_sgpr_count 2
		.amdhsa_user_sgpr_dispatch_ptr 0
		.amdhsa_user_sgpr_queue_ptr 0
		.amdhsa_user_sgpr_kernarg_segment_ptr 1
		.amdhsa_user_sgpr_dispatch_id 0
		.amdhsa_user_sgpr_kernarg_preload_length 0
		.amdhsa_user_sgpr_kernarg_preload_offset 0
		.amdhsa_user_sgpr_private_segment_size 0
		.amdhsa_wavefront_size32 1
		.amdhsa_uses_dynamic_stack 0
		.amdhsa_enable_private_segment 0
		.amdhsa_system_sgpr_workgroup_id_x 1
		.amdhsa_system_sgpr_workgroup_id_y 0
		.amdhsa_system_sgpr_workgroup_id_z 0
		.amdhsa_system_sgpr_workgroup_info 0
		.amdhsa_system_vgpr_workitem_id 0
		.amdhsa_next_free_vgpr 46
		.amdhsa_next_free_sgpr 30
		.amdhsa_named_barrier_count 0
		.amdhsa_reserve_vcc 1
		.amdhsa_float_round_mode_32 0
		.amdhsa_float_round_mode_16_64 0
		.amdhsa_float_denorm_mode_32 3
		.amdhsa_float_denorm_mode_16_64 3
		.amdhsa_fp16_overflow 0
		.amdhsa_memory_ordered 1
		.amdhsa_forward_progress 1
		.amdhsa_inst_pref_size 68
		.amdhsa_round_robin_scheduling 0
		.amdhsa_exception_fp_ieee_invalid_op 0
		.amdhsa_exception_fp_denorm_src 0
		.amdhsa_exception_fp_ieee_div_zero 0
		.amdhsa_exception_fp_ieee_overflow 0
		.amdhsa_exception_fp_ieee_underflow 0
		.amdhsa_exception_fp_ieee_inexact 0
		.amdhsa_exception_int_div_zero 0
	.end_amdhsa_kernel
	.section	.text._ZN2at6native12_GLOBAL__N_125multi_tensor_apply_kernelINS1_18TensorListMetadataILi1EEENS1_14UnaryOpFunctorIfLi1ELi1ELi0EEEJNS0_3CosIfEEEEEvT_T0_DpT1_,"axG",@progbits,_ZN2at6native12_GLOBAL__N_125multi_tensor_apply_kernelINS1_18TensorListMetadataILi1EEENS1_14UnaryOpFunctorIfLi1ELi1ELi0EEEJNS0_3CosIfEEEEEvT_T0_DpT1_,comdat
.Lfunc_end220:
	.size	_ZN2at6native12_GLOBAL__N_125multi_tensor_apply_kernelINS1_18TensorListMetadataILi1EEENS1_14UnaryOpFunctorIfLi1ELi1ELi0EEEJNS0_3CosIfEEEEEvT_T0_DpT1_, .Lfunc_end220-_ZN2at6native12_GLOBAL__N_125multi_tensor_apply_kernelINS1_18TensorListMetadataILi1EEENS1_14UnaryOpFunctorIfLi1ELi1ELi0EEEJNS0_3CosIfEEEEEvT_T0_DpT1_
                                        ; -- End function
	.set _ZN2at6native12_GLOBAL__N_125multi_tensor_apply_kernelINS1_18TensorListMetadataILi1EEENS1_14UnaryOpFunctorIfLi1ELi1ELi0EEEJNS0_3CosIfEEEEEvT_T0_DpT1_.num_vgpr, 46
	.set _ZN2at6native12_GLOBAL__N_125multi_tensor_apply_kernelINS1_18TensorListMetadataILi1EEENS1_14UnaryOpFunctorIfLi1ELi1ELi0EEEJNS0_3CosIfEEEEEvT_T0_DpT1_.num_agpr, 0
	.set _ZN2at6native12_GLOBAL__N_125multi_tensor_apply_kernelINS1_18TensorListMetadataILi1EEENS1_14UnaryOpFunctorIfLi1ELi1ELi0EEEJNS0_3CosIfEEEEEvT_T0_DpT1_.numbered_sgpr, 30
	.set _ZN2at6native12_GLOBAL__N_125multi_tensor_apply_kernelINS1_18TensorListMetadataILi1EEENS1_14UnaryOpFunctorIfLi1ELi1ELi0EEEJNS0_3CosIfEEEEEvT_T0_DpT1_.num_named_barrier, 0
	.set _ZN2at6native12_GLOBAL__N_125multi_tensor_apply_kernelINS1_18TensorListMetadataILi1EEENS1_14UnaryOpFunctorIfLi1ELi1ELi0EEEJNS0_3CosIfEEEEEvT_T0_DpT1_.private_seg_size, 0
	.set _ZN2at6native12_GLOBAL__N_125multi_tensor_apply_kernelINS1_18TensorListMetadataILi1EEENS1_14UnaryOpFunctorIfLi1ELi1ELi0EEEJNS0_3CosIfEEEEEvT_T0_DpT1_.uses_vcc, 1
	.set _ZN2at6native12_GLOBAL__N_125multi_tensor_apply_kernelINS1_18TensorListMetadataILi1EEENS1_14UnaryOpFunctorIfLi1ELi1ELi0EEEJNS0_3CosIfEEEEEvT_T0_DpT1_.uses_flat_scratch, 0
	.set _ZN2at6native12_GLOBAL__N_125multi_tensor_apply_kernelINS1_18TensorListMetadataILi1EEENS1_14UnaryOpFunctorIfLi1ELi1ELi0EEEJNS0_3CosIfEEEEEvT_T0_DpT1_.has_dyn_sized_stack, 0
	.set _ZN2at6native12_GLOBAL__N_125multi_tensor_apply_kernelINS1_18TensorListMetadataILi1EEENS1_14UnaryOpFunctorIfLi1ELi1ELi0EEEJNS0_3CosIfEEEEEvT_T0_DpT1_.has_recursion, 0
	.set _ZN2at6native12_GLOBAL__N_125multi_tensor_apply_kernelINS1_18TensorListMetadataILi1EEENS1_14UnaryOpFunctorIfLi1ELi1ELi0EEEJNS0_3CosIfEEEEEvT_T0_DpT1_.has_indirect_call, 0
	.section	.AMDGPU.csdata,"",@progbits
; Kernel info:
; codeLenInByte = 8580
; TotalNumSgprs: 32
; NumVgprs: 46
; ScratchSize: 0
; MemoryBound: 0
; FloatMode: 240
; IeeeMode: 1
; LDSByteSize: 0 bytes/workgroup (compile time only)
; SGPRBlocks: 0
; VGPRBlocks: 2
; NumSGPRsForWavesPerEU: 32
; NumVGPRsForWavesPerEU: 46
; NamedBarCnt: 0
; Occupancy: 16
; WaveLimiterHint : 0
; COMPUTE_PGM_RSRC2:SCRATCH_EN: 0
; COMPUTE_PGM_RSRC2:USER_SGPR: 2
; COMPUTE_PGM_RSRC2:TRAP_HANDLER: 0
; COMPUTE_PGM_RSRC2:TGID_X_EN: 1
; COMPUTE_PGM_RSRC2:TGID_Y_EN: 0
; COMPUTE_PGM_RSRC2:TGID_Z_EN: 0
; COMPUTE_PGM_RSRC2:TIDIG_COMP_CNT: 0
	.section	.text._ZN2at6native12_GLOBAL__N_125multi_tensor_apply_kernelINS1_18TensorListMetadataILi1EEENS1_14UnaryOpFunctorIN3c107complexIdEELi1ELi1ELi0EEEJNS0_3CosIS8_EEEEEvT_T0_DpT1_,"axG",@progbits,_ZN2at6native12_GLOBAL__N_125multi_tensor_apply_kernelINS1_18TensorListMetadataILi1EEENS1_14UnaryOpFunctorIN3c107complexIdEELi1ELi1ELi0EEEJNS0_3CosIS8_EEEEEvT_T0_DpT1_,comdat
	.globl	_ZN2at6native12_GLOBAL__N_125multi_tensor_apply_kernelINS1_18TensorListMetadataILi1EEENS1_14UnaryOpFunctorIN3c107complexIdEELi1ELi1ELi0EEEJNS0_3CosIS8_EEEEEvT_T0_DpT1_ ; -- Begin function _ZN2at6native12_GLOBAL__N_125multi_tensor_apply_kernelINS1_18TensorListMetadataILi1EEENS1_14UnaryOpFunctorIN3c107complexIdEELi1ELi1ELi0EEEJNS0_3CosIS8_EEEEEvT_T0_DpT1_
	.p2align	8
	.type	_ZN2at6native12_GLOBAL__N_125multi_tensor_apply_kernelINS1_18TensorListMetadataILi1EEENS1_14UnaryOpFunctorIN3c107complexIdEELi1ELi1ELi0EEEJNS0_3CosIS8_EEEEEvT_T0_DpT1_,@function
_ZN2at6native12_GLOBAL__N_125multi_tensor_apply_kernelINS1_18TensorListMetadataILi1EEENS1_14UnaryOpFunctorIN3c107complexIdEELi1ELi1ELi0EEEJNS0_3CosIS8_EEEEEvT_T0_DpT1_: ; @_ZN2at6native12_GLOBAL__N_125multi_tensor_apply_kernelINS1_18TensorListMetadataILi1EEENS1_14UnaryOpFunctorIN3c107complexIdEELi1ELi1ELi0EEEJNS0_3CosIS8_EEEEEvT_T0_DpT1_
; %bb.0:
	s_mov_b64 s[10:11], s[0:1]
	s_bfe_u32 s0, ttmp6, 0x4000c
	s_and_b32 s1, ttmp6, 15
	s_add_co_i32 s0, s0, 1
	s_getreg_b32 s2, hwreg(HW_REG_IB_STS2, 6, 4)
	s_mul_i32 s0, ttmp9, s0
	v_mov_b32_e32 v60, v0
	s_add_co_i32 s1, s1, s0
	s_cmp_eq_u32 s2, 0
	s_mov_b32 s32, 0
	s_cselect_b32 s0, ttmp9, s1
	s_mov_b32 s1, 0
	s_load_u8 s8, s[10:11], s0 offset:0x6e0
	s_add_nc_u64 s[2:3], s[10:11], s[0:1]
	s_mul_u64 s[4:5], s[0:1], 3
	s_delay_alu instid0(SALU_CYCLE_1)
	s_add_nc_u64 s[2:3], s[2:3], s[4:5]
	s_load_b32 s4, s[2:3], 0x820
	s_wait_kmcnt 0x0
	s_clause 0x1
	s_load_b64 s[16:17], s[10:11], s8 offset:0x0 scale_offset
	s_load_b64 s[6:7], s[10:11], s8 offset:0x370 scale_offset
	s_ashr_i32 s5, s4, 31
	s_delay_alu instid0(SALU_CYCLE_1) | instskip(SKIP_3) | instid1(SALU_CYCLE_1)
	s_lshl_b64 s[18:19], s[4:5], 20
	s_wait_kmcnt 0x0
	s_and_b32 s0, s6, 3
	s_add_nc_u64 s[22:23], s[16:17], s[18:19]
	s_and_b64 s[2:3], s[22:23], 63
	s_delay_alu instid0(SALU_CYCLE_1)
	s_or_b64 s[0:1], s[2:3], s[0:1]
	s_lshl_b64 s[2:3], s[4:5], 16
	s_cmp_eq_u64 s[0:1], 0
	s_sub_nc_u64 s[20:21], s[6:7], s[2:3]
	s_cbranch_scc1 .LBB221_21
; %bb.1:
	v_cmp_lt_i64_e64 s0, s[20:21], 1
	s_and_b32 vcc_lo, exec_lo, s0
	s_cbranch_vccnz .LBB221_20
; %bb.2:
	s_load_b32 s0, s[10:11], 0xd3c
	v_min_i64 v[62:63], 0x10000, s[20:21]
	v_min_u64 v[72:73], 0x10000, s[20:21]
	v_dual_mov_b32 v61, 0 :: v_dual_lshlrev_b32 v74, 4, v60
	s_mov_b32 s1, 0
	s_mov_b64 s[34:35], 0
	s_mov_b32 s3, s1
	s_delay_alu instid0(VALU_DEP_1)
	v_dual_mov_b32 v75, v61 :: v_dual_mov_b32 v87, v61
	s_mov_b32 s5, s1
	s_mov_b32 s25, s1
	;; [unrolled: 1-line block ×3, first 2 shown]
	s_get_pc_i64 s[28:29]
	s_add_nc_u64 s[28:29], s[28:29], _ZN6thrust23THRUST_200600_302600_NS6detail7complex5ccoshERKNS0_7complexIdEE@rel64+4
	s_wait_kmcnt 0x0
	s_and_b32 s0, s0, 0xffff
	s_delay_alu instid0(SALU_CYCLE_1)
	v_mad_nc_u64_u32 v[78:79], s0, 48, v[74:75]
	s_lshl_b32 s2, s0, 1
	s_mul_i32 s4, s0, 3
	s_lshl_b32 s24, s0, 2
	s_lshl_b32 s26, s0, 6
	v_add_nc_u64_e32 v[76:77], s[0:1], v[60:61]
	s_lshl_b32 s0, s0, 5
	v_add_nc_u64_e32 v[88:89], s[4:5], v[60:61]
	v_add_nc_u64_e32 v[84:85], s[0:1], v[74:75]
	;; [unrolled: 1-line block ×3, first 2 shown]
	s_delay_alu instid0(VALU_DEP_4) | instskip(NEXT) | instid1(VALU_DEP_3)
	v_dual_lshlrev_b32 v86, 4, v76 :: v_dual_bitop2_b32 v78, 8, v78 bitop3:0x54
	v_or_b32_e32 v84, 8, v84
	s_branch .LBB221_4
.LBB221_3:                              ;   in Loop: Header=BB221_4 Depth=1
	s_wait_xcnt 0x0
	s_or_b32 exec_lo, exec_lo, s13
	s_add_nc_u64 s[34:35], s[34:35], s[24:25]
	s_add_nc_u64 s[22:23], s[22:23], s[26:27]
	v_cmp_lt_i64_e32 vcc_lo, s[34:35], v[62:63]
	s_cbranch_vccz .LBB221_20
.LBB221_4:                              ; =>This Inner Loop Header: Depth=1
	v_add_nc_u64_e32 v[0:1], s[34:35], v[60:61]
	s_wait_loadcnt 0x0
	v_mov_b64_e32 v[46:47], 0
	v_add_nc_u64_e32 v[98:99], s[22:23], v[74:75]
	v_mov_b64_e32 v[4:5], 0
	v_mov_b64_e32 v[2:3], 0
	v_cmp_lt_u64_e32 vcc_lo, v[0:1], v[72:73]
	s_and_saveexec_b32 s0, vcc_lo
	s_cbranch_execz .LBB221_6
; %bb.5:                                ;   in Loop: Header=BB221_4 Depth=1
	global_load_b128 v[2:5], v[98:99], off
.LBB221_6:                              ;   in Loop: Header=BB221_4 Depth=1
	s_wait_xcnt 0x0
	s_or_b32 exec_lo, exec_lo, s0
	v_add_nc_u64_e32 v[0:1], s[34:35], v[76:77]
	v_add_nc_u64_e32 v[96:97], s[22:23], v[86:87]
	v_mov_b64_e32 v[44:45], 0
	s_delay_alu instid0(VALU_DEP_3)
	v_cmp_lt_u64_e64 s14, v[0:1], v[72:73]
	s_and_saveexec_b32 s0, s14
	s_cbranch_execz .LBB221_8
; %bb.7:                                ;   in Loop: Header=BB221_4 Depth=1
	global_load_b128 v[44:47], v[96:97], off
.LBB221_8:                              ;   in Loop: Header=BB221_4 Depth=1
	s_wait_xcnt 0x0
	s_or_b32 exec_lo, exec_lo, s0
	v_add_nc_u64_e32 v[0:1], s[34:35], v[90:91]
	v_mov_b64_e32 v[42:43], 0
	v_add_nc_u64_e32 v[94:95], s[22:23], v[84:85]
	v_mov_b64_e32 v[58:59], 0
	v_mov_b64_e32 v[56:57], 0
	v_cmp_lt_u64_e64 s13, v[0:1], v[72:73]
	s_and_saveexec_b32 s0, s13
	s_cbranch_execz .LBB221_10
; %bb.9:                                ;   in Loop: Header=BB221_4 Depth=1
	global_load_b128 v[56:59], v[94:95], off offset:-8
.LBB221_10:                             ;   in Loop: Header=BB221_4 Depth=1
	s_wait_xcnt 0x0
	s_or_b32 exec_lo, exec_lo, s0
	v_add_nc_u64_e32 v[0:1], s[34:35], v[88:89]
	v_add_nc_u64_e32 v[92:93], s[22:23], v[78:79]
	v_mov_b64_e32 v[40:41], 0
	s_delay_alu instid0(VALU_DEP_3)
	v_cmp_lt_u64_e64 s12, v[0:1], v[72:73]
	s_and_saveexec_b32 s0, s12
	s_cbranch_execnz .LBB221_15
; %bb.11:                               ;   in Loop: Header=BB221_4 Depth=1
	s_or_b32 exec_lo, exec_lo, s0
	s_and_saveexec_b32 s15, vcc_lo
	s_cbranch_execnz .LBB221_16
.LBB221_12:                             ;   in Loop: Header=BB221_4 Depth=1
	s_or_b32 exec_lo, exec_lo, s15
	s_and_saveexec_b32 s15, s14
	s_cbranch_execnz .LBB221_17
.LBB221_13:                             ;   in Loop: Header=BB221_4 Depth=1
	s_or_b32 exec_lo, exec_lo, s15
	s_and_saveexec_b32 s14, s13
	s_cbranch_execnz .LBB221_18
.LBB221_14:                             ;   in Loop: Header=BB221_4 Depth=1
	s_or_b32 exec_lo, exec_lo, s14
	s_and_saveexec_b32 s13, s12
	s_cbranch_execz .LBB221_3
	s_branch .LBB221_19
.LBB221_15:                             ;   in Loop: Header=BB221_4 Depth=1
	global_load_b128 v[40:43], v[92:93], off offset:-8
	s_wait_xcnt 0x0
	s_or_b32 exec_lo, exec_lo, s0
	s_and_saveexec_b32 s15, vcc_lo
	s_cbranch_execz .LBB221_12
.LBB221_16:                             ;   in Loop: Header=BB221_4 Depth=1
	s_wait_loadcnt 0x0
	v_xor_b32_e32 v1, 0x80000000, v5
	v_mov_b32_e32 v0, v4
	s_swap_pc_i64 s[30:31], s[28:29]
	global_store_b128 v[98:99], v[0:3], off
	s_wait_xcnt 0x0
	s_or_b32 exec_lo, exec_lo, s15
	s_and_saveexec_b32 s15, s14
	s_cbranch_execz .LBB221_13
.LBB221_17:                             ;   in Loop: Header=BB221_4 Depth=1
	s_wait_loadcnt 0x0
	v_xor_b32_e32 v1, 0x80000000, v47
	v_dual_mov_b32 v0, v46 :: v_dual_mov_b32 v2, v44
	v_mov_b32_e32 v3, v45
	s_swap_pc_i64 s[30:31], s[28:29]
	global_store_b128 v[96:97], v[0:3], off
	s_wait_xcnt 0x0
	s_or_b32 exec_lo, exec_lo, s15
	s_and_saveexec_b32 s14, s13
	s_cbranch_execz .LBB221_14
.LBB221_18:                             ;   in Loop: Header=BB221_4 Depth=1
	s_wait_loadcnt 0x0
	v_xor_b32_e32 v1, 0x80000000, v59
	v_dual_mov_b32 v0, v58 :: v_dual_mov_b32 v2, v56
	v_mov_b32_e32 v3, v57
	s_swap_pc_i64 s[30:31], s[28:29]
	global_store_b128 v[94:95], v[0:3], off offset:-8
	s_wait_xcnt 0x0
	s_or_b32 exec_lo, exec_lo, s14
	s_and_saveexec_b32 s13, s12
	s_cbranch_execz .LBB221_3
.LBB221_19:                             ;   in Loop: Header=BB221_4 Depth=1
	s_wait_loadcnt 0x0
	v_xor_b32_e32 v1, 0x80000000, v43
	v_dual_mov_b32 v0, v42 :: v_dual_mov_b32 v2, v40
	v_mov_b32_e32 v3, v41
	s_swap_pc_i64 s[30:31], s[28:29]
	global_store_b128 v[92:93], v[0:3], off offset:-8
	s_branch .LBB221_3
.LBB221_20:
	s_cbranch_execz .LBB221_22
	s_branch .LBB221_25
.LBB221_21:
.LBB221_22:
	v_min_i64 v[62:63], 0x10000, s[20:21]
	v_dual_mov_b32 v1, 0 :: v_dual_lshlrev_b32 v0, 2, v60
	s_mov_b32 s0, exec_lo
	s_delay_alu instid0(VALU_DEP_1)
	v_cmpx_lt_i64_e64 v[0:1], v[62:63]
	s_cbranch_execz .LBB221_25
; %bb.23:
	s_load_b32 s2, s[10:11], 0xd3c
	v_dual_mov_b32 v61, v1 :: v_dual_lshlrev_b32 v0, 6, v60
	s_add_nc_u64 s[0:1], s[16:17], s[18:19]
	s_wait_xcnt 0x0
	s_mov_b32 s11, 0
	s_get_pc_i64 s[12:13]
	s_add_nc_u64 s[12:13], s[12:13], _ZN6thrust23THRUST_200600_302600_NS6detail7complex5ccoshERKNS0_7complexIdEE@rel64+4
	v_add_nc_u64_e32 v[76:77], s[0:1], v[0:1]
	s_mov_b32 s15, s11
	s_mov_b32 s16, s11
	s_wait_kmcnt 0x0
	s_and_b32 s10, s2, 0xffff
	s_delay_alu instid0(SALU_CYCLE_1)
	s_lshl_b32 s14, s10, 6
.LBB221_24:                             ; =>This Inner Loop Header: Depth=1
	s_wait_loadcnt 0x0
	s_clause 0x3
	global_load_b128 v[2:5], v[76:77], off
	global_load_b128 v[40:43], v[76:77], off offset:16
	global_load_b128 v[44:47], v[76:77], off offset:48
	;; [unrolled: 1-line block ×3, first 2 shown]
	s_wait_loadcnt 0x3
	v_xor_b32_e32 v1, 0x80000000, v5
	v_mov_b32_e32 v0, v4
	s_swap_pc_i64 s[30:31], s[12:13]
	s_delay_alu instid0(VALU_DEP_1)
	v_dual_mov_b32 v72, v0 :: v_dual_mov_b32 v73, v1
	v_dual_mov_b32 v74, v2 :: v_dual_mov_b32 v75, v3
	v_xor_b32_e32 v1, 0x80000000, v43
	v_dual_mov_b32 v0, v42 :: v_dual_mov_b32 v2, v40
	v_mov_b32_e32 v3, v41
	s_swap_pc_i64 s[30:31], s[12:13]
	s_delay_alu instid0(VALU_DEP_2) | instskip(NEXT) | instid1(VALU_DEP_2)
	v_dual_mov_b32 v40, v0 :: v_dual_mov_b32 v41, v1
	v_dual_mov_b32 v42, v2 :: v_dual_mov_b32 v43, v3
	v_xor_b32_e32 v1, 0x80000000, v59
	v_dual_mov_b32 v0, v58 :: v_dual_mov_b32 v2, v56
	v_mov_b32_e32 v3, v57
	s_swap_pc_i64 s[30:31], s[12:13]
	s_delay_alu instid0(VALU_DEP_2) | instskip(NEXT) | instid1(VALU_DEP_2)
	v_dual_mov_b32 v56, v0 :: v_dual_mov_b32 v57, v1
	v_dual_mov_b32 v58, v2 :: v_dual_mov_b32 v59, v3
	v_xor_b32_e32 v1, 0x80000000, v47
	v_dual_mov_b32 v0, v46 :: v_dual_mov_b32 v2, v44
	v_mov_b32_e32 v3, v45
	s_swap_pc_i64 s[30:31], s[12:13]
	v_add_nc_u64_e32 v[60:61], s[10:11], v[60:61]
	s_clause 0x3
	global_store_b128 v[76:77], v[72:75], off
	global_store_b128 v[76:77], v[40:43], off offset:16
	global_store_b128 v[76:77], v[56:59], off offset:32
	;; [unrolled: 1-line block ×3, first 2 shown]
	s_wait_xcnt 0x0
	v_add_nc_u64_e32 v[76:77], s[14:15], v[76:77]
	v_lshlrev_b64_e32 v[4:5], 2, v[60:61]
	s_delay_alu instid0(VALU_DEP_1) | instskip(SKIP_1) | instid1(SALU_CYCLE_1)
	v_cmp_ge_i64_e32 vcc_lo, v[4:5], v[62:63]
	s_or_b32 s16, vcc_lo, s16
	s_and_not1_b32 exec_lo, exec_lo, s16
	s_cbranch_execnz .LBB221_24
.LBB221_25:
	s_endpgm
	.section	.rodata,"a",@progbits
	.p2align	6, 0x0
	.amdhsa_kernel _ZN2at6native12_GLOBAL__N_125multi_tensor_apply_kernelINS1_18TensorListMetadataILi1EEENS1_14UnaryOpFunctorIN3c107complexIdEELi1ELi1ELi0EEEJNS0_3CosIS8_EEEEEvT_T0_DpT1_
		.amdhsa_group_segment_fixed_size 0
		.amdhsa_private_segment_fixed_size 0
		.amdhsa_kernarg_size 3632
		.amdhsa_user_sgpr_count 2
		.amdhsa_user_sgpr_dispatch_ptr 0
		.amdhsa_user_sgpr_queue_ptr 0
		.amdhsa_user_sgpr_kernarg_segment_ptr 1
		.amdhsa_user_sgpr_dispatch_id 0
		.amdhsa_user_sgpr_kernarg_preload_length 0
		.amdhsa_user_sgpr_kernarg_preload_offset 0
		.amdhsa_user_sgpr_private_segment_size 0
		.amdhsa_wavefront_size32 1
		.amdhsa_uses_dynamic_stack 0
		.amdhsa_enable_private_segment 0
		.amdhsa_system_sgpr_workgroup_id_x 1
		.amdhsa_system_sgpr_workgroup_id_y 0
		.amdhsa_system_sgpr_workgroup_id_z 0
		.amdhsa_system_sgpr_workgroup_info 0
		.amdhsa_system_vgpr_workitem_id 0
		.amdhsa_next_free_vgpr 100
		.amdhsa_next_free_sgpr 36
		.amdhsa_named_barrier_count 0
		.amdhsa_reserve_vcc 1
		.amdhsa_float_round_mode_32 0
		.amdhsa_float_round_mode_16_64 0
		.amdhsa_float_denorm_mode_32 3
		.amdhsa_float_denorm_mode_16_64 3
		.amdhsa_fp16_overflow 0
		.amdhsa_memory_ordered 1
		.amdhsa_forward_progress 1
		.amdhsa_inst_pref_size 11
		.amdhsa_round_robin_scheduling 0
		.amdhsa_exception_fp_ieee_invalid_op 0
		.amdhsa_exception_fp_denorm_src 0
		.amdhsa_exception_fp_ieee_div_zero 0
		.amdhsa_exception_fp_ieee_overflow 0
		.amdhsa_exception_fp_ieee_underflow 0
		.amdhsa_exception_fp_ieee_inexact 0
		.amdhsa_exception_int_div_zero 0
	.end_amdhsa_kernel
	.section	.text._ZN2at6native12_GLOBAL__N_125multi_tensor_apply_kernelINS1_18TensorListMetadataILi1EEENS1_14UnaryOpFunctorIN3c107complexIdEELi1ELi1ELi0EEEJNS0_3CosIS8_EEEEEvT_T0_DpT1_,"axG",@progbits,_ZN2at6native12_GLOBAL__N_125multi_tensor_apply_kernelINS1_18TensorListMetadataILi1EEENS1_14UnaryOpFunctorIN3c107complexIdEELi1ELi1ELi0EEEJNS0_3CosIS8_EEEEEvT_T0_DpT1_,comdat
.Lfunc_end221:
	.size	_ZN2at6native12_GLOBAL__N_125multi_tensor_apply_kernelINS1_18TensorListMetadataILi1EEENS1_14UnaryOpFunctorIN3c107complexIdEELi1ELi1ELi0EEEJNS0_3CosIS8_EEEEEvT_T0_DpT1_, .Lfunc_end221-_ZN2at6native12_GLOBAL__N_125multi_tensor_apply_kernelINS1_18TensorListMetadataILi1EEENS1_14UnaryOpFunctorIN3c107complexIdEELi1ELi1ELi0EEEJNS0_3CosIS8_EEEEEvT_T0_DpT1_
                                        ; -- End function
	.set _ZN2at6native12_GLOBAL__N_125multi_tensor_apply_kernelINS1_18TensorListMetadataILi1EEENS1_14UnaryOpFunctorIN3c107complexIdEELi1ELi1ELi0EEEJNS0_3CosIS8_EEEEEvT_T0_DpT1_.num_vgpr, max(100, .L_ZN6thrust23THRUST_200600_302600_NS6detail7complex5ccoshERKNS0_7complexIdEE.num_vgpr)
	.set _ZN2at6native12_GLOBAL__N_125multi_tensor_apply_kernelINS1_18TensorListMetadataILi1EEENS1_14UnaryOpFunctorIN3c107complexIdEELi1ELi1ELi0EEEJNS0_3CosIS8_EEEEEvT_T0_DpT1_.num_agpr, max(0, .L_ZN6thrust23THRUST_200600_302600_NS6detail7complex5ccoshERKNS0_7complexIdEE.num_agpr)
	.set _ZN2at6native12_GLOBAL__N_125multi_tensor_apply_kernelINS1_18TensorListMetadataILi1EEENS1_14UnaryOpFunctorIN3c107complexIdEELi1ELi1ELi0EEEJNS0_3CosIS8_EEEEEvT_T0_DpT1_.numbered_sgpr, max(36, .L_ZN6thrust23THRUST_200600_302600_NS6detail7complex5ccoshERKNS0_7complexIdEE.numbered_sgpr)
	.set _ZN2at6native12_GLOBAL__N_125multi_tensor_apply_kernelINS1_18TensorListMetadataILi1EEENS1_14UnaryOpFunctorIN3c107complexIdEELi1ELi1ELi0EEEJNS0_3CosIS8_EEEEEvT_T0_DpT1_.num_named_barrier, max(0, .L_ZN6thrust23THRUST_200600_302600_NS6detail7complex5ccoshERKNS0_7complexIdEE.num_named_barrier)
	.set _ZN2at6native12_GLOBAL__N_125multi_tensor_apply_kernelINS1_18TensorListMetadataILi1EEENS1_14UnaryOpFunctorIN3c107complexIdEELi1ELi1ELi0EEEJNS0_3CosIS8_EEEEEvT_T0_DpT1_.private_seg_size, 0+max(.L_ZN6thrust23THRUST_200600_302600_NS6detail7complex5ccoshERKNS0_7complexIdEE.private_seg_size)
	.set _ZN2at6native12_GLOBAL__N_125multi_tensor_apply_kernelINS1_18TensorListMetadataILi1EEENS1_14UnaryOpFunctorIN3c107complexIdEELi1ELi1ELi0EEEJNS0_3CosIS8_EEEEEvT_T0_DpT1_.uses_vcc, or(1, .L_ZN6thrust23THRUST_200600_302600_NS6detail7complex5ccoshERKNS0_7complexIdEE.uses_vcc)
	.set _ZN2at6native12_GLOBAL__N_125multi_tensor_apply_kernelINS1_18TensorListMetadataILi1EEENS1_14UnaryOpFunctorIN3c107complexIdEELi1ELi1ELi0EEEJNS0_3CosIS8_EEEEEvT_T0_DpT1_.uses_flat_scratch, or(0, .L_ZN6thrust23THRUST_200600_302600_NS6detail7complex5ccoshERKNS0_7complexIdEE.uses_flat_scratch)
	.set _ZN2at6native12_GLOBAL__N_125multi_tensor_apply_kernelINS1_18TensorListMetadataILi1EEENS1_14UnaryOpFunctorIN3c107complexIdEELi1ELi1ELi0EEEJNS0_3CosIS8_EEEEEvT_T0_DpT1_.has_dyn_sized_stack, or(0, .L_ZN6thrust23THRUST_200600_302600_NS6detail7complex5ccoshERKNS0_7complexIdEE.has_dyn_sized_stack)
	.set _ZN2at6native12_GLOBAL__N_125multi_tensor_apply_kernelINS1_18TensorListMetadataILi1EEENS1_14UnaryOpFunctorIN3c107complexIdEELi1ELi1ELi0EEEJNS0_3CosIS8_EEEEEvT_T0_DpT1_.has_recursion, or(0, .L_ZN6thrust23THRUST_200600_302600_NS6detail7complex5ccoshERKNS0_7complexIdEE.has_recursion)
	.set _ZN2at6native12_GLOBAL__N_125multi_tensor_apply_kernelINS1_18TensorListMetadataILi1EEENS1_14UnaryOpFunctorIN3c107complexIdEELi1ELi1ELi0EEEJNS0_3CosIS8_EEEEEvT_T0_DpT1_.has_indirect_call, or(0, .L_ZN6thrust23THRUST_200600_302600_NS6detail7complex5ccoshERKNS0_7complexIdEE.has_indirect_call)
	.section	.AMDGPU.csdata,"",@progbits
; Kernel info:
; codeLenInByte = 1308
; TotalNumSgprs: 38
; NumVgprs: 100
; ScratchSize: 0
; MemoryBound: 1
; FloatMode: 240
; IeeeMode: 1
; LDSByteSize: 0 bytes/workgroup (compile time only)
; SGPRBlocks: 0
; VGPRBlocks: 6
; NumSGPRsForWavesPerEU: 38
; NumVGPRsForWavesPerEU: 100
; NamedBarCnt: 0
; Occupancy: 9
; WaveLimiterHint : 0
; COMPUTE_PGM_RSRC2:SCRATCH_EN: 0
; COMPUTE_PGM_RSRC2:USER_SGPR: 2
; COMPUTE_PGM_RSRC2:TRAP_HANDLER: 0
; COMPUTE_PGM_RSRC2:TGID_X_EN: 1
; COMPUTE_PGM_RSRC2:TGID_Y_EN: 0
; COMPUTE_PGM_RSRC2:TGID_Z_EN: 0
; COMPUTE_PGM_RSRC2:TIDIG_COMP_CNT: 0
	.section	.text._ZN2at6native12_GLOBAL__N_125multi_tensor_apply_kernelINS1_18TensorListMetadataILi1EEENS1_14UnaryOpFunctorIN3c107complexIfEELi1ELi1ELi0EEEJNS0_3CosIS8_EEEEEvT_T0_DpT1_,"axG",@progbits,_ZN2at6native12_GLOBAL__N_125multi_tensor_apply_kernelINS1_18TensorListMetadataILi1EEENS1_14UnaryOpFunctorIN3c107complexIfEELi1ELi1ELi0EEEJNS0_3CosIS8_EEEEEvT_T0_DpT1_,comdat
	.globl	_ZN2at6native12_GLOBAL__N_125multi_tensor_apply_kernelINS1_18TensorListMetadataILi1EEENS1_14UnaryOpFunctorIN3c107complexIfEELi1ELi1ELi0EEEJNS0_3CosIS8_EEEEEvT_T0_DpT1_ ; -- Begin function _ZN2at6native12_GLOBAL__N_125multi_tensor_apply_kernelINS1_18TensorListMetadataILi1EEENS1_14UnaryOpFunctorIN3c107complexIfEELi1ELi1ELi0EEEJNS0_3CosIS8_EEEEEvT_T0_DpT1_
	.p2align	8
	.type	_ZN2at6native12_GLOBAL__N_125multi_tensor_apply_kernelINS1_18TensorListMetadataILi1EEENS1_14UnaryOpFunctorIN3c107complexIfEELi1ELi1ELi0EEEJNS0_3CosIS8_EEEEEvT_T0_DpT1_,@function
_ZN2at6native12_GLOBAL__N_125multi_tensor_apply_kernelINS1_18TensorListMetadataILi1EEENS1_14UnaryOpFunctorIN3c107complexIfEELi1ELi1ELi0EEEJNS0_3CosIS8_EEEEEvT_T0_DpT1_: ; @_ZN2at6native12_GLOBAL__N_125multi_tensor_apply_kernelINS1_18TensorListMetadataILi1EEENS1_14UnaryOpFunctorIN3c107complexIfEELi1ELi1ELi0EEEJNS0_3CosIS8_EEEEEvT_T0_DpT1_
; %bb.0:
	s_mov_b64 s[10:11], s[0:1]
	s_bfe_u32 s0, ttmp6, 0x4000c
	s_and_b32 s1, ttmp6, 15
	s_add_co_i32 s0, s0, 1
	s_getreg_b32 s2, hwreg(HW_REG_IB_STS2, 6, 4)
	s_mul_i32 s0, ttmp9, s0
	v_mov_b32_e32 v22, v0
	s_add_co_i32 s1, s1, s0
	s_cmp_eq_u32 s2, 0
	s_mov_b32 s32, 0
	s_cselect_b32 s0, ttmp9, s1
	s_mov_b32 s1, 0
	s_load_u8 s8, s[10:11], s0 offset:0x6e0
	s_add_nc_u64 s[2:3], s[10:11], s[0:1]
	s_mul_u64 s[4:5], s[0:1], 3
	s_delay_alu instid0(SALU_CYCLE_1)
	s_add_nc_u64 s[2:3], s[2:3], s[4:5]
	s_load_b32 s4, s[2:3], 0x820
	s_wait_kmcnt 0x0
	s_clause 0x1
	s_load_b64 s[16:17], s[10:11], s8 offset:0x0 scale_offset
	s_load_b64 s[6:7], s[10:11], s8 offset:0x370 scale_offset
	s_ashr_i32 s5, s4, 31
	s_delay_alu instid0(SALU_CYCLE_1) | instskip(SKIP_3) | instid1(SALU_CYCLE_1)
	s_lshl_b64 s[18:19], s[4:5], 19
	s_wait_kmcnt 0x0
	s_and_b32 s0, s6, 3
	s_add_nc_u64 s[22:23], s[16:17], s[18:19]
	s_and_b64 s[2:3], s[22:23], 31
	s_delay_alu instid0(SALU_CYCLE_1)
	s_or_b64 s[0:1], s[2:3], s[0:1]
	s_lshl_b64 s[2:3], s[4:5], 16
	s_cmp_eq_u64 s[0:1], 0
	s_sub_nc_u64 s[20:21], s[6:7], s[2:3]
	s_cbranch_scc1 .LBB222_21
; %bb.1:
	v_cmp_lt_i64_e64 s0, s[20:21], 1
	s_and_b32 vcc_lo, exec_lo, s0
	s_cbranch_vccnz .LBB222_20
; %bb.2:
	s_load_b32 s0, s[10:11], 0xd3c
	v_min_i64 v[24:25], 0x10000, s[20:21]
	v_min_u64 v[26:27], 0x10000, s[20:21]
	v_dual_mov_b32 v23, 0 :: v_dual_lshlrev_b32 v28, 3, v22
	s_mov_b32 s29, 0
	s_mov_b64 s[34:35], 0
	s_mov_b32 s1, s29
	s_delay_alu instid0(VALU_DEP_1)
	v_dual_mov_b32 v29, v23 :: v_dual_mov_b32 v31, v23
	s_mov_b32 s3, s29
	s_mov_b32 s5, s29
	;; [unrolled: 1-line block ×3, first 2 shown]
	s_get_pc_i64 s[26:27]
	s_add_nc_u64 s[26:27], s[26:27], _ZN6thrust23THRUST_200600_302600_NS6detail7complex6ccoshfERKNS0_7complexIfEE@rel64+4
	s_wait_kmcnt 0x0
	s_and_b32 s28, s0, 0xffff
	s_delay_alu instid0(SALU_CYCLE_1)
	v_add_nc_u64_e32 v[32:33], s[28:29], v[22:23]
	v_mad_nc_u64_u32 v[34:35], s28, 24, v[28:29]
	s_lshl_b32 s0, s28, 1
	s_mul_i32 s2, s28, 3
	s_lshl_b32 s4, s28, 4
	v_add_nc_u64_e32 v[36:37], s[2:3], v[22:23]
	v_add_nc_u64_e32 v[38:39], s[4:5], v[28:29]
	;; [unrolled: 1-line block ×3, first 2 shown]
	v_lshlrev_b32_e32 v30, 3, v32
	s_lshl_b32 s24, s28, 2
	s_lshl_b32 s28, s28, 5
	s_branch .LBB222_4
.LBB222_3:                              ;   in Loop: Header=BB222_4 Depth=1
	s_wait_xcnt 0x0
	s_or_b32 exec_lo, exec_lo, s13
	s_add_nc_u64 s[34:35], s[34:35], s[24:25]
	s_add_nc_u64 s[22:23], s[22:23], s[28:29]
	v_cmp_lt_i64_e32 vcc_lo, s[34:35], v[24:25]
	s_cbranch_vccz .LBB222_20
.LBB222_4:                              ; =>This Inner Loop Header: Depth=1
	v_add_nc_u64_e32 v[0:1], s[34:35], v[22:23]
	v_add_nc_u64_e32 v[48:49], s[22:23], v[28:29]
	s_wait_loadcnt 0x0
	v_dual_mov_b32 v2, 0 :: v_dual_mov_b32 v3, 0
	s_delay_alu instid0(VALU_DEP_3)
	v_cmp_lt_u64_e32 vcc_lo, v[0:1], v[26:27]
	s_and_saveexec_b32 s0, vcc_lo
	s_cbranch_execz .LBB222_6
; %bb.5:                                ;   in Loop: Header=BB222_4 Depth=1
	global_load_b64 v[2:3], v[48:49], off
.LBB222_6:                              ;   in Loop: Header=BB222_4 Depth=1
	s_wait_xcnt 0x0
	s_or_b32 exec_lo, exec_lo, s0
	v_add_nc_u64_e32 v[0:1], s[34:35], v[32:33]
	v_add_nc_u64_e32 v[50:51], s[22:23], v[30:31]
	v_dual_mov_b32 v42, 0 :: v_dual_mov_b32 v54, 0
	v_mov_b32_e32 v55, 0
	s_delay_alu instid0(VALU_DEP_4)
	v_cmp_lt_u64_e64 s14, v[0:1], v[26:27]
	s_and_saveexec_b32 s0, s14
	s_cbranch_execz .LBB222_8
; %bb.7:                                ;   in Loop: Header=BB222_4 Depth=1
	global_load_b64 v[54:55], v[50:51], off
.LBB222_8:                              ;   in Loop: Header=BB222_4 Depth=1
	s_wait_xcnt 0x0
	s_or_b32 exec_lo, exec_lo, s0
	v_add_nc_u64_e32 v[0:1], s[34:35], v[40:41]
	v_add_nc_u64_e32 v[46:47], s[22:23], v[38:39]
	v_mov_b32_e32 v43, 0
	s_delay_alu instid0(VALU_DEP_3)
	v_cmp_lt_u64_e64 s13, v[0:1], v[26:27]
	s_and_saveexec_b32 s0, s13
	s_cbranch_execz .LBB222_10
; %bb.9:                                ;   in Loop: Header=BB222_4 Depth=1
	global_load_b64 v[42:43], v[46:47], off
.LBB222_10:                             ;   in Loop: Header=BB222_4 Depth=1
	s_wait_xcnt 0x0
	s_or_b32 exec_lo, exec_lo, s0
	v_add_nc_u64_e32 v[0:1], s[34:35], v[36:37]
	v_add_nc_u64_e32 v[44:45], s[22:23], v[34:35]
	v_dual_mov_b32 v52, 0 :: v_dual_mov_b32 v53, 0
	s_delay_alu instid0(VALU_DEP_3)
	v_cmp_lt_u64_e64 s12, v[0:1], v[26:27]
	s_and_saveexec_b32 s0, s12
	s_cbranch_execnz .LBB222_15
; %bb.11:                               ;   in Loop: Header=BB222_4 Depth=1
	s_or_b32 exec_lo, exec_lo, s0
	s_and_saveexec_b32 s15, vcc_lo
	s_cbranch_execnz .LBB222_16
.LBB222_12:                             ;   in Loop: Header=BB222_4 Depth=1
	s_or_b32 exec_lo, exec_lo, s15
	s_and_saveexec_b32 s15, s14
	s_cbranch_execnz .LBB222_17
.LBB222_13:                             ;   in Loop: Header=BB222_4 Depth=1
	s_or_b32 exec_lo, exec_lo, s15
	s_and_saveexec_b32 s14, s13
	s_cbranch_execnz .LBB222_18
.LBB222_14:                             ;   in Loop: Header=BB222_4 Depth=1
	s_or_b32 exec_lo, exec_lo, s14
	s_and_saveexec_b32 s13, s12
	s_cbranch_execz .LBB222_3
	s_branch .LBB222_19
.LBB222_15:                             ;   in Loop: Header=BB222_4 Depth=1
	global_load_b64 v[52:53], v[44:45], off
	s_wait_xcnt 0x0
	s_or_b32 exec_lo, exec_lo, s0
	s_and_saveexec_b32 s15, vcc_lo
	s_cbranch_execz .LBB222_12
.LBB222_16:                             ;   in Loop: Header=BB222_4 Depth=1
	s_wait_loadcnt 0x0
	v_xor_b32_e32 v0, 0x80000000, v3
	v_mov_b32_e32 v1, v2
	s_swap_pc_i64 s[30:31], s[26:27]
	global_store_b64 v[48:49], v[0:1], off
	s_wait_xcnt 0x0
	s_or_b32 exec_lo, exec_lo, s15
	s_and_saveexec_b32 s15, s14
	s_cbranch_execz .LBB222_13
.LBB222_17:                             ;   in Loop: Header=BB222_4 Depth=1
	s_wait_loadcnt 0x0
	v_xor_b32_e32 v0, 0x80000000, v55
	v_mov_b32_e32 v1, v54
	s_swap_pc_i64 s[30:31], s[26:27]
	global_store_b64 v[50:51], v[0:1], off
	s_wait_xcnt 0x0
	s_or_b32 exec_lo, exec_lo, s15
	s_and_saveexec_b32 s14, s13
	s_cbranch_execz .LBB222_14
.LBB222_18:                             ;   in Loop: Header=BB222_4 Depth=1
	s_wait_loadcnt 0x0
	v_xor_b32_e32 v0, 0x80000000, v43
	v_mov_b32_e32 v1, v42
	s_swap_pc_i64 s[30:31], s[26:27]
	global_store_b64 v[46:47], v[0:1], off
	s_wait_xcnt 0x0
	s_or_b32 exec_lo, exec_lo, s14
	s_and_saveexec_b32 s13, s12
	s_cbranch_execz .LBB222_3
.LBB222_19:                             ;   in Loop: Header=BB222_4 Depth=1
	s_wait_loadcnt 0x0
	v_xor_b32_e32 v0, 0x80000000, v53
	v_mov_b32_e32 v1, v52
	s_swap_pc_i64 s[30:31], s[26:27]
	global_store_b64 v[44:45], v[0:1], off
	s_branch .LBB222_3
.LBB222_20:
	s_cbranch_execz .LBB222_22
	s_branch .LBB222_25
.LBB222_21:
.LBB222_22:
	v_min_i64 v[32:33], 0x10000, s[20:21]
	v_dual_mov_b32 v1, 0 :: v_dual_lshlrev_b32 v0, 2, v22
	s_mov_b32 s0, exec_lo
	s_delay_alu instid0(VALU_DEP_1)
	v_cmpx_lt_i64_e64 v[0:1], v[32:33]
	s_cbranch_execz .LBB222_25
; %bb.23:
	s_load_b32 s2, s[10:11], 0xd3c
	v_dual_mov_b32 v23, v1 :: v_dual_lshlrev_b32 v0, 5, v22
	s_add_nc_u64 s[0:1], s[16:17], s[18:19]
	s_wait_xcnt 0x0
	s_mov_b32 s11, 0
	s_get_pc_i64 s[12:13]
	s_add_nc_u64 s[12:13], s[12:13], _ZN6thrust23THRUST_200600_302600_NS6detail7complex6ccoshfERKNS0_7complexIfEE@rel64+4
	v_add_nc_u64_e32 v[34:35], s[0:1], v[0:1]
	s_mov_b32 s15, s11
	s_mov_b32 s16, s11
	s_wait_kmcnt 0x0
	s_and_b32 s10, s2, 0xffff
	s_delay_alu instid0(SALU_CYCLE_1)
	s_lshl_b32 s14, s10, 5
.LBB222_24:                             ; =>This Inner Loop Header: Depth=1
	s_clause 0x1
	global_load_b128 v[24:27], v[34:35], off
	global_load_b128 v[28:31], v[34:35], off offset:16
	s_wait_loadcnt 0x1
	v_xor_b32_e32 v0, 0x80000000, v25
	v_mov_b32_e32 v1, v24
	s_swap_pc_i64 s[30:31], s[12:13]
	s_delay_alu instid0(VALU_DEP_1) | instskip(SKIP_3) | instid1(VALU_DEP_1)
	v_dual_mov_b32 v24, v0 :: v_dual_mov_b32 v25, v1
	v_xor_b32_e32 v0, 0x80000000, v27
	v_mov_b32_e32 v1, v26
	s_swap_pc_i64 s[30:31], s[12:13]
	v_dual_mov_b32 v26, v0 :: v_dual_mov_b32 v27, v1
	v_xor_b32_e32 v0, 0x80000000, v29
	v_mov_b32_e32 v1, v28
	s_swap_pc_i64 s[30:31], s[12:13]
	s_delay_alu instid0(VALU_DEP_1) | instskip(SKIP_4) | instid1(VALU_DEP_2)
	v_dual_mov_b32 v28, v0 :: v_dual_mov_b32 v29, v1
	v_xor_b32_e32 v0, 0x80000000, v31
	v_mov_b32_e32 v1, v30
	s_swap_pc_i64 s[30:31], s[12:13]
	v_add_nc_u64_e32 v[22:23], s[10:11], v[22:23]
	v_dual_mov_b32 v30, v0 :: v_dual_mov_b32 v31, v1
	s_clause 0x1
	global_store_b128 v[34:35], v[24:27], off
	global_store_b128 v[34:35], v[28:31], off offset:16
	v_lshlrev_b64_e32 v[0:1], 2, v[22:23]
	s_wait_xcnt 0x0
	v_add_nc_u64_e32 v[34:35], s[14:15], v[34:35]
	s_delay_alu instid0(VALU_DEP_2) | instskip(SKIP_1) | instid1(SALU_CYCLE_1)
	v_cmp_ge_i64_e32 vcc_lo, v[0:1], v[32:33]
	s_or_b32 s16, vcc_lo, s16
	s_and_not1_b32 exec_lo, exec_lo, s16
	s_cbranch_execnz .LBB222_24
.LBB222_25:
	s_endpgm
	.section	.rodata,"a",@progbits
	.p2align	6, 0x0
	.amdhsa_kernel _ZN2at6native12_GLOBAL__N_125multi_tensor_apply_kernelINS1_18TensorListMetadataILi1EEENS1_14UnaryOpFunctorIN3c107complexIfEELi1ELi1ELi0EEEJNS0_3CosIS8_EEEEEvT_T0_DpT1_
		.amdhsa_group_segment_fixed_size 0
		.amdhsa_private_segment_fixed_size 0
		.amdhsa_kernarg_size 3632
		.amdhsa_user_sgpr_count 2
		.amdhsa_user_sgpr_dispatch_ptr 0
		.amdhsa_user_sgpr_queue_ptr 0
		.amdhsa_user_sgpr_kernarg_segment_ptr 1
		.amdhsa_user_sgpr_dispatch_id 0
		.amdhsa_user_sgpr_kernarg_preload_length 0
		.amdhsa_user_sgpr_kernarg_preload_offset 0
		.amdhsa_user_sgpr_private_segment_size 0
		.amdhsa_wavefront_size32 1
		.amdhsa_uses_dynamic_stack 0
		.amdhsa_enable_private_segment 0
		.amdhsa_system_sgpr_workgroup_id_x 1
		.amdhsa_system_sgpr_workgroup_id_y 0
		.amdhsa_system_sgpr_workgroup_id_z 0
		.amdhsa_system_sgpr_workgroup_info 0
		.amdhsa_system_vgpr_workitem_id 0
		.amdhsa_next_free_vgpr 56
		.amdhsa_next_free_sgpr 36
		.amdhsa_named_barrier_count 0
		.amdhsa_reserve_vcc 1
		.amdhsa_float_round_mode_32 0
		.amdhsa_float_round_mode_16_64 0
		.amdhsa_float_denorm_mode_32 3
		.amdhsa_float_denorm_mode_16_64 3
		.amdhsa_fp16_overflow 0
		.amdhsa_memory_ordered 1
		.amdhsa_forward_progress 1
		.amdhsa_inst_pref_size 10
		.amdhsa_round_robin_scheduling 0
		.amdhsa_exception_fp_ieee_invalid_op 0
		.amdhsa_exception_fp_denorm_src 0
		.amdhsa_exception_fp_ieee_div_zero 0
		.amdhsa_exception_fp_ieee_overflow 0
		.amdhsa_exception_fp_ieee_underflow 0
		.amdhsa_exception_fp_ieee_inexact 0
		.amdhsa_exception_int_div_zero 0
	.end_amdhsa_kernel
	.section	.text._ZN2at6native12_GLOBAL__N_125multi_tensor_apply_kernelINS1_18TensorListMetadataILi1EEENS1_14UnaryOpFunctorIN3c107complexIfEELi1ELi1ELi0EEEJNS0_3CosIS8_EEEEEvT_T0_DpT1_,"axG",@progbits,_ZN2at6native12_GLOBAL__N_125multi_tensor_apply_kernelINS1_18TensorListMetadataILi1EEENS1_14UnaryOpFunctorIN3c107complexIfEELi1ELi1ELi0EEEJNS0_3CosIS8_EEEEEvT_T0_DpT1_,comdat
.Lfunc_end222:
	.size	_ZN2at6native12_GLOBAL__N_125multi_tensor_apply_kernelINS1_18TensorListMetadataILi1EEENS1_14UnaryOpFunctorIN3c107complexIfEELi1ELi1ELi0EEEJNS0_3CosIS8_EEEEEvT_T0_DpT1_, .Lfunc_end222-_ZN2at6native12_GLOBAL__N_125multi_tensor_apply_kernelINS1_18TensorListMetadataILi1EEENS1_14UnaryOpFunctorIN3c107complexIfEELi1ELi1ELi0EEEJNS0_3CosIS8_EEEEEvT_T0_DpT1_
                                        ; -- End function
	.set _ZN2at6native12_GLOBAL__N_125multi_tensor_apply_kernelINS1_18TensorListMetadataILi1EEENS1_14UnaryOpFunctorIN3c107complexIfEELi1ELi1ELi0EEEJNS0_3CosIS8_EEEEEvT_T0_DpT1_.num_vgpr, max(56, .L_ZN6thrust23THRUST_200600_302600_NS6detail7complex6ccoshfERKNS0_7complexIfEE.num_vgpr)
	.set _ZN2at6native12_GLOBAL__N_125multi_tensor_apply_kernelINS1_18TensorListMetadataILi1EEENS1_14UnaryOpFunctorIN3c107complexIfEELi1ELi1ELi0EEEJNS0_3CosIS8_EEEEEvT_T0_DpT1_.num_agpr, max(0, .L_ZN6thrust23THRUST_200600_302600_NS6detail7complex6ccoshfERKNS0_7complexIfEE.num_agpr)
	.set _ZN2at6native12_GLOBAL__N_125multi_tensor_apply_kernelINS1_18TensorListMetadataILi1EEENS1_14UnaryOpFunctorIN3c107complexIfEELi1ELi1ELi0EEEJNS0_3CosIS8_EEEEEvT_T0_DpT1_.numbered_sgpr, max(36, .L_ZN6thrust23THRUST_200600_302600_NS6detail7complex6ccoshfERKNS0_7complexIfEE.numbered_sgpr)
	.set _ZN2at6native12_GLOBAL__N_125multi_tensor_apply_kernelINS1_18TensorListMetadataILi1EEENS1_14UnaryOpFunctorIN3c107complexIfEELi1ELi1ELi0EEEJNS0_3CosIS8_EEEEEvT_T0_DpT1_.num_named_barrier, max(0, .L_ZN6thrust23THRUST_200600_302600_NS6detail7complex6ccoshfERKNS0_7complexIfEE.num_named_barrier)
	.set _ZN2at6native12_GLOBAL__N_125multi_tensor_apply_kernelINS1_18TensorListMetadataILi1EEENS1_14UnaryOpFunctorIN3c107complexIfEELi1ELi1ELi0EEEJNS0_3CosIS8_EEEEEvT_T0_DpT1_.private_seg_size, 0+max(.L_ZN6thrust23THRUST_200600_302600_NS6detail7complex6ccoshfERKNS0_7complexIfEE.private_seg_size)
	.set _ZN2at6native12_GLOBAL__N_125multi_tensor_apply_kernelINS1_18TensorListMetadataILi1EEENS1_14UnaryOpFunctorIN3c107complexIfEELi1ELi1ELi0EEEJNS0_3CosIS8_EEEEEvT_T0_DpT1_.uses_vcc, or(1, .L_ZN6thrust23THRUST_200600_302600_NS6detail7complex6ccoshfERKNS0_7complexIfEE.uses_vcc)
	.set _ZN2at6native12_GLOBAL__N_125multi_tensor_apply_kernelINS1_18TensorListMetadataILi1EEENS1_14UnaryOpFunctorIN3c107complexIfEELi1ELi1ELi0EEEJNS0_3CosIS8_EEEEEvT_T0_DpT1_.uses_flat_scratch, or(0, .L_ZN6thrust23THRUST_200600_302600_NS6detail7complex6ccoshfERKNS0_7complexIfEE.uses_flat_scratch)
	.set _ZN2at6native12_GLOBAL__N_125multi_tensor_apply_kernelINS1_18TensorListMetadataILi1EEENS1_14UnaryOpFunctorIN3c107complexIfEELi1ELi1ELi0EEEJNS0_3CosIS8_EEEEEvT_T0_DpT1_.has_dyn_sized_stack, or(0, .L_ZN6thrust23THRUST_200600_302600_NS6detail7complex6ccoshfERKNS0_7complexIfEE.has_dyn_sized_stack)
	.set _ZN2at6native12_GLOBAL__N_125multi_tensor_apply_kernelINS1_18TensorListMetadataILi1EEENS1_14UnaryOpFunctorIN3c107complexIfEELi1ELi1ELi0EEEJNS0_3CosIS8_EEEEEvT_T0_DpT1_.has_recursion, or(0, .L_ZN6thrust23THRUST_200600_302600_NS6detail7complex6ccoshfERKNS0_7complexIfEE.has_recursion)
	.set _ZN2at6native12_GLOBAL__N_125multi_tensor_apply_kernelINS1_18TensorListMetadataILi1EEENS1_14UnaryOpFunctorIN3c107complexIfEELi1ELi1ELi0EEEJNS0_3CosIS8_EEEEEvT_T0_DpT1_.has_indirect_call, or(0, .L_ZN6thrust23THRUST_200600_302600_NS6detail7complex6ccoshfERKNS0_7complexIfEE.has_indirect_call)
	.section	.AMDGPU.csdata,"",@progbits
; Kernel info:
; codeLenInByte = 1160
; TotalNumSgprs: 38
; NumVgprs: 56
; ScratchSize: 0
; MemoryBound: 0
; FloatMode: 240
; IeeeMode: 1
; LDSByteSize: 0 bytes/workgroup (compile time only)
; SGPRBlocks: 0
; VGPRBlocks: 3
; NumSGPRsForWavesPerEU: 38
; NumVGPRsForWavesPerEU: 56
; NamedBarCnt: 0
; Occupancy: 16
; WaveLimiterHint : 0
; COMPUTE_PGM_RSRC2:SCRATCH_EN: 0
; COMPUTE_PGM_RSRC2:USER_SGPR: 2
; COMPUTE_PGM_RSRC2:TRAP_HANDLER: 0
; COMPUTE_PGM_RSRC2:TGID_X_EN: 1
; COMPUTE_PGM_RSRC2:TGID_Y_EN: 0
; COMPUTE_PGM_RSRC2:TGID_Z_EN: 0
; COMPUTE_PGM_RSRC2:TIDIG_COMP_CNT: 0
	.section	.text._ZN2at6native12_GLOBAL__N_125multi_tensor_apply_kernelINS1_18TensorListMetadataILi1EEENS1_14UnaryOpFunctorIN3c104HalfELi1ELi1ELi0EEEJNS0_3CosIfEEEEEvT_T0_DpT1_,"axG",@progbits,_ZN2at6native12_GLOBAL__N_125multi_tensor_apply_kernelINS1_18TensorListMetadataILi1EEENS1_14UnaryOpFunctorIN3c104HalfELi1ELi1ELi0EEEJNS0_3CosIfEEEEEvT_T0_DpT1_,comdat
	.globl	_ZN2at6native12_GLOBAL__N_125multi_tensor_apply_kernelINS1_18TensorListMetadataILi1EEENS1_14UnaryOpFunctorIN3c104HalfELi1ELi1ELi0EEEJNS0_3CosIfEEEEEvT_T0_DpT1_ ; -- Begin function _ZN2at6native12_GLOBAL__N_125multi_tensor_apply_kernelINS1_18TensorListMetadataILi1EEENS1_14UnaryOpFunctorIN3c104HalfELi1ELi1ELi0EEEJNS0_3CosIfEEEEEvT_T0_DpT1_
	.p2align	8
	.type	_ZN2at6native12_GLOBAL__N_125multi_tensor_apply_kernelINS1_18TensorListMetadataILi1EEENS1_14UnaryOpFunctorIN3c104HalfELi1ELi1ELi0EEEJNS0_3CosIfEEEEEvT_T0_DpT1_,@function
_ZN2at6native12_GLOBAL__N_125multi_tensor_apply_kernelINS1_18TensorListMetadataILi1EEENS1_14UnaryOpFunctorIN3c104HalfELi1ELi1ELi0EEEJNS0_3CosIfEEEEEvT_T0_DpT1_: ; @_ZN2at6native12_GLOBAL__N_125multi_tensor_apply_kernelINS1_18TensorListMetadataILi1EEENS1_14UnaryOpFunctorIN3c104HalfELi1ELi1ELi0EEEJNS0_3CosIfEEEEEvT_T0_DpT1_
; %bb.0:
	s_bfe_u32 s2, ttmp6, 0x4000c
	s_and_b32 s3, ttmp6, 15
	s_add_co_i32 s2, s2, 1
	s_getreg_b32 s4, hwreg(HW_REG_IB_STS2, 6, 4)
	s_mul_i32 s2, ttmp9, s2
	s_delay_alu instid0(SALU_CYCLE_1)
	s_add_co_i32 s3, s3, s2
	s_cmp_eq_u32 s4, 0
	s_cselect_b32 s2, ttmp9, s3
	s_mov_b32 s3, 0
	s_load_u8 s10, s[0:1], s2 offset:0x6e0
	s_add_nc_u64 s[4:5], s[0:1], s[2:3]
	s_mul_u64 s[6:7], s[2:3], 3
	s_delay_alu instid0(SALU_CYCLE_1)
	s_add_nc_u64 s[4:5], s[4:5], s[6:7]
	s_load_b32 s6, s[4:5], 0x820
	s_wait_kmcnt 0x0
	s_clause 0x1
	s_load_b64 s[8:9], s[0:1], s10 offset:0x0 scale_offset
	s_load_b64 s[12:13], s[0:1], s10 offset:0x370 scale_offset
	s_ashr_i32 s7, s6, 31
	s_wait_kmcnt 0x0
	s_and_b64 s[4:5], s[8:9], 7
	s_and_b32 s2, s12, 3
	s_lshl_b64 s[10:11], s[6:7], 17
	s_or_b64 s[2:3], s[4:5], s[2:3]
	s_lshl_b64 s[4:5], s[6:7], 16
	s_cmp_eq_u64 s[2:3], 0
	s_sub_nc_u64 s[12:13], s[12:13], s[4:5]
	s_cbranch_scc1 .LBB223_37
; %bb.1:
	v_cmp_lt_i64_e64 s2, s[12:13], 1
	s_and_b32 vcc_lo, exec_lo, s2
	s_cbranch_vccnz .LBB223_36
; %bb.2:
	s_load_b32 s2, s[0:1], 0xd3c
	v_min_i64 v[2:3], 0x10000, s[12:13]
	v_min_u64 v[4:5], 0x10000, s[12:13]
	v_dual_mov_b32 v7, 0 :: v_dual_lshlrev_b32 v6, 1, v0
	s_mov_b32 s3, 0
	s_add_nc_u64 s[4:5], s[8:9], s[10:11]
	s_mov_b32 s7, s3
	s_delay_alu instid0(VALU_DEP_1)
	v_mov_b32_e32 v1, v7
	v_add_nc_u64_e32 v[10:11], s[4:5], v[6:7]
	s_mov_b32 s19, s3
	s_mov_b32 s15, s3
	;; [unrolled: 1-line block ×3, first 2 shown]
	s_mov_b64 s[22:23], 0
	s_mov_b32 s24, 0x7fffff
	s_mov_b32 s25, 0xb94c1982
	;; [unrolled: 1-line block ×3, first 2 shown]
	s_wait_kmcnt 0x0
	s_and_b32 s2, s2, 0xffff
	s_delay_alu instid0(SALU_CYCLE_1)
	v_add_nc_u64_e32 v[8:9], s[2:3], v[0:1]
	s_lshl_b32 s6, s2, 1
	s_mul_i32 s18, s2, 3
	s_lshl_b32 s14, s2, 2
	s_lshl_b32 s16, s2, 3
	s_mul_u64 s[20:21], s[2:3], 6
	s_delay_alu instid0(VALU_DEP_1) | instskip(SKIP_3) | instid1(VALU_DEP_3)
	v_lshlrev_b32_e32 v6, 1, v8
	v_add_nc_u64_e32 v[12:13], s[18:19], v[0:1]
	v_add_nc_u64_e32 v[14:15], s[6:7], v[0:1]
	s_mov_b64 s[18:19], 0xfe5163ab
	v_add_nc_u64_e32 v[16:17], s[4:5], v[6:7]
	s_branch .LBB223_4
.LBB223_3:                              ;   in Loop: Header=BB223_4 Depth=1
	s_wait_xcnt 0x0
	s_or_b32 exec_lo, exec_lo, s2
	s_add_nc_u64 s[22:23], s[22:23], s[14:15]
	v_add_nc_u64_e32 v[10:11], s[16:17], v[10:11]
	v_cmp_ge_i64_e32 vcc_lo, s[22:23], v[2:3]
	v_add_nc_u64_e32 v[16:17], s[16:17], v[16:17]
	s_cbranch_vccnz .LBB223_36
.LBB223_4:                              ; =>This Inner Loop Header: Depth=1
	v_add_nc_u64_e32 v[18:19], s[22:23], v[0:1]
	v_mov_b32_e32 v25, 0
	s_delay_alu instid0(VALU_DEP_2)
	v_cmp_lt_u64_e64 s4, v[18:19], v[4:5]
	s_and_saveexec_b32 s2, s4
	s_cbranch_execz .LBB223_6
; %bb.5:                                ;   in Loop: Header=BB223_4 Depth=1
	global_load_u16 v6, v[10:11], off
	s_wait_loadcnt 0x0
	v_and_b32_e32 v25, 0x7fff, v6
.LBB223_6:                              ;   in Loop: Header=BB223_4 Depth=1
	s_wait_xcnt 0x0
	s_or_b32 exec_lo, exec_lo, s2
	v_add_nc_u64_e32 v[18:19], s[22:23], v[8:9]
	v_dual_mov_b32 v22, 0 :: v_dual_mov_b32 v24, 0
	s_delay_alu instid0(VALU_DEP_2)
	v_cmp_lt_u64_e64 s3, v[18:19], v[4:5]
	s_and_saveexec_b32 s2, s3
	s_cbranch_execz .LBB223_8
; %bb.7:                                ;   in Loop: Header=BB223_4 Depth=1
	global_load_u16 v6, v[16:17], off
	s_wait_loadcnt 0x0
	v_and_b32_e32 v24, 0x7fff, v6
.LBB223_8:                              ;   in Loop: Header=BB223_4 Depth=1
	s_wait_xcnt 0x0
	s_or_b32 exec_lo, exec_lo, s2
	v_add_nc_u64_e32 v[18:19], s[22:23], v[14:15]
	v_add_nc_u64_e32 v[20:21], s[14:15], v[10:11]
	s_delay_alu instid0(VALU_DEP_2)
	v_cmp_lt_u64_e64 s2, v[18:19], v[4:5]
	s_and_saveexec_b32 s5, s2
	s_cbranch_execz .LBB223_10
; %bb.9:                                ;   in Loop: Header=BB223_4 Depth=1
	global_load_u16 v6, v[20:21], off
	s_wait_loadcnt 0x0
	v_and_b32_e32 v22, 0x7fff, v6
.LBB223_10:                             ;   in Loop: Header=BB223_4 Depth=1
	s_wait_xcnt 0x0
	s_or_b32 exec_lo, exec_lo, s5
	v_add_nc_u64_e32 v[18:19], s[22:23], v[12:13]
	v_mov_b32_e32 v23, 0
	s_delay_alu instid0(VALU_DEP_2)
	v_cmp_lt_u64_e32 vcc_lo, v[18:19], v[4:5]
	v_add_nc_u64_e32 v[18:19], s[20:21], v[10:11]
	s_and_saveexec_b32 s5, vcc_lo
	s_cbranch_execz .LBB223_12
; %bb.11:                               ;   in Loop: Header=BB223_4 Depth=1
	global_load_u16 v6, v[18:19], off
	s_wait_loadcnt 0x0
	v_and_b32_e32 v23, 0x7fff, v6
.LBB223_12:                             ;   in Loop: Header=BB223_4 Depth=1
	s_wait_xcnt 0x0
	s_or_b32 exec_lo, exec_lo, s5
	v_cvt_f32_f16_e32 v26, v25
                                        ; implicit-def: $vgpr27
	s_mov_b32 s6, exec_lo
	s_delay_alu instid0(VALU_DEP_1)
	v_cmpx_ngt_f32_e32 0x48000000, v26
	s_xor_b32 s27, exec_lo, s6
	s_cbranch_execz .LBB223_14
; %bb.13:                               ;   in Loop: Header=BB223_4 Depth=1
	v_and_or_b32 v6, v26, s24, 0x800000
	v_mov_b32_e32 v27, v7
	s_delay_alu instid0(VALU_DEP_2) | instskip(NEXT) | instid1(VALU_DEP_1)
	v_mul_u64_e32 v[28:29], s[18:19], v[6:7]
	v_dual_mov_b32 v31, v7 :: v_dual_mov_b32 v30, v29
	v_lshrrev_b32_e32 v29, 23, v26
	s_delay_alu instid0(VALU_DEP_2) | instskip(SKIP_1) | instid1(VALU_DEP_3)
	v_mad_nc_u64_u32 v[30:31], 0x3c439041, v6, v[30:31]
	v_mov_b32_e32 v33, v7
	v_add_nc_u32_e32 v29, 0xffffff88, v29
	s_delay_alu instid0(VALU_DEP_1) | instskip(NEXT) | instid1(VALU_DEP_4)
	v_cmp_lt_u32_e64 s5, 63, v29
	v_mov_b32_e32 v32, v31
	s_delay_alu instid0(VALU_DEP_2) | instskip(NEXT) | instid1(VALU_DEP_2)
	v_cndmask_b32_e64 v31, 0, 0xffffffc0, s5
	v_mad_nc_u64_u32 v[32:33], 0xdb629599, v6, v[32:33]
	s_delay_alu instid0(VALU_DEP_1) | instskip(NEXT) | instid1(VALU_DEP_2)
	v_dual_mov_b32 v35, v7 :: v_dual_mov_b32 v34, v33
	v_cndmask_b32_e64 v28, v32, v28, s5
	s_delay_alu instid0(VALU_DEP_2) | instskip(NEXT) | instid1(VALU_DEP_1)
	v_mad_nc_u64_u32 v[34:35], 0xf534ddc0, v6, v[34:35]
	v_dual_mov_b32 v37, v7 :: v_dual_mov_b32 v36, v35
	s_delay_alu instid0(VALU_DEP_1) | instskip(NEXT) | instid1(VALU_DEP_1)
	v_mad_nc_u64_u32 v[36:37], 0xfc2757d1, v6, v[36:37]
	v_dual_mov_b32 v26, v37 :: v_dual_cndmask_b32 v33, v36, v32, s5
	s_delay_alu instid0(VALU_DEP_1) | instskip(NEXT) | instid1(VALU_DEP_1)
	v_mad_nc_u64_u32 v[26:27], 0x4e441529, v6, v[26:27]
	v_dual_mov_b32 v39, v7 :: v_dual_mov_b32 v38, v27
	s_delay_alu instid0(VALU_DEP_1) | instskip(NEXT) | instid1(VALU_DEP_1)
	v_mad_nc_u64_u32 v[38:39], 0xa2f9836e, v6, v[38:39]
	v_dual_add_nc_u32 v29, v31, v29 :: v_dual_cndmask_b32 v31, v38, v36, s5
	s_delay_alu instid0(VALU_DEP_1) | instskip(NEXT) | instid1(VALU_DEP_1)
	v_cmp_lt_u32_e64 s6, 31, v29
	v_cndmask_b32_e64 v27, 0, 0xffffffe0, s6
	s_delay_alu instid0(VALU_DEP_1) | instskip(SKIP_1) | instid1(VALU_DEP_2)
	v_dual_add_nc_u32 v6, v27, v29 :: v_dual_cndmask_b32 v29, v26, v34, s5
	v_cndmask_b32_e64 v26, v39, v26, s5
	v_cmp_lt_u32_e64 s7, 31, v6
	s_delay_alu instid0(VALU_DEP_2) | instskip(NEXT) | instid1(VALU_DEP_2)
	v_cndmask_b32_e64 v26, v26, v31, s6
	v_cndmask_b32_e64 v27, 0, 0xffffffe0, s7
	s_delay_alu instid0(VALU_DEP_1) | instskip(SKIP_1) | instid1(VALU_DEP_2)
	v_add_nc_u32_e32 v6, v27, v6
	v_dual_cndmask_b32 v27, v34, v30, s5 :: v_dual_cndmask_b32 v30, v31, v29, s6
	v_dual_cndmask_b32 v29, v29, v33, s6 :: v_dual_sub_nc_u32 v31, 32, v6
	s_delay_alu instid0(VALU_DEP_2) | instskip(NEXT) | instid1(VALU_DEP_2)
	v_dual_cndmask_b32 v33, v33, v27, s6 :: v_dual_cndmask_b32 v26, v26, v30, s7
	v_cndmask_b32_e64 v30, v30, v29, s7
	v_cmp_eq_u32_e64 s5, 0, v6
	s_delay_alu instid0(VALU_DEP_2) | instskip(NEXT) | instid1(VALU_DEP_1)
	v_alignbit_b32 v34, v26, v30, v31
	v_dual_cndmask_b32 v29, v29, v33, s7 :: v_dual_cndmask_b32 v6, v34, v26, s5
	s_delay_alu instid0(VALU_DEP_1) | instskip(SKIP_1) | instid1(VALU_DEP_3)
	v_alignbit_b32 v32, v30, v29, v31
	v_cndmask_b32_e64 v26, v27, v28, s6
	v_bfe_u32 v28, v6, 29, 1
	s_delay_alu instid0(VALU_DEP_3) | instskip(NEXT) | instid1(VALU_DEP_2)
	v_cndmask_b32_e64 v27, v32, v30, s5
	v_dual_cndmask_b32 v26, v33, v26, s7 :: v_dual_sub_nc_u32 v32, 0, v28
	s_delay_alu instid0(VALU_DEP_2) | instskip(NEXT) | instid1(VALU_DEP_2)
	v_alignbit_b32 v30, v6, v27, 30
	v_alignbit_b32 v31, v29, v26, v31
	s_delay_alu instid0(VALU_DEP_1) | instskip(NEXT) | instid1(VALU_DEP_1)
	v_dual_cndmask_b32 v29, v31, v29, s5 :: v_dual_bitop2_b32 v30, v30, v32 bitop3:0x14
	v_clz_i32_u32_e32 v31, v30
	s_delay_alu instid0(VALU_DEP_2) | instskip(SKIP_1) | instid1(VALU_DEP_3)
	v_alignbit_b32 v27, v27, v29, 30
	v_alignbit_b32 v26, v29, v26, 30
	v_min_u32_e32 v31, 32, v31
	s_delay_alu instid0(VALU_DEP_3) | instskip(NEXT) | instid1(VALU_DEP_3)
	v_xor_b32_e32 v27, v27, v32
	v_dual_lshrrev_b32 v32, 29, v6 :: v_dual_bitop2_b32 v26, v26, v32 bitop3:0x14
	s_delay_alu instid0(VALU_DEP_3) | instskip(NEXT) | instid1(VALU_DEP_1)
	v_dual_sub_nc_u32 v29, 31, v31 :: v_dual_lshlrev_b32 v33, 23, v31
	v_alignbit_b32 v30, v30, v27, v29
	s_delay_alu instid0(VALU_DEP_3) | instskip(NEXT) | instid1(VALU_DEP_4)
	v_alignbit_b32 v26, v27, v26, v29
	v_lshlrev_b32_e32 v27, 31, v32
	s_delay_alu instid0(VALU_DEP_2) | instskip(NEXT) | instid1(VALU_DEP_2)
	v_alignbit_b32 v29, v30, v26, 9
	v_dual_lshrrev_b32 v30, 9, v30 :: v_dual_bitop2_b32 v32, 0.5, v27 bitop3:0x54
	v_or_b32_e32 v27, 0x33000000, v27
	s_delay_alu instid0(VALU_DEP_3) | instskip(NEXT) | instid1(VALU_DEP_3)
	v_clz_i32_u32_e32 v34, v29
	v_sub_nc_u32_e32 v32, v32, v33
	s_delay_alu instid0(VALU_DEP_2) | instskip(NEXT) | instid1(VALU_DEP_1)
	v_min_u32_e32 v33, 32, v34
	v_add_lshl_u32 v31, v33, v31, 23
	s_delay_alu instid0(VALU_DEP_1) | instskip(SKIP_1) | instid1(VALU_DEP_1)
	v_dual_sub_nc_u32 v27, v27, v31 :: v_dual_bitop2_b32 v30, v30, v32 bitop3:0x54
	v_not_b32_e32 v32, v33
	v_alignbit_b32 v26, v29, v26, v32
	s_delay_alu instid0(VALU_DEP_1) | instskip(NEXT) | instid1(VALU_DEP_4)
	v_lshrrev_b32_e32 v26, 9, v26
	v_mul_f32_e32 v34, 0x3fc90fda, v30
	s_delay_alu instid0(VALU_DEP_2) | instskip(NEXT) | instid1(VALU_DEP_2)
	v_or_b32_e32 v26, v27, v26
	v_fma_f32 v29, 0x3fc90fda, v30, -v34
	s_delay_alu instid0(VALU_DEP_1) | instskip(NEXT) | instid1(VALU_DEP_1)
	v_fmac_f32_e32 v29, 0x33a22168, v30
	v_fmac_f32_e32 v29, 0x3fc90fda, v26
	s_delay_alu instid0(VALU_DEP_1) | instskip(NEXT) | instid1(VALU_DEP_1)
	v_dual_lshrrev_b32 v6, 30, v6 :: v_dual_add_f32 v26, v34, v29
	v_add_nc_u32_e32 v27, v28, v6
.LBB223_14:                             ;   in Loop: Header=BB223_4 Depth=1
	s_and_not1_saveexec_b32 s5, s27
; %bb.15:                               ;   in Loop: Header=BB223_4 Depth=1
	s_delay_alu instid0(VALU_DEP_2) | instskip(NEXT) | instid1(VALU_DEP_1)
	v_mul_f32_e32 v6, 0x3f22f983, v26
	v_rndne_f32_e32 v6, v6
	s_delay_alu instid0(VALU_DEP_1) | instskip(SKIP_1) | instid1(VALU_DEP_2)
	v_fmac_f32_e32 v26, 0xbfc90fda, v6
	v_cvt_i32_f32_e32 v27, v6
	v_fmac_f32_e32 v26, 0xb3a22168, v6
	s_delay_alu instid0(VALU_DEP_1)
	v_fmac_f32_e32 v26, 0xa7c234c4, v6
; %bb.16:                               ;   in Loop: Header=BB223_4 Depth=1
	s_or_b32 exec_lo, exec_lo, s5
	v_cvt_f32_f16_e32 v28, v24
                                        ; implicit-def: $vgpr29
	s_mov_b32 s6, exec_lo
	s_delay_alu instid0(VALU_DEP_1)
	v_cmpx_ngt_f32_e32 0x48000000, v28
	s_xor_b32 s27, exec_lo, s6
	s_cbranch_execz .LBB223_18
; %bb.17:                               ;   in Loop: Header=BB223_4 Depth=1
	v_and_or_b32 v6, v28, s24, 0x800000
	v_dual_mov_b32 v29, v7 :: v_dual_mov_b32 v41, v7
	s_delay_alu instid0(VALU_DEP_2) | instskip(NEXT) | instid1(VALU_DEP_1)
	v_mul_u64_e32 v[30:31], s[18:19], v[6:7]
	v_dual_mov_b32 v33, v7 :: v_dual_mov_b32 v32, v31
	v_lshrrev_b32_e32 v31, 23, v28
	s_delay_alu instid0(VALU_DEP_2) | instskip(SKIP_1) | instid1(VALU_DEP_3)
	v_mad_nc_u64_u32 v[32:33], 0x3c439041, v6, v[32:33]
	v_mov_b32_e32 v35, v7
	v_add_nc_u32_e32 v31, 0xffffff88, v31
	s_delay_alu instid0(VALU_DEP_1) | instskip(NEXT) | instid1(VALU_DEP_4)
	v_cmp_lt_u32_e64 s5, 63, v31
	v_mov_b32_e32 v34, v33
	s_delay_alu instid0(VALU_DEP_2) | instskip(NEXT) | instid1(VALU_DEP_2)
	v_cndmask_b32_e64 v33, 0, 0xffffffc0, s5
	v_mad_nc_u64_u32 v[34:35], 0xdb629599, v6, v[34:35]
	s_delay_alu instid0(VALU_DEP_2) | instskip(NEXT) | instid1(VALU_DEP_1)
	v_dual_mov_b32 v37, v7 :: v_dual_add_nc_u32 v31, v33, v31
	v_cmp_lt_u32_e64 s6, 31, v31
	s_delay_alu instid0(VALU_DEP_3) | instskip(NEXT) | instid1(VALU_DEP_1)
	v_dual_mov_b32 v36, v35 :: v_dual_cndmask_b32 v30, v34, v30, s5
	v_mad_nc_u64_u32 v[36:37], 0xf534ddc0, v6, v[36:37]
	s_delay_alu instid0(VALU_DEP_1) | instskip(NEXT) | instid1(VALU_DEP_1)
	v_dual_mov_b32 v39, v7 :: v_dual_mov_b32 v38, v37
	v_mad_nc_u64_u32 v[38:39], 0xfc2757d1, v6, v[38:39]
	s_delay_alu instid0(VALU_DEP_1) | instskip(NEXT) | instid1(VALU_DEP_1)
	v_dual_mov_b32 v28, v39 :: v_dual_cndmask_b32 v35, v38, v34, s5
	v_mad_nc_u64_u32 v[28:29], 0x4e441529, v6, v[28:29]
	s_delay_alu instid0(VALU_DEP_1) | instskip(SKIP_1) | instid1(VALU_DEP_2)
	v_mov_b32_e32 v40, v29
	v_cndmask_b32_e64 v29, 0, 0xffffffe0, s6
	v_mad_nc_u64_u32 v[40:41], 0xa2f9836e, v6, v[40:41]
	s_delay_alu instid0(VALU_DEP_2) | instskip(NEXT) | instid1(VALU_DEP_1)
	v_dual_add_nc_u32 v6, v29, v31 :: v_dual_cndmask_b32 v31, v28, v36, s5
	v_cmp_lt_u32_e64 s7, 31, v6
	s_delay_alu instid0(VALU_DEP_1) | instskip(NEXT) | instid1(VALU_DEP_4)
	v_cndmask_b32_e64 v29, 0, 0xffffffe0, s7
	v_dual_cndmask_b32 v33, v40, v38, s5 :: v_dual_cndmask_b32 v28, v41, v28, s5
	s_delay_alu instid0(VALU_DEP_2) | instskip(NEXT) | instid1(VALU_DEP_2)
	v_dual_add_nc_u32 v6, v29, v6 :: v_dual_cndmask_b32 v29, v36, v32, s5
	v_dual_cndmask_b32 v32, v33, v31, s6 :: v_dual_cndmask_b32 v28, v28, v33, s6
	s_delay_alu instid0(VALU_DEP_2) | instskip(NEXT) | instid1(VALU_DEP_3)
	v_dual_cndmask_b32 v31, v31, v35, s6 :: v_dual_sub_nc_u32 v33, 32, v6
	v_cndmask_b32_e64 v35, v35, v29, s6
	v_cmp_eq_u32_e64 s5, 0, v6
	s_delay_alu instid0(VALU_DEP_4) | instskip(NEXT) | instid1(VALU_DEP_4)
	v_cndmask_b32_e64 v28, v28, v32, s7
	v_cndmask_b32_e64 v32, v32, v31, s7
	s_delay_alu instid0(VALU_DEP_1) | instskip(NEXT) | instid1(VALU_DEP_1)
	v_alignbit_b32 v36, v28, v32, v33
	v_dual_cndmask_b32 v31, v31, v35, s7 :: v_dual_cndmask_b32 v6, v36, v28, s5
	s_delay_alu instid0(VALU_DEP_1) | instskip(SKIP_1) | instid1(VALU_DEP_3)
	v_alignbit_b32 v34, v32, v31, v33
	v_cndmask_b32_e64 v28, v29, v30, s6
	v_bfe_u32 v30, v6, 29, 1
	s_delay_alu instid0(VALU_DEP_3) | instskip(NEXT) | instid1(VALU_DEP_2)
	v_cndmask_b32_e64 v29, v34, v32, s5
	v_dual_cndmask_b32 v28, v35, v28, s7 :: v_dual_sub_nc_u32 v34, 0, v30
	s_delay_alu instid0(VALU_DEP_2) | instskip(NEXT) | instid1(VALU_DEP_2)
	v_alignbit_b32 v32, v6, v29, 30
	v_alignbit_b32 v33, v31, v28, v33
	s_delay_alu instid0(VALU_DEP_1) | instskip(NEXT) | instid1(VALU_DEP_1)
	v_dual_cndmask_b32 v31, v33, v31, s5 :: v_dual_bitop2_b32 v32, v32, v34 bitop3:0x14
	v_clz_i32_u32_e32 v33, v32
	s_delay_alu instid0(VALU_DEP_2) | instskip(SKIP_1) | instid1(VALU_DEP_3)
	v_alignbit_b32 v29, v29, v31, 30
	v_alignbit_b32 v28, v31, v28, 30
	v_min_u32_e32 v33, 32, v33
	s_delay_alu instid0(VALU_DEP_3) | instskip(NEXT) | instid1(VALU_DEP_3)
	v_xor_b32_e32 v29, v29, v34
	v_xor_b32_e32 v28, v28, v34
	v_dual_lshrrev_b32 v34, 29, v6 :: v_dual_lshrrev_b32 v6, 30, v6
	s_delay_alu instid0(VALU_DEP_4) | instskip(NEXT) | instid1(VALU_DEP_1)
	v_dual_sub_nc_u32 v31, 31, v33 :: v_dual_lshlrev_b32 v35, 23, v33
	v_alignbit_b32 v32, v32, v29, v31
	s_delay_alu instid0(VALU_DEP_4) | instskip(NEXT) | instid1(VALU_DEP_4)
	v_alignbit_b32 v28, v29, v28, v31
	v_lshlrev_b32_e32 v29, 31, v34
	s_delay_alu instid0(VALU_DEP_2) | instskip(NEXT) | instid1(VALU_DEP_2)
	v_alignbit_b32 v31, v32, v28, 9
	v_dual_lshrrev_b32 v32, 9, v32 :: v_dual_bitop2_b32 v34, 0.5, v29 bitop3:0x54
	v_or_b32_e32 v29, 0x33000000, v29
	s_delay_alu instid0(VALU_DEP_3) | instskip(NEXT) | instid1(VALU_DEP_3)
	v_clz_i32_u32_e32 v36, v31
	v_sub_nc_u32_e32 v34, v34, v35
	s_delay_alu instid0(VALU_DEP_2) | instskip(NEXT) | instid1(VALU_DEP_1)
	v_min_u32_e32 v35, 32, v36
	v_add_lshl_u32 v33, v35, v33, 23
	s_delay_alu instid0(VALU_DEP_1) | instskip(SKIP_1) | instid1(VALU_DEP_1)
	v_dual_sub_nc_u32 v29, v29, v33 :: v_dual_bitop2_b32 v32, v32, v34 bitop3:0x54
	v_not_b32_e32 v34, v35
	v_alignbit_b32 v28, v31, v28, v34
	s_delay_alu instid0(VALU_DEP_1) | instskip(NEXT) | instid1(VALU_DEP_4)
	v_lshrrev_b32_e32 v28, 9, v28
	v_mul_f32_e32 v36, 0x3fc90fda, v32
	s_delay_alu instid0(VALU_DEP_2) | instskip(NEXT) | instid1(VALU_DEP_2)
	v_dual_add_nc_u32 v29, v30, v6 :: v_dual_bitop2_b32 v28, v29, v28 bitop3:0x54
	v_fma_f32 v31, 0x3fc90fda, v32, -v36
	s_delay_alu instid0(VALU_DEP_1) | instskip(NEXT) | instid1(VALU_DEP_1)
	v_fmac_f32_e32 v31, 0x33a22168, v32
	v_fmac_f32_e32 v31, 0x3fc90fda, v28
	s_delay_alu instid0(VALU_DEP_1)
	v_add_f32_e32 v28, v36, v31
.LBB223_18:                             ;   in Loop: Header=BB223_4 Depth=1
	s_and_not1_saveexec_b32 s5, s27
; %bb.19:                               ;   in Loop: Header=BB223_4 Depth=1
	s_delay_alu instid0(VALU_DEP_1) | instskip(NEXT) | instid1(VALU_DEP_1)
	v_mul_f32_e32 v6, 0x3f22f983, v28
	v_rndne_f32_e32 v6, v6
	s_delay_alu instid0(VALU_DEP_1) | instskip(SKIP_1) | instid1(VALU_DEP_2)
	v_fmac_f32_e32 v28, 0xbfc90fda, v6
	v_cvt_i32_f32_e32 v29, v6
	v_fmac_f32_e32 v28, 0xb3a22168, v6
	s_delay_alu instid0(VALU_DEP_1)
	v_fmac_f32_e32 v28, 0xa7c234c4, v6
; %bb.20:                               ;   in Loop: Header=BB223_4 Depth=1
	s_or_b32 exec_lo, exec_lo, s5
	v_cvt_f32_f16_e32 v30, v22
                                        ; implicit-def: $vgpr31
	s_mov_b32 s6, exec_lo
	s_delay_alu instid0(VALU_DEP_1)
	v_cmpx_ngt_f32_e32 0x48000000, v30
	s_xor_b32 s27, exec_lo, s6
	s_cbranch_execz .LBB223_22
; %bb.21:                               ;   in Loop: Header=BB223_4 Depth=1
	v_and_or_b32 v6, v30, s24, 0x800000
	v_mov_b32_e32 v31, v7
	s_delay_alu instid0(VALU_DEP_2) | instskip(NEXT) | instid1(VALU_DEP_1)
	v_mul_u64_e32 v[32:33], s[18:19], v[6:7]
	v_dual_mov_b32 v35, v7 :: v_dual_mov_b32 v34, v33
	v_lshrrev_b32_e32 v33, 23, v30
	s_delay_alu instid0(VALU_DEP_2) | instskip(SKIP_1) | instid1(VALU_DEP_3)
	v_mad_nc_u64_u32 v[34:35], 0x3c439041, v6, v[34:35]
	v_mov_b32_e32 v37, v7
	v_add_nc_u32_e32 v33, 0xffffff88, v33
	s_delay_alu instid0(VALU_DEP_1) | instskip(NEXT) | instid1(VALU_DEP_4)
	v_cmp_lt_u32_e64 s5, 63, v33
	v_mov_b32_e32 v36, v35
	s_delay_alu instid0(VALU_DEP_2) | instskip(NEXT) | instid1(VALU_DEP_2)
	v_cndmask_b32_e64 v35, 0, 0xffffffc0, s5
	v_mad_nc_u64_u32 v[36:37], 0xdb629599, v6, v[36:37]
	s_delay_alu instid0(VALU_DEP_1) | instskip(NEXT) | instid1(VALU_DEP_2)
	v_dual_mov_b32 v39, v7 :: v_dual_mov_b32 v38, v37
	v_cndmask_b32_e64 v32, v36, v32, s5
	s_delay_alu instid0(VALU_DEP_2) | instskip(NEXT) | instid1(VALU_DEP_1)
	v_mad_nc_u64_u32 v[38:39], 0xf534ddc0, v6, v[38:39]
	v_dual_mov_b32 v41, v7 :: v_dual_mov_b32 v40, v39
	s_delay_alu instid0(VALU_DEP_1) | instskip(NEXT) | instid1(VALU_DEP_1)
	v_mad_nc_u64_u32 v[40:41], 0xfc2757d1, v6, v[40:41]
	v_dual_mov_b32 v30, v41 :: v_dual_cndmask_b32 v37, v40, v36, s5
	s_delay_alu instid0(VALU_DEP_1) | instskip(NEXT) | instid1(VALU_DEP_1)
	v_mad_nc_u64_u32 v[30:31], 0x4e441529, v6, v[30:31]
	v_dual_mov_b32 v43, v7 :: v_dual_mov_b32 v42, v31
	s_delay_alu instid0(VALU_DEP_1) | instskip(NEXT) | instid1(VALU_DEP_1)
	v_mad_nc_u64_u32 v[42:43], 0xa2f9836e, v6, v[42:43]
	v_dual_add_nc_u32 v33, v35, v33 :: v_dual_cndmask_b32 v35, v42, v40, s5
	s_delay_alu instid0(VALU_DEP_1) | instskip(NEXT) | instid1(VALU_DEP_1)
	v_cmp_lt_u32_e64 s6, 31, v33
	v_cndmask_b32_e64 v31, 0, 0xffffffe0, s6
	s_delay_alu instid0(VALU_DEP_1) | instskip(SKIP_1) | instid1(VALU_DEP_2)
	v_dual_add_nc_u32 v6, v31, v33 :: v_dual_cndmask_b32 v33, v30, v38, s5
	v_cndmask_b32_e64 v30, v43, v30, s5
	v_cmp_lt_u32_e64 s7, 31, v6
	s_delay_alu instid0(VALU_DEP_2) | instskip(NEXT) | instid1(VALU_DEP_2)
	v_cndmask_b32_e64 v30, v30, v35, s6
	v_cndmask_b32_e64 v31, 0, 0xffffffe0, s7
	s_delay_alu instid0(VALU_DEP_1) | instskip(SKIP_1) | instid1(VALU_DEP_2)
	v_add_nc_u32_e32 v6, v31, v6
	v_dual_cndmask_b32 v31, v38, v34, s5 :: v_dual_cndmask_b32 v34, v35, v33, s6
	v_dual_cndmask_b32 v33, v33, v37, s6 :: v_dual_sub_nc_u32 v35, 32, v6
	s_delay_alu instid0(VALU_DEP_2) | instskip(NEXT) | instid1(VALU_DEP_2)
	v_dual_cndmask_b32 v37, v37, v31, s6 :: v_dual_cndmask_b32 v30, v30, v34, s7
	v_cndmask_b32_e64 v34, v34, v33, s7
	v_cmp_eq_u32_e64 s5, 0, v6
	s_delay_alu instid0(VALU_DEP_2) | instskip(NEXT) | instid1(VALU_DEP_1)
	v_alignbit_b32 v38, v30, v34, v35
	v_dual_cndmask_b32 v33, v33, v37, s7 :: v_dual_cndmask_b32 v6, v38, v30, s5
	s_delay_alu instid0(VALU_DEP_1) | instskip(SKIP_1) | instid1(VALU_DEP_3)
	v_alignbit_b32 v36, v34, v33, v35
	v_cndmask_b32_e64 v30, v31, v32, s6
	v_bfe_u32 v32, v6, 29, 1
	s_delay_alu instid0(VALU_DEP_3) | instskip(NEXT) | instid1(VALU_DEP_2)
	v_cndmask_b32_e64 v31, v36, v34, s5
	v_dual_cndmask_b32 v30, v37, v30, s7 :: v_dual_sub_nc_u32 v36, 0, v32
	s_delay_alu instid0(VALU_DEP_2) | instskip(NEXT) | instid1(VALU_DEP_2)
	v_alignbit_b32 v34, v6, v31, 30
	v_alignbit_b32 v35, v33, v30, v35
	s_delay_alu instid0(VALU_DEP_1) | instskip(NEXT) | instid1(VALU_DEP_1)
	v_dual_cndmask_b32 v33, v35, v33, s5 :: v_dual_bitop2_b32 v34, v34, v36 bitop3:0x14
	v_clz_i32_u32_e32 v35, v34
	s_delay_alu instid0(VALU_DEP_2) | instskip(SKIP_1) | instid1(VALU_DEP_3)
	v_alignbit_b32 v31, v31, v33, 30
	v_alignbit_b32 v30, v33, v30, 30
	v_min_u32_e32 v35, 32, v35
	s_delay_alu instid0(VALU_DEP_3) | instskip(NEXT) | instid1(VALU_DEP_3)
	v_xor_b32_e32 v31, v31, v36
	v_dual_lshrrev_b32 v36, 29, v6 :: v_dual_bitop2_b32 v30, v30, v36 bitop3:0x14
	s_delay_alu instid0(VALU_DEP_3) | instskip(NEXT) | instid1(VALU_DEP_1)
	v_dual_sub_nc_u32 v33, 31, v35 :: v_dual_lshlrev_b32 v37, 23, v35
	v_alignbit_b32 v34, v34, v31, v33
	s_delay_alu instid0(VALU_DEP_3) | instskip(NEXT) | instid1(VALU_DEP_4)
	v_alignbit_b32 v30, v31, v30, v33
	v_lshlrev_b32_e32 v31, 31, v36
	s_delay_alu instid0(VALU_DEP_2) | instskip(NEXT) | instid1(VALU_DEP_2)
	v_alignbit_b32 v33, v34, v30, 9
	v_dual_lshrrev_b32 v34, 9, v34 :: v_dual_bitop2_b32 v36, 0.5, v31 bitop3:0x54
	v_or_b32_e32 v31, 0x33000000, v31
	s_delay_alu instid0(VALU_DEP_3) | instskip(NEXT) | instid1(VALU_DEP_3)
	v_clz_i32_u32_e32 v38, v33
	v_sub_nc_u32_e32 v36, v36, v37
	s_delay_alu instid0(VALU_DEP_2) | instskip(NEXT) | instid1(VALU_DEP_1)
	v_min_u32_e32 v37, 32, v38
	v_add_lshl_u32 v35, v37, v35, 23
	s_delay_alu instid0(VALU_DEP_1) | instskip(SKIP_1) | instid1(VALU_DEP_1)
	v_dual_sub_nc_u32 v31, v31, v35 :: v_dual_bitop2_b32 v34, v34, v36 bitop3:0x54
	v_not_b32_e32 v36, v37
	v_alignbit_b32 v30, v33, v30, v36
	s_delay_alu instid0(VALU_DEP_1) | instskip(NEXT) | instid1(VALU_DEP_4)
	v_lshrrev_b32_e32 v30, 9, v30
	v_mul_f32_e32 v38, 0x3fc90fda, v34
	s_delay_alu instid0(VALU_DEP_2) | instskip(NEXT) | instid1(VALU_DEP_2)
	v_or_b32_e32 v30, v31, v30
	v_fma_f32 v33, 0x3fc90fda, v34, -v38
	s_delay_alu instid0(VALU_DEP_1) | instskip(NEXT) | instid1(VALU_DEP_1)
	v_fmac_f32_e32 v33, 0x33a22168, v34
	v_fmac_f32_e32 v33, 0x3fc90fda, v30
	s_delay_alu instid0(VALU_DEP_1) | instskip(NEXT) | instid1(VALU_DEP_1)
	v_dual_lshrrev_b32 v6, 30, v6 :: v_dual_add_f32 v30, v38, v33
	v_add_nc_u32_e32 v31, v32, v6
.LBB223_22:                             ;   in Loop: Header=BB223_4 Depth=1
	s_and_not1_saveexec_b32 s5, s27
; %bb.23:                               ;   in Loop: Header=BB223_4 Depth=1
	s_delay_alu instid0(VALU_DEP_2) | instskip(NEXT) | instid1(VALU_DEP_1)
	v_mul_f32_e32 v6, 0x3f22f983, v30
	v_rndne_f32_e32 v6, v6
	s_delay_alu instid0(VALU_DEP_1) | instskip(SKIP_1) | instid1(VALU_DEP_2)
	v_fmac_f32_e32 v30, 0xbfc90fda, v6
	v_cvt_i32_f32_e32 v31, v6
	v_fmac_f32_e32 v30, 0xb3a22168, v6
	s_delay_alu instid0(VALU_DEP_1)
	v_fmac_f32_e32 v30, 0xa7c234c4, v6
; %bb.24:                               ;   in Loop: Header=BB223_4 Depth=1
	s_or_b32 exec_lo, exec_lo, s5
	v_cvt_f32_f16_e32 v32, v23
                                        ; implicit-def: $vgpr6
	s_mov_b32 s6, exec_lo
	s_delay_alu instid0(VALU_DEP_1)
	v_cmpx_ngt_f32_e32 0x48000000, v32
	s_xor_b32 s27, exec_lo, s6
	s_cbranch_execnz .LBB223_30
; %bb.25:                               ;   in Loop: Header=BB223_4 Depth=1
	s_and_not1_saveexec_b32 s5, s27
	s_cbranch_execnz .LBB223_31
.LBB223_26:                             ;   in Loop: Header=BB223_4 Depth=1
	s_or_b32 exec_lo, exec_lo, s5
	s_and_saveexec_b32 s5, s4
	s_delay_alu instid0(SALU_CYCLE_1)
	s_xor_b32 s5, exec_lo, s5
	s_cbranch_execnz .LBB223_32
.LBB223_27:                             ;   in Loop: Header=BB223_4 Depth=1
	s_or_b32 exec_lo, exec_lo, s5
	s_and_saveexec_b32 s4, s3
	s_cbranch_execnz .LBB223_33
.LBB223_28:                             ;   in Loop: Header=BB223_4 Depth=1
	s_or_b32 exec_lo, exec_lo, s4
	s_and_saveexec_b32 s3, s2
	s_cbranch_execnz .LBB223_34
.LBB223_29:                             ;   in Loop: Header=BB223_4 Depth=1
	s_or_b32 exec_lo, exec_lo, s3
	s_and_saveexec_b32 s2, vcc_lo
	s_cbranch_execz .LBB223_3
	s_branch .LBB223_35
.LBB223_30:                             ;   in Loop: Header=BB223_4 Depth=1
	v_and_or_b32 v6, v32, s24, 0x800000
	v_dual_mov_b32 v33, v7 :: v_dual_mov_b32 v45, v7
	s_delay_alu instid0(VALU_DEP_2) | instskip(NEXT) | instid1(VALU_DEP_1)
	v_mul_u64_e32 v[34:35], s[18:19], v[6:7]
	v_dual_mov_b32 v37, v7 :: v_dual_mov_b32 v36, v35
	v_lshrrev_b32_e32 v35, 23, v32
	s_delay_alu instid0(VALU_DEP_2) | instskip(SKIP_1) | instid1(VALU_DEP_3)
	v_mad_nc_u64_u32 v[36:37], 0x3c439041, v6, v[36:37]
	v_mov_b32_e32 v39, v7
	v_add_nc_u32_e32 v35, 0xffffff88, v35
	s_delay_alu instid0(VALU_DEP_1) | instskip(NEXT) | instid1(VALU_DEP_4)
	v_cmp_lt_u32_e64 s5, 63, v35
	v_mov_b32_e32 v38, v37
	s_delay_alu instid0(VALU_DEP_2) | instskip(NEXT) | instid1(VALU_DEP_2)
	v_cndmask_b32_e64 v37, 0, 0xffffffc0, s5
	v_mad_nc_u64_u32 v[38:39], 0xdb629599, v6, v[38:39]
	s_delay_alu instid0(VALU_DEP_2) | instskip(NEXT) | instid1(VALU_DEP_1)
	v_dual_mov_b32 v41, v7 :: v_dual_add_nc_u32 v35, v37, v35
	v_cmp_lt_u32_e64 s6, 31, v35
	s_delay_alu instid0(VALU_DEP_3) | instskip(NEXT) | instid1(VALU_DEP_1)
	v_dual_mov_b32 v40, v39 :: v_dual_cndmask_b32 v34, v38, v34, s5
	v_mad_nc_u64_u32 v[40:41], 0xf534ddc0, v6, v[40:41]
	s_delay_alu instid0(VALU_DEP_1) | instskip(NEXT) | instid1(VALU_DEP_1)
	v_dual_mov_b32 v43, v7 :: v_dual_mov_b32 v42, v41
	v_mad_nc_u64_u32 v[42:43], 0xfc2757d1, v6, v[42:43]
	s_delay_alu instid0(VALU_DEP_1) | instskip(NEXT) | instid1(VALU_DEP_1)
	v_dual_mov_b32 v32, v43 :: v_dual_cndmask_b32 v39, v42, v38, s5
	v_mad_nc_u64_u32 v[32:33], 0x4e441529, v6, v[32:33]
	s_delay_alu instid0(VALU_DEP_1) | instskip(SKIP_1) | instid1(VALU_DEP_2)
	v_mov_b32_e32 v44, v33
	v_cndmask_b32_e64 v33, 0, 0xffffffe0, s6
	v_mad_nc_u64_u32 v[44:45], 0xa2f9836e, v6, v[44:45]
	s_delay_alu instid0(VALU_DEP_2) | instskip(NEXT) | instid1(VALU_DEP_1)
	v_dual_add_nc_u32 v6, v33, v35 :: v_dual_cndmask_b32 v35, v32, v40, s5
	v_cmp_lt_u32_e64 s7, 31, v6
	s_delay_alu instid0(VALU_DEP_1) | instskip(NEXT) | instid1(VALU_DEP_4)
	v_cndmask_b32_e64 v33, 0, 0xffffffe0, s7
	v_dual_cndmask_b32 v37, v44, v42, s5 :: v_dual_cndmask_b32 v32, v45, v32, s5
	s_delay_alu instid0(VALU_DEP_2) | instskip(NEXT) | instid1(VALU_DEP_2)
	v_dual_add_nc_u32 v6, v33, v6 :: v_dual_cndmask_b32 v33, v40, v36, s5
	v_dual_cndmask_b32 v36, v37, v35, s6 :: v_dual_cndmask_b32 v32, v32, v37, s6
	s_delay_alu instid0(VALU_DEP_2) | instskip(NEXT) | instid1(VALU_DEP_3)
	v_dual_cndmask_b32 v35, v35, v39, s6 :: v_dual_sub_nc_u32 v37, 32, v6
	v_cndmask_b32_e64 v39, v39, v33, s6
	v_cmp_eq_u32_e64 s5, 0, v6
	s_delay_alu instid0(VALU_DEP_4) | instskip(NEXT) | instid1(VALU_DEP_4)
	v_cndmask_b32_e64 v32, v32, v36, s7
	v_cndmask_b32_e64 v36, v36, v35, s7
	s_delay_alu instid0(VALU_DEP_1) | instskip(NEXT) | instid1(VALU_DEP_1)
	v_alignbit_b32 v40, v32, v36, v37
	v_dual_cndmask_b32 v35, v35, v39, s7 :: v_dual_cndmask_b32 v6, v40, v32, s5
	s_delay_alu instid0(VALU_DEP_1) | instskip(SKIP_1) | instid1(VALU_DEP_3)
	v_alignbit_b32 v38, v36, v35, v37
	v_cndmask_b32_e64 v32, v33, v34, s6
	v_bfe_u32 v34, v6, 29, 1
	s_delay_alu instid0(VALU_DEP_3) | instskip(NEXT) | instid1(VALU_DEP_2)
	v_cndmask_b32_e64 v33, v38, v36, s5
	v_dual_cndmask_b32 v32, v39, v32, s7 :: v_dual_sub_nc_u32 v38, 0, v34
	s_delay_alu instid0(VALU_DEP_2) | instskip(NEXT) | instid1(VALU_DEP_2)
	v_alignbit_b32 v36, v6, v33, 30
	v_alignbit_b32 v37, v35, v32, v37
	s_delay_alu instid0(VALU_DEP_1) | instskip(NEXT) | instid1(VALU_DEP_1)
	v_dual_cndmask_b32 v35, v37, v35, s5 :: v_dual_bitop2_b32 v36, v36, v38 bitop3:0x14
	v_clz_i32_u32_e32 v37, v36
	s_delay_alu instid0(VALU_DEP_2) | instskip(SKIP_1) | instid1(VALU_DEP_3)
	v_alignbit_b32 v33, v33, v35, 30
	v_alignbit_b32 v32, v35, v32, 30
	v_min_u32_e32 v37, 32, v37
	s_delay_alu instid0(VALU_DEP_3) | instskip(NEXT) | instid1(VALU_DEP_3)
	v_xor_b32_e32 v33, v33, v38
	v_xor_b32_e32 v32, v32, v38
	v_dual_lshrrev_b32 v38, 29, v6 :: v_dual_lshrrev_b32 v6, 30, v6
	s_delay_alu instid0(VALU_DEP_4) | instskip(NEXT) | instid1(VALU_DEP_2)
	v_dual_sub_nc_u32 v35, 31, v37 :: v_dual_lshlrev_b32 v39, 23, v37
	v_add_nc_u32_e32 v6, v34, v6
	s_delay_alu instid0(VALU_DEP_2) | instskip(SKIP_2) | instid1(VALU_DEP_2)
	v_alignbit_b32 v36, v36, v33, v35
	v_alignbit_b32 v32, v33, v32, v35
	v_lshlrev_b32_e32 v33, 31, v38
	v_alignbit_b32 v35, v36, v32, 9
	s_delay_alu instid0(VALU_DEP_2) | instskip(SKIP_1) | instid1(VALU_DEP_3)
	v_dual_lshrrev_b32 v36, 9, v36 :: v_dual_bitop2_b32 v38, 0.5, v33 bitop3:0x54
	v_or_b32_e32 v33, 0x33000000, v33
	v_clz_i32_u32_e32 v40, v35
	s_delay_alu instid0(VALU_DEP_3) | instskip(NEXT) | instid1(VALU_DEP_2)
	v_sub_nc_u32_e32 v38, v38, v39
	v_min_u32_e32 v39, 32, v40
	s_delay_alu instid0(VALU_DEP_1) | instskip(NEXT) | instid1(VALU_DEP_1)
	v_add_lshl_u32 v37, v39, v37, 23
	v_dual_sub_nc_u32 v33, v33, v37 :: v_dual_bitop2_b32 v36, v36, v38 bitop3:0x54
	v_not_b32_e32 v38, v39
	s_delay_alu instid0(VALU_DEP_1) | instskip(NEXT) | instid1(VALU_DEP_1)
	v_alignbit_b32 v32, v35, v32, v38
	v_lshrrev_b32_e32 v32, 9, v32
	s_delay_alu instid0(VALU_DEP_4) | instskip(NEXT) | instid1(VALU_DEP_2)
	v_mul_f32_e32 v40, 0x3fc90fda, v36
	v_or_b32_e32 v32, v33, v32
	s_delay_alu instid0(VALU_DEP_2) | instskip(NEXT) | instid1(VALU_DEP_1)
	v_fma_f32 v35, 0x3fc90fda, v36, -v40
	v_fmac_f32_e32 v35, 0x33a22168, v36
	s_delay_alu instid0(VALU_DEP_1) | instskip(NEXT) | instid1(VALU_DEP_1)
	v_fmac_f32_e32 v35, 0x3fc90fda, v32
	v_add_f32_e32 v32, v40, v35
	s_and_not1_saveexec_b32 s5, s27
	s_cbranch_execz .LBB223_26
.LBB223_31:                             ;   in Loop: Header=BB223_4 Depth=1
	s_delay_alu instid0(VALU_DEP_1) | instskip(NEXT) | instid1(VALU_DEP_1)
	v_mul_f32_e32 v6, 0x3f22f983, v32
	v_rndne_f32_e32 v6, v6
	s_delay_alu instid0(VALU_DEP_1) | instskip(NEXT) | instid1(VALU_DEP_1)
	v_fmac_f32_e32 v32, 0xbfc90fda, v6
	v_fmac_f32_e32 v32, 0xb3a22168, v6
	s_delay_alu instid0(VALU_DEP_1) | instskip(SKIP_3) | instid1(SALU_CYCLE_1)
	v_fmac_f32_e32 v32, 0xa7c234c4, v6
	v_cvt_i32_f32_e32 v6, v6
	s_or_b32 exec_lo, exec_lo, s5
	s_and_saveexec_b32 s5, s4
	s_xor_b32 s5, exec_lo, s5
	s_cbranch_execz .LBB223_27
.LBB223_32:                             ;   in Loop: Header=BB223_4 Depth=1
	v_dual_mul_f32 v33, v26, v26 :: v_dual_bitop2_b32 v36, 1, v27 bitop3:0x40
	s_delay_alu instid0(VALU_DEP_1) | instskip(NEXT) | instid1(VALU_DEP_2)
	v_dual_fmaak_f32 v34, s25, v33, 0x3c0881c4 :: v_dual_lshlrev_b32 v27, 30, v27
	v_cmp_eq_u32_e64 s4, 0, v36
	s_delay_alu instid0(VALU_DEP_2) | instskip(NEXT) | instid1(VALU_DEP_1)
	v_fmaak_f32 v34, v33, v34, 0xbe2aaa9d
	v_dual_fmaak_f32 v35, s26, v33, 0xbab64f3b :: v_dual_mul_f32 v34, v33, v34
	s_delay_alu instid0(VALU_DEP_1) | instskip(NEXT) | instid1(VALU_DEP_1)
	v_dual_fmaak_f32 v35, v33, v35, 0x3d2aabf7 :: v_dual_fmac_f32 v26, v26, v34
	v_fmaak_f32 v35, v33, v35, 0xbf000004
	s_delay_alu instid0(VALU_DEP_1) | instskip(NEXT) | instid1(VALU_DEP_1)
	v_fma_f32 v33, v33, v35, 1.0
	v_cndmask_b32_e64 v26, -v26, v33, s4
	v_cmp_lg_f16_e64 s4, 0x7c00, v25
	s_delay_alu instid0(VALU_DEP_2) | instskip(NEXT) | instid1(VALU_DEP_1)
	v_bitop3_b32 v26, v27, v26, 0x80000000 bitop3:0x6c
	v_cvt_f16_f32_e32 v26, v26
	s_delay_alu instid0(VALU_DEP_1)
	v_cndmask_b32_e64 v25, 0x7e00, v26, s4
	global_store_b16 v[10:11], v25, off
	s_wait_xcnt 0x0
	s_or_b32 exec_lo, exec_lo, s5
	s_and_saveexec_b32 s4, s3
	s_cbranch_execz .LBB223_28
.LBB223_33:                             ;   in Loop: Header=BB223_4 Depth=1
	v_dual_mul_f32 v25, v28, v28 :: v_dual_bitop2_b32 v33, 1, v29 bitop3:0x40
	s_delay_alu instid0(VALU_DEP_1) | instskip(NEXT) | instid1(VALU_DEP_2)
	v_fmaak_f32 v26, s25, v25, 0x3c0881c4
	v_cmp_eq_u32_e64 s3, 0, v33
	s_delay_alu instid0(VALU_DEP_2) | instskip(NEXT) | instid1(VALU_DEP_1)
	v_fmaak_f32 v26, v25, v26, 0xbe2aaa9d
	v_dual_fmaak_f32 v27, s26, v25, 0xbab64f3b :: v_dual_mul_f32 v26, v25, v26
	s_delay_alu instid0(VALU_DEP_1) | instskip(NEXT) | instid1(VALU_DEP_1)
	v_dual_fmaak_f32 v27, v25, v27, 0x3d2aabf7 :: v_dual_fmac_f32 v28, v28, v26
	v_dual_fmaak_f32 v27, v25, v27, 0xbf000004 :: v_dual_lshlrev_b32 v26, 30, v29
	s_delay_alu instid0(VALU_DEP_1) | instskip(NEXT) | instid1(VALU_DEP_1)
	v_fma_f32 v25, v25, v27, 1.0
	v_cndmask_b32_e64 v25, -v28, v25, s3
	v_cmp_lg_f16_e64 s3, 0x7c00, v24
	s_delay_alu instid0(VALU_DEP_2) | instskip(NEXT) | instid1(VALU_DEP_1)
	v_bitop3_b32 v25, v26, v25, 0x80000000 bitop3:0x6c
	v_cvt_f16_f32_e32 v25, v25
	s_delay_alu instid0(VALU_DEP_1)
	v_cndmask_b32_e64 v24, 0x7e00, v25, s3
	global_store_b16 v[16:17], v24, off
	s_wait_xcnt 0x0
	s_or_b32 exec_lo, exec_lo, s4
	s_and_saveexec_b32 s3, s2
	s_cbranch_execz .LBB223_29
.LBB223_34:                             ;   in Loop: Header=BB223_4 Depth=1
	v_dual_mul_f32 v24, v30, v30 :: v_dual_bitop2_b32 v27, 1, v31 bitop3:0x40
	s_delay_alu instid0(VALU_DEP_1) | instskip(NEXT) | instid1(VALU_DEP_2)
	v_fmaak_f32 v25, s25, v24, 0x3c0881c4
	v_cmp_eq_u32_e64 s2, 0, v27
	s_delay_alu instid0(VALU_DEP_2) | instskip(NEXT) | instid1(VALU_DEP_1)
	v_fmaak_f32 v25, v24, v25, 0xbe2aaa9d
	v_dual_fmaak_f32 v26, s26, v24, 0xbab64f3b :: v_dual_mul_f32 v25, v24, v25
	s_delay_alu instid0(VALU_DEP_1) | instskip(NEXT) | instid1(VALU_DEP_2)
	v_fmaak_f32 v26, v24, v26, 0x3d2aabf7
	v_dual_fmac_f32 v30, v30, v25 :: v_dual_lshlrev_b32 v25, 30, v31
	s_delay_alu instid0(VALU_DEP_2) | instskip(NEXT) | instid1(VALU_DEP_1)
	v_fmaak_f32 v26, v24, v26, 0xbf000004
	v_fma_f32 v24, v24, v26, 1.0
	s_delay_alu instid0(VALU_DEP_1) | instskip(SKIP_1) | instid1(VALU_DEP_2)
	v_cndmask_b32_e64 v24, -v30, v24, s2
	v_cmp_lg_f16_e64 s2, 0x7c00, v22
	v_bitop3_b32 v24, v25, v24, 0x80000000 bitop3:0x6c
	s_delay_alu instid0(VALU_DEP_1) | instskip(NEXT) | instid1(VALU_DEP_1)
	v_cvt_f16_f32_e32 v24, v24
	v_cndmask_b32_e64 v22, 0x7e00, v24, s2
	global_store_b16 v[20:21], v22, off
	s_wait_xcnt 0x0
	s_or_b32 exec_lo, exec_lo, s3
	s_and_saveexec_b32 s2, vcc_lo
	s_cbranch_execz .LBB223_3
.LBB223_35:                             ;   in Loop: Header=BB223_4 Depth=1
	v_dual_mul_f32 v20, v32, v32 :: v_dual_bitop2_b32 v24, 1, v6 bitop3:0x40
	s_delay_alu instid0(VALU_DEP_1) | instskip(NEXT) | instid1(VALU_DEP_2)
	v_dual_fmaak_f32 v21, s25, v20, 0x3c0881c4 :: v_dual_lshlrev_b32 v6, 30, v6
	v_cmp_eq_u32_e32 vcc_lo, 0, v24
	s_delay_alu instid0(VALU_DEP_2) | instskip(NEXT) | instid1(VALU_DEP_1)
	v_fmaak_f32 v21, v20, v21, 0xbe2aaa9d
	v_dual_fmaak_f32 v22, s26, v20, 0xbab64f3b :: v_dual_mul_f32 v21, v20, v21
	s_delay_alu instid0(VALU_DEP_1) | instskip(NEXT) | instid1(VALU_DEP_2)
	v_fmaak_f32 v22, v20, v22, 0x3d2aabf7
	v_fmac_f32_e32 v32, v32, v21
	s_delay_alu instid0(VALU_DEP_2) | instskip(NEXT) | instid1(VALU_DEP_1)
	v_fmaak_f32 v22, v20, v22, 0xbf000004
	v_fma_f32 v20, v20, v22, 1.0
	s_delay_alu instid0(VALU_DEP_1) | instskip(SKIP_1) | instid1(VALU_DEP_2)
	v_cndmask_b32_e64 v20, -v32, v20, vcc_lo
	v_cmp_lg_f16_e32 vcc_lo, 0x7c00, v23
	v_bitop3_b32 v6, v6, v20, 0x80000000 bitop3:0x6c
	s_delay_alu instid0(VALU_DEP_1) | instskip(NEXT) | instid1(VALU_DEP_1)
	v_cvt_f16_f32_e32 v6, v6
	v_cndmask_b32_e32 v6, 0x7e00, v6, vcc_lo
	global_store_b16 v[18:19], v6, off
	s_branch .LBB223_3
.LBB223_36:
	s_cbranch_execz .LBB223_38
	s_branch .LBB223_57
.LBB223_37:
.LBB223_38:
	v_min_i64 v[2:3], 0x10000, s[12:13]
	v_dual_mov_b32 v5, 0 :: v_dual_lshlrev_b32 v4, 2, v0
	s_mov_b32 s2, exec_lo
	s_delay_alu instid0(VALU_DEP_1)
	v_cmpx_lt_i64_e64 v[4:5], v[2:3]
	s_cbranch_execz .LBB223_57
; %bb.39:
	s_load_b32 s2, s[0:1], 0xd3c
	v_dual_mov_b32 v1, v5 :: v_dual_lshlrev_b32 v4, 3, v0
	s_wait_xcnt 0x0
	s_add_nc_u64 s[0:1], s[8:9], s[10:11]
	s_mov_b32 s3, 0
	s_mov_b32 s8, 0x7fffff
	v_add_nc_u64_e32 v[6:7], s[0:1], v[4:5]
	s_mov_b64 s[4:5], 0xfe5163ab
	s_mov_b32 s9, 0xb94c1982
	s_mov_b32 s10, 0x37d75334
	;; [unrolled: 1-line block ×4, first 2 shown]
	s_delay_alu instid0(VALU_DEP_1) | instskip(SKIP_2) | instid1(SALU_CYCLE_1)
	v_add_nc_u64_e32 v[6:7], 4, v[6:7]
	s_wait_kmcnt 0x0
	s_and_b32 s2, s2, 0xffff
	s_lshl_b32 s6, s2, 3
	s_branch .LBB223_41
.LBB223_40:                             ;   in Loop: Header=BB223_41 Depth=1
	s_or_b32 exec_lo, exec_lo, s0
	v_dual_mul_f32 v19, v15, v15 :: v_dual_bitop2_b32 v20, 1, v17 bitop3:0x40
	v_dual_mul_f32 v21, v13, v13 :: v_dual_bitop2_b32 v24, 1, v14 bitop3:0x40
	s_delay_alu instid0(VALU_DEP_2) | instskip(SKIP_1) | instid1(VALU_DEP_3)
	v_dual_fmaak_f32 v22, s9, v19, 0x3c0881c4 :: v_dual_lshlrev_b32 v17, 30, v17
	v_dual_fmaak_f32 v23, s10, v19, 0xbab64f3b :: v_dual_mul_f32 v26, v18, v18
	v_dual_fmaak_f32 v27, s9, v21, 0x3c0881c4 :: v_dual_lshlrev_b32 v14, 30, v14
	v_dual_mul_f32 v25, v10, v10 :: v_dual_fmaak_f32 v28, s10, v21, 0xbab64f3b
	s_delay_alu instid0(VALU_DEP_2) | instskip(NEXT) | instid1(VALU_DEP_4)
	v_dual_fmaak_f32 v22, v19, v22, 0xbe2aaa9d :: v_dual_fmaak_f32 v27, v21, v27, 0xbe2aaa9d
	v_fmaak_f32 v23, v19, v23, 0x3d2aabf7
	s_delay_alu instid0(VALU_DEP_3) | instskip(SKIP_1) | instid1(VALU_DEP_4)
	v_fmaak_f32 v29, s9, v25, 0x3c0881c4
	v_cmp_eq_u32_e32 vcc_lo, 0, v20
	v_mul_f32_e32 v22, v19, v22
	v_fmaak_f32 v28, v21, v28, 0x3d2aabf7
	v_fmaak_f32 v23, v19, v23, 0xbf000004
	v_add_nc_u64_e32 v[0:1], s[2:3], v[0:1]
	s_delay_alu instid0(VALU_DEP_4) | instskip(NEXT) | instid1(VALU_DEP_3)
	v_dual_fmac_f32 v15, v15, v22 :: v_dual_mul_f32 v22, v21, v27
	v_fma_f32 v19, v19, v23, 1.0
	v_fmaak_f32 v23, v21, v28, 0xbf000004
	v_fmaak_f32 v30, s10, v25, 0xbab64f3b
	;; [unrolled: 1-line block ×3, first 2 shown]
	s_delay_alu instid0(VALU_DEP_4) | instskip(NEXT) | instid1(VALU_DEP_4)
	v_dual_fmac_f32 v13, v13, v22 :: v_dual_cndmask_b32 v15, -v15, v19, vcc_lo
	v_fma_f32 v19, v21, v23, 1.0
	v_fmaak_f32 v21, v25, v29, 0xbe2aaa9d
	v_cmp_eq_u32_e32 vcc_lo, 0, v24
	s_delay_alu instid0(VALU_DEP_2) | instskip(NEXT) | instid1(VALU_DEP_4)
	v_dual_fmaak_f32 v20, s10, v26, 0xbab64f3b :: v_dual_mul_f32 v21, v25, v21
	v_cndmask_b32_e64 v13, -v13, v19, vcc_lo
	v_bitop3_b32 v15, v17, v15, 0x80000000 bitop3:0x6c
	s_delay_alu instid0(VALU_DEP_3) | instskip(SKIP_2) | instid1(VALU_DEP_4)
	v_dual_fmaak_f32 v17, v25, v30, 0x3d2aabf7 :: v_dual_fmaak_f32 v20, v26, v20, 0x3d2aabf7
	v_fmaak_f32 v19, v26, v27, 0xbe2aaa9d
	v_fmac_f32_e32 v10, v10, v21
	v_cvt_f16_f32_e32 v15, v15
	s_delay_alu instid0(VALU_DEP_4) | instskip(NEXT) | instid1(VALU_DEP_4)
	v_dual_fmaak_f32 v17, v25, v17, 0xbf000004 :: v_dual_fmaak_f32 v20, v26, v20, 0xbf000004
	v_mul_f32_e32 v19, v26, v19
	v_bitop3_b32 v13, v14, v13, 0x80000000 bitop3:0x6c
	s_delay_alu instid0(VALU_DEP_3) | instskip(SKIP_1) | instid1(VALU_DEP_4)
	v_fma_f32 v17, v25, v17, 1.0
	v_and_b32_e32 v21, 1, v11
	v_dual_fmac_f32 v18, v18, v19 :: v_dual_bitop2_b32 v19, 1, v4 bitop3:0x40
	v_lshlrev_b32_e32 v11, 30, v11
	v_fma_f32 v20, v26, v20, 1.0
	s_delay_alu instid0(VALU_DEP_4) | instskip(SKIP_2) | instid1(VALU_DEP_2)
	v_cmp_eq_u32_e32 vcc_lo, 0, v21
	v_dual_lshlrev_b32 v4, 30, v4 :: v_dual_cndmask_b32 v10, -v10, v17, vcc_lo
	v_cmp_eq_u32_e32 vcc_lo, 0, v19
	v_bitop3_b32 v10, v11, v10, 0x80000000 bitop3:0x6c
	v_cndmask_b32_e64 v17, -v18, v20, vcc_lo
	v_cmp_class_f16_e64 vcc_lo, v9, 0x1f8
	v_cvt_f16_f32_e32 v9, v13
	s_delay_alu instid0(VALU_DEP_4) | instskip(NEXT) | instid1(VALU_DEP_4)
	v_cvt_f16_f32_e32 v10, v10
	v_bitop3_b32 v4, v4, v17, 0x80000000 bitop3:0x6c
	v_cndmask_b32_e32 v11, 0x7e00, v15, vcc_lo
	v_cmp_class_f16_e64 vcc_lo, v12, 0x1f8
	s_delay_alu instid0(VALU_DEP_3) | instskip(SKIP_2) | instid1(VALU_DEP_3)
	v_cvt_f16_f32_e32 v4, v4
	v_cndmask_b32_e32 v12, 0x7e00, v9, vcc_lo
	v_cmp_class_f16_e64 vcc_lo, v16, 0x1f8
	v_cndmask_b32_e32 v4, 0x7e00, v4, vcc_lo
	v_cmp_class_f16_e64 vcc_lo, v8, 0x1f8
	v_lshlrev_b64_e32 v[8:9], 2, v[0:1]
	s_delay_alu instid0(VALU_DEP_3) | instskip(SKIP_1) | instid1(VALU_DEP_3)
	v_pack_b32_f16 v11, v11, v4
	v_cndmask_b32_e32 v10, 0x7e00, v10, vcc_lo
	v_cmp_ge_i64_e32 vcc_lo, v[8:9], v[2:3]
	s_delay_alu instid0(VALU_DEP_2) | instskip(SKIP_4) | instid1(SALU_CYCLE_1)
	v_pack_b32_f16 v10, v10, v12
	global_store_b64 v[6:7], v[10:11], off offset:-4
	s_wait_xcnt 0x0
	v_add_nc_u64_e32 v[6:7], s[6:7], v[6:7]
	s_or_b32 s11, vcc_lo, s11
	s_and_not1_b32 exec_lo, exec_lo, s11
	s_cbranch_execz .LBB223_57
.LBB223_41:                             ; =>This Inner Loop Header: Depth=1
	global_load_b64 v[8:9], v[6:7], off offset:-4
                                        ; implicit-def: $vgpr11
	s_mov_b32 s0, exec_lo
	s_wait_loadcnt 0x0
	v_cvt_f32_f16_e64 v10, |v8|
	s_wait_xcnt 0x0
	s_delay_alu instid0(VALU_DEP_1)
	v_cmpx_ngt_f32_e32 0x48000000, v10
	s_xor_b32 s12, exec_lo, s0
	s_cbranch_execz .LBB223_43
; %bb.42:                               ;   in Loop: Header=BB223_41 Depth=1
	v_and_or_b32 v4, v10, s8, 0x800000
	v_dual_mov_b32 v11, v5 :: v_dual_mov_b32 v23, v5
	s_delay_alu instid0(VALU_DEP_2) | instskip(NEXT) | instid1(VALU_DEP_1)
	v_mul_u64_e32 v[12:13], s[4:5], v[4:5]
	v_dual_mov_b32 v15, v5 :: v_dual_mov_b32 v14, v13
	v_lshrrev_b32_e32 v13, 23, v10
	s_delay_alu instid0(VALU_DEP_2) | instskip(SKIP_1) | instid1(VALU_DEP_3)
	v_mad_nc_u64_u32 v[14:15], 0x3c439041, v4, v[14:15]
	v_mov_b32_e32 v17, v5
	v_add_nc_u32_e32 v13, 0xffffff88, v13
	s_delay_alu instid0(VALU_DEP_1) | instskip(NEXT) | instid1(VALU_DEP_4)
	v_cmp_lt_u32_e32 vcc_lo, 63, v13
	v_mov_b32_e32 v16, v15
	v_cndmask_b32_e64 v15, 0, 0xffffffc0, vcc_lo
	s_delay_alu instid0(VALU_DEP_2) | instskip(NEXT) | instid1(VALU_DEP_2)
	v_mad_nc_u64_u32 v[16:17], 0xdb629599, v4, v[16:17]
	v_dual_mov_b32 v19, v5 :: v_dual_add_nc_u32 v13, v15, v13
	s_delay_alu instid0(VALU_DEP_1) | instskip(NEXT) | instid1(VALU_DEP_3)
	v_cmp_lt_u32_e64 s0, 31, v13
	v_dual_mov_b32 v18, v17 :: v_dual_cndmask_b32 v12, v16, v12, vcc_lo
	s_delay_alu instid0(VALU_DEP_1) | instskip(NEXT) | instid1(VALU_DEP_1)
	v_mad_nc_u64_u32 v[18:19], 0xf534ddc0, v4, v[18:19]
	v_dual_mov_b32 v21, v5 :: v_dual_mov_b32 v20, v19
	s_delay_alu instid0(VALU_DEP_1) | instskip(NEXT) | instid1(VALU_DEP_1)
	v_mad_nc_u64_u32 v[20:21], 0xfc2757d1, v4, v[20:21]
	v_dual_mov_b32 v10, v21 :: v_dual_cndmask_b32 v17, v20, v16
	s_delay_alu instid0(VALU_DEP_1) | instskip(NEXT) | instid1(VALU_DEP_1)
	v_mad_nc_u64_u32 v[10:11], 0x4e441529, v4, v[10:11]
	v_mov_b32_e32 v22, v11
	v_cndmask_b32_e64 v11, 0, 0xffffffe0, s0
	s_delay_alu instid0(VALU_DEP_2) | instskip(NEXT) | instid1(VALU_DEP_2)
	v_mad_nc_u64_u32 v[22:23], 0xa2f9836e, v4, v[22:23]
	v_dual_cndmask_b32 v13, v10, v18 :: v_dual_add_nc_u32 v4, v11, v13
	s_delay_alu instid0(VALU_DEP_1) | instskip(NEXT) | instid1(VALU_DEP_1)
	v_cmp_lt_u32_e64 s1, 31, v4
	v_cndmask_b32_e64 v11, 0, 0xffffffe0, s1
	s_delay_alu instid0(VALU_DEP_4) | instskip(NEXT) | instid1(VALU_DEP_2)
	v_dual_cndmask_b32 v15, v22, v20 :: v_dual_cndmask_b32 v10, v23, v10
	v_dual_cndmask_b32 v11, v18, v14 :: v_dual_add_nc_u32 v4, v11, v4
	s_delay_alu instid0(VALU_DEP_2) | instskip(NEXT) | instid1(VALU_DEP_2)
	v_dual_cndmask_b32 v14, v15, v13, s0 :: v_dual_cndmask_b32 v10, v10, v15, s0
	v_dual_cndmask_b32 v13, v13, v17, s0 :: v_dual_sub_nc_u32 v15, 32, v4
	s_delay_alu instid0(VALU_DEP_3) | instskip(SKIP_1) | instid1(VALU_DEP_4)
	v_cndmask_b32_e64 v17, v17, v11, s0
	v_cmp_eq_u32_e32 vcc_lo, 0, v4
	v_cndmask_b32_e64 v10, v10, v14, s1
	s_delay_alu instid0(VALU_DEP_4) | instskip(NEXT) | instid1(VALU_DEP_1)
	v_cndmask_b32_e64 v14, v14, v13, s1
	v_alignbit_b32 v18, v10, v14, v15
	s_delay_alu instid0(VALU_DEP_1) | instskip(NEXT) | instid1(VALU_DEP_1)
	v_dual_cndmask_b32 v13, v13, v17, s1 :: v_dual_cndmask_b32 v4, v18, v10, vcc_lo
	v_alignbit_b32 v16, v14, v13, v15
	v_cndmask_b32_e64 v10, v11, v12, s0
	s_delay_alu instid0(VALU_DEP_3) | instskip(NEXT) | instid1(VALU_DEP_3)
	v_bfe_u32 v12, v4, 29, 1
	v_cndmask_b32_e32 v11, v16, v14, vcc_lo
	s_delay_alu instid0(VALU_DEP_2) | instskip(NEXT) | instid1(VALU_DEP_2)
	v_dual_cndmask_b32 v10, v17, v10, s1 :: v_dual_sub_nc_u32 v16, 0, v12
	v_alignbit_b32 v14, v4, v11, 30
	s_delay_alu instid0(VALU_DEP_2) | instskip(NEXT) | instid1(VALU_DEP_1)
	v_alignbit_b32 v15, v13, v10, v15
	v_dual_cndmask_b32 v13, v15, v13, vcc_lo :: v_dual_bitop2_b32 v14, v14, v16 bitop3:0x14
	s_delay_alu instid0(VALU_DEP_1) | instskip(NEXT) | instid1(VALU_DEP_2)
	v_clz_i32_u32_e32 v15, v14
	v_alignbit_b32 v11, v11, v13, 30
	v_alignbit_b32 v10, v13, v10, 30
	s_delay_alu instid0(VALU_DEP_3) | instskip(NEXT) | instid1(VALU_DEP_3)
	v_min_u32_e32 v15, 32, v15
	v_xor_b32_e32 v11, v11, v16
	s_delay_alu instid0(VALU_DEP_3) | instskip(SKIP_1) | instid1(VALU_DEP_4)
	v_xor_b32_e32 v10, v10, v16
	v_dual_lshrrev_b32 v16, 29, v4 :: v_dual_lshrrev_b32 v4, 30, v4
	v_dual_sub_nc_u32 v13, 31, v15 :: v_dual_lshlrev_b32 v17, 23, v15
	s_delay_alu instid0(VALU_DEP_1) | instskip(NEXT) | instid1(VALU_DEP_4)
	v_alignbit_b32 v14, v14, v11, v13
	v_alignbit_b32 v10, v11, v10, v13
	s_delay_alu instid0(VALU_DEP_4) | instskip(NEXT) | instid1(VALU_DEP_2)
	v_lshlrev_b32_e32 v11, 31, v16
	v_alignbit_b32 v13, v14, v10, 9
	s_delay_alu instid0(VALU_DEP_2) | instskip(SKIP_1) | instid1(VALU_DEP_3)
	v_dual_lshrrev_b32 v14, 9, v14 :: v_dual_bitop2_b32 v16, 0.5, v11 bitop3:0x54
	v_or_b32_e32 v11, 0x33000000, v11
	v_clz_i32_u32_e32 v18, v13
	s_delay_alu instid0(VALU_DEP_3) | instskip(NEXT) | instid1(VALU_DEP_2)
	v_sub_nc_u32_e32 v16, v16, v17
	v_min_u32_e32 v17, 32, v18
	s_delay_alu instid0(VALU_DEP_1) | instskip(NEXT) | instid1(VALU_DEP_1)
	v_add_lshl_u32 v15, v17, v15, 23
	v_dual_sub_nc_u32 v11, v11, v15 :: v_dual_bitop2_b32 v14, v14, v16 bitop3:0x54
	v_not_b32_e32 v16, v17
	s_delay_alu instid0(VALU_DEP_1) | instskip(NEXT) | instid1(VALU_DEP_1)
	v_alignbit_b32 v10, v13, v10, v16
	v_lshrrev_b32_e32 v10, 9, v10
	s_delay_alu instid0(VALU_DEP_4) | instskip(NEXT) | instid1(VALU_DEP_2)
	v_mul_f32_e32 v18, 0x3fc90fda, v14
	v_dual_add_nc_u32 v11, v12, v4 :: v_dual_bitop2_b32 v10, v11, v10 bitop3:0x54
	s_delay_alu instid0(VALU_DEP_2) | instskip(NEXT) | instid1(VALU_DEP_1)
	v_fma_f32 v13, 0x3fc90fda, v14, -v18
	v_fmac_f32_e32 v13, 0x33a22168, v14
	s_delay_alu instid0(VALU_DEP_1) | instskip(NEXT) | instid1(VALU_DEP_1)
	v_fmac_f32_e32 v13, 0x3fc90fda, v10
	v_add_f32_e32 v10, v18, v13
.LBB223_43:                             ;   in Loop: Header=BB223_41 Depth=1
	s_and_not1_saveexec_b32 s0, s12
; %bb.44:                               ;   in Loop: Header=BB223_41 Depth=1
	s_delay_alu instid0(VALU_DEP_1) | instskip(NEXT) | instid1(VALU_DEP_1)
	v_mul_f32_e32 v4, 0x3f22f983, v10
	v_rndne_f32_e32 v4, v4
	s_delay_alu instid0(VALU_DEP_1) | instskip(SKIP_1) | instid1(VALU_DEP_2)
	v_fmac_f32_e32 v10, 0xbfc90fda, v4
	v_cvt_i32_f32_e32 v11, v4
	v_fmac_f32_e32 v10, 0xb3a22168, v4
	s_delay_alu instid0(VALU_DEP_1)
	v_fmac_f32_e32 v10, 0xa7c234c4, v4
; %bb.45:                               ;   in Loop: Header=BB223_41 Depth=1
	s_or_b32 exec_lo, exec_lo, s0
	v_lshrrev_b32_e32 v12, 16, v8
                                        ; implicit-def: $vgpr14
	s_mov_b32 s0, exec_lo
	s_delay_alu instid0(VALU_DEP_1) | instskip(NEXT) | instid1(VALU_DEP_1)
	v_cvt_f32_f16_e64 v13, |v12|
	v_cmpx_ngt_f32_e32 0x48000000, v13
	s_xor_b32 s12, exec_lo, s0
	s_cbranch_execz .LBB223_47
; %bb.46:                               ;   in Loop: Header=BB223_41 Depth=1
	v_and_or_b32 v4, v13, s8, 0x800000
	v_dual_lshrrev_b32 v13, 23, v13 :: v_dual_mov_b32 v25, v5
	v_mov_b32_e32 v27, v5
	s_delay_alu instid0(VALU_DEP_3) | instskip(SKIP_1) | instid1(VALU_DEP_4)
	v_mul_u64_e32 v[14:15], s[4:5], v[4:5]
	v_mov_b32_e32 v17, v5
	v_add_nc_u32_e32 v13, 0xffffff88, v13
	s_delay_alu instid0(VALU_DEP_1) | instskip(NEXT) | instid1(VALU_DEP_4)
	v_cmp_lt_u32_e32 vcc_lo, 63, v13
	v_mov_b32_e32 v16, v15
	v_cndmask_b32_e64 v15, 0, 0xffffffc0, vcc_lo
	s_delay_alu instid0(VALU_DEP_2) | instskip(NEXT) | instid1(VALU_DEP_2)
	v_mad_nc_u64_u32 v[16:17], 0x3c439041, v4, v[16:17]
	v_dual_mov_b32 v19, v5 :: v_dual_add_nc_u32 v13, v15, v13
	s_delay_alu instid0(VALU_DEP_1) | instskip(NEXT) | instid1(VALU_DEP_3)
	v_cmp_lt_u32_e64 s0, 31, v13
	v_mov_b32_e32 v18, v17
	s_delay_alu instid0(VALU_DEP_2) | instskip(NEXT) | instid1(VALU_DEP_2)
	v_cndmask_b32_e64 v15, 0, 0xffffffe0, s0
	v_mad_nc_u64_u32 v[18:19], 0xdb629599, v4, v[18:19]
	s_delay_alu instid0(VALU_DEP_1) | instskip(NEXT) | instid1(VALU_DEP_2)
	v_dual_mov_b32 v21, v5 :: v_dual_mov_b32 v20, v19
	v_cndmask_b32_e32 v14, v18, v14, vcc_lo
	s_delay_alu instid0(VALU_DEP_2) | instskip(NEXT) | instid1(VALU_DEP_1)
	v_mad_nc_u64_u32 v[20:21], 0xf534ddc0, v4, v[20:21]
	v_dual_mov_b32 v23, v5 :: v_dual_mov_b32 v22, v21
	s_delay_alu instid0(VALU_DEP_1) | instskip(NEXT) | instid1(VALU_DEP_1)
	v_mad_nc_u64_u32 v[22:23], 0xfc2757d1, v4, v[22:23]
	v_dual_mov_b32 v24, v23 :: v_dual_cndmask_b32 v21, v22, v18
	s_delay_alu instid0(VALU_DEP_1) | instskip(NEXT) | instid1(VALU_DEP_1)
	v_mad_nc_u64_u32 v[24:25], 0x4e441529, v4, v[24:25]
	v_mov_b32_e32 v26, v25
	s_delay_alu instid0(VALU_DEP_1) | instskip(NEXT) | instid1(VALU_DEP_3)
	v_mad_nc_u64_u32 v[26:27], 0xa2f9836e, v4, v[26:27]
	v_dual_cndmask_b32 v15, v24, v20 :: v_dual_add_nc_u32 v4, v15, v13
	s_delay_alu instid0(VALU_DEP_1) | instskip(NEXT) | instid1(VALU_DEP_1)
	v_cmp_lt_u32_e64 s1, 31, v4
	v_cndmask_b32_e64 v13, 0, 0xffffffe0, s1
	s_delay_alu instid0(VALU_DEP_4) | instskip(NEXT) | instid1(VALU_DEP_2)
	v_dual_cndmask_b32 v17, v26, v22, vcc_lo :: v_dual_cndmask_b32 v19, v27, v24, vcc_lo
	v_add_nc_u32_e32 v4, v13, v4
	s_delay_alu instid0(VALU_DEP_2) | instskip(NEXT) | instid1(VALU_DEP_3)
	v_dual_cndmask_b32 v13, v20, v16, vcc_lo :: v_dual_cndmask_b32 v16, v17, v15, s0
	v_cndmask_b32_e64 v17, v19, v17, s0
	s_delay_alu instid0(VALU_DEP_3) | instskip(NEXT) | instid1(VALU_DEP_3)
	v_dual_cndmask_b32 v15, v15, v21, s0 :: v_dual_sub_nc_u32 v19, 32, v4
	v_cndmask_b32_e64 v20, v21, v13, s0
	v_cmp_eq_u32_e32 vcc_lo, 0, v4
	s_delay_alu instid0(VALU_DEP_3) | instskip(NEXT) | instid1(VALU_DEP_1)
	v_dual_cndmask_b32 v17, v17, v16, s1 :: v_dual_cndmask_b32 v16, v16, v15, s1
	v_alignbit_b32 v21, v17, v16, v19
	s_delay_alu instid0(VALU_DEP_1) | instskip(NEXT) | instid1(VALU_DEP_1)
	v_dual_cndmask_b32 v15, v15, v20, s1 :: v_dual_cndmask_b32 v4, v21, v17, vcc_lo
	v_alignbit_b32 v18, v16, v15, v19
	s_delay_alu instid0(VALU_DEP_1) | instskip(NEXT) | instid1(VALU_DEP_3)
	v_dual_cndmask_b32 v13, v13, v14, s0 :: v_dual_cndmask_b32 v14, v18, v16, vcc_lo
	v_bfe_u32 v16, v4, 29, 1
	s_delay_alu instid0(VALU_DEP_2) | instskip(NEXT) | instid1(VALU_DEP_3)
	v_cndmask_b32_e64 v13, v20, v13, s1
	v_alignbit_b32 v17, v4, v14, 30
	s_delay_alu instid0(VALU_DEP_3) | instskip(NEXT) | instid1(VALU_DEP_3)
	v_sub_nc_u32_e32 v18, 0, v16
	v_alignbit_b32 v19, v15, v13, v19
	s_delay_alu instid0(VALU_DEP_1) | instskip(NEXT) | instid1(VALU_DEP_1)
	v_dual_cndmask_b32 v15, v19, v15, vcc_lo :: v_dual_bitop2_b32 v17, v17, v18 bitop3:0x14
	v_clz_i32_u32_e32 v19, v17
	s_delay_alu instid0(VALU_DEP_2) | instskip(SKIP_1) | instid1(VALU_DEP_3)
	v_alignbit_b32 v14, v14, v15, 30
	v_alignbit_b32 v13, v15, v13, 30
	v_min_u32_e32 v19, 32, v19
	s_delay_alu instid0(VALU_DEP_3) | instskip(NEXT) | instid1(VALU_DEP_3)
	v_xor_b32_e32 v14, v14, v18
	v_dual_lshrrev_b32 v18, 29, v4 :: v_dual_bitop2_b32 v13, v13, v18 bitop3:0x14
	s_delay_alu instid0(VALU_DEP_3) | instskip(SKIP_1) | instid1(VALU_DEP_2)
	v_dual_lshrrev_b32 v4, 30, v4 :: v_dual_sub_nc_u32 v15, 31, v19
	v_lshlrev_b32_e32 v20, 23, v19
	v_alignbit_b32 v17, v17, v14, v15
	s_delay_alu instid0(VALU_DEP_4) | instskip(SKIP_1) | instid1(VALU_DEP_2)
	v_alignbit_b32 v13, v14, v13, v15
	v_lshlrev_b32_e32 v14, 31, v18
	v_alignbit_b32 v15, v17, v13, 9
	s_delay_alu instid0(VALU_DEP_2) | instskip(SKIP_1) | instid1(VALU_DEP_3)
	v_dual_lshrrev_b32 v17, 9, v17 :: v_dual_bitop2_b32 v18, 0.5, v14 bitop3:0x54
	v_or_b32_e32 v14, 0x33000000, v14
	v_clz_i32_u32_e32 v21, v15
	s_delay_alu instid0(VALU_DEP_3) | instskip(NEXT) | instid1(VALU_DEP_2)
	v_sub_nc_u32_e32 v18, v18, v20
	v_min_u32_e32 v20, 32, v21
	s_delay_alu instid0(VALU_DEP_1) | instskip(NEXT) | instid1(VALU_DEP_3)
	v_add_lshl_u32 v19, v20, v19, 23
	v_or_b32_e32 v17, v17, v18
	v_not_b32_e32 v18, v20
	s_delay_alu instid0(VALU_DEP_2) | instskip(NEXT) | instid1(VALU_DEP_2)
	v_dual_mul_f32 v21, 0x3fc90fda, v17 :: v_dual_sub_nc_u32 v14, v14, v19
	v_alignbit_b32 v13, v15, v13, v18
	s_delay_alu instid0(VALU_DEP_2) | instskip(NEXT) | instid1(VALU_DEP_2)
	v_fma_f32 v15, 0x3fc90fda, v17, -v21
	v_lshrrev_b32_e32 v13, 9, v13
	s_delay_alu instid0(VALU_DEP_2) | instskip(NEXT) | instid1(VALU_DEP_2)
	v_fmac_f32_e32 v15, 0x33a22168, v17
	v_dual_add_nc_u32 v14, v16, v4 :: v_dual_bitop2_b32 v13, v14, v13 bitop3:0x54
	s_delay_alu instid0(VALU_DEP_1) | instskip(NEXT) | instid1(VALU_DEP_1)
	v_fmac_f32_e32 v15, 0x3fc90fda, v13
	v_add_f32_e32 v13, v21, v15
.LBB223_47:                             ;   in Loop: Header=BB223_41 Depth=1
	s_and_not1_saveexec_b32 s0, s12
; %bb.48:                               ;   in Loop: Header=BB223_41 Depth=1
	s_delay_alu instid0(VALU_DEP_1) | instskip(NEXT) | instid1(VALU_DEP_1)
	v_mul_f32_e32 v4, 0x3f22f983, v13
	v_rndne_f32_e32 v4, v4
	s_delay_alu instid0(VALU_DEP_1) | instskip(SKIP_1) | instid1(VALU_DEP_2)
	v_fmac_f32_e32 v13, 0xbfc90fda, v4
	v_cvt_i32_f32_e32 v14, v4
	v_fmac_f32_e32 v13, 0xb3a22168, v4
	s_delay_alu instid0(VALU_DEP_1)
	v_fmac_f32_e32 v13, 0xa7c234c4, v4
; %bb.49:                               ;   in Loop: Header=BB223_41 Depth=1
	s_or_b32 exec_lo, exec_lo, s0
	v_cvt_f32_f16_e64 v15, |v9|
                                        ; implicit-def: $vgpr17
	s_mov_b32 s0, exec_lo
	s_delay_alu instid0(VALU_DEP_1)
	v_cmpx_ngt_f32_e32 0x48000000, v15
	s_xor_b32 s12, exec_lo, s0
	s_cbranch_execz .LBB223_51
; %bb.50:                               ;   in Loop: Header=BB223_41 Depth=1
	v_and_or_b32 v4, v15, s8, 0x800000
	v_dual_lshrrev_b32 v15, 23, v15 :: v_dual_mov_b32 v27, v5
	s_delay_alu instid0(VALU_DEP_2) | instskip(SKIP_1) | instid1(VALU_DEP_3)
	v_mul_u64_e32 v[16:17], s[4:5], v[4:5]
	v_mov_b32_e32 v19, v5
	v_add_nc_u32_e32 v15, 0xffffff88, v15
	s_delay_alu instid0(VALU_DEP_1) | instskip(NEXT) | instid1(VALU_DEP_4)
	v_cmp_lt_u32_e32 vcc_lo, 63, v15
	v_mov_b32_e32 v18, v17
	v_cndmask_b32_e64 v17, 0, 0xffffffc0, vcc_lo
	s_delay_alu instid0(VALU_DEP_2) | instskip(NEXT) | instid1(VALU_DEP_1)
	v_mad_nc_u64_u32 v[18:19], 0x3c439041, v4, v[18:19]
	v_dual_mov_b32 v21, v5 :: v_dual_mov_b32 v20, v19
	s_delay_alu instid0(VALU_DEP_1) | instskip(NEXT) | instid1(VALU_DEP_1)
	v_mad_nc_u64_u32 v[20:21], 0xdb629599, v4, v[20:21]
	v_dual_mov_b32 v23, v5 :: v_dual_mov_b32 v22, v21
	s_delay_alu instid0(VALU_DEP_2) | instskip(NEXT) | instid1(VALU_DEP_2)
	v_cndmask_b32_e32 v16, v20, v16, vcc_lo
	v_mad_nc_u64_u32 v[22:23], 0xf534ddc0, v4, v[22:23]
	s_delay_alu instid0(VALU_DEP_1) | instskip(NEXT) | instid1(VALU_DEP_1)
	v_dual_mov_b32 v25, v5 :: v_dual_mov_b32 v24, v23
	v_mad_nc_u64_u32 v[24:25], 0xfc2757d1, v4, v[24:25]
	s_delay_alu instid0(VALU_DEP_1) | instskip(NEXT) | instid1(VALU_DEP_1)
	v_dual_mov_b32 v26, v25 :: v_dual_cndmask_b32 v23, v24, v20
	v_mad_nc_u64_u32 v[26:27], 0x4e441529, v4, v[26:27]
	v_add_nc_u32_e32 v15, v17, v15
	s_delay_alu instid0(VALU_DEP_2) | instskip(NEXT) | instid1(VALU_DEP_2)
	v_dual_mov_b32 v29, v5 :: v_dual_mov_b32 v28, v27
	v_cmp_lt_u32_e64 s0, 31, v15
	s_delay_alu instid0(VALU_DEP_2) | instskip(NEXT) | instid1(VALU_DEP_2)
	v_mad_nc_u64_u32 v[28:29], 0xa2f9836e, v4, v[28:29]
	v_cndmask_b32_e64 v17, 0, 0xffffffe0, s0
	s_delay_alu instid0(VALU_DEP_1) | instskip(NEXT) | instid1(VALU_DEP_3)
	v_dual_cndmask_b32 v17, v26, v22 :: v_dual_add_nc_u32 v4, v17, v15
	v_cndmask_b32_e32 v19, v28, v24, vcc_lo
	s_delay_alu instid0(VALU_DEP_2) | instskip(SKIP_1) | instid1(VALU_DEP_2)
	v_cmp_lt_u32_e64 s1, 31, v4
	v_cndmask_b32_e32 v21, v29, v26, vcc_lo
	v_cndmask_b32_e64 v15, 0, 0xffffffe0, s1
	s_delay_alu instid0(VALU_DEP_1) | instskip(NEXT) | instid1(VALU_DEP_3)
	v_dual_cndmask_b32 v15, v22, v18 :: v_dual_add_nc_u32 v4, v15, v4
	v_dual_cndmask_b32 v18, v19, v17, s0 :: v_dual_cndmask_b32 v19, v21, v19, s0
	s_delay_alu instid0(VALU_DEP_2) | instskip(NEXT) | instid1(VALU_DEP_3)
	v_dual_cndmask_b32 v17, v17, v23, s0 :: v_dual_sub_nc_u32 v21, 32, v4
	v_cndmask_b32_e64 v22, v23, v15, s0
	v_cmp_eq_u32_e32 vcc_lo, 0, v4
	s_delay_alu instid0(VALU_DEP_3) | instskip(NEXT) | instid1(VALU_DEP_1)
	v_dual_cndmask_b32 v19, v19, v18, s1 :: v_dual_cndmask_b32 v18, v18, v17, s1
	v_alignbit_b32 v23, v19, v18, v21
	s_delay_alu instid0(VALU_DEP_1) | instskip(NEXT) | instid1(VALU_DEP_1)
	v_dual_cndmask_b32 v17, v17, v22, s1 :: v_dual_cndmask_b32 v4, v23, v19, vcc_lo
	v_alignbit_b32 v20, v18, v17, v21
	s_delay_alu instid0(VALU_DEP_1) | instskip(NEXT) | instid1(VALU_DEP_3)
	v_dual_cndmask_b32 v15, v15, v16, s0 :: v_dual_cndmask_b32 v16, v20, v18, vcc_lo
	v_bfe_u32 v18, v4, 29, 1
	s_delay_alu instid0(VALU_DEP_2) | instskip(NEXT) | instid1(VALU_DEP_3)
	v_cndmask_b32_e64 v15, v22, v15, s1
	v_alignbit_b32 v19, v4, v16, 30
	s_delay_alu instid0(VALU_DEP_3) | instskip(NEXT) | instid1(VALU_DEP_3)
	v_sub_nc_u32_e32 v20, 0, v18
	v_alignbit_b32 v21, v17, v15, v21
	s_delay_alu instid0(VALU_DEP_1) | instskip(NEXT) | instid1(VALU_DEP_1)
	v_dual_cndmask_b32 v17, v21, v17, vcc_lo :: v_dual_bitop2_b32 v19, v19, v20 bitop3:0x14
	v_clz_i32_u32_e32 v21, v19
	s_delay_alu instid0(VALU_DEP_2) | instskip(SKIP_1) | instid1(VALU_DEP_3)
	v_alignbit_b32 v16, v16, v17, 30
	v_alignbit_b32 v15, v17, v15, 30
	v_min_u32_e32 v21, 32, v21
	s_delay_alu instid0(VALU_DEP_3) | instskip(NEXT) | instid1(VALU_DEP_3)
	v_xor_b32_e32 v16, v16, v20
	v_xor_b32_e32 v15, v15, v20
	v_dual_lshrrev_b32 v20, 29, v4 :: v_dual_lshrrev_b32 v4, 30, v4
	s_delay_alu instid0(VALU_DEP_4) | instskip(NEXT) | instid1(VALU_DEP_1)
	v_dual_sub_nc_u32 v17, 31, v21 :: v_dual_lshlrev_b32 v22, 23, v21
	v_alignbit_b32 v19, v19, v16, v17
	s_delay_alu instid0(VALU_DEP_4) | instskip(NEXT) | instid1(VALU_DEP_4)
	v_alignbit_b32 v15, v16, v15, v17
	v_lshlrev_b32_e32 v16, 31, v20
	s_delay_alu instid0(VALU_DEP_2) | instskip(NEXT) | instid1(VALU_DEP_2)
	v_alignbit_b32 v17, v19, v15, 9
	v_dual_lshrrev_b32 v19, 9, v19 :: v_dual_bitop2_b32 v20, 0.5, v16 bitop3:0x54
	v_or_b32_e32 v16, 0x33000000, v16
	s_delay_alu instid0(VALU_DEP_3) | instskip(NEXT) | instid1(VALU_DEP_3)
	v_clz_i32_u32_e32 v23, v17
	v_sub_nc_u32_e32 v20, v20, v22
	s_delay_alu instid0(VALU_DEP_2) | instskip(NEXT) | instid1(VALU_DEP_1)
	v_min_u32_e32 v22, 32, v23
	v_add_lshl_u32 v21, v22, v21, 23
	s_delay_alu instid0(VALU_DEP_3) | instskip(SKIP_1) | instid1(VALU_DEP_2)
	v_or_b32_e32 v19, v19, v20
	v_not_b32_e32 v20, v22
	v_dual_mul_f32 v23, 0x3fc90fda, v19 :: v_dual_sub_nc_u32 v16, v16, v21
	s_delay_alu instid0(VALU_DEP_2) | instskip(NEXT) | instid1(VALU_DEP_2)
	v_alignbit_b32 v15, v17, v15, v20
	v_fma_f32 v17, 0x3fc90fda, v19, -v23
	s_delay_alu instid0(VALU_DEP_2) | instskip(NEXT) | instid1(VALU_DEP_2)
	v_lshrrev_b32_e32 v15, 9, v15
	v_fmac_f32_e32 v17, 0x33a22168, v19
	s_delay_alu instid0(VALU_DEP_2) | instskip(NEXT) | instid1(VALU_DEP_1)
	v_or_b32_e32 v15, v16, v15
	v_fmac_f32_e32 v17, 0x3fc90fda, v15
	s_delay_alu instid0(VALU_DEP_1)
	v_dual_add_f32 v15, v23, v17 :: v_dual_add_nc_u32 v17, v18, v4
.LBB223_51:                             ;   in Loop: Header=BB223_41 Depth=1
	s_and_not1_saveexec_b32 s0, s12
; %bb.52:                               ;   in Loop: Header=BB223_41 Depth=1
	s_delay_alu instid0(VALU_DEP_1) | instskip(NEXT) | instid1(VALU_DEP_1)
	v_mul_f32_e32 v4, 0x3f22f983, v15
	v_rndne_f32_e32 v4, v4
	s_delay_alu instid0(VALU_DEP_1) | instskip(SKIP_1) | instid1(VALU_DEP_2)
	v_fmac_f32_e32 v15, 0xbfc90fda, v4
	v_cvt_i32_f32_e32 v17, v4
	v_fmac_f32_e32 v15, 0xb3a22168, v4
	s_delay_alu instid0(VALU_DEP_1)
	v_fmac_f32_e32 v15, 0xa7c234c4, v4
; %bb.53:                               ;   in Loop: Header=BB223_41 Depth=1
	s_or_b32 exec_lo, exec_lo, s0
	v_lshrrev_b32_e32 v16, 16, v9
                                        ; implicit-def: $vgpr4
	s_mov_b32 s0, exec_lo
	s_delay_alu instid0(VALU_DEP_1) | instskip(NEXT) | instid1(VALU_DEP_1)
	v_cvt_f32_f16_e64 v18, |v16|
	v_cmpx_ngt_f32_e32 0x48000000, v18
	s_xor_b32 s12, exec_lo, s0
	s_cbranch_execz .LBB223_55
; %bb.54:                               ;   in Loop: Header=BB223_41 Depth=1
	v_and_or_b32 v4, v18, s8, 0x800000
	v_dual_mov_b32 v19, v5 :: v_dual_mov_b32 v31, v5
	s_delay_alu instid0(VALU_DEP_2) | instskip(NEXT) | instid1(VALU_DEP_1)
	v_mul_u64_e32 v[20:21], s[4:5], v[4:5]
	v_dual_mov_b32 v23, v5 :: v_dual_mov_b32 v22, v21
	v_lshrrev_b32_e32 v21, 23, v18
	s_delay_alu instid0(VALU_DEP_2) | instskip(SKIP_1) | instid1(VALU_DEP_3)
	v_mad_nc_u64_u32 v[22:23], 0x3c439041, v4, v[22:23]
	v_mov_b32_e32 v25, v5
	v_add_nc_u32_e32 v21, 0xffffff88, v21
	s_delay_alu instid0(VALU_DEP_1) | instskip(NEXT) | instid1(VALU_DEP_4)
	v_cmp_lt_u32_e32 vcc_lo, 63, v21
	v_mov_b32_e32 v24, v23
	v_cndmask_b32_e64 v23, 0, 0xffffffc0, vcc_lo
	s_delay_alu instid0(VALU_DEP_2) | instskip(NEXT) | instid1(VALU_DEP_2)
	v_mad_nc_u64_u32 v[24:25], 0xdb629599, v4, v[24:25]
	v_dual_mov_b32 v27, v5 :: v_dual_add_nc_u32 v21, v23, v21
	s_delay_alu instid0(VALU_DEP_1) | instskip(NEXT) | instid1(VALU_DEP_3)
	v_cmp_lt_u32_e64 s0, 31, v21
	v_dual_mov_b32 v26, v25 :: v_dual_cndmask_b32 v20, v24, v20, vcc_lo
	s_delay_alu instid0(VALU_DEP_1) | instskip(NEXT) | instid1(VALU_DEP_1)
	v_mad_nc_u64_u32 v[26:27], 0xf534ddc0, v4, v[26:27]
	v_dual_mov_b32 v29, v5 :: v_dual_mov_b32 v28, v27
	s_delay_alu instid0(VALU_DEP_1) | instskip(NEXT) | instid1(VALU_DEP_1)
	v_mad_nc_u64_u32 v[28:29], 0xfc2757d1, v4, v[28:29]
	v_dual_mov_b32 v18, v29 :: v_dual_cndmask_b32 v25, v28, v24
	s_delay_alu instid0(VALU_DEP_1) | instskip(NEXT) | instid1(VALU_DEP_1)
	v_mad_nc_u64_u32 v[18:19], 0x4e441529, v4, v[18:19]
	v_mov_b32_e32 v30, v19
	v_cndmask_b32_e64 v19, 0, 0xffffffe0, s0
	s_delay_alu instid0(VALU_DEP_2) | instskip(NEXT) | instid1(VALU_DEP_2)
	v_mad_nc_u64_u32 v[30:31], 0xa2f9836e, v4, v[30:31]
	v_dual_cndmask_b32 v21, v18, v26 :: v_dual_add_nc_u32 v4, v19, v21
	s_delay_alu instid0(VALU_DEP_1) | instskip(NEXT) | instid1(VALU_DEP_1)
	v_cmp_lt_u32_e64 s1, 31, v4
	v_cndmask_b32_e64 v19, 0, 0xffffffe0, s1
	s_delay_alu instid0(VALU_DEP_4) | instskip(NEXT) | instid1(VALU_DEP_2)
	v_dual_cndmask_b32 v23, v30, v28 :: v_dual_cndmask_b32 v18, v31, v18
	v_dual_cndmask_b32 v19, v26, v22 :: v_dual_add_nc_u32 v4, v19, v4
	s_delay_alu instid0(VALU_DEP_2) | instskip(NEXT) | instid1(VALU_DEP_2)
	v_dual_cndmask_b32 v22, v23, v21, s0 :: v_dual_cndmask_b32 v18, v18, v23, s0
	v_dual_cndmask_b32 v21, v21, v25, s0 :: v_dual_sub_nc_u32 v23, 32, v4
	s_delay_alu instid0(VALU_DEP_3) | instskip(SKIP_1) | instid1(VALU_DEP_4)
	v_cndmask_b32_e64 v25, v25, v19, s0
	v_cmp_eq_u32_e32 vcc_lo, 0, v4
	v_cndmask_b32_e64 v18, v18, v22, s1
	s_delay_alu instid0(VALU_DEP_4) | instskip(NEXT) | instid1(VALU_DEP_1)
	v_cndmask_b32_e64 v22, v22, v21, s1
	v_alignbit_b32 v26, v18, v22, v23
	s_delay_alu instid0(VALU_DEP_1) | instskip(NEXT) | instid1(VALU_DEP_1)
	v_dual_cndmask_b32 v21, v21, v25, s1 :: v_dual_cndmask_b32 v4, v26, v18, vcc_lo
	v_alignbit_b32 v24, v22, v21, v23
	v_cndmask_b32_e64 v18, v19, v20, s0
	s_delay_alu instid0(VALU_DEP_3) | instskip(NEXT) | instid1(VALU_DEP_3)
	v_bfe_u32 v20, v4, 29, 1
	v_cndmask_b32_e32 v19, v24, v22, vcc_lo
	s_delay_alu instid0(VALU_DEP_2) | instskip(NEXT) | instid1(VALU_DEP_2)
	v_dual_cndmask_b32 v18, v25, v18, s1 :: v_dual_sub_nc_u32 v24, 0, v20
	v_alignbit_b32 v22, v4, v19, 30
	s_delay_alu instid0(VALU_DEP_2) | instskip(NEXT) | instid1(VALU_DEP_1)
	v_alignbit_b32 v23, v21, v18, v23
	v_dual_cndmask_b32 v21, v23, v21, vcc_lo :: v_dual_bitop2_b32 v22, v22, v24 bitop3:0x14
	s_delay_alu instid0(VALU_DEP_1) | instskip(NEXT) | instid1(VALU_DEP_2)
	v_clz_i32_u32_e32 v23, v22
	v_alignbit_b32 v19, v19, v21, 30
	v_alignbit_b32 v18, v21, v18, 30
	s_delay_alu instid0(VALU_DEP_3) | instskip(NEXT) | instid1(VALU_DEP_3)
	v_min_u32_e32 v23, 32, v23
	v_xor_b32_e32 v19, v19, v24
	s_delay_alu instid0(VALU_DEP_3) | instskip(SKIP_1) | instid1(VALU_DEP_4)
	v_xor_b32_e32 v18, v18, v24
	v_dual_lshrrev_b32 v24, 29, v4 :: v_dual_lshrrev_b32 v4, 30, v4
	v_dual_sub_nc_u32 v21, 31, v23 :: v_dual_lshlrev_b32 v25, 23, v23
	s_delay_alu instid0(VALU_DEP_2) | instskip(NEXT) | instid1(VALU_DEP_2)
	v_add_nc_u32_e32 v4, v20, v4
	v_alignbit_b32 v22, v22, v19, v21
	v_alignbit_b32 v18, v19, v18, v21
	v_lshlrev_b32_e32 v19, 31, v24
	s_delay_alu instid0(VALU_DEP_2) | instskip(NEXT) | instid1(VALU_DEP_2)
	v_alignbit_b32 v21, v22, v18, 9
	v_dual_lshrrev_b32 v22, 9, v22 :: v_dual_bitop2_b32 v24, 0.5, v19 bitop3:0x54
	v_or_b32_e32 v19, 0x33000000, v19
	s_delay_alu instid0(VALU_DEP_3) | instskip(NEXT) | instid1(VALU_DEP_3)
	v_clz_i32_u32_e32 v26, v21
	v_sub_nc_u32_e32 v24, v24, v25
	s_delay_alu instid0(VALU_DEP_2) | instskip(NEXT) | instid1(VALU_DEP_1)
	v_min_u32_e32 v25, 32, v26
	v_add_lshl_u32 v23, v25, v23, 23
	s_delay_alu instid0(VALU_DEP_1) | instskip(SKIP_1) | instid1(VALU_DEP_1)
	v_dual_sub_nc_u32 v19, v19, v23 :: v_dual_bitop2_b32 v22, v22, v24 bitop3:0x54
	v_not_b32_e32 v24, v25
	v_alignbit_b32 v18, v21, v18, v24
	s_delay_alu instid0(VALU_DEP_1) | instskip(NEXT) | instid1(VALU_DEP_4)
	v_lshrrev_b32_e32 v18, 9, v18
	v_mul_f32_e32 v26, 0x3fc90fda, v22
	s_delay_alu instid0(VALU_DEP_2) | instskip(NEXT) | instid1(VALU_DEP_2)
	v_or_b32_e32 v18, v19, v18
	v_fma_f32 v21, 0x3fc90fda, v22, -v26
	s_delay_alu instid0(VALU_DEP_1) | instskip(NEXT) | instid1(VALU_DEP_1)
	v_fmac_f32_e32 v21, 0x33a22168, v22
	v_fmac_f32_e32 v21, 0x3fc90fda, v18
	s_delay_alu instid0(VALU_DEP_1)
	v_add_f32_e32 v18, v26, v21
.LBB223_55:                             ;   in Loop: Header=BB223_41 Depth=1
	s_and_not1_saveexec_b32 s0, s12
	s_cbranch_execz .LBB223_40
; %bb.56:                               ;   in Loop: Header=BB223_41 Depth=1
	s_delay_alu instid0(VALU_DEP_1) | instskip(NEXT) | instid1(VALU_DEP_1)
	v_mul_f32_e32 v4, 0x3f22f983, v18
	v_rndne_f32_e32 v4, v4
	s_delay_alu instid0(VALU_DEP_1) | instskip(NEXT) | instid1(VALU_DEP_1)
	v_fmac_f32_e32 v18, 0xbfc90fda, v4
	v_fmac_f32_e32 v18, 0xb3a22168, v4
	s_delay_alu instid0(VALU_DEP_1)
	v_fmac_f32_e32 v18, 0xa7c234c4, v4
	v_cvt_i32_f32_e32 v4, v4
	s_branch .LBB223_40
.LBB223_57:
	s_endpgm
	.section	.rodata,"a",@progbits
	.p2align	6, 0x0
	.amdhsa_kernel _ZN2at6native12_GLOBAL__N_125multi_tensor_apply_kernelINS1_18TensorListMetadataILi1EEENS1_14UnaryOpFunctorIN3c104HalfELi1ELi1ELi0EEEJNS0_3CosIfEEEEEvT_T0_DpT1_
		.amdhsa_group_segment_fixed_size 0
		.amdhsa_private_segment_fixed_size 0
		.amdhsa_kernarg_size 3632
		.amdhsa_user_sgpr_count 2
		.amdhsa_user_sgpr_dispatch_ptr 0
		.amdhsa_user_sgpr_queue_ptr 0
		.amdhsa_user_sgpr_kernarg_segment_ptr 1
		.amdhsa_user_sgpr_dispatch_id 0
		.amdhsa_user_sgpr_kernarg_preload_length 0
		.amdhsa_user_sgpr_kernarg_preload_offset 0
		.amdhsa_user_sgpr_private_segment_size 0
		.amdhsa_wavefront_size32 1
		.amdhsa_uses_dynamic_stack 0
		.amdhsa_enable_private_segment 0
		.amdhsa_system_sgpr_workgroup_id_x 1
		.amdhsa_system_sgpr_workgroup_id_y 0
		.amdhsa_system_sgpr_workgroup_id_z 0
		.amdhsa_system_sgpr_workgroup_info 0
		.amdhsa_system_vgpr_workitem_id 0
		.amdhsa_next_free_vgpr 46
		.amdhsa_next_free_sgpr 28
		.amdhsa_named_barrier_count 0
		.amdhsa_reserve_vcc 1
		.amdhsa_float_round_mode_32 0
		.amdhsa_float_round_mode_16_64 0
		.amdhsa_float_denorm_mode_32 3
		.amdhsa_float_denorm_mode_16_64 3
		.amdhsa_fp16_overflow 0
		.amdhsa_memory_ordered 1
		.amdhsa_forward_progress 1
		.amdhsa_inst_pref_size 68
		.amdhsa_round_robin_scheduling 0
		.amdhsa_exception_fp_ieee_invalid_op 0
		.amdhsa_exception_fp_denorm_src 0
		.amdhsa_exception_fp_ieee_div_zero 0
		.amdhsa_exception_fp_ieee_overflow 0
		.amdhsa_exception_fp_ieee_underflow 0
		.amdhsa_exception_fp_ieee_inexact 0
		.amdhsa_exception_int_div_zero 0
	.end_amdhsa_kernel
	.section	.text._ZN2at6native12_GLOBAL__N_125multi_tensor_apply_kernelINS1_18TensorListMetadataILi1EEENS1_14UnaryOpFunctorIN3c104HalfELi1ELi1ELi0EEEJNS0_3CosIfEEEEEvT_T0_DpT1_,"axG",@progbits,_ZN2at6native12_GLOBAL__N_125multi_tensor_apply_kernelINS1_18TensorListMetadataILi1EEENS1_14UnaryOpFunctorIN3c104HalfELi1ELi1ELi0EEEJNS0_3CosIfEEEEEvT_T0_DpT1_,comdat
.Lfunc_end223:
	.size	_ZN2at6native12_GLOBAL__N_125multi_tensor_apply_kernelINS1_18TensorListMetadataILi1EEENS1_14UnaryOpFunctorIN3c104HalfELi1ELi1ELi0EEEJNS0_3CosIfEEEEEvT_T0_DpT1_, .Lfunc_end223-_ZN2at6native12_GLOBAL__N_125multi_tensor_apply_kernelINS1_18TensorListMetadataILi1EEENS1_14UnaryOpFunctorIN3c104HalfELi1ELi1ELi0EEEJNS0_3CosIfEEEEEvT_T0_DpT1_
                                        ; -- End function
	.set _ZN2at6native12_GLOBAL__N_125multi_tensor_apply_kernelINS1_18TensorListMetadataILi1EEENS1_14UnaryOpFunctorIN3c104HalfELi1ELi1ELi0EEEJNS0_3CosIfEEEEEvT_T0_DpT1_.num_vgpr, 46
	.set _ZN2at6native12_GLOBAL__N_125multi_tensor_apply_kernelINS1_18TensorListMetadataILi1EEENS1_14UnaryOpFunctorIN3c104HalfELi1ELi1ELi0EEEJNS0_3CosIfEEEEEvT_T0_DpT1_.num_agpr, 0
	.set _ZN2at6native12_GLOBAL__N_125multi_tensor_apply_kernelINS1_18TensorListMetadataILi1EEENS1_14UnaryOpFunctorIN3c104HalfELi1ELi1ELi0EEEJNS0_3CosIfEEEEEvT_T0_DpT1_.numbered_sgpr, 28
	.set _ZN2at6native12_GLOBAL__N_125multi_tensor_apply_kernelINS1_18TensorListMetadataILi1EEENS1_14UnaryOpFunctorIN3c104HalfELi1ELi1ELi0EEEJNS0_3CosIfEEEEEvT_T0_DpT1_.num_named_barrier, 0
	.set _ZN2at6native12_GLOBAL__N_125multi_tensor_apply_kernelINS1_18TensorListMetadataILi1EEENS1_14UnaryOpFunctorIN3c104HalfELi1ELi1ELi0EEEJNS0_3CosIfEEEEEvT_T0_DpT1_.private_seg_size, 0
	.set _ZN2at6native12_GLOBAL__N_125multi_tensor_apply_kernelINS1_18TensorListMetadataILi1EEENS1_14UnaryOpFunctorIN3c104HalfELi1ELi1ELi0EEEJNS0_3CosIfEEEEEvT_T0_DpT1_.uses_vcc, 1
	.set _ZN2at6native12_GLOBAL__N_125multi_tensor_apply_kernelINS1_18TensorListMetadataILi1EEENS1_14UnaryOpFunctorIN3c104HalfELi1ELi1ELi0EEEJNS0_3CosIfEEEEEvT_T0_DpT1_.uses_flat_scratch, 0
	.set _ZN2at6native12_GLOBAL__N_125multi_tensor_apply_kernelINS1_18TensorListMetadataILi1EEENS1_14UnaryOpFunctorIN3c104HalfELi1ELi1ELi0EEEJNS0_3CosIfEEEEEvT_T0_DpT1_.has_dyn_sized_stack, 0
	.set _ZN2at6native12_GLOBAL__N_125multi_tensor_apply_kernelINS1_18TensorListMetadataILi1EEENS1_14UnaryOpFunctorIN3c104HalfELi1ELi1ELi0EEEJNS0_3CosIfEEEEEvT_T0_DpT1_.has_recursion, 0
	.set _ZN2at6native12_GLOBAL__N_125multi_tensor_apply_kernelINS1_18TensorListMetadataILi1EEENS1_14UnaryOpFunctorIN3c104HalfELi1ELi1ELi0EEEJNS0_3CosIfEEEEEvT_T0_DpT1_.has_indirect_call, 0
	.section	.AMDGPU.csdata,"",@progbits
; Kernel info:
; codeLenInByte = 8692
; TotalNumSgprs: 30
; NumVgprs: 46
; ScratchSize: 0
; MemoryBound: 0
; FloatMode: 240
; IeeeMode: 1
; LDSByteSize: 0 bytes/workgroup (compile time only)
; SGPRBlocks: 0
; VGPRBlocks: 2
; NumSGPRsForWavesPerEU: 30
; NumVGPRsForWavesPerEU: 46
; NamedBarCnt: 0
; Occupancy: 16
; WaveLimiterHint : 0
; COMPUTE_PGM_RSRC2:SCRATCH_EN: 0
; COMPUTE_PGM_RSRC2:USER_SGPR: 2
; COMPUTE_PGM_RSRC2:TRAP_HANDLER: 0
; COMPUTE_PGM_RSRC2:TGID_X_EN: 1
; COMPUTE_PGM_RSRC2:TGID_Y_EN: 0
; COMPUTE_PGM_RSRC2:TGID_Z_EN: 0
; COMPUTE_PGM_RSRC2:TIDIG_COMP_CNT: 0
	.section	.text._ZN2at6native12_GLOBAL__N_125multi_tensor_apply_kernelINS1_18TensorListMetadataILi1EEENS1_14UnaryOpFunctorIN3c108BFloat16ELi1ELi1ELi0EEEJNS0_3CosIfEEEEEvT_T0_DpT1_,"axG",@progbits,_ZN2at6native12_GLOBAL__N_125multi_tensor_apply_kernelINS1_18TensorListMetadataILi1EEENS1_14UnaryOpFunctorIN3c108BFloat16ELi1ELi1ELi0EEEJNS0_3CosIfEEEEEvT_T0_DpT1_,comdat
	.globl	_ZN2at6native12_GLOBAL__N_125multi_tensor_apply_kernelINS1_18TensorListMetadataILi1EEENS1_14UnaryOpFunctorIN3c108BFloat16ELi1ELi1ELi0EEEJNS0_3CosIfEEEEEvT_T0_DpT1_ ; -- Begin function _ZN2at6native12_GLOBAL__N_125multi_tensor_apply_kernelINS1_18TensorListMetadataILi1EEENS1_14UnaryOpFunctorIN3c108BFloat16ELi1ELi1ELi0EEEJNS0_3CosIfEEEEEvT_T0_DpT1_
	.p2align	8
	.type	_ZN2at6native12_GLOBAL__N_125multi_tensor_apply_kernelINS1_18TensorListMetadataILi1EEENS1_14UnaryOpFunctorIN3c108BFloat16ELi1ELi1ELi0EEEJNS0_3CosIfEEEEEvT_T0_DpT1_,@function
_ZN2at6native12_GLOBAL__N_125multi_tensor_apply_kernelINS1_18TensorListMetadataILi1EEENS1_14UnaryOpFunctorIN3c108BFloat16ELi1ELi1ELi0EEEJNS0_3CosIfEEEEEvT_T0_DpT1_: ; @_ZN2at6native12_GLOBAL__N_125multi_tensor_apply_kernelINS1_18TensorListMetadataILi1EEENS1_14UnaryOpFunctorIN3c108BFloat16ELi1ELi1ELi0EEEJNS0_3CosIfEEEEEvT_T0_DpT1_
; %bb.0:
	s_bfe_u32 s2, ttmp6, 0x4000c
	s_and_b32 s3, ttmp6, 15
	s_add_co_i32 s2, s2, 1
	s_getreg_b32 s4, hwreg(HW_REG_IB_STS2, 6, 4)
	s_mul_i32 s2, ttmp9, s2
	s_delay_alu instid0(SALU_CYCLE_1)
	s_add_co_i32 s3, s3, s2
	s_cmp_eq_u32 s4, 0
	s_cselect_b32 s2, ttmp9, s3
	s_mov_b32 s3, 0
	s_load_u8 s10, s[0:1], s2 offset:0x6e0
	s_add_nc_u64 s[4:5], s[0:1], s[2:3]
	s_mul_u64 s[6:7], s[2:3], 3
	s_delay_alu instid0(SALU_CYCLE_1)
	s_add_nc_u64 s[4:5], s[4:5], s[6:7]
	s_load_b32 s6, s[4:5], 0x820
	s_wait_kmcnt 0x0
	s_clause 0x1
	s_load_b64 s[8:9], s[0:1], s10 offset:0x0 scale_offset
	s_load_b64 s[12:13], s[0:1], s10 offset:0x370 scale_offset
	s_ashr_i32 s7, s6, 31
	s_wait_kmcnt 0x0
	s_and_b64 s[4:5], s[8:9], 7
	s_and_b32 s2, s12, 3
	s_lshl_b64 s[10:11], s[6:7], 17
	s_or_b64 s[2:3], s[4:5], s[2:3]
	s_lshl_b64 s[4:5], s[6:7], 16
	s_cmp_eq_u64 s[2:3], 0
	s_sub_nc_u64 s[12:13], s[12:13], s[4:5]
	s_cbranch_scc1 .LBB224_37
; %bb.1:
	v_cmp_lt_i64_e64 s2, s[12:13], 1
	s_and_b32 vcc_lo, exec_lo, s2
	s_cbranch_vccnz .LBB224_36
; %bb.2:
	s_load_b32 s2, s[0:1], 0xd3c
	v_min_i64 v[2:3], 0x10000, s[12:13]
	v_min_u64 v[4:5], 0x10000, s[12:13]
	v_dual_mov_b32 v7, 0 :: v_dual_lshlrev_b32 v6, 1, v0
	s_mov_b32 s3, 0
	s_add_nc_u64 s[4:5], s[8:9], s[10:11]
	s_mov_b32 s7, s3
	s_delay_alu instid0(VALU_DEP_1)
	v_mov_b32_e32 v1, v7
	v_add_nc_u64_e32 v[10:11], s[4:5], v[6:7]
	s_mov_b32 s19, s3
	s_mov_b32 s15, s3
	;; [unrolled: 1-line block ×3, first 2 shown]
	s_mov_b64 s[22:23], 0
	s_mov_b32 s24, 0x7fffff
	s_mov_b32 s25, 0xb94c1982
	;; [unrolled: 1-line block ×3, first 2 shown]
	s_wait_kmcnt 0x0
	s_and_b32 s2, s2, 0xffff
	s_delay_alu instid0(SALU_CYCLE_1)
	v_add_nc_u64_e32 v[8:9], s[2:3], v[0:1]
	s_lshl_b32 s6, s2, 1
	s_mul_i32 s18, s2, 3
	s_lshl_b32 s14, s2, 2
	s_lshl_b32 s16, s2, 3
	s_mul_u64 s[20:21], s[2:3], 6
	s_delay_alu instid0(VALU_DEP_1) | instskip(SKIP_3) | instid1(VALU_DEP_3)
	v_lshlrev_b32_e32 v6, 1, v8
	v_add_nc_u64_e32 v[12:13], s[18:19], v[0:1]
	v_add_nc_u64_e32 v[14:15], s[6:7], v[0:1]
	s_mov_b64 s[18:19], 0xfe5163ab
	v_add_nc_u64_e32 v[16:17], s[4:5], v[6:7]
	s_branch .LBB224_4
.LBB224_3:                              ;   in Loop: Header=BB224_4 Depth=1
	s_wait_xcnt 0x0
	s_or_b32 exec_lo, exec_lo, s2
	s_add_nc_u64 s[22:23], s[22:23], s[14:15]
	v_add_nc_u64_e32 v[10:11], s[16:17], v[10:11]
	v_cmp_ge_i64_e32 vcc_lo, s[22:23], v[2:3]
	v_add_nc_u64_e32 v[16:17], s[16:17], v[16:17]
	s_cbranch_vccnz .LBB224_36
.LBB224_4:                              ; =>This Inner Loop Header: Depth=1
	v_add_nc_u64_e32 v[18:19], s[22:23], v[0:1]
	v_mov_b32_e32 v25, 0
	s_delay_alu instid0(VALU_DEP_2)
	v_cmp_lt_u64_e64 s4, v[18:19], v[4:5]
	s_and_saveexec_b32 s2, s4
	s_cbranch_execz .LBB224_6
; %bb.5:                                ;   in Loop: Header=BB224_4 Depth=1
	global_load_u16 v6, v[10:11], off
	s_wait_loadcnt 0x0
	v_lshlrev_b32_e32 v6, 16, v6
	s_delay_alu instid0(VALU_DEP_1)
	v_and_b32_e32 v25, 0x7fffffff, v6
.LBB224_6:                              ;   in Loop: Header=BB224_4 Depth=1
	s_wait_xcnt 0x0
	s_or_b32 exec_lo, exec_lo, s2
	v_add_nc_u64_e32 v[18:19], s[22:23], v[8:9]
	v_dual_mov_b32 v22, 0 :: v_dual_mov_b32 v24, 0
	s_delay_alu instid0(VALU_DEP_2)
	v_cmp_lt_u64_e64 s3, v[18:19], v[4:5]
	s_and_saveexec_b32 s2, s3
	s_cbranch_execz .LBB224_8
; %bb.7:                                ;   in Loop: Header=BB224_4 Depth=1
	global_load_u16 v6, v[16:17], off
	s_wait_loadcnt 0x0
	v_lshlrev_b32_e32 v6, 16, v6
	s_delay_alu instid0(VALU_DEP_1)
	v_and_b32_e32 v24, 0x7fffffff, v6
.LBB224_8:                              ;   in Loop: Header=BB224_4 Depth=1
	s_wait_xcnt 0x0
	s_or_b32 exec_lo, exec_lo, s2
	v_add_nc_u64_e32 v[18:19], s[22:23], v[14:15]
	v_add_nc_u64_e32 v[20:21], s[14:15], v[10:11]
	s_delay_alu instid0(VALU_DEP_2)
	v_cmp_lt_u64_e64 s2, v[18:19], v[4:5]
	s_and_saveexec_b32 s5, s2
	s_cbranch_execz .LBB224_10
; %bb.9:                                ;   in Loop: Header=BB224_4 Depth=1
	global_load_u16 v6, v[20:21], off
	s_wait_loadcnt 0x0
	v_lshlrev_b32_e32 v6, 16, v6
	s_delay_alu instid0(VALU_DEP_1)
	v_and_b32_e32 v22, 0x7fffffff, v6
.LBB224_10:                             ;   in Loop: Header=BB224_4 Depth=1
	s_wait_xcnt 0x0
	s_or_b32 exec_lo, exec_lo, s5
	v_add_nc_u64_e32 v[18:19], s[22:23], v[12:13]
	v_mov_b32_e32 v23, 0
	s_delay_alu instid0(VALU_DEP_2)
	v_cmp_lt_u64_e32 vcc_lo, v[18:19], v[4:5]
	v_add_nc_u64_e32 v[18:19], s[20:21], v[10:11]
	s_and_saveexec_b32 s5, vcc_lo
	s_cbranch_execz .LBB224_12
; %bb.11:                               ;   in Loop: Header=BB224_4 Depth=1
	global_load_u16 v6, v[18:19], off
	s_wait_loadcnt 0x0
	v_lshlrev_b32_e32 v6, 16, v6
	s_delay_alu instid0(VALU_DEP_1)
	v_and_b32_e32 v23, 0x7fffffff, v6
.LBB224_12:                             ;   in Loop: Header=BB224_4 Depth=1
	s_wait_xcnt 0x0
	s_or_b32 exec_lo, exec_lo, s5
                                        ; implicit-def: $vgpr27
                                        ; implicit-def: $vgpr26
	s_delay_alu instid0(SALU_CYCLE_1)
	s_mov_b32 s6, exec_lo
	v_cmpx_ngt_f32_e32 0x48000000, v25
	s_xor_b32 s27, exec_lo, s6
	s_cbranch_execz .LBB224_14
; %bb.13:                               ;   in Loop: Header=BB224_4 Depth=1
	v_and_or_b32 v6, v25, s24, 0x800000
	v_dual_mov_b32 v37, v7 :: v_dual_mov_b32 v39, v7
	s_delay_alu instid0(VALU_DEP_2) | instskip(NEXT) | instid1(VALU_DEP_1)
	v_mul_u64_e32 v[26:27], s[18:19], v[6:7]
	v_dual_mov_b32 v29, v7 :: v_dual_mov_b32 v28, v27
	v_lshrrev_b32_e32 v27, 23, v25
	s_delay_alu instid0(VALU_DEP_2) | instskip(SKIP_1) | instid1(VALU_DEP_3)
	v_mad_nc_u64_u32 v[28:29], 0x3c439041, v6, v[28:29]
	v_mov_b32_e32 v31, v7
	v_add_nc_u32_e32 v27, 0xffffff88, v27
	s_delay_alu instid0(VALU_DEP_1) | instskip(NEXT) | instid1(VALU_DEP_4)
	v_cmp_lt_u32_e64 s5, 63, v27
	v_mov_b32_e32 v30, v29
	s_delay_alu instid0(VALU_DEP_2) | instskip(NEXT) | instid1(VALU_DEP_2)
	v_cndmask_b32_e64 v29, 0, 0xffffffc0, s5
	v_mad_nc_u64_u32 v[30:31], 0xdb629599, v6, v[30:31]
	s_delay_alu instid0(VALU_DEP_2) | instskip(NEXT) | instid1(VALU_DEP_1)
	v_dual_mov_b32 v33, v7 :: v_dual_add_nc_u32 v27, v29, v27
	v_cmp_lt_u32_e64 s6, 31, v27
	s_delay_alu instid0(VALU_DEP_3) | instskip(NEXT) | instid1(VALU_DEP_2)
	v_mov_b32_e32 v32, v31
	v_cndmask_b32_e64 v29, 0, 0xffffffe0, s6
	v_cndmask_b32_e64 v26, v30, v26, s5
	s_delay_alu instid0(VALU_DEP_3) | instskip(NEXT) | instid1(VALU_DEP_1)
	v_mad_nc_u64_u32 v[32:33], 0xf534ddc0, v6, v[32:33]
	v_dual_mov_b32 v35, v7 :: v_dual_mov_b32 v34, v33
	s_delay_alu instid0(VALU_DEP_1) | instskip(NEXT) | instid1(VALU_DEP_1)
	v_mad_nc_u64_u32 v[34:35], 0xfc2757d1, v6, v[34:35]
	v_mov_b32_e32 v36, v35
	s_delay_alu instid0(VALU_DEP_1) | instskip(NEXT) | instid1(VALU_DEP_1)
	v_mad_nc_u64_u32 v[36:37], 0x4e441529, v6, v[36:37]
	v_mov_b32_e32 v38, v37
	s_delay_alu instid0(VALU_DEP_1) | instskip(NEXT) | instid1(VALU_DEP_3)
	v_mad_nc_u64_u32 v[38:39], 0xa2f9836e, v6, v[38:39]
	v_dual_add_nc_u32 v6, v29, v27 :: v_dual_cndmask_b32 v29, v36, v32, s5
	s_delay_alu instid0(VALU_DEP_2) | instskip(NEXT) | instid1(VALU_DEP_2)
	v_cndmask_b32_e64 v31, v38, v34, s5
	v_cmp_lt_u32_e64 s7, 31, v6
	s_delay_alu instid0(VALU_DEP_4) | instskip(NEXT) | instid1(VALU_DEP_2)
	v_dual_cndmask_b32 v33, v39, v36, s5 :: v_dual_cndmask_b32 v34, v34, v30, s5
	v_cndmask_b32_e64 v27, 0, 0xffffffe0, s7
	s_delay_alu instid0(VALU_DEP_1) | instskip(NEXT) | instid1(VALU_DEP_3)
	v_dual_add_nc_u32 v6, v27, v6 :: v_dual_cndmask_b32 v27, v32, v28, s5
	v_dual_cndmask_b32 v28, v31, v29, s6 :: v_dual_cndmask_b32 v31, v33, v31, s6
	s_delay_alu instid0(VALU_DEP_4) | instskip(NEXT) | instid1(VALU_DEP_3)
	v_cndmask_b32_e64 v29, v29, v34, s6
	v_dual_sub_nc_u32 v32, 32, v6 :: v_dual_cndmask_b32 v33, v34, v27, s6
	v_cmp_eq_u32_e64 s5, 0, v6
	s_delay_alu instid0(VALU_DEP_3) | instskip(NEXT) | instid1(VALU_DEP_1)
	v_dual_cndmask_b32 v31, v31, v28, s7 :: v_dual_cndmask_b32 v28, v28, v29, s7
	v_alignbit_b32 v34, v31, v28, v32
	s_delay_alu instid0(VALU_DEP_1) | instskip(NEXT) | instid1(VALU_DEP_1)
	v_dual_cndmask_b32 v29, v29, v33, s7 :: v_dual_cndmask_b32 v6, v34, v31, s5
	v_alignbit_b32 v30, v28, v29, v32
	s_delay_alu instid0(VALU_DEP_1) | instskip(NEXT) | instid1(VALU_DEP_3)
	v_dual_cndmask_b32 v26, v27, v26, s6 :: v_dual_cndmask_b32 v27, v30, v28, s5
	v_bfe_u32 v28, v6, 29, 1
	s_delay_alu instid0(VALU_DEP_2) | instskip(NEXT) | instid1(VALU_DEP_3)
	v_cndmask_b32_e64 v26, v33, v26, s7
	v_alignbit_b32 v30, v6, v27, 30
	s_delay_alu instid0(VALU_DEP_3) | instskip(NEXT) | instid1(VALU_DEP_3)
	v_sub_nc_u32_e32 v31, 0, v28
	v_alignbit_b32 v32, v29, v26, v32
	s_delay_alu instid0(VALU_DEP_1) | instskip(NEXT) | instid1(VALU_DEP_1)
	v_dual_cndmask_b32 v29, v32, v29, s5 :: v_dual_bitop2_b32 v30, v30, v31 bitop3:0x14
	v_clz_i32_u32_e32 v32, v30
	s_delay_alu instid0(VALU_DEP_2) | instskip(SKIP_1) | instid1(VALU_DEP_3)
	v_alignbit_b32 v27, v27, v29, 30
	v_alignbit_b32 v26, v29, v26, 30
	v_min_u32_e32 v32, 32, v32
	s_delay_alu instid0(VALU_DEP_3) | instskip(NEXT) | instid1(VALU_DEP_3)
	v_xor_b32_e32 v27, v27, v31
	v_dual_lshrrev_b32 v31, 29, v6 :: v_dual_bitop2_b32 v26, v26, v31 bitop3:0x14
	s_delay_alu instid0(VALU_DEP_3) | instskip(NEXT) | instid1(VALU_DEP_1)
	v_dual_sub_nc_u32 v29, 31, v32 :: v_dual_lshlrev_b32 v33, 23, v32
	v_alignbit_b32 v30, v30, v27, v29
	s_delay_alu instid0(VALU_DEP_3) | instskip(NEXT) | instid1(VALU_DEP_4)
	v_alignbit_b32 v26, v27, v26, v29
	v_lshlrev_b32_e32 v27, 31, v31
	s_delay_alu instid0(VALU_DEP_2) | instskip(NEXT) | instid1(VALU_DEP_2)
	v_alignbit_b32 v29, v30, v26, 9
	v_dual_lshrrev_b32 v30, 9, v30 :: v_dual_bitop2_b32 v31, 0.5, v27 bitop3:0x54
	v_or_b32_e32 v27, 0x33000000, v27
	s_delay_alu instid0(VALU_DEP_3) | instskip(NEXT) | instid1(VALU_DEP_3)
	v_clz_i32_u32_e32 v34, v29
	v_sub_nc_u32_e32 v31, v31, v33
	s_delay_alu instid0(VALU_DEP_2) | instskip(NEXT) | instid1(VALU_DEP_1)
	v_min_u32_e32 v33, 32, v34
	v_add_lshl_u32 v32, v33, v32, 23
	s_delay_alu instid0(VALU_DEP_3) | instskip(SKIP_1) | instid1(VALU_DEP_2)
	v_or_b32_e32 v30, v30, v31
	v_not_b32_e32 v31, v33
	v_dual_mul_f32 v34, 0x3fc90fda, v30 :: v_dual_sub_nc_u32 v27, v27, v32
	s_delay_alu instid0(VALU_DEP_2) | instskip(NEXT) | instid1(VALU_DEP_2)
	v_alignbit_b32 v26, v29, v26, v31
	v_fma_f32 v29, 0x3fc90fda, v30, -v34
	s_delay_alu instid0(VALU_DEP_2) | instskip(NEXT) | instid1(VALU_DEP_2)
	v_lshrrev_b32_e32 v26, 9, v26
	v_fmac_f32_e32 v29, 0x33a22168, v30
	s_delay_alu instid0(VALU_DEP_2) | instskip(NEXT) | instid1(VALU_DEP_1)
	v_or_b32_e32 v26, v27, v26
	v_fmac_f32_e32 v29, 0x3fc90fda, v26
	s_delay_alu instid0(VALU_DEP_1) | instskip(NEXT) | instid1(VALU_DEP_1)
	v_dual_lshrrev_b32 v6, 30, v6 :: v_dual_add_f32 v26, v34, v29
	v_add_nc_u32_e32 v27, v28, v6
.LBB224_14:                             ;   in Loop: Header=BB224_4 Depth=1
	s_and_not1_saveexec_b32 s5, s27
; %bb.15:                               ;   in Loop: Header=BB224_4 Depth=1
	v_mul_f32_e32 v6, 0x3f22f983, v25
	s_delay_alu instid0(VALU_DEP_1) | instskip(NEXT) | instid1(VALU_DEP_1)
	v_rndne_f32_e32 v6, v6
	v_fmamk_f32 v26, v6, 0xbfc90fda, v25
	v_cvt_i32_f32_e32 v27, v6
	s_delay_alu instid0(VALU_DEP_2) | instskip(NEXT) | instid1(VALU_DEP_1)
	v_fmac_f32_e32 v26, 0xb3a22168, v6
	v_fmac_f32_e32 v26, 0xa7c234c4, v6
; %bb.16:                               ;   in Loop: Header=BB224_4 Depth=1
	s_or_b32 exec_lo, exec_lo, s5
                                        ; implicit-def: $vgpr29
                                        ; implicit-def: $vgpr28
	s_delay_alu instid0(SALU_CYCLE_1)
	s_mov_b32 s6, exec_lo
	v_cmpx_ngt_f32_e32 0x48000000, v24
	s_xor_b32 s27, exec_lo, s6
	s_cbranch_execz .LBB224_18
; %bb.17:                               ;   in Loop: Header=BB224_4 Depth=1
	v_and_or_b32 v6, v24, s24, 0x800000
	v_mov_b32_e32 v39, v7
	s_delay_alu instid0(VALU_DEP_2) | instskip(NEXT) | instid1(VALU_DEP_1)
	v_mul_u64_e32 v[28:29], s[18:19], v[6:7]
	v_dual_mov_b32 v31, v7 :: v_dual_mov_b32 v30, v29
	v_lshrrev_b32_e32 v29, 23, v24
	s_delay_alu instid0(VALU_DEP_2) | instskip(SKIP_1) | instid1(VALU_DEP_3)
	v_mad_nc_u64_u32 v[30:31], 0x3c439041, v6, v[30:31]
	v_mov_b32_e32 v33, v7
	v_add_nc_u32_e32 v29, 0xffffff88, v29
	s_delay_alu instid0(VALU_DEP_1) | instskip(NEXT) | instid1(VALU_DEP_4)
	v_cmp_lt_u32_e64 s5, 63, v29
	v_mov_b32_e32 v32, v31
	s_delay_alu instid0(VALU_DEP_2) | instskip(NEXT) | instid1(VALU_DEP_2)
	v_cndmask_b32_e64 v31, 0, 0xffffffc0, s5
	v_mad_nc_u64_u32 v[32:33], 0xdb629599, v6, v[32:33]
	s_delay_alu instid0(VALU_DEP_1) | instskip(NEXT) | instid1(VALU_DEP_2)
	v_dual_mov_b32 v35, v7 :: v_dual_mov_b32 v34, v33
	v_cndmask_b32_e64 v28, v32, v28, s5
	s_delay_alu instid0(VALU_DEP_2) | instskip(NEXT) | instid1(VALU_DEP_1)
	v_mad_nc_u64_u32 v[34:35], 0xf534ddc0, v6, v[34:35]
	v_dual_mov_b32 v37, v7 :: v_dual_mov_b32 v36, v35
	s_delay_alu instid0(VALU_DEP_1) | instskip(NEXT) | instid1(VALU_DEP_1)
	v_mad_nc_u64_u32 v[36:37], 0xfc2757d1, v6, v[36:37]
	v_mov_b32_e32 v38, v37
	s_delay_alu instid0(VALU_DEP_1) | instskip(SKIP_2) | instid1(VALU_DEP_2)
	v_mad_nc_u64_u32 v[38:39], 0x4e441529, v6, v[38:39]
	v_add_nc_u32_e32 v29, v31, v29
	v_mov_b32_e32 v41, v7
	v_cmp_lt_u32_e64 s6, 31, v29
	s_delay_alu instid0(VALU_DEP_4) | instskip(NEXT) | instid1(VALU_DEP_2)
	v_mov_b32_e32 v40, v39
	v_cndmask_b32_e64 v31, 0, 0xffffffe0, s6
	s_delay_alu instid0(VALU_DEP_2) | instskip(NEXT) | instid1(VALU_DEP_2)
	v_mad_nc_u64_u32 v[40:41], 0xa2f9836e, v6, v[40:41]
	v_dual_add_nc_u32 v6, v31, v29 :: v_dual_cndmask_b32 v31, v38, v34, s5
	s_delay_alu instid0(VALU_DEP_2) | instskip(NEXT) | instid1(VALU_DEP_2)
	v_cndmask_b32_e64 v33, v40, v36, s5
	v_cmp_lt_u32_e64 s7, 31, v6
	s_delay_alu instid0(VALU_DEP_4) | instskip(NEXT) | instid1(VALU_DEP_2)
	v_dual_cndmask_b32 v35, v41, v38, s5 :: v_dual_cndmask_b32 v36, v36, v32, s5
	v_cndmask_b32_e64 v29, 0, 0xffffffe0, s7
	s_delay_alu instid0(VALU_DEP_1) | instskip(SKIP_1) | instid1(VALU_DEP_4)
	v_add_nc_u32_e32 v6, v29, v6
	v_dual_cndmask_b32 v29, v34, v30, s5 :: v_dual_cndmask_b32 v30, v33, v31, s6
	v_cndmask_b32_e64 v33, v35, v33, s6
	s_delay_alu instid0(VALU_DEP_3) | instskip(NEXT) | instid1(VALU_DEP_3)
	v_dual_cndmask_b32 v31, v31, v36, s6 :: v_dual_sub_nc_u32 v34, 32, v6
	v_cndmask_b32_e64 v35, v36, v29, s6
	v_cmp_eq_u32_e64 s5, 0, v6
	s_delay_alu instid0(VALU_DEP_3) | instskip(NEXT) | instid1(VALU_DEP_1)
	v_dual_cndmask_b32 v33, v33, v30, s7 :: v_dual_cndmask_b32 v30, v30, v31, s7
	v_alignbit_b32 v36, v33, v30, v34
	s_delay_alu instid0(VALU_DEP_1) | instskip(NEXT) | instid1(VALU_DEP_1)
	v_dual_cndmask_b32 v31, v31, v35, s7 :: v_dual_cndmask_b32 v6, v36, v33, s5
	v_alignbit_b32 v32, v30, v31, v34
	s_delay_alu instid0(VALU_DEP_1) | instskip(NEXT) | instid1(VALU_DEP_3)
	v_dual_cndmask_b32 v28, v29, v28, s6 :: v_dual_cndmask_b32 v29, v32, v30, s5
	v_bfe_u32 v30, v6, 29, 1
	s_delay_alu instid0(VALU_DEP_2) | instskip(NEXT) | instid1(VALU_DEP_3)
	v_cndmask_b32_e64 v28, v35, v28, s7
	v_alignbit_b32 v32, v6, v29, 30
	s_delay_alu instid0(VALU_DEP_3) | instskip(NEXT) | instid1(VALU_DEP_3)
	v_sub_nc_u32_e32 v33, 0, v30
	v_alignbit_b32 v34, v31, v28, v34
	s_delay_alu instid0(VALU_DEP_1) | instskip(NEXT) | instid1(VALU_DEP_1)
	v_dual_cndmask_b32 v31, v34, v31, s5 :: v_dual_bitop2_b32 v32, v32, v33 bitop3:0x14
	v_clz_i32_u32_e32 v34, v32
	s_delay_alu instid0(VALU_DEP_2) | instskip(SKIP_1) | instid1(VALU_DEP_3)
	v_alignbit_b32 v29, v29, v31, 30
	v_alignbit_b32 v28, v31, v28, 30
	v_min_u32_e32 v34, 32, v34
	s_delay_alu instid0(VALU_DEP_3) | instskip(NEXT) | instid1(VALU_DEP_3)
	v_xor_b32_e32 v29, v29, v33
	v_dual_lshrrev_b32 v33, 29, v6 :: v_dual_bitop2_b32 v28, v28, v33 bitop3:0x14
	v_lshrrev_b32_e32 v6, 30, v6
	s_delay_alu instid0(VALU_DEP_4) | instskip(NEXT) | instid1(VALU_DEP_1)
	v_dual_sub_nc_u32 v31, 31, v34 :: v_dual_lshlrev_b32 v35, 23, v34
	v_alignbit_b32 v32, v32, v29, v31
	s_delay_alu instid0(VALU_DEP_4) | instskip(SKIP_1) | instid1(VALU_DEP_2)
	v_alignbit_b32 v28, v29, v28, v31
	v_lshlrev_b32_e32 v29, 31, v33
	v_alignbit_b32 v31, v32, v28, 9
	s_delay_alu instid0(VALU_DEP_2) | instskip(SKIP_1) | instid1(VALU_DEP_3)
	v_dual_lshrrev_b32 v32, 9, v32 :: v_dual_bitop2_b32 v33, 0.5, v29 bitop3:0x54
	v_or_b32_e32 v29, 0x33000000, v29
	v_clz_i32_u32_e32 v36, v31
	s_delay_alu instid0(VALU_DEP_3) | instskip(NEXT) | instid1(VALU_DEP_2)
	v_sub_nc_u32_e32 v33, v33, v35
	v_min_u32_e32 v35, 32, v36
	s_delay_alu instid0(VALU_DEP_1) | instskip(NEXT) | instid1(VALU_DEP_3)
	v_add_lshl_u32 v34, v35, v34, 23
	v_or_b32_e32 v32, v32, v33
	v_not_b32_e32 v33, v35
	s_delay_alu instid0(VALU_DEP_2) | instskip(NEXT) | instid1(VALU_DEP_2)
	v_dual_mul_f32 v36, 0x3fc90fda, v32 :: v_dual_sub_nc_u32 v29, v29, v34
	v_alignbit_b32 v28, v31, v28, v33
	s_delay_alu instid0(VALU_DEP_2) | instskip(NEXT) | instid1(VALU_DEP_2)
	v_fma_f32 v31, 0x3fc90fda, v32, -v36
	v_lshrrev_b32_e32 v28, 9, v28
	s_delay_alu instid0(VALU_DEP_2) | instskip(NEXT) | instid1(VALU_DEP_2)
	v_fmac_f32_e32 v31, 0x33a22168, v32
	v_dual_add_nc_u32 v29, v30, v6 :: v_dual_bitop2_b32 v28, v29, v28 bitop3:0x54
	s_delay_alu instid0(VALU_DEP_1) | instskip(NEXT) | instid1(VALU_DEP_1)
	v_fmac_f32_e32 v31, 0x3fc90fda, v28
	v_add_f32_e32 v28, v36, v31
.LBB224_18:                             ;   in Loop: Header=BB224_4 Depth=1
	s_and_not1_saveexec_b32 s5, s27
; %bb.19:                               ;   in Loop: Header=BB224_4 Depth=1
	v_mul_f32_e32 v6, 0x3f22f983, v24
	s_delay_alu instid0(VALU_DEP_1) | instskip(NEXT) | instid1(VALU_DEP_1)
	v_rndne_f32_e32 v6, v6
	v_fmamk_f32 v28, v6, 0xbfc90fda, v24
	v_cvt_i32_f32_e32 v29, v6
	s_delay_alu instid0(VALU_DEP_2) | instskip(NEXT) | instid1(VALU_DEP_1)
	v_fmac_f32_e32 v28, 0xb3a22168, v6
	v_fmac_f32_e32 v28, 0xa7c234c4, v6
; %bb.20:                               ;   in Loop: Header=BB224_4 Depth=1
	s_or_b32 exec_lo, exec_lo, s5
                                        ; implicit-def: $vgpr31
                                        ; implicit-def: $vgpr30
	s_delay_alu instid0(SALU_CYCLE_1)
	s_mov_b32 s6, exec_lo
	v_cmpx_ngt_f32_e32 0x48000000, v22
	s_xor_b32 s27, exec_lo, s6
	s_cbranch_execz .LBB224_22
; %bb.21:                               ;   in Loop: Header=BB224_4 Depth=1
	v_and_or_b32 v6, v22, s24, 0x800000
	v_dual_mov_b32 v41, v7 :: v_dual_mov_b32 v43, v7
	s_delay_alu instid0(VALU_DEP_2) | instskip(NEXT) | instid1(VALU_DEP_1)
	v_mul_u64_e32 v[30:31], s[18:19], v[6:7]
	v_dual_mov_b32 v33, v7 :: v_dual_mov_b32 v32, v31
	v_lshrrev_b32_e32 v31, 23, v22
	s_delay_alu instid0(VALU_DEP_2) | instskip(SKIP_1) | instid1(VALU_DEP_3)
	v_mad_nc_u64_u32 v[32:33], 0x3c439041, v6, v[32:33]
	v_mov_b32_e32 v35, v7
	v_add_nc_u32_e32 v31, 0xffffff88, v31
	s_delay_alu instid0(VALU_DEP_1) | instskip(NEXT) | instid1(VALU_DEP_4)
	v_cmp_lt_u32_e64 s5, 63, v31
	v_mov_b32_e32 v34, v33
	s_delay_alu instid0(VALU_DEP_2) | instskip(NEXT) | instid1(VALU_DEP_2)
	v_cndmask_b32_e64 v33, 0, 0xffffffc0, s5
	v_mad_nc_u64_u32 v[34:35], 0xdb629599, v6, v[34:35]
	s_delay_alu instid0(VALU_DEP_2) | instskip(NEXT) | instid1(VALU_DEP_1)
	v_dual_mov_b32 v37, v7 :: v_dual_add_nc_u32 v31, v33, v31
	v_cmp_lt_u32_e64 s6, 31, v31
	s_delay_alu instid0(VALU_DEP_3) | instskip(NEXT) | instid1(VALU_DEP_2)
	v_mov_b32_e32 v36, v35
	v_cndmask_b32_e64 v33, 0, 0xffffffe0, s6
	v_cndmask_b32_e64 v30, v34, v30, s5
	s_delay_alu instid0(VALU_DEP_3) | instskip(NEXT) | instid1(VALU_DEP_1)
	v_mad_nc_u64_u32 v[36:37], 0xf534ddc0, v6, v[36:37]
	v_dual_mov_b32 v39, v7 :: v_dual_mov_b32 v38, v37
	s_delay_alu instid0(VALU_DEP_1) | instskip(NEXT) | instid1(VALU_DEP_1)
	v_mad_nc_u64_u32 v[38:39], 0xfc2757d1, v6, v[38:39]
	v_mov_b32_e32 v40, v39
	s_delay_alu instid0(VALU_DEP_1) | instskip(NEXT) | instid1(VALU_DEP_1)
	v_mad_nc_u64_u32 v[40:41], 0x4e441529, v6, v[40:41]
	v_mov_b32_e32 v42, v41
	s_delay_alu instid0(VALU_DEP_1) | instskip(NEXT) | instid1(VALU_DEP_3)
	v_mad_nc_u64_u32 v[42:43], 0xa2f9836e, v6, v[42:43]
	v_dual_add_nc_u32 v6, v33, v31 :: v_dual_cndmask_b32 v33, v40, v36, s5
	s_delay_alu instid0(VALU_DEP_2) | instskip(NEXT) | instid1(VALU_DEP_2)
	v_cndmask_b32_e64 v35, v42, v38, s5
	v_cmp_lt_u32_e64 s7, 31, v6
	s_delay_alu instid0(VALU_DEP_4) | instskip(NEXT) | instid1(VALU_DEP_2)
	v_dual_cndmask_b32 v37, v43, v40, s5 :: v_dual_cndmask_b32 v38, v38, v34, s5
	v_cndmask_b32_e64 v31, 0, 0xffffffe0, s7
	s_delay_alu instid0(VALU_DEP_1) | instskip(NEXT) | instid1(VALU_DEP_3)
	v_dual_add_nc_u32 v6, v31, v6 :: v_dual_cndmask_b32 v31, v36, v32, s5
	v_dual_cndmask_b32 v32, v35, v33, s6 :: v_dual_cndmask_b32 v35, v37, v35, s6
	s_delay_alu instid0(VALU_DEP_4) | instskip(NEXT) | instid1(VALU_DEP_3)
	v_cndmask_b32_e64 v33, v33, v38, s6
	v_dual_sub_nc_u32 v36, 32, v6 :: v_dual_cndmask_b32 v37, v38, v31, s6
	v_cmp_eq_u32_e64 s5, 0, v6
	s_delay_alu instid0(VALU_DEP_3) | instskip(NEXT) | instid1(VALU_DEP_1)
	v_dual_cndmask_b32 v35, v35, v32, s7 :: v_dual_cndmask_b32 v32, v32, v33, s7
	v_alignbit_b32 v38, v35, v32, v36
	s_delay_alu instid0(VALU_DEP_1) | instskip(NEXT) | instid1(VALU_DEP_1)
	v_dual_cndmask_b32 v33, v33, v37, s7 :: v_dual_cndmask_b32 v6, v38, v35, s5
	v_alignbit_b32 v34, v32, v33, v36
	s_delay_alu instid0(VALU_DEP_1) | instskip(NEXT) | instid1(VALU_DEP_3)
	v_dual_cndmask_b32 v30, v31, v30, s6 :: v_dual_cndmask_b32 v31, v34, v32, s5
	v_bfe_u32 v32, v6, 29, 1
	s_delay_alu instid0(VALU_DEP_2) | instskip(NEXT) | instid1(VALU_DEP_3)
	v_cndmask_b32_e64 v30, v37, v30, s7
	v_alignbit_b32 v34, v6, v31, 30
	s_delay_alu instid0(VALU_DEP_3) | instskip(NEXT) | instid1(VALU_DEP_3)
	v_sub_nc_u32_e32 v35, 0, v32
	v_alignbit_b32 v36, v33, v30, v36
	s_delay_alu instid0(VALU_DEP_1) | instskip(NEXT) | instid1(VALU_DEP_1)
	v_dual_cndmask_b32 v33, v36, v33, s5 :: v_dual_bitop2_b32 v34, v34, v35 bitop3:0x14
	v_clz_i32_u32_e32 v36, v34
	s_delay_alu instid0(VALU_DEP_2) | instskip(SKIP_1) | instid1(VALU_DEP_3)
	v_alignbit_b32 v31, v31, v33, 30
	v_alignbit_b32 v30, v33, v30, 30
	v_min_u32_e32 v36, 32, v36
	s_delay_alu instid0(VALU_DEP_3) | instskip(NEXT) | instid1(VALU_DEP_3)
	v_xor_b32_e32 v31, v31, v35
	v_dual_lshrrev_b32 v35, 29, v6 :: v_dual_bitop2_b32 v30, v30, v35 bitop3:0x14
	s_delay_alu instid0(VALU_DEP_3) | instskip(NEXT) | instid1(VALU_DEP_1)
	v_dual_sub_nc_u32 v33, 31, v36 :: v_dual_lshlrev_b32 v37, 23, v36
	v_alignbit_b32 v34, v34, v31, v33
	s_delay_alu instid0(VALU_DEP_3) | instskip(NEXT) | instid1(VALU_DEP_4)
	v_alignbit_b32 v30, v31, v30, v33
	v_lshlrev_b32_e32 v31, 31, v35
	s_delay_alu instid0(VALU_DEP_2) | instskip(NEXT) | instid1(VALU_DEP_2)
	v_alignbit_b32 v33, v34, v30, 9
	v_dual_lshrrev_b32 v34, 9, v34 :: v_dual_bitop2_b32 v35, 0.5, v31 bitop3:0x54
	v_or_b32_e32 v31, 0x33000000, v31
	s_delay_alu instid0(VALU_DEP_3) | instskip(NEXT) | instid1(VALU_DEP_3)
	v_clz_i32_u32_e32 v38, v33
	v_sub_nc_u32_e32 v35, v35, v37
	s_delay_alu instid0(VALU_DEP_2) | instskip(NEXT) | instid1(VALU_DEP_1)
	v_min_u32_e32 v37, 32, v38
	v_add_lshl_u32 v36, v37, v36, 23
	s_delay_alu instid0(VALU_DEP_3) | instskip(SKIP_1) | instid1(VALU_DEP_2)
	v_or_b32_e32 v34, v34, v35
	v_not_b32_e32 v35, v37
	v_dual_mul_f32 v38, 0x3fc90fda, v34 :: v_dual_sub_nc_u32 v31, v31, v36
	s_delay_alu instid0(VALU_DEP_2) | instskip(NEXT) | instid1(VALU_DEP_2)
	v_alignbit_b32 v30, v33, v30, v35
	v_fma_f32 v33, 0x3fc90fda, v34, -v38
	s_delay_alu instid0(VALU_DEP_2) | instskip(NEXT) | instid1(VALU_DEP_2)
	v_lshrrev_b32_e32 v30, 9, v30
	v_fmac_f32_e32 v33, 0x33a22168, v34
	s_delay_alu instid0(VALU_DEP_2) | instskip(NEXT) | instid1(VALU_DEP_1)
	v_or_b32_e32 v30, v31, v30
	v_fmac_f32_e32 v33, 0x3fc90fda, v30
	s_delay_alu instid0(VALU_DEP_1) | instskip(NEXT) | instid1(VALU_DEP_1)
	v_dual_lshrrev_b32 v6, 30, v6 :: v_dual_add_f32 v30, v38, v33
	v_add_nc_u32_e32 v31, v32, v6
.LBB224_22:                             ;   in Loop: Header=BB224_4 Depth=1
	s_and_not1_saveexec_b32 s5, s27
; %bb.23:                               ;   in Loop: Header=BB224_4 Depth=1
	v_mul_f32_e32 v6, 0x3f22f983, v22
	s_delay_alu instid0(VALU_DEP_1) | instskip(NEXT) | instid1(VALU_DEP_1)
	v_rndne_f32_e32 v6, v6
	v_fmamk_f32 v30, v6, 0xbfc90fda, v22
	v_cvt_i32_f32_e32 v31, v6
	s_delay_alu instid0(VALU_DEP_2) | instskip(NEXT) | instid1(VALU_DEP_1)
	v_fmac_f32_e32 v30, 0xb3a22168, v6
	v_fmac_f32_e32 v30, 0xa7c234c4, v6
; %bb.24:                               ;   in Loop: Header=BB224_4 Depth=1
	s_or_b32 exec_lo, exec_lo, s5
                                        ; implicit-def: $vgpr32
                                        ; implicit-def: $vgpr6
	s_delay_alu instid0(SALU_CYCLE_1)
	s_mov_b32 s6, exec_lo
	v_cmpx_ngt_f32_e32 0x48000000, v23
	s_xor_b32 s27, exec_lo, s6
	s_cbranch_execnz .LBB224_30
; %bb.25:                               ;   in Loop: Header=BB224_4 Depth=1
	s_and_not1_saveexec_b32 s5, s27
	s_cbranch_execnz .LBB224_31
.LBB224_26:                             ;   in Loop: Header=BB224_4 Depth=1
	s_or_b32 exec_lo, exec_lo, s5
	s_and_saveexec_b32 s5, s4
	s_delay_alu instid0(SALU_CYCLE_1)
	s_xor_b32 s5, exec_lo, s5
	s_cbranch_execnz .LBB224_32
.LBB224_27:                             ;   in Loop: Header=BB224_4 Depth=1
	s_or_b32 exec_lo, exec_lo, s5
	s_and_saveexec_b32 s4, s3
	s_cbranch_execnz .LBB224_33
.LBB224_28:                             ;   in Loop: Header=BB224_4 Depth=1
	s_or_b32 exec_lo, exec_lo, s4
	s_and_saveexec_b32 s3, s2
	s_cbranch_execnz .LBB224_34
.LBB224_29:                             ;   in Loop: Header=BB224_4 Depth=1
	s_or_b32 exec_lo, exec_lo, s3
	s_and_saveexec_b32 s2, vcc_lo
	s_cbranch_execz .LBB224_3
	s_branch .LBB224_35
.LBB224_30:                             ;   in Loop: Header=BB224_4 Depth=1
	v_and_or_b32 v6, v23, s24, 0x800000
	v_mov_b32_e32 v43, v7
	s_delay_alu instid0(VALU_DEP_2) | instskip(NEXT) | instid1(VALU_DEP_1)
	v_mul_u64_e32 v[32:33], s[18:19], v[6:7]
	v_dual_mov_b32 v35, v7 :: v_dual_mov_b32 v34, v33
	v_lshrrev_b32_e32 v33, 23, v23
	s_delay_alu instid0(VALU_DEP_2) | instskip(SKIP_1) | instid1(VALU_DEP_3)
	v_mad_nc_u64_u32 v[34:35], 0x3c439041, v6, v[34:35]
	v_mov_b32_e32 v37, v7
	v_add_nc_u32_e32 v33, 0xffffff88, v33
	s_delay_alu instid0(VALU_DEP_1) | instskip(NEXT) | instid1(VALU_DEP_4)
	v_cmp_lt_u32_e64 s5, 63, v33
	v_mov_b32_e32 v36, v35
	s_delay_alu instid0(VALU_DEP_2) | instskip(NEXT) | instid1(VALU_DEP_2)
	v_cndmask_b32_e64 v35, 0, 0xffffffc0, s5
	v_mad_nc_u64_u32 v[36:37], 0xdb629599, v6, v[36:37]
	s_delay_alu instid0(VALU_DEP_1) | instskip(NEXT) | instid1(VALU_DEP_2)
	v_dual_mov_b32 v39, v7 :: v_dual_mov_b32 v38, v37
	v_cndmask_b32_e64 v32, v36, v32, s5
	s_delay_alu instid0(VALU_DEP_2) | instskip(NEXT) | instid1(VALU_DEP_1)
	v_mad_nc_u64_u32 v[38:39], 0xf534ddc0, v6, v[38:39]
	v_dual_mov_b32 v41, v7 :: v_dual_mov_b32 v40, v39
	s_delay_alu instid0(VALU_DEP_1) | instskip(NEXT) | instid1(VALU_DEP_1)
	v_mad_nc_u64_u32 v[40:41], 0xfc2757d1, v6, v[40:41]
	v_mov_b32_e32 v42, v41
	s_delay_alu instid0(VALU_DEP_1) | instskip(SKIP_2) | instid1(VALU_DEP_2)
	v_mad_nc_u64_u32 v[42:43], 0x4e441529, v6, v[42:43]
	v_add_nc_u32_e32 v33, v35, v33
	v_mov_b32_e32 v45, v7
	v_cmp_lt_u32_e64 s6, 31, v33
	s_delay_alu instid0(VALU_DEP_4) | instskip(NEXT) | instid1(VALU_DEP_2)
	v_mov_b32_e32 v44, v43
	v_cndmask_b32_e64 v35, 0, 0xffffffe0, s6
	s_delay_alu instid0(VALU_DEP_2) | instskip(NEXT) | instid1(VALU_DEP_2)
	v_mad_nc_u64_u32 v[44:45], 0xa2f9836e, v6, v[44:45]
	v_dual_add_nc_u32 v6, v35, v33 :: v_dual_cndmask_b32 v35, v42, v38, s5
	s_delay_alu instid0(VALU_DEP_2) | instskip(NEXT) | instid1(VALU_DEP_2)
	v_cndmask_b32_e64 v37, v44, v40, s5
	v_cmp_lt_u32_e64 s7, 31, v6
	s_delay_alu instid0(VALU_DEP_4) | instskip(NEXT) | instid1(VALU_DEP_2)
	v_dual_cndmask_b32 v39, v45, v42, s5 :: v_dual_cndmask_b32 v40, v40, v36, s5
	v_cndmask_b32_e64 v33, 0, 0xffffffe0, s7
	s_delay_alu instid0(VALU_DEP_1) | instskip(SKIP_1) | instid1(VALU_DEP_4)
	v_add_nc_u32_e32 v6, v33, v6
	v_dual_cndmask_b32 v33, v38, v34, s5 :: v_dual_cndmask_b32 v34, v37, v35, s6
	v_cndmask_b32_e64 v37, v39, v37, s6
	s_delay_alu instid0(VALU_DEP_3) | instskip(NEXT) | instid1(VALU_DEP_3)
	v_dual_cndmask_b32 v35, v35, v40, s6 :: v_dual_sub_nc_u32 v38, 32, v6
	v_cndmask_b32_e64 v39, v40, v33, s6
	v_cmp_eq_u32_e64 s5, 0, v6
	s_delay_alu instid0(VALU_DEP_3) | instskip(NEXT) | instid1(VALU_DEP_1)
	v_dual_cndmask_b32 v37, v37, v34, s7 :: v_dual_cndmask_b32 v34, v34, v35, s7
	v_alignbit_b32 v40, v37, v34, v38
	s_delay_alu instid0(VALU_DEP_1) | instskip(NEXT) | instid1(VALU_DEP_1)
	v_dual_cndmask_b32 v35, v35, v39, s7 :: v_dual_cndmask_b32 v6, v40, v37, s5
	v_alignbit_b32 v36, v34, v35, v38
	s_delay_alu instid0(VALU_DEP_1) | instskip(NEXT) | instid1(VALU_DEP_3)
	v_dual_cndmask_b32 v32, v33, v32, s6 :: v_dual_cndmask_b32 v33, v36, v34, s5
	v_bfe_u32 v34, v6, 29, 1
	s_delay_alu instid0(VALU_DEP_2) | instskip(NEXT) | instid1(VALU_DEP_3)
	v_cndmask_b32_e64 v32, v39, v32, s7
	v_alignbit_b32 v36, v6, v33, 30
	s_delay_alu instid0(VALU_DEP_3) | instskip(NEXT) | instid1(VALU_DEP_3)
	v_sub_nc_u32_e32 v37, 0, v34
	v_alignbit_b32 v38, v35, v32, v38
	s_delay_alu instid0(VALU_DEP_1) | instskip(NEXT) | instid1(VALU_DEP_1)
	v_dual_cndmask_b32 v35, v38, v35, s5 :: v_dual_bitop2_b32 v36, v36, v37 bitop3:0x14
	v_clz_i32_u32_e32 v38, v36
	s_delay_alu instid0(VALU_DEP_2) | instskip(SKIP_1) | instid1(VALU_DEP_3)
	v_alignbit_b32 v33, v33, v35, 30
	v_alignbit_b32 v32, v35, v32, 30
	v_min_u32_e32 v38, 32, v38
	s_delay_alu instid0(VALU_DEP_3) | instskip(NEXT) | instid1(VALU_DEP_3)
	v_xor_b32_e32 v33, v33, v37
	v_dual_lshrrev_b32 v37, 29, v6 :: v_dual_bitop2_b32 v32, v32, v37 bitop3:0x14
	s_delay_alu instid0(VALU_DEP_3) | instskip(NEXT) | instid1(VALU_DEP_1)
	v_dual_sub_nc_u32 v35, 31, v38 :: v_dual_lshlrev_b32 v39, 23, v38
	v_alignbit_b32 v36, v36, v33, v35
	s_delay_alu instid0(VALU_DEP_3) | instskip(NEXT) | instid1(VALU_DEP_4)
	v_alignbit_b32 v32, v33, v32, v35
	v_lshlrev_b32_e32 v33, 31, v37
	s_delay_alu instid0(VALU_DEP_2) | instskip(NEXT) | instid1(VALU_DEP_2)
	v_alignbit_b32 v35, v36, v32, 9
	v_dual_lshrrev_b32 v36, 9, v36 :: v_dual_bitop2_b32 v37, 0.5, v33 bitop3:0x54
	v_or_b32_e32 v33, 0x33000000, v33
	s_delay_alu instid0(VALU_DEP_3) | instskip(NEXT) | instid1(VALU_DEP_3)
	v_clz_i32_u32_e32 v40, v35
	v_sub_nc_u32_e32 v37, v37, v39
	s_delay_alu instid0(VALU_DEP_2) | instskip(NEXT) | instid1(VALU_DEP_1)
	v_min_u32_e32 v39, 32, v40
	v_add_lshl_u32 v38, v39, v38, 23
	s_delay_alu instid0(VALU_DEP_3) | instskip(SKIP_1) | instid1(VALU_DEP_2)
	v_or_b32_e32 v36, v36, v37
	v_not_b32_e32 v37, v39
	v_dual_mul_f32 v40, 0x3fc90fda, v36 :: v_dual_sub_nc_u32 v33, v33, v38
	s_delay_alu instid0(VALU_DEP_2) | instskip(NEXT) | instid1(VALU_DEP_2)
	v_alignbit_b32 v32, v35, v32, v37
	v_fma_f32 v35, 0x3fc90fda, v36, -v40
	s_delay_alu instid0(VALU_DEP_2) | instskip(NEXT) | instid1(VALU_DEP_2)
	v_lshrrev_b32_e32 v32, 9, v32
	v_fmac_f32_e32 v35, 0x33a22168, v36
	s_delay_alu instid0(VALU_DEP_2) | instskip(NEXT) | instid1(VALU_DEP_1)
	v_or_b32_e32 v32, v33, v32
	v_dual_fmac_f32 v35, 0x3fc90fda, v32 :: v_dual_lshrrev_b32 v32, 30, v6
	s_delay_alu instid0(VALU_DEP_1)
	v_dual_add_nc_u32 v32, v34, v32 :: v_dual_add_f32 v6, v40, v35
	s_and_not1_saveexec_b32 s5, s27
	s_cbranch_execz .LBB224_26
.LBB224_31:                             ;   in Loop: Header=BB224_4 Depth=1
	v_mul_f32_e32 v6, 0x3f22f983, v23
	s_delay_alu instid0(VALU_DEP_1) | instskip(NEXT) | instid1(VALU_DEP_1)
	v_rndne_f32_e32 v32, v6
	v_fmamk_f32 v6, v32, 0xbfc90fda, v23
	s_delay_alu instid0(VALU_DEP_1) | instskip(NEXT) | instid1(VALU_DEP_1)
	v_fmac_f32_e32 v6, 0xb3a22168, v32
	v_fmac_f32_e32 v6, 0xa7c234c4, v32
	v_cvt_i32_f32_e32 v32, v32
	s_or_b32 exec_lo, exec_lo, s5
	s_and_saveexec_b32 s5, s4
	s_delay_alu instid0(SALU_CYCLE_1)
	s_xor_b32 s5, exec_lo, s5
	s_cbranch_execz .LBB224_27
.LBB224_32:                             ;   in Loop: Header=BB224_4 Depth=1
	v_dual_mul_f32 v33, v26, v26 :: v_dual_bitop2_b32 v36, 1, v27 bitop3:0x40
	s_delay_alu instid0(VALU_DEP_1) | instskip(NEXT) | instid1(VALU_DEP_2)
	v_dual_fmaak_f32 v34, s25, v33, 0x3c0881c4 :: v_dual_lshlrev_b32 v27, 30, v27
	v_cmp_eq_u32_e64 s4, 0, v36
	s_delay_alu instid0(VALU_DEP_2) | instskip(NEXT) | instid1(VALU_DEP_1)
	v_fmaak_f32 v34, v33, v34, 0xbe2aaa9d
	v_dual_fmaak_f32 v35, s26, v33, 0xbab64f3b :: v_dual_mul_f32 v34, v33, v34
	s_delay_alu instid0(VALU_DEP_1) | instskip(NEXT) | instid1(VALU_DEP_1)
	v_dual_fmaak_f32 v35, v33, v35, 0x3d2aabf7 :: v_dual_fmac_f32 v26, v26, v34
	v_fmaak_f32 v35, v33, v35, 0xbf000004
	s_delay_alu instid0(VALU_DEP_1) | instskip(NEXT) | instid1(VALU_DEP_1)
	v_fma_f32 v33, v33, v35, 1.0
	v_cndmask_b32_e64 v26, -v26, v33, s4
	v_cmp_lg_f32_e64 s4, 0x7f800000, v25
	s_delay_alu instid0(VALU_DEP_2) | instskip(NEXT) | instid1(VALU_DEP_1)
	v_bitop3_b32 v26, v27, v26, 0x80000000 bitop3:0x6c
	v_cndmask_b32_e64 v25, 0x7fc00000, v26, s4
	s_delay_alu instid0(VALU_DEP_1) | instskip(SKIP_1) | instid1(VALU_DEP_2)
	v_bfe_u32 v26, v25, 16, 1
	v_cmp_o_f32_e64 s4, v25, v25
	v_add3_u32 v26, v25, v26, 0x7fff
	s_delay_alu instid0(VALU_DEP_1) | instskip(NEXT) | instid1(VALU_DEP_1)
	v_lshrrev_b32_e32 v26, 16, v26
	v_cndmask_b32_e64 v25, 0x7fc0, v26, s4
	global_store_b16 v[10:11], v25, off
	s_wait_xcnt 0x0
	s_or_b32 exec_lo, exec_lo, s5
	s_and_saveexec_b32 s4, s3
	s_cbranch_execz .LBB224_28
.LBB224_33:                             ;   in Loop: Header=BB224_4 Depth=1
	v_dual_mul_f32 v25, v28, v28 :: v_dual_bitop2_b32 v33, 1, v29 bitop3:0x40
	s_delay_alu instid0(VALU_DEP_1) | instskip(NEXT) | instid1(VALU_DEP_2)
	v_fmaak_f32 v26, s25, v25, 0x3c0881c4
	v_cmp_eq_u32_e64 s3, 0, v33
	s_delay_alu instid0(VALU_DEP_2) | instskip(NEXT) | instid1(VALU_DEP_1)
	v_fmaak_f32 v26, v25, v26, 0xbe2aaa9d
	v_dual_fmaak_f32 v27, s26, v25, 0xbab64f3b :: v_dual_mul_f32 v26, v25, v26
	s_delay_alu instid0(VALU_DEP_1) | instskip(NEXT) | instid1(VALU_DEP_1)
	v_dual_fmaak_f32 v27, v25, v27, 0x3d2aabf7 :: v_dual_fmac_f32 v28, v28, v26
	v_dual_fmaak_f32 v27, v25, v27, 0xbf000004 :: v_dual_lshlrev_b32 v26, 30, v29
	s_delay_alu instid0(VALU_DEP_1) | instskip(NEXT) | instid1(VALU_DEP_1)
	v_fma_f32 v25, v25, v27, 1.0
	v_cndmask_b32_e64 v25, -v28, v25, s3
	v_cmp_lg_f32_e64 s3, 0x7f800000, v24
	s_delay_alu instid0(VALU_DEP_2) | instskip(NEXT) | instid1(VALU_DEP_1)
	v_bitop3_b32 v25, v26, v25, 0x80000000 bitop3:0x6c
	v_cndmask_b32_e64 v24, 0x7fc00000, v25, s3
	s_delay_alu instid0(VALU_DEP_1) | instskip(SKIP_1) | instid1(VALU_DEP_2)
	v_bfe_u32 v25, v24, 16, 1
	v_cmp_o_f32_e64 s3, v24, v24
	v_add3_u32 v25, v24, v25, 0x7fff
	s_delay_alu instid0(VALU_DEP_1) | instskip(NEXT) | instid1(VALU_DEP_1)
	v_lshrrev_b32_e32 v25, 16, v25
	v_cndmask_b32_e64 v24, 0x7fc0, v25, s3
	global_store_b16 v[16:17], v24, off
	s_wait_xcnt 0x0
	s_or_b32 exec_lo, exec_lo, s4
	s_and_saveexec_b32 s3, s2
	s_cbranch_execz .LBB224_29
.LBB224_34:                             ;   in Loop: Header=BB224_4 Depth=1
	v_dual_mul_f32 v24, v30, v30 :: v_dual_bitop2_b32 v27, 1, v31 bitop3:0x40
	s_delay_alu instid0(VALU_DEP_1) | instskip(NEXT) | instid1(VALU_DEP_2)
	v_fmaak_f32 v25, s25, v24, 0x3c0881c4
	v_cmp_eq_u32_e64 s2, 0, v27
	s_delay_alu instid0(VALU_DEP_2) | instskip(NEXT) | instid1(VALU_DEP_1)
	v_fmaak_f32 v25, v24, v25, 0xbe2aaa9d
	v_dual_fmaak_f32 v26, s26, v24, 0xbab64f3b :: v_dual_mul_f32 v25, v24, v25
	s_delay_alu instid0(VALU_DEP_1) | instskip(NEXT) | instid1(VALU_DEP_2)
	v_fmaak_f32 v26, v24, v26, 0x3d2aabf7
	v_dual_fmac_f32 v30, v30, v25 :: v_dual_lshlrev_b32 v25, 30, v31
	s_delay_alu instid0(VALU_DEP_2) | instskip(NEXT) | instid1(VALU_DEP_1)
	v_fmaak_f32 v26, v24, v26, 0xbf000004
	v_fma_f32 v24, v24, v26, 1.0
	s_delay_alu instid0(VALU_DEP_1) | instskip(SKIP_1) | instid1(VALU_DEP_2)
	v_cndmask_b32_e64 v24, -v30, v24, s2
	v_cmp_lg_f32_e64 s2, 0x7f800000, v22
	v_bitop3_b32 v24, v25, v24, 0x80000000 bitop3:0x6c
	s_delay_alu instid0(VALU_DEP_1) | instskip(NEXT) | instid1(VALU_DEP_1)
	v_cndmask_b32_e64 v22, 0x7fc00000, v24, s2
	v_bfe_u32 v24, v22, 16, 1
	v_cmp_o_f32_e64 s2, v22, v22
	s_delay_alu instid0(VALU_DEP_2) | instskip(NEXT) | instid1(VALU_DEP_1)
	v_add3_u32 v24, v22, v24, 0x7fff
	v_lshrrev_b32_e32 v24, 16, v24
	s_delay_alu instid0(VALU_DEP_1)
	v_cndmask_b32_e64 v22, 0x7fc0, v24, s2
	global_store_b16 v[20:21], v22, off
	s_wait_xcnt 0x0
	s_or_b32 exec_lo, exec_lo, s3
	s_and_saveexec_b32 s2, vcc_lo
	s_cbranch_execz .LBB224_3
.LBB224_35:                             ;   in Loop: Header=BB224_4 Depth=1
	v_dual_mul_f32 v20, v6, v6 :: v_dual_bitop2_b32 v24, 1, v32 bitop3:0x40
	s_delay_alu instid0(VALU_DEP_1) | instskip(NEXT) | instid1(VALU_DEP_2)
	v_fmaak_f32 v21, s25, v20, 0x3c0881c4
	v_cmp_eq_u32_e32 vcc_lo, 0, v24
	s_delay_alu instid0(VALU_DEP_2) | instskip(NEXT) | instid1(VALU_DEP_1)
	v_fmaak_f32 v21, v20, v21, 0xbe2aaa9d
	v_dual_fmaak_f32 v22, s26, v20, 0xbab64f3b :: v_dual_mul_f32 v21, v20, v21
	s_delay_alu instid0(VALU_DEP_1) | instskip(NEXT) | instid1(VALU_DEP_2)
	v_fmaak_f32 v22, v20, v22, 0x3d2aabf7
	v_fmac_f32_e32 v6, v6, v21
	s_delay_alu instid0(VALU_DEP_2) | instskip(NEXT) | instid1(VALU_DEP_1)
	v_fmaak_f32 v22, v20, v22, 0xbf000004
	v_fma_f32 v20, v20, v22, 1.0
	s_delay_alu instid0(VALU_DEP_1) | instskip(SKIP_2) | instid1(VALU_DEP_2)
	v_cndmask_b32_e64 v6, -v6, v20, vcc_lo
	v_lshlrev_b32_e32 v20, 30, v32
	v_cmp_lg_f32_e32 vcc_lo, 0x7f800000, v23
	v_bitop3_b32 v6, v20, v6, 0x80000000 bitop3:0x6c
	s_delay_alu instid0(VALU_DEP_1) | instskip(NEXT) | instid1(VALU_DEP_1)
	v_cndmask_b32_e32 v6, 0x7fc00000, v6, vcc_lo
	v_bfe_u32 v20, v6, 16, 1
	v_cmp_o_f32_e32 vcc_lo, v6, v6
	s_delay_alu instid0(VALU_DEP_2) | instskip(NEXT) | instid1(VALU_DEP_1)
	v_add3_u32 v20, v6, v20, 0x7fff
	v_lshrrev_b32_e32 v20, 16, v20
	s_delay_alu instid0(VALU_DEP_1)
	v_cndmask_b32_e32 v6, 0x7fc0, v20, vcc_lo
	global_store_b16 v[18:19], v6, off
	s_branch .LBB224_3
.LBB224_36:
	s_cbranch_execz .LBB224_38
	s_branch .LBB224_57
.LBB224_37:
.LBB224_38:
	v_min_i64 v[2:3], 0x10000, s[12:13]
	v_dual_mov_b32 v5, 0 :: v_dual_lshlrev_b32 v4, 2, v0
	s_mov_b32 s2, exec_lo
	s_delay_alu instid0(VALU_DEP_1)
	v_cmpx_lt_i64_e64 v[4:5], v[2:3]
	s_cbranch_execz .LBB224_57
; %bb.39:
	s_load_b32 s2, s[0:1], 0xd3c
	v_dual_mov_b32 v1, v5 :: v_dual_lshlrev_b32 v4, 3, v0
	s_wait_xcnt 0x0
	s_add_nc_u64 s[0:1], s[8:9], s[10:11]
	s_mov_b32 s3, 0
	s_mov_b32 s8, 0x7fffff
	s_mov_b64 s[4:5], 0xfe5163ab
	v_add_nc_u64_e32 v[6:7], s[0:1], v[4:5]
	s_mov_b32 s9, 0xb94c1982
	s_mov_b32 s10, 0x37d75334
	;; [unrolled: 1-line block ×4, first 2 shown]
	s_wait_kmcnt 0x0
	s_and_b32 s2, s2, 0xffff
	s_delay_alu instid0(SALU_CYCLE_1)
	s_lshl_b32 s6, s2, 3
	s_branch .LBB224_41
.LBB224_40:                             ;   in Loop: Header=BB224_41 Depth=1
	s_or_b32 exec_lo, exec_lo, s0
	v_dual_mul_f32 v19, v16, v16 :: v_dual_bitop2_b32 v20, 1, v17 bitop3:0x40
	v_dual_lshlrev_b32 v17, 30, v17 :: v_dual_mul_f32 v21, v14, v14
	v_mul_f32_e32 v25, v11, v11
	s_delay_alu instid0(VALU_DEP_3) | instskip(SKIP_1) | instid1(VALU_DEP_4)
	v_fmaak_f32 v22, s9, v19, 0x3c0881c4
	v_dual_fmaak_f32 v23, s10, v19, 0xbab64f3b :: v_dual_mul_f32 v26, v4, v4
	v_fmaak_f32 v27, s9, v21, 0x3c0881c4
	v_fmaak_f32 v28, s10, v21, 0xbab64f3b
	s_delay_alu instid0(VALU_DEP_4) | instskip(NEXT) | instid1(VALU_DEP_4)
	v_fmaak_f32 v22, v19, v22, 0xbe2aaa9d
	v_fmaak_f32 v23, v19, v23, 0x3d2aabf7
	v_cmp_eq_u32_e32 vcc_lo, 0, v20
	v_fmaak_f32 v27, v21, v27, 0xbe2aaa9d
	s_delay_alu instid0(VALU_DEP_4) | instskip(SKIP_3) | instid1(VALU_DEP_4)
	v_dual_mul_f32 v22, v19, v22 :: v_dual_bitop2_b32 v24, 1, v15 bitop3:0x40
	v_fmaak_f32 v29, s9, v25, 0x3c0881c4
	v_fmaak_f32 v28, v21, v28, 0x3d2aabf7
	v_dual_fmaak_f32 v30, s10, v25, 0xbab64f3b :: v_dual_lshlrev_b32 v15, 30, v15
	v_dual_fmac_f32 v16, v16, v22 :: v_dual_mul_f32 v22, v21, v27
	v_fmaak_f32 v23, v19, v23, 0xbf000004
	v_fmaak_f32 v27, s9, v26, 0x3c0881c4
	v_add_nc_u64_e32 v[0:1], s[2:3], v[0:1]
	s_delay_alu instid0(VALU_DEP_4) | instskip(NEXT) | instid1(VALU_DEP_4)
	v_fmac_f32_e32 v14, v14, v22
	v_fma_f32 v19, v19, v23, 1.0
	v_fmaak_f32 v23, v21, v28, 0xbf000004
	s_delay_alu instid0(VALU_DEP_2) | instskip(NEXT) | instid1(VALU_DEP_2)
	v_cndmask_b32_e64 v16, -v16, v19, vcc_lo
	v_fma_f32 v19, v21, v23, 1.0
	v_fmaak_f32 v21, v25, v29, 0xbe2aaa9d
	v_cmp_eq_u32_e32 vcc_lo, 0, v24
	s_delay_alu instid0(VALU_DEP_2) | instskip(NEXT) | instid1(VALU_DEP_4)
	v_dual_fmaak_f32 v20, s10, v26, 0xbab64f3b :: v_dual_mul_f32 v21, v25, v21
	v_cndmask_b32_e64 v14, -v14, v19, vcc_lo
	v_bitop3_b32 v16, v17, v16, 0x80000000 bitop3:0x6c
	s_delay_alu instid0(VALU_DEP_3) | instskip(SKIP_3) | instid1(VALU_DEP_4)
	v_dual_fmaak_f32 v17, v25, v30, 0x3d2aabf7 :: v_dual_fmaak_f32 v20, v26, v20, 0x3d2aabf7
	v_fmaak_f32 v19, v26, v27, 0xbe2aaa9d
	v_fmac_f32_e32 v11, v11, v21
	v_bitop3_b32 v14, v15, v14, 0x80000000 bitop3:0x6c
	v_dual_fmaak_f32 v17, v25, v17, 0xbf000004 :: v_dual_fmaak_f32 v20, v26, v20, 0xbf000004
	s_delay_alu instid0(VALU_DEP_4) | instskip(NEXT) | instid1(VALU_DEP_2)
	v_mul_f32_e32 v19, v26, v19
	v_fma_f32 v17, v25, v17, 1.0
	s_delay_alu instid0(VALU_DEP_2) | instskip(NEXT) | instid1(VALU_DEP_4)
	v_dual_fmac_f32 v4, v4, v19 :: v_dual_bitop2_b32 v21, 1, v12 bitop3:0x40
	v_fma_f32 v20, v26, v20, 1.0
	v_dual_lshlrev_b32 v12, 30, v12 :: v_dual_bitop2_b32 v19, 1, v18 bitop3:0x40
	s_delay_alu instid0(VALU_DEP_3) | instskip(SKIP_1) | instid1(VALU_DEP_3)
	v_cmp_eq_u32_e32 vcc_lo, 0, v21
	v_cndmask_b32_e64 v11, -v11, v17, vcc_lo
	v_cmp_eq_u32_e32 vcc_lo, 0, v19
	s_delay_alu instid0(VALU_DEP_2) | instskip(SKIP_4) | instid1(VALU_DEP_2)
	v_bitop3_b32 v11, v12, v11, 0x80000000 bitop3:0x6c
	v_cndmask_b32_e64 v4, -v4, v20, vcc_lo
	v_cmp_class_f32_e64 vcc_lo, v8, 0x1f8
	v_dual_cndmask_b32 v8, 0x7fc00000, v16 :: v_dual_lshlrev_b32 v17, 30, v18
	v_cmp_class_f32_e64 vcc_lo, v13, 0x1f8
	v_bitop3_b32 v4, v17, v4, 0x80000000 bitop3:0x6c
	v_cndmask_b32_e32 v12, 0x7fc00000, v14, vcc_lo
	v_cmp_class_f32_e64 vcc_lo, v10, 0x1f8
	v_cndmask_b32_e32 v10, 0x7fc00000, v11, vcc_lo
	v_bfe_u32 v11, v8, 16, 1
	v_cmp_class_f32_e64 vcc_lo, v9, 0x1f8
	s_delay_alu instid0(VALU_DEP_3) | instskip(NEXT) | instid1(VALU_DEP_3)
	v_bfe_u32 v13, v10, 16, 1
	v_add3_u32 v11, v8, v11, 0x7fff
	v_cndmask_b32_e32 v4, 0x7fc00000, v4, vcc_lo
	s_delay_alu instid0(VALU_DEP_3) | instskip(NEXT) | instid1(VALU_DEP_3)
	v_add3_u32 v13, v10, v13, 0x7fff
	v_lshrrev_b32_e32 v11, 16, v11
	v_bfe_u32 v9, v12, 16, 1
	s_delay_alu instid0(VALU_DEP_4) | instskip(SKIP_2) | instid1(VALU_DEP_4)
	v_bfe_u32 v14, v4, 16, 1
	v_cmp_o_f32_e32 vcc_lo, v12, v12
	v_lshrrev_b32_e32 v13, 16, v13
	v_add3_u32 v9, v12, v9, 0x7fff
	s_delay_alu instid0(VALU_DEP_4) | instskip(NEXT) | instid1(VALU_DEP_2)
	v_add3_u32 v14, v4, v14, 0x7fff
	v_and_b32_e32 v9, 0xffff0000, v9
	s_delay_alu instid0(VALU_DEP_2) | instskip(NEXT) | instid1(VALU_DEP_2)
	v_and_b32_e32 v14, 0xffff0000, v14
	v_cndmask_b32_e32 v9, 0x7fc00000, v9, vcc_lo
	v_cmp_o_f32_e32 vcc_lo, v10, v10
	v_cndmask_b32_e32 v10, 0x7fc0, v13, vcc_lo
	v_cmp_o_f32_e32 vcc_lo, v4, v4
	s_delay_alu instid0(VALU_DEP_2) | instskip(SKIP_3) | instid1(VALU_DEP_4)
	v_or_b32_e32 v10, v9, v10
	v_cndmask_b32_e32 v4, 0x7fc00000, v14, vcc_lo
	v_cmp_o_f32_e32 vcc_lo, v8, v8
	v_lshlrev_b64_e32 v[8:9], 2, v[0:1]
	v_or3_b32 v10, v10, 0, 0
	v_cndmask_b32_e32 v11, 0x7fc0, v11, vcc_lo
	s_delay_alu instid0(VALU_DEP_3) | instskip(NEXT) | instid1(VALU_DEP_2)
	v_cmp_ge_i64_e32 vcc_lo, v[8:9], v[2:3]
	v_or3_b32 v11, 0, v11, v4
	global_store_b64 v[6:7], v[10:11], off
	s_wait_xcnt 0x0
	v_add_nc_u64_e32 v[6:7], s[6:7], v[6:7]
	s_or_b32 s11, vcc_lo, s11
	s_delay_alu instid0(SALU_CYCLE_1)
	s_and_not1_b32 exec_lo, exec_lo, s11
	s_cbranch_execz .LBB224_57
.LBB224_41:                             ; =>This Inner Loop Header: Depth=1
	global_load_b64 v[8:9], v[6:7], off
                                        ; implicit-def: $vgpr12
                                        ; implicit-def: $vgpr11
	s_mov_b32 s1, exec_lo
	s_wait_loadcnt 0x0
	v_lshlrev_b32_e32 v10, 16, v8
	s_wait_xcnt 0x0
	s_delay_alu instid0(VALU_DEP_1)
	v_cmpx_ngt_f32_e64 0x48000000, |v10|
	s_xor_b32 s12, exec_lo, s1
	s_cbranch_execz .LBB224_43
; %bb.42:                               ;   in Loop: Header=BB224_41 Depth=1
	v_and_b32_e32 v11, 0x7fffffff, v10
	v_mov_b32_e32 v23, v5
	s_delay_alu instid0(VALU_DEP_2) | instskip(SKIP_1) | instid1(VALU_DEP_2)
	v_and_or_b32 v4, v11, s8, 0x800000
	v_lshrrev_b32_e32 v11, 23, v11
	v_mul_u64_e32 v[12:13], s[4:5], v[4:5]
	v_mov_b32_e32 v15, v5
	s_delay_alu instid0(VALU_DEP_3) | instskip(NEXT) | instid1(VALU_DEP_1)
	v_add_nc_u32_e32 v11, 0xffffff88, v11
	v_cmp_lt_u32_e32 vcc_lo, 63, v11
	s_delay_alu instid0(VALU_DEP_4) | instskip(SKIP_1) | instid1(VALU_DEP_2)
	v_mov_b32_e32 v14, v13
	v_cndmask_b32_e64 v13, 0, 0xffffffc0, vcc_lo
	v_mad_nc_u64_u32 v[14:15], 0x3c439041, v4, v[14:15]
	s_delay_alu instid0(VALU_DEP_1) | instskip(NEXT) | instid1(VALU_DEP_1)
	v_dual_mov_b32 v17, v5 :: v_dual_mov_b32 v16, v15
	v_mad_nc_u64_u32 v[16:17], 0xdb629599, v4, v[16:17]
	s_delay_alu instid0(VALU_DEP_1) | instskip(NEXT) | instid1(VALU_DEP_2)
	v_dual_mov_b32 v19, v5 :: v_dual_mov_b32 v18, v17
	v_cndmask_b32_e32 v12, v16, v12, vcc_lo
	s_delay_alu instid0(VALU_DEP_2) | instskip(NEXT) | instid1(VALU_DEP_1)
	v_mad_nc_u64_u32 v[18:19], 0xf534ddc0, v4, v[18:19]
	v_dual_mov_b32 v21, v5 :: v_dual_mov_b32 v20, v19
	s_delay_alu instid0(VALU_DEP_1) | instskip(NEXT) | instid1(VALU_DEP_1)
	v_mad_nc_u64_u32 v[20:21], 0xfc2757d1, v4, v[20:21]
	v_dual_mov_b32 v22, v21 :: v_dual_cndmask_b32 v19, v20, v16
	s_delay_alu instid0(VALU_DEP_1) | instskip(SKIP_1) | instid1(VALU_DEP_2)
	v_mad_nc_u64_u32 v[22:23], 0x4e441529, v4, v[22:23]
	v_add_nc_u32_e32 v11, v13, v11
	v_dual_mov_b32 v25, v5 :: v_dual_mov_b32 v24, v23
	s_delay_alu instid0(VALU_DEP_2) | instskip(NEXT) | instid1(VALU_DEP_2)
	v_cmp_lt_u32_e64 s0, 31, v11
	v_mad_nc_u64_u32 v[24:25], 0xa2f9836e, v4, v[24:25]
	s_delay_alu instid0(VALU_DEP_2) | instskip(NEXT) | instid1(VALU_DEP_1)
	v_cndmask_b32_e64 v13, 0, 0xffffffe0, s0
	v_dual_cndmask_b32 v13, v22, v18 :: v_dual_add_nc_u32 v4, v13, v11
	s_delay_alu instid0(VALU_DEP_3) | instskip(NEXT) | instid1(VALU_DEP_2)
	v_cndmask_b32_e32 v15, v24, v20, vcc_lo
	v_cmp_lt_u32_e64 s1, 31, v4
	v_cndmask_b32_e32 v17, v25, v22, vcc_lo
	s_delay_alu instid0(VALU_DEP_2) | instskip(NEXT) | instid1(VALU_DEP_1)
	v_cndmask_b32_e64 v11, 0, 0xffffffe0, s1
	v_dual_cndmask_b32 v11, v18, v14 :: v_dual_add_nc_u32 v4, v11, v4
	s_delay_alu instid0(VALU_DEP_3) | instskip(NEXT) | instid1(VALU_DEP_2)
	v_dual_cndmask_b32 v14, v15, v13, s0 :: v_dual_cndmask_b32 v15, v17, v15, s0
	v_dual_cndmask_b32 v13, v13, v19, s0 :: v_dual_sub_nc_u32 v17, 32, v4
	s_delay_alu instid0(VALU_DEP_3) | instskip(SKIP_1) | instid1(VALU_DEP_3)
	v_cndmask_b32_e64 v18, v19, v11, s0
	v_cmp_eq_u32_e32 vcc_lo, 0, v4
	v_dual_cndmask_b32 v15, v15, v14, s1 :: v_dual_cndmask_b32 v14, v14, v13, s1
	s_delay_alu instid0(VALU_DEP_1) | instskip(NEXT) | instid1(VALU_DEP_1)
	v_alignbit_b32 v19, v15, v14, v17
	v_dual_cndmask_b32 v13, v13, v18, s1 :: v_dual_cndmask_b32 v4, v19, v15, vcc_lo
	s_delay_alu instid0(VALU_DEP_1) | instskip(NEXT) | instid1(VALU_DEP_1)
	v_alignbit_b32 v16, v14, v13, v17
	v_dual_cndmask_b32 v11, v11, v12, s0 :: v_dual_cndmask_b32 v12, v16, v14, vcc_lo
	s_delay_alu instid0(VALU_DEP_3) | instskip(NEXT) | instid1(VALU_DEP_2)
	v_bfe_u32 v14, v4, 29, 1
	v_cndmask_b32_e64 v11, v18, v11, s1
	s_delay_alu instid0(VALU_DEP_3) | instskip(NEXT) | instid1(VALU_DEP_3)
	v_alignbit_b32 v15, v4, v12, 30
	v_sub_nc_u32_e32 v16, 0, v14
	s_delay_alu instid0(VALU_DEP_3) | instskip(NEXT) | instid1(VALU_DEP_1)
	v_alignbit_b32 v17, v13, v11, v17
	v_dual_cndmask_b32 v13, v17, v13, vcc_lo :: v_dual_bitop2_b32 v15, v15, v16 bitop3:0x14
	s_delay_alu instid0(VALU_DEP_1) | instskip(NEXT) | instid1(VALU_DEP_2)
	v_clz_i32_u32_e32 v17, v15
	v_alignbit_b32 v12, v12, v13, 30
	v_alignbit_b32 v11, v13, v11, 30
	s_delay_alu instid0(VALU_DEP_3) | instskip(NEXT) | instid1(VALU_DEP_3)
	v_min_u32_e32 v17, 32, v17
	v_xor_b32_e32 v12, v12, v16
	s_delay_alu instid0(VALU_DEP_3) | instskip(SKIP_1) | instid1(VALU_DEP_4)
	v_xor_b32_e32 v11, v11, v16
	v_dual_lshrrev_b32 v16, 29, v4 :: v_dual_lshrrev_b32 v4, 30, v4
	v_dual_sub_nc_u32 v13, 31, v17 :: v_dual_lshlrev_b32 v18, 23, v17
	s_delay_alu instid0(VALU_DEP_1) | instskip(NEXT) | instid1(VALU_DEP_4)
	v_alignbit_b32 v15, v15, v12, v13
	v_alignbit_b32 v11, v12, v11, v13
	s_delay_alu instid0(VALU_DEP_4) | instskip(NEXT) | instid1(VALU_DEP_2)
	v_lshlrev_b32_e32 v12, 31, v16
	v_alignbit_b32 v13, v15, v11, 9
	s_delay_alu instid0(VALU_DEP_2) | instskip(SKIP_1) | instid1(VALU_DEP_3)
	v_dual_lshrrev_b32 v15, 9, v15 :: v_dual_bitop2_b32 v16, 0.5, v12 bitop3:0x54
	v_or_b32_e32 v12, 0x33000000, v12
	v_clz_i32_u32_e32 v19, v13
	s_delay_alu instid0(VALU_DEP_3) | instskip(NEXT) | instid1(VALU_DEP_2)
	v_sub_nc_u32_e32 v16, v16, v18
	v_min_u32_e32 v18, 32, v19
	s_delay_alu instid0(VALU_DEP_1) | instskip(NEXT) | instid1(VALU_DEP_3)
	v_add_lshl_u32 v17, v18, v17, 23
	v_or_b32_e32 v15, v15, v16
	v_not_b32_e32 v16, v18
	s_delay_alu instid0(VALU_DEP_2) | instskip(NEXT) | instid1(VALU_DEP_2)
	v_dual_mul_f32 v19, 0x3fc90fda, v15 :: v_dual_sub_nc_u32 v12, v12, v17
	v_alignbit_b32 v11, v13, v11, v16
	s_delay_alu instid0(VALU_DEP_2) | instskip(NEXT) | instid1(VALU_DEP_2)
	v_fma_f32 v13, 0x3fc90fda, v15, -v19
	v_lshrrev_b32_e32 v11, 9, v11
	s_delay_alu instid0(VALU_DEP_2) | instskip(NEXT) | instid1(VALU_DEP_2)
	v_fmac_f32_e32 v13, 0x33a22168, v15
	v_dual_add_nc_u32 v12, v14, v4 :: v_dual_bitop2_b32 v11, v12, v11 bitop3:0x54
	s_delay_alu instid0(VALU_DEP_1) | instskip(NEXT) | instid1(VALU_DEP_1)
	v_fmac_f32_e32 v13, 0x3fc90fda, v11
	v_add_f32_e32 v11, v19, v13
.LBB224_43:                             ;   in Loop: Header=BB224_41 Depth=1
	s_and_not1_saveexec_b32 s0, s12
; %bb.44:                               ;   in Loop: Header=BB224_41 Depth=1
	v_mul_f32_e64 v4, 0x3f22f983, |v10|
	s_delay_alu instid0(VALU_DEP_1) | instskip(NEXT) | instid1(VALU_DEP_1)
	v_rndne_f32_e32 v4, v4
	v_fma_f32 v11, 0xbfc90fda, v4, |v10|
	v_cvt_i32_f32_e32 v12, v4
	s_delay_alu instid0(VALU_DEP_2) | instskip(NEXT) | instid1(VALU_DEP_1)
	v_fmac_f32_e32 v11, 0xb3a22168, v4
	v_fmac_f32_e32 v11, 0xa7c234c4, v4
; %bb.45:                               ;   in Loop: Header=BB224_41 Depth=1
	s_or_b32 exec_lo, exec_lo, s0
	v_and_b32_e32 v13, 0xffff0000, v8
                                        ; implicit-def: $vgpr15
                                        ; implicit-def: $vgpr14
	s_mov_b32 s1, exec_lo
	s_delay_alu instid0(VALU_DEP_1)
	v_cmpx_ngt_f32_e64 0x48000000, |v13|
	s_xor_b32 s12, exec_lo, s1
	s_cbranch_execz .LBB224_47
; %bb.46:                               ;   in Loop: Header=BB224_41 Depth=1
	v_and_b32_e32 v24, 0x7fffffff, v13
	v_mov_b32_e32 v25, v5
	s_delay_alu instid0(VALU_DEP_2) | instskip(NEXT) | instid1(VALU_DEP_1)
	v_and_or_b32 v4, v24, s8, 0x800000
	v_mul_u64_e32 v[14:15], s[4:5], v[4:5]
	s_delay_alu instid0(VALU_DEP_1) | instskip(SKIP_1) | instid1(VALU_DEP_2)
	v_dual_mov_b32 v17, v5 :: v_dual_mov_b32 v16, v15
	v_lshrrev_b32_e32 v15, 23, v24
	v_mad_nc_u64_u32 v[16:17], 0x3c439041, v4, v[16:17]
	v_mov_b32_e32 v19, v5
	s_delay_alu instid0(VALU_DEP_3) | instskip(NEXT) | instid1(VALU_DEP_1)
	v_add_nc_u32_e32 v15, 0xffffff88, v15
	v_cmp_lt_u32_e32 vcc_lo, 63, v15
	s_delay_alu instid0(VALU_DEP_4) | instskip(SKIP_1) | instid1(VALU_DEP_2)
	v_mov_b32_e32 v18, v17
	v_cndmask_b32_e64 v17, 0, 0xffffffc0, vcc_lo
	v_mad_nc_u64_u32 v[18:19], 0xdb629599, v4, v[18:19]
	s_delay_alu instid0(VALU_DEP_1) | instskip(NEXT) | instid1(VALU_DEP_2)
	v_dual_mov_b32 v21, v5 :: v_dual_mov_b32 v20, v19
	v_cndmask_b32_e32 v14, v18, v14, vcc_lo
	s_delay_alu instid0(VALU_DEP_2) | instskip(NEXT) | instid1(VALU_DEP_1)
	v_mad_nc_u64_u32 v[20:21], 0xf534ddc0, v4, v[20:21]
	v_dual_mov_b32 v23, v5 :: v_dual_mov_b32 v22, v21
	s_delay_alu instid0(VALU_DEP_1) | instskip(NEXT) | instid1(VALU_DEP_1)
	v_mad_nc_u64_u32 v[22:23], 0xfc2757d1, v4, v[22:23]
	v_mov_b32_e32 v24, v23
	s_delay_alu instid0(VALU_DEP_1) | instskip(SKIP_2) | instid1(VALU_DEP_2)
	v_mad_nc_u64_u32 v[24:25], 0x4e441529, v4, v[24:25]
	v_add_nc_u32_e32 v15, v17, v15
	v_mov_b32_e32 v27, v5
	v_cmp_lt_u32_e64 s0, 31, v15
	s_delay_alu instid0(VALU_DEP_4) | instskip(NEXT) | instid1(VALU_DEP_2)
	v_mov_b32_e32 v26, v25
	v_cndmask_b32_e64 v17, 0, 0xffffffe0, s0
	s_delay_alu instid0(VALU_DEP_2) | instskip(NEXT) | instid1(VALU_DEP_2)
	v_mad_nc_u64_u32 v[26:27], 0xa2f9836e, v4, v[26:27]
	v_dual_cndmask_b32 v17, v24, v20 :: v_dual_add_nc_u32 v4, v17, v15
	s_delay_alu instid0(VALU_DEP_2) | instskip(NEXT) | instid1(VALU_DEP_2)
	v_cndmask_b32_e32 v19, v26, v22, vcc_lo
	v_cmp_lt_u32_e64 s1, 31, v4
	s_delay_alu instid0(VALU_DEP_4) | instskip(NEXT) | instid1(VALU_DEP_2)
	v_dual_cndmask_b32 v21, v27, v24 :: v_dual_cndmask_b32 v22, v22, v18
	v_cndmask_b32_e64 v15, 0, 0xffffffe0, s1
	s_delay_alu instid0(VALU_DEP_1) | instskip(SKIP_1) | instid1(VALU_DEP_4)
	v_add_nc_u32_e32 v4, v15, v4
	v_dual_cndmask_b32 v15, v20, v16, vcc_lo :: v_dual_cndmask_b32 v16, v19, v17, s0
	v_cndmask_b32_e64 v19, v21, v19, s0
	s_delay_alu instid0(VALU_DEP_3) | instskip(NEXT) | instid1(VALU_DEP_3)
	v_dual_cndmask_b32 v17, v17, v22, s0 :: v_dual_sub_nc_u32 v20, 32, v4
	v_cndmask_b32_e64 v21, v22, v15, s0
	v_cmp_eq_u32_e32 vcc_lo, 0, v4
	s_delay_alu instid0(VALU_DEP_3) | instskip(NEXT) | instid1(VALU_DEP_1)
	v_dual_cndmask_b32 v19, v19, v16, s1 :: v_dual_cndmask_b32 v16, v16, v17, s1
	v_alignbit_b32 v22, v19, v16, v20
	s_delay_alu instid0(VALU_DEP_1) | instskip(NEXT) | instid1(VALU_DEP_1)
	v_dual_cndmask_b32 v17, v17, v21, s1 :: v_dual_cndmask_b32 v4, v22, v19, vcc_lo
	v_alignbit_b32 v18, v16, v17, v20
	s_delay_alu instid0(VALU_DEP_1) | instskip(NEXT) | instid1(VALU_DEP_3)
	v_dual_cndmask_b32 v14, v15, v14, s0 :: v_dual_cndmask_b32 v15, v18, v16, vcc_lo
	v_bfe_u32 v16, v4, 29, 1
	s_delay_alu instid0(VALU_DEP_2) | instskip(NEXT) | instid1(VALU_DEP_3)
	v_cndmask_b32_e64 v14, v21, v14, s1
	v_alignbit_b32 v18, v4, v15, 30
	s_delay_alu instid0(VALU_DEP_3) | instskip(NEXT) | instid1(VALU_DEP_3)
	v_sub_nc_u32_e32 v19, 0, v16
	v_alignbit_b32 v20, v17, v14, v20
	s_delay_alu instid0(VALU_DEP_1) | instskip(NEXT) | instid1(VALU_DEP_1)
	v_dual_cndmask_b32 v17, v20, v17, vcc_lo :: v_dual_bitop2_b32 v18, v18, v19 bitop3:0x14
	v_clz_i32_u32_e32 v20, v18
	s_delay_alu instid0(VALU_DEP_2) | instskip(SKIP_1) | instid1(VALU_DEP_3)
	v_alignbit_b32 v15, v15, v17, 30
	v_alignbit_b32 v14, v17, v14, 30
	v_min_u32_e32 v20, 32, v20
	s_delay_alu instid0(VALU_DEP_3) | instskip(NEXT) | instid1(VALU_DEP_3)
	v_xor_b32_e32 v15, v15, v19
	v_dual_lshrrev_b32 v19, 29, v4 :: v_dual_bitop2_b32 v14, v14, v19 bitop3:0x14
	v_lshrrev_b32_e32 v4, 30, v4
	s_delay_alu instid0(VALU_DEP_4) | instskip(NEXT) | instid1(VALU_DEP_1)
	v_dual_sub_nc_u32 v17, 31, v20 :: v_dual_lshlrev_b32 v21, 23, v20
	v_alignbit_b32 v18, v18, v15, v17
	s_delay_alu instid0(VALU_DEP_4) | instskip(SKIP_1) | instid1(VALU_DEP_2)
	v_alignbit_b32 v14, v15, v14, v17
	v_lshlrev_b32_e32 v15, 31, v19
	v_alignbit_b32 v17, v18, v14, 9
	s_delay_alu instid0(VALU_DEP_2) | instskip(SKIP_1) | instid1(VALU_DEP_3)
	v_dual_lshrrev_b32 v18, 9, v18 :: v_dual_bitop2_b32 v19, 0.5, v15 bitop3:0x54
	v_or_b32_e32 v15, 0x33000000, v15
	v_clz_i32_u32_e32 v22, v17
	s_delay_alu instid0(VALU_DEP_3) | instskip(NEXT) | instid1(VALU_DEP_2)
	v_sub_nc_u32_e32 v19, v19, v21
	v_min_u32_e32 v21, 32, v22
	s_delay_alu instid0(VALU_DEP_1) | instskip(NEXT) | instid1(VALU_DEP_3)
	v_add_lshl_u32 v20, v21, v20, 23
	v_or_b32_e32 v18, v18, v19
	v_not_b32_e32 v19, v21
	s_delay_alu instid0(VALU_DEP_2) | instskip(NEXT) | instid1(VALU_DEP_2)
	v_dual_mul_f32 v22, 0x3fc90fda, v18 :: v_dual_sub_nc_u32 v15, v15, v20
	v_alignbit_b32 v14, v17, v14, v19
	s_delay_alu instid0(VALU_DEP_2) | instskip(NEXT) | instid1(VALU_DEP_2)
	v_fma_f32 v17, 0x3fc90fda, v18, -v22
	v_lshrrev_b32_e32 v14, 9, v14
	s_delay_alu instid0(VALU_DEP_2) | instskip(NEXT) | instid1(VALU_DEP_2)
	v_fmac_f32_e32 v17, 0x33a22168, v18
	v_dual_add_nc_u32 v15, v16, v4 :: v_dual_bitop2_b32 v14, v15, v14 bitop3:0x54
	s_delay_alu instid0(VALU_DEP_1) | instskip(NEXT) | instid1(VALU_DEP_1)
	v_fmac_f32_e32 v17, 0x3fc90fda, v14
	v_add_f32_e32 v14, v22, v17
.LBB224_47:                             ;   in Loop: Header=BB224_41 Depth=1
	s_and_not1_saveexec_b32 s0, s12
; %bb.48:                               ;   in Loop: Header=BB224_41 Depth=1
	v_mul_f32_e64 v4, 0x3f22f983, |v13|
	s_delay_alu instid0(VALU_DEP_1) | instskip(NEXT) | instid1(VALU_DEP_1)
	v_rndne_f32_e32 v4, v4
	v_fma_f32 v14, 0xbfc90fda, v4, |v13|
	v_cvt_i32_f32_e32 v15, v4
	s_delay_alu instid0(VALU_DEP_2) | instskip(NEXT) | instid1(VALU_DEP_1)
	v_fmac_f32_e32 v14, 0xb3a22168, v4
	v_fmac_f32_e32 v14, 0xa7c234c4, v4
; %bb.49:                               ;   in Loop: Header=BB224_41 Depth=1
	s_or_b32 exec_lo, exec_lo, s0
	v_alignbit_b32 v4, v9, v8, 16
                                        ; implicit-def: $vgpr17
                                        ; implicit-def: $vgpr16
	s_mov_b32 s1, exec_lo
	s_delay_alu instid0(VALU_DEP_1) | instskip(NEXT) | instid1(VALU_DEP_1)
	v_and_b32_e32 v8, 0xffff0000, v4
	v_cmpx_ngt_f32_e64 0x48000000, |v8|
	s_xor_b32 s12, exec_lo, s1
	s_cbranch_execz .LBB224_51
; %bb.50:                               ;   in Loop: Header=BB224_41 Depth=1
	v_and_b32_e32 v26, 0x7fffffff, v8
	v_dual_mov_b32 v27, v5 :: v_dual_mov_b32 v29, v5
	s_delay_alu instid0(VALU_DEP_2) | instskip(NEXT) | instid1(VALU_DEP_1)
	v_and_or_b32 v4, v26, s8, 0x800000
	v_mul_u64_e32 v[16:17], s[4:5], v[4:5]
	s_delay_alu instid0(VALU_DEP_1) | instskip(SKIP_1) | instid1(VALU_DEP_2)
	v_dual_mov_b32 v19, v5 :: v_dual_mov_b32 v18, v17
	v_lshrrev_b32_e32 v17, 23, v26
	v_mad_nc_u64_u32 v[18:19], 0x3c439041, v4, v[18:19]
	v_mov_b32_e32 v21, v5
	s_delay_alu instid0(VALU_DEP_3) | instskip(NEXT) | instid1(VALU_DEP_1)
	v_add_nc_u32_e32 v17, 0xffffff88, v17
	v_cmp_lt_u32_e32 vcc_lo, 63, v17
	s_delay_alu instid0(VALU_DEP_4) | instskip(SKIP_1) | instid1(VALU_DEP_2)
	v_mov_b32_e32 v20, v19
	v_cndmask_b32_e64 v19, 0, 0xffffffc0, vcc_lo
	v_mad_nc_u64_u32 v[20:21], 0xdb629599, v4, v[20:21]
	s_delay_alu instid0(VALU_DEP_2) | instskip(NEXT) | instid1(VALU_DEP_1)
	v_dual_mov_b32 v23, v5 :: v_dual_add_nc_u32 v17, v19, v17
	v_cmp_lt_u32_e64 s0, 31, v17
	s_delay_alu instid0(VALU_DEP_3) | instskip(NEXT) | instid1(VALU_DEP_2)
	v_mov_b32_e32 v22, v21
	v_cndmask_b32_e64 v19, 0, 0xffffffe0, s0
	v_cndmask_b32_e32 v16, v20, v16, vcc_lo
	s_delay_alu instid0(VALU_DEP_3) | instskip(NEXT) | instid1(VALU_DEP_1)
	v_mad_nc_u64_u32 v[22:23], 0xf534ddc0, v4, v[22:23]
	v_dual_mov_b32 v25, v5 :: v_dual_mov_b32 v24, v23
	s_delay_alu instid0(VALU_DEP_1) | instskip(NEXT) | instid1(VALU_DEP_1)
	v_mad_nc_u64_u32 v[24:25], 0xfc2757d1, v4, v[24:25]
	v_mov_b32_e32 v26, v25
	s_delay_alu instid0(VALU_DEP_1) | instskip(NEXT) | instid1(VALU_DEP_1)
	v_mad_nc_u64_u32 v[26:27], 0x4e441529, v4, v[26:27]
	v_mov_b32_e32 v28, v27
	s_delay_alu instid0(VALU_DEP_1) | instskip(NEXT) | instid1(VALU_DEP_3)
	v_mad_nc_u64_u32 v[28:29], 0xa2f9836e, v4, v[28:29]
	v_dual_cndmask_b32 v19, v26, v22 :: v_dual_add_nc_u32 v4, v19, v17
	s_delay_alu instid0(VALU_DEP_2) | instskip(NEXT) | instid1(VALU_DEP_2)
	v_cndmask_b32_e32 v21, v28, v24, vcc_lo
	v_cmp_lt_u32_e64 s1, 31, v4
	s_delay_alu instid0(VALU_DEP_4) | instskip(NEXT) | instid1(VALU_DEP_2)
	v_dual_cndmask_b32 v23, v29, v26 :: v_dual_cndmask_b32 v24, v24, v20
	v_cndmask_b32_e64 v17, 0, 0xffffffe0, s1
	s_delay_alu instid0(VALU_DEP_1) | instskip(NEXT) | instid1(VALU_DEP_3)
	v_dual_cndmask_b32 v17, v22, v18 :: v_dual_add_nc_u32 v4, v17, v4
	v_dual_cndmask_b32 v18, v21, v19, s0 :: v_dual_cndmask_b32 v21, v23, v21, s0
	s_delay_alu instid0(VALU_DEP_4) | instskip(NEXT) | instid1(VALU_DEP_3)
	v_cndmask_b32_e64 v19, v19, v24, s0
	v_dual_sub_nc_u32 v22, 32, v4 :: v_dual_cndmask_b32 v23, v24, v17, s0
	v_cmp_eq_u32_e32 vcc_lo, 0, v4
	s_delay_alu instid0(VALU_DEP_3) | instskip(NEXT) | instid1(VALU_DEP_1)
	v_dual_cndmask_b32 v21, v21, v18, s1 :: v_dual_cndmask_b32 v18, v18, v19, s1
	v_alignbit_b32 v24, v21, v18, v22
	s_delay_alu instid0(VALU_DEP_1) | instskip(NEXT) | instid1(VALU_DEP_1)
	v_dual_cndmask_b32 v19, v19, v23, s1 :: v_dual_cndmask_b32 v4, v24, v21, vcc_lo
	v_alignbit_b32 v20, v18, v19, v22
	s_delay_alu instid0(VALU_DEP_1) | instskip(NEXT) | instid1(VALU_DEP_3)
	v_dual_cndmask_b32 v16, v17, v16, s0 :: v_dual_cndmask_b32 v17, v20, v18, vcc_lo
	v_bfe_u32 v18, v4, 29, 1
	s_delay_alu instid0(VALU_DEP_2) | instskip(NEXT) | instid1(VALU_DEP_3)
	v_cndmask_b32_e64 v16, v23, v16, s1
	v_alignbit_b32 v20, v4, v17, 30
	s_delay_alu instid0(VALU_DEP_3) | instskip(NEXT) | instid1(VALU_DEP_3)
	v_sub_nc_u32_e32 v21, 0, v18
	v_alignbit_b32 v22, v19, v16, v22
	s_delay_alu instid0(VALU_DEP_1) | instskip(NEXT) | instid1(VALU_DEP_1)
	v_dual_cndmask_b32 v19, v22, v19, vcc_lo :: v_dual_bitop2_b32 v20, v20, v21 bitop3:0x14
	v_clz_i32_u32_e32 v22, v20
	s_delay_alu instid0(VALU_DEP_2) | instskip(SKIP_1) | instid1(VALU_DEP_3)
	v_alignbit_b32 v17, v17, v19, 30
	v_alignbit_b32 v16, v19, v16, 30
	v_min_u32_e32 v22, 32, v22
	s_delay_alu instid0(VALU_DEP_3) | instskip(NEXT) | instid1(VALU_DEP_3)
	v_xor_b32_e32 v17, v17, v21
	v_dual_lshrrev_b32 v21, 29, v4 :: v_dual_bitop2_b32 v16, v16, v21 bitop3:0x14
	s_delay_alu instid0(VALU_DEP_3) | instskip(NEXT) | instid1(VALU_DEP_1)
	v_dual_sub_nc_u32 v19, 31, v22 :: v_dual_lshlrev_b32 v23, 23, v22
	v_alignbit_b32 v20, v20, v17, v19
	s_delay_alu instid0(VALU_DEP_3) | instskip(NEXT) | instid1(VALU_DEP_4)
	v_alignbit_b32 v16, v17, v16, v19
	v_lshlrev_b32_e32 v17, 31, v21
	s_delay_alu instid0(VALU_DEP_2) | instskip(NEXT) | instid1(VALU_DEP_2)
	v_alignbit_b32 v19, v20, v16, 9
	v_dual_lshrrev_b32 v20, 9, v20 :: v_dual_bitop2_b32 v21, 0.5, v17 bitop3:0x54
	v_or_b32_e32 v17, 0x33000000, v17
	s_delay_alu instid0(VALU_DEP_3) | instskip(NEXT) | instid1(VALU_DEP_3)
	v_clz_i32_u32_e32 v24, v19
	v_sub_nc_u32_e32 v21, v21, v23
	s_delay_alu instid0(VALU_DEP_2) | instskip(NEXT) | instid1(VALU_DEP_1)
	v_min_u32_e32 v23, 32, v24
	v_add_lshl_u32 v22, v23, v22, 23
	s_delay_alu instid0(VALU_DEP_3) | instskip(SKIP_1) | instid1(VALU_DEP_2)
	v_or_b32_e32 v20, v20, v21
	v_not_b32_e32 v21, v23
	v_dual_mul_f32 v24, 0x3fc90fda, v20 :: v_dual_sub_nc_u32 v17, v17, v22
	s_delay_alu instid0(VALU_DEP_2) | instskip(NEXT) | instid1(VALU_DEP_2)
	v_alignbit_b32 v16, v19, v16, v21
	v_fma_f32 v19, 0x3fc90fda, v20, -v24
	s_delay_alu instid0(VALU_DEP_2) | instskip(NEXT) | instid1(VALU_DEP_2)
	v_lshrrev_b32_e32 v16, 9, v16
	v_fmac_f32_e32 v19, 0x33a22168, v20
	s_delay_alu instid0(VALU_DEP_2) | instskip(NEXT) | instid1(VALU_DEP_1)
	v_or_b32_e32 v16, v17, v16
	v_fmac_f32_e32 v19, 0x3fc90fda, v16
	s_delay_alu instid0(VALU_DEP_1) | instskip(NEXT) | instid1(VALU_DEP_1)
	v_dual_lshrrev_b32 v4, 30, v4 :: v_dual_add_f32 v16, v24, v19
	v_add_nc_u32_e32 v17, v18, v4
.LBB224_51:                             ;   in Loop: Header=BB224_41 Depth=1
	s_and_not1_saveexec_b32 s0, s12
; %bb.52:                               ;   in Loop: Header=BB224_41 Depth=1
	v_mul_f32_e64 v4, 0x3f22f983, |v8|
	s_delay_alu instid0(VALU_DEP_1) | instskip(NEXT) | instid1(VALU_DEP_1)
	v_rndne_f32_e32 v4, v4
	v_fma_f32 v16, 0xbfc90fda, v4, |v8|
	v_cvt_i32_f32_e32 v17, v4
	s_delay_alu instid0(VALU_DEP_2) | instskip(NEXT) | instid1(VALU_DEP_1)
	v_fmac_f32_e32 v16, 0xb3a22168, v4
	v_fmac_f32_e32 v16, 0xa7c234c4, v4
; %bb.53:                               ;   in Loop: Header=BB224_41 Depth=1
	s_or_b32 exec_lo, exec_lo, s0
	v_and_b32_e32 v9, 0xffff0000, v9
                                        ; implicit-def: $vgpr18
                                        ; implicit-def: $vgpr4
	s_mov_b32 s1, exec_lo
	s_delay_alu instid0(VALU_DEP_1)
	v_cmpx_ngt_f32_e64 0x48000000, |v9|
	s_xor_b32 s12, exec_lo, s1
	s_cbranch_execz .LBB224_55
; %bb.54:                               ;   in Loop: Header=BB224_41 Depth=1
	v_and_b32_e32 v28, 0x7fffffff, v9
	v_mov_b32_e32 v29, v5
	s_delay_alu instid0(VALU_DEP_2) | instskip(NEXT) | instid1(VALU_DEP_1)
	v_and_or_b32 v4, v28, s8, 0x800000
	v_mul_u64_e32 v[18:19], s[4:5], v[4:5]
	s_delay_alu instid0(VALU_DEP_1) | instskip(SKIP_1) | instid1(VALU_DEP_2)
	v_dual_mov_b32 v21, v5 :: v_dual_mov_b32 v20, v19
	v_lshrrev_b32_e32 v19, 23, v28
	v_mad_nc_u64_u32 v[20:21], 0x3c439041, v4, v[20:21]
	v_mov_b32_e32 v23, v5
	s_delay_alu instid0(VALU_DEP_3) | instskip(NEXT) | instid1(VALU_DEP_1)
	v_add_nc_u32_e32 v19, 0xffffff88, v19
	v_cmp_lt_u32_e32 vcc_lo, 63, v19
	s_delay_alu instid0(VALU_DEP_4) | instskip(SKIP_1) | instid1(VALU_DEP_2)
	v_mov_b32_e32 v22, v21
	v_cndmask_b32_e64 v21, 0, 0xffffffc0, vcc_lo
	v_mad_nc_u64_u32 v[22:23], 0xdb629599, v4, v[22:23]
	s_delay_alu instid0(VALU_DEP_1) | instskip(NEXT) | instid1(VALU_DEP_2)
	v_dual_mov_b32 v25, v5 :: v_dual_mov_b32 v24, v23
	v_cndmask_b32_e32 v18, v22, v18, vcc_lo
	s_delay_alu instid0(VALU_DEP_2) | instskip(NEXT) | instid1(VALU_DEP_1)
	v_mad_nc_u64_u32 v[24:25], 0xf534ddc0, v4, v[24:25]
	v_dual_mov_b32 v27, v5 :: v_dual_mov_b32 v26, v25
	s_delay_alu instid0(VALU_DEP_1) | instskip(NEXT) | instid1(VALU_DEP_1)
	v_mad_nc_u64_u32 v[26:27], 0xfc2757d1, v4, v[26:27]
	v_mov_b32_e32 v28, v27
	s_delay_alu instid0(VALU_DEP_1) | instskip(SKIP_2) | instid1(VALU_DEP_2)
	v_mad_nc_u64_u32 v[28:29], 0x4e441529, v4, v[28:29]
	v_add_nc_u32_e32 v19, v21, v19
	v_mov_b32_e32 v31, v5
	v_cmp_lt_u32_e64 s0, 31, v19
	s_delay_alu instid0(VALU_DEP_4) | instskip(NEXT) | instid1(VALU_DEP_2)
	v_mov_b32_e32 v30, v29
	v_cndmask_b32_e64 v21, 0, 0xffffffe0, s0
	s_delay_alu instid0(VALU_DEP_2) | instskip(NEXT) | instid1(VALU_DEP_2)
	v_mad_nc_u64_u32 v[30:31], 0xa2f9836e, v4, v[30:31]
	v_dual_cndmask_b32 v21, v28, v24 :: v_dual_add_nc_u32 v4, v21, v19
	s_delay_alu instid0(VALU_DEP_2) | instskip(NEXT) | instid1(VALU_DEP_2)
	v_cndmask_b32_e32 v23, v30, v26, vcc_lo
	v_cmp_lt_u32_e64 s1, 31, v4
	s_delay_alu instid0(VALU_DEP_4) | instskip(NEXT) | instid1(VALU_DEP_2)
	v_dual_cndmask_b32 v25, v31, v28 :: v_dual_cndmask_b32 v26, v26, v22
	v_cndmask_b32_e64 v19, 0, 0xffffffe0, s1
	s_delay_alu instid0(VALU_DEP_1) | instskip(SKIP_1) | instid1(VALU_DEP_4)
	v_add_nc_u32_e32 v4, v19, v4
	v_dual_cndmask_b32 v19, v24, v20, vcc_lo :: v_dual_cndmask_b32 v20, v23, v21, s0
	v_cndmask_b32_e64 v23, v25, v23, s0
	s_delay_alu instid0(VALU_DEP_3) | instskip(NEXT) | instid1(VALU_DEP_3)
	v_dual_cndmask_b32 v21, v21, v26, s0 :: v_dual_sub_nc_u32 v24, 32, v4
	v_cndmask_b32_e64 v25, v26, v19, s0
	v_cmp_eq_u32_e32 vcc_lo, 0, v4
	s_delay_alu instid0(VALU_DEP_3) | instskip(NEXT) | instid1(VALU_DEP_1)
	v_dual_cndmask_b32 v23, v23, v20, s1 :: v_dual_cndmask_b32 v20, v20, v21, s1
	v_alignbit_b32 v26, v23, v20, v24
	s_delay_alu instid0(VALU_DEP_1) | instskip(NEXT) | instid1(VALU_DEP_1)
	v_dual_cndmask_b32 v21, v21, v25, s1 :: v_dual_cndmask_b32 v4, v26, v23, vcc_lo
	v_alignbit_b32 v22, v20, v21, v24
	s_delay_alu instid0(VALU_DEP_1) | instskip(NEXT) | instid1(VALU_DEP_3)
	v_dual_cndmask_b32 v18, v19, v18, s0 :: v_dual_cndmask_b32 v19, v22, v20, vcc_lo
	v_bfe_u32 v20, v4, 29, 1
	s_delay_alu instid0(VALU_DEP_2) | instskip(NEXT) | instid1(VALU_DEP_3)
	v_cndmask_b32_e64 v18, v25, v18, s1
	v_alignbit_b32 v22, v4, v19, 30
	s_delay_alu instid0(VALU_DEP_3) | instskip(NEXT) | instid1(VALU_DEP_3)
	v_sub_nc_u32_e32 v23, 0, v20
	v_alignbit_b32 v24, v21, v18, v24
	s_delay_alu instid0(VALU_DEP_1) | instskip(NEXT) | instid1(VALU_DEP_1)
	v_dual_cndmask_b32 v21, v24, v21, vcc_lo :: v_dual_bitop2_b32 v22, v22, v23 bitop3:0x14
	v_clz_i32_u32_e32 v24, v22
	s_delay_alu instid0(VALU_DEP_2) | instskip(SKIP_1) | instid1(VALU_DEP_3)
	v_alignbit_b32 v19, v19, v21, 30
	v_alignbit_b32 v18, v21, v18, 30
	v_min_u32_e32 v24, 32, v24
	s_delay_alu instid0(VALU_DEP_3) | instskip(NEXT) | instid1(VALU_DEP_3)
	v_xor_b32_e32 v19, v19, v23
	v_dual_lshrrev_b32 v23, 29, v4 :: v_dual_bitop2_b32 v18, v18, v23 bitop3:0x14
	s_delay_alu instid0(VALU_DEP_3) | instskip(NEXT) | instid1(VALU_DEP_1)
	v_dual_sub_nc_u32 v21, 31, v24 :: v_dual_lshlrev_b32 v25, 23, v24
	v_alignbit_b32 v22, v22, v19, v21
	s_delay_alu instid0(VALU_DEP_3) | instskip(NEXT) | instid1(VALU_DEP_4)
	v_alignbit_b32 v18, v19, v18, v21
	v_lshlrev_b32_e32 v19, 31, v23
	s_delay_alu instid0(VALU_DEP_2) | instskip(NEXT) | instid1(VALU_DEP_2)
	v_alignbit_b32 v21, v22, v18, 9
	v_dual_lshrrev_b32 v22, 9, v22 :: v_dual_bitop2_b32 v23, 0.5, v19 bitop3:0x54
	v_or_b32_e32 v19, 0x33000000, v19
	s_delay_alu instid0(VALU_DEP_3) | instskip(NEXT) | instid1(VALU_DEP_3)
	v_clz_i32_u32_e32 v26, v21
	v_sub_nc_u32_e32 v23, v23, v25
	s_delay_alu instid0(VALU_DEP_2) | instskip(NEXT) | instid1(VALU_DEP_1)
	v_min_u32_e32 v25, 32, v26
	v_add_lshl_u32 v24, v25, v24, 23
	s_delay_alu instid0(VALU_DEP_3) | instskip(SKIP_1) | instid1(VALU_DEP_2)
	v_or_b32_e32 v22, v22, v23
	v_not_b32_e32 v23, v25
	v_dual_mul_f32 v26, 0x3fc90fda, v22 :: v_dual_sub_nc_u32 v19, v19, v24
	s_delay_alu instid0(VALU_DEP_2) | instskip(NEXT) | instid1(VALU_DEP_2)
	v_alignbit_b32 v18, v21, v18, v23
	v_fma_f32 v21, 0x3fc90fda, v22, -v26
	s_delay_alu instid0(VALU_DEP_2) | instskip(NEXT) | instid1(VALU_DEP_2)
	v_lshrrev_b32_e32 v18, 9, v18
	v_fmac_f32_e32 v21, 0x33a22168, v22
	s_delay_alu instid0(VALU_DEP_2) | instskip(NEXT) | instid1(VALU_DEP_1)
	v_or_b32_e32 v18, v19, v18
	v_dual_fmac_f32 v21, 0x3fc90fda, v18 :: v_dual_lshrrev_b32 v18, 30, v4
	s_delay_alu instid0(VALU_DEP_1)
	v_dual_add_nc_u32 v18, v20, v18 :: v_dual_add_f32 v4, v26, v21
.LBB224_55:                             ;   in Loop: Header=BB224_41 Depth=1
	s_and_not1_saveexec_b32 s0, s12
	s_cbranch_execz .LBB224_40
; %bb.56:                               ;   in Loop: Header=BB224_41 Depth=1
	v_mul_f32_e64 v4, 0x3f22f983, |v9|
	s_delay_alu instid0(VALU_DEP_1) | instskip(NEXT) | instid1(VALU_DEP_1)
	v_rndne_f32_e32 v18, v4
	v_fma_f32 v4, 0xbfc90fda, v18, |v9|
	s_delay_alu instid0(VALU_DEP_1) | instskip(NEXT) | instid1(VALU_DEP_1)
	v_fmac_f32_e32 v4, 0xb3a22168, v18
	v_fmac_f32_e32 v4, 0xa7c234c4, v18
	v_cvt_i32_f32_e32 v18, v18
	s_branch .LBB224_40
.LBB224_57:
	s_endpgm
	.section	.rodata,"a",@progbits
	.p2align	6, 0x0
	.amdhsa_kernel _ZN2at6native12_GLOBAL__N_125multi_tensor_apply_kernelINS1_18TensorListMetadataILi1EEENS1_14UnaryOpFunctorIN3c108BFloat16ELi1ELi1ELi0EEEJNS0_3CosIfEEEEEvT_T0_DpT1_
		.amdhsa_group_segment_fixed_size 0
		.amdhsa_private_segment_fixed_size 0
		.amdhsa_kernarg_size 3632
		.amdhsa_user_sgpr_count 2
		.amdhsa_user_sgpr_dispatch_ptr 0
		.amdhsa_user_sgpr_queue_ptr 0
		.amdhsa_user_sgpr_kernarg_segment_ptr 1
		.amdhsa_user_sgpr_dispatch_id 0
		.amdhsa_user_sgpr_kernarg_preload_length 0
		.amdhsa_user_sgpr_kernarg_preload_offset 0
		.amdhsa_user_sgpr_private_segment_size 0
		.amdhsa_wavefront_size32 1
		.amdhsa_uses_dynamic_stack 0
		.amdhsa_enable_private_segment 0
		.amdhsa_system_sgpr_workgroup_id_x 1
		.amdhsa_system_sgpr_workgroup_id_y 0
		.amdhsa_system_sgpr_workgroup_id_z 0
		.amdhsa_system_sgpr_workgroup_info 0
		.amdhsa_system_vgpr_workitem_id 0
		.amdhsa_next_free_vgpr 46
		.amdhsa_next_free_sgpr 28
		.amdhsa_named_barrier_count 0
		.amdhsa_reserve_vcc 1
		.amdhsa_float_round_mode_32 0
		.amdhsa_float_round_mode_16_64 0
		.amdhsa_float_denorm_mode_32 3
		.amdhsa_float_denorm_mode_16_64 3
		.amdhsa_fp16_overflow 0
		.amdhsa_memory_ordered 1
		.amdhsa_forward_progress 1
		.amdhsa_inst_pref_size 71
		.amdhsa_round_robin_scheduling 0
		.amdhsa_exception_fp_ieee_invalid_op 0
		.amdhsa_exception_fp_denorm_src 0
		.amdhsa_exception_fp_ieee_div_zero 0
		.amdhsa_exception_fp_ieee_overflow 0
		.amdhsa_exception_fp_ieee_underflow 0
		.amdhsa_exception_fp_ieee_inexact 0
		.amdhsa_exception_int_div_zero 0
	.end_amdhsa_kernel
	.section	.text._ZN2at6native12_GLOBAL__N_125multi_tensor_apply_kernelINS1_18TensorListMetadataILi1EEENS1_14UnaryOpFunctorIN3c108BFloat16ELi1ELi1ELi0EEEJNS0_3CosIfEEEEEvT_T0_DpT1_,"axG",@progbits,_ZN2at6native12_GLOBAL__N_125multi_tensor_apply_kernelINS1_18TensorListMetadataILi1EEENS1_14UnaryOpFunctorIN3c108BFloat16ELi1ELi1ELi0EEEJNS0_3CosIfEEEEEvT_T0_DpT1_,comdat
.Lfunc_end224:
	.size	_ZN2at6native12_GLOBAL__N_125multi_tensor_apply_kernelINS1_18TensorListMetadataILi1EEENS1_14UnaryOpFunctorIN3c108BFloat16ELi1ELi1ELi0EEEJNS0_3CosIfEEEEEvT_T0_DpT1_, .Lfunc_end224-_ZN2at6native12_GLOBAL__N_125multi_tensor_apply_kernelINS1_18TensorListMetadataILi1EEENS1_14UnaryOpFunctorIN3c108BFloat16ELi1ELi1ELi0EEEJNS0_3CosIfEEEEEvT_T0_DpT1_
                                        ; -- End function
	.set _ZN2at6native12_GLOBAL__N_125multi_tensor_apply_kernelINS1_18TensorListMetadataILi1EEENS1_14UnaryOpFunctorIN3c108BFloat16ELi1ELi1ELi0EEEJNS0_3CosIfEEEEEvT_T0_DpT1_.num_vgpr, 46
	.set _ZN2at6native12_GLOBAL__N_125multi_tensor_apply_kernelINS1_18TensorListMetadataILi1EEENS1_14UnaryOpFunctorIN3c108BFloat16ELi1ELi1ELi0EEEJNS0_3CosIfEEEEEvT_T0_DpT1_.num_agpr, 0
	.set _ZN2at6native12_GLOBAL__N_125multi_tensor_apply_kernelINS1_18TensorListMetadataILi1EEENS1_14UnaryOpFunctorIN3c108BFloat16ELi1ELi1ELi0EEEJNS0_3CosIfEEEEEvT_T0_DpT1_.numbered_sgpr, 28
	.set _ZN2at6native12_GLOBAL__N_125multi_tensor_apply_kernelINS1_18TensorListMetadataILi1EEENS1_14UnaryOpFunctorIN3c108BFloat16ELi1ELi1ELi0EEEJNS0_3CosIfEEEEEvT_T0_DpT1_.num_named_barrier, 0
	.set _ZN2at6native12_GLOBAL__N_125multi_tensor_apply_kernelINS1_18TensorListMetadataILi1EEENS1_14UnaryOpFunctorIN3c108BFloat16ELi1ELi1ELi0EEEJNS0_3CosIfEEEEEvT_T0_DpT1_.private_seg_size, 0
	.set _ZN2at6native12_GLOBAL__N_125multi_tensor_apply_kernelINS1_18TensorListMetadataILi1EEENS1_14UnaryOpFunctorIN3c108BFloat16ELi1ELi1ELi0EEEJNS0_3CosIfEEEEEvT_T0_DpT1_.uses_vcc, 1
	.set _ZN2at6native12_GLOBAL__N_125multi_tensor_apply_kernelINS1_18TensorListMetadataILi1EEENS1_14UnaryOpFunctorIN3c108BFloat16ELi1ELi1ELi0EEEJNS0_3CosIfEEEEEvT_T0_DpT1_.uses_flat_scratch, 0
	.set _ZN2at6native12_GLOBAL__N_125multi_tensor_apply_kernelINS1_18TensorListMetadataILi1EEENS1_14UnaryOpFunctorIN3c108BFloat16ELi1ELi1ELi0EEEJNS0_3CosIfEEEEEvT_T0_DpT1_.has_dyn_sized_stack, 0
	.set _ZN2at6native12_GLOBAL__N_125multi_tensor_apply_kernelINS1_18TensorListMetadataILi1EEENS1_14UnaryOpFunctorIN3c108BFloat16ELi1ELi1ELi0EEEJNS0_3CosIfEEEEEvT_T0_DpT1_.has_recursion, 0
	.set _ZN2at6native12_GLOBAL__N_125multi_tensor_apply_kernelINS1_18TensorListMetadataILi1EEENS1_14UnaryOpFunctorIN3c108BFloat16ELi1ELi1ELi0EEEJNS0_3CosIfEEEEEvT_T0_DpT1_.has_indirect_call, 0
	.section	.AMDGPU.csdata,"",@progbits
; Kernel info:
; codeLenInByte = 9052
; TotalNumSgprs: 30
; NumVgprs: 46
; ScratchSize: 0
; MemoryBound: 0
; FloatMode: 240
; IeeeMode: 1
; LDSByteSize: 0 bytes/workgroup (compile time only)
; SGPRBlocks: 0
; VGPRBlocks: 2
; NumSGPRsForWavesPerEU: 30
; NumVGPRsForWavesPerEU: 46
; NamedBarCnt: 0
; Occupancy: 16
; WaveLimiterHint : 0
; COMPUTE_PGM_RSRC2:SCRATCH_EN: 0
; COMPUTE_PGM_RSRC2:USER_SGPR: 2
; COMPUTE_PGM_RSRC2:TRAP_HANDLER: 0
; COMPUTE_PGM_RSRC2:TGID_X_EN: 1
; COMPUTE_PGM_RSRC2:TGID_Y_EN: 0
; COMPUTE_PGM_RSRC2:TGID_Z_EN: 0
; COMPUTE_PGM_RSRC2:TIDIG_COMP_CNT: 0
	.section	.text._ZN2at6native12_GLOBAL__N_125multi_tensor_apply_kernelINS1_18TensorListMetadataILi2EEENS1_14UnaryOpFunctorIdLi2ELi1ELi1EEEJNS0_4SqrtIdEEEEEvT_T0_DpT1_,"axG",@progbits,_ZN2at6native12_GLOBAL__N_125multi_tensor_apply_kernelINS1_18TensorListMetadataILi2EEENS1_14UnaryOpFunctorIdLi2ELi1ELi1EEEJNS0_4SqrtIdEEEEEvT_T0_DpT1_,comdat
	.globl	_ZN2at6native12_GLOBAL__N_125multi_tensor_apply_kernelINS1_18TensorListMetadataILi2EEENS1_14UnaryOpFunctorIdLi2ELi1ELi1EEEJNS0_4SqrtIdEEEEEvT_T0_DpT1_ ; -- Begin function _ZN2at6native12_GLOBAL__N_125multi_tensor_apply_kernelINS1_18TensorListMetadataILi2EEENS1_14UnaryOpFunctorIdLi2ELi1ELi1EEEJNS0_4SqrtIdEEEEEvT_T0_DpT1_
	.p2align	8
	.type	_ZN2at6native12_GLOBAL__N_125multi_tensor_apply_kernelINS1_18TensorListMetadataILi2EEENS1_14UnaryOpFunctorIdLi2ELi1ELi1EEEJNS0_4SqrtIdEEEEEvT_T0_DpT1_,@function
_ZN2at6native12_GLOBAL__N_125multi_tensor_apply_kernelINS1_18TensorListMetadataILi2EEENS1_14UnaryOpFunctorIdLi2ELi1ELi1EEEJNS0_4SqrtIdEEEEEvT_T0_DpT1_: ; @_ZN2at6native12_GLOBAL__N_125multi_tensor_apply_kernelINS1_18TensorListMetadataILi2EEENS1_14UnaryOpFunctorIdLi2ELi1ELi1EEEJNS0_4SqrtIdEEEEEvT_T0_DpT1_
; %bb.0:
	s_bfe_u32 s2, ttmp6, 0x4000c
	s_and_b32 s3, ttmp6, 15
	s_add_co_i32 s2, s2, 1
	s_getreg_b32 s4, hwreg(HW_REG_IB_STS2, 6, 4)
	s_mul_i32 s2, ttmp9, s2
	s_delay_alu instid0(SALU_CYCLE_1)
	s_add_co_i32 s3, s3, s2
	s_cmp_eq_u32 s4, 0
	s_cselect_b32 s2, ttmp9, s3
	s_mov_b32 s3, 0
	s_load_u8 s13, s[0:1], s2 offset:0x600
	s_add_nc_u64 s[4:5], s[0:1], s[2:3]
	s_mul_u64 s[6:7], s[2:3], 3
	s_delay_alu instid0(SALU_CYCLE_1)
	s_add_nc_u64 s[4:5], s[4:5], s[6:7]
	s_load_b32 s12, s[4:5], 0x740
	s_wait_kmcnt 0x0
	s_clause 0x2
	s_load_b64 s[8:9], s[0:1], s13 offset:0x0 scale_offset
	s_load_b64 s[10:11], s[0:1], s13 offset:0x200 scale_offset
	;; [unrolled: 1-line block ×3, first 2 shown]
	s_mov_b32 s5, s3
	s_wait_xcnt 0x0
	s_ashr_i32 s13, s12, 31
	s_delay_alu instid0(SALU_CYCLE_1)
	s_lshl_b64 s[6:7], s[12:13], 19
	s_wait_kmcnt 0x0
	s_and_b64 s[18:19], s[10:11], 31
	s_add_nc_u64 s[16:17], s[8:9], s[6:7]
	s_and_b32 s4, s14, 3
	s_and_b32 s2, s16, 31
	s_or_b64 s[4:5], s[18:19], s[4:5]
	s_lshl_b64 s[12:13], s[12:13], 16
	s_or_b64 s[2:3], s[4:5], s[2:3]
	s_sub_nc_u64 s[12:13], s[14:15], s[12:13]
	s_cmp_eq_u64 s[2:3], 0
	s_mov_b32 s2, -1
	s_cbranch_scc0 .LBB225_5
; %bb.1:
	v_min_i64 v[2:3], 0x10000, s[12:13]
	v_dual_mov_b32 v5, 0 :: v_dual_lshlrev_b32 v4, 2, v0
	s_mov_b32 s18, exec_lo
	s_delay_alu instid0(VALU_DEP_1)
	v_cmpx_lt_i64_e64 v[4:5], v[2:3]
	s_cbranch_execz .LBB225_4
; %bb.2:
	s_load_b32 s2, s[0:1], 0xc5c
	v_dual_mov_b32 v1, v5 :: v_dual_lshlrev_b32 v4, 5, v0
	s_mov_b32 s15, 0
	s_delay_alu instid0(SALU_CYCLE_1) | instskip(NEXT) | instid1(VALU_DEP_1)
	s_mov_b32 s17, s15
	v_add_nc_u64_e32 v[4:5], s[6:7], v[4:5]
	s_delay_alu instid0(VALU_DEP_2) | instskip(SKIP_3) | instid1(SALU_CYCLE_1)
	v_mov_b64_e32 v[6:7], v[0:1]
	s_mov_b32 s19, s15
	s_wait_kmcnt 0x0
	s_and_b32 s14, s2, 0xffff
	s_lshl_b32 s16, s14, 5
.LBB225_3:                              ; =>This Inner Loop Header: Depth=1
	s_delay_alu instid0(VALU_DEP_2) | instskip(NEXT) | instid1(VALU_DEP_2)
	v_add_nc_u64_e32 v[16:17], s[8:9], v[4:5]
	v_add_nc_u64_e32 v[6:7], s[14:15], v[6:7]
	s_clause 0x1
	global_load_b128 v[8:11], v[16:17], off
	global_load_b128 v[12:15], v[16:17], off offset:16
	s_wait_loadcnt 0x1
	v_cmp_gt_f64_e64 s2, 0x10000000, v[10:11]
	s_wait_loadcnt 0x0
	v_cmp_gt_f64_e64 s4, 0x10000000, v[14:15]
	v_cmp_gt_f64_e32 vcc_lo, 0x10000000, v[8:9]
	v_cmp_gt_f64_e64 s3, 0x10000000, v[12:13]
	s_wait_xcnt 0x0
	s_delay_alu instid0(VALU_DEP_4) | instskip(NEXT) | instid1(VALU_DEP_4)
	v_cndmask_b32_e64 v16, 0, 0x100, s2
	v_cndmask_b32_e64 v18, 0, 0x100, s4
	v_cndmask_b32_e64 v1, 0, 0x100, vcc_lo
	s_delay_alu instid0(VALU_DEP_4) | instskip(NEXT) | instid1(VALU_DEP_4)
	v_cndmask_b32_e64 v17, 0, 0x100, s3
	v_ldexp_f64 v[10:11], v[10:11], v16
	s_delay_alu instid0(VALU_DEP_4) | instskip(NEXT) | instid1(VALU_DEP_4)
	v_ldexp_f64 v[14:15], v[14:15], v18
	v_ldexp_f64 v[8:9], v[8:9], v1
	v_cndmask_b32_e64 v1, 0, 0xffffff80, vcc_lo
	v_ldexp_f64 v[12:13], v[12:13], v17
	v_rsq_f64_e32 v[18:19], v[10:11]
	s_delay_alu instid0(VALU_DEP_4) | instskip(NEXT) | instid1(VALU_DEP_3)
	v_rsq_f64_e32 v[22:23], v[14:15]
	v_cmp_class_f64_e64 vcc_lo, v[8:9], 0x260
	v_rsq_f64_e32 v[16:17], v[8:9]
	s_delay_alu instid0(VALU_DEP_2) | instskip(SKIP_2) | instid1(TRANS32_DEP_3)
	v_rsq_f64_e32 v[20:21], v[12:13]
	v_mul_f64_e32 v[26:27], v[10:11], v[18:19]
	v_mul_f64_e32 v[18:19], 0.5, v[18:19]
	v_mul_f64_e32 v[30:31], v[14:15], v[22:23]
	v_mul_f64_e32 v[22:23], 0.5, v[22:23]
	s_delay_alu instid0(VALU_DEP_3) | instskip(NEXT) | instid1(VALU_DEP_2)
	v_fma_f64 v[34:35], -v[18:19], v[26:27], 0.5
	v_fma_f64 v[38:39], -v[22:23], v[30:31], 0.5
	s_delay_alu instid0(VALU_DEP_2) | instskip(SKIP_1) | instid1(VALU_DEP_3)
	v_fmac_f64_e32 v[26:27], v[26:27], v[34:35]
	v_fmac_f64_e32 v[18:19], v[18:19], v[34:35]
	;; [unrolled: 1-line block ×4, first 2 shown]
	s_delay_alu instid0(VALU_DEP_4) | instskip(NEXT) | instid1(VALU_DEP_3)
	v_fma_f64 v[34:35], -v[26:27], v[26:27], v[10:11]
	v_fma_f64 v[38:39], -v[30:31], v[30:31], v[14:15]
	s_delay_alu instid0(VALU_DEP_2) | instskip(NEXT) | instid1(VALU_DEP_2)
	v_fmac_f64_e32 v[26:27], v[34:35], v[18:19]
	v_fmac_f64_e32 v[30:31], v[38:39], v[22:23]
	s_delay_alu instid0(VALU_DEP_2) | instskip(NEXT) | instid1(VALU_DEP_2)
	v_fma_f64 v[34:35], -v[26:27], v[26:27], v[10:11]
	v_fma_f64 v[38:39], -v[30:31], v[30:31], v[14:15]
	s_delay_alu instid0(VALU_DEP_2) | instskip(SKIP_1) | instid1(VALU_DEP_3)
	v_fmac_f64_e32 v[26:27], v[34:35], v[18:19]
	v_cndmask_b32_e64 v18, 0, 0xffffff80, s2
	v_fmac_f64_e32 v[30:31], v[38:39], v[22:23]
	v_cndmask_b32_e64 v22, 0, 0xffffff80, s4
	v_cmp_class_f64_e64 s2, v[10:11], 0x260
	v_cmp_class_f64_e64 s4, v[14:15], 0x260
	v_ldexp_f64 v[18:19], v[26:27], v18
	s_delay_alu instid0(TRANS32_DEP_2) | instskip(SKIP_2) | instid1(TRANS32_DEP_1)
	v_mul_f64_e32 v[24:25], v[8:9], v[16:17]
	v_mul_f64_e32 v[16:17], 0.5, v[16:17]
	v_ldexp_f64 v[22:23], v[30:31], v22
	v_mul_f64_e32 v[28:29], v[12:13], v[20:21]
	v_mul_f64_e32 v[20:21], 0.5, v[20:21]
	v_add_nc_u64_e32 v[26:27], s[10:11], v[4:5]
	v_add_nc_u64_e32 v[4:5], s[16:17], v[4:5]
	v_dual_cndmask_b32 v11, v19, v11, s2 :: v_dual_cndmask_b32 v10, v18, v10, s2
	v_fma_f64 v[32:33], -v[16:17], v[24:25], 0.5
	v_dual_cndmask_b32 v15, v23, v15, s4 :: v_dual_cndmask_b32 v14, v22, v14, s4
	v_fma_f64 v[36:37], -v[20:21], v[28:29], 0.5
	s_delay_alu instid0(VALU_DEP_3) | instskip(SKIP_1) | instid1(VALU_DEP_3)
	v_fmac_f64_e32 v[24:25], v[24:25], v[32:33]
	v_fmac_f64_e32 v[16:17], v[16:17], v[32:33]
	;; [unrolled: 1-line block ×4, first 2 shown]
	s_delay_alu instid0(VALU_DEP_4) | instskip(NEXT) | instid1(VALU_DEP_3)
	v_fma_f64 v[32:33], -v[24:25], v[24:25], v[8:9]
	v_fma_f64 v[36:37], -v[28:29], v[28:29], v[12:13]
	s_delay_alu instid0(VALU_DEP_2) | instskip(NEXT) | instid1(VALU_DEP_2)
	v_fmac_f64_e32 v[24:25], v[32:33], v[16:17]
	v_fmac_f64_e32 v[28:29], v[36:37], v[20:21]
	s_delay_alu instid0(VALU_DEP_2) | instskip(NEXT) | instid1(VALU_DEP_2)
	v_fma_f64 v[32:33], -v[24:25], v[24:25], v[8:9]
	v_fma_f64 v[36:37], -v[28:29], v[28:29], v[12:13]
	s_delay_alu instid0(VALU_DEP_2) | instskip(NEXT) | instid1(VALU_DEP_2)
	v_fmac_f64_e32 v[24:25], v[32:33], v[16:17]
	v_fmac_f64_e32 v[28:29], v[36:37], v[20:21]
	v_cndmask_b32_e64 v20, 0, 0xffffff80, s3
	v_cmp_class_f64_e64 s3, v[12:13], 0x260
	s_delay_alu instid0(VALU_DEP_4) | instskip(SKIP_1) | instid1(VALU_DEP_4)
	v_ldexp_f64 v[16:17], v[24:25], v1
	v_lshlrev_b64_e32 v[24:25], 2, v[6:7]
	v_ldexp_f64 v[20:21], v[28:29], v20
	s_delay_alu instid0(VALU_DEP_2)
	v_cmp_ge_i64_e64 s5, v[24:25], v[2:3]
	s_or_b32 s19, s5, s19
	v_dual_cndmask_b32 v9, v17, v9 :: v_dual_cndmask_b32 v8, v16, v8
	v_dual_cndmask_b32 v13, v21, v13, s3 :: v_dual_cndmask_b32 v12, v20, v12, s3
	s_clause 0x1
	global_store_b128 v[26:27], v[8:11], off
	global_store_b128 v[26:27], v[12:15], off offset:16
	s_wait_xcnt 0x0
	s_and_not1_b32 exec_lo, exec_lo, s19
	s_cbranch_execnz .LBB225_3
.LBB225_4:
	s_or_b32 exec_lo, exec_lo, s18
	s_mov_b32 s2, 0
.LBB225_5:
	s_delay_alu instid0(SALU_CYCLE_1)
	s_and_not1_b32 vcc_lo, exec_lo, s2
	s_cbranch_vccnz .LBB225_25
; %bb.6:
	v_cmp_lt_i64_e64 s2, s[12:13], 1
	s_and_b32 vcc_lo, exec_lo, s2
	s_cbranch_vccnz .LBB225_25
; %bb.7:
	s_load_b32 s0, s[0:1], 0xc5c
	v_min_i64 v[2:3], 0x10000, s[12:13]
	v_min_u64 v[4:5], 0x10000, s[12:13]
	v_dual_mov_b32 v1, 0 :: v_dual_lshlrev_b32 v10, 3, v0
	s_wait_xcnt 0x0
	s_mov_b32 s1, 0
	s_delay_alu instid0(SALU_CYCLE_1) | instskip(NEXT) | instid1(VALU_DEP_1)
	s_mov_b32 s13, s1
	v_dual_mov_b32 v11, v1 :: v_dual_mov_b32 v27, v1
	s_mov_b32 s3, s1
	s_mov_b32 s5, s1
	s_delay_alu instid0(VALU_DEP_1) | instskip(SKIP_2) | instid1(SALU_CYCLE_1)
	v_add_nc_u64_e32 v[6:7], s[8:9], v[10:11]
	s_wait_kmcnt 0x0
	s_and_b32 s0, s0, 0xffff
	v_add_nc_u64_e32 v[8:9], s[0:1], v[0:1]
	v_mad_nc_u64_u32 v[22:23], s0, 24, v[10:11]
	s_lshl_b32 s12, s0, 4
	s_mul_i32 s4, s0, 3
	v_add_nc_u64_e32 v[18:19], s[12:13], v[10:11]
	s_lshl_b32 s2, s0, 1
	v_add_nc_u64_e32 v[10:11], s[10:11], v[10:11]
	v_lshlrev_b32_e32 v26, 3, v8
	v_add_nc_u64_e32 v[12:13], s[4:5], v[0:1]
	v_add_nc_u64_e32 v[14:15], s[2:3], v[0:1]
	s_lshl_b32 s4, s0, 2
	v_add_nc_u64_e32 v[16:17], s[8:9], v[18:19]
	v_add_nc_u64_e32 v[18:19], s[10:11], v[18:19]
	;; [unrolled: 1-line block ×6, first 2 shown]
	s_lshl_b32 s8, s0, 5
	s_mov_b32 s9, s1
	s_mov_b64 s[10:11], 0
	s_branch .LBB225_9
.LBB225_8:                              ;   in Loop: Header=BB225_9 Depth=1
	s_wait_xcnt 0x0
	s_or_b32 exec_lo, exec_lo, s0
	s_add_nc_u64 s[10:11], s[10:11], s[4:5]
	v_add_nc_u64_e32 v[6:7], s[8:9], v[6:7]
	v_cmp_ge_i64_e32 vcc_lo, s[10:11], v[2:3]
	v_add_nc_u64_e32 v[10:11], s[8:9], v[10:11]
	v_add_nc_u64_e32 v[20:21], s[8:9], v[20:21]
	;; [unrolled: 1-line block ×7, first 2 shown]
	s_cbranch_vccnz .LBB225_25
.LBB225_9:                              ; =>This Inner Loop Header: Depth=1
	v_add_nc_u64_e32 v[30:31], s[10:11], v[0:1]
	v_mov_b64_e32 v[28:29], 0
	s_delay_alu instid0(VALU_DEP_2)
	v_cmp_lt_u64_e32 vcc_lo, v[30:31], v[4:5]
	v_mov_b64_e32 v[30:31], 0
	s_and_saveexec_b32 s1, vcc_lo
	s_cbranch_execz .LBB225_11
; %bb.10:                               ;   in Loop: Header=BB225_9 Depth=1
	v_add_nc_u64_e32 v[30:31], s[6:7], v[6:7]
	global_load_b64 v[30:31], v[30:31], off
	s_wait_loadcnt 0x0
	v_cmp_gt_f64_e64 s0, 0x10000000, v[30:31]
	s_delay_alu instid0(VALU_DEP_1) | instskip(SKIP_1) | instid1(VALU_DEP_1)
	v_cndmask_b32_e64 v32, 0, 0x100, s0
	s_wait_xcnt 0x0
	v_ldexp_f64 v[30:31], v[30:31], v32
	s_delay_alu instid0(VALU_DEP_1) | instskip(SKIP_1) | instid1(TRANS32_DEP_1)
	v_rsq_f64_e32 v[32:33], v[30:31]
	v_nop
	v_mul_f64_e32 v[34:35], v[30:31], v[32:33]
	v_mul_f64_e32 v[32:33], 0.5, v[32:33]
	s_delay_alu instid0(VALU_DEP_1) | instskip(NEXT) | instid1(VALU_DEP_1)
	v_fma_f64 v[36:37], -v[32:33], v[34:35], 0.5
	v_fmac_f64_e32 v[34:35], v[34:35], v[36:37]
	v_fmac_f64_e32 v[32:33], v[32:33], v[36:37]
	s_delay_alu instid0(VALU_DEP_2) | instskip(NEXT) | instid1(VALU_DEP_1)
	v_fma_f64 v[36:37], -v[34:35], v[34:35], v[30:31]
	v_fmac_f64_e32 v[34:35], v[36:37], v[32:33]
	s_delay_alu instid0(VALU_DEP_1) | instskip(NEXT) | instid1(VALU_DEP_1)
	v_fma_f64 v[36:37], -v[34:35], v[34:35], v[30:31]
	v_fmac_f64_e32 v[34:35], v[36:37], v[32:33]
	v_cndmask_b32_e64 v32, 0, 0xffffff80, s0
	v_cmp_class_f64_e64 s0, v[30:31], 0x260
	s_delay_alu instid0(VALU_DEP_2) | instskip(NEXT) | instid1(VALU_DEP_1)
	v_ldexp_f64 v[32:33], v[34:35], v32
	v_dual_cndmask_b32 v31, v33, v31, s0 :: v_dual_cndmask_b32 v30, v32, v30, s0
.LBB225_11:                             ;   in Loop: Header=BB225_9 Depth=1
	s_or_b32 exec_lo, exec_lo, s1
	v_add_nc_u64_e32 v[32:33], s[10:11], v[8:9]
	s_delay_alu instid0(VALU_DEP_1)
	v_cmp_lt_u64_e64 s0, v[32:33], v[4:5]
	s_and_saveexec_b32 s2, s0
	s_cbranch_execz .LBB225_13
; %bb.12:                               ;   in Loop: Header=BB225_9 Depth=1
	v_add_nc_u64_e32 v[28:29], s[6:7], v[24:25]
	global_load_b64 v[28:29], v[28:29], off
	s_wait_loadcnt 0x0
	v_cmp_gt_f64_e64 s1, 0x10000000, v[28:29]
	s_delay_alu instid0(VALU_DEP_1) | instskip(SKIP_1) | instid1(VALU_DEP_1)
	v_cndmask_b32_e64 v32, 0, 0x100, s1
	s_wait_xcnt 0x0
	v_ldexp_f64 v[28:29], v[28:29], v32
	s_delay_alu instid0(VALU_DEP_1) | instskip(SKIP_1) | instid1(TRANS32_DEP_1)
	v_rsq_f64_e32 v[32:33], v[28:29]
	v_nop
	v_mul_f64_e32 v[34:35], v[28:29], v[32:33]
	v_mul_f64_e32 v[32:33], 0.5, v[32:33]
	s_delay_alu instid0(VALU_DEP_1) | instskip(NEXT) | instid1(VALU_DEP_1)
	v_fma_f64 v[36:37], -v[32:33], v[34:35], 0.5
	v_fmac_f64_e32 v[34:35], v[34:35], v[36:37]
	v_fmac_f64_e32 v[32:33], v[32:33], v[36:37]
	s_delay_alu instid0(VALU_DEP_2) | instskip(NEXT) | instid1(VALU_DEP_1)
	v_fma_f64 v[36:37], -v[34:35], v[34:35], v[28:29]
	v_fmac_f64_e32 v[34:35], v[36:37], v[32:33]
	s_delay_alu instid0(VALU_DEP_1) | instskip(NEXT) | instid1(VALU_DEP_1)
	v_fma_f64 v[36:37], -v[34:35], v[34:35], v[28:29]
	v_fmac_f64_e32 v[34:35], v[36:37], v[32:33]
	v_cndmask_b32_e64 v32, 0, 0xffffff80, s1
	v_cmp_class_f64_e64 s1, v[28:29], 0x260
	s_delay_alu instid0(VALU_DEP_2) | instskip(NEXT) | instid1(VALU_DEP_1)
	v_ldexp_f64 v[32:33], v[34:35], v32
	v_dual_cndmask_b32 v29, v33, v29, s1 :: v_dual_cndmask_b32 v28, v32, v28, s1
.LBB225_13:                             ;   in Loop: Header=BB225_9 Depth=1
	s_or_b32 exec_lo, exec_lo, s2
	v_add_nc_u64_e32 v[34:35], s[10:11], v[14:15]
	v_mov_b64_e32 v[32:33], 0
	s_delay_alu instid0(VALU_DEP_2)
	v_cmp_lt_u64_e64 s1, v[34:35], v[4:5]
	v_mov_b64_e32 v[34:35], 0
	s_and_saveexec_b32 s3, s1
	s_cbranch_execz .LBB225_15
; %bb.14:                               ;   in Loop: Header=BB225_9 Depth=1
	v_add_nc_u64_e32 v[34:35], s[6:7], v[16:17]
	global_load_b64 v[34:35], v[34:35], off
	s_wait_loadcnt 0x0
	v_cmp_gt_f64_e64 s2, 0x10000000, v[34:35]
	s_delay_alu instid0(VALU_DEP_1) | instskip(SKIP_1) | instid1(VALU_DEP_1)
	v_cndmask_b32_e64 v36, 0, 0x100, s2
	s_wait_xcnt 0x0
	v_ldexp_f64 v[34:35], v[34:35], v36
	s_delay_alu instid0(VALU_DEP_1) | instskip(SKIP_1) | instid1(TRANS32_DEP_1)
	v_rsq_f64_e32 v[36:37], v[34:35]
	v_nop
	v_mul_f64_e32 v[38:39], v[34:35], v[36:37]
	v_mul_f64_e32 v[36:37], 0.5, v[36:37]
	s_delay_alu instid0(VALU_DEP_1) | instskip(NEXT) | instid1(VALU_DEP_1)
	v_fma_f64 v[40:41], -v[36:37], v[38:39], 0.5
	v_fmac_f64_e32 v[38:39], v[38:39], v[40:41]
	v_fmac_f64_e32 v[36:37], v[36:37], v[40:41]
	s_delay_alu instid0(VALU_DEP_2) | instskip(NEXT) | instid1(VALU_DEP_1)
	v_fma_f64 v[40:41], -v[38:39], v[38:39], v[34:35]
	v_fmac_f64_e32 v[38:39], v[40:41], v[36:37]
	s_delay_alu instid0(VALU_DEP_1) | instskip(NEXT) | instid1(VALU_DEP_1)
	v_fma_f64 v[40:41], -v[38:39], v[38:39], v[34:35]
	v_fmac_f64_e32 v[38:39], v[40:41], v[36:37]
	v_cndmask_b32_e64 v36, 0, 0xffffff80, s2
	v_cmp_class_f64_e64 s2, v[34:35], 0x260
	s_delay_alu instid0(VALU_DEP_2) | instskip(NEXT) | instid1(VALU_DEP_1)
	v_ldexp_f64 v[36:37], v[38:39], v36
	v_dual_cndmask_b32 v35, v37, v35, s2 :: v_dual_cndmask_b32 v34, v36, v34, s2
.LBB225_15:                             ;   in Loop: Header=BB225_9 Depth=1
	s_or_b32 exec_lo, exec_lo, s3
	v_add_nc_u64_e32 v[36:37], s[10:11], v[12:13]
	s_delay_alu instid0(VALU_DEP_1)
	v_cmp_lt_u64_e64 s2, v[36:37], v[4:5]
	s_and_saveexec_b32 s12, s2
	s_cbranch_execnz .LBB225_20
; %bb.16:                               ;   in Loop: Header=BB225_9 Depth=1
	s_or_b32 exec_lo, exec_lo, s12
	s_and_saveexec_b32 s3, vcc_lo
	s_cbranch_execnz .LBB225_21
.LBB225_17:                             ;   in Loop: Header=BB225_9 Depth=1
	s_or_b32 exec_lo, exec_lo, s3
	s_and_saveexec_b32 s3, s0
	s_cbranch_execnz .LBB225_22
.LBB225_18:                             ;   in Loop: Header=BB225_9 Depth=1
	s_or_b32 exec_lo, exec_lo, s3
	s_and_saveexec_b32 s0, s1
	s_cbranch_execnz .LBB225_23
.LBB225_19:                             ;   in Loop: Header=BB225_9 Depth=1
	s_or_b32 exec_lo, exec_lo, s0
	s_and_saveexec_b32 s0, s2
	s_cbranch_execz .LBB225_8
	s_branch .LBB225_24
.LBB225_20:                             ;   in Loop: Header=BB225_9 Depth=1
	v_add_nc_u64_e32 v[32:33], s[6:7], v[20:21]
	global_load_b64 v[32:33], v[32:33], off
	s_wait_loadcnt 0x0
	v_cmp_gt_f64_e64 s3, 0x10000000, v[32:33]
	s_delay_alu instid0(VALU_DEP_1) | instskip(SKIP_1) | instid1(VALU_DEP_1)
	v_cndmask_b32_e64 v36, 0, 0x100, s3
	s_wait_xcnt 0x0
	v_ldexp_f64 v[32:33], v[32:33], v36
	s_delay_alu instid0(VALU_DEP_1) | instskip(SKIP_1) | instid1(TRANS32_DEP_1)
	v_rsq_f64_e32 v[36:37], v[32:33]
	v_nop
	v_mul_f64_e32 v[38:39], v[32:33], v[36:37]
	v_mul_f64_e32 v[36:37], 0.5, v[36:37]
	s_delay_alu instid0(VALU_DEP_1) | instskip(NEXT) | instid1(VALU_DEP_1)
	v_fma_f64 v[40:41], -v[36:37], v[38:39], 0.5
	v_fmac_f64_e32 v[38:39], v[38:39], v[40:41]
	v_fmac_f64_e32 v[36:37], v[36:37], v[40:41]
	s_delay_alu instid0(VALU_DEP_2) | instskip(NEXT) | instid1(VALU_DEP_1)
	v_fma_f64 v[40:41], -v[38:39], v[38:39], v[32:33]
	v_fmac_f64_e32 v[38:39], v[40:41], v[36:37]
	s_delay_alu instid0(VALU_DEP_1) | instskip(NEXT) | instid1(VALU_DEP_1)
	v_fma_f64 v[40:41], -v[38:39], v[38:39], v[32:33]
	v_fmac_f64_e32 v[38:39], v[40:41], v[36:37]
	v_cndmask_b32_e64 v36, 0, 0xffffff80, s3
	v_cmp_class_f64_e64 s3, v[32:33], 0x260
	s_delay_alu instid0(VALU_DEP_2) | instskip(NEXT) | instid1(VALU_DEP_1)
	v_ldexp_f64 v[36:37], v[38:39], v36
	v_dual_cndmask_b32 v33, v37, v33, s3 :: v_dual_cndmask_b32 v32, v36, v32, s3
	s_or_b32 exec_lo, exec_lo, s12
	s_and_saveexec_b32 s3, vcc_lo
	s_cbranch_execz .LBB225_17
.LBB225_21:                             ;   in Loop: Header=BB225_9 Depth=1
	v_add_nc_u64_e32 v[36:37], s[6:7], v[10:11]
	global_store_b64 v[36:37], v[30:31], off
	s_wait_xcnt 0x0
	s_or_b32 exec_lo, exec_lo, s3
	s_and_saveexec_b32 s3, s0
	s_cbranch_execz .LBB225_18
.LBB225_22:                             ;   in Loop: Header=BB225_9 Depth=1
	v_add_nc_u64_e32 v[30:31], s[6:7], v[26:27]
	global_store_b64 v[30:31], v[28:29], off
	s_wait_xcnt 0x0
	s_or_b32 exec_lo, exec_lo, s3
	s_and_saveexec_b32 s0, s1
	s_cbranch_execz .LBB225_19
.LBB225_23:                             ;   in Loop: Header=BB225_9 Depth=1
	v_add_nc_u64_e32 v[28:29], s[6:7], v[18:19]
	global_store_b64 v[28:29], v[34:35], off
	s_wait_xcnt 0x0
	s_or_b32 exec_lo, exec_lo, s0
	s_and_saveexec_b32 s0, s2
	s_cbranch_execz .LBB225_8
.LBB225_24:                             ;   in Loop: Header=BB225_9 Depth=1
	v_add_nc_u64_e32 v[28:29], s[6:7], v[22:23]
	global_store_b64 v[28:29], v[32:33], off
	s_branch .LBB225_8
.LBB225_25:
	s_endpgm
	.section	.rodata,"a",@progbits
	.p2align	6, 0x0
	.amdhsa_kernel _ZN2at6native12_GLOBAL__N_125multi_tensor_apply_kernelINS1_18TensorListMetadataILi2EEENS1_14UnaryOpFunctorIdLi2ELi1ELi1EEEJNS0_4SqrtIdEEEEEvT_T0_DpT1_
		.amdhsa_group_segment_fixed_size 0
		.amdhsa_private_segment_fixed_size 0
		.amdhsa_kernarg_size 3408
		.amdhsa_user_sgpr_count 2
		.amdhsa_user_sgpr_dispatch_ptr 0
		.amdhsa_user_sgpr_queue_ptr 0
		.amdhsa_user_sgpr_kernarg_segment_ptr 1
		.amdhsa_user_sgpr_dispatch_id 0
		.amdhsa_user_sgpr_kernarg_preload_length 0
		.amdhsa_user_sgpr_kernarg_preload_offset 0
		.amdhsa_user_sgpr_private_segment_size 0
		.amdhsa_wavefront_size32 1
		.amdhsa_uses_dynamic_stack 0
		.amdhsa_enable_private_segment 0
		.amdhsa_system_sgpr_workgroup_id_x 1
		.amdhsa_system_sgpr_workgroup_id_y 0
		.amdhsa_system_sgpr_workgroup_id_z 0
		.amdhsa_system_sgpr_workgroup_info 0
		.amdhsa_system_vgpr_workitem_id 0
		.amdhsa_next_free_vgpr 42
		.amdhsa_next_free_sgpr 20
		.amdhsa_named_barrier_count 0
		.amdhsa_reserve_vcc 1
		.amdhsa_float_round_mode_32 0
		.amdhsa_float_round_mode_16_64 0
		.amdhsa_float_denorm_mode_32 3
		.amdhsa_float_denorm_mode_16_64 3
		.amdhsa_fp16_overflow 0
		.amdhsa_memory_ordered 1
		.amdhsa_forward_progress 1
		.amdhsa_inst_pref_size 18
		.amdhsa_round_robin_scheduling 0
		.amdhsa_exception_fp_ieee_invalid_op 0
		.amdhsa_exception_fp_denorm_src 0
		.amdhsa_exception_fp_ieee_div_zero 0
		.amdhsa_exception_fp_ieee_overflow 0
		.amdhsa_exception_fp_ieee_underflow 0
		.amdhsa_exception_fp_ieee_inexact 0
		.amdhsa_exception_int_div_zero 0
	.end_amdhsa_kernel
	.section	.text._ZN2at6native12_GLOBAL__N_125multi_tensor_apply_kernelINS1_18TensorListMetadataILi2EEENS1_14UnaryOpFunctorIdLi2ELi1ELi1EEEJNS0_4SqrtIdEEEEEvT_T0_DpT1_,"axG",@progbits,_ZN2at6native12_GLOBAL__N_125multi_tensor_apply_kernelINS1_18TensorListMetadataILi2EEENS1_14UnaryOpFunctorIdLi2ELi1ELi1EEEJNS0_4SqrtIdEEEEEvT_T0_DpT1_,comdat
.Lfunc_end225:
	.size	_ZN2at6native12_GLOBAL__N_125multi_tensor_apply_kernelINS1_18TensorListMetadataILi2EEENS1_14UnaryOpFunctorIdLi2ELi1ELi1EEEJNS0_4SqrtIdEEEEEvT_T0_DpT1_, .Lfunc_end225-_ZN2at6native12_GLOBAL__N_125multi_tensor_apply_kernelINS1_18TensorListMetadataILi2EEENS1_14UnaryOpFunctorIdLi2ELi1ELi1EEEJNS0_4SqrtIdEEEEEvT_T0_DpT1_
                                        ; -- End function
	.set _ZN2at6native12_GLOBAL__N_125multi_tensor_apply_kernelINS1_18TensorListMetadataILi2EEENS1_14UnaryOpFunctorIdLi2ELi1ELi1EEEJNS0_4SqrtIdEEEEEvT_T0_DpT1_.num_vgpr, 42
	.set _ZN2at6native12_GLOBAL__N_125multi_tensor_apply_kernelINS1_18TensorListMetadataILi2EEENS1_14UnaryOpFunctorIdLi2ELi1ELi1EEEJNS0_4SqrtIdEEEEEvT_T0_DpT1_.num_agpr, 0
	.set _ZN2at6native12_GLOBAL__N_125multi_tensor_apply_kernelINS1_18TensorListMetadataILi2EEENS1_14UnaryOpFunctorIdLi2ELi1ELi1EEEJNS0_4SqrtIdEEEEEvT_T0_DpT1_.numbered_sgpr, 20
	.set _ZN2at6native12_GLOBAL__N_125multi_tensor_apply_kernelINS1_18TensorListMetadataILi2EEENS1_14UnaryOpFunctorIdLi2ELi1ELi1EEEJNS0_4SqrtIdEEEEEvT_T0_DpT1_.num_named_barrier, 0
	.set _ZN2at6native12_GLOBAL__N_125multi_tensor_apply_kernelINS1_18TensorListMetadataILi2EEENS1_14UnaryOpFunctorIdLi2ELi1ELi1EEEJNS0_4SqrtIdEEEEEvT_T0_DpT1_.private_seg_size, 0
	.set _ZN2at6native12_GLOBAL__N_125multi_tensor_apply_kernelINS1_18TensorListMetadataILi2EEENS1_14UnaryOpFunctorIdLi2ELi1ELi1EEEJNS0_4SqrtIdEEEEEvT_T0_DpT1_.uses_vcc, 1
	.set _ZN2at6native12_GLOBAL__N_125multi_tensor_apply_kernelINS1_18TensorListMetadataILi2EEENS1_14UnaryOpFunctorIdLi2ELi1ELi1EEEJNS0_4SqrtIdEEEEEvT_T0_DpT1_.uses_flat_scratch, 0
	.set _ZN2at6native12_GLOBAL__N_125multi_tensor_apply_kernelINS1_18TensorListMetadataILi2EEENS1_14UnaryOpFunctorIdLi2ELi1ELi1EEEJNS0_4SqrtIdEEEEEvT_T0_DpT1_.has_dyn_sized_stack, 0
	.set _ZN2at6native12_GLOBAL__N_125multi_tensor_apply_kernelINS1_18TensorListMetadataILi2EEENS1_14UnaryOpFunctorIdLi2ELi1ELi1EEEJNS0_4SqrtIdEEEEEvT_T0_DpT1_.has_recursion, 0
	.set _ZN2at6native12_GLOBAL__N_125multi_tensor_apply_kernelINS1_18TensorListMetadataILi2EEENS1_14UnaryOpFunctorIdLi2ELi1ELi1EEEJNS0_4SqrtIdEEEEEvT_T0_DpT1_.has_indirect_call, 0
	.section	.AMDGPU.csdata,"",@progbits
; Kernel info:
; codeLenInByte = 2268
; TotalNumSgprs: 22
; NumVgprs: 42
; ScratchSize: 0
; MemoryBound: 0
; FloatMode: 240
; IeeeMode: 1
; LDSByteSize: 0 bytes/workgroup (compile time only)
; SGPRBlocks: 0
; VGPRBlocks: 2
; NumSGPRsForWavesPerEU: 22
; NumVGPRsForWavesPerEU: 42
; NamedBarCnt: 0
; Occupancy: 16
; WaveLimiterHint : 0
; COMPUTE_PGM_RSRC2:SCRATCH_EN: 0
; COMPUTE_PGM_RSRC2:USER_SGPR: 2
; COMPUTE_PGM_RSRC2:TRAP_HANDLER: 0
; COMPUTE_PGM_RSRC2:TGID_X_EN: 1
; COMPUTE_PGM_RSRC2:TGID_Y_EN: 0
; COMPUTE_PGM_RSRC2:TGID_Z_EN: 0
; COMPUTE_PGM_RSRC2:TIDIG_COMP_CNT: 0
	.section	.text._ZN2at6native12_GLOBAL__N_125multi_tensor_apply_kernelINS1_18TensorListMetadataILi2EEENS1_14UnaryOpFunctorIfLi2ELi1ELi1EEEJNS0_4SqrtIfEEEEEvT_T0_DpT1_,"axG",@progbits,_ZN2at6native12_GLOBAL__N_125multi_tensor_apply_kernelINS1_18TensorListMetadataILi2EEENS1_14UnaryOpFunctorIfLi2ELi1ELi1EEEJNS0_4SqrtIfEEEEEvT_T0_DpT1_,comdat
	.globl	_ZN2at6native12_GLOBAL__N_125multi_tensor_apply_kernelINS1_18TensorListMetadataILi2EEENS1_14UnaryOpFunctorIfLi2ELi1ELi1EEEJNS0_4SqrtIfEEEEEvT_T0_DpT1_ ; -- Begin function _ZN2at6native12_GLOBAL__N_125multi_tensor_apply_kernelINS1_18TensorListMetadataILi2EEENS1_14UnaryOpFunctorIfLi2ELi1ELi1EEEJNS0_4SqrtIfEEEEEvT_T0_DpT1_
	.p2align	8
	.type	_ZN2at6native12_GLOBAL__N_125multi_tensor_apply_kernelINS1_18TensorListMetadataILi2EEENS1_14UnaryOpFunctorIfLi2ELi1ELi1EEEJNS0_4SqrtIfEEEEEvT_T0_DpT1_,@function
_ZN2at6native12_GLOBAL__N_125multi_tensor_apply_kernelINS1_18TensorListMetadataILi2EEENS1_14UnaryOpFunctorIfLi2ELi1ELi1EEEJNS0_4SqrtIfEEEEEvT_T0_DpT1_: ; @_ZN2at6native12_GLOBAL__N_125multi_tensor_apply_kernelINS1_18TensorListMetadataILi2EEENS1_14UnaryOpFunctorIfLi2ELi1ELi1EEEJNS0_4SqrtIfEEEEEvT_T0_DpT1_
; %bb.0:
	s_bfe_u32 s2, ttmp6, 0x4000c
	s_and_b32 s3, ttmp6, 15
	s_add_co_i32 s2, s2, 1
	s_getreg_b32 s4, hwreg(HW_REG_IB_STS2, 6, 4)
	s_mul_i32 s2, ttmp9, s2
	s_delay_alu instid0(SALU_CYCLE_1)
	s_add_co_i32 s3, s3, s2
	s_cmp_eq_u32 s4, 0
	s_cselect_b32 s2, ttmp9, s3
	s_mov_b32 s3, 0
	s_load_u8 s10, s[0:1], s2 offset:0x600
	s_add_nc_u64 s[4:5], s[0:1], s[2:3]
	s_mul_u64 s[6:7], s[2:3], 3
	s_delay_alu instid0(SALU_CYCLE_1)
	s_add_nc_u64 s[4:5], s[4:5], s[6:7]
	s_load_b32 s6, s[4:5], 0x740
	s_wait_kmcnt 0x0
	s_clause 0x2
	s_load_b64 s[12:13], s[0:1], s10 offset:0x0 scale_offset
	s_load_b64 s[14:15], s[0:1], s10 offset:0x200 scale_offset
	;; [unrolled: 1-line block ×3, first 2 shown]
	s_mov_b32 s5, s3
	s_ashr_i32 s7, s6, 31
	s_wait_xcnt 0x0
	s_lshl_b64 s[10:11], s[6:7], 18
	s_wait_kmcnt 0x0
	s_and_b64 s[18:19], s[14:15], 15
	s_add_nc_u64 s[16:17], s[12:13], s[10:11]
	s_and_b32 s4, s8, 3
	s_and_b32 s2, s16, 15
	s_or_b64 s[4:5], s[18:19], s[4:5]
	s_lshl_b64 s[6:7], s[6:7], 16
	s_or_b64 s[2:3], s[4:5], s[2:3]
	s_sub_nc_u64 s[16:17], s[8:9], s[6:7]
	s_cmp_eq_u64 s[2:3], 0
	s_mov_b32 s2, -1
	s_cbranch_scc0 .LBB226_5
; %bb.1:
	v_min_i64 v[2:3], 0x10000, s[16:17]
	v_dual_mov_b32 v5, 0 :: v_dual_lshlrev_b32 v4, 2, v0
	s_mov_b32 s22, exec_lo
	s_delay_alu instid0(VALU_DEP_1)
	v_cmpx_lt_i64_e64 v[4:5], v[2:3]
	s_cbranch_execz .LBB226_4
; %bb.2:
	s_load_b32 s2, s[0:1], 0xc5c
	v_dual_mov_b32 v1, v5 :: v_dual_lshlrev_b32 v4, 4, v0
	s_mov_b32 s19, 0
	s_delay_alu instid0(SALU_CYCLE_1) | instskip(NEXT) | instid1(VALU_DEP_1)
	s_mov_b32 s21, s19
	v_add_nc_u64_e32 v[4:5], s[10:11], v[4:5]
	s_delay_alu instid0(VALU_DEP_2) | instskip(SKIP_3) | instid1(SALU_CYCLE_1)
	v_mov_b64_e32 v[6:7], v[0:1]
	s_mov_b32 s23, s19
	s_wait_kmcnt 0x0
	s_and_b32 s18, s2, 0xffff
	s_lshl_b32 s20, s18, 4
.LBB226_3:                              ; =>This Inner Loop Header: Depth=1
	s_delay_alu instid0(VALU_DEP_2) | instskip(NEXT) | instid1(VALU_DEP_2)
	v_add_nc_u64_e32 v[8:9], s[12:13], v[4:5]
	v_add_nc_u64_e32 v[6:7], s[18:19], v[6:7]
	;; [unrolled: 1-line block ×4, first 2 shown]
	global_load_b128 v[8:11], v[8:9], off
	v_lshlrev_b64_e32 v[14:15], 2, v[6:7]
	s_delay_alu instid0(VALU_DEP_1)
	v_cmp_ge_i64_e32 vcc_lo, v[14:15], v[2:3]
	s_or_b32 s23, vcc_lo, s23
	s_wait_loadcnt 0x0
	v_dual_mul_f32 v1, 0x4f800000, v8 :: v_dual_mul_f32 v14, 0x4f800000, v9
	v_cmp_gt_f32_e64 s5, 0xf800000, v8
	v_cmp_gt_f32_e64 s2, 0xf800000, v9
	v_dual_mul_f32 v15, 0x4f800000, v10 :: v_dual_mul_f32 v16, 0x4f800000, v11
	v_cmp_gt_f32_e64 s3, 0xf800000, v10
	v_cmp_gt_f32_e64 s4, 0xf800000, v11
	s_wait_xcnt 0x0
	v_dual_cndmask_b32 v1, v8, v1, s5 :: v_dual_cndmask_b32 v9, v9, v14, s2
	s_delay_alu instid0(VALU_DEP_2) | instskip(NEXT) | instid1(VALU_DEP_2)
	v_dual_cndmask_b32 v10, v10, v15, s3 :: v_dual_cndmask_b32 v11, v11, v16, s4
	v_sqrt_f32_e32 v8, v1
	s_delay_alu instid0(VALU_DEP_2) | instskip(NEXT) | instid1(VALU_DEP_1)
	v_sqrt_f32_e32 v14, v9
	v_sqrt_f32_e32 v15, v10
	s_delay_alu instid0(VALU_DEP_1) | instskip(SKIP_1) | instid1(TRANS32_DEP_3)
	v_sqrt_f32_e32 v16, v11
	v_dual_add_nc_u32 v17, -1, v8 :: v_dual_add_nc_u32 v18, 1, v8
	v_dual_add_nc_u32 v19, -1, v14 :: v_dual_add_nc_u32 v20, 1, v14
	s_delay_alu instid0(TRANS32_DEP_2) | instskip(NEXT) | instid1(TRANS32_DEP_1)
	v_dual_add_nc_u32 v21, -1, v15 :: v_dual_add_nc_u32 v22, 1, v15
	v_dual_add_nc_u32 v23, -1, v16 :: v_dual_add_nc_u32 v24, 1, v16
	s_delay_alu instid0(VALU_DEP_4) | instskip(NEXT) | instid1(VALU_DEP_4)
	v_dual_fma_f32 v25, -v17, v8, v1 :: v_dual_fma_f32 v26, -v18, v8, v1
	v_dual_fma_f32 v27, -v19, v14, v9 :: v_dual_fma_f32 v28, -v20, v14, v9
	s_delay_alu instid0(VALU_DEP_4) | instskip(NEXT) | instid1(VALU_DEP_4)
	v_dual_fma_f32 v29, -v21, v15, v10 :: v_dual_fma_f32 v30, -v22, v15, v10
	v_dual_fma_f32 v31, -v23, v16, v11 :: v_dual_fma_f32 v32, -v24, v16, v11
	s_delay_alu instid0(VALU_DEP_4) | instskip(NEXT) | instid1(VALU_DEP_3)
	v_cmp_ge_f32_e64 s6, 0, v25
	v_cmp_ge_f32_e64 s7, 0, v29
	v_cmp_lt_f32_e64 s9, 0, v26
	s_delay_alu instid0(VALU_DEP_4) | instskip(NEXT) | instid1(VALU_DEP_4)
	v_cmp_ge_f32_e64 s8, 0, v31
	v_cndmask_b32_e64 v8, v8, v17, s6
	v_cmp_ge_f32_e64 s6, 0, v27
	s_delay_alu instid0(VALU_DEP_3) | instskip(SKIP_2) | instid1(VALU_DEP_4)
	v_dual_cndmask_b32 v15, v15, v21, s7 :: v_dual_cndmask_b32 v16, v16, v23, s8
	v_cmp_lt_f32_e64 s7, 0, v30
	v_cmp_lt_f32_e64 s8, 0, v32
	v_cndmask_b32_e64 v14, v14, v19, s6
	v_cmp_lt_f32_e64 s6, 0, v28
	v_cndmask_b32_e64 v8, v8, v18, s9
	s_delay_alu instid0(VALU_DEP_4) | instskip(NEXT) | instid1(VALU_DEP_3)
	v_dual_cndmask_b32 v15, v15, v22, s7 :: v_dual_cndmask_b32 v16, v16, v24, s8
	v_cndmask_b32_e64 v14, v14, v20, s6
	s_delay_alu instid0(VALU_DEP_3) | instskip(NEXT) | instid1(VALU_DEP_3)
	v_mul_f32_e32 v17, 0x37800000, v8
	v_dual_mul_f32 v19, 0x37800000, v15 :: v_dual_mul_f32 v20, 0x37800000, v16
	s_delay_alu instid0(VALU_DEP_3) | instskip(NEXT) | instid1(VALU_DEP_2)
	v_mul_f32_e32 v18, 0x37800000, v14
	v_dual_cndmask_b32 v8, v8, v17, s5 :: v_dual_cndmask_b32 v15, v15, v19, s3
	s_delay_alu instid0(VALU_DEP_3) | instskip(SKIP_1) | instid1(VALU_DEP_4)
	v_cndmask_b32_e64 v16, v16, v20, s4
	v_cmp_class_f32_e64 s3, v10, 0x260
	v_cndmask_b32_e64 v14, v14, v18, s2
	v_cmp_class_f32_e64 s2, v9, 0x260
	v_cmp_class_f32_e64 s4, v11, 0x260
	;; [unrolled: 1-line block ×3, first 2 shown]
	s_delay_alu instid0(VALU_DEP_3) | instskip(NEXT) | instid1(VALU_DEP_3)
	v_dual_cndmask_b32 v10, v15, v10, s3 :: v_dual_cndmask_b32 v9, v14, v9, s2
	v_cndmask_b32_e64 v11, v16, v11, s4
	s_delay_alu instid0(VALU_DEP_3)
	v_cndmask_b32_e64 v8, v8, v1, s5
	global_store_b128 v[12:13], v[8:11], off
	s_wait_xcnt 0x0
	s_and_not1_b32 exec_lo, exec_lo, s23
	s_cbranch_execnz .LBB226_3
.LBB226_4:
	s_or_b32 exec_lo, exec_lo, s22
	s_mov_b32 s2, 0
.LBB226_5:
	s_delay_alu instid0(SALU_CYCLE_1)
	s_and_not1_b32 vcc_lo, exec_lo, s2
	s_cbranch_vccnz .LBB226_25
; %bb.6:
	v_cmp_lt_i64_e64 s2, s[16:17], 1
	s_and_b32 vcc_lo, exec_lo, s2
	s_cbranch_vccnz .LBB226_25
; %bb.7:
	s_load_b32 s0, s[0:1], 0xc5c
	v_min_i64 v[2:3], 0x10000, s[16:17]
	v_min_u64 v[4:5], 0x10000, s[16:17]
	v_dual_mov_b32 v1, 0 :: v_dual_lshlrev_b32 v10, 2, v0
	s_mov_b32 s9, 0
	s_delay_alu instid0(SALU_CYCLE_1) | instskip(NEXT) | instid1(VALU_DEP_1)
	s_mov_b32 s5, s9
	v_dual_mov_b32 v11, v1 :: v_dual_mov_b32 v27, v1
	s_wait_xcnt 0x0
	s_mov_b32 s1, s9
	s_mov_b32 s3, s9
	;; [unrolled: 1-line block ×3, first 2 shown]
	v_add_nc_u64_e32 v[6:7], s[12:13], v[10:11]
	s_wait_kmcnt 0x0
	s_and_b32 s8, s0, 0xffff
	s_delay_alu instid0(SALU_CYCLE_1)
	v_add_nc_u64_e32 v[8:9], s[8:9], v[0:1]
	v_mad_nc_u64_u32 v[22:23], s8, 12, v[10:11]
	s_lshl_b32 s4, s8, 3
	s_mul_i32 s2, s8, 3
	v_add_nc_u64_e32 v[18:19], s[4:5], v[10:11]
	s_lshl_b32 s0, s8, 1
	v_add_nc_u64_e32 v[10:11], s[14:15], v[10:11]
	v_lshlrev_b32_e32 v26, 2, v8
	v_add_nc_u64_e32 v[12:13], s[2:3], v[0:1]
	v_add_nc_u64_e32 v[14:15], s[0:1], v[0:1]
	s_lshl_b32 s6, s8, 2
	v_add_nc_u64_e32 v[16:17], s[12:13], v[18:19]
	v_add_nc_u64_e32 v[18:19], s[14:15], v[18:19]
	;; [unrolled: 1-line block ×6, first 2 shown]
	s_lshl_b32 s8, s8, 4
	s_mov_b64 s[12:13], 0
	s_branch .LBB226_9
.LBB226_8:                              ;   in Loop: Header=BB226_9 Depth=1
	s_wait_xcnt 0x0
	s_or_b32 exec_lo, exec_lo, s0
	s_add_nc_u64 s[12:13], s[12:13], s[6:7]
	v_add_nc_u64_e32 v[6:7], s[8:9], v[6:7]
	v_cmp_ge_i64_e32 vcc_lo, s[12:13], v[2:3]
	v_add_nc_u64_e32 v[10:11], s[8:9], v[10:11]
	v_add_nc_u64_e32 v[20:21], s[8:9], v[20:21]
	;; [unrolled: 1-line block ×7, first 2 shown]
	s_cbranch_vccnz .LBB226_25
.LBB226_9:                              ; =>This Inner Loop Header: Depth=1
	v_add_nc_u64_e32 v[28:29], s[12:13], v[0:1]
	s_delay_alu instid0(VALU_DEP_1)
	v_cmp_lt_u64_e32 vcc_lo, v[28:29], v[4:5]
	v_mov_b32_e32 v28, 0
	s_and_saveexec_b32 s2, vcc_lo
	s_cbranch_execz .LBB226_11
; %bb.10:                               ;   in Loop: Header=BB226_9 Depth=1
	v_add_nc_u64_e32 v[28:29], s[10:11], v[6:7]
	global_load_b32 v28, v[28:29], off
	s_wait_loadcnt 0x0
	v_mul_f32_e32 v29, 0x4f800000, v28
	v_cmp_gt_f32_e64 s0, 0xf800000, v28
	s_delay_alu instid0(VALU_DEP_1) | instskip(NEXT) | instid1(VALU_DEP_1)
	v_cndmask_b32_e64 v28, v28, v29, s0
	v_sqrt_f32_e32 v29, v28
	v_nop
	s_delay_alu instid0(TRANS32_DEP_1) | instskip(NEXT) | instid1(VALU_DEP_1)
	v_dual_add_nc_u32 v30, -1, v29 :: v_dual_add_nc_u32 v31, 1, v29
	v_fma_f32 v32, -v30, v29, v28
	s_delay_alu instid0(VALU_DEP_1) | instskip(NEXT) | instid1(VALU_DEP_1)
	v_cmp_ge_f32_e64 s1, 0, v32
	v_dual_fma_f32 v33, -v31, v29, v28 :: v_dual_cndmask_b32 v29, v29, v30, s1
	s_delay_alu instid0(VALU_DEP_1) | instskip(NEXT) | instid1(VALU_DEP_1)
	v_cmp_lt_f32_e64 s1, 0, v33
	v_cndmask_b32_e64 v29, v29, v31, s1
	s_delay_alu instid0(VALU_DEP_1) | instskip(NEXT) | instid1(VALU_DEP_1)
	v_mul_f32_e32 v30, 0x37800000, v29
	v_cndmask_b32_e64 v29, v29, v30, s0
	v_cmp_class_f32_e64 s0, v28, 0x260
	s_delay_alu instid0(VALU_DEP_1)
	v_cndmask_b32_e64 v28, v29, v28, s0
.LBB226_11:                             ;   in Loop: Header=BB226_9 Depth=1
	s_or_b32 exec_lo, exec_lo, s2
	v_add_nc_u64_e32 v[30:31], s[12:13], v[8:9]
	v_mov_b32_e32 v29, 0
	s_delay_alu instid0(VALU_DEP_2)
	v_cmp_lt_u64_e64 s0, v[30:31], v[4:5]
	v_mov_b32_e32 v30, 0
	s_and_saveexec_b32 s3, s0
	s_cbranch_execz .LBB226_13
; %bb.12:                               ;   in Loop: Header=BB226_9 Depth=1
	v_add_nc_u64_e32 v[30:31], s[10:11], v[24:25]
	global_load_b32 v30, v[30:31], off
	s_wait_loadcnt 0x0
	v_mul_f32_e32 v31, 0x4f800000, v30
	v_cmp_gt_f32_e64 s1, 0xf800000, v30
	s_delay_alu instid0(VALU_DEP_1) | instskip(NEXT) | instid1(VALU_DEP_1)
	v_cndmask_b32_e64 v30, v30, v31, s1
	v_sqrt_f32_e32 v31, v30
	v_nop
	s_delay_alu instid0(TRANS32_DEP_1) | instskip(NEXT) | instid1(VALU_DEP_1)
	v_dual_add_nc_u32 v32, -1, v31 :: v_dual_add_nc_u32 v33, 1, v31
	v_fma_f32 v34, -v32, v31, v30
	s_delay_alu instid0(VALU_DEP_1) | instskip(NEXT) | instid1(VALU_DEP_1)
	v_cmp_ge_f32_e64 s2, 0, v34
	v_dual_fma_f32 v35, -v33, v31, v30 :: v_dual_cndmask_b32 v31, v31, v32, s2
	s_delay_alu instid0(VALU_DEP_1) | instskip(NEXT) | instid1(VALU_DEP_1)
	v_cmp_lt_f32_e64 s2, 0, v35
	v_cndmask_b32_e64 v31, v31, v33, s2
	s_delay_alu instid0(VALU_DEP_1) | instskip(NEXT) | instid1(VALU_DEP_1)
	v_mul_f32_e32 v32, 0x37800000, v31
	v_cndmask_b32_e64 v31, v31, v32, s1
	v_cmp_class_f32_e64 s1, v30, 0x260
	s_delay_alu instid0(VALU_DEP_1)
	v_cndmask_b32_e64 v30, v31, v30, s1
.LBB226_13:                             ;   in Loop: Header=BB226_9 Depth=1
	s_or_b32 exec_lo, exec_lo, s3
	v_add_nc_u64_e32 v[32:33], s[12:13], v[14:15]
	s_delay_alu instid0(VALU_DEP_1)
	v_cmp_lt_u64_e64 s1, v[32:33], v[4:5]
	s_and_saveexec_b32 s4, s1
	s_cbranch_execz .LBB226_15
; %bb.14:                               ;   in Loop: Header=BB226_9 Depth=1
	v_add_nc_u64_e32 v[32:33], s[10:11], v[16:17]
	global_load_b32 v29, v[32:33], off
	s_wait_loadcnt 0x0
	v_mul_f32_e32 v31, 0x4f800000, v29
	v_cmp_gt_f32_e64 s2, 0xf800000, v29
	s_delay_alu instid0(VALU_DEP_1) | instskip(NEXT) | instid1(VALU_DEP_1)
	v_cndmask_b32_e64 v29, v29, v31, s2
	v_sqrt_f32_e32 v31, v29
	s_wait_xcnt 0x0
	v_nop
	s_delay_alu instid0(TRANS32_DEP_1) | instskip(NEXT) | instid1(VALU_DEP_1)
	v_dual_add_nc_u32 v32, -1, v31 :: v_dual_add_nc_u32 v33, 1, v31
	v_fma_f32 v34, -v32, v31, v29
	s_delay_alu instid0(VALU_DEP_1) | instskip(NEXT) | instid1(VALU_DEP_1)
	v_cmp_ge_f32_e64 s3, 0, v34
	v_dual_fma_f32 v35, -v33, v31, v29 :: v_dual_cndmask_b32 v31, v31, v32, s3
	s_delay_alu instid0(VALU_DEP_1) | instskip(NEXT) | instid1(VALU_DEP_1)
	v_cmp_lt_f32_e64 s3, 0, v35
	v_cndmask_b32_e64 v31, v31, v33, s3
	s_delay_alu instid0(VALU_DEP_1) | instskip(NEXT) | instid1(VALU_DEP_1)
	v_mul_f32_e32 v32, 0x37800000, v31
	v_cndmask_b32_e64 v31, v31, v32, s2
	v_cmp_class_f32_e64 s2, v29, 0x260
	s_delay_alu instid0(VALU_DEP_1)
	v_cndmask_b32_e64 v29, v31, v29, s2
.LBB226_15:                             ;   in Loop: Header=BB226_9 Depth=1
	s_or_b32 exec_lo, exec_lo, s4
	v_add_nc_u64_e32 v[32:33], s[12:13], v[12:13]
	v_mov_b32_e32 v31, 0
	s_delay_alu instid0(VALU_DEP_2)
	v_cmp_lt_u64_e64 s2, v[32:33], v[4:5]
	s_and_saveexec_b32 s5, s2
	s_cbranch_execnz .LBB226_20
; %bb.16:                               ;   in Loop: Header=BB226_9 Depth=1
	s_or_b32 exec_lo, exec_lo, s5
	s_and_saveexec_b32 s3, vcc_lo
	s_cbranch_execnz .LBB226_21
.LBB226_17:                             ;   in Loop: Header=BB226_9 Depth=1
	s_or_b32 exec_lo, exec_lo, s3
	s_and_saveexec_b32 s3, s0
	s_cbranch_execnz .LBB226_22
.LBB226_18:                             ;   in Loop: Header=BB226_9 Depth=1
	s_or_b32 exec_lo, exec_lo, s3
	s_and_saveexec_b32 s0, s1
	s_cbranch_execnz .LBB226_23
.LBB226_19:                             ;   in Loop: Header=BB226_9 Depth=1
	s_or_b32 exec_lo, exec_lo, s0
	s_and_saveexec_b32 s0, s2
	s_cbranch_execz .LBB226_8
	s_branch .LBB226_24
.LBB226_20:                             ;   in Loop: Header=BB226_9 Depth=1
	v_add_nc_u64_e32 v[32:33], s[10:11], v[20:21]
	global_load_b32 v31, v[32:33], off
	s_wait_loadcnt 0x0
	v_mul_f32_e32 v32, 0x4f800000, v31
	v_cmp_gt_f32_e64 s3, 0xf800000, v31
	s_delay_alu instid0(VALU_DEP_1) | instskip(NEXT) | instid1(VALU_DEP_1)
	v_cndmask_b32_e64 v31, v31, v32, s3
	v_sqrt_f32_e32 v32, v31
	v_nop
	s_delay_alu instid0(TRANS32_DEP_1) | instskip(NEXT) | instid1(VALU_DEP_1)
	v_dual_add_nc_u32 v33, -1, v32 :: v_dual_add_nc_u32 v34, 1, v32
	v_fma_f32 v35, -v33, v32, v31
	s_delay_alu instid0(VALU_DEP_1) | instskip(NEXT) | instid1(VALU_DEP_1)
	v_cmp_ge_f32_e64 s4, 0, v35
	v_dual_fma_f32 v36, -v34, v32, v31 :: v_dual_cndmask_b32 v32, v32, v33, s4
	s_delay_alu instid0(VALU_DEP_1) | instskip(NEXT) | instid1(VALU_DEP_1)
	v_cmp_lt_f32_e64 s4, 0, v36
	v_cndmask_b32_e64 v32, v32, v34, s4
	s_delay_alu instid0(VALU_DEP_1) | instskip(NEXT) | instid1(VALU_DEP_1)
	v_mul_f32_e32 v33, 0x37800000, v32
	v_cndmask_b32_e64 v32, v32, v33, s3
	v_cmp_class_f32_e64 s3, v31, 0x260
	s_delay_alu instid0(VALU_DEP_1)
	v_cndmask_b32_e64 v31, v32, v31, s3
	s_or_b32 exec_lo, exec_lo, s5
	s_and_saveexec_b32 s3, vcc_lo
	s_cbranch_execz .LBB226_17
.LBB226_21:                             ;   in Loop: Header=BB226_9 Depth=1
	v_add_nc_u64_e32 v[32:33], s[10:11], v[10:11]
	global_store_b32 v[32:33], v28, off
	s_wait_xcnt 0x0
	s_or_b32 exec_lo, exec_lo, s3
	s_and_saveexec_b32 s3, s0
	s_cbranch_execz .LBB226_18
.LBB226_22:                             ;   in Loop: Header=BB226_9 Depth=1
	v_add_nc_u64_e32 v[32:33], s[10:11], v[26:27]
	global_store_b32 v[32:33], v30, off
	s_wait_xcnt 0x0
	s_or_b32 exec_lo, exec_lo, s3
	s_and_saveexec_b32 s0, s1
	s_cbranch_execz .LBB226_19
.LBB226_23:                             ;   in Loop: Header=BB226_9 Depth=1
	v_add_nc_u64_e32 v[32:33], s[10:11], v[18:19]
	global_store_b32 v[32:33], v29, off
	s_wait_xcnt 0x0
	s_or_b32 exec_lo, exec_lo, s0
	s_and_saveexec_b32 s0, s2
	s_cbranch_execz .LBB226_8
.LBB226_24:                             ;   in Loop: Header=BB226_9 Depth=1
	v_add_nc_u64_e32 v[28:29], s[10:11], v[22:23]
	global_store_b32 v[28:29], v31, off
	s_branch .LBB226_8
.LBB226_25:
	s_endpgm
	.section	.rodata,"a",@progbits
	.p2align	6, 0x0
	.amdhsa_kernel _ZN2at6native12_GLOBAL__N_125multi_tensor_apply_kernelINS1_18TensorListMetadataILi2EEENS1_14UnaryOpFunctorIfLi2ELi1ELi1EEEJNS0_4SqrtIfEEEEEvT_T0_DpT1_
		.amdhsa_group_segment_fixed_size 0
		.amdhsa_private_segment_fixed_size 0
		.amdhsa_kernarg_size 3408
		.amdhsa_user_sgpr_count 2
		.amdhsa_user_sgpr_dispatch_ptr 0
		.amdhsa_user_sgpr_queue_ptr 0
		.amdhsa_user_sgpr_kernarg_segment_ptr 1
		.amdhsa_user_sgpr_dispatch_id 0
		.amdhsa_user_sgpr_kernarg_preload_length 0
		.amdhsa_user_sgpr_kernarg_preload_offset 0
		.amdhsa_user_sgpr_private_segment_size 0
		.amdhsa_wavefront_size32 1
		.amdhsa_uses_dynamic_stack 0
		.amdhsa_enable_private_segment 0
		.amdhsa_system_sgpr_workgroup_id_x 1
		.amdhsa_system_sgpr_workgroup_id_y 0
		.amdhsa_system_sgpr_workgroup_id_z 0
		.amdhsa_system_sgpr_workgroup_info 0
		.amdhsa_system_vgpr_workitem_id 0
		.amdhsa_next_free_vgpr 37
		.amdhsa_next_free_sgpr 24
		.amdhsa_named_barrier_count 0
		.amdhsa_reserve_vcc 1
		.amdhsa_float_round_mode_32 0
		.amdhsa_float_round_mode_16_64 0
		.amdhsa_float_denorm_mode_32 3
		.amdhsa_float_denorm_mode_16_64 3
		.amdhsa_fp16_overflow 0
		.amdhsa_memory_ordered 1
		.amdhsa_forward_progress 1
		.amdhsa_inst_pref_size 17
		.amdhsa_round_robin_scheduling 0
		.amdhsa_exception_fp_ieee_invalid_op 0
		.amdhsa_exception_fp_denorm_src 0
		.amdhsa_exception_fp_ieee_div_zero 0
		.amdhsa_exception_fp_ieee_overflow 0
		.amdhsa_exception_fp_ieee_underflow 0
		.amdhsa_exception_fp_ieee_inexact 0
		.amdhsa_exception_int_div_zero 0
	.end_amdhsa_kernel
	.section	.text._ZN2at6native12_GLOBAL__N_125multi_tensor_apply_kernelINS1_18TensorListMetadataILi2EEENS1_14UnaryOpFunctorIfLi2ELi1ELi1EEEJNS0_4SqrtIfEEEEEvT_T0_DpT1_,"axG",@progbits,_ZN2at6native12_GLOBAL__N_125multi_tensor_apply_kernelINS1_18TensorListMetadataILi2EEENS1_14UnaryOpFunctorIfLi2ELi1ELi1EEEJNS0_4SqrtIfEEEEEvT_T0_DpT1_,comdat
.Lfunc_end226:
	.size	_ZN2at6native12_GLOBAL__N_125multi_tensor_apply_kernelINS1_18TensorListMetadataILi2EEENS1_14UnaryOpFunctorIfLi2ELi1ELi1EEEJNS0_4SqrtIfEEEEEvT_T0_DpT1_, .Lfunc_end226-_ZN2at6native12_GLOBAL__N_125multi_tensor_apply_kernelINS1_18TensorListMetadataILi2EEENS1_14UnaryOpFunctorIfLi2ELi1ELi1EEEJNS0_4SqrtIfEEEEEvT_T0_DpT1_
                                        ; -- End function
	.set _ZN2at6native12_GLOBAL__N_125multi_tensor_apply_kernelINS1_18TensorListMetadataILi2EEENS1_14UnaryOpFunctorIfLi2ELi1ELi1EEEJNS0_4SqrtIfEEEEEvT_T0_DpT1_.num_vgpr, 37
	.set _ZN2at6native12_GLOBAL__N_125multi_tensor_apply_kernelINS1_18TensorListMetadataILi2EEENS1_14UnaryOpFunctorIfLi2ELi1ELi1EEEJNS0_4SqrtIfEEEEEvT_T0_DpT1_.num_agpr, 0
	.set _ZN2at6native12_GLOBAL__N_125multi_tensor_apply_kernelINS1_18TensorListMetadataILi2EEENS1_14UnaryOpFunctorIfLi2ELi1ELi1EEEJNS0_4SqrtIfEEEEEvT_T0_DpT1_.numbered_sgpr, 24
	.set _ZN2at6native12_GLOBAL__N_125multi_tensor_apply_kernelINS1_18TensorListMetadataILi2EEENS1_14UnaryOpFunctorIfLi2ELi1ELi1EEEJNS0_4SqrtIfEEEEEvT_T0_DpT1_.num_named_barrier, 0
	.set _ZN2at6native12_GLOBAL__N_125multi_tensor_apply_kernelINS1_18TensorListMetadataILi2EEENS1_14UnaryOpFunctorIfLi2ELi1ELi1EEEJNS0_4SqrtIfEEEEEvT_T0_DpT1_.private_seg_size, 0
	.set _ZN2at6native12_GLOBAL__N_125multi_tensor_apply_kernelINS1_18TensorListMetadataILi2EEENS1_14UnaryOpFunctorIfLi2ELi1ELi1EEEJNS0_4SqrtIfEEEEEvT_T0_DpT1_.uses_vcc, 1
	.set _ZN2at6native12_GLOBAL__N_125multi_tensor_apply_kernelINS1_18TensorListMetadataILi2EEENS1_14UnaryOpFunctorIfLi2ELi1ELi1EEEJNS0_4SqrtIfEEEEEvT_T0_DpT1_.uses_flat_scratch, 0
	.set _ZN2at6native12_GLOBAL__N_125multi_tensor_apply_kernelINS1_18TensorListMetadataILi2EEENS1_14UnaryOpFunctorIfLi2ELi1ELi1EEEJNS0_4SqrtIfEEEEEvT_T0_DpT1_.has_dyn_sized_stack, 0
	.set _ZN2at6native12_GLOBAL__N_125multi_tensor_apply_kernelINS1_18TensorListMetadataILi2EEENS1_14UnaryOpFunctorIfLi2ELi1ELi1EEEJNS0_4SqrtIfEEEEEvT_T0_DpT1_.has_recursion, 0
	.set _ZN2at6native12_GLOBAL__N_125multi_tensor_apply_kernelINS1_18TensorListMetadataILi2EEENS1_14UnaryOpFunctorIfLi2ELi1ELi1EEEJNS0_4SqrtIfEEEEEvT_T0_DpT1_.has_indirect_call, 0
	.section	.AMDGPU.csdata,"",@progbits
; Kernel info:
; codeLenInByte = 2140
; TotalNumSgprs: 26
; NumVgprs: 37
; ScratchSize: 0
; MemoryBound: 0
; FloatMode: 240
; IeeeMode: 1
; LDSByteSize: 0 bytes/workgroup (compile time only)
; SGPRBlocks: 0
; VGPRBlocks: 2
; NumSGPRsForWavesPerEU: 26
; NumVGPRsForWavesPerEU: 37
; NamedBarCnt: 0
; Occupancy: 16
; WaveLimiterHint : 0
; COMPUTE_PGM_RSRC2:SCRATCH_EN: 0
; COMPUTE_PGM_RSRC2:USER_SGPR: 2
; COMPUTE_PGM_RSRC2:TRAP_HANDLER: 0
; COMPUTE_PGM_RSRC2:TGID_X_EN: 1
; COMPUTE_PGM_RSRC2:TGID_Y_EN: 0
; COMPUTE_PGM_RSRC2:TGID_Z_EN: 0
; COMPUTE_PGM_RSRC2:TIDIG_COMP_CNT: 0
	.section	.text._ZN2at6native12_GLOBAL__N_125multi_tensor_apply_kernelINS1_18TensorListMetadataILi2EEENS1_14UnaryOpFunctorIN3c107complexIdEELi2ELi1ELi1EEEJNS0_4SqrtIS8_EEEEEvT_T0_DpT1_,"axG",@progbits,_ZN2at6native12_GLOBAL__N_125multi_tensor_apply_kernelINS1_18TensorListMetadataILi2EEENS1_14UnaryOpFunctorIN3c107complexIdEELi2ELi1ELi1EEEJNS0_4SqrtIS8_EEEEEvT_T0_DpT1_,comdat
	.globl	_ZN2at6native12_GLOBAL__N_125multi_tensor_apply_kernelINS1_18TensorListMetadataILi2EEENS1_14UnaryOpFunctorIN3c107complexIdEELi2ELi1ELi1EEEJNS0_4SqrtIS8_EEEEEvT_T0_DpT1_ ; -- Begin function _ZN2at6native12_GLOBAL__N_125multi_tensor_apply_kernelINS1_18TensorListMetadataILi2EEENS1_14UnaryOpFunctorIN3c107complexIdEELi2ELi1ELi1EEEJNS0_4SqrtIS8_EEEEEvT_T0_DpT1_
	.p2align	8
	.type	_ZN2at6native12_GLOBAL__N_125multi_tensor_apply_kernelINS1_18TensorListMetadataILi2EEENS1_14UnaryOpFunctorIN3c107complexIdEELi2ELi1ELi1EEEJNS0_4SqrtIS8_EEEEEvT_T0_DpT1_,@function
_ZN2at6native12_GLOBAL__N_125multi_tensor_apply_kernelINS1_18TensorListMetadataILi2EEENS1_14UnaryOpFunctorIN3c107complexIdEELi2ELi1ELi1EEEJNS0_4SqrtIS8_EEEEEvT_T0_DpT1_: ; @_ZN2at6native12_GLOBAL__N_125multi_tensor_apply_kernelINS1_18TensorListMetadataILi2EEENS1_14UnaryOpFunctorIN3c107complexIdEELi2ELi1ELi1EEEJNS0_4SqrtIS8_EEEEEvT_T0_DpT1_
; %bb.0:
	s_bfe_u32 s2, ttmp6, 0x4000c
	s_and_b32 s3, ttmp6, 15
	s_add_co_i32 s2, s2, 1
	s_getreg_b32 s4, hwreg(HW_REG_IB_STS2, 6, 4)
	s_mul_i32 s2, ttmp9, s2
	s_delay_alu instid0(SALU_CYCLE_1)
	s_add_co_i32 s3, s3, s2
	s_cmp_eq_u32 s4, 0
	s_cselect_b32 s2, ttmp9, s3
	s_mov_b32 s3, 0
	s_load_u8 s11, s[0:1], s2 offset:0x600
	s_add_nc_u64 s[4:5], s[0:1], s[2:3]
	s_mul_u64 s[6:7], s[2:3], 3
	s_delay_alu instid0(SALU_CYCLE_1)
	s_add_nc_u64 s[4:5], s[4:5], s[6:7]
	s_load_b32 s10, s[4:5], 0x740
	s_wait_kmcnt 0x0
	s_clause 0x2
	s_load_b64 s[6:7], s[0:1], s11 offset:0x0 scale_offset
	s_load_b64 s[8:9], s[0:1], s11 offset:0x200 scale_offset
	;; [unrolled: 1-line block ×3, first 2 shown]
	s_wait_xcnt 0x0
	s_ashr_i32 s11, s10, 31
	s_delay_alu instid0(SALU_CYCLE_1)
	s_lshl_b64 s[4:5], s[10:11], 20
	s_lshl_b64 s[10:11], s[10:11], 16
	s_wait_kmcnt 0x0
	s_add_nc_u64 s[8:9], s[8:9], s[4:5]
	s_add_nc_u64 s[6:7], s[6:7], s[4:5]
	s_and_b32 s4, s12, 3
	s_and_b64 s[14:15], s[8:9], 63
	s_mov_b32 s5, s3
	s_and_b32 s2, s6, 63
	s_or_b64 s[4:5], s[14:15], s[4:5]
	s_delay_alu instid0(SALU_CYCLE_1)
	s_or_b64 s[2:3], s[4:5], s[2:3]
	s_sub_nc_u64 s[4:5], s[12:13], s[10:11]
	s_cmp_eq_u64 s[2:3], 0
	s_mov_b32 s2, -1
	s_cbranch_scc0 .LBB227_133
; %bb.1:
	v_min_i64 v[26:27], 0x10000, s[4:5]
	v_dual_mov_b32 v29, 0 :: v_dual_lshlrev_b32 v28, 2, v0
	s_mov_b32 s20, exec_lo
	s_delay_alu instid0(VALU_DEP_1)
	v_cmpx_lt_i64_e64 v[28:29], v[26:27]
	s_cbranch_execz .LBB227_132
; %bb.2:
	s_load_b32 s2, s[0:1], 0xc5c
	v_dual_mov_b32 v1, v29 :: v_dual_lshlrev_b32 v28, 6, v0
	s_mov_b32 s11, 0
	s_mov_b64 s[12:13], 0x7fda827999fcef32
	s_mov_b64 s[14:15], s[6:7]
	s_delay_alu instid0(VALU_DEP_1)
	v_mov_b64_e32 v[30:31], v[0:1]
	s_mov_b32 s17, s11
	s_mov_b32 s21, s11
	s_mov_b64 s[18:19], s[8:9]
	s_wait_kmcnt 0x0
	s_and_b32 s10, s2, 0xffff
	s_delay_alu instid0(SALU_CYCLE_1)
	s_lshl_b32 s16, s10, 6
	s_branch .LBB227_6
.LBB227_3:                              ;   in Loop: Header=BB227_6 Depth=1
	s_or_b32 exec_lo, exec_lo, s2
.LBB227_4:                              ;   in Loop: Header=BB227_6 Depth=1
	s_delay_alu instid0(SALU_CYCLE_1)
	s_or_b32 exec_lo, exec_lo, s23
.LBB227_5:                              ;   in Loop: Header=BB227_6 Depth=1
	s_delay_alu instid0(SALU_CYCLE_1)
	s_or_b32 exec_lo, exec_lo, s22
	v_add_nc_u64_e32 v[30:31], s[10:11], v[30:31]
	v_add_nc_u64_e32 v[2:3], s[18:19], v[28:29]
	v_dual_mov_b32 v24, v16 :: v_dual_mov_b32 v25, v17
	v_dual_mov_b32 v16, v8 :: v_dual_mov_b32 v17, v9
	;; [unrolled: 1-line block ×3, first 2 shown]
	v_lshlrev_b64_e32 v[6:7], 2, v[30:31]
	v_dual_mov_b32 v12, v4 :: v_dual_mov_b32 v13, v5
	s_add_nc_u64 s[18:19], s[18:19], s[16:17]
	s_add_nc_u64 s[14:15], s[14:15], s[16:17]
	s_clause 0x3
	global_store_b128 v[2:3], v[22:25], off
	global_store_b128 v[2:3], v[18:21], off offset:16
	global_store_b128 v[2:3], v[14:17], off offset:32
	;; [unrolled: 1-line block ×3, first 2 shown]
	v_cmp_ge_i64_e32 vcc_lo, v[6:7], v[26:27]
	s_or_b32 s21, vcc_lo, s21
	s_wait_xcnt 0x0
	s_and_not1_b32 exec_lo, exec_lo, s21
	s_cbranch_execz .LBB227_132
.LBB227_6:                              ; =>This Inner Loop Header: Depth=1
	v_add_nc_u64_e32 v[18:19], s[14:15], v[28:29]
	v_mov_b64_e32 v[22:23], 0
	s_clause 0x3
	global_load_b128 v[14:17], v[18:19], off
	global_load_b128 v[10:13], v[18:19], off offset:16
	global_load_b128 v[2:5], v[18:19], off offset:48
	;; [unrolled: 1-line block ×3, first 2 shown]
	s_wait_xcnt 0x0
	v_mov_b64_e32 v[18:19], 0
	s_wait_loadcnt 0x3
	v_cmp_neq_f64_e32 vcc_lo, 0, v[14:15]
	v_cmp_neq_f64_e64 s2, 0, v[16:17]
	s_or_b32 s2, vcc_lo, s2
	s_delay_alu instid0(SALU_CYCLE_1)
	s_and_saveexec_b32 s22, s2
	s_cbranch_execz .LBB227_32
; %bb.7:                                ;   in Loop: Header=BB227_6 Depth=1
	v_mov_b64_e32 v[22:23], 0x7ff0000000000000
	s_mov_b32 s23, exec_lo
	v_cmpx_neq_f64_e64 0x7ff00000, |v[16:17]|
	s_cbranch_execz .LBB227_31
; %bb.8:                                ;   in Loop: Header=BB227_6 Depth=1
                                        ; implicit-def: $vgpr22_vgpr23
	s_mov_b32 s2, exec_lo
	v_cmpx_o_f64_e32 v[14:15], v[14:15]
	s_xor_b32 s24, exec_lo, s2
	s_cbranch_execz .LBB227_28
; %bb.9:                                ;   in Loop: Header=BB227_6 Depth=1
                                        ; implicit-def: $vgpr22_vgpr23
	s_mov_b32 s3, exec_lo
	v_cmpx_neq_f64_e64 0x7ff00000, |v[14:15]|
	s_xor_b32 s25, exec_lo, s3
	s_cbranch_execz .LBB227_22
; %bb.10:                               ;   in Loop: Header=BB227_6 Depth=1
	v_max_num_f64_e64 v[20:21], |v[16:17]|, |v[16:17]|
	v_max_num_f64_e64 v[22:23], |v[14:15]|, |v[14:15]|
                                        ; implicit-def: $sgpr26
	s_delay_alu instid0(VALU_DEP_1) | instskip(NEXT) | instid1(VALU_DEP_1)
	v_max_num_f64_e32 v[20:21], v[22:23], v[20:21]
	v_cmp_nle_f64_e64 s2, s[12:13], v[20:21]
	s_and_saveexec_b32 s3, s2
	s_delay_alu instid0(SALU_CYCLE_1)
	s_xor_b32 s3, exec_lo, s3
	s_cbranch_execz .LBB227_14
; %bb.11:                               ;   in Loop: Header=BB227_6 Depth=1
	v_cmp_ge_f64_e64 s26, 0x200000, |v[14:15]|
	v_cmp_ge_f64_e64 s27, 0x200000, |v[16:17]|
	s_and_b32 s28, s26, s27
	s_mov_b32 s26, 0
	s_and_saveexec_b32 s27, s28
	s_cbranch_execz .LBB227_13
; %bb.12:                               ;   in Loop: Header=BB227_6 Depth=1
	v_mul_f64_e32 v[14:15], 4.0, v[14:15]
	v_mul_f64_e32 v[16:17], 4.0, v[16:17]
	s_mov_b32 s26, exec_lo
.LBB227_13:                             ;   in Loop: Header=BB227_6 Depth=1
	s_or_b32 exec_lo, exec_lo, s27
.LBB227_14:                             ;   in Loop: Header=BB227_6 Depth=1
	s_and_not1_saveexec_b32 s3, s3
	s_cbranch_execz .LBB227_16
; %bb.15:                               ;   in Loop: Header=BB227_6 Depth=1
	s_delay_alu instid0(VALU_DEP_2) | instskip(NEXT) | instid1(VALU_DEP_2)
	v_ldexp_f64 v[14:15], v[14:15], -2
	v_ldexp_f64 v[16:17], v[16:17], -2
	s_and_not1_b32 s26, s26, exec_lo
.LBB227_16:                             ;   in Loop: Header=BB227_6 Depth=1
	s_or_b32 exec_lo, exec_lo, s3
	s_delay_alu instid0(VALU_DEP_1) | instskip(NEXT) | instid1(VALU_DEP_3)
	v_max_num_f64_e64 v[20:21], |v[16:17]|, |v[16:17]|
	v_max_num_f64_e64 v[22:23], |v[14:15]|, |v[14:15]|
	v_cmp_class_f64_e64 s27, v[14:15], 0x204
	v_cmp_class_f64_e64 s28, v[16:17], 0x204
	v_cmp_le_f64_e64 s3, 0, v[14:15]
	s_delay_alu instid0(VALU_DEP_4) | instskip(SKIP_1) | instid1(VALU_DEP_1)
	v_max_num_f64_e32 v[20:21], v[22:23], v[20:21]
	s_or_b32 s27, s28, s27
	v_frexp_exp_i32_f64_e32 v1, v[20:21]
	s_delay_alu instid0(VALU_DEP_1) | instskip(NEXT) | instid1(VALU_DEP_1)
	v_sub_nc_u32_e32 v22, 0, v1
	v_ldexp_f64 v[20:21], |v[16:17]|, v22
	v_ldexp_f64 v[22:23], |v[14:15]|, v22
	s_delay_alu instid0(VALU_DEP_2) | instskip(NEXT) | instid1(VALU_DEP_1)
	v_mul_f64_e32 v[20:21], v[20:21], v[20:21]
	v_fmac_f64_e32 v[20:21], v[22:23], v[22:23]
	s_delay_alu instid0(VALU_DEP_1) | instskip(SKIP_1) | instid1(TRANS32_DEP_1)
	v_rsq_f64_e32 v[22:23], v[20:21]
	v_cmp_eq_f64_e32 vcc_lo, 0, v[20:21]
	v_mul_f64_e32 v[24:25], v[20:21], v[22:23]
	v_mul_f64_e32 v[22:23], 0.5, v[22:23]
	s_delay_alu instid0(VALU_DEP_1) | instskip(NEXT) | instid1(VALU_DEP_1)
	v_fma_f64 v[32:33], -v[22:23], v[24:25], 0.5
	v_fmac_f64_e32 v[24:25], v[24:25], v[32:33]
	v_fmac_f64_e32 v[22:23], v[22:23], v[32:33]
	s_delay_alu instid0(VALU_DEP_2) | instskip(NEXT) | instid1(VALU_DEP_1)
	v_fma_f64 v[32:33], -v[24:25], v[24:25], v[20:21]
	v_fmac_f64_e32 v[24:25], v[32:33], v[22:23]
                                        ; implicit-def: $vgpr22_vgpr23
	s_delay_alu instid0(VALU_DEP_1) | instskip(SKIP_1) | instid1(VALU_DEP_2)
	v_dual_cndmask_b32 v21, v25, v21 :: v_dual_cndmask_b32 v20, v24, v20
	v_cmp_o_f64_e32 vcc_lo, v[16:17], v[16:17]
	v_ldexp_f64 v[20:21], v[20:21], v1
	s_delay_alu instid0(VALU_DEP_1) | instskip(NEXT) | instid1(VALU_DEP_2)
	v_cndmask_b32_e32 v1, 0, v20, vcc_lo
	v_cndmask_b32_e32 v20, 0x7ff80000, v21, vcc_lo
	s_delay_alu instid0(VALU_DEP_1) | instskip(NEXT) | instid1(VALU_DEP_3)
	v_cndmask_b32_e64 v21, v20, 0x7ff00000, s27
	v_cndmask_b32_e64 v20, v1, 0, s27
	s_and_saveexec_b32 s27, s3
	s_delay_alu instid0(SALU_CYCLE_1)
	s_xor_b32 s3, exec_lo, s27
	s_cbranch_execnz .LBB227_112
; %bb.17:                               ;   in Loop: Header=BB227_6 Depth=1
	s_and_not1_saveexec_b32 s3, s3
	s_cbranch_execnz .LBB227_113
.LBB227_18:                             ;   in Loop: Header=BB227_6 Depth=1
	s_or_b32 exec_lo, exec_lo, s3
	s_and_saveexec_b32 s3, s2
	s_delay_alu instid0(SALU_CYCLE_1)
	s_xor_b32 s2, exec_lo, s3
	s_cbranch_execnz .LBB227_114
.LBB227_19:                             ;   in Loop: Header=BB227_6 Depth=1
	s_and_not1_saveexec_b32 s2, s2
	s_cbranch_execz .LBB227_21
.LBB227_20:                             ;   in Loop: Header=BB227_6 Depth=1
	s_delay_alu instid0(VALU_DEP_2) | instskip(NEXT) | instid1(VALU_DEP_2)
	v_add_f64_e32 v[22:23], v[22:23], v[22:23]
	v_add_f64_e32 v[16:17], v[16:17], v[16:17]
.LBB227_21:                             ;   in Loop: Header=BB227_6 Depth=1
	s_or_b32 exec_lo, exec_lo, s2
.LBB227_22:                             ;   in Loop: Header=BB227_6 Depth=1
	s_and_not1_saveexec_b32 s2, s25
	s_cbranch_execz .LBB227_111
; %bb.23:                               ;   in Loop: Header=BB227_6 Depth=1
	s_delay_alu instid0(VALU_DEP_1) | instskip(SKIP_1) | instid1(VALU_DEP_1)
	v_add_f64_e64 v[20:21], v[16:17], -v[16:17]
	s_mov_b32 s3, exec_lo
	v_and_b32_e32 v23, 0x7fffffff, v21
	s_delay_alu instid0(VALU_DEP_2)
	v_mov_b32_e32 v22, v20
	v_cmpx_lt_i64_e32 -1, v[14:15]
	s_xor_b32 s3, exec_lo, s3
; %bb.24:                               ;   in Loop: Header=BB227_6 Depth=1
	v_bfi_b32 v21, 0x7fffffff, v21, v17
	v_mov_b64_e32 v[22:23], v[14:15]
	s_delay_alu instid0(VALU_DEP_2)
	v_mov_b64_e32 v[16:17], v[20:21]
; %bb.25:                               ;   in Loop: Header=BB227_6 Depth=1
	s_and_not1_saveexec_b32 s3, s3
; %bb.26:                               ;   in Loop: Header=BB227_6 Depth=1
	s_delay_alu instid0(VALU_DEP_1) | instskip(NEXT) | instid1(VALU_DEP_1)
	v_bfi_b32 v15, 0x7fffffff, v15, v17
	v_mov_b64_e32 v[16:17], v[14:15]
; %bb.27:                               ;   in Loop: Header=BB227_6 Depth=1
	s_or_b32 exec_lo, exec_lo, s3
	s_delay_alu instid0(SALU_CYCLE_1)
	s_or_b32 exec_lo, exec_lo, s2
.LBB227_28:                             ;   in Loop: Header=BB227_6 Depth=1
	s_and_not1_saveexec_b32 s2, s24
	s_cbranch_execz .LBB227_30
.LBB227_29:                             ;   in Loop: Header=BB227_6 Depth=1
	s_delay_alu instid0(VALU_DEP_1) | instskip(NEXT) | instid1(VALU_DEP_1)
	v_add_f64_e64 v[16:17], v[16:17], -v[16:17]
	v_div_scale_f64 v[20:21], vcc_lo, v[16:17], v[16:17], v[16:17]
	s_delay_alu instid0(VALU_DEP_1) | instskip(SKIP_1) | instid1(TRANS32_DEP_1)
	v_rcp_f64_e32 v[22:23], v[20:21]
	v_nop
	v_fma_f64 v[24:25], -v[20:21], v[22:23], 1.0
	s_delay_alu instid0(VALU_DEP_1) | instskip(NEXT) | instid1(VALU_DEP_1)
	v_fmac_f64_e32 v[22:23], v[22:23], v[24:25]
	v_fma_f64 v[24:25], -v[20:21], v[22:23], 1.0
	s_delay_alu instid0(VALU_DEP_1) | instskip(NEXT) | instid1(VALU_DEP_1)
	v_fmac_f64_e32 v[22:23], v[22:23], v[24:25]
	v_mul_f64_e32 v[24:25], v[20:21], v[22:23]
	s_delay_alu instid0(VALU_DEP_1) | instskip(NEXT) | instid1(VALU_DEP_1)
	v_fma_f64 v[20:21], -v[20:21], v[24:25], v[20:21]
	v_div_fmas_f64 v[20:21], v[20:21], v[22:23], v[24:25]
	v_mov_b64_e32 v[22:23], v[14:15]
	s_delay_alu instid0(VALU_DEP_2)
	v_div_fixup_f64 v[16:17], v[20:21], v[16:17], v[16:17]
.LBB227_30:                             ;   in Loop: Header=BB227_6 Depth=1
	s_or_b32 exec_lo, exec_lo, s2
.LBB227_31:                             ;   in Loop: Header=BB227_6 Depth=1
	s_delay_alu instid0(SALU_CYCLE_1)
	s_or_b32 exec_lo, exec_lo, s23
.LBB227_32:                             ;   in Loop: Header=BB227_6 Depth=1
	s_delay_alu instid0(SALU_CYCLE_1) | instskip(SKIP_4) | instid1(SALU_CYCLE_1)
	s_or_b32 exec_lo, exec_lo, s22
	s_wait_loadcnt 0x2
	v_cmp_neq_f64_e32 vcc_lo, 0, v[10:11]
	v_cmp_neq_f64_e64 s2, 0, v[12:13]
	s_or_b32 s2, vcc_lo, s2
	s_and_saveexec_b32 s22, s2
	s_cbranch_execz .LBB227_59
; %bb.33:                               ;   in Loop: Header=BB227_6 Depth=1
	v_mov_b64_e32 v[18:19], 0x7ff0000000000000
	s_mov_b32 s23, exec_lo
	v_cmpx_neq_f64_e64 0x7ff00000, |v[12:13]|
	s_cbranch_execz .LBB227_58
; %bb.34:                               ;   in Loop: Header=BB227_6 Depth=1
                                        ; implicit-def: $vgpr18_vgpr19
	s_mov_b32 s2, exec_lo
	v_cmpx_o_f64_e32 v[10:11], v[10:11]
	s_xor_b32 s24, exec_lo, s2
	s_cbranch_execz .LBB227_55
; %bb.35:                               ;   in Loop: Header=BB227_6 Depth=1
                                        ; implicit-def: $vgpr18_vgpr19
	s_mov_b32 s3, exec_lo
	v_cmpx_neq_f64_e64 0x7ff00000, |v[10:11]|
	s_xor_b32 s25, exec_lo, s3
	s_cbranch_execz .LBB227_48
; %bb.36:                               ;   in Loop: Header=BB227_6 Depth=1
	v_max_num_f64_e64 v[14:15], |v[12:13]|, |v[12:13]|
	v_max_num_f64_e64 v[18:19], |v[10:11]|, |v[10:11]|
                                        ; implicit-def: $sgpr26
	s_delay_alu instid0(VALU_DEP_1) | instskip(NEXT) | instid1(VALU_DEP_1)
	v_max_num_f64_e32 v[14:15], v[18:19], v[14:15]
	v_cmp_nle_f64_e64 s2, s[12:13], v[14:15]
	s_and_saveexec_b32 s3, s2
	s_delay_alu instid0(SALU_CYCLE_1)
	s_xor_b32 s3, exec_lo, s3
	s_cbranch_execz .LBB227_40
; %bb.37:                               ;   in Loop: Header=BB227_6 Depth=1
	v_cmp_ge_f64_e64 s26, 0x200000, |v[10:11]|
	v_cmp_ge_f64_e64 s27, 0x200000, |v[12:13]|
	s_and_b32 s28, s26, s27
	s_mov_b32 s26, 0
	s_and_saveexec_b32 s27, s28
	s_cbranch_execz .LBB227_39
; %bb.38:                               ;   in Loop: Header=BB227_6 Depth=1
	v_mul_f64_e32 v[10:11], 4.0, v[10:11]
	v_mul_f64_e32 v[12:13], 4.0, v[12:13]
	s_mov_b32 s26, exec_lo
.LBB227_39:                             ;   in Loop: Header=BB227_6 Depth=1
	s_or_b32 exec_lo, exec_lo, s27
.LBB227_40:                             ;   in Loop: Header=BB227_6 Depth=1
	s_and_not1_saveexec_b32 s3, s3
	s_cbranch_execz .LBB227_42
; %bb.41:                               ;   in Loop: Header=BB227_6 Depth=1
	s_delay_alu instid0(VALU_DEP_2) | instskip(NEXT) | instid1(VALU_DEP_2)
	v_ldexp_f64 v[10:11], v[10:11], -2
	v_ldexp_f64 v[12:13], v[12:13], -2
	s_and_not1_b32 s26, s26, exec_lo
.LBB227_42:                             ;   in Loop: Header=BB227_6 Depth=1
	s_or_b32 exec_lo, exec_lo, s3
	s_delay_alu instid0(VALU_DEP_1) | instskip(NEXT) | instid1(VALU_DEP_3)
	v_max_num_f64_e64 v[14:15], |v[12:13]|, |v[12:13]|
	v_max_num_f64_e64 v[18:19], |v[10:11]|, |v[10:11]|
	v_cmp_class_f64_e64 s27, v[10:11], 0x204
	v_cmp_class_f64_e64 s28, v[12:13], 0x204
	v_cmp_le_f64_e64 s3, 0, v[10:11]
	s_delay_alu instid0(VALU_DEP_4) | instskip(SKIP_1) | instid1(VALU_DEP_1)
	v_max_num_f64_e32 v[14:15], v[18:19], v[14:15]
	s_or_b32 s27, s28, s27
	v_frexp_exp_i32_f64_e32 v1, v[14:15]
	s_delay_alu instid0(VALU_DEP_1) | instskip(NEXT) | instid1(VALU_DEP_1)
	v_sub_nc_u32_e32 v18, 0, v1
	v_ldexp_f64 v[14:15], |v[12:13]|, v18
	v_ldexp_f64 v[18:19], |v[10:11]|, v18
	s_delay_alu instid0(VALU_DEP_2) | instskip(NEXT) | instid1(VALU_DEP_1)
	v_mul_f64_e32 v[14:15], v[14:15], v[14:15]
	v_fmac_f64_e32 v[14:15], v[18:19], v[18:19]
	s_delay_alu instid0(VALU_DEP_1) | instskip(SKIP_1) | instid1(TRANS32_DEP_1)
	v_rsq_f64_e32 v[18:19], v[14:15]
	v_cmp_eq_f64_e32 vcc_lo, 0, v[14:15]
	v_mul_f64_e32 v[20:21], v[14:15], v[18:19]
	v_mul_f64_e32 v[18:19], 0.5, v[18:19]
	s_delay_alu instid0(VALU_DEP_1) | instskip(NEXT) | instid1(VALU_DEP_1)
	v_fma_f64 v[24:25], -v[18:19], v[20:21], 0.5
	v_fmac_f64_e32 v[20:21], v[20:21], v[24:25]
	v_fmac_f64_e32 v[18:19], v[18:19], v[24:25]
	s_delay_alu instid0(VALU_DEP_2) | instskip(NEXT) | instid1(VALU_DEP_1)
	v_fma_f64 v[24:25], -v[20:21], v[20:21], v[14:15]
	v_fmac_f64_e32 v[20:21], v[24:25], v[18:19]
                                        ; implicit-def: $vgpr18_vgpr19
	s_delay_alu instid0(VALU_DEP_1) | instskip(SKIP_1) | instid1(VALU_DEP_2)
	v_dual_cndmask_b32 v15, v21, v15 :: v_dual_cndmask_b32 v14, v20, v14
	v_cmp_o_f64_e32 vcc_lo, v[12:13], v[12:13]
	v_ldexp_f64 v[14:15], v[14:15], v1
	s_delay_alu instid0(VALU_DEP_1) | instskip(NEXT) | instid1(VALU_DEP_2)
	v_cndmask_b32_e32 v1, 0, v14, vcc_lo
	v_cndmask_b32_e32 v14, 0x7ff80000, v15, vcc_lo
	s_delay_alu instid0(VALU_DEP_1) | instskip(NEXT) | instid1(VALU_DEP_3)
	v_cndmask_b32_e64 v15, v14, 0x7ff00000, s27
	v_cndmask_b32_e64 v14, v1, 0, s27
	s_and_saveexec_b32 s27, s3
	s_delay_alu instid0(SALU_CYCLE_1)
	s_xor_b32 s3, exec_lo, s27
	s_cbranch_execnz .LBB227_117
; %bb.43:                               ;   in Loop: Header=BB227_6 Depth=1
	s_and_not1_saveexec_b32 s3, s3
	s_cbranch_execnz .LBB227_118
.LBB227_44:                             ;   in Loop: Header=BB227_6 Depth=1
	s_or_b32 exec_lo, exec_lo, s3
	s_and_saveexec_b32 s3, s2
	s_delay_alu instid0(SALU_CYCLE_1)
	s_xor_b32 s2, exec_lo, s3
	s_cbranch_execnz .LBB227_119
.LBB227_45:                             ;   in Loop: Header=BB227_6 Depth=1
	s_and_not1_saveexec_b32 s2, s2
	s_cbranch_execz .LBB227_47
.LBB227_46:                             ;   in Loop: Header=BB227_6 Depth=1
	s_delay_alu instid0(VALU_DEP_2) | instskip(NEXT) | instid1(VALU_DEP_2)
	v_add_f64_e32 v[18:19], v[18:19], v[18:19]
	v_add_f64_e32 v[12:13], v[12:13], v[12:13]
.LBB227_47:                             ;   in Loop: Header=BB227_6 Depth=1
	s_or_b32 exec_lo, exec_lo, s2
.LBB227_48:                             ;   in Loop: Header=BB227_6 Depth=1
	s_and_not1_saveexec_b32 s2, s25
	s_cbranch_execz .LBB227_54
; %bb.49:                               ;   in Loop: Header=BB227_6 Depth=1
	s_delay_alu instid0(VALU_DEP_1) | instskip(SKIP_1) | instid1(VALU_DEP_1)
	v_add_f64_e64 v[14:15], v[12:13], -v[12:13]
	s_mov_b32 s3, exec_lo
	v_and_b32_e32 v19, 0x7fffffff, v15
	s_delay_alu instid0(VALU_DEP_2)
	v_mov_b32_e32 v18, v14
	v_cmpx_lt_i64_e32 -1, v[10:11]
	s_xor_b32 s3, exec_lo, s3
; %bb.50:                               ;   in Loop: Header=BB227_6 Depth=1
	v_bfi_b32 v15, 0x7fffffff, v15, v13
	v_mov_b64_e32 v[18:19], v[10:11]
	s_delay_alu instid0(VALU_DEP_2)
	v_mov_b64_e32 v[12:13], v[14:15]
; %bb.51:                               ;   in Loop: Header=BB227_6 Depth=1
	s_and_not1_saveexec_b32 s3, s3
; %bb.52:                               ;   in Loop: Header=BB227_6 Depth=1
	s_delay_alu instid0(VALU_DEP_1) | instskip(NEXT) | instid1(VALU_DEP_1)
	v_bfi_b32 v11, 0x7fffffff, v11, v13
	v_mov_b64_e32 v[12:13], v[10:11]
; %bb.53:                               ;   in Loop: Header=BB227_6 Depth=1
	s_or_b32 exec_lo, exec_lo, s3
.LBB227_54:                             ;   in Loop: Header=BB227_6 Depth=1
	s_delay_alu instid0(SALU_CYCLE_1)
	s_or_b32 exec_lo, exec_lo, s2
.LBB227_55:                             ;   in Loop: Header=BB227_6 Depth=1
	s_and_not1_saveexec_b32 s2, s24
	s_cbranch_execz .LBB227_57
; %bb.56:                               ;   in Loop: Header=BB227_6 Depth=1
	s_delay_alu instid0(VALU_DEP_1) | instskip(NEXT) | instid1(VALU_DEP_1)
	v_add_f64_e64 v[12:13], v[12:13], -v[12:13]
	v_div_scale_f64 v[14:15], vcc_lo, v[12:13], v[12:13], v[12:13]
	s_delay_alu instid0(VALU_DEP_1) | instskip(SKIP_1) | instid1(TRANS32_DEP_1)
	v_rcp_f64_e32 v[18:19], v[14:15]
	v_nop
	v_fma_f64 v[20:21], -v[14:15], v[18:19], 1.0
	s_delay_alu instid0(VALU_DEP_1) | instskip(NEXT) | instid1(VALU_DEP_1)
	v_fmac_f64_e32 v[18:19], v[18:19], v[20:21]
	v_fma_f64 v[20:21], -v[14:15], v[18:19], 1.0
	s_delay_alu instid0(VALU_DEP_1) | instskip(NEXT) | instid1(VALU_DEP_1)
	v_fmac_f64_e32 v[18:19], v[18:19], v[20:21]
	v_mul_f64_e32 v[20:21], v[14:15], v[18:19]
	s_delay_alu instid0(VALU_DEP_1) | instskip(NEXT) | instid1(VALU_DEP_1)
	v_fma_f64 v[14:15], -v[14:15], v[20:21], v[14:15]
	v_div_fmas_f64 v[14:15], v[14:15], v[18:19], v[20:21]
	v_mov_b64_e32 v[18:19], v[10:11]
	s_delay_alu instid0(VALU_DEP_2)
	v_div_fixup_f64 v[12:13], v[14:15], v[12:13], v[12:13]
.LBB227_57:                             ;   in Loop: Header=BB227_6 Depth=1
	s_or_b32 exec_lo, exec_lo, s2
.LBB227_58:                             ;   in Loop: Header=BB227_6 Depth=1
	s_delay_alu instid0(SALU_CYCLE_1)
	s_or_b32 exec_lo, exec_lo, s23
.LBB227_59:                             ;   in Loop: Header=BB227_6 Depth=1
	s_delay_alu instid0(SALU_CYCLE_1)
	s_or_b32 exec_lo, exec_lo, s22
	s_wait_loadcnt 0x0
	v_cmp_neq_f64_e32 vcc_lo, 0, v[6:7]
	v_cmp_neq_f64_e64 s2, 0, v[8:9]
	v_mov_b64_e32 v[10:11], 0
	v_mov_b64_e32 v[14:15], 0
	s_or_b32 s2, vcc_lo, s2
	s_delay_alu instid0(SALU_CYCLE_1)
	s_and_saveexec_b32 s22, s2
	s_cbranch_execz .LBB227_86
; %bb.60:                               ;   in Loop: Header=BB227_6 Depth=1
	v_mov_b64_e32 v[14:15], 0x7ff0000000000000
	s_mov_b32 s23, exec_lo
	v_cmpx_neq_f64_e64 0x7ff00000, |v[8:9]|
	s_cbranch_execz .LBB227_85
; %bb.61:                               ;   in Loop: Header=BB227_6 Depth=1
                                        ; implicit-def: $vgpr14_vgpr15
	s_mov_b32 s2, exec_lo
	v_cmpx_o_f64_e32 v[6:7], v[6:7]
	s_xor_b32 s24, exec_lo, s2
	s_cbranch_execz .LBB227_82
; %bb.62:                               ;   in Loop: Header=BB227_6 Depth=1
                                        ; implicit-def: $vgpr14_vgpr15
	s_mov_b32 s3, exec_lo
	v_cmpx_neq_f64_e64 0x7ff00000, |v[6:7]|
	s_xor_b32 s25, exec_lo, s3
	s_cbranch_execz .LBB227_75
; %bb.63:                               ;   in Loop: Header=BB227_6 Depth=1
	v_max_num_f64_e64 v[14:15], |v[8:9]|, |v[8:9]|
	v_max_num_f64_e64 v[20:21], |v[6:7]|, |v[6:7]|
                                        ; implicit-def: $sgpr26
	s_delay_alu instid0(VALU_DEP_1) | instskip(NEXT) | instid1(VALU_DEP_1)
	v_max_num_f64_e32 v[14:15], v[20:21], v[14:15]
	v_cmp_nle_f64_e64 s2, s[12:13], v[14:15]
	s_and_saveexec_b32 s3, s2
	s_delay_alu instid0(SALU_CYCLE_1)
	s_xor_b32 s3, exec_lo, s3
	s_cbranch_execz .LBB227_67
; %bb.64:                               ;   in Loop: Header=BB227_6 Depth=1
	v_cmp_ge_f64_e64 s26, 0x200000, |v[6:7]|
	v_cmp_ge_f64_e64 s27, 0x200000, |v[8:9]|
	s_and_b32 s28, s26, s27
	s_mov_b32 s26, 0
	s_and_saveexec_b32 s27, s28
	s_cbranch_execz .LBB227_66
; %bb.65:                               ;   in Loop: Header=BB227_6 Depth=1
	v_mul_f64_e32 v[6:7], 4.0, v[6:7]
	v_mul_f64_e32 v[8:9], 4.0, v[8:9]
	s_mov_b32 s26, exec_lo
.LBB227_66:                             ;   in Loop: Header=BB227_6 Depth=1
	s_or_b32 exec_lo, exec_lo, s27
.LBB227_67:                             ;   in Loop: Header=BB227_6 Depth=1
	s_and_not1_saveexec_b32 s3, s3
	s_cbranch_execz .LBB227_69
; %bb.68:                               ;   in Loop: Header=BB227_6 Depth=1
	s_delay_alu instid0(VALU_DEP_2) | instskip(NEXT) | instid1(VALU_DEP_2)
	v_ldexp_f64 v[6:7], v[6:7], -2
	v_ldexp_f64 v[8:9], v[8:9], -2
	s_and_not1_b32 s26, s26, exec_lo
.LBB227_69:                             ;   in Loop: Header=BB227_6 Depth=1
	s_or_b32 exec_lo, exec_lo, s3
	s_delay_alu instid0(VALU_DEP_1) | instskip(NEXT) | instid1(VALU_DEP_3)
	v_max_num_f64_e64 v[14:15], |v[8:9]|, |v[8:9]|
	v_max_num_f64_e64 v[20:21], |v[6:7]|, |v[6:7]|
	v_cmp_class_f64_e64 s27, v[6:7], 0x204
	v_cmp_class_f64_e64 s28, v[8:9], 0x204
	v_cmp_le_f64_e64 s3, 0, v[6:7]
	s_delay_alu instid0(VALU_DEP_4) | instskip(SKIP_1) | instid1(VALU_DEP_1)
	v_max_num_f64_e32 v[14:15], v[20:21], v[14:15]
	s_or_b32 s27, s28, s27
	v_frexp_exp_i32_f64_e32 v1, v[14:15]
	s_delay_alu instid0(VALU_DEP_1) | instskip(NEXT) | instid1(VALU_DEP_1)
	v_sub_nc_u32_e32 v20, 0, v1
	v_ldexp_f64 v[14:15], |v[8:9]|, v20
	v_ldexp_f64 v[20:21], |v[6:7]|, v20
	s_delay_alu instid0(VALU_DEP_2) | instskip(NEXT) | instid1(VALU_DEP_1)
	v_mul_f64_e32 v[14:15], v[14:15], v[14:15]
	v_fmac_f64_e32 v[14:15], v[20:21], v[20:21]
	s_delay_alu instid0(VALU_DEP_1) | instskip(SKIP_1) | instid1(TRANS32_DEP_1)
	v_rsq_f64_e32 v[20:21], v[14:15]
	v_cmp_eq_f64_e32 vcc_lo, 0, v[14:15]
	v_mul_f64_e32 v[24:25], v[14:15], v[20:21]
	v_mul_f64_e32 v[20:21], 0.5, v[20:21]
	s_delay_alu instid0(VALU_DEP_1) | instskip(NEXT) | instid1(VALU_DEP_1)
	v_fma_f64 v[32:33], -v[20:21], v[24:25], 0.5
	v_fmac_f64_e32 v[24:25], v[24:25], v[32:33]
	v_fmac_f64_e32 v[20:21], v[20:21], v[32:33]
	s_delay_alu instid0(VALU_DEP_2) | instskip(NEXT) | instid1(VALU_DEP_1)
	v_fma_f64 v[32:33], -v[24:25], v[24:25], v[14:15]
	v_fmac_f64_e32 v[24:25], v[32:33], v[20:21]
	s_delay_alu instid0(VALU_DEP_1) | instskip(SKIP_1) | instid1(VALU_DEP_2)
	v_dual_cndmask_b32 v15, v25, v15 :: v_dual_cndmask_b32 v14, v24, v14
	v_cmp_o_f64_e32 vcc_lo, v[8:9], v[8:9]
	v_ldexp_f64 v[14:15], v[14:15], v1
	s_delay_alu instid0(VALU_DEP_1) | instskip(NEXT) | instid1(VALU_DEP_2)
	v_cndmask_b32_e32 v1, 0, v14, vcc_lo
	v_cndmask_b32_e32 v14, 0x7ff80000, v15, vcc_lo
	s_delay_alu instid0(VALU_DEP_2) | instskip(NEXT) | instid1(VALU_DEP_2)
	v_cndmask_b32_e64 v20, v1, 0, s27
	v_cndmask_b32_e64 v21, v14, 0x7ff00000, s27
                                        ; implicit-def: $vgpr14_vgpr15
	s_and_saveexec_b32 s27, s3
	s_delay_alu instid0(SALU_CYCLE_1)
	s_xor_b32 s3, exec_lo, s27
	s_cbranch_execnz .LBB227_122
; %bb.70:                               ;   in Loop: Header=BB227_6 Depth=1
	s_and_not1_saveexec_b32 s3, s3
	s_cbranch_execnz .LBB227_123
.LBB227_71:                             ;   in Loop: Header=BB227_6 Depth=1
	s_or_b32 exec_lo, exec_lo, s3
	s_and_saveexec_b32 s3, s2
	s_delay_alu instid0(SALU_CYCLE_1)
	s_xor_b32 s2, exec_lo, s3
	s_cbranch_execnz .LBB227_124
.LBB227_72:                             ;   in Loop: Header=BB227_6 Depth=1
	s_and_not1_saveexec_b32 s2, s2
	s_cbranch_execz .LBB227_74
.LBB227_73:                             ;   in Loop: Header=BB227_6 Depth=1
	s_delay_alu instid0(VALU_DEP_2) | instskip(NEXT) | instid1(VALU_DEP_2)
	v_add_f64_e32 v[14:15], v[14:15], v[14:15]
	v_add_f64_e32 v[8:9], v[8:9], v[8:9]
.LBB227_74:                             ;   in Loop: Header=BB227_6 Depth=1
	s_or_b32 exec_lo, exec_lo, s2
.LBB227_75:                             ;   in Loop: Header=BB227_6 Depth=1
	s_and_not1_saveexec_b32 s2, s25
	s_cbranch_execz .LBB227_81
; %bb.76:                               ;   in Loop: Header=BB227_6 Depth=1
	s_delay_alu instid0(VALU_DEP_1) | instskip(SKIP_1) | instid1(VALU_DEP_1)
	v_add_f64_e64 v[20:21], v[8:9], -v[8:9]
	s_mov_b32 s3, exec_lo
	v_and_b32_e32 v15, 0x7fffffff, v21
	s_delay_alu instid0(VALU_DEP_2)
	v_mov_b32_e32 v14, v20
	v_cmpx_lt_i64_e32 -1, v[6:7]
	s_xor_b32 s3, exec_lo, s3
; %bb.77:                               ;   in Loop: Header=BB227_6 Depth=1
	v_bfi_b32 v21, 0x7fffffff, v21, v9
	v_mov_b64_e32 v[14:15], v[6:7]
	s_delay_alu instid0(VALU_DEP_2)
	v_mov_b64_e32 v[8:9], v[20:21]
; %bb.78:                               ;   in Loop: Header=BB227_6 Depth=1
	s_and_not1_saveexec_b32 s3, s3
; %bb.79:                               ;   in Loop: Header=BB227_6 Depth=1
	s_delay_alu instid0(VALU_DEP_1) | instskip(NEXT) | instid1(VALU_DEP_1)
	v_bfi_b32 v7, 0x7fffffff, v7, v9
	v_mov_b64_e32 v[8:9], v[6:7]
; %bb.80:                               ;   in Loop: Header=BB227_6 Depth=1
	s_or_b32 exec_lo, exec_lo, s3
.LBB227_81:                             ;   in Loop: Header=BB227_6 Depth=1
	s_delay_alu instid0(SALU_CYCLE_1)
	s_or_b32 exec_lo, exec_lo, s2
.LBB227_82:                             ;   in Loop: Header=BB227_6 Depth=1
	s_and_not1_saveexec_b32 s2, s24
	s_cbranch_execz .LBB227_84
; %bb.83:                               ;   in Loop: Header=BB227_6 Depth=1
	s_delay_alu instid0(VALU_DEP_1) | instskip(NEXT) | instid1(VALU_DEP_1)
	v_add_f64_e64 v[8:9], v[8:9], -v[8:9]
	v_div_scale_f64 v[14:15], vcc_lo, v[8:9], v[8:9], v[8:9]
	s_delay_alu instid0(VALU_DEP_1) | instskip(SKIP_1) | instid1(TRANS32_DEP_1)
	v_rcp_f64_e32 v[20:21], v[14:15]
	v_nop
	v_fma_f64 v[24:25], -v[14:15], v[20:21], 1.0
	s_delay_alu instid0(VALU_DEP_1) | instskip(NEXT) | instid1(VALU_DEP_1)
	v_fmac_f64_e32 v[20:21], v[20:21], v[24:25]
	v_fma_f64 v[24:25], -v[14:15], v[20:21], 1.0
	s_delay_alu instid0(VALU_DEP_1) | instskip(NEXT) | instid1(VALU_DEP_1)
	v_fmac_f64_e32 v[20:21], v[20:21], v[24:25]
	v_mul_f64_e32 v[24:25], v[14:15], v[20:21]
	s_delay_alu instid0(VALU_DEP_1) | instskip(NEXT) | instid1(VALU_DEP_1)
	v_fma_f64 v[14:15], -v[14:15], v[24:25], v[14:15]
	v_div_fmas_f64 v[14:15], v[14:15], v[20:21], v[24:25]
	s_delay_alu instid0(VALU_DEP_1)
	v_div_fixup_f64 v[8:9], v[14:15], v[8:9], v[8:9]
	v_mov_b64_e32 v[14:15], v[6:7]
.LBB227_84:                             ;   in Loop: Header=BB227_6 Depth=1
	s_or_b32 exec_lo, exec_lo, s2
.LBB227_85:                             ;   in Loop: Header=BB227_6 Depth=1
	s_delay_alu instid0(SALU_CYCLE_1)
	s_or_b32 exec_lo, exec_lo, s23
.LBB227_86:                             ;   in Loop: Header=BB227_6 Depth=1
	s_delay_alu instid0(SALU_CYCLE_1) | instskip(SKIP_3) | instid1(SALU_CYCLE_1)
	s_or_b32 exec_lo, exec_lo, s22
	v_cmp_neq_f64_e32 vcc_lo, 0, v[2:3]
	v_cmp_neq_f64_e64 s2, 0, v[4:5]
	s_or_b32 s2, vcc_lo, s2
	s_and_saveexec_b32 s22, s2
	s_cbranch_execz .LBB227_5
; %bb.87:                               ;   in Loop: Header=BB227_6 Depth=1
	v_mov_b64_e32 v[10:11], 0x7ff0000000000000
	s_mov_b32 s23, exec_lo
	v_cmpx_neq_f64_e64 0x7ff00000, |v[4:5]|
	s_cbranch_execz .LBB227_4
; %bb.88:                               ;   in Loop: Header=BB227_6 Depth=1
                                        ; implicit-def: $vgpr10_vgpr11
	s_mov_b32 s2, exec_lo
	v_cmpx_o_f64_e32 v[2:3], v[2:3]
	s_xor_b32 s24, exec_lo, s2
	s_cbranch_execz .LBB227_109
; %bb.89:                               ;   in Loop: Header=BB227_6 Depth=1
                                        ; implicit-def: $vgpr10_vgpr11
	s_mov_b32 s3, exec_lo
	v_cmpx_neq_f64_e64 0x7ff00000, |v[2:3]|
	s_xor_b32 s25, exec_lo, s3
	s_cbranch_execz .LBB227_102
; %bb.90:                               ;   in Loop: Header=BB227_6 Depth=1
	v_max_num_f64_e64 v[6:7], |v[4:5]|, |v[4:5]|
	v_max_num_f64_e64 v[10:11], |v[2:3]|, |v[2:3]|
                                        ; implicit-def: $sgpr26
	s_delay_alu instid0(VALU_DEP_1) | instskip(NEXT) | instid1(VALU_DEP_1)
	v_max_num_f64_e32 v[6:7], v[10:11], v[6:7]
	v_cmp_nle_f64_e64 s2, s[12:13], v[6:7]
	s_and_saveexec_b32 s3, s2
	s_delay_alu instid0(SALU_CYCLE_1)
	s_xor_b32 s3, exec_lo, s3
	s_cbranch_execz .LBB227_94
; %bb.91:                               ;   in Loop: Header=BB227_6 Depth=1
	v_cmp_ge_f64_e64 s26, 0x200000, |v[2:3]|
	v_cmp_ge_f64_e64 s27, 0x200000, |v[4:5]|
	s_and_b32 s28, s26, s27
	s_mov_b32 s26, 0
	s_and_saveexec_b32 s27, s28
	s_cbranch_execz .LBB227_93
; %bb.92:                               ;   in Loop: Header=BB227_6 Depth=1
	v_mul_f64_e32 v[2:3], 4.0, v[2:3]
	v_mul_f64_e32 v[4:5], 4.0, v[4:5]
	s_mov_b32 s26, exec_lo
.LBB227_93:                             ;   in Loop: Header=BB227_6 Depth=1
	s_or_b32 exec_lo, exec_lo, s27
.LBB227_94:                             ;   in Loop: Header=BB227_6 Depth=1
	s_and_not1_saveexec_b32 s3, s3
	s_cbranch_execz .LBB227_96
; %bb.95:                               ;   in Loop: Header=BB227_6 Depth=1
	s_delay_alu instid0(VALU_DEP_2) | instskip(NEXT) | instid1(VALU_DEP_2)
	v_ldexp_f64 v[2:3], v[2:3], -2
	v_ldexp_f64 v[4:5], v[4:5], -2
	s_and_not1_b32 s26, s26, exec_lo
.LBB227_96:                             ;   in Loop: Header=BB227_6 Depth=1
	s_or_b32 exec_lo, exec_lo, s3
	s_delay_alu instid0(VALU_DEP_1) | instskip(NEXT) | instid1(VALU_DEP_3)
	v_max_num_f64_e64 v[6:7], |v[4:5]|, |v[4:5]|
	v_max_num_f64_e64 v[10:11], |v[2:3]|, |v[2:3]|
	v_cmp_class_f64_e64 s27, v[2:3], 0x204
	v_cmp_class_f64_e64 s28, v[4:5], 0x204
	v_cmp_le_f64_e64 s3, 0, v[2:3]
	s_delay_alu instid0(VALU_DEP_4) | instskip(SKIP_1) | instid1(VALU_DEP_1)
	v_max_num_f64_e32 v[6:7], v[10:11], v[6:7]
	s_or_b32 s27, s28, s27
	v_frexp_exp_i32_f64_e32 v1, v[6:7]
	s_delay_alu instid0(VALU_DEP_1) | instskip(NEXT) | instid1(VALU_DEP_1)
	v_sub_nc_u32_e32 v10, 0, v1
	v_ldexp_f64 v[6:7], |v[4:5]|, v10
	v_ldexp_f64 v[10:11], |v[2:3]|, v10
	s_delay_alu instid0(VALU_DEP_2) | instskip(NEXT) | instid1(VALU_DEP_1)
	v_mul_f64_e32 v[6:7], v[6:7], v[6:7]
	v_fmac_f64_e32 v[6:7], v[10:11], v[10:11]
	s_delay_alu instid0(VALU_DEP_1) | instskip(SKIP_1) | instid1(TRANS32_DEP_1)
	v_rsq_f64_e32 v[10:11], v[6:7]
	v_cmp_eq_f64_e32 vcc_lo, 0, v[6:7]
	v_mul_f64_e32 v[20:21], v[6:7], v[10:11]
	v_mul_f64_e32 v[10:11], 0.5, v[10:11]
	s_delay_alu instid0(VALU_DEP_1) | instskip(NEXT) | instid1(VALU_DEP_1)
	v_fma_f64 v[24:25], -v[10:11], v[20:21], 0.5
	v_fmac_f64_e32 v[20:21], v[20:21], v[24:25]
	v_fmac_f64_e32 v[10:11], v[10:11], v[24:25]
	s_delay_alu instid0(VALU_DEP_2) | instskip(NEXT) | instid1(VALU_DEP_1)
	v_fma_f64 v[24:25], -v[20:21], v[20:21], v[6:7]
	v_fmac_f64_e32 v[20:21], v[24:25], v[10:11]
                                        ; implicit-def: $vgpr10_vgpr11
	s_delay_alu instid0(VALU_DEP_1) | instskip(SKIP_1) | instid1(VALU_DEP_2)
	v_dual_cndmask_b32 v7, v21, v7 :: v_dual_cndmask_b32 v6, v20, v6
	v_cmp_o_f64_e32 vcc_lo, v[4:5], v[4:5]
	v_ldexp_f64 v[6:7], v[6:7], v1
	s_delay_alu instid0(VALU_DEP_1) | instskip(NEXT) | instid1(VALU_DEP_2)
	v_cndmask_b32_e32 v1, 0, v6, vcc_lo
	v_cndmask_b32_e32 v6, 0x7ff80000, v7, vcc_lo
	s_delay_alu instid0(VALU_DEP_1) | instskip(NEXT) | instid1(VALU_DEP_3)
	v_cndmask_b32_e64 v7, v6, 0x7ff00000, s27
	v_cndmask_b32_e64 v6, v1, 0, s27
	s_and_saveexec_b32 s27, s3
	s_delay_alu instid0(SALU_CYCLE_1)
	s_xor_b32 s3, exec_lo, s27
	s_cbranch_execnz .LBB227_127
; %bb.97:                               ;   in Loop: Header=BB227_6 Depth=1
	s_and_not1_saveexec_b32 s3, s3
	s_cbranch_execnz .LBB227_128
.LBB227_98:                             ;   in Loop: Header=BB227_6 Depth=1
	s_or_b32 exec_lo, exec_lo, s3
	s_and_saveexec_b32 s3, s2
	s_delay_alu instid0(SALU_CYCLE_1)
	s_xor_b32 s2, exec_lo, s3
	s_cbranch_execnz .LBB227_129
.LBB227_99:                             ;   in Loop: Header=BB227_6 Depth=1
	s_and_not1_saveexec_b32 s2, s2
	s_cbranch_execz .LBB227_101
.LBB227_100:                            ;   in Loop: Header=BB227_6 Depth=1
	s_delay_alu instid0(VALU_DEP_2) | instskip(NEXT) | instid1(VALU_DEP_2)
	v_add_f64_e32 v[10:11], v[10:11], v[10:11]
	v_add_f64_e32 v[4:5], v[4:5], v[4:5]
.LBB227_101:                            ;   in Loop: Header=BB227_6 Depth=1
	s_or_b32 exec_lo, exec_lo, s2
.LBB227_102:                            ;   in Loop: Header=BB227_6 Depth=1
	s_and_not1_saveexec_b32 s2, s25
	s_cbranch_execz .LBB227_108
; %bb.103:                              ;   in Loop: Header=BB227_6 Depth=1
	s_delay_alu instid0(VALU_DEP_1) | instskip(SKIP_1) | instid1(VALU_DEP_1)
	v_add_f64_e64 v[6:7], v[4:5], -v[4:5]
	s_mov_b32 s3, exec_lo
	v_and_b32_e32 v11, 0x7fffffff, v7
	s_delay_alu instid0(VALU_DEP_2)
	v_mov_b32_e32 v10, v6
	v_cmpx_lt_i64_e32 -1, v[2:3]
	s_xor_b32 s3, exec_lo, s3
; %bb.104:                              ;   in Loop: Header=BB227_6 Depth=1
	v_bfi_b32 v7, 0x7fffffff, v7, v5
	v_mov_b64_e32 v[10:11], v[2:3]
	s_delay_alu instid0(VALU_DEP_2)
	v_mov_b64_e32 v[4:5], v[6:7]
; %bb.105:                              ;   in Loop: Header=BB227_6 Depth=1
	s_and_not1_saveexec_b32 s3, s3
; %bb.106:                              ;   in Loop: Header=BB227_6 Depth=1
	s_delay_alu instid0(VALU_DEP_1) | instskip(NEXT) | instid1(VALU_DEP_1)
	v_bfi_b32 v3, 0x7fffffff, v3, v5
	v_mov_b64_e32 v[4:5], v[2:3]
; %bb.107:                              ;   in Loop: Header=BB227_6 Depth=1
	s_or_b32 exec_lo, exec_lo, s3
.LBB227_108:                            ;   in Loop: Header=BB227_6 Depth=1
	s_delay_alu instid0(SALU_CYCLE_1)
	s_or_b32 exec_lo, exec_lo, s2
.LBB227_109:                            ;   in Loop: Header=BB227_6 Depth=1
	s_and_not1_saveexec_b32 s2, s24
	s_cbranch_execz .LBB227_3
; %bb.110:                              ;   in Loop: Header=BB227_6 Depth=1
	s_delay_alu instid0(VALU_DEP_1) | instskip(NEXT) | instid1(VALU_DEP_1)
	v_add_f64_e64 v[4:5], v[4:5], -v[4:5]
	v_div_scale_f64 v[6:7], vcc_lo, v[4:5], v[4:5], v[4:5]
	s_delay_alu instid0(VALU_DEP_1) | instskip(SKIP_1) | instid1(TRANS32_DEP_1)
	v_rcp_f64_e32 v[10:11], v[6:7]
	v_nop
	v_fma_f64 v[20:21], -v[6:7], v[10:11], 1.0
	s_delay_alu instid0(VALU_DEP_1) | instskip(NEXT) | instid1(VALU_DEP_1)
	v_fmac_f64_e32 v[10:11], v[10:11], v[20:21]
	v_fma_f64 v[20:21], -v[6:7], v[10:11], 1.0
	s_delay_alu instid0(VALU_DEP_1) | instskip(NEXT) | instid1(VALU_DEP_1)
	v_fmac_f64_e32 v[10:11], v[10:11], v[20:21]
	v_mul_f64_e32 v[20:21], v[6:7], v[10:11]
	s_delay_alu instid0(VALU_DEP_1) | instskip(NEXT) | instid1(VALU_DEP_1)
	v_fma_f64 v[6:7], -v[6:7], v[20:21], v[6:7]
	v_div_fmas_f64 v[6:7], v[6:7], v[10:11], v[20:21]
	v_mov_b64_e32 v[10:11], v[2:3]
	s_delay_alu instid0(VALU_DEP_2)
	v_div_fixup_f64 v[4:5], v[6:7], v[4:5], v[4:5]
	s_branch .LBB227_3
.LBB227_111:                            ;   in Loop: Header=BB227_6 Depth=1
	s_or_b32 exec_lo, exec_lo, s2
	s_and_not1_saveexec_b32 s2, s24
	s_cbranch_execnz .LBB227_29
	s_branch .LBB227_30
.LBB227_112:                            ;   in Loop: Header=BB227_6 Depth=1
	s_delay_alu instid0(VALU_DEP_1) | instskip(NEXT) | instid1(VALU_DEP_1)
	v_add_f64_e32 v[14:15], v[14:15], v[20:21]
	v_mul_f64_e32 v[14:15], 0.5, v[14:15]
	s_delay_alu instid0(VALU_DEP_1) | instskip(SKIP_1) | instid1(VALU_DEP_1)
	v_cmp_gt_f64_e32 vcc_lo, 0x10000000, v[14:15]
	v_cndmask_b32_e64 v1, 0, 0x100, vcc_lo
	v_ldexp_f64 v[14:15], v[14:15], v1
	v_cndmask_b32_e64 v1, 0, 0xffffff80, vcc_lo
	s_delay_alu instid0(VALU_DEP_2) | instskip(SKIP_1) | instid1(TRANS32_DEP_1)
	v_rsq_f64_e32 v[20:21], v[14:15]
	v_cmp_class_f64_e64 vcc_lo, v[14:15], 0x260
	v_mul_f64_e32 v[22:23], v[14:15], v[20:21]
	v_mul_f64_e32 v[20:21], 0.5, v[20:21]
	s_delay_alu instid0(VALU_DEP_1) | instskip(NEXT) | instid1(VALU_DEP_1)
	v_fma_f64 v[24:25], -v[20:21], v[22:23], 0.5
	v_fmac_f64_e32 v[22:23], v[22:23], v[24:25]
	v_fmac_f64_e32 v[20:21], v[20:21], v[24:25]
	s_delay_alu instid0(VALU_DEP_2) | instskip(NEXT) | instid1(VALU_DEP_1)
	v_fma_f64 v[24:25], -v[22:23], v[22:23], v[14:15]
	v_fmac_f64_e32 v[22:23], v[24:25], v[20:21]
	s_delay_alu instid0(VALU_DEP_1) | instskip(NEXT) | instid1(VALU_DEP_1)
	v_fma_f64 v[24:25], -v[22:23], v[22:23], v[14:15]
	v_fmac_f64_e32 v[22:23], v[24:25], v[20:21]
	s_delay_alu instid0(VALU_DEP_1) | instskip(NEXT) | instid1(VALU_DEP_1)
	v_ldexp_f64 v[20:21], v[22:23], v1
	v_dual_cndmask_b32 v23, v21, v15 :: v_dual_cndmask_b32 v22, v20, v14
	s_delay_alu instid0(VALU_DEP_1) | instskip(NEXT) | instid1(VALU_DEP_1)
	v_add_f64_e32 v[14:15], v[22:23], v[22:23]
	v_div_scale_f64 v[20:21], null, v[14:15], v[14:15], v[16:17]
	s_delay_alu instid0(VALU_DEP_1) | instskip(SKIP_1) | instid1(TRANS32_DEP_1)
	v_rcp_f64_e32 v[24:25], v[20:21]
	v_nop
	v_fma_f64 v[32:33], -v[20:21], v[24:25], 1.0
	s_delay_alu instid0(VALU_DEP_1) | instskip(NEXT) | instid1(VALU_DEP_1)
	v_fmac_f64_e32 v[24:25], v[24:25], v[32:33]
	v_fma_f64 v[32:33], -v[20:21], v[24:25], 1.0
	s_delay_alu instid0(VALU_DEP_1) | instskip(SKIP_1) | instid1(VALU_DEP_1)
	v_fmac_f64_e32 v[24:25], v[24:25], v[32:33]
	v_div_scale_f64 v[32:33], vcc_lo, v[16:17], v[14:15], v[16:17]
	v_mul_f64_e32 v[34:35], v[32:33], v[24:25]
	s_delay_alu instid0(VALU_DEP_1) | instskip(NEXT) | instid1(VALU_DEP_1)
	v_fma_f64 v[20:21], -v[20:21], v[34:35], v[32:33]
	v_div_fmas_f64 v[20:21], v[20:21], v[24:25], v[34:35]
	s_delay_alu instid0(VALU_DEP_1)
	v_div_fixup_f64 v[16:17], v[20:21], v[14:15], v[16:17]
                                        ; implicit-def: $vgpr20_vgpr21
	s_and_not1_saveexec_b32 s3, s3
	s_cbranch_execz .LBB227_18
.LBB227_113:                            ;   in Loop: Header=BB227_6 Depth=1
	v_add_f64_e64 v[14:15], v[20:21], -v[14:15]
	s_delay_alu instid0(VALU_DEP_1) | instskip(NEXT) | instid1(VALU_DEP_1)
	v_mul_f64_e32 v[14:15], 0.5, v[14:15]
	v_cmp_gt_f64_e32 vcc_lo, 0x10000000, v[14:15]
	v_cndmask_b32_e64 v1, 0, 0x100, vcc_lo
	s_delay_alu instid0(VALU_DEP_1) | instskip(SKIP_1) | instid1(VALU_DEP_2)
	v_ldexp_f64 v[14:15], v[14:15], v1
	v_cndmask_b32_e64 v1, 0, 0xffffff80, vcc_lo
	v_rsq_f64_e32 v[20:21], v[14:15]
	v_cmp_class_f64_e64 vcc_lo, v[14:15], 0x260
	s_delay_alu instid0(TRANS32_DEP_1) | instskip(SKIP_1) | instid1(VALU_DEP_1)
	v_mul_f64_e32 v[22:23], v[14:15], v[20:21]
	v_mul_f64_e32 v[20:21], 0.5, v[20:21]
	v_fma_f64 v[24:25], -v[20:21], v[22:23], 0.5
	s_delay_alu instid0(VALU_DEP_1) | instskip(SKIP_1) | instid1(VALU_DEP_2)
	v_fmac_f64_e32 v[22:23], v[22:23], v[24:25]
	v_fmac_f64_e32 v[20:21], v[20:21], v[24:25]
	v_fma_f64 v[24:25], -v[22:23], v[22:23], v[14:15]
	s_delay_alu instid0(VALU_DEP_1) | instskip(NEXT) | instid1(VALU_DEP_1)
	v_fmac_f64_e32 v[22:23], v[24:25], v[20:21]
	v_fma_f64 v[24:25], -v[22:23], v[22:23], v[14:15]
	s_delay_alu instid0(VALU_DEP_1) | instskip(NEXT) | instid1(VALU_DEP_1)
	v_fmac_f64_e32 v[22:23], v[24:25], v[20:21]
	v_ldexp_f64 v[20:21], v[22:23], v1
	v_and_b32_e32 v23, 0x7fffffff, v17
	s_delay_alu instid0(VALU_DEP_2) | instskip(NEXT) | instid1(VALU_DEP_3)
	v_dual_mov_b32 v22, v16 :: v_dual_cndmask_b32 v15, v21, v15
	v_cndmask_b32_e32 v14, v20, v14, vcc_lo
	s_delay_alu instid0(VALU_DEP_1) | instskip(SKIP_1) | instid1(VALU_DEP_2)
	v_add_f64_e32 v[20:21], v[14:15], v[14:15]
	v_bfi_b32 v15, 0x7fffffff, v15, v17
	v_div_scale_f64 v[24:25], null, v[20:21], v[20:21], v[22:23]
	v_div_scale_f64 v[22:23], vcc_lo, v[22:23], v[20:21], v[22:23]
	s_delay_alu instid0(VALU_DEP_2) | instskip(SKIP_1) | instid1(TRANS32_DEP_1)
	v_rcp_f64_e32 v[32:33], v[24:25]
	v_nop
	v_fma_f64 v[34:35], -v[24:25], v[32:33], 1.0
	s_delay_alu instid0(VALU_DEP_1) | instskip(NEXT) | instid1(VALU_DEP_1)
	v_fmac_f64_e32 v[32:33], v[32:33], v[34:35]
	v_fma_f64 v[34:35], -v[24:25], v[32:33], 1.0
	s_delay_alu instid0(VALU_DEP_1) | instskip(NEXT) | instid1(VALU_DEP_1)
	v_fmac_f64_e32 v[32:33], v[32:33], v[34:35]
	v_mul_f64_e32 v[34:35], v[22:23], v[32:33]
	s_delay_alu instid0(VALU_DEP_1) | instskip(NEXT) | instid1(VALU_DEP_1)
	v_fma_f64 v[22:23], -v[24:25], v[34:35], v[22:23]
	v_div_fmas_f64 v[22:23], v[22:23], v[32:33], v[34:35]
	s_delay_alu instid0(VALU_DEP_1) | instskip(SKIP_3) | instid1(SALU_CYCLE_1)
	v_div_fixup_f64 v[22:23], v[22:23], v[20:21], |v[16:17]|
	v_mov_b64_e32 v[16:17], v[14:15]
	s_or_b32 exec_lo, exec_lo, s3
	s_and_saveexec_b32 s3, s2
	s_xor_b32 s2, exec_lo, s3
	s_cbranch_execz .LBB227_19
.LBB227_114:                            ;   in Loop: Header=BB227_6 Depth=1
	s_and_saveexec_b32 s3, s26
	s_cbranch_execz .LBB227_116
; %bb.115:                              ;   in Loop: Header=BB227_6 Depth=1
	s_delay_alu instid0(VALU_DEP_2) | instskip(NEXT) | instid1(VALU_DEP_2)
	v_mul_f64_e32 v[22:23], 0.5, v[22:23]
	v_mul_f64_e32 v[16:17], 0.5, v[16:17]
.LBB227_116:                            ;   in Loop: Header=BB227_6 Depth=1
	s_or_b32 exec_lo, exec_lo, s3
	s_and_not1_saveexec_b32 s2, s2
	s_cbranch_execnz .LBB227_20
	s_branch .LBB227_21
.LBB227_117:                            ;   in Loop: Header=BB227_6 Depth=1
	s_delay_alu instid0(VALU_DEP_1) | instskip(NEXT) | instid1(VALU_DEP_1)
	v_add_f64_e32 v[10:11], v[10:11], v[14:15]
	v_mul_f64_e32 v[10:11], 0.5, v[10:11]
	s_delay_alu instid0(VALU_DEP_1) | instskip(SKIP_1) | instid1(VALU_DEP_1)
	v_cmp_gt_f64_e32 vcc_lo, 0x10000000, v[10:11]
	v_cndmask_b32_e64 v1, 0, 0x100, vcc_lo
	v_ldexp_f64 v[10:11], v[10:11], v1
	v_cndmask_b32_e64 v1, 0, 0xffffff80, vcc_lo
	s_delay_alu instid0(VALU_DEP_2) | instskip(SKIP_1) | instid1(TRANS32_DEP_1)
	v_rsq_f64_e32 v[14:15], v[10:11]
	v_cmp_class_f64_e64 vcc_lo, v[10:11], 0x260
	v_mul_f64_e32 v[18:19], v[10:11], v[14:15]
	v_mul_f64_e32 v[14:15], 0.5, v[14:15]
	s_delay_alu instid0(VALU_DEP_1) | instskip(NEXT) | instid1(VALU_DEP_1)
	v_fma_f64 v[20:21], -v[14:15], v[18:19], 0.5
	v_fmac_f64_e32 v[18:19], v[18:19], v[20:21]
	v_fmac_f64_e32 v[14:15], v[14:15], v[20:21]
	s_delay_alu instid0(VALU_DEP_2) | instskip(NEXT) | instid1(VALU_DEP_1)
	v_fma_f64 v[20:21], -v[18:19], v[18:19], v[10:11]
	v_fmac_f64_e32 v[18:19], v[20:21], v[14:15]
	s_delay_alu instid0(VALU_DEP_1) | instskip(NEXT) | instid1(VALU_DEP_1)
	v_fma_f64 v[20:21], -v[18:19], v[18:19], v[10:11]
	v_fmac_f64_e32 v[18:19], v[20:21], v[14:15]
	s_delay_alu instid0(VALU_DEP_1) | instskip(NEXT) | instid1(VALU_DEP_1)
	v_ldexp_f64 v[14:15], v[18:19], v1
	v_dual_cndmask_b32 v19, v15, v11 :: v_dual_cndmask_b32 v18, v14, v10
	s_delay_alu instid0(VALU_DEP_1) | instskip(NEXT) | instid1(VALU_DEP_1)
	v_add_f64_e32 v[10:11], v[18:19], v[18:19]
	v_div_scale_f64 v[14:15], null, v[10:11], v[10:11], v[12:13]
	s_delay_alu instid0(VALU_DEP_1) | instskip(SKIP_1) | instid1(TRANS32_DEP_1)
	v_rcp_f64_e32 v[20:21], v[14:15]
	v_nop
	v_fma_f64 v[24:25], -v[14:15], v[20:21], 1.0
	s_delay_alu instid0(VALU_DEP_1) | instskip(NEXT) | instid1(VALU_DEP_1)
	v_fmac_f64_e32 v[20:21], v[20:21], v[24:25]
	v_fma_f64 v[24:25], -v[14:15], v[20:21], 1.0
	s_delay_alu instid0(VALU_DEP_1) | instskip(SKIP_1) | instid1(VALU_DEP_1)
	v_fmac_f64_e32 v[20:21], v[20:21], v[24:25]
	v_div_scale_f64 v[24:25], vcc_lo, v[12:13], v[10:11], v[12:13]
	v_mul_f64_e32 v[32:33], v[24:25], v[20:21]
	s_delay_alu instid0(VALU_DEP_1) | instskip(NEXT) | instid1(VALU_DEP_1)
	v_fma_f64 v[14:15], -v[14:15], v[32:33], v[24:25]
	v_div_fmas_f64 v[14:15], v[14:15], v[20:21], v[32:33]
	s_delay_alu instid0(VALU_DEP_1)
	v_div_fixup_f64 v[12:13], v[14:15], v[10:11], v[12:13]
                                        ; implicit-def: $vgpr14_vgpr15
	s_and_not1_saveexec_b32 s3, s3
	s_cbranch_execz .LBB227_44
.LBB227_118:                            ;   in Loop: Header=BB227_6 Depth=1
	v_add_f64_e64 v[10:11], v[14:15], -v[10:11]
	s_delay_alu instid0(VALU_DEP_1) | instskip(NEXT) | instid1(VALU_DEP_1)
	v_mul_f64_e32 v[10:11], 0.5, v[10:11]
	v_cmp_gt_f64_e32 vcc_lo, 0x10000000, v[10:11]
	v_cndmask_b32_e64 v1, 0, 0x100, vcc_lo
	s_delay_alu instid0(VALU_DEP_1) | instskip(SKIP_1) | instid1(VALU_DEP_2)
	v_ldexp_f64 v[10:11], v[10:11], v1
	v_cndmask_b32_e64 v1, 0, 0xffffff80, vcc_lo
	v_rsq_f64_e32 v[14:15], v[10:11]
	v_cmp_class_f64_e64 vcc_lo, v[10:11], 0x260
	s_delay_alu instid0(TRANS32_DEP_1) | instskip(SKIP_1) | instid1(VALU_DEP_1)
	v_mul_f64_e32 v[18:19], v[10:11], v[14:15]
	v_mul_f64_e32 v[14:15], 0.5, v[14:15]
	v_fma_f64 v[20:21], -v[14:15], v[18:19], 0.5
	s_delay_alu instid0(VALU_DEP_1) | instskip(SKIP_1) | instid1(VALU_DEP_2)
	v_fmac_f64_e32 v[18:19], v[18:19], v[20:21]
	v_fmac_f64_e32 v[14:15], v[14:15], v[20:21]
	v_fma_f64 v[20:21], -v[18:19], v[18:19], v[10:11]
	s_delay_alu instid0(VALU_DEP_1) | instskip(NEXT) | instid1(VALU_DEP_1)
	v_fmac_f64_e32 v[18:19], v[20:21], v[14:15]
	v_fma_f64 v[20:21], -v[18:19], v[18:19], v[10:11]
	s_delay_alu instid0(VALU_DEP_1) | instskip(NEXT) | instid1(VALU_DEP_1)
	v_fmac_f64_e32 v[18:19], v[20:21], v[14:15]
	v_ldexp_f64 v[14:15], v[18:19], v1
	v_and_b32_e32 v19, 0x7fffffff, v13
	s_delay_alu instid0(VALU_DEP_2) | instskip(NEXT) | instid1(VALU_DEP_3)
	v_dual_mov_b32 v18, v12 :: v_dual_cndmask_b32 v11, v15, v11
	v_cndmask_b32_e32 v10, v14, v10, vcc_lo
	s_delay_alu instid0(VALU_DEP_1) | instskip(SKIP_1) | instid1(VALU_DEP_2)
	v_add_f64_e32 v[14:15], v[10:11], v[10:11]
	v_bfi_b32 v11, 0x7fffffff, v11, v13
	v_div_scale_f64 v[20:21], null, v[14:15], v[14:15], v[18:19]
	v_div_scale_f64 v[18:19], vcc_lo, v[18:19], v[14:15], v[18:19]
	s_delay_alu instid0(VALU_DEP_2) | instskip(SKIP_1) | instid1(TRANS32_DEP_1)
	v_rcp_f64_e32 v[24:25], v[20:21]
	v_nop
	v_fma_f64 v[32:33], -v[20:21], v[24:25], 1.0
	s_delay_alu instid0(VALU_DEP_1) | instskip(NEXT) | instid1(VALU_DEP_1)
	v_fmac_f64_e32 v[24:25], v[24:25], v[32:33]
	v_fma_f64 v[32:33], -v[20:21], v[24:25], 1.0
	s_delay_alu instid0(VALU_DEP_1) | instskip(NEXT) | instid1(VALU_DEP_1)
	v_fmac_f64_e32 v[24:25], v[24:25], v[32:33]
	v_mul_f64_e32 v[32:33], v[18:19], v[24:25]
	s_delay_alu instid0(VALU_DEP_1) | instskip(NEXT) | instid1(VALU_DEP_1)
	v_fma_f64 v[18:19], -v[20:21], v[32:33], v[18:19]
	v_div_fmas_f64 v[18:19], v[18:19], v[24:25], v[32:33]
	s_delay_alu instid0(VALU_DEP_1) | instskip(SKIP_3) | instid1(SALU_CYCLE_1)
	v_div_fixup_f64 v[18:19], v[18:19], v[14:15], |v[12:13]|
	v_mov_b64_e32 v[12:13], v[10:11]
	s_or_b32 exec_lo, exec_lo, s3
	s_and_saveexec_b32 s3, s2
	s_xor_b32 s2, exec_lo, s3
	s_cbranch_execz .LBB227_45
.LBB227_119:                            ;   in Loop: Header=BB227_6 Depth=1
	s_and_saveexec_b32 s3, s26
	s_cbranch_execz .LBB227_121
; %bb.120:                              ;   in Loop: Header=BB227_6 Depth=1
	s_delay_alu instid0(VALU_DEP_2) | instskip(NEXT) | instid1(VALU_DEP_2)
	v_mul_f64_e32 v[18:19], 0.5, v[18:19]
	v_mul_f64_e32 v[12:13], 0.5, v[12:13]
.LBB227_121:                            ;   in Loop: Header=BB227_6 Depth=1
	s_or_b32 exec_lo, exec_lo, s3
	s_and_not1_saveexec_b32 s2, s2
	s_cbranch_execnz .LBB227_46
	s_branch .LBB227_47
.LBB227_122:                            ;   in Loop: Header=BB227_6 Depth=1
	s_delay_alu instid0(VALU_DEP_1) | instskip(NEXT) | instid1(VALU_DEP_1)
	v_add_f64_e32 v[6:7], v[6:7], v[20:21]
	v_mul_f64_e32 v[6:7], 0.5, v[6:7]
	s_delay_alu instid0(VALU_DEP_1) | instskip(SKIP_1) | instid1(VALU_DEP_1)
	v_cmp_gt_f64_e32 vcc_lo, 0x10000000, v[6:7]
	v_cndmask_b32_e64 v1, 0, 0x100, vcc_lo
	v_ldexp_f64 v[6:7], v[6:7], v1
	v_cndmask_b32_e64 v1, 0, 0xffffff80, vcc_lo
	s_delay_alu instid0(VALU_DEP_2) | instskip(SKIP_1) | instid1(TRANS32_DEP_1)
	v_rsq_f64_e32 v[14:15], v[6:7]
	v_cmp_class_f64_e64 vcc_lo, v[6:7], 0x260
	v_mul_f64_e32 v[20:21], v[6:7], v[14:15]
	v_mul_f64_e32 v[14:15], 0.5, v[14:15]
	s_delay_alu instid0(VALU_DEP_1) | instskip(NEXT) | instid1(VALU_DEP_1)
	v_fma_f64 v[24:25], -v[14:15], v[20:21], 0.5
	v_fmac_f64_e32 v[20:21], v[20:21], v[24:25]
	v_fmac_f64_e32 v[14:15], v[14:15], v[24:25]
	s_delay_alu instid0(VALU_DEP_2) | instskip(NEXT) | instid1(VALU_DEP_1)
	v_fma_f64 v[24:25], -v[20:21], v[20:21], v[6:7]
	v_fmac_f64_e32 v[20:21], v[24:25], v[14:15]
	s_delay_alu instid0(VALU_DEP_1) | instskip(NEXT) | instid1(VALU_DEP_1)
	v_fma_f64 v[24:25], -v[20:21], v[20:21], v[6:7]
	v_fmac_f64_e32 v[20:21], v[24:25], v[14:15]
	s_delay_alu instid0(VALU_DEP_1) | instskip(NEXT) | instid1(VALU_DEP_1)
	v_ldexp_f64 v[14:15], v[20:21], v1
	v_dual_cndmask_b32 v15, v15, v7 :: v_dual_cndmask_b32 v14, v14, v6
	s_delay_alu instid0(VALU_DEP_1) | instskip(NEXT) | instid1(VALU_DEP_1)
	v_add_f64_e32 v[6:7], v[14:15], v[14:15]
	v_div_scale_f64 v[20:21], null, v[6:7], v[6:7], v[8:9]
	s_delay_alu instid0(VALU_DEP_1) | instskip(SKIP_1) | instid1(TRANS32_DEP_1)
	v_rcp_f64_e32 v[24:25], v[20:21]
	v_nop
	v_fma_f64 v[32:33], -v[20:21], v[24:25], 1.0
	s_delay_alu instid0(VALU_DEP_1) | instskip(NEXT) | instid1(VALU_DEP_1)
	v_fmac_f64_e32 v[24:25], v[24:25], v[32:33]
	v_fma_f64 v[32:33], -v[20:21], v[24:25], 1.0
	s_delay_alu instid0(VALU_DEP_1) | instskip(SKIP_1) | instid1(VALU_DEP_1)
	v_fmac_f64_e32 v[24:25], v[24:25], v[32:33]
	v_div_scale_f64 v[32:33], vcc_lo, v[8:9], v[6:7], v[8:9]
	v_mul_f64_e32 v[34:35], v[32:33], v[24:25]
	s_delay_alu instid0(VALU_DEP_1) | instskip(NEXT) | instid1(VALU_DEP_1)
	v_fma_f64 v[20:21], -v[20:21], v[34:35], v[32:33]
	v_div_fmas_f64 v[20:21], v[20:21], v[24:25], v[34:35]
	s_delay_alu instid0(VALU_DEP_1)
	v_div_fixup_f64 v[8:9], v[20:21], v[6:7], v[8:9]
                                        ; implicit-def: $vgpr20_vgpr21
	s_and_not1_saveexec_b32 s3, s3
	s_cbranch_execz .LBB227_71
.LBB227_123:                            ;   in Loop: Header=BB227_6 Depth=1
	v_add_f64_e64 v[6:7], v[20:21], -v[6:7]
	s_delay_alu instid0(VALU_DEP_1) | instskip(NEXT) | instid1(VALU_DEP_1)
	v_mul_f64_e32 v[6:7], 0.5, v[6:7]
	v_cmp_gt_f64_e32 vcc_lo, 0x10000000, v[6:7]
	v_cndmask_b32_e64 v1, 0, 0x100, vcc_lo
	s_delay_alu instid0(VALU_DEP_1) | instskip(SKIP_1) | instid1(VALU_DEP_2)
	v_ldexp_f64 v[6:7], v[6:7], v1
	v_cndmask_b32_e64 v1, 0, 0xffffff80, vcc_lo
	v_rsq_f64_e32 v[14:15], v[6:7]
	v_cmp_class_f64_e64 vcc_lo, v[6:7], 0x260
	s_delay_alu instid0(TRANS32_DEP_1) | instskip(SKIP_1) | instid1(VALU_DEP_1)
	v_mul_f64_e32 v[20:21], v[6:7], v[14:15]
	v_mul_f64_e32 v[14:15], 0.5, v[14:15]
	v_fma_f64 v[24:25], -v[14:15], v[20:21], 0.5
	s_delay_alu instid0(VALU_DEP_1) | instskip(SKIP_1) | instid1(VALU_DEP_2)
	v_fmac_f64_e32 v[20:21], v[20:21], v[24:25]
	v_fmac_f64_e32 v[14:15], v[14:15], v[24:25]
	v_fma_f64 v[24:25], -v[20:21], v[20:21], v[6:7]
	s_delay_alu instid0(VALU_DEP_1) | instskip(NEXT) | instid1(VALU_DEP_1)
	v_fmac_f64_e32 v[20:21], v[24:25], v[14:15]
	v_fma_f64 v[24:25], -v[20:21], v[20:21], v[6:7]
	s_delay_alu instid0(VALU_DEP_1) | instskip(NEXT) | instid1(VALU_DEP_1)
	v_fmac_f64_e32 v[20:21], v[24:25], v[14:15]
	v_ldexp_f64 v[14:15], v[20:21], v1
	v_and_b32_e32 v21, 0x7fffffff, v9
	s_delay_alu instid0(VALU_DEP_2) | instskip(NEXT) | instid1(VALU_DEP_3)
	v_dual_mov_b32 v20, v8 :: v_dual_cndmask_b32 v7, v15, v7
	v_cndmask_b32_e32 v6, v14, v6, vcc_lo
	s_delay_alu instid0(VALU_DEP_1) | instskip(SKIP_1) | instid1(VALU_DEP_2)
	v_add_f64_e32 v[14:15], v[6:7], v[6:7]
	v_bfi_b32 v7, 0x7fffffff, v7, v9
	v_div_scale_f64 v[24:25], null, v[14:15], v[14:15], v[20:21]
	v_div_scale_f64 v[20:21], vcc_lo, v[20:21], v[14:15], v[20:21]
	s_delay_alu instid0(VALU_DEP_2) | instskip(SKIP_1) | instid1(TRANS32_DEP_1)
	v_rcp_f64_e32 v[32:33], v[24:25]
	v_nop
	v_fma_f64 v[34:35], -v[24:25], v[32:33], 1.0
	s_delay_alu instid0(VALU_DEP_1) | instskip(NEXT) | instid1(VALU_DEP_1)
	v_fmac_f64_e32 v[32:33], v[32:33], v[34:35]
	v_fma_f64 v[34:35], -v[24:25], v[32:33], 1.0
	s_delay_alu instid0(VALU_DEP_1) | instskip(NEXT) | instid1(VALU_DEP_1)
	v_fmac_f64_e32 v[32:33], v[32:33], v[34:35]
	v_mul_f64_e32 v[34:35], v[20:21], v[32:33]
	s_delay_alu instid0(VALU_DEP_1) | instskip(NEXT) | instid1(VALU_DEP_1)
	v_fma_f64 v[20:21], -v[24:25], v[34:35], v[20:21]
	v_div_fmas_f64 v[20:21], v[20:21], v[32:33], v[34:35]
	s_delay_alu instid0(VALU_DEP_1) | instskip(SKIP_3) | instid1(SALU_CYCLE_1)
	v_div_fixup_f64 v[14:15], v[20:21], v[14:15], |v[8:9]|
	v_mov_b64_e32 v[8:9], v[6:7]
	s_or_b32 exec_lo, exec_lo, s3
	s_and_saveexec_b32 s3, s2
	s_xor_b32 s2, exec_lo, s3
	s_cbranch_execz .LBB227_72
.LBB227_124:                            ;   in Loop: Header=BB227_6 Depth=1
	s_and_saveexec_b32 s3, s26
	s_cbranch_execz .LBB227_126
; %bb.125:                              ;   in Loop: Header=BB227_6 Depth=1
	s_delay_alu instid0(VALU_DEP_2) | instskip(NEXT) | instid1(VALU_DEP_2)
	v_mul_f64_e32 v[14:15], 0.5, v[14:15]
	v_mul_f64_e32 v[8:9], 0.5, v[8:9]
.LBB227_126:                            ;   in Loop: Header=BB227_6 Depth=1
	s_or_b32 exec_lo, exec_lo, s3
	s_and_not1_saveexec_b32 s2, s2
	s_cbranch_execnz .LBB227_73
	s_branch .LBB227_74
.LBB227_127:                            ;   in Loop: Header=BB227_6 Depth=1
	s_delay_alu instid0(VALU_DEP_1) | instskip(NEXT) | instid1(VALU_DEP_1)
	v_add_f64_e32 v[2:3], v[2:3], v[6:7]
	v_mul_f64_e32 v[2:3], 0.5, v[2:3]
	s_delay_alu instid0(VALU_DEP_1) | instskip(SKIP_1) | instid1(VALU_DEP_1)
	v_cmp_gt_f64_e32 vcc_lo, 0x10000000, v[2:3]
	v_cndmask_b32_e64 v1, 0, 0x100, vcc_lo
	v_ldexp_f64 v[2:3], v[2:3], v1
	v_cndmask_b32_e64 v1, 0, 0xffffff80, vcc_lo
	s_delay_alu instid0(VALU_DEP_2) | instskip(SKIP_1) | instid1(TRANS32_DEP_1)
	v_rsq_f64_e32 v[6:7], v[2:3]
	v_cmp_class_f64_e64 vcc_lo, v[2:3], 0x260
	v_mul_f64_e32 v[10:11], v[2:3], v[6:7]
	v_mul_f64_e32 v[6:7], 0.5, v[6:7]
	s_delay_alu instid0(VALU_DEP_1) | instskip(NEXT) | instid1(VALU_DEP_1)
	v_fma_f64 v[20:21], -v[6:7], v[10:11], 0.5
	v_fmac_f64_e32 v[10:11], v[10:11], v[20:21]
	v_fmac_f64_e32 v[6:7], v[6:7], v[20:21]
	s_delay_alu instid0(VALU_DEP_2) | instskip(NEXT) | instid1(VALU_DEP_1)
	v_fma_f64 v[20:21], -v[10:11], v[10:11], v[2:3]
	v_fmac_f64_e32 v[10:11], v[20:21], v[6:7]
	s_delay_alu instid0(VALU_DEP_1) | instskip(NEXT) | instid1(VALU_DEP_1)
	v_fma_f64 v[20:21], -v[10:11], v[10:11], v[2:3]
	v_fmac_f64_e32 v[10:11], v[20:21], v[6:7]
	s_delay_alu instid0(VALU_DEP_1) | instskip(NEXT) | instid1(VALU_DEP_1)
	v_ldexp_f64 v[6:7], v[10:11], v1
	v_dual_cndmask_b32 v11, v7, v3 :: v_dual_cndmask_b32 v10, v6, v2
	s_delay_alu instid0(VALU_DEP_1) | instskip(NEXT) | instid1(VALU_DEP_1)
	v_add_f64_e32 v[2:3], v[10:11], v[10:11]
	v_div_scale_f64 v[6:7], null, v[2:3], v[2:3], v[4:5]
	s_delay_alu instid0(VALU_DEP_1) | instskip(SKIP_1) | instid1(TRANS32_DEP_1)
	v_rcp_f64_e32 v[20:21], v[6:7]
	v_nop
	v_fma_f64 v[24:25], -v[6:7], v[20:21], 1.0
	s_delay_alu instid0(VALU_DEP_1) | instskip(NEXT) | instid1(VALU_DEP_1)
	v_fmac_f64_e32 v[20:21], v[20:21], v[24:25]
	v_fma_f64 v[24:25], -v[6:7], v[20:21], 1.0
	s_delay_alu instid0(VALU_DEP_1) | instskip(SKIP_1) | instid1(VALU_DEP_1)
	v_fmac_f64_e32 v[20:21], v[20:21], v[24:25]
	v_div_scale_f64 v[24:25], vcc_lo, v[4:5], v[2:3], v[4:5]
	v_mul_f64_e32 v[32:33], v[24:25], v[20:21]
	s_delay_alu instid0(VALU_DEP_1) | instskip(NEXT) | instid1(VALU_DEP_1)
	v_fma_f64 v[6:7], -v[6:7], v[32:33], v[24:25]
	v_div_fmas_f64 v[6:7], v[6:7], v[20:21], v[32:33]
	s_delay_alu instid0(VALU_DEP_1)
	v_div_fixup_f64 v[4:5], v[6:7], v[2:3], v[4:5]
                                        ; implicit-def: $vgpr6_vgpr7
	s_and_not1_saveexec_b32 s3, s3
	s_cbranch_execz .LBB227_98
.LBB227_128:                            ;   in Loop: Header=BB227_6 Depth=1
	v_add_f64_e64 v[2:3], v[6:7], -v[2:3]
	s_delay_alu instid0(VALU_DEP_1) | instskip(NEXT) | instid1(VALU_DEP_1)
	v_mul_f64_e32 v[2:3], 0.5, v[2:3]
	v_cmp_gt_f64_e32 vcc_lo, 0x10000000, v[2:3]
	v_cndmask_b32_e64 v1, 0, 0x100, vcc_lo
	s_delay_alu instid0(VALU_DEP_1) | instskip(SKIP_1) | instid1(VALU_DEP_2)
	v_ldexp_f64 v[2:3], v[2:3], v1
	v_cndmask_b32_e64 v1, 0, 0xffffff80, vcc_lo
	v_rsq_f64_e32 v[6:7], v[2:3]
	v_cmp_class_f64_e64 vcc_lo, v[2:3], 0x260
	s_delay_alu instid0(TRANS32_DEP_1) | instskip(SKIP_1) | instid1(VALU_DEP_1)
	v_mul_f64_e32 v[10:11], v[2:3], v[6:7]
	v_mul_f64_e32 v[6:7], 0.5, v[6:7]
	v_fma_f64 v[20:21], -v[6:7], v[10:11], 0.5
	s_delay_alu instid0(VALU_DEP_1) | instskip(SKIP_1) | instid1(VALU_DEP_2)
	v_fmac_f64_e32 v[10:11], v[10:11], v[20:21]
	v_fmac_f64_e32 v[6:7], v[6:7], v[20:21]
	v_fma_f64 v[20:21], -v[10:11], v[10:11], v[2:3]
	s_delay_alu instid0(VALU_DEP_1) | instskip(NEXT) | instid1(VALU_DEP_1)
	v_fmac_f64_e32 v[10:11], v[20:21], v[6:7]
	v_fma_f64 v[20:21], -v[10:11], v[10:11], v[2:3]
	s_delay_alu instid0(VALU_DEP_1) | instskip(NEXT) | instid1(VALU_DEP_1)
	v_fmac_f64_e32 v[10:11], v[20:21], v[6:7]
	v_ldexp_f64 v[6:7], v[10:11], v1
	v_and_b32_e32 v11, 0x7fffffff, v5
	s_delay_alu instid0(VALU_DEP_2) | instskip(NEXT) | instid1(VALU_DEP_3)
	v_dual_mov_b32 v10, v4 :: v_dual_cndmask_b32 v3, v7, v3
	v_cndmask_b32_e32 v2, v6, v2, vcc_lo
	s_delay_alu instid0(VALU_DEP_1) | instskip(SKIP_1) | instid1(VALU_DEP_2)
	v_add_f64_e32 v[6:7], v[2:3], v[2:3]
	v_bfi_b32 v3, 0x7fffffff, v3, v5
	v_div_scale_f64 v[20:21], null, v[6:7], v[6:7], v[10:11]
	v_div_scale_f64 v[10:11], vcc_lo, v[10:11], v[6:7], v[10:11]
	s_delay_alu instid0(VALU_DEP_2) | instskip(SKIP_1) | instid1(TRANS32_DEP_1)
	v_rcp_f64_e32 v[24:25], v[20:21]
	v_nop
	v_fma_f64 v[32:33], -v[20:21], v[24:25], 1.0
	s_delay_alu instid0(VALU_DEP_1) | instskip(NEXT) | instid1(VALU_DEP_1)
	v_fmac_f64_e32 v[24:25], v[24:25], v[32:33]
	v_fma_f64 v[32:33], -v[20:21], v[24:25], 1.0
	s_delay_alu instid0(VALU_DEP_1) | instskip(NEXT) | instid1(VALU_DEP_1)
	v_fmac_f64_e32 v[24:25], v[24:25], v[32:33]
	v_mul_f64_e32 v[32:33], v[10:11], v[24:25]
	s_delay_alu instid0(VALU_DEP_1) | instskip(NEXT) | instid1(VALU_DEP_1)
	v_fma_f64 v[10:11], -v[20:21], v[32:33], v[10:11]
	v_div_fmas_f64 v[10:11], v[10:11], v[24:25], v[32:33]
	s_delay_alu instid0(VALU_DEP_1) | instskip(SKIP_3) | instid1(SALU_CYCLE_1)
	v_div_fixup_f64 v[10:11], v[10:11], v[6:7], |v[4:5]|
	v_mov_b64_e32 v[4:5], v[2:3]
	s_or_b32 exec_lo, exec_lo, s3
	s_and_saveexec_b32 s3, s2
	s_xor_b32 s2, exec_lo, s3
	s_cbranch_execz .LBB227_99
.LBB227_129:                            ;   in Loop: Header=BB227_6 Depth=1
	s_and_saveexec_b32 s3, s26
	s_cbranch_execz .LBB227_131
; %bb.130:                              ;   in Loop: Header=BB227_6 Depth=1
	s_delay_alu instid0(VALU_DEP_2) | instskip(NEXT) | instid1(VALU_DEP_2)
	v_mul_f64_e32 v[10:11], 0.5, v[10:11]
	v_mul_f64_e32 v[4:5], 0.5, v[4:5]
.LBB227_131:                            ;   in Loop: Header=BB227_6 Depth=1
	s_or_b32 exec_lo, exec_lo, s3
	s_and_not1_saveexec_b32 s2, s2
	s_cbranch_execnz .LBB227_100
	s_branch .LBB227_101
.LBB227_132:
	s_or_b32 exec_lo, exec_lo, s20
	s_mov_b32 s2, 0
.LBB227_133:
	s_delay_alu instid0(SALU_CYCLE_1)
	s_and_not1_b32 vcc_lo, exec_lo, s2
	s_cbranch_vccnz .LBB227_281
; %bb.134:
	v_cmp_lt_i64_e64 s2, s[4:5], 1
	s_and_b32 vcc_lo, exec_lo, s2
	s_cbranch_vccnz .LBB227_281
; %bb.135:
	v_min_i64 v[24:25], 0x10000, s[4:5]
	v_min_u64 v[26:27], 0x10000, s[4:5]
	s_load_b32 s0, s[0:1], 0xc5c
	v_mov_b32_e32 v1, 0
	s_mov_b32 s11, 0
	s_mov_b64 s[14:15], 0x7fda827999fcef32
	s_mov_b32 s13, s11
	s_mov_b32 s17, s11
	;; [unrolled: 1-line block ×3, first 2 shown]
	s_mov_b64 s[20:21], 0
	s_wait_kmcnt 0x0
	s_and_b32 s10, s0, 0xffff
	s_delay_alu instid0(SALU_CYCLE_1)
	s_lshl_b32 s12, s10, 1
	s_mul_i32 s16, s10, 3
	s_lshl_b32 s18, s10, 2
	s_branch .LBB227_137
.LBB227_136:                            ;   in Loop: Header=BB227_137 Depth=1
	s_wait_xcnt 0x0
	s_or_b32 exec_lo, exec_lo, s0
	s_add_nc_u64 s[20:21], s[20:21], s[18:19]
	s_delay_alu instid0(SALU_CYCLE_1)
	v_cmp_ge_i64_e32 vcc_lo, s[20:21], v[24:25]
	s_cbranch_vccnz .LBB227_281
.LBB227_137:                            ; =>This Inner Loop Header: Depth=1
	v_add_nc_u64_e32 v[22:23], s[20:21], v[0:1]
	v_mov_b64_e32 v[4:5], 0
	v_mov_b64_e32 v[8:9], 0
	;; [unrolled: 1-line block ×3, first 2 shown]
	s_delay_alu instid0(VALU_DEP_4)
	v_cmp_lt_u64_e64 s0, v[22:23], v[26:27]
	s_and_saveexec_b32 s1, s0
	s_cbranch_execz .LBB227_139
; %bb.138:                              ;   in Loop: Header=BB227_137 Depth=1
	v_lshl_add_u64 v[2:3], v[22:23], 4, s[6:7]
	global_load_b128 v[6:9], v[2:3], off
.LBB227_139:                            ;   in Loop: Header=BB227_137 Depth=1
	s_wait_xcnt 0x0
	s_or_b32 exec_lo, exec_lo, s1
	v_add_nc_u64_e32 v[28:29], s[10:11], v[22:23]
	v_mov_b64_e32 v[2:3], 0
	s_delay_alu instid0(VALU_DEP_2)
	v_cmp_lt_u64_e64 s1, v[28:29], v[26:27]
	s_and_saveexec_b32 s2, s1
	s_cbranch_execz .LBB227_141
; %bb.140:                              ;   in Loop: Header=BB227_137 Depth=1
	v_lshl_add_u64 v[2:3], v[28:29], 4, s[6:7]
	global_load_b128 v[2:5], v[2:3], off
.LBB227_141:                            ;   in Loop: Header=BB227_137 Depth=1
	s_wait_xcnt 0x0
	s_or_b32 exec_lo, exec_lo, s2
	v_add_nc_u64_e32 v[30:31], s[12:13], v[22:23]
	v_mov_b64_e32 v[12:13], 0
	v_mov_b64_e32 v[16:17], 0
	;; [unrolled: 1-line block ×3, first 2 shown]
	s_delay_alu instid0(VALU_DEP_4)
	v_cmp_lt_u64_e64 s2, v[30:31], v[26:27]
	s_and_saveexec_b32 s3, s2
	s_cbranch_execz .LBB227_143
; %bb.142:                              ;   in Loop: Header=BB227_137 Depth=1
	v_lshl_add_u64 v[10:11], v[30:31], 4, s[6:7]
	global_load_b128 v[14:17], v[10:11], off
.LBB227_143:                            ;   in Loop: Header=BB227_137 Depth=1
	s_wait_xcnt 0x0
	s_or_b32 exec_lo, exec_lo, s3
	v_add_nc_u64_e32 v[32:33], s[16:17], v[22:23]
	v_mov_b64_e32 v[10:11], 0
	s_delay_alu instid0(VALU_DEP_2)
	v_cmp_lt_u64_e64 s3, v[32:33], v[26:27]
	s_and_saveexec_b32 s4, s3
	s_cbranch_execz .LBB227_145
; %bb.144:                              ;   in Loop: Header=BB227_137 Depth=1
	v_lshl_add_u64 v[10:11], v[32:33], 4, s[6:7]
	global_load_b128 v[10:13], v[10:11], off
.LBB227_145:                            ;   in Loop: Header=BB227_137 Depth=1
	s_wait_xcnt 0x0
	s_or_b32 exec_lo, exec_lo, s4
	s_wait_loadcnt 0x0
	v_cmp_neq_f64_e32 vcc_lo, 0, v[6:7]
	v_cmp_neq_f64_e64 s4, 0, v[8:9]
	v_mov_b64_e32 v[18:19], 0
	v_mov_b64_e32 v[20:21], 0
	s_or_b32 s4, vcc_lo, s4
	s_delay_alu instid0(SALU_CYCLE_1)
	s_and_saveexec_b32 s22, s4
	s_cbranch_execz .LBB227_171
; %bb.146:                              ;   in Loop: Header=BB227_137 Depth=1
	v_mov_b64_e32 v[20:21], 0x7ff0000000000000
	s_mov_b32 s23, exec_lo
	v_cmpx_neq_f64_e64 0x7ff00000, |v[8:9]|
	s_cbranch_execz .LBB227_170
; %bb.147:                              ;   in Loop: Header=BB227_137 Depth=1
                                        ; implicit-def: $vgpr20_vgpr21
	s_mov_b32 s4, exec_lo
	v_cmpx_o_f64_e32 v[6:7], v[6:7]
	s_xor_b32 s24, exec_lo, s4
	s_cbranch_execz .LBB227_167
; %bb.148:                              ;   in Loop: Header=BB227_137 Depth=1
                                        ; implicit-def: $vgpr20_vgpr21
	s_mov_b32 s5, exec_lo
	v_cmpx_neq_f64_e64 0x7ff00000, |v[6:7]|
	s_xor_b32 s25, exec_lo, s5
	s_cbranch_execz .LBB227_161
; %bb.149:                              ;   in Loop: Header=BB227_137 Depth=1
	v_max_num_f64_e64 v[20:21], |v[6:7]|, |v[6:7]|
	v_max_num_f64_e64 v[34:35], |v[8:9]|, |v[8:9]|
                                        ; implicit-def: $sgpr26
	s_delay_alu instid0(VALU_DEP_1) | instskip(NEXT) | instid1(VALU_DEP_1)
	v_max_num_f64_e32 v[20:21], v[34:35], v[20:21]
	v_cmp_nle_f64_e64 s4, s[14:15], v[20:21]
	s_and_saveexec_b32 s5, s4
	s_delay_alu instid0(SALU_CYCLE_1)
	s_xor_b32 s5, exec_lo, s5
	s_cbranch_execz .LBB227_153
; %bb.150:                              ;   in Loop: Header=BB227_137 Depth=1
	v_cmp_ge_f64_e64 s26, 0x200000, |v[6:7]|
	v_cmp_ge_f64_e64 s27, 0x200000, |v[8:9]|
	s_and_b32 s28, s27, s26
	s_mov_b32 s26, 0
	s_and_saveexec_b32 s27, s28
	s_cbranch_execz .LBB227_152
; %bb.151:                              ;   in Loop: Header=BB227_137 Depth=1
	v_mul_f64_e32 v[6:7], 4.0, v[6:7]
	v_mul_f64_e32 v[8:9], 4.0, v[8:9]
	s_mov_b32 s26, exec_lo
.LBB227_152:                            ;   in Loop: Header=BB227_137 Depth=1
	s_or_b32 exec_lo, exec_lo, s27
.LBB227_153:                            ;   in Loop: Header=BB227_137 Depth=1
	s_and_not1_saveexec_b32 s5, s5
	s_cbranch_execz .LBB227_155
; %bb.154:                              ;   in Loop: Header=BB227_137 Depth=1
	s_delay_alu instid0(VALU_DEP_2) | instskip(NEXT) | instid1(VALU_DEP_2)
	v_ldexp_f64 v[6:7], v[6:7], -2
	v_ldexp_f64 v[8:9], v[8:9], -2
	s_and_not1_b32 s26, s26, exec_lo
.LBB227_155:                            ;   in Loop: Header=BB227_137 Depth=1
	s_or_b32 exec_lo, exec_lo, s5
	s_delay_alu instid0(VALU_DEP_1) | instskip(NEXT) | instid1(VALU_DEP_3)
	v_max_num_f64_e64 v[20:21], |v[8:9]|, |v[8:9]|
	v_max_num_f64_e64 v[34:35], |v[6:7]|, |v[6:7]|
	v_cmp_class_f64_e64 s27, v[6:7], 0x204
	v_cmp_class_f64_e64 s28, v[8:9], 0x204
	v_cmp_le_f64_e64 s5, 0, v[6:7]
	s_delay_alu instid0(VALU_DEP_4) | instskip(SKIP_1) | instid1(VALU_DEP_1)
	v_max_num_f64_e32 v[20:21], v[34:35], v[20:21]
	s_or_b32 s27, s28, s27
	v_frexp_exp_i32_f64_e32 v40, v[20:21]
	s_delay_alu instid0(VALU_DEP_1) | instskip(NEXT) | instid1(VALU_DEP_1)
	v_sub_nc_u32_e32 v34, 0, v40
	v_ldexp_f64 v[20:21], |v[8:9]|, v34
	v_ldexp_f64 v[34:35], |v[6:7]|, v34
	s_delay_alu instid0(VALU_DEP_2) | instskip(NEXT) | instid1(VALU_DEP_1)
	v_mul_f64_e32 v[20:21], v[20:21], v[20:21]
	v_fmac_f64_e32 v[20:21], v[34:35], v[34:35]
	s_delay_alu instid0(VALU_DEP_1) | instskip(SKIP_1) | instid1(TRANS32_DEP_1)
	v_rsq_f64_e32 v[34:35], v[20:21]
	v_cmp_eq_f64_e32 vcc_lo, 0, v[20:21]
	v_mul_f64_e32 v[36:37], v[20:21], v[34:35]
	v_mul_f64_e32 v[34:35], 0.5, v[34:35]
	s_delay_alu instid0(VALU_DEP_1) | instskip(NEXT) | instid1(VALU_DEP_1)
	v_fma_f64 v[38:39], -v[34:35], v[36:37], 0.5
	v_fmac_f64_e32 v[36:37], v[36:37], v[38:39]
	v_fmac_f64_e32 v[34:35], v[34:35], v[38:39]
	s_delay_alu instid0(VALU_DEP_2) | instskip(NEXT) | instid1(VALU_DEP_1)
	v_fma_f64 v[38:39], -v[36:37], v[36:37], v[20:21]
	v_fmac_f64_e32 v[36:37], v[38:39], v[34:35]
	s_delay_alu instid0(VALU_DEP_1) | instskip(SKIP_1) | instid1(VALU_DEP_2)
	v_dual_cndmask_b32 v21, v37, v21 :: v_dual_cndmask_b32 v20, v36, v20
	v_cmp_o_f64_e32 vcc_lo, v[8:9], v[8:9]
	v_ldexp_f64 v[20:21], v[20:21], v40
	s_delay_alu instid0(VALU_DEP_1) | instskip(NEXT) | instid1(VALU_DEP_2)
	v_cndmask_b32_e32 v20, 0, v20, vcc_lo
	v_cndmask_b32_e32 v21, 0x7ff80000, v21, vcc_lo
	s_delay_alu instid0(VALU_DEP_2) | instskip(NEXT) | instid1(VALU_DEP_2)
	v_cndmask_b32_e64 v34, v20, 0, s27
	v_cndmask_b32_e64 v35, v21, 0x7ff00000, s27
                                        ; implicit-def: $vgpr20_vgpr21
	s_and_saveexec_b32 s27, s5
	s_delay_alu instid0(SALU_CYCLE_1)
	s_xor_b32 s5, exec_lo, s27
	s_cbranch_execnz .LBB227_261
; %bb.156:                              ;   in Loop: Header=BB227_137 Depth=1
	s_and_not1_saveexec_b32 s5, s5
	s_cbranch_execnz .LBB227_262
.LBB227_157:                            ;   in Loop: Header=BB227_137 Depth=1
	s_or_b32 exec_lo, exec_lo, s5
	s_and_saveexec_b32 s5, s4
	s_delay_alu instid0(SALU_CYCLE_1)
	s_xor_b32 s4, exec_lo, s5
	s_cbranch_execnz .LBB227_263
.LBB227_158:                            ;   in Loop: Header=BB227_137 Depth=1
	s_and_not1_saveexec_b32 s4, s4
	s_cbranch_execz .LBB227_160
.LBB227_159:                            ;   in Loop: Header=BB227_137 Depth=1
	s_delay_alu instid0(VALU_DEP_2) | instskip(NEXT) | instid1(VALU_DEP_2)
	v_add_f64_e32 v[20:21], v[20:21], v[20:21]
	v_add_f64_e32 v[8:9], v[8:9], v[8:9]
.LBB227_160:                            ;   in Loop: Header=BB227_137 Depth=1
	s_or_b32 exec_lo, exec_lo, s4
.LBB227_161:                            ;   in Loop: Header=BB227_137 Depth=1
	s_and_not1_saveexec_b32 s4, s25
	s_cbranch_execz .LBB227_260
; %bb.162:                              ;   in Loop: Header=BB227_137 Depth=1
	s_delay_alu instid0(VALU_DEP_1) | instskip(SKIP_1) | instid1(VALU_DEP_1)
	v_add_f64_e64 v[34:35], v[8:9], -v[8:9]
	s_mov_b32 s5, exec_lo
	v_and_b32_e32 v21, 0x7fffffff, v35
	s_delay_alu instid0(VALU_DEP_2)
	v_mov_b32_e32 v20, v34
	v_cmpx_lt_i64_e32 -1, v[6:7]
	s_xor_b32 s5, exec_lo, s5
; %bb.163:                              ;   in Loop: Header=BB227_137 Depth=1
	v_bfi_b32 v35, 0x7fffffff, v35, v9
	v_mov_b64_e32 v[20:21], v[6:7]
	s_delay_alu instid0(VALU_DEP_2)
	v_mov_b64_e32 v[8:9], v[34:35]
; %bb.164:                              ;   in Loop: Header=BB227_137 Depth=1
	s_and_not1_saveexec_b32 s5, s5
; %bb.165:                              ;   in Loop: Header=BB227_137 Depth=1
	s_delay_alu instid0(VALU_DEP_1) | instskip(NEXT) | instid1(VALU_DEP_1)
	v_bfi_b32 v7, 0x7fffffff, v7, v9
	v_mov_b64_e32 v[8:9], v[6:7]
; %bb.166:                              ;   in Loop: Header=BB227_137 Depth=1
	s_or_b32 exec_lo, exec_lo, s5
	s_delay_alu instid0(SALU_CYCLE_1)
	s_or_b32 exec_lo, exec_lo, s4
.LBB227_167:                            ;   in Loop: Header=BB227_137 Depth=1
	s_and_not1_saveexec_b32 s4, s24
	s_cbranch_execz .LBB227_169
.LBB227_168:                            ;   in Loop: Header=BB227_137 Depth=1
	s_delay_alu instid0(VALU_DEP_1) | instskip(NEXT) | instid1(VALU_DEP_1)
	v_add_f64_e64 v[8:9], v[8:9], -v[8:9]
	v_div_scale_f64 v[20:21], vcc_lo, v[8:9], v[8:9], v[8:9]
	s_delay_alu instid0(VALU_DEP_1) | instskip(SKIP_1) | instid1(TRANS32_DEP_1)
	v_rcp_f64_e32 v[34:35], v[20:21]
	v_nop
	v_fma_f64 v[36:37], -v[20:21], v[34:35], 1.0
	s_delay_alu instid0(VALU_DEP_1) | instskip(NEXT) | instid1(VALU_DEP_1)
	v_fmac_f64_e32 v[34:35], v[34:35], v[36:37]
	v_fma_f64 v[36:37], -v[20:21], v[34:35], 1.0
	s_delay_alu instid0(VALU_DEP_1) | instskip(NEXT) | instid1(VALU_DEP_1)
	v_fmac_f64_e32 v[34:35], v[34:35], v[36:37]
	v_mul_f64_e32 v[36:37], v[20:21], v[34:35]
	s_delay_alu instid0(VALU_DEP_1) | instskip(NEXT) | instid1(VALU_DEP_1)
	v_fma_f64 v[20:21], -v[20:21], v[36:37], v[20:21]
	v_div_fmas_f64 v[20:21], v[20:21], v[34:35], v[36:37]
	s_delay_alu instid0(VALU_DEP_1)
	v_div_fixup_f64 v[8:9], v[20:21], v[8:9], v[8:9]
	v_mov_b64_e32 v[20:21], v[6:7]
.LBB227_169:                            ;   in Loop: Header=BB227_137 Depth=1
	s_or_b32 exec_lo, exec_lo, s4
.LBB227_170:                            ;   in Loop: Header=BB227_137 Depth=1
	s_delay_alu instid0(SALU_CYCLE_1)
	s_or_b32 exec_lo, exec_lo, s23
.LBB227_171:                            ;   in Loop: Header=BB227_137 Depth=1
	s_delay_alu instid0(SALU_CYCLE_1) | instskip(SKIP_3) | instid1(SALU_CYCLE_1)
	s_or_b32 exec_lo, exec_lo, s22
	v_cmp_neq_f64_e32 vcc_lo, 0, v[2:3]
	v_cmp_neq_f64_e64 s4, 0, v[4:5]
	s_or_b32 s4, vcc_lo, s4
	s_and_saveexec_b32 s22, s4
	s_cbranch_execz .LBB227_198
; %bb.172:                              ;   in Loop: Header=BB227_137 Depth=1
	v_mov_b64_e32 v[18:19], 0x7ff0000000000000
	s_mov_b32 s23, exec_lo
	v_cmpx_neq_f64_e64 0x7ff00000, |v[4:5]|
	s_cbranch_execz .LBB227_197
; %bb.173:                              ;   in Loop: Header=BB227_137 Depth=1
                                        ; implicit-def: $vgpr18_vgpr19
	s_mov_b32 s4, exec_lo
	v_cmpx_o_f64_e32 v[2:3], v[2:3]
	s_xor_b32 s24, exec_lo, s4
	s_cbranch_execz .LBB227_194
; %bb.174:                              ;   in Loop: Header=BB227_137 Depth=1
                                        ; implicit-def: $vgpr18_vgpr19
	s_mov_b32 s5, exec_lo
	v_cmpx_neq_f64_e64 0x7ff00000, |v[2:3]|
	s_xor_b32 s25, exec_lo, s5
	s_cbranch_execz .LBB227_187
; %bb.175:                              ;   in Loop: Header=BB227_137 Depth=1
	v_max_num_f64_e64 v[6:7], |v[2:3]|, |v[2:3]|
	v_max_num_f64_e64 v[18:19], |v[4:5]|, |v[4:5]|
                                        ; implicit-def: $sgpr26
	s_delay_alu instid0(VALU_DEP_1) | instskip(NEXT) | instid1(VALU_DEP_1)
	v_max_num_f64_e32 v[6:7], v[18:19], v[6:7]
	v_cmp_nle_f64_e64 s4, s[14:15], v[6:7]
	s_and_saveexec_b32 s5, s4
	s_delay_alu instid0(SALU_CYCLE_1)
	s_xor_b32 s5, exec_lo, s5
	s_cbranch_execz .LBB227_179
; %bb.176:                              ;   in Loop: Header=BB227_137 Depth=1
	v_cmp_ge_f64_e64 s26, 0x200000, |v[2:3]|
	v_cmp_ge_f64_e64 s27, 0x200000, |v[4:5]|
	s_and_b32 s28, s27, s26
	s_mov_b32 s26, 0
	s_and_saveexec_b32 s27, s28
	s_cbranch_execz .LBB227_178
; %bb.177:                              ;   in Loop: Header=BB227_137 Depth=1
	v_mul_f64_e32 v[2:3], 4.0, v[2:3]
	v_mul_f64_e32 v[4:5], 4.0, v[4:5]
	s_mov_b32 s26, exec_lo
.LBB227_178:                            ;   in Loop: Header=BB227_137 Depth=1
	s_or_b32 exec_lo, exec_lo, s27
.LBB227_179:                            ;   in Loop: Header=BB227_137 Depth=1
	s_and_not1_saveexec_b32 s5, s5
	s_cbranch_execz .LBB227_181
; %bb.180:                              ;   in Loop: Header=BB227_137 Depth=1
	s_delay_alu instid0(VALU_DEP_2) | instskip(NEXT) | instid1(VALU_DEP_2)
	v_ldexp_f64 v[2:3], v[2:3], -2
	v_ldexp_f64 v[4:5], v[4:5], -2
	s_and_not1_b32 s26, s26, exec_lo
.LBB227_181:                            ;   in Loop: Header=BB227_137 Depth=1
	s_or_b32 exec_lo, exec_lo, s5
	s_delay_alu instid0(VALU_DEP_1) | instskip(NEXT) | instid1(VALU_DEP_3)
	v_max_num_f64_e64 v[6:7], |v[4:5]|, |v[4:5]|
	v_max_num_f64_e64 v[18:19], |v[2:3]|, |v[2:3]|
	v_cmp_class_f64_e64 s27, v[2:3], 0x204
	v_cmp_class_f64_e64 s28, v[4:5], 0x204
	v_cmp_le_f64_e64 s5, 0, v[2:3]
	s_delay_alu instid0(VALU_DEP_4) | instskip(SKIP_1) | instid1(VALU_DEP_1)
	v_max_num_f64_e32 v[6:7], v[18:19], v[6:7]
	s_or_b32 s27, s28, s27
	v_frexp_exp_i32_f64_e32 v38, v[6:7]
	s_delay_alu instid0(VALU_DEP_1) | instskip(NEXT) | instid1(VALU_DEP_1)
	v_sub_nc_u32_e32 v18, 0, v38
	v_ldexp_f64 v[6:7], |v[4:5]|, v18
	v_ldexp_f64 v[18:19], |v[2:3]|, v18
	s_delay_alu instid0(VALU_DEP_2) | instskip(NEXT) | instid1(VALU_DEP_1)
	v_mul_f64_e32 v[6:7], v[6:7], v[6:7]
	v_fmac_f64_e32 v[6:7], v[18:19], v[18:19]
	s_delay_alu instid0(VALU_DEP_1) | instskip(SKIP_1) | instid1(TRANS32_DEP_1)
	v_rsq_f64_e32 v[18:19], v[6:7]
	v_cmp_eq_f64_e32 vcc_lo, 0, v[6:7]
	v_mul_f64_e32 v[34:35], v[6:7], v[18:19]
	v_mul_f64_e32 v[18:19], 0.5, v[18:19]
	s_delay_alu instid0(VALU_DEP_1) | instskip(NEXT) | instid1(VALU_DEP_1)
	v_fma_f64 v[36:37], -v[18:19], v[34:35], 0.5
	v_fmac_f64_e32 v[34:35], v[34:35], v[36:37]
	v_fmac_f64_e32 v[18:19], v[18:19], v[36:37]
	s_delay_alu instid0(VALU_DEP_2) | instskip(NEXT) | instid1(VALU_DEP_1)
	v_fma_f64 v[36:37], -v[34:35], v[34:35], v[6:7]
	v_fmac_f64_e32 v[34:35], v[36:37], v[18:19]
                                        ; implicit-def: $vgpr18_vgpr19
	s_delay_alu instid0(VALU_DEP_1) | instskip(SKIP_1) | instid1(VALU_DEP_2)
	v_dual_cndmask_b32 v7, v35, v7 :: v_dual_cndmask_b32 v6, v34, v6
	v_cmp_o_f64_e32 vcc_lo, v[4:5], v[4:5]
	v_ldexp_f64 v[6:7], v[6:7], v38
	s_delay_alu instid0(VALU_DEP_1) | instskip(NEXT) | instid1(VALU_DEP_2)
	v_cndmask_b32_e32 v6, 0, v6, vcc_lo
	v_cndmask_b32_e32 v7, 0x7ff80000, v7, vcc_lo
	s_delay_alu instid0(VALU_DEP_2) | instskip(NEXT) | instid1(VALU_DEP_2)
	v_cndmask_b32_e64 v6, v6, 0, s27
	v_cndmask_b32_e64 v7, v7, 0x7ff00000, s27
	s_and_saveexec_b32 s27, s5
	s_delay_alu instid0(SALU_CYCLE_1)
	s_xor_b32 s5, exec_lo, s27
	s_cbranch_execnz .LBB227_266
; %bb.182:                              ;   in Loop: Header=BB227_137 Depth=1
	s_and_not1_saveexec_b32 s5, s5
	s_cbranch_execnz .LBB227_267
.LBB227_183:                            ;   in Loop: Header=BB227_137 Depth=1
	s_or_b32 exec_lo, exec_lo, s5
	s_and_saveexec_b32 s5, s4
	s_delay_alu instid0(SALU_CYCLE_1)
	s_xor_b32 s4, exec_lo, s5
	s_cbranch_execnz .LBB227_268
.LBB227_184:                            ;   in Loop: Header=BB227_137 Depth=1
	s_and_not1_saveexec_b32 s4, s4
	s_cbranch_execz .LBB227_186
.LBB227_185:                            ;   in Loop: Header=BB227_137 Depth=1
	s_delay_alu instid0(VALU_DEP_2) | instskip(NEXT) | instid1(VALU_DEP_2)
	v_add_f64_e32 v[18:19], v[18:19], v[18:19]
	v_add_f64_e32 v[4:5], v[4:5], v[4:5]
.LBB227_186:                            ;   in Loop: Header=BB227_137 Depth=1
	s_or_b32 exec_lo, exec_lo, s4
.LBB227_187:                            ;   in Loop: Header=BB227_137 Depth=1
	s_and_not1_saveexec_b32 s4, s25
	s_cbranch_execz .LBB227_193
; %bb.188:                              ;   in Loop: Header=BB227_137 Depth=1
	s_delay_alu instid0(VALU_DEP_1) | instskip(SKIP_1) | instid1(VALU_DEP_1)
	v_add_f64_e64 v[6:7], v[4:5], -v[4:5]
	s_mov_b32 s5, exec_lo
	v_and_b32_e32 v19, 0x7fffffff, v7
	s_delay_alu instid0(VALU_DEP_2)
	v_mov_b32_e32 v18, v6
	v_cmpx_lt_i64_e32 -1, v[2:3]
	s_xor_b32 s5, exec_lo, s5
; %bb.189:                              ;   in Loop: Header=BB227_137 Depth=1
	v_bfi_b32 v7, 0x7fffffff, v7, v5
	v_mov_b64_e32 v[18:19], v[2:3]
	s_delay_alu instid0(VALU_DEP_2)
	v_mov_b64_e32 v[4:5], v[6:7]
; %bb.190:                              ;   in Loop: Header=BB227_137 Depth=1
	s_and_not1_saveexec_b32 s5, s5
; %bb.191:                              ;   in Loop: Header=BB227_137 Depth=1
	s_delay_alu instid0(VALU_DEP_1) | instskip(NEXT) | instid1(VALU_DEP_1)
	v_bfi_b32 v3, 0x7fffffff, v3, v5
	v_mov_b64_e32 v[4:5], v[2:3]
; %bb.192:                              ;   in Loop: Header=BB227_137 Depth=1
	s_or_b32 exec_lo, exec_lo, s5
.LBB227_193:                            ;   in Loop: Header=BB227_137 Depth=1
	s_delay_alu instid0(SALU_CYCLE_1)
	s_or_b32 exec_lo, exec_lo, s4
.LBB227_194:                            ;   in Loop: Header=BB227_137 Depth=1
	s_and_not1_saveexec_b32 s4, s24
	s_cbranch_execz .LBB227_196
; %bb.195:                              ;   in Loop: Header=BB227_137 Depth=1
	s_delay_alu instid0(VALU_DEP_1) | instskip(NEXT) | instid1(VALU_DEP_1)
	v_add_f64_e64 v[4:5], v[4:5], -v[4:5]
	v_div_scale_f64 v[6:7], vcc_lo, v[4:5], v[4:5], v[4:5]
	s_delay_alu instid0(VALU_DEP_1) | instskip(SKIP_1) | instid1(TRANS32_DEP_1)
	v_rcp_f64_e32 v[18:19], v[6:7]
	v_nop
	v_fma_f64 v[34:35], -v[6:7], v[18:19], 1.0
	s_delay_alu instid0(VALU_DEP_1) | instskip(NEXT) | instid1(VALU_DEP_1)
	v_fmac_f64_e32 v[18:19], v[18:19], v[34:35]
	v_fma_f64 v[34:35], -v[6:7], v[18:19], 1.0
	s_delay_alu instid0(VALU_DEP_1) | instskip(NEXT) | instid1(VALU_DEP_1)
	v_fmac_f64_e32 v[18:19], v[18:19], v[34:35]
	v_mul_f64_e32 v[34:35], v[6:7], v[18:19]
	s_delay_alu instid0(VALU_DEP_1) | instskip(NEXT) | instid1(VALU_DEP_1)
	v_fma_f64 v[6:7], -v[6:7], v[34:35], v[6:7]
	v_div_fmas_f64 v[6:7], v[6:7], v[18:19], v[34:35]
	v_mov_b64_e32 v[18:19], v[2:3]
	s_delay_alu instid0(VALU_DEP_2)
	v_div_fixup_f64 v[4:5], v[6:7], v[4:5], v[4:5]
.LBB227_196:                            ;   in Loop: Header=BB227_137 Depth=1
	s_or_b32 exec_lo, exec_lo, s4
.LBB227_197:                            ;   in Loop: Header=BB227_137 Depth=1
	s_delay_alu instid0(SALU_CYCLE_1)
	s_or_b32 exec_lo, exec_lo, s23
.LBB227_198:                            ;   in Loop: Header=BB227_137 Depth=1
	s_delay_alu instid0(SALU_CYCLE_1)
	s_or_b32 exec_lo, exec_lo, s22
	v_cmp_neq_f64_e32 vcc_lo, 0, v[14:15]
	v_cmp_neq_f64_e64 s4, 0, v[16:17]
	v_mov_b64_e32 v[2:3], 0
	v_mov_b64_e32 v[6:7], 0
	s_or_b32 s4, vcc_lo, s4
	s_delay_alu instid0(SALU_CYCLE_1)
	s_and_saveexec_b32 s22, s4
	s_cbranch_execz .LBB227_225
; %bb.199:                              ;   in Loop: Header=BB227_137 Depth=1
	v_mov_b64_e32 v[6:7], 0x7ff0000000000000
	s_mov_b32 s23, exec_lo
	v_cmpx_neq_f64_e64 0x7ff00000, |v[16:17]|
	s_cbranch_execz .LBB227_224
; %bb.200:                              ;   in Loop: Header=BB227_137 Depth=1
                                        ; implicit-def: $vgpr6_vgpr7
	s_mov_b32 s4, exec_lo
	v_cmpx_o_f64_e32 v[14:15], v[14:15]
	s_xor_b32 s24, exec_lo, s4
	s_cbranch_execz .LBB227_221
; %bb.201:                              ;   in Loop: Header=BB227_137 Depth=1
                                        ; implicit-def: $vgpr6_vgpr7
	s_mov_b32 s5, exec_lo
	v_cmpx_neq_f64_e64 0x7ff00000, |v[14:15]|
	s_xor_b32 s25, exec_lo, s5
	s_cbranch_execz .LBB227_214
; %bb.202:                              ;   in Loop: Header=BB227_137 Depth=1
	v_max_num_f64_e64 v[6:7], |v[14:15]|, |v[14:15]|
	v_max_num_f64_e64 v[34:35], |v[16:17]|, |v[16:17]|
                                        ; implicit-def: $sgpr26
	s_delay_alu instid0(VALU_DEP_1) | instskip(NEXT) | instid1(VALU_DEP_1)
	v_max_num_f64_e32 v[6:7], v[34:35], v[6:7]
	v_cmp_nle_f64_e64 s4, s[14:15], v[6:7]
	s_and_saveexec_b32 s5, s4
	s_delay_alu instid0(SALU_CYCLE_1)
	s_xor_b32 s5, exec_lo, s5
	s_cbranch_execz .LBB227_206
; %bb.203:                              ;   in Loop: Header=BB227_137 Depth=1
	v_cmp_ge_f64_e64 s26, 0x200000, |v[14:15]|
	v_cmp_ge_f64_e64 s27, 0x200000, |v[16:17]|
	s_and_b32 s28, s27, s26
	s_mov_b32 s26, 0
	s_and_saveexec_b32 s27, s28
	s_cbranch_execz .LBB227_205
; %bb.204:                              ;   in Loop: Header=BB227_137 Depth=1
	v_mul_f64_e32 v[14:15], 4.0, v[14:15]
	v_mul_f64_e32 v[16:17], 4.0, v[16:17]
	s_mov_b32 s26, exec_lo
.LBB227_205:                            ;   in Loop: Header=BB227_137 Depth=1
	s_or_b32 exec_lo, exec_lo, s27
.LBB227_206:                            ;   in Loop: Header=BB227_137 Depth=1
	s_and_not1_saveexec_b32 s5, s5
	s_cbranch_execz .LBB227_208
; %bb.207:                              ;   in Loop: Header=BB227_137 Depth=1
	s_delay_alu instid0(VALU_DEP_2) | instskip(NEXT) | instid1(VALU_DEP_2)
	v_ldexp_f64 v[14:15], v[14:15], -2
	v_ldexp_f64 v[16:17], v[16:17], -2
	s_and_not1_b32 s26, s26, exec_lo
.LBB227_208:                            ;   in Loop: Header=BB227_137 Depth=1
	s_or_b32 exec_lo, exec_lo, s5
	s_delay_alu instid0(VALU_DEP_1) | instskip(NEXT) | instid1(VALU_DEP_3)
	v_max_num_f64_e64 v[6:7], |v[16:17]|, |v[16:17]|
	v_max_num_f64_e64 v[34:35], |v[14:15]|, |v[14:15]|
	v_cmp_class_f64_e64 s27, v[14:15], 0x204
	v_cmp_class_f64_e64 s28, v[16:17], 0x204
	v_cmp_le_f64_e64 s5, 0, v[14:15]
	s_delay_alu instid0(VALU_DEP_4) | instskip(SKIP_1) | instid1(VALU_DEP_1)
	v_max_num_f64_e32 v[6:7], v[34:35], v[6:7]
	s_or_b32 s27, s28, s27
	v_frexp_exp_i32_f64_e32 v40, v[6:7]
	s_delay_alu instid0(VALU_DEP_1) | instskip(NEXT) | instid1(VALU_DEP_1)
	v_sub_nc_u32_e32 v34, 0, v40
	v_ldexp_f64 v[6:7], |v[16:17]|, v34
	v_ldexp_f64 v[34:35], |v[14:15]|, v34
	s_delay_alu instid0(VALU_DEP_2) | instskip(NEXT) | instid1(VALU_DEP_1)
	v_mul_f64_e32 v[6:7], v[6:7], v[6:7]
	v_fmac_f64_e32 v[6:7], v[34:35], v[34:35]
	s_delay_alu instid0(VALU_DEP_1) | instskip(SKIP_1) | instid1(TRANS32_DEP_1)
	v_rsq_f64_e32 v[34:35], v[6:7]
	v_cmp_eq_f64_e32 vcc_lo, 0, v[6:7]
	v_mul_f64_e32 v[36:37], v[6:7], v[34:35]
	v_mul_f64_e32 v[34:35], 0.5, v[34:35]
	s_delay_alu instid0(VALU_DEP_1) | instskip(NEXT) | instid1(VALU_DEP_1)
	v_fma_f64 v[38:39], -v[34:35], v[36:37], 0.5
	v_fmac_f64_e32 v[36:37], v[36:37], v[38:39]
	v_fmac_f64_e32 v[34:35], v[34:35], v[38:39]
	s_delay_alu instid0(VALU_DEP_2) | instskip(NEXT) | instid1(VALU_DEP_1)
	v_fma_f64 v[38:39], -v[36:37], v[36:37], v[6:7]
	v_fmac_f64_e32 v[36:37], v[38:39], v[34:35]
	s_delay_alu instid0(VALU_DEP_1) | instskip(SKIP_1) | instid1(VALU_DEP_2)
	v_dual_cndmask_b32 v7, v37, v7 :: v_dual_cndmask_b32 v6, v36, v6
	v_cmp_o_f64_e32 vcc_lo, v[16:17], v[16:17]
	v_ldexp_f64 v[6:7], v[6:7], v40
	s_delay_alu instid0(VALU_DEP_1) | instskip(NEXT) | instid1(VALU_DEP_2)
	v_cndmask_b32_e32 v6, 0, v6, vcc_lo
	v_cndmask_b32_e32 v7, 0x7ff80000, v7, vcc_lo
	s_delay_alu instid0(VALU_DEP_2) | instskip(NEXT) | instid1(VALU_DEP_2)
	v_cndmask_b32_e64 v34, v6, 0, s27
	v_cndmask_b32_e64 v35, v7, 0x7ff00000, s27
                                        ; implicit-def: $vgpr6_vgpr7
	s_and_saveexec_b32 s27, s5
	s_delay_alu instid0(SALU_CYCLE_1)
	s_xor_b32 s5, exec_lo, s27
	s_cbranch_execnz .LBB227_271
; %bb.209:                              ;   in Loop: Header=BB227_137 Depth=1
	s_and_not1_saveexec_b32 s5, s5
	s_cbranch_execnz .LBB227_272
.LBB227_210:                            ;   in Loop: Header=BB227_137 Depth=1
	s_or_b32 exec_lo, exec_lo, s5
	s_and_saveexec_b32 s5, s4
	s_delay_alu instid0(SALU_CYCLE_1)
	s_xor_b32 s4, exec_lo, s5
	s_cbranch_execnz .LBB227_273
.LBB227_211:                            ;   in Loop: Header=BB227_137 Depth=1
	s_and_not1_saveexec_b32 s4, s4
	s_cbranch_execz .LBB227_213
.LBB227_212:                            ;   in Loop: Header=BB227_137 Depth=1
	s_delay_alu instid0(VALU_DEP_2) | instskip(NEXT) | instid1(VALU_DEP_2)
	v_add_f64_e32 v[6:7], v[6:7], v[6:7]
	v_add_f64_e32 v[16:17], v[16:17], v[16:17]
.LBB227_213:                            ;   in Loop: Header=BB227_137 Depth=1
	s_or_b32 exec_lo, exec_lo, s4
.LBB227_214:                            ;   in Loop: Header=BB227_137 Depth=1
	s_and_not1_saveexec_b32 s4, s25
	s_cbranch_execz .LBB227_220
; %bb.215:                              ;   in Loop: Header=BB227_137 Depth=1
	s_delay_alu instid0(VALU_DEP_1) | instskip(SKIP_1) | instid1(VALU_DEP_1)
	v_add_f64_e64 v[34:35], v[16:17], -v[16:17]
	s_mov_b32 s5, exec_lo
	v_and_b32_e32 v7, 0x7fffffff, v35
	s_delay_alu instid0(VALU_DEP_2)
	v_mov_b32_e32 v6, v34
	v_cmpx_lt_i64_e32 -1, v[14:15]
	s_xor_b32 s5, exec_lo, s5
; %bb.216:                              ;   in Loop: Header=BB227_137 Depth=1
	v_bfi_b32 v35, 0x7fffffff, v35, v17
	v_mov_b64_e32 v[6:7], v[14:15]
	s_delay_alu instid0(VALU_DEP_2)
	v_mov_b64_e32 v[16:17], v[34:35]
; %bb.217:                              ;   in Loop: Header=BB227_137 Depth=1
	s_and_not1_saveexec_b32 s5, s5
; %bb.218:                              ;   in Loop: Header=BB227_137 Depth=1
	s_delay_alu instid0(VALU_DEP_1) | instskip(NEXT) | instid1(VALU_DEP_1)
	v_bfi_b32 v15, 0x7fffffff, v15, v17
	v_mov_b64_e32 v[16:17], v[14:15]
; %bb.219:                              ;   in Loop: Header=BB227_137 Depth=1
	s_or_b32 exec_lo, exec_lo, s5
.LBB227_220:                            ;   in Loop: Header=BB227_137 Depth=1
	s_delay_alu instid0(SALU_CYCLE_1)
	s_or_b32 exec_lo, exec_lo, s4
.LBB227_221:                            ;   in Loop: Header=BB227_137 Depth=1
	s_and_not1_saveexec_b32 s4, s24
	s_cbranch_execz .LBB227_223
; %bb.222:                              ;   in Loop: Header=BB227_137 Depth=1
	s_delay_alu instid0(VALU_DEP_1) | instskip(NEXT) | instid1(VALU_DEP_1)
	v_add_f64_e64 v[6:7], v[16:17], -v[16:17]
	v_div_scale_f64 v[16:17], vcc_lo, v[6:7], v[6:7], v[6:7]
	s_delay_alu instid0(VALU_DEP_1) | instskip(SKIP_1) | instid1(TRANS32_DEP_1)
	v_rcp_f64_e32 v[34:35], v[16:17]
	v_nop
	v_fma_f64 v[36:37], -v[16:17], v[34:35], 1.0
	s_delay_alu instid0(VALU_DEP_1) | instskip(NEXT) | instid1(VALU_DEP_1)
	v_fmac_f64_e32 v[34:35], v[34:35], v[36:37]
	v_fma_f64 v[36:37], -v[16:17], v[34:35], 1.0
	s_delay_alu instid0(VALU_DEP_1) | instskip(NEXT) | instid1(VALU_DEP_1)
	v_fmac_f64_e32 v[34:35], v[34:35], v[36:37]
	v_mul_f64_e32 v[36:37], v[16:17], v[34:35]
	s_delay_alu instid0(VALU_DEP_1) | instskip(NEXT) | instid1(VALU_DEP_1)
	v_fma_f64 v[16:17], -v[16:17], v[36:37], v[16:17]
	v_div_fmas_f64 v[16:17], v[16:17], v[34:35], v[36:37]
	s_delay_alu instid0(VALU_DEP_1)
	v_div_fixup_f64 v[16:17], v[16:17], v[6:7], v[6:7]
	v_mov_b64_e32 v[6:7], v[14:15]
.LBB227_223:                            ;   in Loop: Header=BB227_137 Depth=1
	s_or_b32 exec_lo, exec_lo, s4
.LBB227_224:                            ;   in Loop: Header=BB227_137 Depth=1
	s_delay_alu instid0(SALU_CYCLE_1)
	s_or_b32 exec_lo, exec_lo, s23
.LBB227_225:                            ;   in Loop: Header=BB227_137 Depth=1
	s_delay_alu instid0(SALU_CYCLE_1) | instskip(SKIP_3) | instid1(SALU_CYCLE_1)
	s_or_b32 exec_lo, exec_lo, s22
	v_cmp_neq_f64_e32 vcc_lo, 0, v[10:11]
	v_cmp_neq_f64_e64 s4, 0, v[12:13]
	s_or_b32 s4, vcc_lo, s4
	s_and_saveexec_b32 s22, s4
	s_cbranch_execnz .LBB227_230
; %bb.226:                              ;   in Loop: Header=BB227_137 Depth=1
	s_or_b32 exec_lo, exec_lo, s22
	s_and_saveexec_b32 s4, s0
	s_delay_alu instid0(SALU_CYCLE_1)
	s_xor_b32 s0, exec_lo, s4
	s_cbranch_execnz .LBB227_256
.LBB227_227:                            ;   in Loop: Header=BB227_137 Depth=1
	s_or_b32 exec_lo, exec_lo, s0
	s_and_saveexec_b32 s0, s1
	s_cbranch_execnz .LBB227_257
.LBB227_228:                            ;   in Loop: Header=BB227_137 Depth=1
	s_or_b32 exec_lo, exec_lo, s0
	s_and_saveexec_b32 s0, s2
	s_cbranch_execnz .LBB227_258
.LBB227_229:                            ;   in Loop: Header=BB227_137 Depth=1
	s_or_b32 exec_lo, exec_lo, s0
	s_and_saveexec_b32 s0, s3
	s_cbranch_execz .LBB227_136
	s_branch .LBB227_259
.LBB227_230:                            ;   in Loop: Header=BB227_137 Depth=1
	v_mov_b64_e32 v[2:3], 0x7ff0000000000000
	s_mov_b32 s23, exec_lo
	v_cmpx_neq_f64_e64 0x7ff00000, |v[12:13]|
	s_cbranch_execz .LBB227_255
; %bb.231:                              ;   in Loop: Header=BB227_137 Depth=1
                                        ; implicit-def: $vgpr2_vgpr3
	s_mov_b32 s4, exec_lo
	v_cmpx_o_f64_e32 v[10:11], v[10:11]
	s_xor_b32 s24, exec_lo, s4
	s_cbranch_execz .LBB227_252
; %bb.232:                              ;   in Loop: Header=BB227_137 Depth=1
                                        ; implicit-def: $vgpr2_vgpr3
	s_mov_b32 s5, exec_lo
	v_cmpx_neq_f64_e64 0x7ff00000, |v[10:11]|
	s_xor_b32 s25, exec_lo, s5
	s_cbranch_execz .LBB227_245
; %bb.233:                              ;   in Loop: Header=BB227_137 Depth=1
	v_max_num_f64_e64 v[2:3], |v[10:11]|, |v[10:11]|
	v_max_num_f64_e64 v[14:15], |v[12:13]|, |v[12:13]|
                                        ; implicit-def: $sgpr26
	s_delay_alu instid0(VALU_DEP_1) | instskip(NEXT) | instid1(VALU_DEP_1)
	v_max_num_f64_e32 v[2:3], v[14:15], v[2:3]
	v_cmp_nle_f64_e64 s4, s[14:15], v[2:3]
	s_and_saveexec_b32 s5, s4
	s_delay_alu instid0(SALU_CYCLE_1)
	s_xor_b32 s5, exec_lo, s5
	s_cbranch_execz .LBB227_237
; %bb.234:                              ;   in Loop: Header=BB227_137 Depth=1
	v_cmp_ge_f64_e64 s26, 0x200000, |v[10:11]|
	v_cmp_ge_f64_e64 s27, 0x200000, |v[12:13]|
	s_and_b32 s28, s27, s26
	s_mov_b32 s26, 0
	s_and_saveexec_b32 s27, s28
	s_cbranch_execz .LBB227_236
; %bb.235:                              ;   in Loop: Header=BB227_137 Depth=1
	v_mul_f64_e32 v[10:11], 4.0, v[10:11]
	v_mul_f64_e32 v[12:13], 4.0, v[12:13]
	s_mov_b32 s26, exec_lo
.LBB227_236:                            ;   in Loop: Header=BB227_137 Depth=1
	s_or_b32 exec_lo, exec_lo, s27
.LBB227_237:                            ;   in Loop: Header=BB227_137 Depth=1
	s_and_not1_saveexec_b32 s5, s5
	s_cbranch_execz .LBB227_239
; %bb.238:                              ;   in Loop: Header=BB227_137 Depth=1
	s_delay_alu instid0(VALU_DEP_2) | instskip(NEXT) | instid1(VALU_DEP_2)
	v_ldexp_f64 v[10:11], v[10:11], -2
	v_ldexp_f64 v[12:13], v[12:13], -2
	s_and_not1_b32 s26, s26, exec_lo
.LBB227_239:                            ;   in Loop: Header=BB227_137 Depth=1
	s_or_b32 exec_lo, exec_lo, s5
	s_delay_alu instid0(VALU_DEP_1) | instskip(NEXT) | instid1(VALU_DEP_3)
	v_max_num_f64_e64 v[2:3], |v[12:13]|, |v[12:13]|
	v_max_num_f64_e64 v[14:15], |v[10:11]|, |v[10:11]|
	v_cmp_class_f64_e64 s27, v[10:11], 0x204
	v_cmp_class_f64_e64 s28, v[12:13], 0x204
	v_cmp_le_f64_e64 s5, 0, v[10:11]
	s_delay_alu instid0(VALU_DEP_4) | instskip(SKIP_1) | instid1(VALU_DEP_1)
	v_max_num_f64_e32 v[2:3], v[14:15], v[2:3]
	s_or_b32 s27, s28, s27
	v_frexp_exp_i32_f64_e32 v38, v[2:3]
	s_delay_alu instid0(VALU_DEP_1) | instskip(NEXT) | instid1(VALU_DEP_1)
	v_sub_nc_u32_e32 v14, 0, v38
	v_ldexp_f64 v[2:3], |v[12:13]|, v14
	v_ldexp_f64 v[14:15], |v[10:11]|, v14
	s_delay_alu instid0(VALU_DEP_2) | instskip(NEXT) | instid1(VALU_DEP_1)
	v_mul_f64_e32 v[2:3], v[2:3], v[2:3]
	v_fmac_f64_e32 v[2:3], v[14:15], v[14:15]
	s_delay_alu instid0(VALU_DEP_1) | instskip(SKIP_1) | instid1(TRANS32_DEP_1)
	v_rsq_f64_e32 v[14:15], v[2:3]
	v_cmp_eq_f64_e32 vcc_lo, 0, v[2:3]
	v_mul_f64_e32 v[34:35], v[2:3], v[14:15]
	v_mul_f64_e32 v[14:15], 0.5, v[14:15]
	s_delay_alu instid0(VALU_DEP_1) | instskip(NEXT) | instid1(VALU_DEP_1)
	v_fma_f64 v[36:37], -v[14:15], v[34:35], 0.5
	v_fmac_f64_e32 v[34:35], v[34:35], v[36:37]
	v_fmac_f64_e32 v[14:15], v[14:15], v[36:37]
	s_delay_alu instid0(VALU_DEP_2) | instskip(NEXT) | instid1(VALU_DEP_1)
	v_fma_f64 v[36:37], -v[34:35], v[34:35], v[2:3]
	v_fmac_f64_e32 v[34:35], v[36:37], v[14:15]
	s_delay_alu instid0(VALU_DEP_1) | instskip(SKIP_1) | instid1(VALU_DEP_2)
	v_dual_cndmask_b32 v3, v35, v3 :: v_dual_cndmask_b32 v2, v34, v2
	v_cmp_o_f64_e32 vcc_lo, v[12:13], v[12:13]
	v_ldexp_f64 v[2:3], v[2:3], v38
	s_delay_alu instid0(VALU_DEP_1) | instskip(NEXT) | instid1(VALU_DEP_2)
	v_cndmask_b32_e32 v2, 0, v2, vcc_lo
	v_cndmask_b32_e32 v3, 0x7ff80000, v3, vcc_lo
	s_delay_alu instid0(VALU_DEP_2) | instskip(NEXT) | instid1(VALU_DEP_2)
	v_cndmask_b32_e64 v14, v2, 0, s27
	v_cndmask_b32_e64 v15, v3, 0x7ff00000, s27
                                        ; implicit-def: $vgpr2_vgpr3
	s_and_saveexec_b32 s27, s5
	s_delay_alu instid0(SALU_CYCLE_1)
	s_xor_b32 s5, exec_lo, s27
	s_cbranch_execnz .LBB227_276
; %bb.240:                              ;   in Loop: Header=BB227_137 Depth=1
	s_and_not1_saveexec_b32 s5, s5
	s_cbranch_execnz .LBB227_277
.LBB227_241:                            ;   in Loop: Header=BB227_137 Depth=1
	s_or_b32 exec_lo, exec_lo, s5
	s_and_saveexec_b32 s5, s4
	s_delay_alu instid0(SALU_CYCLE_1)
	s_xor_b32 s4, exec_lo, s5
	s_cbranch_execnz .LBB227_278
.LBB227_242:                            ;   in Loop: Header=BB227_137 Depth=1
	s_and_not1_saveexec_b32 s4, s4
	s_cbranch_execz .LBB227_244
.LBB227_243:                            ;   in Loop: Header=BB227_137 Depth=1
	s_delay_alu instid0(VALU_DEP_2) | instskip(NEXT) | instid1(VALU_DEP_2)
	v_add_f64_e32 v[2:3], v[2:3], v[2:3]
	v_add_f64_e32 v[12:13], v[12:13], v[12:13]
.LBB227_244:                            ;   in Loop: Header=BB227_137 Depth=1
	s_or_b32 exec_lo, exec_lo, s4
.LBB227_245:                            ;   in Loop: Header=BB227_137 Depth=1
	s_and_not1_saveexec_b32 s4, s25
	s_cbranch_execz .LBB227_251
; %bb.246:                              ;   in Loop: Header=BB227_137 Depth=1
	s_delay_alu instid0(VALU_DEP_1) | instskip(SKIP_1) | instid1(VALU_DEP_1)
	v_add_f64_e64 v[14:15], v[12:13], -v[12:13]
	s_mov_b32 s5, exec_lo
	v_and_b32_e32 v3, 0x7fffffff, v15
	s_delay_alu instid0(VALU_DEP_2)
	v_mov_b32_e32 v2, v14
	v_cmpx_lt_i64_e32 -1, v[10:11]
	s_xor_b32 s5, exec_lo, s5
; %bb.247:                              ;   in Loop: Header=BB227_137 Depth=1
	v_bfi_b32 v15, 0x7fffffff, v15, v13
	v_mov_b64_e32 v[2:3], v[10:11]
	s_delay_alu instid0(VALU_DEP_2)
	v_mov_b64_e32 v[12:13], v[14:15]
; %bb.248:                              ;   in Loop: Header=BB227_137 Depth=1
	s_and_not1_saveexec_b32 s5, s5
; %bb.249:                              ;   in Loop: Header=BB227_137 Depth=1
	s_delay_alu instid0(VALU_DEP_1) | instskip(NEXT) | instid1(VALU_DEP_1)
	v_bfi_b32 v11, 0x7fffffff, v11, v13
	v_mov_b64_e32 v[12:13], v[10:11]
; %bb.250:                              ;   in Loop: Header=BB227_137 Depth=1
	s_or_b32 exec_lo, exec_lo, s5
.LBB227_251:                            ;   in Loop: Header=BB227_137 Depth=1
	s_delay_alu instid0(SALU_CYCLE_1)
	s_or_b32 exec_lo, exec_lo, s4
.LBB227_252:                            ;   in Loop: Header=BB227_137 Depth=1
	s_and_not1_saveexec_b32 s4, s24
	s_cbranch_execz .LBB227_254
; %bb.253:                              ;   in Loop: Header=BB227_137 Depth=1
	s_delay_alu instid0(VALU_DEP_1) | instskip(NEXT) | instid1(VALU_DEP_1)
	v_add_f64_e64 v[2:3], v[12:13], -v[12:13]
	v_div_scale_f64 v[12:13], vcc_lo, v[2:3], v[2:3], v[2:3]
	s_delay_alu instid0(VALU_DEP_1) | instskip(SKIP_1) | instid1(TRANS32_DEP_1)
	v_rcp_f64_e32 v[14:15], v[12:13]
	v_nop
	v_fma_f64 v[34:35], -v[12:13], v[14:15], 1.0
	s_delay_alu instid0(VALU_DEP_1) | instskip(NEXT) | instid1(VALU_DEP_1)
	v_fmac_f64_e32 v[14:15], v[14:15], v[34:35]
	v_fma_f64 v[34:35], -v[12:13], v[14:15], 1.0
	s_delay_alu instid0(VALU_DEP_1) | instskip(NEXT) | instid1(VALU_DEP_1)
	v_fmac_f64_e32 v[14:15], v[14:15], v[34:35]
	v_mul_f64_e32 v[34:35], v[12:13], v[14:15]
	s_delay_alu instid0(VALU_DEP_1) | instskip(NEXT) | instid1(VALU_DEP_1)
	v_fma_f64 v[12:13], -v[12:13], v[34:35], v[12:13]
	v_div_fmas_f64 v[12:13], v[12:13], v[14:15], v[34:35]
	s_delay_alu instid0(VALU_DEP_1)
	v_div_fixup_f64 v[12:13], v[12:13], v[2:3], v[2:3]
	v_mov_b64_e32 v[2:3], v[10:11]
.LBB227_254:                            ;   in Loop: Header=BB227_137 Depth=1
	s_or_b32 exec_lo, exec_lo, s4
.LBB227_255:                            ;   in Loop: Header=BB227_137 Depth=1
	s_delay_alu instid0(SALU_CYCLE_1) | instskip(NEXT) | instid1(SALU_CYCLE_1)
	s_or_b32 exec_lo, exec_lo, s23
	s_or_b32 exec_lo, exec_lo, s22
	s_and_saveexec_b32 s4, s0
	s_delay_alu instid0(SALU_CYCLE_1)
	s_xor_b32 s0, exec_lo, s4
	s_cbranch_execz .LBB227_227
.LBB227_256:                            ;   in Loop: Header=BB227_137 Depth=1
	v_lshl_add_u64 v[10:11], v[22:23], 4, s[8:9]
	v_dual_mov_b32 v22, v8 :: v_dual_mov_b32 v23, v9
	global_store_b128 v[10:11], v[20:23], off
	s_wait_xcnt 0x0
	s_or_b32 exec_lo, exec_lo, s0
	s_and_saveexec_b32 s0, s1
	s_cbranch_execz .LBB227_228
.LBB227_257:                            ;   in Loop: Header=BB227_137 Depth=1
	v_lshl_add_u64 v[8:9], v[28:29], 4, s[8:9]
	v_dual_mov_b32 v20, v4 :: v_dual_mov_b32 v21, v5
	global_store_b128 v[8:9], v[18:21], off
	s_wait_xcnt 0x0
	s_or_b32 exec_lo, exec_lo, s0
	s_and_saveexec_b32 s0, s2
	s_cbranch_execz .LBB227_229
.LBB227_258:                            ;   in Loop: Header=BB227_137 Depth=1
	v_lshl_add_u64 v[4:5], v[30:31], 4, s[8:9]
	v_dual_mov_b32 v8, v16 :: v_dual_mov_b32 v9, v17
	global_store_b128 v[4:5], v[6:9], off
	s_wait_xcnt 0x0
	s_or_b32 exec_lo, exec_lo, s0
	s_and_saveexec_b32 s0, s3
	s_cbranch_execz .LBB227_136
.LBB227_259:                            ;   in Loop: Header=BB227_137 Depth=1
	v_lshl_add_u64 v[6:7], v[32:33], 4, s[8:9]
	s_delay_alu instid0(VALU_DEP_2)
	v_dual_mov_b32 v4, v12 :: v_dual_mov_b32 v5, v13
	global_store_b128 v[6:7], v[2:5], off
	s_branch .LBB227_136
.LBB227_260:                            ;   in Loop: Header=BB227_137 Depth=1
	s_or_b32 exec_lo, exec_lo, s4
	s_and_not1_saveexec_b32 s4, s24
	s_cbranch_execnz .LBB227_168
	s_branch .LBB227_169
.LBB227_261:                            ;   in Loop: Header=BB227_137 Depth=1
	s_delay_alu instid0(VALU_DEP_1) | instskip(NEXT) | instid1(VALU_DEP_1)
	v_add_f64_e32 v[6:7], v[6:7], v[34:35]
	v_mul_f64_e32 v[6:7], 0.5, v[6:7]
	s_delay_alu instid0(VALU_DEP_1) | instskip(SKIP_1) | instid1(VALU_DEP_1)
	v_cmp_gt_f64_e32 vcc_lo, 0x10000000, v[6:7]
	v_cndmask_b32_e64 v20, 0, 0x100, vcc_lo
	v_ldexp_f64 v[6:7], v[6:7], v20
	s_delay_alu instid0(VALU_DEP_1) | instskip(SKIP_1) | instid1(TRANS32_DEP_1)
	v_rsq_f64_e32 v[20:21], v[6:7]
	v_nop
	v_mul_f64_e32 v[34:35], v[6:7], v[20:21]
	v_mul_f64_e32 v[20:21], 0.5, v[20:21]
	s_delay_alu instid0(VALU_DEP_1) | instskip(NEXT) | instid1(VALU_DEP_1)
	v_fma_f64 v[36:37], -v[20:21], v[34:35], 0.5
	v_fmac_f64_e32 v[34:35], v[34:35], v[36:37]
	v_fmac_f64_e32 v[20:21], v[20:21], v[36:37]
	s_delay_alu instid0(VALU_DEP_2) | instskip(NEXT) | instid1(VALU_DEP_1)
	v_fma_f64 v[36:37], -v[34:35], v[34:35], v[6:7]
	v_fmac_f64_e32 v[34:35], v[36:37], v[20:21]
	s_delay_alu instid0(VALU_DEP_1) | instskip(NEXT) | instid1(VALU_DEP_1)
	v_fma_f64 v[36:37], -v[34:35], v[34:35], v[6:7]
	v_fmac_f64_e32 v[34:35], v[36:37], v[20:21]
	v_cndmask_b32_e64 v20, 0, 0xffffff80, vcc_lo
	v_cmp_class_f64_e64 vcc_lo, v[6:7], 0x260
	s_delay_alu instid0(VALU_DEP_2) | instskip(NEXT) | instid1(VALU_DEP_1)
	v_ldexp_f64 v[20:21], v[34:35], v20
	v_dual_cndmask_b32 v21, v21, v7 :: v_dual_cndmask_b32 v20, v20, v6
	s_delay_alu instid0(VALU_DEP_1) | instskip(NEXT) | instid1(VALU_DEP_1)
	v_add_f64_e32 v[6:7], v[20:21], v[20:21]
	v_div_scale_f64 v[34:35], null, v[6:7], v[6:7], v[8:9]
	s_delay_alu instid0(VALU_DEP_1) | instskip(SKIP_1) | instid1(TRANS32_DEP_1)
	v_rcp_f64_e32 v[36:37], v[34:35]
	v_nop
	v_fma_f64 v[38:39], -v[34:35], v[36:37], 1.0
	s_delay_alu instid0(VALU_DEP_1) | instskip(NEXT) | instid1(VALU_DEP_1)
	v_fmac_f64_e32 v[36:37], v[36:37], v[38:39]
	v_fma_f64 v[38:39], -v[34:35], v[36:37], 1.0
	s_delay_alu instid0(VALU_DEP_1) | instskip(SKIP_1) | instid1(VALU_DEP_1)
	v_fmac_f64_e32 v[36:37], v[36:37], v[38:39]
	v_div_scale_f64 v[38:39], vcc_lo, v[8:9], v[6:7], v[8:9]
	v_mul_f64_e32 v[40:41], v[38:39], v[36:37]
	s_delay_alu instid0(VALU_DEP_1) | instskip(NEXT) | instid1(VALU_DEP_1)
	v_fma_f64 v[34:35], -v[34:35], v[40:41], v[38:39]
	v_div_fmas_f64 v[34:35], v[34:35], v[36:37], v[40:41]
	s_delay_alu instid0(VALU_DEP_1)
	v_div_fixup_f64 v[8:9], v[34:35], v[6:7], v[8:9]
                                        ; implicit-def: $vgpr34_vgpr35
	s_and_not1_saveexec_b32 s5, s5
	s_cbranch_execz .LBB227_157
.LBB227_262:                            ;   in Loop: Header=BB227_137 Depth=1
	v_add_f64_e64 v[6:7], v[34:35], -v[6:7]
	s_delay_alu instid0(VALU_DEP_1) | instskip(NEXT) | instid1(VALU_DEP_1)
	v_mul_f64_e32 v[6:7], 0.5, v[6:7]
	v_cmp_gt_f64_e32 vcc_lo, 0x10000000, v[6:7]
	v_cndmask_b32_e64 v20, 0, 0x100, vcc_lo
	s_delay_alu instid0(VALU_DEP_1) | instskip(NEXT) | instid1(VALU_DEP_1)
	v_ldexp_f64 v[6:7], v[6:7], v20
	v_rsq_f64_e32 v[20:21], v[6:7]
	v_nop
	s_delay_alu instid0(TRANS32_DEP_1) | instskip(SKIP_1) | instid1(VALU_DEP_1)
	v_mul_f64_e32 v[34:35], v[6:7], v[20:21]
	v_mul_f64_e32 v[20:21], 0.5, v[20:21]
	v_fma_f64 v[36:37], -v[20:21], v[34:35], 0.5
	s_delay_alu instid0(VALU_DEP_1) | instskip(SKIP_1) | instid1(VALU_DEP_2)
	v_fmac_f64_e32 v[34:35], v[34:35], v[36:37]
	v_fmac_f64_e32 v[20:21], v[20:21], v[36:37]
	v_fma_f64 v[36:37], -v[34:35], v[34:35], v[6:7]
	s_delay_alu instid0(VALU_DEP_1) | instskip(NEXT) | instid1(VALU_DEP_1)
	v_fmac_f64_e32 v[34:35], v[36:37], v[20:21]
	v_fma_f64 v[36:37], -v[34:35], v[34:35], v[6:7]
	s_delay_alu instid0(VALU_DEP_1) | instskip(SKIP_2) | instid1(VALU_DEP_2)
	v_fmac_f64_e32 v[34:35], v[36:37], v[20:21]
	v_cndmask_b32_e64 v20, 0, 0xffffff80, vcc_lo
	v_cmp_class_f64_e64 vcc_lo, v[6:7], 0x260
	v_ldexp_f64 v[20:21], v[34:35], v20
	v_and_b32_e32 v35, 0x7fffffff, v9
	s_delay_alu instid0(VALU_DEP_2) | instskip(NEXT) | instid1(VALU_DEP_3)
	v_dual_mov_b32 v34, v8 :: v_dual_cndmask_b32 v7, v21, v7
	v_cndmask_b32_e32 v6, v20, v6, vcc_lo
	s_delay_alu instid0(VALU_DEP_1) | instskip(SKIP_1) | instid1(VALU_DEP_2)
	v_add_f64_e32 v[20:21], v[6:7], v[6:7]
	v_bfi_b32 v7, 0x7fffffff, v7, v9
	v_div_scale_f64 v[36:37], null, v[20:21], v[20:21], v[34:35]
	v_div_scale_f64 v[34:35], vcc_lo, v[34:35], v[20:21], v[34:35]
	s_delay_alu instid0(VALU_DEP_2) | instskip(SKIP_1) | instid1(TRANS32_DEP_1)
	v_rcp_f64_e32 v[38:39], v[36:37]
	v_nop
	v_fma_f64 v[40:41], -v[36:37], v[38:39], 1.0
	s_delay_alu instid0(VALU_DEP_1) | instskip(NEXT) | instid1(VALU_DEP_1)
	v_fmac_f64_e32 v[38:39], v[38:39], v[40:41]
	v_fma_f64 v[40:41], -v[36:37], v[38:39], 1.0
	s_delay_alu instid0(VALU_DEP_1) | instskip(NEXT) | instid1(VALU_DEP_1)
	v_fmac_f64_e32 v[38:39], v[38:39], v[40:41]
	v_mul_f64_e32 v[40:41], v[34:35], v[38:39]
	s_delay_alu instid0(VALU_DEP_1) | instskip(NEXT) | instid1(VALU_DEP_1)
	v_fma_f64 v[34:35], -v[36:37], v[40:41], v[34:35]
	v_div_fmas_f64 v[34:35], v[34:35], v[38:39], v[40:41]
	s_delay_alu instid0(VALU_DEP_1) | instskip(SKIP_3) | instid1(SALU_CYCLE_1)
	v_div_fixup_f64 v[20:21], v[34:35], v[20:21], |v[8:9]|
	v_mov_b64_e32 v[8:9], v[6:7]
	s_or_b32 exec_lo, exec_lo, s5
	s_and_saveexec_b32 s5, s4
	s_xor_b32 s4, exec_lo, s5
	s_cbranch_execz .LBB227_158
.LBB227_263:                            ;   in Loop: Header=BB227_137 Depth=1
	s_and_saveexec_b32 s5, s26
	s_cbranch_execz .LBB227_265
; %bb.264:                              ;   in Loop: Header=BB227_137 Depth=1
	s_delay_alu instid0(VALU_DEP_2) | instskip(NEXT) | instid1(VALU_DEP_2)
	v_mul_f64_e32 v[20:21], 0.5, v[20:21]
	v_mul_f64_e32 v[8:9], 0.5, v[8:9]
.LBB227_265:                            ;   in Loop: Header=BB227_137 Depth=1
	s_or_b32 exec_lo, exec_lo, s5
	s_and_not1_saveexec_b32 s4, s4
	s_cbranch_execnz .LBB227_159
	s_branch .LBB227_160
.LBB227_266:                            ;   in Loop: Header=BB227_137 Depth=1
	s_delay_alu instid0(VALU_DEP_1) | instskip(NEXT) | instid1(VALU_DEP_1)
	v_add_f64_e32 v[2:3], v[2:3], v[6:7]
	v_mul_f64_e32 v[2:3], 0.5, v[2:3]
	s_delay_alu instid0(VALU_DEP_1) | instskip(SKIP_1) | instid1(VALU_DEP_1)
	v_cmp_gt_f64_e32 vcc_lo, 0x10000000, v[2:3]
	v_cndmask_b32_e64 v6, 0, 0x100, vcc_lo
	v_ldexp_f64 v[2:3], v[2:3], v6
	s_delay_alu instid0(VALU_DEP_1) | instskip(SKIP_1) | instid1(TRANS32_DEP_1)
	v_rsq_f64_e32 v[6:7], v[2:3]
	v_nop
	v_mul_f64_e32 v[18:19], v[2:3], v[6:7]
	v_mul_f64_e32 v[6:7], 0.5, v[6:7]
	s_delay_alu instid0(VALU_DEP_1) | instskip(NEXT) | instid1(VALU_DEP_1)
	v_fma_f64 v[34:35], -v[6:7], v[18:19], 0.5
	v_fmac_f64_e32 v[18:19], v[18:19], v[34:35]
	v_fmac_f64_e32 v[6:7], v[6:7], v[34:35]
	s_delay_alu instid0(VALU_DEP_2) | instskip(NEXT) | instid1(VALU_DEP_1)
	v_fma_f64 v[34:35], -v[18:19], v[18:19], v[2:3]
	v_fmac_f64_e32 v[18:19], v[34:35], v[6:7]
	s_delay_alu instid0(VALU_DEP_1) | instskip(NEXT) | instid1(VALU_DEP_1)
	v_fma_f64 v[34:35], -v[18:19], v[18:19], v[2:3]
	v_fmac_f64_e32 v[18:19], v[34:35], v[6:7]
	v_cndmask_b32_e64 v6, 0, 0xffffff80, vcc_lo
	v_cmp_class_f64_e64 vcc_lo, v[2:3], 0x260
	s_delay_alu instid0(VALU_DEP_2) | instskip(NEXT) | instid1(VALU_DEP_1)
	v_ldexp_f64 v[6:7], v[18:19], v6
	v_dual_cndmask_b32 v19, v7, v3 :: v_dual_cndmask_b32 v18, v6, v2
	s_delay_alu instid0(VALU_DEP_1) | instskip(NEXT) | instid1(VALU_DEP_1)
	v_add_f64_e32 v[2:3], v[18:19], v[18:19]
	v_div_scale_f64 v[6:7], null, v[2:3], v[2:3], v[4:5]
	s_delay_alu instid0(VALU_DEP_1) | instskip(SKIP_1) | instid1(TRANS32_DEP_1)
	v_rcp_f64_e32 v[34:35], v[6:7]
	v_nop
	v_fma_f64 v[36:37], -v[6:7], v[34:35], 1.0
	s_delay_alu instid0(VALU_DEP_1) | instskip(NEXT) | instid1(VALU_DEP_1)
	v_fmac_f64_e32 v[34:35], v[34:35], v[36:37]
	v_fma_f64 v[36:37], -v[6:7], v[34:35], 1.0
	s_delay_alu instid0(VALU_DEP_1) | instskip(SKIP_1) | instid1(VALU_DEP_1)
	v_fmac_f64_e32 v[34:35], v[34:35], v[36:37]
	v_div_scale_f64 v[36:37], vcc_lo, v[4:5], v[2:3], v[4:5]
	v_mul_f64_e32 v[38:39], v[36:37], v[34:35]
	s_delay_alu instid0(VALU_DEP_1) | instskip(NEXT) | instid1(VALU_DEP_1)
	v_fma_f64 v[6:7], -v[6:7], v[38:39], v[36:37]
	v_div_fmas_f64 v[6:7], v[6:7], v[34:35], v[38:39]
	s_delay_alu instid0(VALU_DEP_1)
	v_div_fixup_f64 v[4:5], v[6:7], v[2:3], v[4:5]
                                        ; implicit-def: $vgpr6_vgpr7
	s_and_not1_saveexec_b32 s5, s5
	s_cbranch_execz .LBB227_183
.LBB227_267:                            ;   in Loop: Header=BB227_137 Depth=1
	v_add_f64_e64 v[2:3], v[6:7], -v[2:3]
	s_delay_alu instid0(VALU_DEP_1) | instskip(NEXT) | instid1(VALU_DEP_1)
	v_mul_f64_e32 v[2:3], 0.5, v[2:3]
	v_cmp_gt_f64_e32 vcc_lo, 0x10000000, v[2:3]
	v_cndmask_b32_e64 v6, 0, 0x100, vcc_lo
	s_delay_alu instid0(VALU_DEP_1) | instskip(NEXT) | instid1(VALU_DEP_1)
	v_ldexp_f64 v[2:3], v[2:3], v6
	v_rsq_f64_e32 v[6:7], v[2:3]
	v_nop
	s_delay_alu instid0(TRANS32_DEP_1) | instskip(SKIP_1) | instid1(VALU_DEP_1)
	v_mul_f64_e32 v[18:19], v[2:3], v[6:7]
	v_mul_f64_e32 v[6:7], 0.5, v[6:7]
	v_fma_f64 v[34:35], -v[6:7], v[18:19], 0.5
	s_delay_alu instid0(VALU_DEP_1) | instskip(SKIP_1) | instid1(VALU_DEP_2)
	v_fmac_f64_e32 v[18:19], v[18:19], v[34:35]
	v_fmac_f64_e32 v[6:7], v[6:7], v[34:35]
	v_fma_f64 v[34:35], -v[18:19], v[18:19], v[2:3]
	s_delay_alu instid0(VALU_DEP_1) | instskip(NEXT) | instid1(VALU_DEP_1)
	v_fmac_f64_e32 v[18:19], v[34:35], v[6:7]
	v_fma_f64 v[34:35], -v[18:19], v[18:19], v[2:3]
	s_delay_alu instid0(VALU_DEP_1) | instskip(SKIP_2) | instid1(VALU_DEP_2)
	v_fmac_f64_e32 v[18:19], v[34:35], v[6:7]
	v_cndmask_b32_e64 v6, 0, 0xffffff80, vcc_lo
	v_cmp_class_f64_e64 vcc_lo, v[2:3], 0x260
	v_ldexp_f64 v[6:7], v[18:19], v6
	v_and_b32_e32 v19, 0x7fffffff, v5
	s_delay_alu instid0(VALU_DEP_2) | instskip(NEXT) | instid1(VALU_DEP_3)
	v_dual_mov_b32 v18, v4 :: v_dual_cndmask_b32 v3, v7, v3
	v_cndmask_b32_e32 v2, v6, v2, vcc_lo
	s_delay_alu instid0(VALU_DEP_1) | instskip(SKIP_1) | instid1(VALU_DEP_2)
	v_add_f64_e32 v[6:7], v[2:3], v[2:3]
	v_bfi_b32 v3, 0x7fffffff, v3, v5
	v_div_scale_f64 v[34:35], null, v[6:7], v[6:7], v[18:19]
	v_div_scale_f64 v[18:19], vcc_lo, v[18:19], v[6:7], v[18:19]
	s_delay_alu instid0(VALU_DEP_2) | instskip(SKIP_1) | instid1(TRANS32_DEP_1)
	v_rcp_f64_e32 v[36:37], v[34:35]
	v_nop
	v_fma_f64 v[38:39], -v[34:35], v[36:37], 1.0
	s_delay_alu instid0(VALU_DEP_1) | instskip(NEXT) | instid1(VALU_DEP_1)
	v_fmac_f64_e32 v[36:37], v[36:37], v[38:39]
	v_fma_f64 v[38:39], -v[34:35], v[36:37], 1.0
	s_delay_alu instid0(VALU_DEP_1) | instskip(NEXT) | instid1(VALU_DEP_1)
	v_fmac_f64_e32 v[36:37], v[36:37], v[38:39]
	v_mul_f64_e32 v[38:39], v[18:19], v[36:37]
	s_delay_alu instid0(VALU_DEP_1) | instskip(NEXT) | instid1(VALU_DEP_1)
	v_fma_f64 v[18:19], -v[34:35], v[38:39], v[18:19]
	v_div_fmas_f64 v[18:19], v[18:19], v[36:37], v[38:39]
	s_delay_alu instid0(VALU_DEP_1) | instskip(SKIP_3) | instid1(SALU_CYCLE_1)
	v_div_fixup_f64 v[18:19], v[18:19], v[6:7], |v[4:5]|
	v_mov_b64_e32 v[4:5], v[2:3]
	s_or_b32 exec_lo, exec_lo, s5
	s_and_saveexec_b32 s5, s4
	s_xor_b32 s4, exec_lo, s5
	s_cbranch_execz .LBB227_184
.LBB227_268:                            ;   in Loop: Header=BB227_137 Depth=1
	s_and_saveexec_b32 s5, s26
	s_cbranch_execz .LBB227_270
; %bb.269:                              ;   in Loop: Header=BB227_137 Depth=1
	s_delay_alu instid0(VALU_DEP_2) | instskip(NEXT) | instid1(VALU_DEP_2)
	v_mul_f64_e32 v[18:19], 0.5, v[18:19]
	v_mul_f64_e32 v[4:5], 0.5, v[4:5]
.LBB227_270:                            ;   in Loop: Header=BB227_137 Depth=1
	s_or_b32 exec_lo, exec_lo, s5
	s_and_not1_saveexec_b32 s4, s4
	s_cbranch_execnz .LBB227_185
	s_branch .LBB227_186
.LBB227_271:                            ;   in Loop: Header=BB227_137 Depth=1
	s_delay_alu instid0(VALU_DEP_1) | instskip(NEXT) | instid1(VALU_DEP_1)
	v_add_f64_e32 v[6:7], v[14:15], v[34:35]
	v_mul_f64_e32 v[6:7], 0.5, v[6:7]
	s_delay_alu instid0(VALU_DEP_1) | instskip(SKIP_1) | instid1(VALU_DEP_1)
	v_cmp_gt_f64_e32 vcc_lo, 0x10000000, v[6:7]
	v_cndmask_b32_e64 v14, 0, 0x100, vcc_lo
	v_ldexp_f64 v[6:7], v[6:7], v14
	s_delay_alu instid0(VALU_DEP_1) | instskip(SKIP_1) | instid1(TRANS32_DEP_1)
	v_rsq_f64_e32 v[14:15], v[6:7]
	v_nop
	v_mul_f64_e32 v[34:35], v[6:7], v[14:15]
	v_mul_f64_e32 v[14:15], 0.5, v[14:15]
	s_delay_alu instid0(VALU_DEP_1) | instskip(NEXT) | instid1(VALU_DEP_1)
	v_fma_f64 v[36:37], -v[14:15], v[34:35], 0.5
	v_fmac_f64_e32 v[34:35], v[34:35], v[36:37]
	v_fmac_f64_e32 v[14:15], v[14:15], v[36:37]
	s_delay_alu instid0(VALU_DEP_2) | instskip(NEXT) | instid1(VALU_DEP_1)
	v_fma_f64 v[36:37], -v[34:35], v[34:35], v[6:7]
	v_fmac_f64_e32 v[34:35], v[36:37], v[14:15]
	s_delay_alu instid0(VALU_DEP_1) | instskip(NEXT) | instid1(VALU_DEP_1)
	v_fma_f64 v[36:37], -v[34:35], v[34:35], v[6:7]
	v_fmac_f64_e32 v[34:35], v[36:37], v[14:15]
	v_cndmask_b32_e64 v14, 0, 0xffffff80, vcc_lo
	v_cmp_class_f64_e64 vcc_lo, v[6:7], 0x260
	s_delay_alu instid0(VALU_DEP_2) | instskip(NEXT) | instid1(VALU_DEP_1)
	v_ldexp_f64 v[14:15], v[34:35], v14
	v_dual_cndmask_b32 v7, v15, v7 :: v_dual_cndmask_b32 v6, v14, v6
	s_delay_alu instid0(VALU_DEP_1) | instskip(NEXT) | instid1(VALU_DEP_1)
	v_add_f64_e32 v[14:15], v[6:7], v[6:7]
	v_div_scale_f64 v[34:35], null, v[14:15], v[14:15], v[16:17]
	s_delay_alu instid0(VALU_DEP_1) | instskip(SKIP_1) | instid1(TRANS32_DEP_1)
	v_rcp_f64_e32 v[36:37], v[34:35]
	v_nop
	v_fma_f64 v[38:39], -v[34:35], v[36:37], 1.0
	s_delay_alu instid0(VALU_DEP_1) | instskip(NEXT) | instid1(VALU_DEP_1)
	v_fmac_f64_e32 v[36:37], v[36:37], v[38:39]
	v_fma_f64 v[38:39], -v[34:35], v[36:37], 1.0
	s_delay_alu instid0(VALU_DEP_1) | instskip(SKIP_1) | instid1(VALU_DEP_1)
	v_fmac_f64_e32 v[36:37], v[36:37], v[38:39]
	v_div_scale_f64 v[38:39], vcc_lo, v[16:17], v[14:15], v[16:17]
	v_mul_f64_e32 v[40:41], v[38:39], v[36:37]
	s_delay_alu instid0(VALU_DEP_1) | instskip(NEXT) | instid1(VALU_DEP_1)
	v_fma_f64 v[34:35], -v[34:35], v[40:41], v[38:39]
	v_div_fmas_f64 v[34:35], v[34:35], v[36:37], v[40:41]
	s_delay_alu instid0(VALU_DEP_1)
	v_div_fixup_f64 v[16:17], v[34:35], v[14:15], v[16:17]
                                        ; implicit-def: $vgpr34_vgpr35
	s_and_not1_saveexec_b32 s5, s5
	s_cbranch_execz .LBB227_210
.LBB227_272:                            ;   in Loop: Header=BB227_137 Depth=1
	v_add_f64_e64 v[6:7], v[34:35], -v[14:15]
	s_delay_alu instid0(VALU_DEP_1) | instskip(NEXT) | instid1(VALU_DEP_1)
	v_mul_f64_e32 v[6:7], 0.5, v[6:7]
	v_cmp_gt_f64_e32 vcc_lo, 0x10000000, v[6:7]
	v_cndmask_b32_e64 v14, 0, 0x100, vcc_lo
	s_delay_alu instid0(VALU_DEP_1) | instskip(NEXT) | instid1(VALU_DEP_1)
	v_ldexp_f64 v[6:7], v[6:7], v14
	v_rsq_f64_e32 v[14:15], v[6:7]
	v_nop
	s_delay_alu instid0(TRANS32_DEP_1) | instskip(SKIP_1) | instid1(VALU_DEP_1)
	v_mul_f64_e32 v[34:35], v[6:7], v[14:15]
	v_mul_f64_e32 v[14:15], 0.5, v[14:15]
	v_fma_f64 v[36:37], -v[14:15], v[34:35], 0.5
	s_delay_alu instid0(VALU_DEP_1) | instskip(SKIP_1) | instid1(VALU_DEP_2)
	v_fmac_f64_e32 v[34:35], v[34:35], v[36:37]
	v_fmac_f64_e32 v[14:15], v[14:15], v[36:37]
	v_fma_f64 v[36:37], -v[34:35], v[34:35], v[6:7]
	s_delay_alu instid0(VALU_DEP_1) | instskip(NEXT) | instid1(VALU_DEP_1)
	v_fmac_f64_e32 v[34:35], v[36:37], v[14:15]
	v_fma_f64 v[36:37], -v[34:35], v[34:35], v[6:7]
	s_delay_alu instid0(VALU_DEP_1) | instskip(SKIP_2) | instid1(VALU_DEP_2)
	v_fmac_f64_e32 v[34:35], v[36:37], v[14:15]
	v_cndmask_b32_e64 v14, 0, 0xffffff80, vcc_lo
	v_cmp_class_f64_e64 vcc_lo, v[6:7], 0x260
	v_ldexp_f64 v[14:15], v[34:35], v14
	v_and_b32_e32 v35, 0x7fffffff, v17
	s_delay_alu instid0(VALU_DEP_2) | instskip(NEXT) | instid1(VALU_DEP_3)
	v_dual_mov_b32 v34, v16 :: v_dual_cndmask_b32 v15, v15, v7
	v_cndmask_b32_e32 v14, v14, v6, vcc_lo
	s_delay_alu instid0(VALU_DEP_1) | instskip(SKIP_1) | instid1(VALU_DEP_2)
	v_add_f64_e32 v[6:7], v[14:15], v[14:15]
	v_bfi_b32 v15, 0x7fffffff, v15, v17
	v_div_scale_f64 v[36:37], null, v[6:7], v[6:7], v[34:35]
	v_div_scale_f64 v[34:35], vcc_lo, v[34:35], v[6:7], v[34:35]
	s_delay_alu instid0(VALU_DEP_2) | instskip(SKIP_1) | instid1(TRANS32_DEP_1)
	v_rcp_f64_e32 v[38:39], v[36:37]
	v_nop
	v_fma_f64 v[40:41], -v[36:37], v[38:39], 1.0
	s_delay_alu instid0(VALU_DEP_1) | instskip(NEXT) | instid1(VALU_DEP_1)
	v_fmac_f64_e32 v[38:39], v[38:39], v[40:41]
	v_fma_f64 v[40:41], -v[36:37], v[38:39], 1.0
	s_delay_alu instid0(VALU_DEP_1) | instskip(NEXT) | instid1(VALU_DEP_1)
	v_fmac_f64_e32 v[38:39], v[38:39], v[40:41]
	v_mul_f64_e32 v[40:41], v[34:35], v[38:39]
	s_delay_alu instid0(VALU_DEP_1) | instskip(NEXT) | instid1(VALU_DEP_1)
	v_fma_f64 v[34:35], -v[36:37], v[40:41], v[34:35]
	v_div_fmas_f64 v[34:35], v[34:35], v[38:39], v[40:41]
	s_delay_alu instid0(VALU_DEP_1) | instskip(SKIP_3) | instid1(SALU_CYCLE_1)
	v_div_fixup_f64 v[6:7], v[34:35], v[6:7], |v[16:17]|
	v_mov_b64_e32 v[16:17], v[14:15]
	s_or_b32 exec_lo, exec_lo, s5
	s_and_saveexec_b32 s5, s4
	s_xor_b32 s4, exec_lo, s5
	s_cbranch_execz .LBB227_211
.LBB227_273:                            ;   in Loop: Header=BB227_137 Depth=1
	s_and_saveexec_b32 s5, s26
	s_cbranch_execz .LBB227_275
; %bb.274:                              ;   in Loop: Header=BB227_137 Depth=1
	s_delay_alu instid0(VALU_DEP_2) | instskip(NEXT) | instid1(VALU_DEP_2)
	v_mul_f64_e32 v[6:7], 0.5, v[6:7]
	v_mul_f64_e32 v[16:17], 0.5, v[16:17]
.LBB227_275:                            ;   in Loop: Header=BB227_137 Depth=1
	s_or_b32 exec_lo, exec_lo, s5
	s_and_not1_saveexec_b32 s4, s4
	s_cbranch_execnz .LBB227_212
	s_branch .LBB227_213
.LBB227_276:                            ;   in Loop: Header=BB227_137 Depth=1
	s_delay_alu instid0(VALU_DEP_1) | instskip(NEXT) | instid1(VALU_DEP_1)
	v_add_f64_e32 v[2:3], v[10:11], v[14:15]
	v_mul_f64_e32 v[2:3], 0.5, v[2:3]
	s_delay_alu instid0(VALU_DEP_1) | instskip(SKIP_1) | instid1(VALU_DEP_1)
	v_cmp_gt_f64_e32 vcc_lo, 0x10000000, v[2:3]
	v_cndmask_b32_e64 v10, 0, 0x100, vcc_lo
	v_ldexp_f64 v[2:3], v[2:3], v10
	s_delay_alu instid0(VALU_DEP_1) | instskip(SKIP_1) | instid1(TRANS32_DEP_1)
	v_rsq_f64_e32 v[10:11], v[2:3]
	v_nop
	v_mul_f64_e32 v[14:15], v[2:3], v[10:11]
	v_mul_f64_e32 v[10:11], 0.5, v[10:11]
	s_delay_alu instid0(VALU_DEP_1) | instskip(NEXT) | instid1(VALU_DEP_1)
	v_fma_f64 v[34:35], -v[10:11], v[14:15], 0.5
	v_fmac_f64_e32 v[14:15], v[14:15], v[34:35]
	v_fmac_f64_e32 v[10:11], v[10:11], v[34:35]
	s_delay_alu instid0(VALU_DEP_2) | instskip(NEXT) | instid1(VALU_DEP_1)
	v_fma_f64 v[34:35], -v[14:15], v[14:15], v[2:3]
	v_fmac_f64_e32 v[14:15], v[34:35], v[10:11]
	s_delay_alu instid0(VALU_DEP_1) | instskip(NEXT) | instid1(VALU_DEP_1)
	v_fma_f64 v[34:35], -v[14:15], v[14:15], v[2:3]
	v_fmac_f64_e32 v[14:15], v[34:35], v[10:11]
	v_cndmask_b32_e64 v10, 0, 0xffffff80, vcc_lo
	v_cmp_class_f64_e64 vcc_lo, v[2:3], 0x260
	s_delay_alu instid0(VALU_DEP_2) | instskip(NEXT) | instid1(VALU_DEP_1)
	v_ldexp_f64 v[10:11], v[14:15], v10
	v_dual_cndmask_b32 v3, v11, v3 :: v_dual_cndmask_b32 v2, v10, v2
	s_delay_alu instid0(VALU_DEP_1) | instskip(NEXT) | instid1(VALU_DEP_1)
	v_add_f64_e32 v[10:11], v[2:3], v[2:3]
	v_div_scale_f64 v[14:15], null, v[10:11], v[10:11], v[12:13]
	s_delay_alu instid0(VALU_DEP_1) | instskip(SKIP_1) | instid1(TRANS32_DEP_1)
	v_rcp_f64_e32 v[34:35], v[14:15]
	v_nop
	v_fma_f64 v[36:37], -v[14:15], v[34:35], 1.0
	s_delay_alu instid0(VALU_DEP_1) | instskip(NEXT) | instid1(VALU_DEP_1)
	v_fmac_f64_e32 v[34:35], v[34:35], v[36:37]
	v_fma_f64 v[36:37], -v[14:15], v[34:35], 1.0
	s_delay_alu instid0(VALU_DEP_1) | instskip(SKIP_1) | instid1(VALU_DEP_1)
	v_fmac_f64_e32 v[34:35], v[34:35], v[36:37]
	v_div_scale_f64 v[36:37], vcc_lo, v[12:13], v[10:11], v[12:13]
	v_mul_f64_e32 v[38:39], v[36:37], v[34:35]
	s_delay_alu instid0(VALU_DEP_1) | instskip(NEXT) | instid1(VALU_DEP_1)
	v_fma_f64 v[14:15], -v[14:15], v[38:39], v[36:37]
	v_div_fmas_f64 v[14:15], v[14:15], v[34:35], v[38:39]
	s_delay_alu instid0(VALU_DEP_1)
	v_div_fixup_f64 v[12:13], v[14:15], v[10:11], v[12:13]
                                        ; implicit-def: $vgpr14_vgpr15
	s_and_not1_saveexec_b32 s5, s5
	s_cbranch_execz .LBB227_241
.LBB227_277:                            ;   in Loop: Header=BB227_137 Depth=1
	v_add_f64_e64 v[2:3], v[14:15], -v[10:11]
	s_delay_alu instid0(VALU_DEP_1) | instskip(NEXT) | instid1(VALU_DEP_1)
	v_mul_f64_e32 v[2:3], 0.5, v[2:3]
	v_cmp_gt_f64_e32 vcc_lo, 0x10000000, v[2:3]
	v_cndmask_b32_e64 v10, 0, 0x100, vcc_lo
	s_delay_alu instid0(VALU_DEP_1) | instskip(NEXT) | instid1(VALU_DEP_1)
	v_ldexp_f64 v[2:3], v[2:3], v10
	v_rsq_f64_e32 v[10:11], v[2:3]
	v_nop
	s_delay_alu instid0(TRANS32_DEP_1) | instskip(SKIP_1) | instid1(VALU_DEP_1)
	v_mul_f64_e32 v[14:15], v[2:3], v[10:11]
	v_mul_f64_e32 v[10:11], 0.5, v[10:11]
	v_fma_f64 v[34:35], -v[10:11], v[14:15], 0.5
	s_delay_alu instid0(VALU_DEP_1) | instskip(SKIP_1) | instid1(VALU_DEP_2)
	v_fmac_f64_e32 v[14:15], v[14:15], v[34:35]
	v_fmac_f64_e32 v[10:11], v[10:11], v[34:35]
	v_fma_f64 v[34:35], -v[14:15], v[14:15], v[2:3]
	s_delay_alu instid0(VALU_DEP_1) | instskip(NEXT) | instid1(VALU_DEP_1)
	v_fmac_f64_e32 v[14:15], v[34:35], v[10:11]
	v_fma_f64 v[34:35], -v[14:15], v[14:15], v[2:3]
	s_delay_alu instid0(VALU_DEP_1) | instskip(SKIP_2) | instid1(VALU_DEP_2)
	v_fmac_f64_e32 v[14:15], v[34:35], v[10:11]
	v_cndmask_b32_e64 v10, 0, 0xffffff80, vcc_lo
	v_cmp_class_f64_e64 vcc_lo, v[2:3], 0x260
	v_ldexp_f64 v[10:11], v[14:15], v10
	v_and_b32_e32 v15, 0x7fffffff, v13
	s_delay_alu instid0(VALU_DEP_2) | instskip(NEXT) | instid1(VALU_DEP_3)
	v_dual_mov_b32 v14, v12 :: v_dual_cndmask_b32 v11, v11, v3
	v_cndmask_b32_e32 v10, v10, v2, vcc_lo
	s_delay_alu instid0(VALU_DEP_1) | instskip(SKIP_1) | instid1(VALU_DEP_2)
	v_add_f64_e32 v[2:3], v[10:11], v[10:11]
	v_bfi_b32 v11, 0x7fffffff, v11, v13
	v_div_scale_f64 v[34:35], null, v[2:3], v[2:3], v[14:15]
	v_div_scale_f64 v[14:15], vcc_lo, v[14:15], v[2:3], v[14:15]
	s_delay_alu instid0(VALU_DEP_2) | instskip(SKIP_1) | instid1(TRANS32_DEP_1)
	v_rcp_f64_e32 v[36:37], v[34:35]
	v_nop
	v_fma_f64 v[38:39], -v[34:35], v[36:37], 1.0
	s_delay_alu instid0(VALU_DEP_1) | instskip(NEXT) | instid1(VALU_DEP_1)
	v_fmac_f64_e32 v[36:37], v[36:37], v[38:39]
	v_fma_f64 v[38:39], -v[34:35], v[36:37], 1.0
	s_delay_alu instid0(VALU_DEP_1) | instskip(NEXT) | instid1(VALU_DEP_1)
	v_fmac_f64_e32 v[36:37], v[36:37], v[38:39]
	v_mul_f64_e32 v[38:39], v[14:15], v[36:37]
	s_delay_alu instid0(VALU_DEP_1) | instskip(NEXT) | instid1(VALU_DEP_1)
	v_fma_f64 v[14:15], -v[34:35], v[38:39], v[14:15]
	v_div_fmas_f64 v[14:15], v[14:15], v[36:37], v[38:39]
	s_delay_alu instid0(VALU_DEP_1) | instskip(SKIP_3) | instid1(SALU_CYCLE_1)
	v_div_fixup_f64 v[2:3], v[14:15], v[2:3], |v[12:13]|
	v_mov_b64_e32 v[12:13], v[10:11]
	s_or_b32 exec_lo, exec_lo, s5
	s_and_saveexec_b32 s5, s4
	s_xor_b32 s4, exec_lo, s5
	s_cbranch_execz .LBB227_242
.LBB227_278:                            ;   in Loop: Header=BB227_137 Depth=1
	s_and_saveexec_b32 s5, s26
	s_cbranch_execz .LBB227_280
; %bb.279:                              ;   in Loop: Header=BB227_137 Depth=1
	s_delay_alu instid0(VALU_DEP_2) | instskip(NEXT) | instid1(VALU_DEP_2)
	v_mul_f64_e32 v[2:3], 0.5, v[2:3]
	v_mul_f64_e32 v[12:13], 0.5, v[12:13]
.LBB227_280:                            ;   in Loop: Header=BB227_137 Depth=1
	s_or_b32 exec_lo, exec_lo, s5
	s_and_not1_saveexec_b32 s4, s4
	s_cbranch_execnz .LBB227_243
	s_branch .LBB227_244
.LBB227_281:
	s_endpgm
	.section	.rodata,"a",@progbits
	.p2align	6, 0x0
	.amdhsa_kernel _ZN2at6native12_GLOBAL__N_125multi_tensor_apply_kernelINS1_18TensorListMetadataILi2EEENS1_14UnaryOpFunctorIN3c107complexIdEELi2ELi1ELi1EEEJNS0_4SqrtIS8_EEEEEvT_T0_DpT1_
		.amdhsa_group_segment_fixed_size 0
		.amdhsa_private_segment_fixed_size 0
		.amdhsa_kernarg_size 3408
		.amdhsa_user_sgpr_count 2
		.amdhsa_user_sgpr_dispatch_ptr 0
		.amdhsa_user_sgpr_queue_ptr 0
		.amdhsa_user_sgpr_kernarg_segment_ptr 1
		.amdhsa_user_sgpr_dispatch_id 0
		.amdhsa_user_sgpr_kernarg_preload_length 0
		.amdhsa_user_sgpr_kernarg_preload_offset 0
		.amdhsa_user_sgpr_private_segment_size 0
		.amdhsa_wavefront_size32 1
		.amdhsa_uses_dynamic_stack 0
		.amdhsa_enable_private_segment 0
		.amdhsa_system_sgpr_workgroup_id_x 1
		.amdhsa_system_sgpr_workgroup_id_y 0
		.amdhsa_system_sgpr_workgroup_id_z 0
		.amdhsa_system_sgpr_workgroup_info 0
		.amdhsa_system_vgpr_workitem_id 0
		.amdhsa_next_free_vgpr 42
		.amdhsa_next_free_sgpr 29
		.amdhsa_named_barrier_count 0
		.amdhsa_reserve_vcc 1
		.amdhsa_float_round_mode_32 0
		.amdhsa_float_round_mode_16_64 0
		.amdhsa_float_denorm_mode_32 3
		.amdhsa_float_denorm_mode_16_64 3
		.amdhsa_fp16_overflow 0
		.amdhsa_memory_ordered 1
		.amdhsa_forward_progress 1
		.amdhsa_inst_pref_size 97
		.amdhsa_round_robin_scheduling 0
		.amdhsa_exception_fp_ieee_invalid_op 0
		.amdhsa_exception_fp_denorm_src 0
		.amdhsa_exception_fp_ieee_div_zero 0
		.amdhsa_exception_fp_ieee_overflow 0
		.amdhsa_exception_fp_ieee_underflow 0
		.amdhsa_exception_fp_ieee_inexact 0
		.amdhsa_exception_int_div_zero 0
	.end_amdhsa_kernel
	.section	.text._ZN2at6native12_GLOBAL__N_125multi_tensor_apply_kernelINS1_18TensorListMetadataILi2EEENS1_14UnaryOpFunctorIN3c107complexIdEELi2ELi1ELi1EEEJNS0_4SqrtIS8_EEEEEvT_T0_DpT1_,"axG",@progbits,_ZN2at6native12_GLOBAL__N_125multi_tensor_apply_kernelINS1_18TensorListMetadataILi2EEENS1_14UnaryOpFunctorIN3c107complexIdEELi2ELi1ELi1EEEJNS0_4SqrtIS8_EEEEEvT_T0_DpT1_,comdat
.Lfunc_end227:
	.size	_ZN2at6native12_GLOBAL__N_125multi_tensor_apply_kernelINS1_18TensorListMetadataILi2EEENS1_14UnaryOpFunctorIN3c107complexIdEELi2ELi1ELi1EEEJNS0_4SqrtIS8_EEEEEvT_T0_DpT1_, .Lfunc_end227-_ZN2at6native12_GLOBAL__N_125multi_tensor_apply_kernelINS1_18TensorListMetadataILi2EEENS1_14UnaryOpFunctorIN3c107complexIdEELi2ELi1ELi1EEEJNS0_4SqrtIS8_EEEEEvT_T0_DpT1_
                                        ; -- End function
	.set _ZN2at6native12_GLOBAL__N_125multi_tensor_apply_kernelINS1_18TensorListMetadataILi2EEENS1_14UnaryOpFunctorIN3c107complexIdEELi2ELi1ELi1EEEJNS0_4SqrtIS8_EEEEEvT_T0_DpT1_.num_vgpr, 42
	.set _ZN2at6native12_GLOBAL__N_125multi_tensor_apply_kernelINS1_18TensorListMetadataILi2EEENS1_14UnaryOpFunctorIN3c107complexIdEELi2ELi1ELi1EEEJNS0_4SqrtIS8_EEEEEvT_T0_DpT1_.num_agpr, 0
	.set _ZN2at6native12_GLOBAL__N_125multi_tensor_apply_kernelINS1_18TensorListMetadataILi2EEENS1_14UnaryOpFunctorIN3c107complexIdEELi2ELi1ELi1EEEJNS0_4SqrtIS8_EEEEEvT_T0_DpT1_.numbered_sgpr, 29
	.set _ZN2at6native12_GLOBAL__N_125multi_tensor_apply_kernelINS1_18TensorListMetadataILi2EEENS1_14UnaryOpFunctorIN3c107complexIdEELi2ELi1ELi1EEEJNS0_4SqrtIS8_EEEEEvT_T0_DpT1_.num_named_barrier, 0
	.set _ZN2at6native12_GLOBAL__N_125multi_tensor_apply_kernelINS1_18TensorListMetadataILi2EEENS1_14UnaryOpFunctorIN3c107complexIdEELi2ELi1ELi1EEEJNS0_4SqrtIS8_EEEEEvT_T0_DpT1_.private_seg_size, 0
	.set _ZN2at6native12_GLOBAL__N_125multi_tensor_apply_kernelINS1_18TensorListMetadataILi2EEENS1_14UnaryOpFunctorIN3c107complexIdEELi2ELi1ELi1EEEJNS0_4SqrtIS8_EEEEEvT_T0_DpT1_.uses_vcc, 1
	.set _ZN2at6native12_GLOBAL__N_125multi_tensor_apply_kernelINS1_18TensorListMetadataILi2EEENS1_14UnaryOpFunctorIN3c107complexIdEELi2ELi1ELi1EEEJNS0_4SqrtIS8_EEEEEvT_T0_DpT1_.uses_flat_scratch, 0
	.set _ZN2at6native12_GLOBAL__N_125multi_tensor_apply_kernelINS1_18TensorListMetadataILi2EEENS1_14UnaryOpFunctorIN3c107complexIdEELi2ELi1ELi1EEEJNS0_4SqrtIS8_EEEEEvT_T0_DpT1_.has_dyn_sized_stack, 0
	.set _ZN2at6native12_GLOBAL__N_125multi_tensor_apply_kernelINS1_18TensorListMetadataILi2EEENS1_14UnaryOpFunctorIN3c107complexIdEELi2ELi1ELi1EEEJNS0_4SqrtIS8_EEEEEvT_T0_DpT1_.has_recursion, 0
	.set _ZN2at6native12_GLOBAL__N_125multi_tensor_apply_kernelINS1_18TensorListMetadataILi2EEENS1_14UnaryOpFunctorIN3c107complexIdEELi2ELi1ELi1EEEJNS0_4SqrtIS8_EEEEEvT_T0_DpT1_.has_indirect_call, 0
	.section	.AMDGPU.csdata,"",@progbits
; Kernel info:
; codeLenInByte = 12304
; TotalNumSgprs: 31
; NumVgprs: 42
; ScratchSize: 0
; MemoryBound: 1
; FloatMode: 240
; IeeeMode: 1
; LDSByteSize: 0 bytes/workgroup (compile time only)
; SGPRBlocks: 0
; VGPRBlocks: 2
; NumSGPRsForWavesPerEU: 31
; NumVGPRsForWavesPerEU: 42
; NamedBarCnt: 0
; Occupancy: 16
; WaveLimiterHint : 0
; COMPUTE_PGM_RSRC2:SCRATCH_EN: 0
; COMPUTE_PGM_RSRC2:USER_SGPR: 2
; COMPUTE_PGM_RSRC2:TRAP_HANDLER: 0
; COMPUTE_PGM_RSRC2:TGID_X_EN: 1
; COMPUTE_PGM_RSRC2:TGID_Y_EN: 0
; COMPUTE_PGM_RSRC2:TGID_Z_EN: 0
; COMPUTE_PGM_RSRC2:TIDIG_COMP_CNT: 0
	.section	.text._ZN2at6native12_GLOBAL__N_125multi_tensor_apply_kernelINS1_18TensorListMetadataILi2EEENS1_14UnaryOpFunctorIN3c107complexIfEELi2ELi1ELi1EEEJNS0_4SqrtIS8_EEEEEvT_T0_DpT1_,"axG",@progbits,_ZN2at6native12_GLOBAL__N_125multi_tensor_apply_kernelINS1_18TensorListMetadataILi2EEENS1_14UnaryOpFunctorIN3c107complexIfEELi2ELi1ELi1EEEJNS0_4SqrtIS8_EEEEEvT_T0_DpT1_,comdat
	.globl	_ZN2at6native12_GLOBAL__N_125multi_tensor_apply_kernelINS1_18TensorListMetadataILi2EEENS1_14UnaryOpFunctorIN3c107complexIfEELi2ELi1ELi1EEEJNS0_4SqrtIS8_EEEEEvT_T0_DpT1_ ; -- Begin function _ZN2at6native12_GLOBAL__N_125multi_tensor_apply_kernelINS1_18TensorListMetadataILi2EEENS1_14UnaryOpFunctorIN3c107complexIfEELi2ELi1ELi1EEEJNS0_4SqrtIS8_EEEEEvT_T0_DpT1_
	.p2align	8
	.type	_ZN2at6native12_GLOBAL__N_125multi_tensor_apply_kernelINS1_18TensorListMetadataILi2EEENS1_14UnaryOpFunctorIN3c107complexIfEELi2ELi1ELi1EEEJNS0_4SqrtIS8_EEEEEvT_T0_DpT1_,@function
_ZN2at6native12_GLOBAL__N_125multi_tensor_apply_kernelINS1_18TensorListMetadataILi2EEENS1_14UnaryOpFunctorIN3c107complexIfEELi2ELi1ELi1EEEJNS0_4SqrtIS8_EEEEEvT_T0_DpT1_: ; @_ZN2at6native12_GLOBAL__N_125multi_tensor_apply_kernelINS1_18TensorListMetadataILi2EEENS1_14UnaryOpFunctorIN3c107complexIfEELi2ELi1ELi1EEEJNS0_4SqrtIS8_EEEEEvT_T0_DpT1_
; %bb.0:
	s_bfe_u32 s2, ttmp6, 0x4000c
	s_and_b32 s3, ttmp6, 15
	s_add_co_i32 s2, s2, 1
	s_getreg_b32 s4, hwreg(HW_REG_IB_STS2, 6, 4)
	s_mul_i32 s2, ttmp9, s2
	s_mov_b32 s5, 0
	s_add_co_i32 s3, s3, s2
	s_cmp_eq_u32 s4, 0
	s_mov_b32 s19, s5
	s_cselect_b32 s4, ttmp9, s3
	s_load_u8 s8, s[0:1], s4 offset:0x600
	s_add_nc_u64 s[2:3], s[0:1], s[4:5]
	s_mul_u64 s[6:7], s[4:5], 3
	s_delay_alu instid0(SALU_CYCLE_1)
	s_add_nc_u64 s[2:3], s[2:3], s[6:7]
	s_load_b32 s14, s[2:3], 0x740
	s_wait_kmcnt 0x0
	s_clause 0x2
	s_load_b64 s[10:11], s[0:1], s8 offset:0x0 scale_offset
	s_load_b64 s[12:13], s[0:1], s8 offset:0x200 scale_offset
	;; [unrolled: 1-line block ×3, first 2 shown]
	s_ashr_i32 s15, s14, 31
	s_delay_alu instid0(SALU_CYCLE_1)
	s_lshl_b64 s[2:3], s[14:15], 19
	s_wait_kmcnt 0x0
	s_and_b32 s18, s16, 3
	s_add_nc_u64 s[8:9], s[12:13], s[2:3]
	s_add_nc_u64 s[6:7], s[10:11], s[2:3]
	s_and_b64 s[20:21], s[8:9], 31
	s_and_b32 s4, s6, 31
	s_or_b64 s[18:19], s[20:21], s[18:19]
	s_lshl_b64 s[14:15], s[14:15], 16
	s_or_b64 s[18:19], s[18:19], s[4:5]
	s_sub_nc_u64 s[4:5], s[16:17], s[14:15]
	s_cmp_eq_u64 s[18:19], 0
	s_mov_b32 s14, -1
	s_cbranch_scc0 .LBB228_125
; %bb.1:
	v_min_i64 v[14:15], 0x10000, s[4:5]
	v_dual_mov_b32 v3, 0 :: v_dual_lshlrev_b32 v2, 2, v0
	s_mov_b32 s17, exec_lo
	s_delay_alu instid0(VALU_DEP_1)
	v_cmpx_lt_i64_e64 v[2:3], v[14:15]
	s_cbranch_execz .LBB228_124
; %bb.2:
	s_load_b32 s14, s[0:1], 0xc5c
	v_dual_mov_b32 v1, v3 :: v_dual_lshlrev_b32 v2, 5, v0
	s_mov_b32 s15, 0
	s_mov_b32 s16, 0x3e800000
	s_mov_b32 s19, s15
	s_delay_alu instid0(VALU_DEP_1) | instskip(SKIP_4) | instid1(SALU_CYCLE_1)
	v_add_nc_u64_e32 v[16:17], s[2:3], v[2:3]
	v_mov_b64_e32 v[18:19], v[0:1]
	s_mov_b32 s20, s15
	s_wait_kmcnt 0x0
	s_and_b32 s14, s14, 0xffff
	s_lshl_b32 s18, s14, 5
	s_branch .LBB228_6
.LBB228_3:                              ;   in Loop: Header=BB228_6 Depth=1
	s_or_b32 exec_lo, exec_lo, s2
.LBB228_4:                              ;   in Loop: Header=BB228_6 Depth=1
	s_delay_alu instid0(SALU_CYCLE_1)
	s_or_b32 exec_lo, exec_lo, s22
.LBB228_5:                              ;   in Loop: Header=BB228_6 Depth=1
	s_delay_alu instid0(SALU_CYCLE_1) | instskip(SKIP_2) | instid1(VALU_DEP_2)
	s_or_b32 exec_lo, exec_lo, s21
	v_add_nc_u64_e32 v[18:19], s[14:15], v[18:19]
	v_dual_mov_b32 v5, v13 :: v_dual_mov_b32 v13, v9
	v_lshlrev_b64_e32 v[6:7], 2, v[18:19]
	s_delay_alu instid0(VALU_DEP_1)
	v_cmp_ge_i64_e32 vcc_lo, v[6:7], v[14:15]
	v_add_nc_u64_e32 v[6:7], s[12:13], v[16:17]
	v_add_nc_u64_e32 v[16:17], s[18:19], v[16:17]
	s_clause 0x1
	global_store_b128 v[6:7], v[2:5], off
	global_store_b128 v[6:7], v[10:13], off offset:16
	s_or_b32 s20, vcc_lo, s20
	s_wait_xcnt 0x0
	s_and_not1_b32 exec_lo, exec_lo, s20
	s_cbranch_execz .LBB228_124
.LBB228_6:                              ; =>This Inner Loop Header: Depth=1
	v_add_nc_u64_e32 v[2:3], s[10:11], v[16:17]
	v_mov_b32_e32 v4, 0
	s_clause 0x1
	global_load_b128 v[10:13], v[2:3], off
	global_load_b128 v[6:9], v[2:3], off offset:16
	s_wait_xcnt 0x0
	v_mov_b32_e32 v2, 0
	s_wait_loadcnt 0x1
	v_cmp_neq_f32_e32 vcc_lo, 0, v10
	v_cmp_neq_f32_e64 s2, 0, v11
	v_mov_b32_e32 v3, v11
	s_or_b32 s2, vcc_lo, s2
	s_delay_alu instid0(SALU_CYCLE_1)
	s_and_saveexec_b32 s21, s2
	s_cbranch_execz .LBB228_35
; %bb.7:                                ;   in Loop: Header=BB228_6 Depth=1
	v_dual_mov_b32 v2, 0x7f800000 :: v_dual_mov_b32 v3, v11
	s_mov_b32 s22, exec_lo
	v_cmpx_neq_f32_e64 0x7f800000, |v11|
	s_cbranch_execz .LBB228_34
; %bb.8:                                ;   in Loop: Header=BB228_6 Depth=1
	s_mov_b32 s2, exec_lo
	v_cmpx_o_f32_e32 v10, v10
	s_xor_b32 s23, exec_lo, s2
	s_cbranch_execz .LBB228_31
; %bb.9:                                ;   in Loop: Header=BB228_6 Depth=1
	s_mov_b32 s3, exec_lo
	v_cmpx_neq_f32_e64 0x7f800000, |v10|
	s_xor_b32 s24, exec_lo, s3
	s_cbranch_execz .LBB228_25
; %bb.10:                               ;   in Loop: Header=BB228_6 Depth=1
	v_max_num_f32_e64 v1, |v11|, |v11|
	v_max_num_f32_e64 v2, |v10|, |v10|
                                        ; implicit-def: $sgpr25
	s_delay_alu instid0(VALU_DEP_1) | instskip(NEXT) | instid1(VALU_DEP_1)
	v_max_num_f32_e32 v1, v2, v1
                                        ; implicit-def: $vgpr2_vgpr3
	v_cmp_nle_f32_e64 s2, 0x7ed413cb, v1
	s_and_saveexec_b32 s3, s2
	s_delay_alu instid0(SALU_CYCLE_1)
	s_xor_b32 s3, exec_lo, s3
	s_cbranch_execz .LBB228_14
; %bb.11:                               ;   in Loop: Header=BB228_6 Depth=1
	v_cmp_ge_f32_e64 s25, 0x1000000, |v10|
	v_cmp_ge_f32_e64 s26, 0x1000000, |v11|
	v_mov_b64_e32 v[2:3], v[10:11]
	s_and_b32 s27, s25, s26
	s_mov_b32 s25, 0
	s_and_saveexec_b32 s26, s27
; %bb.12:                               ;   in Loop: Header=BB228_6 Depth=1
	v_pk_mul_f32 v[2:3], v[10:11], 4.0 op_sel_hi:[1,0]
	s_mov_b32 s25, exec_lo
; %bb.13:                               ;   in Loop: Header=BB228_6 Depth=1
	s_or_b32 exec_lo, exec_lo, s26
.LBB228_14:                             ;   in Loop: Header=BB228_6 Depth=1
	s_and_not1_saveexec_b32 s3, s3
; %bb.15:                               ;   in Loop: Header=BB228_6 Depth=1
	v_pk_mul_f32 v[2:3], v[10:11], s[16:17] op_sel_hi:[1,0]
	s_and_not1_b32 s25, s25, exec_lo
; %bb.16:                               ;   in Loop: Header=BB228_6 Depth=1
	s_or_b32 exec_lo, exec_lo, s3
	s_delay_alu instid0(VALU_DEP_1) | instskip(NEXT) | instid1(VALU_DEP_2)
	v_max_num_f32_e64 v1, |v3|, |v3|
	v_max_num_f32_e64 v5, |v2|, |v2|
	s_delay_alu instid0(VALU_DEP_1) | instskip(NEXT) | instid1(VALU_DEP_1)
	v_max_num_f32_e32 v1, v5, v1
	v_cvt_f64_f32_e32 v[20:21], v1
	s_delay_alu instid0(VALU_DEP_1) | instskip(NEXT) | instid1(VALU_DEP_1)
	v_frexp_exp_i32_f64_e32 v5, v[20:21]
	v_sub_nc_u32_e32 v20, 0, v5
	s_delay_alu instid0(VALU_DEP_1) | instskip(SKIP_1) | instid1(VALU_DEP_2)
	v_ldexp_f32 v21, |v3|, v20
	v_ldexp_f32 v20, |v2|, v20
	v_mul_f32_e32 v21, v21, v21
	s_delay_alu instid0(VALU_DEP_1) | instskip(SKIP_1) | instid1(VALU_DEP_2)
	v_fmac_f32_e32 v21, v20, v20
	v_cmp_neq_f32_e64 s3, 0x7f800000, v1
                                        ; implicit-def: $vgpr1
	v_sqrt_f32_e32 v20, v21
	v_nop
	s_delay_alu instid0(TRANS32_DEP_1) | instskip(NEXT) | instid1(VALU_DEP_1)
	v_ldexp_f32 v5, v20, v5
	v_cndmask_b32_e64 v20, 0x7f800000, v5, s3
                                        ; implicit-def: $vgpr5
	s_mov_b32 s3, exec_lo
	v_cmpx_le_f32_e32 0, v2
	s_xor_b32 s26, exec_lo, s3
	s_cbranch_execz .LBB228_20
; %bb.17:                               ;   in Loop: Header=BB228_6 Depth=1
	v_add_f32_e32 v1, v2, v20
	s_delay_alu instid0(VALU_DEP_1) | instskip(NEXT) | instid1(VALU_DEP_1)
	v_mul_f32_e32 v1, 0.5, v1
	v_mul_f32_e32 v2, 0x4f800000, v1
	v_cmp_gt_f32_e32 vcc_lo, 0xf800000, v1
	s_delay_alu instid0(VALU_DEP_2) | instskip(NEXT) | instid1(VALU_DEP_1)
	v_cndmask_b32_e32 v1, v1, v2, vcc_lo
	v_sqrt_f32_e32 v2, v1
	v_nop
	s_delay_alu instid0(TRANS32_DEP_1) | instskip(NEXT) | instid1(VALU_DEP_1)
	v_dual_add_nc_u32 v5, -1, v2 :: v_dual_add_nc_u32 v20, 1, v2
	v_dual_fma_f32 v21, -v5, v2, v1 :: v_dual_fma_f32 v22, -v20, v2, v1
	s_delay_alu instid0(VALU_DEP_1) | instskip(NEXT) | instid1(VALU_DEP_1)
	v_cmp_ge_f32_e64 s3, 0, v21
	v_cndmask_b32_e64 v2, v2, v5, s3
	s_delay_alu instid0(VALU_DEP_3) | instskip(NEXT) | instid1(VALU_DEP_1)
	v_cmp_lt_f32_e64 s3, 0, v22
	v_cndmask_b32_e64 v2, v2, v20, s3
	s_delay_alu instid0(VALU_DEP_1) | instskip(NEXT) | instid1(VALU_DEP_1)
	v_mul_f32_e32 v5, 0x37800000, v2
	v_cndmask_b32_e32 v2, v2, v5, vcc_lo
	v_cmp_class_f32_e64 vcc_lo, v1, 0x260
	s_delay_alu instid0(VALU_DEP_2) | instskip(NEXT) | instid1(VALU_DEP_1)
	v_cndmask_b32_e32 v1, v2, v1, vcc_lo
	v_add_f32_e32 v2, v1, v1
	s_delay_alu instid0(VALU_DEP_1) | instskip(NEXT) | instid1(VALU_DEP_1)
	v_div_scale_f32 v5, null, v2, v2, v3
	v_rcp_f32_e32 v20, v5
	v_nop
	s_delay_alu instid0(TRANS32_DEP_1) | instskip(NEXT) | instid1(VALU_DEP_1)
	v_fma_f32 v21, -v5, v20, 1.0
	v_fmac_f32_e32 v20, v21, v20
	v_div_scale_f32 v21, vcc_lo, v3, v2, v3
	s_delay_alu instid0(VALU_DEP_1) | instskip(NEXT) | instid1(VALU_DEP_1)
	v_mul_f32_e32 v22, v21, v20
	v_fma_f32 v23, -v5, v22, v21
	s_delay_alu instid0(VALU_DEP_1) | instskip(NEXT) | instid1(VALU_DEP_1)
	v_fmac_f32_e32 v22, v23, v20
	v_fma_f32 v5, -v5, v22, v21
	s_delay_alu instid0(VALU_DEP_1) | instskip(NEXT) | instid1(VALU_DEP_1)
	v_div_fmas_f32 v5, v5, v20, v22
                                        ; implicit-def: $vgpr20
	v_div_fixup_f32 v5, v5, v2, v3
                                        ; implicit-def: $vgpr2_vgpr3
	s_and_not1_saveexec_b32 s26, s26
	s_cbranch_execnz .LBB228_21
.LBB228_18:                             ;   in Loop: Header=BB228_6 Depth=1
	s_or_b32 exec_lo, exec_lo, s26
	s_and_saveexec_b32 s3, s2
	s_delay_alu instid0(SALU_CYCLE_1)
	s_xor_b32 s2, exec_lo, s3
	s_cbranch_execz .LBB228_22
.LBB228_19:                             ;   in Loop: Header=BB228_6 Depth=1
	v_mul_f32_e32 v3, 0.5, v5
	s_delay_alu instid0(VALU_DEP_1) | instskip(NEXT) | instid1(VALU_DEP_1)
	v_dual_mul_f32 v2, 0.5, v1 :: v_dual_cndmask_b32 v3, v5, v3, s25
	v_cndmask_b32_e64 v2, v1, v2, s25
                                        ; implicit-def: $vgpr1
                                        ; implicit-def: $vgpr5
	s_and_not1_saveexec_b32 s2, s2
	s_cbranch_execnz .LBB228_23
	s_branch .LBB228_24
.LBB228_20:                             ;   in Loop: Header=BB228_6 Depth=1
	s_and_not1_saveexec_b32 s26, s26
	s_cbranch_execz .LBB228_18
.LBB228_21:                             ;   in Loop: Header=BB228_6 Depth=1
	v_sub_f32_e32 v1, v20, v2
	s_delay_alu instid0(VALU_DEP_1) | instskip(NEXT) | instid1(VALU_DEP_1)
	v_mul_f32_e32 v1, 0.5, v1
	v_mul_f32_e32 v2, 0x4f800000, v1
	v_cmp_gt_f32_e32 vcc_lo, 0xf800000, v1
	s_delay_alu instid0(VALU_DEP_2) | instskip(NEXT) | instid1(VALU_DEP_1)
	v_cndmask_b32_e32 v1, v1, v2, vcc_lo
	v_sqrt_f32_e32 v2, v1
	v_nop
	s_delay_alu instid0(TRANS32_DEP_1) | instskip(NEXT) | instid1(VALU_DEP_1)
	v_dual_add_nc_u32 v5, -1, v2 :: v_dual_add_nc_u32 v20, 1, v2
	v_dual_fma_f32 v21, -v5, v2, v1 :: v_dual_fma_f32 v22, -v20, v2, v1
	s_delay_alu instid0(VALU_DEP_1) | instskip(NEXT) | instid1(VALU_DEP_1)
	v_cmp_ge_f32_e64 s3, 0, v21
	v_cndmask_b32_e64 v2, v2, v5, s3
	s_delay_alu instid0(VALU_DEP_3) | instskip(NEXT) | instid1(VALU_DEP_1)
	v_cmp_lt_f32_e64 s3, 0, v22
	v_cndmask_b32_e64 v2, v2, v20, s3
	s_delay_alu instid0(VALU_DEP_1) | instskip(NEXT) | instid1(VALU_DEP_1)
	v_mul_f32_e32 v5, 0x37800000, v2
	v_cndmask_b32_e32 v2, v2, v5, vcc_lo
	v_cmp_class_f32_e64 vcc_lo, v1, 0x260
	s_delay_alu instid0(VALU_DEP_2) | instskip(SKIP_1) | instid1(VALU_DEP_2)
	v_cndmask_b32_e32 v2, v2, v1, vcc_lo
	v_and_b32_e32 v1, 0x7fffffff, v3
	v_add_f32_e32 v5, v2, v2
	s_delay_alu instid0(VALU_DEP_1) | instskip(SKIP_1) | instid1(VALU_DEP_2)
	v_div_scale_f32 v20, null, v5, v5, v1
	v_div_scale_f32 v1, vcc_lo, v1, v5, v1
	v_rcp_f32_e32 v21, v20
	v_nop
	s_delay_alu instid0(TRANS32_DEP_1) | instskip(NEXT) | instid1(VALU_DEP_1)
	v_fma_f32 v22, -v20, v21, 1.0
	v_fmac_f32_e32 v21, v22, v21
	s_delay_alu instid0(VALU_DEP_1) | instskip(NEXT) | instid1(VALU_DEP_1)
	v_mul_f32_e32 v22, v1, v21
	v_fma_f32 v23, -v20, v22, v1
	s_delay_alu instid0(VALU_DEP_1) | instskip(NEXT) | instid1(VALU_DEP_1)
	v_fmac_f32_e32 v22, v23, v21
	v_fma_f32 v1, -v20, v22, v1
	s_delay_alu instid0(VALU_DEP_1) | instskip(NEXT) | instid1(VALU_DEP_1)
	v_div_fmas_f32 v1, v1, v21, v22
	v_div_fixup_f32 v1, v1, v5, |v3|
	v_bfi_b32 v5, 0x7fffffff, v2, v3
	s_or_b32 exec_lo, exec_lo, s26
	s_and_saveexec_b32 s3, s2
	s_delay_alu instid0(SALU_CYCLE_1)
	s_xor_b32 s2, exec_lo, s3
	s_cbranch_execnz .LBB228_19
.LBB228_22:                             ;   in Loop: Header=BB228_6 Depth=1
	s_and_not1_saveexec_b32 s2, s2
.LBB228_23:                             ;   in Loop: Header=BB228_6 Depth=1
	v_add_f32_e32 v2, v1, v1
	v_add_f32_e32 v3, v5, v5
.LBB228_24:                             ;   in Loop: Header=BB228_6 Depth=1
	s_or_b32 exec_lo, exec_lo, s2
.LBB228_25:                             ;   in Loop: Header=BB228_6 Depth=1
	s_and_not1_saveexec_b32 s2, s24
	s_cbranch_execz .LBB228_47
; %bb.26:                               ;   in Loop: Header=BB228_6 Depth=1
	v_sub_f32_e32 v1, v11, v11
	s_mov_b32 s3, exec_lo
	s_delay_alu instid0(VALU_DEP_1)
	v_and_b32_e32 v2, 0x7fffffff, v1
	v_cmpx_lt_i32_e32 -1, v10
	s_xor_b32 s3, exec_lo, s3
; %bb.27:                               ;   in Loop: Header=BB228_6 Depth=1
	v_bfi_b32 v3, 0x7fffffff, v1, v11
	v_mov_b32_e32 v2, v10
; %bb.28:                               ;   in Loop: Header=BB228_6 Depth=1
	s_and_not1_saveexec_b32 s3, s3
; %bb.29:                               ;   in Loop: Header=BB228_6 Depth=1
	v_bfi_b32 v3, 0x7fffffff, v10, v11
; %bb.30:                               ;   in Loop: Header=BB228_6 Depth=1
	s_or_b32 exec_lo, exec_lo, s3
	s_delay_alu instid0(SALU_CYCLE_1)
	s_or_b32 exec_lo, exec_lo, s2
.LBB228_31:                             ;   in Loop: Header=BB228_6 Depth=1
	s_and_not1_saveexec_b32 s2, s23
	s_cbranch_execz .LBB228_33
.LBB228_32:                             ;   in Loop: Header=BB228_6 Depth=1
	v_sub_f32_e32 v1, v11, v11
	s_delay_alu instid0(VALU_DEP_1) | instskip(NEXT) | instid1(VALU_DEP_1)
	v_div_scale_f32 v2, vcc_lo, v1, v1, v1
	v_rcp_f32_e32 v3, v2
	v_nop
	s_delay_alu instid0(TRANS32_DEP_1) | instskip(NEXT) | instid1(VALU_DEP_1)
	v_fma_f32 v5, -v2, v3, 1.0
	v_fmac_f32_e32 v3, v5, v3
	s_delay_alu instid0(VALU_DEP_1) | instskip(NEXT) | instid1(VALU_DEP_1)
	v_mul_f32_e32 v5, v2, v3
	v_fma_f32 v11, -v2, v5, v2
	s_delay_alu instid0(VALU_DEP_1) | instskip(NEXT) | instid1(VALU_DEP_1)
	v_fmac_f32_e32 v5, v11, v3
	v_fma_f32 v2, -v2, v5, v2
	s_delay_alu instid0(VALU_DEP_1) | instskip(NEXT) | instid1(VALU_DEP_1)
	v_div_fmas_f32 v2, v2, v3, v5
	v_div_fixup_f32 v3, v2, v1, v1
	v_mov_b32_e32 v2, v10
.LBB228_33:                             ;   in Loop: Header=BB228_6 Depth=1
	s_or_b32 exec_lo, exec_lo, s2
.LBB228_34:                             ;   in Loop: Header=BB228_6 Depth=1
	s_delay_alu instid0(SALU_CYCLE_1)
	s_or_b32 exec_lo, exec_lo, s22
.LBB228_35:                             ;   in Loop: Header=BB228_6 Depth=1
	s_delay_alu instid0(SALU_CYCLE_1) | instskip(SKIP_3) | instid1(SALU_CYCLE_1)
	s_or_b32 exec_lo, exec_lo, s21
	v_cmp_neq_f32_e32 vcc_lo, 0, v12
	v_cmp_neq_f32_e64 s2, 0, v13
	s_or_b32 s2, vcc_lo, s2
	s_and_saveexec_b32 s21, s2
	s_cbranch_execz .LBB228_66
; %bb.36:                               ;   in Loop: Header=BB228_6 Depth=1
	v_mov_b32_e32 v4, 0x7f800000
	s_mov_b32 s22, exec_lo
	v_cmpx_neq_f32_e64 0x7f800000, |v13|
	s_cbranch_execz .LBB228_65
; %bb.37:                               ;   in Loop: Header=BB228_6 Depth=1
	s_mov_b32 s2, exec_lo
	v_cmpx_o_f32_e32 v12, v12
	s_xor_b32 s23, exec_lo, s2
	s_cbranch_execz .LBB228_62
; %bb.38:                               ;   in Loop: Header=BB228_6 Depth=1
	s_mov_b32 s3, exec_lo
	v_cmpx_neq_f32_e64 0x7f800000, |v12|
	s_xor_b32 s24, exec_lo, s3
	s_cbranch_execz .LBB228_55
; %bb.39:                               ;   in Loop: Header=BB228_6 Depth=1
	v_max_num_f32_e64 v1, |v13|, |v13|
	v_max_num_f32_e64 v4, |v12|, |v12|
                                        ; implicit-def: $sgpr25
	s_delay_alu instid0(VALU_DEP_1) | instskip(NEXT) | instid1(VALU_DEP_1)
	v_max_num_f32_e32 v1, v4, v1
	v_cmp_nle_f32_e64 s2, 0x7ed413cb, v1
	s_and_saveexec_b32 s3, s2
	s_delay_alu instid0(SALU_CYCLE_1)
	s_xor_b32 s3, exec_lo, s3
	s_cbranch_execz .LBB228_43
; %bb.40:                               ;   in Loop: Header=BB228_6 Depth=1
	v_cmp_ge_f32_e64 s25, 0x1000000, |v12|
	v_cmp_ge_f32_e64 s26, 0x1000000, |v13|
	s_and_b32 s27, s25, s26
	s_mov_b32 s25, 0
	s_and_saveexec_b32 s26, s27
; %bb.41:                               ;   in Loop: Header=BB228_6 Depth=1
	v_pk_mul_f32 v[12:13], v[12:13], 4.0 op_sel_hi:[1,0]
	s_mov_b32 s25, exec_lo
; %bb.42:                               ;   in Loop: Header=BB228_6 Depth=1
	s_or_b32 exec_lo, exec_lo, s26
.LBB228_43:                             ;   in Loop: Header=BB228_6 Depth=1
	s_and_not1_saveexec_b32 s3, s3
; %bb.44:                               ;   in Loop: Header=BB228_6 Depth=1
	s_delay_alu instid0(VALU_DEP_1)
	v_pk_mul_f32 v[12:13], v[12:13], s[16:17] op_sel_hi:[1,0]
	s_and_not1_b32 s25, s25, exec_lo
; %bb.45:                               ;   in Loop: Header=BB228_6 Depth=1
	s_or_b32 exec_lo, exec_lo, s3
	s_delay_alu instid0(VALU_DEP_1) | instskip(NEXT) | instid1(VALU_DEP_2)
	v_max_num_f32_e64 v1, |v13|, |v13|
	v_max_num_f32_e64 v4, |v12|, |v12|
	s_delay_alu instid0(VALU_DEP_1) | instskip(NEXT) | instid1(VALU_DEP_1)
	v_max_num_f32_e32 v1, v4, v1
	v_cvt_f64_f32_e32 v[4:5], v1
	s_delay_alu instid0(VALU_DEP_1) | instskip(NEXT) | instid1(VALU_DEP_1)
	v_frexp_exp_i32_f64_e32 v4, v[4:5]
	v_sub_nc_u32_e32 v5, 0, v4
	v_cmp_neq_f32_e64 s3, 0x7f800000, v1
                                        ; implicit-def: $vgpr1
	s_delay_alu instid0(VALU_DEP_2) | instskip(SKIP_1) | instid1(VALU_DEP_2)
	v_ldexp_f32 v10, |v13|, v5
	v_ldexp_f32 v5, |v12|, v5
	v_mul_f32_e32 v10, v10, v10
	s_delay_alu instid0(VALU_DEP_1) | instskip(NEXT) | instid1(VALU_DEP_1)
	v_fmac_f32_e32 v10, v5, v5
	v_sqrt_f32_e32 v5, v10
	v_nop
	s_delay_alu instid0(TRANS32_DEP_1) | instskip(NEXT) | instid1(VALU_DEP_1)
	v_ldexp_f32 v4, v5, v4
                                        ; implicit-def: $vgpr5
	v_cndmask_b32_e64 v4, 0x7f800000, v4, s3
	s_mov_b32 s3, exec_lo
	v_cmpx_le_f32_e32 0, v12
	s_xor_b32 s26, exec_lo, s3
	s_cbranch_execz .LBB228_48
; %bb.46:                               ;   in Loop: Header=BB228_6 Depth=1
	v_add_f32_e32 v1, v12, v4
	s_delay_alu instid0(VALU_DEP_1) | instskip(NEXT) | instid1(VALU_DEP_1)
	v_mul_f32_e32 v1, 0.5, v1
	v_mul_f32_e32 v4, 0x4f800000, v1
	v_cmp_gt_f32_e32 vcc_lo, 0xf800000, v1
	s_delay_alu instid0(VALU_DEP_2) | instskip(NEXT) | instid1(VALU_DEP_1)
	v_cndmask_b32_e32 v1, v1, v4, vcc_lo
	v_sqrt_f32_e32 v4, v1
	v_nop
	s_delay_alu instid0(TRANS32_DEP_1) | instskip(NEXT) | instid1(VALU_DEP_1)
	v_dual_add_nc_u32 v5, -1, v4 :: v_dual_add_nc_u32 v10, 1, v4
	v_dual_fma_f32 v11, -v5, v4, v1 :: v_dual_fma_f32 v12, -v10, v4, v1
	s_delay_alu instid0(VALU_DEP_1) | instskip(NEXT) | instid1(VALU_DEP_1)
	v_cmp_ge_f32_e64 s3, 0, v11
	v_cndmask_b32_e64 v4, v4, v5, s3
	s_delay_alu instid0(VALU_DEP_3) | instskip(NEXT) | instid1(VALU_DEP_1)
	v_cmp_lt_f32_e64 s3, 0, v12
	v_cndmask_b32_e64 v4, v4, v10, s3
	s_delay_alu instid0(VALU_DEP_1) | instskip(NEXT) | instid1(VALU_DEP_1)
	v_mul_f32_e32 v5, 0x37800000, v4
	v_cndmask_b32_e32 v4, v4, v5, vcc_lo
	v_cmp_class_f32_e64 vcc_lo, v1, 0x260
	s_delay_alu instid0(VALU_DEP_2) | instskip(NEXT) | instid1(VALU_DEP_1)
	v_cndmask_b32_e32 v1, v4, v1, vcc_lo
	v_add_f32_e32 v4, v1, v1
	s_delay_alu instid0(VALU_DEP_1) | instskip(NEXT) | instid1(VALU_DEP_1)
	v_div_scale_f32 v5, null, v4, v4, v13
	v_rcp_f32_e32 v10, v5
	v_nop
	s_delay_alu instid0(TRANS32_DEP_1) | instskip(NEXT) | instid1(VALU_DEP_1)
	v_fma_f32 v11, -v5, v10, 1.0
	v_fmac_f32_e32 v10, v11, v10
	v_div_scale_f32 v11, vcc_lo, v13, v4, v13
	s_delay_alu instid0(VALU_DEP_1) | instskip(NEXT) | instid1(VALU_DEP_1)
	v_mul_f32_e32 v12, v11, v10
	v_fma_f32 v20, -v5, v12, v11
	s_delay_alu instid0(VALU_DEP_1) | instskip(NEXT) | instid1(VALU_DEP_1)
	v_fmac_f32_e32 v12, v20, v10
	v_fma_f32 v5, -v5, v12, v11
	s_delay_alu instid0(VALU_DEP_1) | instskip(NEXT) | instid1(VALU_DEP_1)
	v_div_fmas_f32 v5, v5, v10, v12
	v_div_fixup_f32 v5, v5, v4, v13
                                        ; implicit-def: $vgpr4
                                        ; implicit-def: $vgpr12_vgpr13
	s_and_not1_saveexec_b32 s26, s26
	s_cbranch_execz .LBB228_50
	s_branch .LBB228_49
.LBB228_47:                             ;   in Loop: Header=BB228_6 Depth=1
	s_or_b32 exec_lo, exec_lo, s2
	s_and_not1_saveexec_b32 s2, s23
	s_cbranch_execnz .LBB228_32
	s_branch .LBB228_33
.LBB228_48:                             ;   in Loop: Header=BB228_6 Depth=1
	s_and_not1_saveexec_b32 s26, s26
	s_cbranch_execz .LBB228_50
.LBB228_49:                             ;   in Loop: Header=BB228_6 Depth=1
	v_sub_f32_e32 v1, v4, v12
	s_delay_alu instid0(VALU_DEP_1) | instskip(NEXT) | instid1(VALU_DEP_1)
	v_mul_f32_e32 v1, 0.5, v1
	v_mul_f32_e32 v4, 0x4f800000, v1
	v_cmp_gt_f32_e32 vcc_lo, 0xf800000, v1
	s_delay_alu instid0(VALU_DEP_2) | instskip(NEXT) | instid1(VALU_DEP_1)
	v_cndmask_b32_e32 v1, v1, v4, vcc_lo
	v_sqrt_f32_e32 v4, v1
	v_nop
	s_delay_alu instid0(TRANS32_DEP_1) | instskip(NEXT) | instid1(VALU_DEP_1)
	v_dual_add_nc_u32 v5, -1, v4 :: v_dual_add_nc_u32 v10, 1, v4
	v_dual_fma_f32 v11, -v5, v4, v1 :: v_dual_fma_f32 v12, -v10, v4, v1
	s_delay_alu instid0(VALU_DEP_1) | instskip(NEXT) | instid1(VALU_DEP_1)
	v_cmp_ge_f32_e64 s3, 0, v11
	v_cndmask_b32_e64 v4, v4, v5, s3
	s_delay_alu instid0(VALU_DEP_3) | instskip(NEXT) | instid1(VALU_DEP_1)
	v_cmp_lt_f32_e64 s3, 0, v12
	v_cndmask_b32_e64 v4, v4, v10, s3
	s_delay_alu instid0(VALU_DEP_1) | instskip(NEXT) | instid1(VALU_DEP_1)
	v_mul_f32_e32 v5, 0x37800000, v4
	v_cndmask_b32_e32 v4, v4, v5, vcc_lo
	v_cmp_class_f32_e64 vcc_lo, v1, 0x260
	s_delay_alu instid0(VALU_DEP_2) | instskip(SKIP_1) | instid1(VALU_DEP_2)
	v_cndmask_b32_e32 v4, v4, v1, vcc_lo
	v_and_b32_e32 v1, 0x7fffffff, v13
	v_add_f32_e32 v5, v4, v4
	s_delay_alu instid0(VALU_DEP_1) | instskip(SKIP_1) | instid1(VALU_DEP_2)
	v_div_scale_f32 v10, null, v5, v5, v1
	v_div_scale_f32 v1, vcc_lo, v1, v5, v1
	v_rcp_f32_e32 v11, v10
	v_nop
	s_delay_alu instid0(TRANS32_DEP_1) | instskip(NEXT) | instid1(VALU_DEP_1)
	v_fma_f32 v12, -v10, v11, 1.0
	v_fmac_f32_e32 v11, v12, v11
	s_delay_alu instid0(VALU_DEP_1) | instskip(NEXT) | instid1(VALU_DEP_1)
	v_mul_f32_e32 v12, v1, v11
	v_fma_f32 v20, -v10, v12, v1
	s_delay_alu instid0(VALU_DEP_1) | instskip(NEXT) | instid1(VALU_DEP_1)
	v_fmac_f32_e32 v12, v20, v11
	v_fma_f32 v1, -v10, v12, v1
	s_delay_alu instid0(VALU_DEP_1) | instskip(NEXT) | instid1(VALU_DEP_1)
	v_div_fmas_f32 v1, v1, v11, v12
	v_div_fixup_f32 v1, v1, v5, |v13|
	v_bfi_b32 v5, 0x7fffffff, v4, v13
.LBB228_50:                             ;   in Loop: Header=BB228_6 Depth=1
	s_or_b32 exec_lo, exec_lo, s26
                                        ; implicit-def: $vgpr13
	s_and_saveexec_b32 s3, s2
	s_delay_alu instid0(SALU_CYCLE_1)
	s_xor_b32 s2, exec_lo, s3
	s_cbranch_execz .LBB228_52
; %bb.51:                               ;   in Loop: Header=BB228_6 Depth=1
	v_mul_f32_e32 v10, 0.5, v5
	s_delay_alu instid0(VALU_DEP_1) | instskip(NEXT) | instid1(VALU_DEP_1)
	v_dual_mul_f32 v4, 0.5, v1 :: v_dual_cndmask_b32 v13, v5, v10, s25
	v_cndmask_b32_e64 v4, v1, v4, s25
                                        ; implicit-def: $vgpr1
                                        ; implicit-def: $vgpr5
	s_and_not1_saveexec_b32 s2, s2
	s_cbranch_execnz .LBB228_53
	s_branch .LBB228_54
.LBB228_52:                             ;   in Loop: Header=BB228_6 Depth=1
	s_and_not1_saveexec_b32 s2, s2
.LBB228_53:                             ;   in Loop: Header=BB228_6 Depth=1
	v_add_f32_e32 v4, v1, v1
	v_add_f32_e32 v13, v5, v5
.LBB228_54:                             ;   in Loop: Header=BB228_6 Depth=1
	s_or_b32 exec_lo, exec_lo, s2
.LBB228_55:                             ;   in Loop: Header=BB228_6 Depth=1
	s_and_not1_saveexec_b32 s2, s24
	s_cbranch_execz .LBB228_61
; %bb.56:                               ;   in Loop: Header=BB228_6 Depth=1
	s_delay_alu instid0(VALU_DEP_1) | instskip(SKIP_1) | instid1(VALU_DEP_1)
	v_sub_f32_e32 v1, v13, v13
	s_mov_b32 s3, exec_lo
	v_and_b32_e32 v4, 0x7fffffff, v1
	v_cmpx_lt_i32_e32 -1, v12
	s_xor_b32 s3, exec_lo, s3
; %bb.57:                               ;   in Loop: Header=BB228_6 Depth=1
	v_bfi_b32 v13, 0x7fffffff, v1, v13
	v_mov_b32_e32 v4, v12
; %bb.58:                               ;   in Loop: Header=BB228_6 Depth=1
	s_and_not1_saveexec_b32 s3, s3
; %bb.59:                               ;   in Loop: Header=BB228_6 Depth=1
	s_delay_alu instid0(VALU_DEP_2)
	v_bfi_b32 v13, 0x7fffffff, v12, v13
; %bb.60:                               ;   in Loop: Header=BB228_6 Depth=1
	s_or_b32 exec_lo, exec_lo, s3
.LBB228_61:                             ;   in Loop: Header=BB228_6 Depth=1
	s_delay_alu instid0(SALU_CYCLE_1)
	s_or_b32 exec_lo, exec_lo, s2
.LBB228_62:                             ;   in Loop: Header=BB228_6 Depth=1
	s_and_not1_saveexec_b32 s2, s23
	s_cbranch_execz .LBB228_64
; %bb.63:                               ;   in Loop: Header=BB228_6 Depth=1
	v_sub_f32_e32 v1, v13, v13
	s_delay_alu instid0(VALU_DEP_1) | instskip(NEXT) | instid1(VALU_DEP_1)
	v_div_scale_f32 v4, vcc_lo, v1, v1, v1
	v_rcp_f32_e32 v5, v4
	v_nop
	s_delay_alu instid0(TRANS32_DEP_1) | instskip(NEXT) | instid1(VALU_DEP_1)
	v_fma_f32 v10, -v4, v5, 1.0
	v_fmac_f32_e32 v5, v10, v5
	s_delay_alu instid0(VALU_DEP_1) | instskip(NEXT) | instid1(VALU_DEP_1)
	v_mul_f32_e32 v10, v4, v5
	v_fma_f32 v11, -v4, v10, v4
	s_delay_alu instid0(VALU_DEP_1) | instskip(NEXT) | instid1(VALU_DEP_1)
	v_fmac_f32_e32 v10, v11, v5
	v_fma_f32 v4, -v4, v10, v4
	s_delay_alu instid0(VALU_DEP_1) | instskip(NEXT) | instid1(VALU_DEP_1)
	v_div_fmas_f32 v4, v4, v5, v10
	v_div_fixup_f32 v13, v4, v1, v1
	v_mov_b32_e32 v4, v12
.LBB228_64:                             ;   in Loop: Header=BB228_6 Depth=1
	s_or_b32 exec_lo, exec_lo, s2
.LBB228_65:                             ;   in Loop: Header=BB228_6 Depth=1
	s_delay_alu instid0(SALU_CYCLE_1)
	s_or_b32 exec_lo, exec_lo, s22
.LBB228_66:                             ;   in Loop: Header=BB228_6 Depth=1
	s_delay_alu instid0(SALU_CYCLE_1)
	s_or_b32 exec_lo, exec_lo, s21
	s_wait_loadcnt 0x0
	v_cmp_neq_f32_e32 vcc_lo, 0, v6
	v_cmp_neq_f32_e64 s2, 0, v7
	v_dual_mov_b32 v12, 0 :: v_dual_mov_b32 v10, 0
	v_mov_b32_e32 v11, v7
	s_or_b32 s2, vcc_lo, s2
	s_delay_alu instid0(SALU_CYCLE_1)
	s_and_saveexec_b32 s21, s2
	s_cbranch_execz .LBB228_96
; %bb.67:                               ;   in Loop: Header=BB228_6 Depth=1
	v_dual_mov_b32 v10, 0x7f800000 :: v_dual_mov_b32 v11, v7
	s_mov_b32 s22, exec_lo
	v_cmpx_neq_f32_e64 0x7f800000, |v7|
	s_cbranch_execz .LBB228_95
; %bb.68:                               ;   in Loop: Header=BB228_6 Depth=1
	s_mov_b32 s2, exec_lo
	v_cmpx_o_f32_e32 v6, v6
	s_xor_b32 s23, exec_lo, s2
	s_cbranch_execz .LBB228_92
; %bb.69:                               ;   in Loop: Header=BB228_6 Depth=1
	s_mov_b32 s3, exec_lo
	v_cmpx_neq_f32_e64 0x7f800000, |v6|
	s_xor_b32 s24, exec_lo, s3
	s_cbranch_execz .LBB228_85
; %bb.70:                               ;   in Loop: Header=BB228_6 Depth=1
	v_max_num_f32_e64 v1, |v7|, |v7|
	v_max_num_f32_e64 v5, |v6|, |v6|
                                        ; implicit-def: $sgpr25
                                        ; implicit-def: $vgpr10_vgpr11
	s_delay_alu instid0(VALU_DEP_1) | instskip(NEXT) | instid1(VALU_DEP_1)
	v_max_num_f32_e32 v1, v5, v1
	v_cmp_nle_f32_e64 s2, 0x7ed413cb, v1
	s_and_saveexec_b32 s3, s2
	s_delay_alu instid0(SALU_CYCLE_1)
	s_xor_b32 s3, exec_lo, s3
	s_cbranch_execz .LBB228_74
; %bb.71:                               ;   in Loop: Header=BB228_6 Depth=1
	v_cmp_ge_f32_e64 s25, 0x1000000, |v6|
	v_cmp_ge_f32_e64 s26, 0x1000000, |v7|
	v_mov_b64_e32 v[10:11], v[6:7]
	s_and_b32 s27, s25, s26
	s_mov_b32 s25, 0
	s_and_saveexec_b32 s26, s27
; %bb.72:                               ;   in Loop: Header=BB228_6 Depth=1
	v_pk_mul_f32 v[10:11], v[6:7], 4.0 op_sel_hi:[1,0]
	s_mov_b32 s25, exec_lo
; %bb.73:                               ;   in Loop: Header=BB228_6 Depth=1
	s_or_b32 exec_lo, exec_lo, s26
.LBB228_74:                             ;   in Loop: Header=BB228_6 Depth=1
	s_and_not1_saveexec_b32 s3, s3
; %bb.75:                               ;   in Loop: Header=BB228_6 Depth=1
	v_pk_mul_f32 v[10:11], v[6:7], s[16:17] op_sel_hi:[1,0]
	s_and_not1_b32 s25, s25, exec_lo
; %bb.76:                               ;   in Loop: Header=BB228_6 Depth=1
	s_or_b32 exec_lo, exec_lo, s3
	s_delay_alu instid0(VALU_DEP_1) | instskip(NEXT) | instid1(VALU_DEP_2)
	v_max_num_f32_e64 v1, |v11|, |v11|
	v_max_num_f32_e64 v5, |v10|, |v10|
	s_delay_alu instid0(VALU_DEP_1) | instskip(NEXT) | instid1(VALU_DEP_1)
	v_max_num_f32_e32 v1, v5, v1
	v_cvt_f64_f32_e32 v[20:21], v1
	s_delay_alu instid0(VALU_DEP_1) | instskip(NEXT) | instid1(VALU_DEP_1)
	v_frexp_exp_i32_f64_e32 v5, v[20:21]
	v_sub_nc_u32_e32 v20, 0, v5
	s_delay_alu instid0(VALU_DEP_1) | instskip(SKIP_1) | instid1(VALU_DEP_2)
	v_ldexp_f32 v21, |v11|, v20
	v_ldexp_f32 v20, |v10|, v20
	v_mul_f32_e32 v21, v21, v21
	s_delay_alu instid0(VALU_DEP_1) | instskip(SKIP_1) | instid1(VALU_DEP_2)
	v_fmac_f32_e32 v21, v20, v20
	v_cmp_neq_f32_e64 s3, 0x7f800000, v1
                                        ; implicit-def: $vgpr1
	v_sqrt_f32_e32 v20, v21
	v_nop
	s_delay_alu instid0(TRANS32_DEP_1) | instskip(NEXT) | instid1(VALU_DEP_1)
	v_ldexp_f32 v5, v20, v5
	v_cndmask_b32_e64 v20, 0x7f800000, v5, s3
                                        ; implicit-def: $vgpr5
	s_mov_b32 s3, exec_lo
	v_cmpx_le_f32_e32 0, v10
	s_xor_b32 s26, exec_lo, s3
	s_cbranch_execz .LBB228_80
; %bb.77:                               ;   in Loop: Header=BB228_6 Depth=1
	v_add_f32_e32 v1, v10, v20
	s_delay_alu instid0(VALU_DEP_1) | instskip(NEXT) | instid1(VALU_DEP_1)
	v_mul_f32_e32 v1, 0.5, v1
	v_mul_f32_e32 v5, 0x4f800000, v1
	v_cmp_gt_f32_e32 vcc_lo, 0xf800000, v1
	s_delay_alu instid0(VALU_DEP_2) | instskip(NEXT) | instid1(VALU_DEP_1)
	v_cndmask_b32_e32 v1, v1, v5, vcc_lo
	v_sqrt_f32_e32 v5, v1
	v_nop
	s_delay_alu instid0(TRANS32_DEP_1) | instskip(NEXT) | instid1(VALU_DEP_1)
	v_dual_add_nc_u32 v10, -1, v5 :: v_dual_add_nc_u32 v20, 1, v5
	v_dual_fma_f32 v21, -v10, v5, v1 :: v_dual_fma_f32 v22, -v20, v5, v1
	s_delay_alu instid0(VALU_DEP_1) | instskip(NEXT) | instid1(VALU_DEP_1)
	v_cmp_ge_f32_e64 s3, 0, v21
	v_cndmask_b32_e64 v5, v5, v10, s3
	s_delay_alu instid0(VALU_DEP_3) | instskip(NEXT) | instid1(VALU_DEP_1)
	v_cmp_lt_f32_e64 s3, 0, v22
	v_cndmask_b32_e64 v5, v5, v20, s3
	s_delay_alu instid0(VALU_DEP_1) | instskip(NEXT) | instid1(VALU_DEP_1)
	v_mul_f32_e32 v10, 0x37800000, v5
	v_cndmask_b32_e32 v5, v5, v10, vcc_lo
	v_cmp_class_f32_e64 vcc_lo, v1, 0x260
	s_delay_alu instid0(VALU_DEP_2) | instskip(NEXT) | instid1(VALU_DEP_1)
	v_cndmask_b32_e32 v1, v5, v1, vcc_lo
	v_add_f32_e32 v5, v1, v1
	s_delay_alu instid0(VALU_DEP_1) | instskip(NEXT) | instid1(VALU_DEP_1)
	v_div_scale_f32 v10, null, v5, v5, v11
	v_rcp_f32_e32 v20, v10
	v_nop
	s_delay_alu instid0(TRANS32_DEP_1) | instskip(NEXT) | instid1(VALU_DEP_1)
	v_fma_f32 v21, -v10, v20, 1.0
	v_fmac_f32_e32 v20, v21, v20
	v_div_scale_f32 v21, vcc_lo, v11, v5, v11
	s_delay_alu instid0(VALU_DEP_1) | instskip(NEXT) | instid1(VALU_DEP_1)
	v_mul_f32_e32 v22, v21, v20
	v_fma_f32 v23, -v10, v22, v21
	s_delay_alu instid0(VALU_DEP_1) | instskip(NEXT) | instid1(VALU_DEP_1)
	v_fmac_f32_e32 v22, v23, v20
	v_fma_f32 v10, -v10, v22, v21
	s_delay_alu instid0(VALU_DEP_1) | instskip(NEXT) | instid1(VALU_DEP_1)
	v_div_fmas_f32 v10, v10, v20, v22
                                        ; implicit-def: $vgpr20
	v_div_fixup_f32 v5, v10, v5, v11
                                        ; implicit-def: $vgpr10_vgpr11
	s_and_not1_saveexec_b32 s26, s26
	s_cbranch_execnz .LBB228_81
.LBB228_78:                             ;   in Loop: Header=BB228_6 Depth=1
	s_or_b32 exec_lo, exec_lo, s26
	s_and_saveexec_b32 s3, s2
	s_delay_alu instid0(SALU_CYCLE_1)
	s_xor_b32 s2, exec_lo, s3
	s_cbranch_execz .LBB228_82
.LBB228_79:                             ;   in Loop: Header=BB228_6 Depth=1
	v_mul_f32_e32 v11, 0.5, v5
	s_delay_alu instid0(VALU_DEP_1) | instskip(NEXT) | instid1(VALU_DEP_1)
	v_dual_mul_f32 v10, 0.5, v1 :: v_dual_cndmask_b32 v11, v5, v11, s25
	v_cndmask_b32_e64 v10, v1, v10, s25
                                        ; implicit-def: $vgpr1
                                        ; implicit-def: $vgpr5
	s_and_not1_saveexec_b32 s2, s2
	s_cbranch_execnz .LBB228_83
	s_branch .LBB228_84
.LBB228_80:                             ;   in Loop: Header=BB228_6 Depth=1
	s_and_not1_saveexec_b32 s26, s26
	s_cbranch_execz .LBB228_78
.LBB228_81:                             ;   in Loop: Header=BB228_6 Depth=1
	v_sub_f32_e32 v1, v20, v10
	s_delay_alu instid0(VALU_DEP_1) | instskip(NEXT) | instid1(VALU_DEP_1)
	v_mul_f32_e32 v1, 0.5, v1
	v_mul_f32_e32 v5, 0x4f800000, v1
	v_cmp_gt_f32_e32 vcc_lo, 0xf800000, v1
	s_delay_alu instid0(VALU_DEP_2) | instskip(NEXT) | instid1(VALU_DEP_1)
	v_cndmask_b32_e32 v1, v1, v5, vcc_lo
	v_sqrt_f32_e32 v5, v1
	v_nop
	s_delay_alu instid0(TRANS32_DEP_1) | instskip(NEXT) | instid1(VALU_DEP_1)
	v_dual_add_nc_u32 v10, -1, v5 :: v_dual_add_nc_u32 v20, 1, v5
	v_dual_fma_f32 v21, -v10, v5, v1 :: v_dual_fma_f32 v22, -v20, v5, v1
	s_delay_alu instid0(VALU_DEP_1) | instskip(NEXT) | instid1(VALU_DEP_1)
	v_cmp_ge_f32_e64 s3, 0, v21
	v_cndmask_b32_e64 v5, v5, v10, s3
	s_delay_alu instid0(VALU_DEP_3) | instskip(NEXT) | instid1(VALU_DEP_1)
	v_cmp_lt_f32_e64 s3, 0, v22
	v_cndmask_b32_e64 v5, v5, v20, s3
	s_delay_alu instid0(VALU_DEP_1) | instskip(NEXT) | instid1(VALU_DEP_1)
	v_mul_f32_e32 v10, 0x37800000, v5
	v_cndmask_b32_e32 v5, v5, v10, vcc_lo
	v_cmp_class_f32_e64 vcc_lo, v1, 0x260
	s_delay_alu instid0(VALU_DEP_2) | instskip(SKIP_1) | instid1(VALU_DEP_2)
	v_cndmask_b32_e32 v5, v5, v1, vcc_lo
	v_and_b32_e32 v1, 0x7fffffff, v11
	v_add_f32_e32 v10, v5, v5
	s_delay_alu instid0(VALU_DEP_1) | instskip(SKIP_1) | instid1(VALU_DEP_2)
	v_div_scale_f32 v20, null, v10, v10, v1
	v_div_scale_f32 v1, vcc_lo, v1, v10, v1
	v_rcp_f32_e32 v21, v20
	v_nop
	s_delay_alu instid0(TRANS32_DEP_1) | instskip(NEXT) | instid1(VALU_DEP_1)
	v_fma_f32 v22, -v20, v21, 1.0
	v_fmac_f32_e32 v21, v22, v21
	s_delay_alu instid0(VALU_DEP_1) | instskip(NEXT) | instid1(VALU_DEP_1)
	v_mul_f32_e32 v22, v1, v21
	v_fma_f32 v23, -v20, v22, v1
	v_bfi_b32 v5, 0x7fffffff, v5, v11
	s_delay_alu instid0(VALU_DEP_2) | instskip(NEXT) | instid1(VALU_DEP_1)
	v_fmac_f32_e32 v22, v23, v21
	v_fma_f32 v1, -v20, v22, v1
	s_delay_alu instid0(VALU_DEP_1) | instskip(NEXT) | instid1(VALU_DEP_1)
	v_div_fmas_f32 v1, v1, v21, v22
	v_div_fixup_f32 v1, v1, v10, |v11|
	s_or_b32 exec_lo, exec_lo, s26
	s_and_saveexec_b32 s3, s2
	s_delay_alu instid0(SALU_CYCLE_1)
	s_xor_b32 s2, exec_lo, s3
	s_cbranch_execnz .LBB228_79
.LBB228_82:                             ;   in Loop: Header=BB228_6 Depth=1
	s_and_not1_saveexec_b32 s2, s2
.LBB228_83:                             ;   in Loop: Header=BB228_6 Depth=1
	v_add_f32_e32 v10, v1, v1
	v_add_f32_e32 v11, v5, v5
.LBB228_84:                             ;   in Loop: Header=BB228_6 Depth=1
	s_or_b32 exec_lo, exec_lo, s2
.LBB228_85:                             ;   in Loop: Header=BB228_6 Depth=1
	s_and_not1_saveexec_b32 s2, s24
	s_cbranch_execz .LBB228_91
; %bb.86:                               ;   in Loop: Header=BB228_6 Depth=1
	v_sub_f32_e32 v1, v7, v7
	s_mov_b32 s3, exec_lo
	s_delay_alu instid0(VALU_DEP_1)
	v_and_b32_e32 v10, 0x7fffffff, v1
	v_cmpx_lt_i32_e32 -1, v6
	s_xor_b32 s3, exec_lo, s3
; %bb.87:                               ;   in Loop: Header=BB228_6 Depth=1
	v_bfi_b32 v11, 0x7fffffff, v1, v7
	v_mov_b32_e32 v10, v6
; %bb.88:                               ;   in Loop: Header=BB228_6 Depth=1
	s_and_not1_saveexec_b32 s3, s3
; %bb.89:                               ;   in Loop: Header=BB228_6 Depth=1
	v_bfi_b32 v11, 0x7fffffff, v6, v7
; %bb.90:                               ;   in Loop: Header=BB228_6 Depth=1
	s_or_b32 exec_lo, exec_lo, s3
.LBB228_91:                             ;   in Loop: Header=BB228_6 Depth=1
	s_delay_alu instid0(SALU_CYCLE_1)
	s_or_b32 exec_lo, exec_lo, s2
.LBB228_92:                             ;   in Loop: Header=BB228_6 Depth=1
	s_and_not1_saveexec_b32 s2, s23
	s_cbranch_execz .LBB228_94
; %bb.93:                               ;   in Loop: Header=BB228_6 Depth=1
	v_sub_f32_e32 v1, v7, v7
	s_delay_alu instid0(VALU_DEP_1) | instskip(NEXT) | instid1(VALU_DEP_1)
	v_div_scale_f32 v5, vcc_lo, v1, v1, v1
	v_rcp_f32_e32 v7, v5
	v_nop
	s_delay_alu instid0(TRANS32_DEP_1) | instskip(NEXT) | instid1(VALU_DEP_1)
	v_fma_f32 v10, -v5, v7, 1.0
	v_fmac_f32_e32 v7, v10, v7
	s_delay_alu instid0(VALU_DEP_1) | instskip(NEXT) | instid1(VALU_DEP_1)
	v_mul_f32_e32 v10, v5, v7
	v_fma_f32 v11, -v5, v10, v5
	s_delay_alu instid0(VALU_DEP_1) | instskip(NEXT) | instid1(VALU_DEP_1)
	v_fmac_f32_e32 v10, v11, v7
	v_fma_f32 v5, -v5, v10, v5
	s_delay_alu instid0(VALU_DEP_1) | instskip(SKIP_1) | instid1(VALU_DEP_2)
	v_div_fmas_f32 v5, v5, v7, v10
	v_mov_b32_e32 v10, v6
	v_div_fixup_f32 v11, v5, v1, v1
.LBB228_94:                             ;   in Loop: Header=BB228_6 Depth=1
	s_or_b32 exec_lo, exec_lo, s2
.LBB228_95:                             ;   in Loop: Header=BB228_6 Depth=1
	s_delay_alu instid0(SALU_CYCLE_1)
	s_or_b32 exec_lo, exec_lo, s22
.LBB228_96:                             ;   in Loop: Header=BB228_6 Depth=1
	s_delay_alu instid0(SALU_CYCLE_1) | instskip(SKIP_3) | instid1(SALU_CYCLE_1)
	s_or_b32 exec_lo, exec_lo, s21
	v_cmp_neq_f32_e32 vcc_lo, 0, v8
	v_cmp_neq_f32_e64 s2, 0, v9
	s_or_b32 s2, vcc_lo, s2
	s_and_saveexec_b32 s21, s2
	s_cbranch_execz .LBB228_5
; %bb.97:                               ;   in Loop: Header=BB228_6 Depth=1
	v_mov_b32_e32 v12, 0x7f800000
	s_mov_b32 s22, exec_lo
	v_cmpx_neq_f32_e64 0x7f800000, |v9|
	s_cbranch_execz .LBB228_4
; %bb.98:                               ;   in Loop: Header=BB228_6 Depth=1
	s_mov_b32 s2, exec_lo
	v_cmpx_o_f32_e32 v8, v8
	s_xor_b32 s23, exec_lo, s2
	s_cbranch_execz .LBB228_122
; %bb.99:                               ;   in Loop: Header=BB228_6 Depth=1
	s_mov_b32 s3, exec_lo
	v_cmpx_neq_f32_e64 0x7f800000, |v8|
	s_xor_b32 s24, exec_lo, s3
	s_cbranch_execz .LBB228_115
; %bb.100:                              ;   in Loop: Header=BB228_6 Depth=1
	v_max_num_f32_e64 v1, |v9|, |v9|
	v_max_num_f32_e64 v5, |v8|, |v8|
                                        ; implicit-def: $sgpr25
	s_delay_alu instid0(VALU_DEP_1) | instskip(NEXT) | instid1(VALU_DEP_1)
	v_max_num_f32_e32 v1, v5, v1
	v_cmp_nle_f32_e64 s2, 0x7ed413cb, v1
	s_and_saveexec_b32 s3, s2
	s_delay_alu instid0(SALU_CYCLE_1)
	s_xor_b32 s3, exec_lo, s3
	s_cbranch_execz .LBB228_104
; %bb.101:                              ;   in Loop: Header=BB228_6 Depth=1
	v_cmp_ge_f32_e64 s25, 0x1000000, |v8|
	v_cmp_ge_f32_e64 s26, 0x1000000, |v9|
	s_and_b32 s27, s25, s26
	s_mov_b32 s25, 0
	s_and_saveexec_b32 s26, s27
; %bb.102:                              ;   in Loop: Header=BB228_6 Depth=1
	v_pk_mul_f32 v[8:9], v[8:9], 4.0 op_sel_hi:[1,0]
	s_mov_b32 s25, exec_lo
; %bb.103:                              ;   in Loop: Header=BB228_6 Depth=1
	s_or_b32 exec_lo, exec_lo, s26
.LBB228_104:                            ;   in Loop: Header=BB228_6 Depth=1
	s_and_not1_saveexec_b32 s3, s3
; %bb.105:                              ;   in Loop: Header=BB228_6 Depth=1
	s_delay_alu instid0(VALU_DEP_1)
	v_pk_mul_f32 v[8:9], v[8:9], s[16:17] op_sel_hi:[1,0]
	s_and_not1_b32 s25, s25, exec_lo
; %bb.106:                              ;   in Loop: Header=BB228_6 Depth=1
	s_or_b32 exec_lo, exec_lo, s3
	s_delay_alu instid0(VALU_DEP_1) | instskip(NEXT) | instid1(VALU_DEP_2)
	v_max_num_f32_e64 v1, |v9|, |v9|
	v_max_num_f32_e64 v5, |v8|, |v8|
	s_delay_alu instid0(VALU_DEP_1) | instskip(NEXT) | instid1(VALU_DEP_1)
	v_max_num_f32_e32 v1, v5, v1
	v_cvt_f64_f32_e32 v[6:7], v1
	s_delay_alu instid0(VALU_DEP_1) | instskip(NEXT) | instid1(VALU_DEP_1)
	v_frexp_exp_i32_f64_e32 v5, v[6:7]
	v_sub_nc_u32_e32 v6, 0, v5
	s_delay_alu instid0(VALU_DEP_1) | instskip(SKIP_1) | instid1(VALU_DEP_2)
	v_ldexp_f32 v7, |v9|, v6
	v_ldexp_f32 v6, |v8|, v6
	v_mul_f32_e32 v7, v7, v7
	v_cmp_neq_f32_e64 s3, 0x7f800000, v1
                                        ; implicit-def: $vgpr1
	s_delay_alu instid0(VALU_DEP_2) | instskip(NEXT) | instid1(VALU_DEP_1)
	v_fmac_f32_e32 v7, v6, v6
	v_sqrt_f32_e32 v6, v7
	v_nop
	s_delay_alu instid0(TRANS32_DEP_1) | instskip(NEXT) | instid1(VALU_DEP_1)
	v_ldexp_f32 v5, v6, v5
	v_cndmask_b32_e64 v6, 0x7f800000, v5, s3
                                        ; implicit-def: $vgpr5
	s_mov_b32 s3, exec_lo
	v_cmpx_le_f32_e32 0, v8
	s_xor_b32 s26, exec_lo, s3
	s_cbranch_execz .LBB228_108
; %bb.107:                              ;   in Loop: Header=BB228_6 Depth=1
	v_add_f32_e32 v1, v8, v6
	s_delay_alu instid0(VALU_DEP_1) | instskip(NEXT) | instid1(VALU_DEP_1)
	v_mul_f32_e32 v1, 0.5, v1
	v_mul_f32_e32 v5, 0x4f800000, v1
	v_cmp_gt_f32_e32 vcc_lo, 0xf800000, v1
	s_delay_alu instid0(VALU_DEP_2) | instskip(NEXT) | instid1(VALU_DEP_1)
	v_cndmask_b32_e32 v1, v1, v5, vcc_lo
	v_sqrt_f32_e32 v5, v1
	v_nop
	s_delay_alu instid0(TRANS32_DEP_1) | instskip(NEXT) | instid1(VALU_DEP_1)
	v_dual_add_nc_u32 v6, -1, v5 :: v_dual_add_nc_u32 v7, 1, v5
	v_dual_fma_f32 v8, -v6, v5, v1 :: v_dual_fma_f32 v12, -v7, v5, v1
	s_delay_alu instid0(VALU_DEP_1) | instskip(NEXT) | instid1(VALU_DEP_1)
	v_cmp_ge_f32_e64 s3, 0, v8
	v_cndmask_b32_e64 v5, v5, v6, s3
	s_delay_alu instid0(VALU_DEP_3) | instskip(NEXT) | instid1(VALU_DEP_1)
	v_cmp_lt_f32_e64 s3, 0, v12
	v_cndmask_b32_e64 v5, v5, v7, s3
	s_delay_alu instid0(VALU_DEP_1) | instskip(NEXT) | instid1(VALU_DEP_1)
	v_mul_f32_e32 v6, 0x37800000, v5
	v_cndmask_b32_e32 v5, v5, v6, vcc_lo
	v_cmp_class_f32_e64 vcc_lo, v1, 0x260
	s_delay_alu instid0(VALU_DEP_2) | instskip(NEXT) | instid1(VALU_DEP_1)
	v_cndmask_b32_e32 v1, v5, v1, vcc_lo
	v_add_f32_e32 v5, v1, v1
	s_delay_alu instid0(VALU_DEP_1) | instskip(NEXT) | instid1(VALU_DEP_1)
	v_div_scale_f32 v6, null, v5, v5, v9
	v_rcp_f32_e32 v7, v6
	v_nop
	s_delay_alu instid0(TRANS32_DEP_1) | instskip(NEXT) | instid1(VALU_DEP_1)
	v_fma_f32 v8, -v6, v7, 1.0
	v_fmac_f32_e32 v7, v8, v7
	v_div_scale_f32 v8, vcc_lo, v9, v5, v9
	s_delay_alu instid0(VALU_DEP_1) | instskip(NEXT) | instid1(VALU_DEP_1)
	v_mul_f32_e32 v12, v8, v7
	v_fma_f32 v20, -v6, v12, v8
	s_delay_alu instid0(VALU_DEP_1) | instskip(NEXT) | instid1(VALU_DEP_1)
	v_fmac_f32_e32 v12, v20, v7
	v_fma_f32 v6, -v6, v12, v8
	s_delay_alu instid0(VALU_DEP_1) | instskip(NEXT) | instid1(VALU_DEP_1)
	v_div_fmas_f32 v6, v6, v7, v12
	v_div_fixup_f32 v5, v6, v5, v9
                                        ; implicit-def: $vgpr6
                                        ; implicit-def: $vgpr8_vgpr9
	s_and_not1_saveexec_b32 s26, s26
	s_cbranch_execz .LBB228_110
	s_branch .LBB228_109
.LBB228_108:                            ;   in Loop: Header=BB228_6 Depth=1
	s_and_not1_saveexec_b32 s26, s26
	s_cbranch_execz .LBB228_110
.LBB228_109:                            ;   in Loop: Header=BB228_6 Depth=1
	v_sub_f32_e32 v1, v6, v8
	s_delay_alu instid0(VALU_DEP_1) | instskip(NEXT) | instid1(VALU_DEP_1)
	v_mul_f32_e32 v1, 0.5, v1
	v_mul_f32_e32 v5, 0x4f800000, v1
	v_cmp_gt_f32_e32 vcc_lo, 0xf800000, v1
	s_delay_alu instid0(VALU_DEP_2) | instskip(NEXT) | instid1(VALU_DEP_1)
	v_cndmask_b32_e32 v1, v1, v5, vcc_lo
	v_sqrt_f32_e32 v5, v1
	v_nop
	s_delay_alu instid0(TRANS32_DEP_1) | instskip(NEXT) | instid1(VALU_DEP_1)
	v_dual_add_nc_u32 v6, -1, v5 :: v_dual_add_nc_u32 v7, 1, v5
	v_dual_fma_f32 v8, -v6, v5, v1 :: v_dual_fma_f32 v12, -v7, v5, v1
	s_delay_alu instid0(VALU_DEP_1) | instskip(NEXT) | instid1(VALU_DEP_1)
	v_cmp_ge_f32_e64 s3, 0, v8
	v_cndmask_b32_e64 v5, v5, v6, s3
	s_delay_alu instid0(VALU_DEP_3) | instskip(NEXT) | instid1(VALU_DEP_1)
	v_cmp_lt_f32_e64 s3, 0, v12
	v_cndmask_b32_e64 v5, v5, v7, s3
	s_delay_alu instid0(VALU_DEP_1) | instskip(NEXT) | instid1(VALU_DEP_1)
	v_mul_f32_e32 v6, 0x37800000, v5
	v_cndmask_b32_e32 v5, v5, v6, vcc_lo
	v_cmp_class_f32_e64 vcc_lo, v1, 0x260
	s_delay_alu instid0(VALU_DEP_2) | instskip(SKIP_1) | instid1(VALU_DEP_2)
	v_cndmask_b32_e32 v5, v5, v1, vcc_lo
	v_and_b32_e32 v1, 0x7fffffff, v9
	v_add_f32_e32 v6, v5, v5
	s_delay_alu instid0(VALU_DEP_1) | instskip(SKIP_1) | instid1(VALU_DEP_2)
	v_div_scale_f32 v7, null, v6, v6, v1
	v_div_scale_f32 v1, vcc_lo, v1, v6, v1
	v_rcp_f32_e32 v8, v7
	v_nop
	s_delay_alu instid0(TRANS32_DEP_1) | instskip(NEXT) | instid1(VALU_DEP_1)
	v_fma_f32 v12, -v7, v8, 1.0
	v_fmac_f32_e32 v8, v12, v8
	s_delay_alu instid0(VALU_DEP_1) | instskip(NEXT) | instid1(VALU_DEP_1)
	v_mul_f32_e32 v12, v1, v8
	v_fma_f32 v20, -v7, v12, v1
	s_delay_alu instid0(VALU_DEP_1) | instskip(NEXT) | instid1(VALU_DEP_1)
	v_fmac_f32_e32 v12, v20, v8
	v_fma_f32 v1, -v7, v12, v1
	v_bfi_b32 v5, 0x7fffffff, v5, v9
	s_delay_alu instid0(VALU_DEP_2) | instskip(NEXT) | instid1(VALU_DEP_1)
	v_div_fmas_f32 v1, v1, v8, v12
	v_div_fixup_f32 v1, v1, v6, |v9|
.LBB228_110:                            ;   in Loop: Header=BB228_6 Depth=1
	s_or_b32 exec_lo, exec_lo, s26
                                        ; implicit-def: $vgpr9
	s_and_saveexec_b32 s3, s2
	s_delay_alu instid0(SALU_CYCLE_1)
	s_xor_b32 s2, exec_lo, s3
	s_cbranch_execz .LBB228_112
; %bb.111:                              ;   in Loop: Header=BB228_6 Depth=1
	v_mul_f32_e32 v7, 0.5, v5
	s_delay_alu instid0(VALU_DEP_1) | instskip(NEXT) | instid1(VALU_DEP_1)
	v_dual_mul_f32 v6, 0.5, v1 :: v_dual_cndmask_b32 v9, v5, v7, s25
	v_cndmask_b32_e64 v12, v1, v6, s25
                                        ; implicit-def: $vgpr1
                                        ; implicit-def: $vgpr5
	s_and_not1_saveexec_b32 s2, s2
	s_cbranch_execnz .LBB228_113
	s_branch .LBB228_114
.LBB228_112:                            ;   in Loop: Header=BB228_6 Depth=1
	s_and_not1_saveexec_b32 s2, s2
.LBB228_113:                            ;   in Loop: Header=BB228_6 Depth=1
	v_add_f32_e32 v12, v1, v1
	v_add_f32_e32 v9, v5, v5
.LBB228_114:                            ;   in Loop: Header=BB228_6 Depth=1
	s_or_b32 exec_lo, exec_lo, s2
.LBB228_115:                            ;   in Loop: Header=BB228_6 Depth=1
	s_and_not1_saveexec_b32 s2, s24
	s_cbranch_execz .LBB228_121
; %bb.116:                              ;   in Loop: Header=BB228_6 Depth=1
	s_delay_alu instid0(VALU_DEP_1) | instskip(SKIP_1) | instid1(VALU_DEP_1)
	v_sub_f32_e32 v1, v9, v9
	s_mov_b32 s3, exec_lo
	v_and_b32_e32 v12, 0x7fffffff, v1
	v_cmpx_lt_i32_e32 -1, v8
	s_xor_b32 s3, exec_lo, s3
; %bb.117:                              ;   in Loop: Header=BB228_6 Depth=1
	v_bfi_b32 v9, 0x7fffffff, v1, v9
	v_mov_b32_e32 v12, v8
; %bb.118:                              ;   in Loop: Header=BB228_6 Depth=1
	s_and_not1_saveexec_b32 s3, s3
; %bb.119:                              ;   in Loop: Header=BB228_6 Depth=1
	s_delay_alu instid0(VALU_DEP_2)
	v_bfi_b32 v9, 0x7fffffff, v8, v9
; %bb.120:                              ;   in Loop: Header=BB228_6 Depth=1
	s_or_b32 exec_lo, exec_lo, s3
.LBB228_121:                            ;   in Loop: Header=BB228_6 Depth=1
	s_delay_alu instid0(SALU_CYCLE_1)
	s_or_b32 exec_lo, exec_lo, s2
.LBB228_122:                            ;   in Loop: Header=BB228_6 Depth=1
	s_and_not1_saveexec_b32 s2, s23
	s_cbranch_execz .LBB228_3
; %bb.123:                              ;   in Loop: Header=BB228_6 Depth=1
	v_dual_sub_f32 v1, v9, v9 :: v_dual_mov_b32 v12, v8
	s_delay_alu instid0(VALU_DEP_1) | instskip(NEXT) | instid1(VALU_DEP_1)
	v_div_scale_f32 v5, vcc_lo, v1, v1, v1
	v_rcp_f32_e32 v6, v5
	v_nop
	s_delay_alu instid0(TRANS32_DEP_1) | instskip(NEXT) | instid1(VALU_DEP_1)
	v_fma_f32 v7, -v5, v6, 1.0
	v_fmac_f32_e32 v6, v7, v6
	s_delay_alu instid0(VALU_DEP_1) | instskip(NEXT) | instid1(VALU_DEP_1)
	v_mul_f32_e32 v7, v5, v6
	v_fma_f32 v9, -v5, v7, v5
	s_delay_alu instid0(VALU_DEP_1) | instskip(NEXT) | instid1(VALU_DEP_1)
	v_fmac_f32_e32 v7, v9, v6
	v_fma_f32 v5, -v5, v7, v5
	s_delay_alu instid0(VALU_DEP_1) | instskip(NEXT) | instid1(VALU_DEP_1)
	v_div_fmas_f32 v5, v5, v6, v7
	v_div_fixup_f32 v9, v5, v1, v1
	s_branch .LBB228_3
.LBB228_124:
	s_or_b32 exec_lo, exec_lo, s17
	s_mov_b32 s14, 0
.LBB228_125:
	s_delay_alu instid0(SALU_CYCLE_1)
	s_and_not1_b32 vcc_lo, exec_lo, s14
	s_cbranch_vccnz .LBB228_265
; %bb.126:
	v_cmp_lt_i64_e64 s2, s[4:5], 1
	s_and_b32 vcc_lo, exec_lo, s2
	s_cbranch_vccnz .LBB228_265
; %bb.127:
	v_min_i64 v[2:3], 0x10000, s[4:5]
	v_min_u64 v[4:5], 0x10000, s[4:5]
	s_load_b32 s0, s[0:1], 0xc5c
	v_mov_b32_e32 v1, 0
	s_mov_b32 s11, 0
	s_mov_b64 s[18:19], 0
	s_mov_b32 s13, s11
	s_mov_b32 s15, s11
	;; [unrolled: 1-line block ×4, first 2 shown]
	s_wait_kmcnt 0x0
	s_and_b32 s10, s0, 0xffff
	s_delay_alu instid0(SALU_CYCLE_1)
	s_lshl_b32 s12, s10, 1
	s_mul_i32 s14, s10, 3
	s_lshl_b32 s16, s10, 2
	s_branch .LBB228_129
.LBB228_128:                            ;   in Loop: Header=BB228_129 Depth=1
	s_wait_xcnt 0x0
	s_or_b32 exec_lo, exec_lo, s0
	s_add_nc_u64 s[18:19], s[18:19], s[16:17]
	s_delay_alu instid0(SALU_CYCLE_1)
	v_cmp_ge_i64_e32 vcc_lo, s[18:19], v[2:3]
	s_cbranch_vccnz .LBB228_265
.LBB228_129:                            ; =>This Inner Loop Header: Depth=1
	v_add_nc_u64_e32 v[6:7], s[18:19], v[0:1]
	v_mov_b64_e32 v[10:11], 0
	v_mov_b64_e32 v[18:19], 0
	s_delay_alu instid0(VALU_DEP_3)
	v_cmp_lt_u64_e64 s0, v[6:7], v[4:5]
	s_and_saveexec_b32 s1, s0
	s_cbranch_execz .LBB228_131
; %bb.130:                              ;   in Loop: Header=BB228_129 Depth=1
	v_lshl_add_u64 v[8:9], v[6:7], 3, s[6:7]
	global_load_b64 v[18:19], v[8:9], off
.LBB228_131:                            ;   in Loop: Header=BB228_129 Depth=1
	s_wait_xcnt 0x0
	s_or_b32 exec_lo, exec_lo, s1
	v_add_nc_u64_e32 v[8:9], s[10:11], v[6:7]
	s_delay_alu instid0(VALU_DEP_1)
	v_cmp_lt_u64_e64 s1, v[8:9], v[4:5]
	s_and_saveexec_b32 s2, s1
	s_cbranch_execz .LBB228_133
; %bb.132:                              ;   in Loop: Header=BB228_129 Depth=1
	v_lshl_add_u64 v[10:11], v[8:9], 3, s[6:7]
	global_load_b64 v[10:11], v[10:11], off
.LBB228_133:                            ;   in Loop: Header=BB228_129 Depth=1
	s_wait_xcnt 0x0
	s_or_b32 exec_lo, exec_lo, s2
	v_add_nc_u64_e32 v[12:13], s[12:13], v[6:7]
	v_mov_b64_e32 v[16:17], 0
	v_mov_b64_e32 v[20:21], 0
	s_delay_alu instid0(VALU_DEP_3)
	v_cmp_lt_u64_e64 s2, v[12:13], v[4:5]
	s_and_saveexec_b32 s3, s2
	s_cbranch_execz .LBB228_135
; %bb.134:                              ;   in Loop: Header=BB228_129 Depth=1
	v_lshl_add_u64 v[14:15], v[12:13], 3, s[6:7]
	global_load_b64 v[20:21], v[14:15], off
.LBB228_135:                            ;   in Loop: Header=BB228_129 Depth=1
	s_wait_xcnt 0x0
	s_or_b32 exec_lo, exec_lo, s3
	v_add_nc_u64_e32 v[14:15], s[14:15], v[6:7]
	s_delay_alu instid0(VALU_DEP_1)
	v_cmp_lt_u64_e64 s3, v[14:15], v[4:5]
	s_and_saveexec_b32 s4, s3
	s_cbranch_execz .LBB228_137
; %bb.136:                              ;   in Loop: Header=BB228_129 Depth=1
	v_lshl_add_u64 v[16:17], v[14:15], 3, s[6:7]
	global_load_b64 v[16:17], v[16:17], off
.LBB228_137:                            ;   in Loop: Header=BB228_129 Depth=1
	s_wait_xcnt 0x0
	s_or_b32 exec_lo, exec_lo, s4
	s_wait_loadcnt 0x0
	v_cmp_neq_f32_e32 vcc_lo, 0, v18
	v_cmp_neq_f32_e64 s4, 0, v19
	v_dual_mov_b32 v22, 0 :: v_dual_mov_b32 v24, 0
	s_or_b32 s4, vcc_lo, s4
	s_delay_alu instid0(SALU_CYCLE_1)
	s_and_saveexec_b32 s21, s4
	s_cbranch_execz .LBB228_166
; %bb.138:                              ;   in Loop: Header=BB228_129 Depth=1
	v_mov_b32_e32 v24, 0x7f800000
	s_mov_b32 s22, exec_lo
	v_cmpx_neq_f32_e64 0x7f800000, |v19|
	s_cbranch_execz .LBB228_165
; %bb.139:                              ;   in Loop: Header=BB228_129 Depth=1
                                        ; implicit-def: $vgpr24
	s_mov_b32 s4, exec_lo
	v_cmpx_o_f32_e32 v18, v18
	s_xor_b32 s23, exec_lo, s4
	s_cbranch_execz .LBB228_162
; %bb.140:                              ;   in Loop: Header=BB228_129 Depth=1
                                        ; implicit-def: $vgpr24
	s_mov_b32 s5, exec_lo
	v_cmpx_neq_f32_e64 0x7f800000, |v18|
	s_xor_b32 s24, exec_lo, s5
	s_cbranch_execz .LBB228_156
; %bb.141:                              ;   in Loop: Header=BB228_129 Depth=1
	v_max_num_f32_e64 v23, |v18|, |v18|
	v_max_num_f32_e64 v24, |v19|, |v19|
                                        ; implicit-def: $sgpr25
	s_delay_alu instid0(VALU_DEP_1) | instskip(NEXT) | instid1(VALU_DEP_1)
	v_max_num_f32_e32 v23, v24, v23
	v_cmp_nle_f32_e64 s4, 0x7ed413cb, v23
	s_and_saveexec_b32 s5, s4
	s_delay_alu instid0(SALU_CYCLE_1)
	s_xor_b32 s5, exec_lo, s5
	s_cbranch_execz .LBB228_145
; %bb.142:                              ;   in Loop: Header=BB228_129 Depth=1
	v_cmp_ge_f32_e64 s25, 0x1000000, |v18|
	v_cmp_ge_f32_e64 s26, 0x1000000, |v19|
	s_and_b32 s27, s26, s25
	s_mov_b32 s25, 0
	s_and_saveexec_b32 s26, s27
; %bb.143:                              ;   in Loop: Header=BB228_129 Depth=1
	v_pk_mul_f32 v[18:19], v[18:19], 4.0 op_sel_hi:[1,0]
	s_mov_b32 s25, exec_lo
; %bb.144:                              ;   in Loop: Header=BB228_129 Depth=1
	s_or_b32 exec_lo, exec_lo, s26
.LBB228_145:                            ;   in Loop: Header=BB228_129 Depth=1
	s_and_not1_saveexec_b32 s5, s5
; %bb.146:                              ;   in Loop: Header=BB228_129 Depth=1
	s_delay_alu instid0(VALU_DEP_1)
	v_pk_mul_f32 v[18:19], v[18:19], s[20:21] op_sel_hi:[1,0]
	s_and_not1_b32 s25, s25, exec_lo
; %bb.147:                              ;   in Loop: Header=BB228_129 Depth=1
	s_or_b32 exec_lo, exec_lo, s5
	s_delay_alu instid0(VALU_DEP_1) | instskip(NEXT) | instid1(VALU_DEP_2)
	v_max_num_f32_e64 v23, |v19|, |v19|
	v_max_num_f32_e64 v24, |v18|, |v18|
	s_delay_alu instid0(VALU_DEP_1) | instskip(NEXT) | instid1(VALU_DEP_1)
	v_max_num_f32_e32 v23, v24, v23
	v_cvt_f64_f32_e32 v[24:25], v23
	s_delay_alu instid0(VALU_DEP_1) | instskip(NEXT) | instid1(VALU_DEP_1)
	v_frexp_exp_i32_f64_e32 v24, v[24:25]
	v_sub_nc_u32_e32 v25, 0, v24
	v_cmp_neq_f32_e64 s5, 0x7f800000, v23
                                        ; implicit-def: $vgpr23
	s_delay_alu instid0(VALU_DEP_2) | instskip(SKIP_1) | instid1(VALU_DEP_2)
	v_ldexp_f32 v26, |v19|, v25
	v_ldexp_f32 v25, |v18|, v25
	v_mul_f32_e32 v26, v26, v26
	s_delay_alu instid0(VALU_DEP_1) | instskip(NEXT) | instid1(VALU_DEP_1)
	v_fmac_f32_e32 v26, v25, v25
	v_sqrt_f32_e32 v25, v26
	v_nop
	s_delay_alu instid0(TRANS32_DEP_1) | instskip(NEXT) | instid1(VALU_DEP_1)
	v_ldexp_f32 v24, v25, v24
                                        ; implicit-def: $vgpr25
	v_cndmask_b32_e64 v24, 0x7f800000, v24, s5
	s_mov_b32 s5, exec_lo
	v_cmpx_le_f32_e32 0, v18
	s_xor_b32 s26, exec_lo, s5
	s_cbranch_execz .LBB228_149
; %bb.148:                              ;   in Loop: Header=BB228_129 Depth=1
	v_add_f32_e32 v18, v18, v24
	s_delay_alu instid0(VALU_DEP_1) | instskip(NEXT) | instid1(VALU_DEP_1)
	v_mul_f32_e32 v18, 0.5, v18
	v_mul_f32_e32 v23, 0x4f800000, v18
	v_cmp_gt_f32_e32 vcc_lo, 0xf800000, v18
	s_delay_alu instid0(VALU_DEP_2) | instskip(NEXT) | instid1(VALU_DEP_1)
	v_cndmask_b32_e32 v18, v18, v23, vcc_lo
	v_sqrt_f32_e32 v23, v18
	v_nop
	s_delay_alu instid0(TRANS32_DEP_1) | instskip(NEXT) | instid1(VALU_DEP_1)
	v_dual_add_nc_u32 v24, -1, v23 :: v_dual_add_nc_u32 v25, 1, v23
	v_dual_fma_f32 v26, -v24, v23, v18 :: v_dual_fma_f32 v27, -v25, v23, v18
	s_delay_alu instid0(VALU_DEP_1) | instskip(NEXT) | instid1(VALU_DEP_1)
	v_cmp_ge_f32_e64 s5, 0, v26
	v_cndmask_b32_e64 v23, v23, v24, s5
	s_delay_alu instid0(VALU_DEP_3) | instskip(NEXT) | instid1(VALU_DEP_1)
	v_cmp_lt_f32_e64 s5, 0, v27
	v_cndmask_b32_e64 v23, v23, v25, s5
	s_delay_alu instid0(VALU_DEP_1) | instskip(NEXT) | instid1(VALU_DEP_1)
	v_mul_f32_e32 v24, 0x37800000, v23
	v_cndmask_b32_e32 v23, v23, v24, vcc_lo
	v_cmp_class_f32_e64 vcc_lo, v18, 0x260
	s_delay_alu instid0(VALU_DEP_2) | instskip(NEXT) | instid1(VALU_DEP_1)
	v_cndmask_b32_e32 v23, v23, v18, vcc_lo
	v_add_f32_e32 v18, v23, v23
	s_delay_alu instid0(VALU_DEP_1) | instskip(NEXT) | instid1(VALU_DEP_1)
	v_div_scale_f32 v24, null, v18, v18, v19
	v_rcp_f32_e32 v25, v24
	v_nop
	s_delay_alu instid0(TRANS32_DEP_1) | instskip(NEXT) | instid1(VALU_DEP_1)
	v_fma_f32 v26, -v24, v25, 1.0
	v_fmac_f32_e32 v25, v26, v25
	v_div_scale_f32 v26, vcc_lo, v19, v18, v19
	s_delay_alu instid0(VALU_DEP_1) | instskip(NEXT) | instid1(VALU_DEP_1)
	v_mul_f32_e32 v27, v26, v25
	v_fma_f32 v28, -v24, v27, v26
	s_delay_alu instid0(VALU_DEP_1) | instskip(NEXT) | instid1(VALU_DEP_1)
	v_fmac_f32_e32 v27, v28, v25
	v_fma_f32 v24, -v24, v27, v26
	s_delay_alu instid0(VALU_DEP_1) | instskip(NEXT) | instid1(VALU_DEP_1)
	v_div_fmas_f32 v24, v24, v25, v27
	v_div_fixup_f32 v25, v24, v18, v19
                                        ; implicit-def: $vgpr24
                                        ; implicit-def: $vgpr18_vgpr19
	s_and_not1_saveexec_b32 s26, s26
	s_cbranch_execz .LBB228_151
	s_branch .LBB228_150
.LBB228_149:                            ;   in Loop: Header=BB228_129 Depth=1
	s_and_not1_saveexec_b32 s26, s26
	s_cbranch_execz .LBB228_151
.LBB228_150:                            ;   in Loop: Header=BB228_129 Depth=1
	v_sub_f32_e32 v18, v24, v18
	s_delay_alu instid0(VALU_DEP_1) | instskip(NEXT) | instid1(VALU_DEP_1)
	v_mul_f32_e32 v18, 0.5, v18
	v_mul_f32_e32 v23, 0x4f800000, v18
	v_cmp_gt_f32_e32 vcc_lo, 0xf800000, v18
	s_delay_alu instid0(VALU_DEP_2) | instskip(NEXT) | instid1(VALU_DEP_1)
	v_cndmask_b32_e32 v18, v18, v23, vcc_lo
	v_sqrt_f32_e32 v23, v18
	v_nop
	s_delay_alu instid0(TRANS32_DEP_1) | instskip(NEXT) | instid1(VALU_DEP_1)
	v_dual_add_nc_u32 v24, -1, v23 :: v_dual_add_nc_u32 v25, 1, v23
	v_dual_fma_f32 v26, -v24, v23, v18 :: v_dual_fma_f32 v27, -v25, v23, v18
	s_delay_alu instid0(VALU_DEP_1) | instskip(NEXT) | instid1(VALU_DEP_1)
	v_cmp_ge_f32_e64 s5, 0, v26
	v_cndmask_b32_e64 v23, v23, v24, s5
	s_delay_alu instid0(VALU_DEP_3) | instskip(NEXT) | instid1(VALU_DEP_1)
	v_cmp_lt_f32_e64 s5, 0, v27
	v_cndmask_b32_e64 v23, v23, v25, s5
	s_delay_alu instid0(VALU_DEP_1) | instskip(NEXT) | instid1(VALU_DEP_1)
	v_mul_f32_e32 v24, 0x37800000, v23
	v_cndmask_b32_e32 v23, v23, v24, vcc_lo
	v_cmp_class_f32_e64 vcc_lo, v18, 0x260
	s_delay_alu instid0(VALU_DEP_2) | instskip(SKIP_1) | instid1(VALU_DEP_2)
	v_cndmask_b32_e32 v18, v23, v18, vcc_lo
	v_and_b32_e32 v23, 0x7fffffff, v19
	v_add_f32_e32 v24, v18, v18
	s_delay_alu instid0(VALU_DEP_1) | instskip(SKIP_1) | instid1(VALU_DEP_2)
	v_div_scale_f32 v25, null, v24, v24, v23
	v_div_scale_f32 v23, vcc_lo, v23, v24, v23
	v_rcp_f32_e32 v26, v25
	v_nop
	s_delay_alu instid0(TRANS32_DEP_1) | instskip(NEXT) | instid1(VALU_DEP_1)
	v_fma_f32 v27, -v25, v26, 1.0
	v_fmac_f32_e32 v26, v27, v26
	s_delay_alu instid0(VALU_DEP_1) | instskip(NEXT) | instid1(VALU_DEP_1)
	v_mul_f32_e32 v27, v23, v26
	v_fma_f32 v28, -v25, v27, v23
	s_delay_alu instid0(VALU_DEP_1) | instskip(NEXT) | instid1(VALU_DEP_1)
	v_fmac_f32_e32 v27, v28, v26
	v_fma_f32 v23, -v25, v27, v23
	v_bfi_b32 v25, 0x7fffffff, v18, v19
	s_delay_alu instid0(VALU_DEP_2) | instskip(NEXT) | instid1(VALU_DEP_1)
	v_div_fmas_f32 v23, v23, v26, v27
	v_div_fixup_f32 v23, v23, v24, |v19|
.LBB228_151:                            ;   in Loop: Header=BB228_129 Depth=1
	s_or_b32 exec_lo, exec_lo, s26
                                        ; implicit-def: $vgpr19
                                        ; implicit-def: $vgpr24
	s_and_saveexec_b32 s5, s4
	s_delay_alu instid0(SALU_CYCLE_1)
	s_xor_b32 s4, exec_lo, s5
	s_cbranch_execz .LBB228_153
; %bb.152:                              ;   in Loop: Header=BB228_129 Depth=1
	v_dual_mul_f32 v18, 0.5, v23 :: v_dual_mul_f32 v19, 0.5, v25
	s_delay_alu instid0(VALU_DEP_1)
	v_dual_cndmask_b32 v24, v23, v18, s25 :: v_dual_cndmask_b32 v19, v25, v19, s25
                                        ; implicit-def: $vgpr23
                                        ; implicit-def: $vgpr25
	s_and_not1_saveexec_b32 s4, s4
	s_cbranch_execnz .LBB228_154
	s_branch .LBB228_155
.LBB228_153:                            ;   in Loop: Header=BB228_129 Depth=1
	s_and_not1_saveexec_b32 s4, s4
.LBB228_154:                            ;   in Loop: Header=BB228_129 Depth=1
	v_dual_add_f32 v24, v23, v23 :: v_dual_add_f32 v19, v25, v25
.LBB228_155:                            ;   in Loop: Header=BB228_129 Depth=1
	s_or_b32 exec_lo, exec_lo, s4
.LBB228_156:                            ;   in Loop: Header=BB228_129 Depth=1
	s_and_not1_saveexec_b32 s4, s24
	s_cbranch_execz .LBB228_178
; %bb.157:                              ;   in Loop: Header=BB228_129 Depth=1
	s_delay_alu instid0(VALU_DEP_1) | instskip(SKIP_1) | instid1(VALU_DEP_1)
	v_sub_f32_e32 v23, v19, v19
	s_mov_b32 s5, exec_lo
	v_and_b32_e32 v24, 0x7fffffff, v23
	v_cmpx_lt_i32_e32 -1, v18
	s_xor_b32 s5, exec_lo, s5
; %bb.158:                              ;   in Loop: Header=BB228_129 Depth=1
	v_bfi_b32 v19, 0x7fffffff, v23, v19
	v_mov_b32_e32 v24, v18
; %bb.159:                              ;   in Loop: Header=BB228_129 Depth=1
	s_and_not1_saveexec_b32 s5, s5
; %bb.160:                              ;   in Loop: Header=BB228_129 Depth=1
	s_delay_alu instid0(VALU_DEP_2)
	v_bfi_b32 v19, 0x7fffffff, v18, v19
; %bb.161:                              ;   in Loop: Header=BB228_129 Depth=1
	s_or_b32 exec_lo, exec_lo, s5
	s_delay_alu instid0(SALU_CYCLE_1)
	s_or_b32 exec_lo, exec_lo, s4
.LBB228_162:                            ;   in Loop: Header=BB228_129 Depth=1
	s_and_not1_saveexec_b32 s4, s23
	s_cbranch_execz .LBB228_164
.LBB228_163:                            ;   in Loop: Header=BB228_129 Depth=1
	v_sub_f32_e32 v19, v19, v19
	s_delay_alu instid0(VALU_DEP_1) | instskip(NEXT) | instid1(VALU_DEP_1)
	v_div_scale_f32 v23, vcc_lo, v19, v19, v19
	v_rcp_f32_e32 v24, v23
	v_nop
	s_delay_alu instid0(TRANS32_DEP_1) | instskip(NEXT) | instid1(VALU_DEP_1)
	v_fma_f32 v25, -v23, v24, 1.0
	v_fmac_f32_e32 v24, v25, v24
	s_delay_alu instid0(VALU_DEP_1) | instskip(NEXT) | instid1(VALU_DEP_1)
	v_mul_f32_e32 v25, v23, v24
	v_fma_f32 v26, -v23, v25, v23
	s_delay_alu instid0(VALU_DEP_1) | instskip(NEXT) | instid1(VALU_DEP_1)
	v_fmac_f32_e32 v25, v26, v24
	v_fma_f32 v23, -v23, v25, v23
	s_delay_alu instid0(VALU_DEP_1) | instskip(SKIP_1) | instid1(VALU_DEP_2)
	v_div_fmas_f32 v23, v23, v24, v25
	v_mov_b32_e32 v24, v18
	v_div_fixup_f32 v19, v23, v19, v19
.LBB228_164:                            ;   in Loop: Header=BB228_129 Depth=1
	s_or_b32 exec_lo, exec_lo, s4
.LBB228_165:                            ;   in Loop: Header=BB228_129 Depth=1
	s_delay_alu instid0(SALU_CYCLE_1)
	s_or_b32 exec_lo, exec_lo, s22
.LBB228_166:                            ;   in Loop: Header=BB228_129 Depth=1
	s_delay_alu instid0(SALU_CYCLE_1) | instskip(SKIP_3) | instid1(SALU_CYCLE_1)
	s_or_b32 exec_lo, exec_lo, s21
	v_cmp_neq_f32_e32 vcc_lo, 0, v10
	v_cmp_neq_f32_e64 s4, 0, v11
	s_or_b32 s4, vcc_lo, s4
	s_and_saveexec_b32 s21, s4
	s_cbranch_execz .LBB228_197
; %bb.167:                              ;   in Loop: Header=BB228_129 Depth=1
	v_mov_b32_e32 v22, 0x7f800000
	s_mov_b32 s22, exec_lo
	v_cmpx_neq_f32_e64 0x7f800000, |v11|
	s_cbranch_execz .LBB228_196
; %bb.168:                              ;   in Loop: Header=BB228_129 Depth=1
                                        ; implicit-def: $vgpr22
	s_mov_b32 s4, exec_lo
	v_cmpx_o_f32_e32 v10, v10
	s_xor_b32 s23, exec_lo, s4
	s_cbranch_execz .LBB228_193
; %bb.169:                              ;   in Loop: Header=BB228_129 Depth=1
                                        ; implicit-def: $vgpr22
	s_mov_b32 s5, exec_lo
	v_cmpx_neq_f32_e64 0x7f800000, |v10|
	s_xor_b32 s24, exec_lo, s5
	s_cbranch_execz .LBB228_186
; %bb.170:                              ;   in Loop: Header=BB228_129 Depth=1
	v_max_num_f32_e64 v18, |v10|, |v10|
	v_max_num_f32_e64 v22, |v11|, |v11|
                                        ; implicit-def: $sgpr25
	s_delay_alu instid0(VALU_DEP_1) | instskip(NEXT) | instid1(VALU_DEP_1)
	v_max_num_f32_e32 v18, v22, v18
	v_cmp_nle_f32_e64 s4, 0x7ed413cb, v18
	s_and_saveexec_b32 s5, s4
	s_delay_alu instid0(SALU_CYCLE_1)
	s_xor_b32 s5, exec_lo, s5
	s_cbranch_execz .LBB228_174
; %bb.171:                              ;   in Loop: Header=BB228_129 Depth=1
	v_cmp_ge_f32_e64 s25, 0x1000000, |v10|
	v_cmp_ge_f32_e64 s26, 0x1000000, |v11|
	s_and_b32 s27, s26, s25
	s_mov_b32 s25, 0
	s_and_saveexec_b32 s26, s27
; %bb.172:                              ;   in Loop: Header=BB228_129 Depth=1
	v_pk_mul_f32 v[10:11], v[10:11], 4.0 op_sel_hi:[1,0]
	s_mov_b32 s25, exec_lo
; %bb.173:                              ;   in Loop: Header=BB228_129 Depth=1
	s_or_b32 exec_lo, exec_lo, s26
.LBB228_174:                            ;   in Loop: Header=BB228_129 Depth=1
	s_and_not1_saveexec_b32 s5, s5
; %bb.175:                              ;   in Loop: Header=BB228_129 Depth=1
	s_delay_alu instid0(VALU_DEP_1)
	v_pk_mul_f32 v[10:11], v[10:11], s[20:21] op_sel_hi:[1,0]
	s_and_not1_b32 s25, s25, exec_lo
; %bb.176:                              ;   in Loop: Header=BB228_129 Depth=1
	s_or_b32 exec_lo, exec_lo, s5
	s_delay_alu instid0(VALU_DEP_1) | instskip(NEXT) | instid1(VALU_DEP_2)
	v_max_num_f32_e64 v18, |v11|, |v11|
	v_max_num_f32_e64 v22, |v10|, |v10|
	s_delay_alu instid0(VALU_DEP_1) | instskip(NEXT) | instid1(VALU_DEP_1)
	v_max_num_f32_e32 v18, v22, v18
	v_cvt_f64_f32_e32 v[22:23], v18
	s_delay_alu instid0(VALU_DEP_1) | instskip(NEXT) | instid1(VALU_DEP_1)
	v_frexp_exp_i32_f64_e32 v22, v[22:23]
	v_sub_nc_u32_e32 v23, 0, v22
	s_delay_alu instid0(VALU_DEP_1) | instskip(SKIP_1) | instid1(VALU_DEP_2)
	v_ldexp_f32 v25, |v11|, v23
	v_ldexp_f32 v23, |v10|, v23
	v_mul_f32_e32 v25, v25, v25
	v_cmp_neq_f32_e64 s5, 0x7f800000, v18
                                        ; implicit-def: $vgpr18
	s_delay_alu instid0(VALU_DEP_2) | instskip(NEXT) | instid1(VALU_DEP_1)
	v_fmac_f32_e32 v25, v23, v23
	v_sqrt_f32_e32 v23, v25
	v_nop
	s_delay_alu instid0(TRANS32_DEP_1) | instskip(NEXT) | instid1(VALU_DEP_1)
	v_ldexp_f32 v22, v23, v22
                                        ; implicit-def: $vgpr23
	v_cndmask_b32_e64 v22, 0x7f800000, v22, s5
	s_mov_b32 s5, exec_lo
	v_cmpx_le_f32_e32 0, v10
	s_xor_b32 s26, exec_lo, s5
	s_cbranch_execz .LBB228_179
; %bb.177:                              ;   in Loop: Header=BB228_129 Depth=1
	v_add_f32_e32 v10, v10, v22
	s_delay_alu instid0(VALU_DEP_1) | instskip(NEXT) | instid1(VALU_DEP_1)
	v_mul_f32_e32 v10, 0.5, v10
	v_mul_f32_e32 v18, 0x4f800000, v10
	v_cmp_gt_f32_e32 vcc_lo, 0xf800000, v10
	s_delay_alu instid0(VALU_DEP_2) | instskip(NEXT) | instid1(VALU_DEP_1)
	v_cndmask_b32_e32 v10, v10, v18, vcc_lo
	v_sqrt_f32_e32 v18, v10
	v_nop
	s_delay_alu instid0(TRANS32_DEP_1) | instskip(NEXT) | instid1(VALU_DEP_1)
	v_dual_add_nc_u32 v22, -1, v18 :: v_dual_add_nc_u32 v23, 1, v18
	v_dual_fma_f32 v25, -v22, v18, v10 :: v_dual_fma_f32 v26, -v23, v18, v10
	s_delay_alu instid0(VALU_DEP_1) | instskip(NEXT) | instid1(VALU_DEP_1)
	v_cmp_ge_f32_e64 s5, 0, v25
	v_cndmask_b32_e64 v18, v18, v22, s5
	s_delay_alu instid0(VALU_DEP_3) | instskip(NEXT) | instid1(VALU_DEP_1)
	v_cmp_lt_f32_e64 s5, 0, v26
	v_cndmask_b32_e64 v18, v18, v23, s5
	s_delay_alu instid0(VALU_DEP_1) | instskip(NEXT) | instid1(VALU_DEP_1)
	v_mul_f32_e32 v22, 0x37800000, v18
	v_cndmask_b32_e32 v18, v18, v22, vcc_lo
	v_cmp_class_f32_e64 vcc_lo, v10, 0x260
	s_delay_alu instid0(VALU_DEP_2) | instskip(NEXT) | instid1(VALU_DEP_1)
	v_cndmask_b32_e32 v18, v18, v10, vcc_lo
	v_add_f32_e32 v10, v18, v18
	s_delay_alu instid0(VALU_DEP_1) | instskip(NEXT) | instid1(VALU_DEP_1)
	v_div_scale_f32 v22, null, v10, v10, v11
	v_rcp_f32_e32 v23, v22
	v_nop
	s_delay_alu instid0(TRANS32_DEP_1) | instskip(NEXT) | instid1(VALU_DEP_1)
	v_fma_f32 v25, -v22, v23, 1.0
	v_fmac_f32_e32 v23, v25, v23
	v_div_scale_f32 v25, vcc_lo, v11, v10, v11
	s_delay_alu instid0(VALU_DEP_1) | instskip(NEXT) | instid1(VALU_DEP_1)
	v_mul_f32_e32 v26, v25, v23
	v_fma_f32 v27, -v22, v26, v25
	s_delay_alu instid0(VALU_DEP_1) | instskip(NEXT) | instid1(VALU_DEP_1)
	v_fmac_f32_e32 v26, v27, v23
	v_fma_f32 v22, -v22, v26, v25
	s_delay_alu instid0(VALU_DEP_1) | instskip(NEXT) | instid1(VALU_DEP_1)
	v_div_fmas_f32 v22, v22, v23, v26
	v_div_fixup_f32 v23, v22, v10, v11
                                        ; implicit-def: $vgpr22
                                        ; implicit-def: $vgpr10_vgpr11
	s_and_not1_saveexec_b32 s26, s26
	s_cbranch_execz .LBB228_181
	s_branch .LBB228_180
.LBB228_178:                            ;   in Loop: Header=BB228_129 Depth=1
	s_or_b32 exec_lo, exec_lo, s4
	s_and_not1_saveexec_b32 s4, s23
	s_cbranch_execnz .LBB228_163
	s_branch .LBB228_164
.LBB228_179:                            ;   in Loop: Header=BB228_129 Depth=1
	s_and_not1_saveexec_b32 s26, s26
	s_cbranch_execz .LBB228_181
.LBB228_180:                            ;   in Loop: Header=BB228_129 Depth=1
	v_sub_f32_e32 v10, v22, v10
	s_delay_alu instid0(VALU_DEP_1) | instskip(NEXT) | instid1(VALU_DEP_1)
	v_mul_f32_e32 v10, 0.5, v10
	v_mul_f32_e32 v18, 0x4f800000, v10
	v_cmp_gt_f32_e32 vcc_lo, 0xf800000, v10
	s_delay_alu instid0(VALU_DEP_2) | instskip(NEXT) | instid1(VALU_DEP_1)
	v_cndmask_b32_e32 v10, v10, v18, vcc_lo
	v_sqrt_f32_e32 v18, v10
	v_nop
	s_delay_alu instid0(TRANS32_DEP_1) | instskip(NEXT) | instid1(VALU_DEP_1)
	v_dual_add_nc_u32 v22, -1, v18 :: v_dual_add_nc_u32 v23, 1, v18
	v_dual_fma_f32 v25, -v22, v18, v10 :: v_dual_fma_f32 v26, -v23, v18, v10
	s_delay_alu instid0(VALU_DEP_1) | instskip(NEXT) | instid1(VALU_DEP_1)
	v_cmp_ge_f32_e64 s5, 0, v25
	v_cndmask_b32_e64 v18, v18, v22, s5
	s_delay_alu instid0(VALU_DEP_3) | instskip(NEXT) | instid1(VALU_DEP_1)
	v_cmp_lt_f32_e64 s5, 0, v26
	v_cndmask_b32_e64 v18, v18, v23, s5
	s_delay_alu instid0(VALU_DEP_1) | instskip(NEXT) | instid1(VALU_DEP_1)
	v_mul_f32_e32 v22, 0x37800000, v18
	v_cndmask_b32_e32 v18, v18, v22, vcc_lo
	v_cmp_class_f32_e64 vcc_lo, v10, 0x260
	s_delay_alu instid0(VALU_DEP_2) | instskip(SKIP_1) | instid1(VALU_DEP_2)
	v_cndmask_b32_e32 v10, v18, v10, vcc_lo
	v_and_b32_e32 v18, 0x7fffffff, v11
	v_add_f32_e32 v22, v10, v10
	s_delay_alu instid0(VALU_DEP_1) | instskip(SKIP_1) | instid1(VALU_DEP_2)
	v_div_scale_f32 v23, null, v22, v22, v18
	v_div_scale_f32 v18, vcc_lo, v18, v22, v18
	v_rcp_f32_e32 v25, v23
	v_nop
	s_delay_alu instid0(TRANS32_DEP_1) | instskip(NEXT) | instid1(VALU_DEP_1)
	v_fma_f32 v26, -v23, v25, 1.0
	v_fmac_f32_e32 v25, v26, v25
	s_delay_alu instid0(VALU_DEP_1) | instskip(NEXT) | instid1(VALU_DEP_1)
	v_mul_f32_e32 v26, v18, v25
	v_fma_f32 v27, -v23, v26, v18
	s_delay_alu instid0(VALU_DEP_1) | instskip(NEXT) | instid1(VALU_DEP_1)
	v_fmac_f32_e32 v26, v27, v25
	v_fma_f32 v18, -v23, v26, v18
	v_bfi_b32 v23, 0x7fffffff, v10, v11
	s_delay_alu instid0(VALU_DEP_2) | instskip(NEXT) | instid1(VALU_DEP_1)
	v_div_fmas_f32 v18, v18, v25, v26
	v_div_fixup_f32 v18, v18, v22, |v11|
.LBB228_181:                            ;   in Loop: Header=BB228_129 Depth=1
	s_or_b32 exec_lo, exec_lo, s26
                                        ; implicit-def: $vgpr11
                                        ; implicit-def: $vgpr22
	s_and_saveexec_b32 s5, s4
	s_delay_alu instid0(SALU_CYCLE_1)
	s_xor_b32 s4, exec_lo, s5
	s_cbranch_execz .LBB228_183
; %bb.182:                              ;   in Loop: Header=BB228_129 Depth=1
	v_dual_mul_f32 v10, 0.5, v18 :: v_dual_mul_f32 v11, 0.5, v23
	s_delay_alu instid0(VALU_DEP_1)
	v_dual_cndmask_b32 v22, v18, v10, s25 :: v_dual_cndmask_b32 v11, v23, v11, s25
                                        ; implicit-def: $vgpr18
                                        ; implicit-def: $vgpr23
	s_and_not1_saveexec_b32 s4, s4
	s_cbranch_execnz .LBB228_184
	s_branch .LBB228_185
.LBB228_183:                            ;   in Loop: Header=BB228_129 Depth=1
	s_and_not1_saveexec_b32 s4, s4
.LBB228_184:                            ;   in Loop: Header=BB228_129 Depth=1
	v_dual_add_f32 v22, v18, v18 :: v_dual_add_f32 v11, v23, v23
.LBB228_185:                            ;   in Loop: Header=BB228_129 Depth=1
	s_or_b32 exec_lo, exec_lo, s4
.LBB228_186:                            ;   in Loop: Header=BB228_129 Depth=1
	s_and_not1_saveexec_b32 s4, s24
	s_cbranch_execz .LBB228_192
; %bb.187:                              ;   in Loop: Header=BB228_129 Depth=1
	s_delay_alu instid0(VALU_DEP_1) | instskip(SKIP_1) | instid1(VALU_DEP_1)
	v_sub_f32_e32 v18, v11, v11
	s_mov_b32 s5, exec_lo
	v_and_b32_e32 v22, 0x7fffffff, v18
	v_cmpx_lt_i32_e32 -1, v10
	s_xor_b32 s5, exec_lo, s5
; %bb.188:                              ;   in Loop: Header=BB228_129 Depth=1
	v_bfi_b32 v11, 0x7fffffff, v18, v11
	v_mov_b32_e32 v22, v10
; %bb.189:                              ;   in Loop: Header=BB228_129 Depth=1
	s_and_not1_saveexec_b32 s5, s5
; %bb.190:                              ;   in Loop: Header=BB228_129 Depth=1
	s_delay_alu instid0(VALU_DEP_2)
	v_bfi_b32 v11, 0x7fffffff, v10, v11
; %bb.191:                              ;   in Loop: Header=BB228_129 Depth=1
	s_or_b32 exec_lo, exec_lo, s5
.LBB228_192:                            ;   in Loop: Header=BB228_129 Depth=1
	s_delay_alu instid0(SALU_CYCLE_1)
	s_or_b32 exec_lo, exec_lo, s4
.LBB228_193:                            ;   in Loop: Header=BB228_129 Depth=1
	s_and_not1_saveexec_b32 s4, s23
	s_cbranch_execz .LBB228_195
; %bb.194:                              ;   in Loop: Header=BB228_129 Depth=1
	v_sub_f32_e32 v11, v11, v11
	s_delay_alu instid0(VALU_DEP_1) | instskip(NEXT) | instid1(VALU_DEP_1)
	v_div_scale_f32 v18, vcc_lo, v11, v11, v11
	v_rcp_f32_e32 v22, v18
	v_nop
	s_delay_alu instid0(TRANS32_DEP_1) | instskip(NEXT) | instid1(VALU_DEP_1)
	v_fma_f32 v23, -v18, v22, 1.0
	v_fmac_f32_e32 v22, v23, v22
	s_delay_alu instid0(VALU_DEP_1) | instskip(NEXT) | instid1(VALU_DEP_1)
	v_mul_f32_e32 v23, v18, v22
	v_fma_f32 v25, -v18, v23, v18
	s_delay_alu instid0(VALU_DEP_1) | instskip(NEXT) | instid1(VALU_DEP_1)
	v_fmac_f32_e32 v23, v25, v22
	v_fma_f32 v18, -v18, v23, v18
	s_delay_alu instid0(VALU_DEP_1) | instskip(SKIP_1) | instid1(VALU_DEP_2)
	v_div_fmas_f32 v18, v18, v22, v23
	v_mov_b32_e32 v22, v10
	v_div_fixup_f32 v11, v18, v11, v11
.LBB228_195:                            ;   in Loop: Header=BB228_129 Depth=1
	s_or_b32 exec_lo, exec_lo, s4
.LBB228_196:                            ;   in Loop: Header=BB228_129 Depth=1
	s_delay_alu instid0(SALU_CYCLE_1)
	s_or_b32 exec_lo, exec_lo, s22
.LBB228_197:                            ;   in Loop: Header=BB228_129 Depth=1
	s_delay_alu instid0(SALU_CYCLE_1) | instskip(SKIP_4) | instid1(SALU_CYCLE_1)
	s_or_b32 exec_lo, exec_lo, s21
	v_cmp_neq_f32_e32 vcc_lo, 0, v20
	v_cmp_neq_f32_e64 s4, 0, v21
	v_dual_mov_b32 v10, 0 :: v_dual_mov_b32 v18, 0
	s_or_b32 s4, vcc_lo, s4
	s_and_saveexec_b32 s21, s4
	s_cbranch_execz .LBB228_227
; %bb.198:                              ;   in Loop: Header=BB228_129 Depth=1
	v_mov_b32_e32 v18, 0x7f800000
	s_mov_b32 s22, exec_lo
	v_cmpx_neq_f32_e64 0x7f800000, |v21|
	s_cbranch_execz .LBB228_226
; %bb.199:                              ;   in Loop: Header=BB228_129 Depth=1
                                        ; implicit-def: $vgpr18
	s_mov_b32 s4, exec_lo
	v_cmpx_o_f32_e32 v20, v20
	s_xor_b32 s23, exec_lo, s4
	s_cbranch_execz .LBB228_223
; %bb.200:                              ;   in Loop: Header=BB228_129 Depth=1
                                        ; implicit-def: $vgpr18
	s_mov_b32 s5, exec_lo
	v_cmpx_neq_f32_e64 0x7f800000, |v20|
	s_xor_b32 s24, exec_lo, s5
	s_cbranch_execz .LBB228_216
; %bb.201:                              ;   in Loop: Header=BB228_129 Depth=1
	v_max_num_f32_e64 v18, |v20|, |v20|
	v_max_num_f32_e64 v23, |v21|, |v21|
                                        ; implicit-def: $sgpr25
	s_delay_alu instid0(VALU_DEP_1) | instskip(NEXT) | instid1(VALU_DEP_1)
	v_max_num_f32_e32 v18, v23, v18
	v_cmp_nle_f32_e64 s4, 0x7ed413cb, v18
	s_and_saveexec_b32 s5, s4
	s_delay_alu instid0(SALU_CYCLE_1)
	s_xor_b32 s5, exec_lo, s5
	s_cbranch_execz .LBB228_205
; %bb.202:                              ;   in Loop: Header=BB228_129 Depth=1
	v_cmp_ge_f32_e64 s25, 0x1000000, |v20|
	v_cmp_ge_f32_e64 s26, 0x1000000, |v21|
	s_and_b32 s27, s26, s25
	s_mov_b32 s25, 0
	s_and_saveexec_b32 s26, s27
; %bb.203:                              ;   in Loop: Header=BB228_129 Depth=1
	v_pk_mul_f32 v[20:21], v[20:21], 4.0 op_sel_hi:[1,0]
	s_mov_b32 s25, exec_lo
; %bb.204:                              ;   in Loop: Header=BB228_129 Depth=1
	s_or_b32 exec_lo, exec_lo, s26
.LBB228_205:                            ;   in Loop: Header=BB228_129 Depth=1
	s_and_not1_saveexec_b32 s5, s5
; %bb.206:                              ;   in Loop: Header=BB228_129 Depth=1
	s_delay_alu instid0(VALU_DEP_1)
	v_pk_mul_f32 v[20:21], v[20:21], s[20:21] op_sel_hi:[1,0]
	s_and_not1_b32 s25, s25, exec_lo
; %bb.207:                              ;   in Loop: Header=BB228_129 Depth=1
	s_or_b32 exec_lo, exec_lo, s5
	s_delay_alu instid0(VALU_DEP_1) | instskip(NEXT) | instid1(VALU_DEP_2)
	v_max_num_f32_e64 v18, |v21|, |v21|
	v_max_num_f32_e64 v23, |v20|, |v20|
	s_delay_alu instid0(VALU_DEP_1) | instskip(NEXT) | instid1(VALU_DEP_1)
	v_max_num_f32_e32 v18, v23, v18
	v_cvt_f64_f32_e32 v[26:27], v18
	s_delay_alu instid0(VALU_DEP_1) | instskip(NEXT) | instid1(VALU_DEP_1)
	v_frexp_exp_i32_f64_e32 v23, v[26:27]
	v_sub_nc_u32_e32 v25, 0, v23
	v_cmp_neq_f32_e64 s5, 0x7f800000, v18
	s_delay_alu instid0(VALU_DEP_2) | instskip(SKIP_1) | instid1(VALU_DEP_2)
	v_ldexp_f32 v26, |v21|, v25
	v_ldexp_f32 v25, |v20|, v25
	v_mul_f32_e32 v26, v26, v26
	s_delay_alu instid0(VALU_DEP_1) | instskip(NEXT) | instid1(VALU_DEP_1)
	v_fmac_f32_e32 v26, v25, v25
	v_sqrt_f32_e32 v25, v26
	v_nop
	s_delay_alu instid0(TRANS32_DEP_1) | instskip(NEXT) | instid1(VALU_DEP_1)
	v_ldexp_f32 v23, v25, v23
                                        ; implicit-def: $vgpr25
	v_cndmask_b32_e64 v18, 0x7f800000, v23, s5
                                        ; implicit-def: $vgpr23
	s_mov_b32 s5, exec_lo
	v_cmpx_le_f32_e32 0, v20
	s_xor_b32 s26, exec_lo, s5
	s_cbranch_execz .LBB228_209
; %bb.208:                              ;   in Loop: Header=BB228_129 Depth=1
	v_add_f32_e32 v18, v20, v18
	s_delay_alu instid0(VALU_DEP_1) | instskip(NEXT) | instid1(VALU_DEP_1)
	v_mul_f32_e32 v18, 0.5, v18
	v_mul_f32_e32 v20, 0x4f800000, v18
	v_cmp_gt_f32_e32 vcc_lo, 0xf800000, v18
	s_delay_alu instid0(VALU_DEP_2) | instskip(NEXT) | instid1(VALU_DEP_1)
	v_cndmask_b32_e32 v18, v18, v20, vcc_lo
	v_sqrt_f32_e32 v20, v18
	v_nop
	s_delay_alu instid0(TRANS32_DEP_1) | instskip(NEXT) | instid1(VALU_DEP_1)
	v_dual_add_nc_u32 v23, -1, v20 :: v_dual_add_nc_u32 v25, 1, v20
	v_dual_fma_f32 v26, -v23, v20, v18 :: v_dual_fma_f32 v27, -v25, v20, v18
	s_delay_alu instid0(VALU_DEP_1) | instskip(NEXT) | instid1(VALU_DEP_1)
	v_cmp_ge_f32_e64 s5, 0, v26
	v_cndmask_b32_e64 v20, v20, v23, s5
	s_delay_alu instid0(VALU_DEP_3) | instskip(NEXT) | instid1(VALU_DEP_1)
	v_cmp_lt_f32_e64 s5, 0, v27
	v_cndmask_b32_e64 v20, v20, v25, s5
	s_delay_alu instid0(VALU_DEP_1) | instskip(NEXT) | instid1(VALU_DEP_1)
	v_mul_f32_e32 v23, 0x37800000, v20
	v_cndmask_b32_e32 v20, v20, v23, vcc_lo
	v_cmp_class_f32_e64 vcc_lo, v18, 0x260
	s_delay_alu instid0(VALU_DEP_2) | instskip(NEXT) | instid1(VALU_DEP_1)
	v_cndmask_b32_e32 v23, v20, v18, vcc_lo
	v_add_f32_e32 v18, v23, v23
	s_delay_alu instid0(VALU_DEP_1) | instskip(NEXT) | instid1(VALU_DEP_1)
	v_div_scale_f32 v20, null, v18, v18, v21
	v_rcp_f32_e32 v25, v20
	v_nop
	s_delay_alu instid0(TRANS32_DEP_1) | instskip(NEXT) | instid1(VALU_DEP_1)
	v_fma_f32 v26, -v20, v25, 1.0
	v_fmac_f32_e32 v25, v26, v25
	v_div_scale_f32 v26, vcc_lo, v21, v18, v21
	s_delay_alu instid0(VALU_DEP_1) | instskip(NEXT) | instid1(VALU_DEP_1)
	v_mul_f32_e32 v27, v26, v25
	v_fma_f32 v28, -v20, v27, v26
	s_delay_alu instid0(VALU_DEP_1) | instskip(NEXT) | instid1(VALU_DEP_1)
	v_fmac_f32_e32 v27, v28, v25
	v_fma_f32 v20, -v20, v27, v26
	s_delay_alu instid0(VALU_DEP_1) | instskip(NEXT) | instid1(VALU_DEP_1)
	v_div_fmas_f32 v20, v20, v25, v27
	v_div_fixup_f32 v25, v20, v18, v21
                                        ; implicit-def: $vgpr18
                                        ; implicit-def: $vgpr20_vgpr21
	s_and_not1_saveexec_b32 s26, s26
	s_cbranch_execz .LBB228_211
	s_branch .LBB228_210
.LBB228_209:                            ;   in Loop: Header=BB228_129 Depth=1
	s_and_not1_saveexec_b32 s26, s26
	s_cbranch_execz .LBB228_211
.LBB228_210:                            ;   in Loop: Header=BB228_129 Depth=1
	v_sub_f32_e32 v18, v18, v20
	s_delay_alu instid0(VALU_DEP_1) | instskip(NEXT) | instid1(VALU_DEP_1)
	v_mul_f32_e32 v18, 0.5, v18
	v_mul_f32_e32 v20, 0x4f800000, v18
	v_cmp_gt_f32_e32 vcc_lo, 0xf800000, v18
	s_delay_alu instid0(VALU_DEP_2) | instskip(NEXT) | instid1(VALU_DEP_1)
	v_cndmask_b32_e32 v18, v18, v20, vcc_lo
	v_sqrt_f32_e32 v20, v18
	v_nop
	s_delay_alu instid0(TRANS32_DEP_1) | instskip(NEXT) | instid1(VALU_DEP_1)
	v_dual_add_nc_u32 v23, -1, v20 :: v_dual_add_nc_u32 v25, 1, v20
	v_dual_fma_f32 v26, -v23, v20, v18 :: v_dual_fma_f32 v27, -v25, v20, v18
	s_delay_alu instid0(VALU_DEP_1) | instskip(NEXT) | instid1(VALU_DEP_1)
	v_cmp_ge_f32_e64 s5, 0, v26
	v_cndmask_b32_e64 v20, v20, v23, s5
	s_delay_alu instid0(VALU_DEP_3) | instskip(NEXT) | instid1(VALU_DEP_1)
	v_cmp_lt_f32_e64 s5, 0, v27
	v_cndmask_b32_e64 v20, v20, v25, s5
	s_delay_alu instid0(VALU_DEP_1) | instskip(NEXT) | instid1(VALU_DEP_1)
	v_mul_f32_e32 v23, 0x37800000, v20
	v_cndmask_b32_e32 v20, v20, v23, vcc_lo
	v_cmp_class_f32_e64 vcc_lo, v18, 0x260
	s_delay_alu instid0(VALU_DEP_2) | instskip(SKIP_1) | instid1(VALU_DEP_2)
	v_cndmask_b32_e32 v18, v20, v18, vcc_lo
	v_and_b32_e32 v20, 0x7fffffff, v21
	v_add_f32_e32 v23, v18, v18
	s_delay_alu instid0(VALU_DEP_1) | instskip(SKIP_1) | instid1(VALU_DEP_2)
	v_div_scale_f32 v25, null, v23, v23, v20
	v_div_scale_f32 v20, vcc_lo, v20, v23, v20
	v_rcp_f32_e32 v26, v25
	v_nop
	s_delay_alu instid0(TRANS32_DEP_1) | instskip(NEXT) | instid1(VALU_DEP_1)
	v_fma_f32 v27, -v25, v26, 1.0
	v_fmac_f32_e32 v26, v27, v26
	s_delay_alu instid0(VALU_DEP_1) | instskip(NEXT) | instid1(VALU_DEP_1)
	v_mul_f32_e32 v27, v20, v26
	v_fma_f32 v28, -v25, v27, v20
	s_delay_alu instid0(VALU_DEP_1) | instskip(NEXT) | instid1(VALU_DEP_1)
	v_fmac_f32_e32 v27, v28, v26
	v_fma_f32 v20, -v25, v27, v20
	v_bfi_b32 v25, 0x7fffffff, v18, v21
	s_delay_alu instid0(VALU_DEP_2) | instskip(NEXT) | instid1(VALU_DEP_1)
	v_div_fmas_f32 v20, v20, v26, v27
	v_div_fixup_f32 v23, v20, v23, |v21|
.LBB228_211:                            ;   in Loop: Header=BB228_129 Depth=1
	s_or_b32 exec_lo, exec_lo, s26
                                        ; implicit-def: $vgpr21
                                        ; implicit-def: $vgpr18
	s_and_saveexec_b32 s5, s4
	s_delay_alu instid0(SALU_CYCLE_1)
	s_xor_b32 s4, exec_lo, s5
	s_cbranch_execz .LBB228_213
; %bb.212:                              ;   in Loop: Header=BB228_129 Depth=1
	v_dual_mul_f32 v18, 0.5, v23 :: v_dual_mul_f32 v20, 0.5, v25
	s_delay_alu instid0(VALU_DEP_1)
	v_dual_cndmask_b32 v18, v23, v18, s25 :: v_dual_cndmask_b32 v21, v25, v20, s25
                                        ; implicit-def: $vgpr23
                                        ; implicit-def: $vgpr25
	s_and_not1_saveexec_b32 s4, s4
	s_cbranch_execnz .LBB228_214
	s_branch .LBB228_215
.LBB228_213:                            ;   in Loop: Header=BB228_129 Depth=1
	s_and_not1_saveexec_b32 s4, s4
.LBB228_214:                            ;   in Loop: Header=BB228_129 Depth=1
	v_dual_add_f32 v18, v23, v23 :: v_dual_add_f32 v21, v25, v25
.LBB228_215:                            ;   in Loop: Header=BB228_129 Depth=1
	s_or_b32 exec_lo, exec_lo, s4
.LBB228_216:                            ;   in Loop: Header=BB228_129 Depth=1
	s_and_not1_saveexec_b32 s4, s24
	s_cbranch_execz .LBB228_222
; %bb.217:                              ;   in Loop: Header=BB228_129 Depth=1
	s_delay_alu instid0(VALU_DEP_1) | instskip(SKIP_1) | instid1(VALU_DEP_1)
	v_sub_f32_e32 v23, v21, v21
	s_mov_b32 s5, exec_lo
	v_and_b32_e32 v18, 0x7fffffff, v23
	v_cmpx_lt_i32_e32 -1, v20
	s_xor_b32 s5, exec_lo, s5
; %bb.218:                              ;   in Loop: Header=BB228_129 Depth=1
	v_bfi_b32 v21, 0x7fffffff, v23, v21
	v_mov_b32_e32 v18, v20
; %bb.219:                              ;   in Loop: Header=BB228_129 Depth=1
	s_and_not1_saveexec_b32 s5, s5
; %bb.220:                              ;   in Loop: Header=BB228_129 Depth=1
	s_delay_alu instid0(VALU_DEP_2)
	v_bfi_b32 v21, 0x7fffffff, v20, v21
; %bb.221:                              ;   in Loop: Header=BB228_129 Depth=1
	s_or_b32 exec_lo, exec_lo, s5
.LBB228_222:                            ;   in Loop: Header=BB228_129 Depth=1
	s_delay_alu instid0(SALU_CYCLE_1)
	s_or_b32 exec_lo, exec_lo, s4
.LBB228_223:                            ;   in Loop: Header=BB228_129 Depth=1
	s_and_not1_saveexec_b32 s4, s23
	s_cbranch_execz .LBB228_225
; %bb.224:                              ;   in Loop: Header=BB228_129 Depth=1
	v_sub_f32_e32 v18, v21, v21
	s_delay_alu instid0(VALU_DEP_1) | instskip(NEXT) | instid1(VALU_DEP_1)
	v_div_scale_f32 v21, vcc_lo, v18, v18, v18
	v_rcp_f32_e32 v23, v21
	v_nop
	s_delay_alu instid0(TRANS32_DEP_1) | instskip(NEXT) | instid1(VALU_DEP_1)
	v_fma_f32 v25, -v21, v23, 1.0
	v_fmac_f32_e32 v23, v25, v23
	s_delay_alu instid0(VALU_DEP_1) | instskip(NEXT) | instid1(VALU_DEP_1)
	v_mul_f32_e32 v25, v21, v23
	v_fma_f32 v26, -v21, v25, v21
	s_delay_alu instid0(VALU_DEP_1) | instskip(NEXT) | instid1(VALU_DEP_1)
	v_fmac_f32_e32 v25, v26, v23
	v_fma_f32 v21, -v21, v25, v21
	s_delay_alu instid0(VALU_DEP_1) | instskip(NEXT) | instid1(VALU_DEP_1)
	v_div_fmas_f32 v21, v21, v23, v25
	v_div_fixup_f32 v21, v21, v18, v18
	v_mov_b32_e32 v18, v20
.LBB228_225:                            ;   in Loop: Header=BB228_129 Depth=1
	s_or_b32 exec_lo, exec_lo, s4
.LBB228_226:                            ;   in Loop: Header=BB228_129 Depth=1
	s_delay_alu instid0(SALU_CYCLE_1)
	s_or_b32 exec_lo, exec_lo, s22
.LBB228_227:                            ;   in Loop: Header=BB228_129 Depth=1
	s_delay_alu instid0(SALU_CYCLE_1) | instskip(SKIP_3) | instid1(SALU_CYCLE_1)
	s_or_b32 exec_lo, exec_lo, s21
	v_cmp_neq_f32_e32 vcc_lo, 0, v16
	v_cmp_neq_f32_e64 s4, 0, v17
	s_or_b32 s4, vcc_lo, s4
	s_and_saveexec_b32 s21, s4
	s_cbranch_execz .LBB228_239
; %bb.228:                              ;   in Loop: Header=BB228_129 Depth=1
	v_mov_b32_e32 v10, 0x7f800000
	s_mov_b32 s22, exec_lo
	v_cmpx_neq_f32_e64 0x7f800000, |v17|
	s_cbranch_execz .LBB228_260
; %bb.229:                              ;   in Loop: Header=BB228_129 Depth=1
                                        ; implicit-def: $vgpr10
	s_mov_b32 s4, exec_lo
	v_cmpx_o_f32_e32 v16, v16
	s_xor_b32 s23, exec_lo, s4
	s_cbranch_execz .LBB228_257
; %bb.230:                              ;   in Loop: Header=BB228_129 Depth=1
                                        ; implicit-def: $vgpr10
	s_mov_b32 s5, exec_lo
	v_cmpx_neq_f32_e64 0x7f800000, |v16|
	s_xor_b32 s24, exec_lo, s5
	s_cbranch_execz .LBB228_250
; %bb.231:                              ;   in Loop: Header=BB228_129 Depth=1
	v_max_num_f32_e64 v10, |v16|, |v16|
	v_max_num_f32_e64 v20, |v17|, |v17|
                                        ; implicit-def: $sgpr25
	s_delay_alu instid0(VALU_DEP_1) | instskip(NEXT) | instid1(VALU_DEP_1)
	v_max_num_f32_e32 v10, v20, v10
	v_cmp_nle_f32_e64 s4, 0x7ed413cb, v10
	s_and_saveexec_b32 s5, s4
	s_delay_alu instid0(SALU_CYCLE_1)
	s_xor_b32 s5, exec_lo, s5
	s_cbranch_execz .LBB228_235
; %bb.232:                              ;   in Loop: Header=BB228_129 Depth=1
	v_cmp_ge_f32_e64 s25, 0x1000000, |v16|
	v_cmp_ge_f32_e64 s26, 0x1000000, |v17|
	s_and_b32 s27, s26, s25
	s_mov_b32 s25, 0
	s_and_saveexec_b32 s26, s27
; %bb.233:                              ;   in Loop: Header=BB228_129 Depth=1
	v_pk_mul_f32 v[16:17], v[16:17], 4.0 op_sel_hi:[1,0]
	s_mov_b32 s25, exec_lo
; %bb.234:                              ;   in Loop: Header=BB228_129 Depth=1
	s_or_b32 exec_lo, exec_lo, s26
.LBB228_235:                            ;   in Loop: Header=BB228_129 Depth=1
	s_and_not1_saveexec_b32 s5, s5
; %bb.236:                              ;   in Loop: Header=BB228_129 Depth=1
	s_delay_alu instid0(VALU_DEP_1)
	v_pk_mul_f32 v[16:17], v[16:17], s[20:21] op_sel_hi:[1,0]
	s_and_not1_b32 s25, s25, exec_lo
; %bb.237:                              ;   in Loop: Header=BB228_129 Depth=1
	s_or_b32 exec_lo, exec_lo, s5
	s_delay_alu instid0(VALU_DEP_1) | instskip(NEXT) | instid1(VALU_DEP_2)
	v_max_num_f32_e64 v10, |v17|, |v17|
	v_max_num_f32_e64 v20, |v16|, |v16|
	s_delay_alu instid0(VALU_DEP_1) | instskip(NEXT) | instid1(VALU_DEP_1)
	v_max_num_f32_e32 v10, v20, v10
	v_cvt_f64_f32_e32 v[26:27], v10
	s_delay_alu instid0(VALU_DEP_1) | instskip(NEXT) | instid1(VALU_DEP_1)
	v_frexp_exp_i32_f64_e32 v20, v[26:27]
	v_sub_nc_u32_e32 v23, 0, v20
	v_cmp_neq_f32_e64 s5, 0x7f800000, v10
	s_delay_alu instid0(VALU_DEP_2) | instskip(SKIP_1) | instid1(VALU_DEP_2)
	v_ldexp_f32 v25, |v17|, v23
	v_ldexp_f32 v23, |v16|, v23
	v_mul_f32_e32 v25, v25, v25
	s_delay_alu instid0(VALU_DEP_1) | instskip(NEXT) | instid1(VALU_DEP_1)
	v_fmac_f32_e32 v25, v23, v23
	v_sqrt_f32_e32 v23, v25
	v_nop
	s_delay_alu instid0(TRANS32_DEP_1) | instskip(NEXT) | instid1(VALU_DEP_1)
	v_ldexp_f32 v20, v23, v20
                                        ; implicit-def: $vgpr23
	v_cndmask_b32_e64 v10, 0x7f800000, v20, s5
                                        ; implicit-def: $vgpr20
	s_mov_b32 s5, exec_lo
	v_cmpx_le_f32_e32 0, v16
	s_xor_b32 s26, exec_lo, s5
	s_cbranch_execz .LBB228_243
; %bb.238:                              ;   in Loop: Header=BB228_129 Depth=1
	v_add_f32_e32 v10, v16, v10
	s_delay_alu instid0(VALU_DEP_1) | instskip(NEXT) | instid1(VALU_DEP_1)
	v_mul_f32_e32 v10, 0.5, v10
	v_mul_f32_e32 v16, 0x4f800000, v10
	v_cmp_gt_f32_e32 vcc_lo, 0xf800000, v10
	s_delay_alu instid0(VALU_DEP_2) | instskip(NEXT) | instid1(VALU_DEP_1)
	v_cndmask_b32_e32 v10, v10, v16, vcc_lo
	v_sqrt_f32_e32 v16, v10
	v_nop
	s_delay_alu instid0(TRANS32_DEP_1) | instskip(NEXT) | instid1(VALU_DEP_1)
	v_dual_add_nc_u32 v20, -1, v16 :: v_dual_add_nc_u32 v23, 1, v16
	v_dual_fma_f32 v25, -v20, v16, v10 :: v_dual_fma_f32 v26, -v23, v16, v10
	s_delay_alu instid0(VALU_DEP_1) | instskip(NEXT) | instid1(VALU_DEP_1)
	v_cmp_ge_f32_e64 s5, 0, v25
	v_cndmask_b32_e64 v16, v16, v20, s5
	s_delay_alu instid0(VALU_DEP_3) | instskip(NEXT) | instid1(VALU_DEP_1)
	v_cmp_lt_f32_e64 s5, 0, v26
	v_cndmask_b32_e64 v16, v16, v23, s5
	s_delay_alu instid0(VALU_DEP_1) | instskip(NEXT) | instid1(VALU_DEP_1)
	v_mul_f32_e32 v20, 0x37800000, v16
	v_cndmask_b32_e32 v16, v16, v20, vcc_lo
	v_cmp_class_f32_e64 vcc_lo, v10, 0x260
	s_delay_alu instid0(VALU_DEP_2) | instskip(NEXT) | instid1(VALU_DEP_1)
	v_cndmask_b32_e32 v20, v16, v10, vcc_lo
	v_add_f32_e32 v10, v20, v20
	s_delay_alu instid0(VALU_DEP_1) | instskip(NEXT) | instid1(VALU_DEP_1)
	v_div_scale_f32 v16, null, v10, v10, v17
	v_rcp_f32_e32 v23, v16
	v_nop
	s_delay_alu instid0(TRANS32_DEP_1) | instskip(NEXT) | instid1(VALU_DEP_1)
	v_fma_f32 v25, -v16, v23, 1.0
	v_fmac_f32_e32 v23, v25, v23
	v_div_scale_f32 v25, vcc_lo, v17, v10, v17
	s_delay_alu instid0(VALU_DEP_1) | instskip(NEXT) | instid1(VALU_DEP_1)
	v_mul_f32_e32 v26, v25, v23
	v_fma_f32 v27, -v16, v26, v25
	s_delay_alu instid0(VALU_DEP_1) | instskip(NEXT) | instid1(VALU_DEP_1)
	v_fmac_f32_e32 v26, v27, v23
	v_fma_f32 v16, -v16, v26, v25
	s_delay_alu instid0(VALU_DEP_1) | instskip(NEXT) | instid1(VALU_DEP_1)
	v_div_fmas_f32 v16, v16, v23, v26
	v_div_fixup_f32 v23, v16, v10, v17
                                        ; implicit-def: $vgpr10
                                        ; implicit-def: $vgpr16_vgpr17
	s_and_not1_saveexec_b32 s26, s26
	s_cbranch_execz .LBB228_245
	s_branch .LBB228_244
.LBB228_239:                            ;   in Loop: Header=BB228_129 Depth=1
	s_or_b32 exec_lo, exec_lo, s21
	s_and_saveexec_b32 s4, s0
	s_delay_alu instid0(SALU_CYCLE_1)
	s_xor_b32 s0, exec_lo, s4
	s_cbranch_execz .LBB228_261
.LBB228_240:                            ;   in Loop: Header=BB228_129 Depth=1
	v_lshl_add_u64 v[6:7], v[6:7], 3, s[8:9]
	v_mov_b32_e32 v25, v19
	global_store_b64 v[6:7], v[24:25], off
	s_wait_xcnt 0x0
	s_or_b32 exec_lo, exec_lo, s0
	s_and_saveexec_b32 s0, s1
	s_cbranch_execnz .LBB228_262
.LBB228_241:                            ;   in Loop: Header=BB228_129 Depth=1
	s_or_b32 exec_lo, exec_lo, s0
	s_and_saveexec_b32 s0, s2
	s_cbranch_execz .LBB228_263
.LBB228_242:                            ;   in Loop: Header=BB228_129 Depth=1
	v_lshl_add_u64 v[6:7], v[12:13], 3, s[8:9]
	v_mov_b32_e32 v19, v21
	global_store_b64 v[6:7], v[18:19], off
	s_wait_xcnt 0x0
	s_or_b32 exec_lo, exec_lo, s0
	s_and_saveexec_b32 s0, s3
	s_cbranch_execz .LBB228_128
	s_branch .LBB228_264
.LBB228_243:                            ;   in Loop: Header=BB228_129 Depth=1
	s_and_not1_saveexec_b32 s26, s26
	s_cbranch_execz .LBB228_245
.LBB228_244:                            ;   in Loop: Header=BB228_129 Depth=1
	v_sub_f32_e32 v10, v10, v16
	s_delay_alu instid0(VALU_DEP_1) | instskip(NEXT) | instid1(VALU_DEP_1)
	v_mul_f32_e32 v10, 0.5, v10
	v_mul_f32_e32 v16, 0x4f800000, v10
	v_cmp_gt_f32_e32 vcc_lo, 0xf800000, v10
	s_delay_alu instid0(VALU_DEP_2) | instskip(NEXT) | instid1(VALU_DEP_1)
	v_cndmask_b32_e32 v10, v10, v16, vcc_lo
	v_sqrt_f32_e32 v16, v10
	v_nop
	s_delay_alu instid0(TRANS32_DEP_1) | instskip(NEXT) | instid1(VALU_DEP_1)
	v_dual_add_nc_u32 v20, -1, v16 :: v_dual_add_nc_u32 v23, 1, v16
	v_dual_fma_f32 v25, -v20, v16, v10 :: v_dual_fma_f32 v26, -v23, v16, v10
	s_delay_alu instid0(VALU_DEP_1) | instskip(NEXT) | instid1(VALU_DEP_1)
	v_cmp_ge_f32_e64 s5, 0, v25
	v_cndmask_b32_e64 v16, v16, v20, s5
	s_delay_alu instid0(VALU_DEP_3) | instskip(NEXT) | instid1(VALU_DEP_1)
	v_cmp_lt_f32_e64 s5, 0, v26
	v_cndmask_b32_e64 v16, v16, v23, s5
	s_delay_alu instid0(VALU_DEP_1) | instskip(NEXT) | instid1(VALU_DEP_1)
	v_mul_f32_e32 v20, 0x37800000, v16
	v_cndmask_b32_e32 v16, v16, v20, vcc_lo
	v_cmp_class_f32_e64 vcc_lo, v10, 0x260
	s_delay_alu instid0(VALU_DEP_2) | instskip(SKIP_1) | instid1(VALU_DEP_2)
	v_cndmask_b32_e32 v10, v16, v10, vcc_lo
	v_and_b32_e32 v16, 0x7fffffff, v17
	v_add_f32_e32 v20, v10, v10
	s_delay_alu instid0(VALU_DEP_1) | instskip(SKIP_1) | instid1(VALU_DEP_2)
	v_div_scale_f32 v23, null, v20, v20, v16
	v_div_scale_f32 v16, vcc_lo, v16, v20, v16
	v_rcp_f32_e32 v25, v23
	v_nop
	s_delay_alu instid0(TRANS32_DEP_1) | instskip(NEXT) | instid1(VALU_DEP_1)
	v_fma_f32 v26, -v23, v25, 1.0
	v_fmac_f32_e32 v25, v26, v25
	s_delay_alu instid0(VALU_DEP_1) | instskip(NEXT) | instid1(VALU_DEP_1)
	v_mul_f32_e32 v26, v16, v25
	v_fma_f32 v27, -v23, v26, v16
	s_delay_alu instid0(VALU_DEP_1) | instskip(NEXT) | instid1(VALU_DEP_1)
	v_fmac_f32_e32 v26, v27, v25
	v_fma_f32 v16, -v23, v26, v16
	v_bfi_b32 v23, 0x7fffffff, v10, v17
	s_delay_alu instid0(VALU_DEP_2) | instskip(NEXT) | instid1(VALU_DEP_1)
	v_div_fmas_f32 v16, v16, v25, v26
	v_div_fixup_f32 v20, v16, v20, |v17|
.LBB228_245:                            ;   in Loop: Header=BB228_129 Depth=1
	s_or_b32 exec_lo, exec_lo, s26
                                        ; implicit-def: $vgpr17
                                        ; implicit-def: $vgpr10
	s_and_saveexec_b32 s5, s4
	s_delay_alu instid0(SALU_CYCLE_1)
	s_xor_b32 s4, exec_lo, s5
	s_cbranch_execz .LBB228_247
; %bb.246:                              ;   in Loop: Header=BB228_129 Depth=1
	v_dual_mul_f32 v10, 0.5, v20 :: v_dual_mul_f32 v16, 0.5, v23
	s_delay_alu instid0(VALU_DEP_1)
	v_dual_cndmask_b32 v10, v20, v10, s25 :: v_dual_cndmask_b32 v17, v23, v16, s25
                                        ; implicit-def: $vgpr20
                                        ; implicit-def: $vgpr23
	s_and_not1_saveexec_b32 s4, s4
	s_cbranch_execnz .LBB228_248
	s_branch .LBB228_249
.LBB228_247:                            ;   in Loop: Header=BB228_129 Depth=1
	s_and_not1_saveexec_b32 s4, s4
.LBB228_248:                            ;   in Loop: Header=BB228_129 Depth=1
	v_dual_add_f32 v10, v20, v20 :: v_dual_add_f32 v17, v23, v23
.LBB228_249:                            ;   in Loop: Header=BB228_129 Depth=1
	s_or_b32 exec_lo, exec_lo, s4
.LBB228_250:                            ;   in Loop: Header=BB228_129 Depth=1
	s_and_not1_saveexec_b32 s4, s24
	s_cbranch_execz .LBB228_256
; %bb.251:                              ;   in Loop: Header=BB228_129 Depth=1
	s_delay_alu instid0(VALU_DEP_1) | instskip(SKIP_1) | instid1(VALU_DEP_1)
	v_sub_f32_e32 v20, v17, v17
	s_mov_b32 s5, exec_lo
	v_and_b32_e32 v10, 0x7fffffff, v20
	v_cmpx_lt_i32_e32 -1, v16
	s_xor_b32 s5, exec_lo, s5
; %bb.252:                              ;   in Loop: Header=BB228_129 Depth=1
	v_bfi_b32 v17, 0x7fffffff, v20, v17
	v_mov_b32_e32 v10, v16
; %bb.253:                              ;   in Loop: Header=BB228_129 Depth=1
	s_and_not1_saveexec_b32 s5, s5
; %bb.254:                              ;   in Loop: Header=BB228_129 Depth=1
	s_delay_alu instid0(VALU_DEP_2)
	v_bfi_b32 v17, 0x7fffffff, v16, v17
; %bb.255:                              ;   in Loop: Header=BB228_129 Depth=1
	s_or_b32 exec_lo, exec_lo, s5
.LBB228_256:                            ;   in Loop: Header=BB228_129 Depth=1
	s_delay_alu instid0(SALU_CYCLE_1)
	s_or_b32 exec_lo, exec_lo, s4
.LBB228_257:                            ;   in Loop: Header=BB228_129 Depth=1
	s_and_not1_saveexec_b32 s4, s23
	s_cbranch_execz .LBB228_259
; %bb.258:                              ;   in Loop: Header=BB228_129 Depth=1
	v_sub_f32_e32 v10, v17, v17
	s_delay_alu instid0(VALU_DEP_1) | instskip(NEXT) | instid1(VALU_DEP_1)
	v_div_scale_f32 v17, vcc_lo, v10, v10, v10
	v_rcp_f32_e32 v20, v17
	v_nop
	s_delay_alu instid0(TRANS32_DEP_1) | instskip(NEXT) | instid1(VALU_DEP_1)
	v_fma_f32 v23, -v17, v20, 1.0
	v_fmac_f32_e32 v20, v23, v20
	s_delay_alu instid0(VALU_DEP_1) | instskip(NEXT) | instid1(VALU_DEP_1)
	v_mul_f32_e32 v23, v17, v20
	v_fma_f32 v25, -v17, v23, v17
	s_delay_alu instid0(VALU_DEP_1) | instskip(NEXT) | instid1(VALU_DEP_1)
	v_fmac_f32_e32 v23, v25, v20
	v_fma_f32 v17, -v17, v23, v17
	s_delay_alu instid0(VALU_DEP_1) | instskip(NEXT) | instid1(VALU_DEP_1)
	v_div_fmas_f32 v17, v17, v20, v23
	v_div_fixup_f32 v17, v17, v10, v10
	v_mov_b32_e32 v10, v16
.LBB228_259:                            ;   in Loop: Header=BB228_129 Depth=1
	s_or_b32 exec_lo, exec_lo, s4
.LBB228_260:                            ;   in Loop: Header=BB228_129 Depth=1
	s_delay_alu instid0(SALU_CYCLE_1) | instskip(NEXT) | instid1(SALU_CYCLE_1)
	s_or_b32 exec_lo, exec_lo, s22
	s_or_b32 exec_lo, exec_lo, s21
	s_and_saveexec_b32 s4, s0
	s_delay_alu instid0(SALU_CYCLE_1)
	s_xor_b32 s0, exec_lo, s4
	s_cbranch_execnz .LBB228_240
.LBB228_261:                            ;   in Loop: Header=BB228_129 Depth=1
	s_or_b32 exec_lo, exec_lo, s0
	s_and_saveexec_b32 s0, s1
	s_cbranch_execz .LBB228_241
.LBB228_262:                            ;   in Loop: Header=BB228_129 Depth=1
	v_lshl_add_u64 v[6:7], v[8:9], 3, s[8:9]
	v_mov_b32_e32 v23, v11
	global_store_b64 v[6:7], v[22:23], off
	s_wait_xcnt 0x0
	s_or_b32 exec_lo, exec_lo, s0
	s_and_saveexec_b32 s0, s2
	s_cbranch_execnz .LBB228_242
.LBB228_263:                            ;   in Loop: Header=BB228_129 Depth=1
	s_or_b32 exec_lo, exec_lo, s0
	s_and_saveexec_b32 s0, s3
	s_cbranch_execz .LBB228_128
.LBB228_264:                            ;   in Loop: Header=BB228_129 Depth=1
	v_lshl_add_u64 v[6:7], v[14:15], 3, s[8:9]
	v_mov_b32_e32 v11, v17
	global_store_b64 v[6:7], v[10:11], off
	s_branch .LBB228_128
.LBB228_265:
	s_endpgm
	.section	.rodata,"a",@progbits
	.p2align	6, 0x0
	.amdhsa_kernel _ZN2at6native12_GLOBAL__N_125multi_tensor_apply_kernelINS1_18TensorListMetadataILi2EEENS1_14UnaryOpFunctorIN3c107complexIfEELi2ELi1ELi1EEEJNS0_4SqrtIS8_EEEEEvT_T0_DpT1_
		.amdhsa_group_segment_fixed_size 0
		.amdhsa_private_segment_fixed_size 0
		.amdhsa_kernarg_size 3408
		.amdhsa_user_sgpr_count 2
		.amdhsa_user_sgpr_dispatch_ptr 0
		.amdhsa_user_sgpr_queue_ptr 0
		.amdhsa_user_sgpr_kernarg_segment_ptr 1
		.amdhsa_user_sgpr_dispatch_id 0
		.amdhsa_user_sgpr_kernarg_preload_length 0
		.amdhsa_user_sgpr_kernarg_preload_offset 0
		.amdhsa_user_sgpr_private_segment_size 0
		.amdhsa_wavefront_size32 1
		.amdhsa_uses_dynamic_stack 0
		.amdhsa_enable_private_segment 0
		.amdhsa_system_sgpr_workgroup_id_x 1
		.amdhsa_system_sgpr_workgroup_id_y 0
		.amdhsa_system_sgpr_workgroup_id_z 0
		.amdhsa_system_sgpr_workgroup_info 0
		.amdhsa_system_vgpr_workitem_id 0
		.amdhsa_next_free_vgpr 29
		.amdhsa_next_free_sgpr 28
		.amdhsa_named_barrier_count 0
		.amdhsa_reserve_vcc 1
		.amdhsa_float_round_mode_32 0
		.amdhsa_float_round_mode_16_64 0
		.amdhsa_float_denorm_mode_32 3
		.amdhsa_float_denorm_mode_16_64 3
		.amdhsa_fp16_overflow 0
		.amdhsa_memory_ordered 1
		.amdhsa_forward_progress 1
		.amdhsa_inst_pref_size 83
		.amdhsa_round_robin_scheduling 0
		.amdhsa_exception_fp_ieee_invalid_op 0
		.amdhsa_exception_fp_denorm_src 0
		.amdhsa_exception_fp_ieee_div_zero 0
		.amdhsa_exception_fp_ieee_overflow 0
		.amdhsa_exception_fp_ieee_underflow 0
		.amdhsa_exception_fp_ieee_inexact 0
		.amdhsa_exception_int_div_zero 0
	.end_amdhsa_kernel
	.section	.text._ZN2at6native12_GLOBAL__N_125multi_tensor_apply_kernelINS1_18TensorListMetadataILi2EEENS1_14UnaryOpFunctorIN3c107complexIfEELi2ELi1ELi1EEEJNS0_4SqrtIS8_EEEEEvT_T0_DpT1_,"axG",@progbits,_ZN2at6native12_GLOBAL__N_125multi_tensor_apply_kernelINS1_18TensorListMetadataILi2EEENS1_14UnaryOpFunctorIN3c107complexIfEELi2ELi1ELi1EEEJNS0_4SqrtIS8_EEEEEvT_T0_DpT1_,comdat
.Lfunc_end228:
	.size	_ZN2at6native12_GLOBAL__N_125multi_tensor_apply_kernelINS1_18TensorListMetadataILi2EEENS1_14UnaryOpFunctorIN3c107complexIfEELi2ELi1ELi1EEEJNS0_4SqrtIS8_EEEEEvT_T0_DpT1_, .Lfunc_end228-_ZN2at6native12_GLOBAL__N_125multi_tensor_apply_kernelINS1_18TensorListMetadataILi2EEENS1_14UnaryOpFunctorIN3c107complexIfEELi2ELi1ELi1EEEJNS0_4SqrtIS8_EEEEEvT_T0_DpT1_
                                        ; -- End function
	.set _ZN2at6native12_GLOBAL__N_125multi_tensor_apply_kernelINS1_18TensorListMetadataILi2EEENS1_14UnaryOpFunctorIN3c107complexIfEELi2ELi1ELi1EEEJNS0_4SqrtIS8_EEEEEvT_T0_DpT1_.num_vgpr, 29
	.set _ZN2at6native12_GLOBAL__N_125multi_tensor_apply_kernelINS1_18TensorListMetadataILi2EEENS1_14UnaryOpFunctorIN3c107complexIfEELi2ELi1ELi1EEEJNS0_4SqrtIS8_EEEEEvT_T0_DpT1_.num_agpr, 0
	.set _ZN2at6native12_GLOBAL__N_125multi_tensor_apply_kernelINS1_18TensorListMetadataILi2EEENS1_14UnaryOpFunctorIN3c107complexIfEELi2ELi1ELi1EEEJNS0_4SqrtIS8_EEEEEvT_T0_DpT1_.numbered_sgpr, 28
	.set _ZN2at6native12_GLOBAL__N_125multi_tensor_apply_kernelINS1_18TensorListMetadataILi2EEENS1_14UnaryOpFunctorIN3c107complexIfEELi2ELi1ELi1EEEJNS0_4SqrtIS8_EEEEEvT_T0_DpT1_.num_named_barrier, 0
	.set _ZN2at6native12_GLOBAL__N_125multi_tensor_apply_kernelINS1_18TensorListMetadataILi2EEENS1_14UnaryOpFunctorIN3c107complexIfEELi2ELi1ELi1EEEJNS0_4SqrtIS8_EEEEEvT_T0_DpT1_.private_seg_size, 0
	.set _ZN2at6native12_GLOBAL__N_125multi_tensor_apply_kernelINS1_18TensorListMetadataILi2EEENS1_14UnaryOpFunctorIN3c107complexIfEELi2ELi1ELi1EEEJNS0_4SqrtIS8_EEEEEvT_T0_DpT1_.uses_vcc, 1
	.set _ZN2at6native12_GLOBAL__N_125multi_tensor_apply_kernelINS1_18TensorListMetadataILi2EEENS1_14UnaryOpFunctorIN3c107complexIfEELi2ELi1ELi1EEEJNS0_4SqrtIS8_EEEEEvT_T0_DpT1_.uses_flat_scratch, 0
	.set _ZN2at6native12_GLOBAL__N_125multi_tensor_apply_kernelINS1_18TensorListMetadataILi2EEENS1_14UnaryOpFunctorIN3c107complexIfEELi2ELi1ELi1EEEJNS0_4SqrtIS8_EEEEEvT_T0_DpT1_.has_dyn_sized_stack, 0
	.set _ZN2at6native12_GLOBAL__N_125multi_tensor_apply_kernelINS1_18TensorListMetadataILi2EEENS1_14UnaryOpFunctorIN3c107complexIfEELi2ELi1ELi1EEEJNS0_4SqrtIS8_EEEEEvT_T0_DpT1_.has_recursion, 0
	.set _ZN2at6native12_GLOBAL__N_125multi_tensor_apply_kernelINS1_18TensorListMetadataILi2EEENS1_14UnaryOpFunctorIN3c107complexIfEELi2ELi1ELi1EEEJNS0_4SqrtIS8_EEEEEvT_T0_DpT1_.has_indirect_call, 0
	.section	.AMDGPU.csdata,"",@progbits
; Kernel info:
; codeLenInByte = 10544
; TotalNumSgprs: 30
; NumVgprs: 29
; ScratchSize: 0
; MemoryBound: 0
; FloatMode: 240
; IeeeMode: 1
; LDSByteSize: 0 bytes/workgroup (compile time only)
; SGPRBlocks: 0
; VGPRBlocks: 1
; NumSGPRsForWavesPerEU: 30
; NumVGPRsForWavesPerEU: 29
; NamedBarCnt: 0
; Occupancy: 16
; WaveLimiterHint : 0
; COMPUTE_PGM_RSRC2:SCRATCH_EN: 0
; COMPUTE_PGM_RSRC2:USER_SGPR: 2
; COMPUTE_PGM_RSRC2:TRAP_HANDLER: 0
; COMPUTE_PGM_RSRC2:TGID_X_EN: 1
; COMPUTE_PGM_RSRC2:TGID_Y_EN: 0
; COMPUTE_PGM_RSRC2:TGID_Z_EN: 0
; COMPUTE_PGM_RSRC2:TIDIG_COMP_CNT: 0
	.section	.text._ZN2at6native12_GLOBAL__N_125multi_tensor_apply_kernelINS1_18TensorListMetadataILi2EEENS1_14UnaryOpFunctorIN3c104HalfELi2ELi1ELi1EEEJNS0_4SqrtIfEEEEEvT_T0_DpT1_,"axG",@progbits,_ZN2at6native12_GLOBAL__N_125multi_tensor_apply_kernelINS1_18TensorListMetadataILi2EEENS1_14UnaryOpFunctorIN3c104HalfELi2ELi1ELi1EEEJNS0_4SqrtIfEEEEEvT_T0_DpT1_,comdat
	.globl	_ZN2at6native12_GLOBAL__N_125multi_tensor_apply_kernelINS1_18TensorListMetadataILi2EEENS1_14UnaryOpFunctorIN3c104HalfELi2ELi1ELi1EEEJNS0_4SqrtIfEEEEEvT_T0_DpT1_ ; -- Begin function _ZN2at6native12_GLOBAL__N_125multi_tensor_apply_kernelINS1_18TensorListMetadataILi2EEENS1_14UnaryOpFunctorIN3c104HalfELi2ELi1ELi1EEEJNS0_4SqrtIfEEEEEvT_T0_DpT1_
	.p2align	8
	.type	_ZN2at6native12_GLOBAL__N_125multi_tensor_apply_kernelINS1_18TensorListMetadataILi2EEENS1_14UnaryOpFunctorIN3c104HalfELi2ELi1ELi1EEEJNS0_4SqrtIfEEEEEvT_T0_DpT1_,@function
_ZN2at6native12_GLOBAL__N_125multi_tensor_apply_kernelINS1_18TensorListMetadataILi2EEENS1_14UnaryOpFunctorIN3c104HalfELi2ELi1ELi1EEEJNS0_4SqrtIfEEEEEvT_T0_DpT1_: ; @_ZN2at6native12_GLOBAL__N_125multi_tensor_apply_kernelINS1_18TensorListMetadataILi2EEENS1_14UnaryOpFunctorIN3c104HalfELi2ELi1ELi1EEEJNS0_4SqrtIfEEEEEvT_T0_DpT1_
; %bb.0:
	s_bfe_u32 s2, ttmp6, 0x4000c
	s_and_b32 s3, ttmp6, 15
	s_add_co_i32 s2, s2, 1
	s_getreg_b32 s4, hwreg(HW_REG_IB_STS2, 6, 4)
	s_mul_i32 s2, ttmp9, s2
	s_delay_alu instid0(SALU_CYCLE_1)
	s_add_co_i32 s3, s3, s2
	s_cmp_eq_u32 s4, 0
	s_cselect_b32 s2, ttmp9, s3
	s_mov_b32 s3, 0
	s_load_u8 s13, s[0:1], s2 offset:0x600
	s_add_nc_u64 s[4:5], s[0:1], s[2:3]
	s_mul_u64 s[6:7], s[2:3], 3
	s_delay_alu instid0(SALU_CYCLE_1)
	s_add_nc_u64 s[4:5], s[4:5], s[6:7]
	s_load_b32 s12, s[4:5], 0x740
	s_wait_kmcnt 0x0
	s_clause 0x2
	s_load_b64 s[8:9], s[0:1], s13 offset:0x0 scale_offset
	s_load_b64 s[10:11], s[0:1], s13 offset:0x200 scale_offset
	s_load_b64 s[14:15], s[0:1], s13 offset:0x400 scale_offset
	s_mov_b32 s5, s3
	s_wait_xcnt 0x0
	s_ashr_i32 s13, s12, 31
	s_delay_alu instid0(SALU_CYCLE_1)
	s_lshl_b64 s[6:7], s[12:13], 17
	s_wait_kmcnt 0x0
	s_and_b64 s[18:19], s[10:11], 7
	s_add_nc_u64 s[16:17], s[8:9], s[6:7]
	s_and_b32 s4, s14, 3
	s_and_b32 s2, s16, 7
	s_or_b64 s[4:5], s[18:19], s[4:5]
	s_lshl_b64 s[12:13], s[12:13], 16
	s_or_b64 s[2:3], s[4:5], s[2:3]
	s_sub_nc_u64 s[12:13], s[14:15], s[12:13]
	s_cmp_eq_u64 s[2:3], 0
	s_mov_b32 s2, -1
	s_cbranch_scc0 .LBB229_5
; %bb.1:
	v_min_i64 v[2:3], 0x10000, s[12:13]
	v_dual_mov_b32 v5, 0 :: v_dual_lshlrev_b32 v4, 2, v0
	s_mov_b32 s5, exec_lo
	s_delay_alu instid0(VALU_DEP_1)
	v_cmpx_lt_i64_e64 v[4:5], v[2:3]
	s_cbranch_execz .LBB229_4
; %bb.2:
	s_load_b32 s2, s[0:1], 0xc5c
	v_dual_mov_b32 v1, v5 :: v_dual_lshlrev_b32 v4, 3, v0
	s_mov_b32 s15, 0
	s_delay_alu instid0(SALU_CYCLE_1) | instskip(NEXT) | instid1(VALU_DEP_1)
	s_mov_b32 s17, s15
	v_add_nc_u64_e32 v[4:5], s[6:7], v[4:5]
	s_delay_alu instid0(VALU_DEP_2) | instskip(SKIP_3) | instid1(SALU_CYCLE_1)
	v_mov_b64_e32 v[6:7], v[0:1]
	s_mov_b32 s18, s15
	s_wait_kmcnt 0x0
	s_and_b32 s14, s2, 0xffff
	s_lshl_b32 s16, s14, 3
.LBB229_3:                              ; =>This Inner Loop Header: Depth=1
	s_delay_alu instid0(VALU_DEP_2) | instskip(NEXT) | instid1(VALU_DEP_2)
	v_add_nc_u64_e32 v[8:9], s[8:9], v[4:5]
	v_add_nc_u64_e32 v[6:7], s[14:15], v[6:7]
	global_load_b64 v[8:9], v[8:9], off
	v_lshlrev_b64_e32 v[10:11], 2, v[6:7]
	s_wait_loadcnt 0x0
	v_cvt_f32_f16_e32 v1, v8
	v_cvt_f32_f16_e32 v12, v9
	s_wait_xcnt 0x0
	v_dual_lshrrev_b32 v8, 16, v8 :: v_dual_lshrrev_b32 v9, 16, v9
	s_delay_alu instid0(VALU_DEP_2) | instskip(SKIP_2) | instid1(VALU_DEP_4)
	v_dual_mul_f32 v13, 0x4f800000, v1 :: v_dual_mul_f32 v14, 0x4f800000, v12
	v_cmp_gt_f32_e64 s2, 0xf800000, v1
	v_cmp_gt_f32_e32 vcc_lo, 0xf800000, v12
	v_cvt_f32_f16_e32 v8, v8
	v_cvt_f32_f16_e32 v9, v9
	s_delay_alu instid0(VALU_DEP_4) | instskip(NEXT) | instid1(VALU_DEP_3)
	v_dual_cndmask_b32 v1, v1, v13, s2 :: v_dual_cndmask_b32 v12, v12, v14, vcc_lo
	v_cmp_gt_f32_e64 s3, 0xf800000, v8
	s_delay_alu instid0(VALU_DEP_3) | instskip(SKIP_1) | instid1(VALU_DEP_4)
	v_mul_f32_e32 v15, 0x4f800000, v9
	v_cmp_gt_f32_e64 s4, 0xf800000, v9
	v_rsq_f32_e32 v14, v1
	v_mul_f32_e32 v13, 0x4f800000, v8
	s_delay_alu instid0(VALU_DEP_2) | instskip(NEXT) | instid1(TRANS32_DEP_1)
	v_cndmask_b32_e64 v9, v9, v15, s4
	v_dual_mul_f32 v17, v1, v14 :: v_dual_mul_f32 v14, 0.5, v14
	s_delay_alu instid0(VALU_DEP_3) | instskip(SKIP_1) | instid1(VALU_DEP_3)
	v_cndmask_b32_e64 v8, v8, v13, s3
	v_rsq_f32_e32 v13, v12
	v_rsq_f32_e32 v16, v9
	s_delay_alu instid0(VALU_DEP_1) | instskip(NEXT) | instid1(TRANS32_DEP_3)
	v_rsq_f32_e32 v15, v8
	v_dual_mul_f32 v18, v12, v13 :: v_dual_mul_f32 v13, 0.5, v13
	v_fma_f32 v19, -v14, v17, 0.5
	s_delay_alu instid0(TRANS32_DEP_1) | instskip(SKIP_1) | instid1(VALU_DEP_4)
	v_dual_mul_f32 v22, v9, v16 :: v_dual_mul_f32 v20, v8, v15
	v_dual_mul_f32 v15, 0.5, v15 :: v_dual_mul_f32 v16, 0.5, v16
	v_fma_f32 v21, -v13, v18, 0.5
	s_delay_alu instid0(VALU_DEP_4) | instskip(NEXT) | instid1(VALU_DEP_3)
	v_dual_fmac_f32 v17, v17, v19 :: v_dual_fmac_f32 v14, v14, v19
	v_fma_f32 v19, -v15, v20, 0.5
	s_delay_alu instid0(VALU_DEP_4) | instskip(NEXT) | instid1(VALU_DEP_4)
	v_fma_f32 v23, -v16, v22, 0.5
	v_dual_fmac_f32 v18, v18, v21 :: v_dual_fmac_f32 v13, v13, v21
	s_delay_alu instid0(VALU_DEP_3) | instskip(NEXT) | instid1(VALU_DEP_2)
	v_dual_fma_f32 v21, -v17, v17, v1 :: v_dual_fmac_f32 v20, v20, v19
	v_dual_fmac_f32 v15, v15, v19 :: v_dual_fma_f32 v19, -v18, v18, v12
	s_delay_alu instid0(VALU_DEP_4) | instskip(NEXT) | instid1(VALU_DEP_3)
	v_dual_fmac_f32 v22, v22, v23 :: v_dual_fmac_f32 v16, v16, v23
	v_dual_fmac_f32 v17, v21, v14 :: v_dual_fma_f32 v14, -v20, v20, v8
	s_delay_alu instid0(VALU_DEP_2) | instskip(NEXT) | instid1(VALU_DEP_2)
	v_dual_fmac_f32 v18, v19, v13 :: v_dual_fma_f32 v21, -v22, v22, v9
	v_dual_mul_f32 v13, 0x37800000, v17 :: v_dual_fmac_f32 v20, v14, v15
	s_delay_alu instid0(VALU_DEP_1) | instskip(NEXT) | instid1(VALU_DEP_1)
	v_dual_mul_f32 v14, 0x37800000, v18 :: v_dual_mul_f32 v15, 0x37800000, v20
	v_dual_fmac_f32 v22, v21, v16 :: v_dual_cndmask_b32 v14, v18, v14, vcc_lo
	v_cmp_class_f32_e64 vcc_lo, v12, 0x260
	s_delay_alu instid0(VALU_DEP_3) | instskip(SKIP_1) | instid1(VALU_DEP_4)
	v_dual_cndmask_b32 v13, v17, v13, s2 :: v_dual_cndmask_b32 v15, v20, v15, s3
	v_cmp_class_f32_e64 s2, v1, 0x260
	v_cndmask_b32_e32 v12, v14, v12, vcc_lo
	v_cmp_class_f32_e64 vcc_lo, v9, 0x260
	v_mul_f32_e32 v16, 0x37800000, v22
	s_delay_alu instid0(VALU_DEP_4) | instskip(SKIP_1) | instid1(VALU_DEP_3)
	v_cndmask_b32_e64 v1, v13, v1, s2
	v_cmp_class_f32_e64 s2, v8, 0x260
	v_cndmask_b32_e64 v13, v22, v16, s4
	s_delay_alu instid0(VALU_DEP_1) | instskip(SKIP_3) | instid1(VALU_DEP_4)
	v_dual_cndmask_b32 v14, v15, v8, s2 :: v_dual_cndmask_b32 v13, v13, v9, vcc_lo
	v_cmp_ge_i64_e32 vcc_lo, v[10:11], v[2:3]
	v_add_nc_u64_e32 v[8:9], s[10:11], v[4:5]
	v_add_nc_u64_e32 v[4:5], s[16:17], v[4:5]
	v_cvt_pk_f16_f32 v10, v1, v14
	v_cvt_pk_f16_f32 v11, v12, v13
	s_or_b32 s18, vcc_lo, s18
	global_store_b64 v[8:9], v[10:11], off
	s_wait_xcnt 0x0
	s_and_not1_b32 exec_lo, exec_lo, s18
	s_cbranch_execnz .LBB229_3
.LBB229_4:
	s_or_b32 exec_lo, exec_lo, s5
	s_mov_b32 s2, 0
.LBB229_5:
	s_delay_alu instid0(SALU_CYCLE_1)
	s_and_not1_b32 vcc_lo, exec_lo, s2
	s_cbranch_vccnz .LBB229_25
; %bb.6:
	v_cmp_lt_i64_e64 s2, s[12:13], 1
	s_and_b32 vcc_lo, exec_lo, s2
	s_cbranch_vccnz .LBB229_25
; %bb.7:
	s_load_b32 s0, s[0:1], 0xc5c
	v_min_i64 v[2:3], 0x10000, s[12:13]
	v_min_u64 v[4:5], 0x10000, s[12:13]
	v_dual_mov_b32 v1, 0 :: v_dual_lshlrev_b32 v10, 1, v0
	s_wait_xcnt 0x0
	s_mov_b32 s1, 0
	s_delay_alu instid0(SALU_CYCLE_1) | instskip(NEXT) | instid1(VALU_DEP_1)
	s_mov_b32 s5, s1
	v_dual_mov_b32 v11, v1 :: v_dual_mov_b32 v27, v1
	s_mov_b32 s3, s1
	s_mov_b32 s13, s1
	s_delay_alu instid0(VALU_DEP_1) | instskip(SKIP_2) | instid1(SALU_CYCLE_1)
	v_add_nc_u64_e32 v[6:7], s[8:9], v[10:11]
	s_wait_kmcnt 0x0
	s_and_b32 s0, s0, 0xffff
	v_add_nc_u64_e32 v[8:9], s[0:1], v[0:1]
	v_mad_nc_u64_u32 v[22:23], s0, 6, v[10:11]
	s_lshl_b32 s4, s0, 2
	s_mul_i32 s12, s0, 3
	v_add_nc_u64_e32 v[18:19], s[4:5], v[10:11]
	s_lshl_b32 s2, s0, 1
	v_add_nc_u64_e32 v[10:11], s[10:11], v[10:11]
	v_lshlrev_b32_e32 v26, 1, v8
	v_add_nc_u64_e32 v[12:13], s[12:13], v[0:1]
	v_add_nc_u64_e32 v[14:15], s[2:3], v[0:1]
	;; [unrolled: 1-line block ×8, first 2 shown]
	s_lshl_b32 s8, s0, 3
	s_mov_b32 s9, s1
	s_mov_b64 s[10:11], 0
	s_branch .LBB229_9
.LBB229_8:                              ;   in Loop: Header=BB229_9 Depth=1
	s_wait_xcnt 0x0
	s_or_b32 exec_lo, exec_lo, s0
	s_add_nc_u64 s[10:11], s[10:11], s[4:5]
	v_add_nc_u64_e32 v[6:7], s[8:9], v[6:7]
	v_cmp_ge_i64_e32 vcc_lo, s[10:11], v[2:3]
	v_add_nc_u64_e32 v[10:11], s[8:9], v[10:11]
	v_add_nc_u64_e32 v[20:21], s[8:9], v[20:21]
	;; [unrolled: 1-line block ×7, first 2 shown]
	s_cbranch_vccnz .LBB229_25
.LBB229_9:                              ; =>This Inner Loop Header: Depth=1
	v_add_nc_u64_e32 v[28:29], s[10:11], v[0:1]
	s_delay_alu instid0(VALU_DEP_1)
	v_cmp_lt_u64_e32 vcc_lo, v[28:29], v[4:5]
	v_mov_b32_e32 v28, 0
	s_and_saveexec_b32 s1, vcc_lo
	s_cbranch_execz .LBB229_11
; %bb.10:                               ;   in Loop: Header=BB229_9 Depth=1
	v_add_nc_u64_e32 v[28:29], s[6:7], v[6:7]
	global_load_u16 v28, v[28:29], off
	s_wait_loadcnt 0x0
	v_cvt_f32_f16_e32 v28, v28
	s_delay_alu instid0(VALU_DEP_1) | instskip(SKIP_1) | instid1(VALU_DEP_1)
	v_mul_f32_e32 v29, 0x4f800000, v28
	v_cmp_gt_f32_e64 s0, 0xf800000, v28
	v_cndmask_b32_e64 v28, v28, v29, s0
	s_delay_alu instid0(VALU_DEP_1) | instskip(SKIP_1) | instid1(TRANS32_DEP_1)
	v_rsq_f32_e32 v29, v28
	v_nop
	v_dual_mul_f32 v30, v28, v29 :: v_dual_mul_f32 v29, 0.5, v29
	s_delay_alu instid0(VALU_DEP_1) | instskip(NEXT) | instid1(VALU_DEP_1)
	v_fma_f32 v31, -v29, v30, 0.5
	v_dual_fmac_f32 v29, v29, v31 :: v_dual_fmac_f32 v30, v30, v31
	s_delay_alu instid0(VALU_DEP_1) | instskip(NEXT) | instid1(VALU_DEP_1)
	v_fma_f32 v32, -v30, v30, v28
	v_fmac_f32_e32 v30, v32, v29
	s_delay_alu instid0(VALU_DEP_1) | instskip(NEXT) | instid1(VALU_DEP_1)
	v_mul_f32_e32 v29, 0x37800000, v30
	v_cndmask_b32_e64 v29, v30, v29, s0
	v_cmp_class_f32_e64 s0, v28, 0x260
	s_delay_alu instid0(VALU_DEP_1) | instskip(NEXT) | instid1(VALU_DEP_1)
	v_cndmask_b32_e64 v28, v29, v28, s0
	v_cvt_f16_f32_e32 v28, v28
.LBB229_11:                             ;   in Loop: Header=BB229_9 Depth=1
	s_or_b32 exec_lo, exec_lo, s1
	v_add_nc_u64_e32 v[30:31], s[10:11], v[8:9]
	v_mov_b32_e32 v29, 0
	s_delay_alu instid0(VALU_DEP_2)
	v_cmp_lt_u64_e64 s0, v[30:31], v[4:5]
	v_mov_b32_e32 v30, 0
	s_and_saveexec_b32 s2, s0
	s_cbranch_execz .LBB229_13
; %bb.12:                               ;   in Loop: Header=BB229_9 Depth=1
	v_add_nc_u64_e32 v[30:31], s[6:7], v[24:25]
	global_load_u16 v30, v[30:31], off
	s_wait_loadcnt 0x0
	v_cvt_f32_f16_e32 v30, v30
	s_delay_alu instid0(VALU_DEP_1) | instskip(SKIP_1) | instid1(VALU_DEP_1)
	v_mul_f32_e32 v31, 0x4f800000, v30
	v_cmp_gt_f32_e64 s1, 0xf800000, v30
	v_cndmask_b32_e64 v30, v30, v31, s1
	s_delay_alu instid0(VALU_DEP_1) | instskip(SKIP_1) | instid1(TRANS32_DEP_1)
	v_rsq_f32_e32 v31, v30
	v_nop
	v_dual_mul_f32 v32, v30, v31 :: v_dual_mul_f32 v31, 0.5, v31
	s_delay_alu instid0(VALU_DEP_1) | instskip(NEXT) | instid1(VALU_DEP_1)
	v_fma_f32 v33, -v31, v32, 0.5
	v_dual_fmac_f32 v31, v31, v33 :: v_dual_fmac_f32 v32, v32, v33
	s_delay_alu instid0(VALU_DEP_1) | instskip(NEXT) | instid1(VALU_DEP_1)
	v_fma_f32 v34, -v32, v32, v30
	v_fmac_f32_e32 v32, v34, v31
	s_delay_alu instid0(VALU_DEP_1) | instskip(NEXT) | instid1(VALU_DEP_1)
	v_mul_f32_e32 v31, 0x37800000, v32
	v_cndmask_b32_e64 v31, v32, v31, s1
	v_cmp_class_f32_e64 s1, v30, 0x260
	s_delay_alu instid0(VALU_DEP_1) | instskip(NEXT) | instid1(VALU_DEP_1)
	v_cndmask_b32_e64 v30, v31, v30, s1
	v_cvt_f16_f32_e32 v30, v30
.LBB229_13:                             ;   in Loop: Header=BB229_9 Depth=1
	s_or_b32 exec_lo, exec_lo, s2
	v_add_nc_u64_e32 v[32:33], s[10:11], v[14:15]
	s_delay_alu instid0(VALU_DEP_1)
	v_cmp_lt_u64_e64 s1, v[32:33], v[4:5]
	s_and_saveexec_b32 s3, s1
	s_cbranch_execz .LBB229_15
; %bb.14:                               ;   in Loop: Header=BB229_9 Depth=1
	v_add_nc_u64_e32 v[32:33], s[6:7], v[16:17]
	global_load_u16 v29, v[32:33], off
	s_wait_loadcnt 0x0
	v_cvt_f32_f16_e32 v29, v29
	s_delay_alu instid0(VALU_DEP_1) | instskip(SKIP_1) | instid1(VALU_DEP_1)
	v_mul_f32_e32 v31, 0x4f800000, v29
	v_cmp_gt_f32_e64 s2, 0xf800000, v29
	v_cndmask_b32_e64 v29, v29, v31, s2
	s_delay_alu instid0(VALU_DEP_1) | instskip(SKIP_2) | instid1(TRANS32_DEP_1)
	v_rsq_f32_e32 v31, v29
	s_wait_xcnt 0x0
	v_nop
	v_dual_mul_f32 v32, v29, v31 :: v_dual_mul_f32 v31, 0.5, v31
	s_delay_alu instid0(VALU_DEP_1) | instskip(NEXT) | instid1(VALU_DEP_1)
	v_fma_f32 v33, -v31, v32, 0.5
	v_dual_fmac_f32 v31, v31, v33 :: v_dual_fmac_f32 v32, v32, v33
	s_delay_alu instid0(VALU_DEP_1) | instskip(NEXT) | instid1(VALU_DEP_1)
	v_fma_f32 v34, -v32, v32, v29
	v_fmac_f32_e32 v32, v34, v31
	s_delay_alu instid0(VALU_DEP_1) | instskip(NEXT) | instid1(VALU_DEP_1)
	v_mul_f32_e32 v31, 0x37800000, v32
	v_cndmask_b32_e64 v31, v32, v31, s2
	v_cmp_class_f32_e64 s2, v29, 0x260
	s_delay_alu instid0(VALU_DEP_1) | instskip(NEXT) | instid1(VALU_DEP_1)
	v_cndmask_b32_e64 v29, v31, v29, s2
	v_cvt_f16_f32_e32 v29, v29
.LBB229_15:                             ;   in Loop: Header=BB229_9 Depth=1
	s_or_b32 exec_lo, exec_lo, s3
	v_add_nc_u64_e32 v[32:33], s[10:11], v[12:13]
	v_mov_b32_e32 v31, 0
	s_delay_alu instid0(VALU_DEP_2)
	v_cmp_lt_u64_e64 s2, v[32:33], v[4:5]
	s_and_saveexec_b32 s12, s2
	s_cbranch_execnz .LBB229_20
; %bb.16:                               ;   in Loop: Header=BB229_9 Depth=1
	s_or_b32 exec_lo, exec_lo, s12
	s_and_saveexec_b32 s3, vcc_lo
	s_cbranch_execnz .LBB229_21
.LBB229_17:                             ;   in Loop: Header=BB229_9 Depth=1
	s_or_b32 exec_lo, exec_lo, s3
	s_and_saveexec_b32 s3, s0
	s_cbranch_execnz .LBB229_22
.LBB229_18:                             ;   in Loop: Header=BB229_9 Depth=1
	s_or_b32 exec_lo, exec_lo, s3
	s_and_saveexec_b32 s0, s1
	s_cbranch_execnz .LBB229_23
.LBB229_19:                             ;   in Loop: Header=BB229_9 Depth=1
	s_or_b32 exec_lo, exec_lo, s0
	s_and_saveexec_b32 s0, s2
	s_cbranch_execz .LBB229_8
	s_branch .LBB229_24
.LBB229_20:                             ;   in Loop: Header=BB229_9 Depth=1
	v_add_nc_u64_e32 v[32:33], s[6:7], v[20:21]
	global_load_u16 v31, v[32:33], off
	s_wait_loadcnt 0x0
	v_cvt_f32_f16_e32 v31, v31
	s_wait_xcnt 0x0
	s_delay_alu instid0(VALU_DEP_1) | instskip(SKIP_1) | instid1(VALU_DEP_1)
	v_mul_f32_e32 v32, 0x4f800000, v31
	v_cmp_gt_f32_e64 s3, 0xf800000, v31
	v_cndmask_b32_e64 v31, v31, v32, s3
	s_delay_alu instid0(VALU_DEP_1) | instskip(SKIP_1) | instid1(TRANS32_DEP_1)
	v_rsq_f32_e32 v32, v31
	v_nop
	v_dual_mul_f32 v33, v31, v32 :: v_dual_mul_f32 v32, 0.5, v32
	s_delay_alu instid0(VALU_DEP_1) | instskip(NEXT) | instid1(VALU_DEP_1)
	v_fma_f32 v34, -v32, v33, 0.5
	v_dual_fmac_f32 v32, v32, v34 :: v_dual_fmac_f32 v33, v33, v34
	s_delay_alu instid0(VALU_DEP_1) | instskip(NEXT) | instid1(VALU_DEP_1)
	v_fma_f32 v35, -v33, v33, v31
	v_fmac_f32_e32 v33, v35, v32
	s_delay_alu instid0(VALU_DEP_1) | instskip(NEXT) | instid1(VALU_DEP_1)
	v_mul_f32_e32 v32, 0x37800000, v33
	v_cndmask_b32_e64 v32, v33, v32, s3
	v_cmp_class_f32_e64 s3, v31, 0x260
	s_delay_alu instid0(VALU_DEP_1) | instskip(NEXT) | instid1(VALU_DEP_1)
	v_cndmask_b32_e64 v31, v32, v31, s3
	v_cvt_f16_f32_e32 v31, v31
	s_or_b32 exec_lo, exec_lo, s12
	s_and_saveexec_b32 s3, vcc_lo
	s_cbranch_execz .LBB229_17
.LBB229_21:                             ;   in Loop: Header=BB229_9 Depth=1
	v_add_nc_u64_e32 v[32:33], s[6:7], v[10:11]
	global_store_b16 v[32:33], v28, off
	s_wait_xcnt 0x0
	s_or_b32 exec_lo, exec_lo, s3
	s_and_saveexec_b32 s3, s0
	s_cbranch_execz .LBB229_18
.LBB229_22:                             ;   in Loop: Header=BB229_9 Depth=1
	v_add_nc_u64_e32 v[32:33], s[6:7], v[26:27]
	global_store_b16 v[32:33], v30, off
	s_wait_xcnt 0x0
	s_or_b32 exec_lo, exec_lo, s3
	s_and_saveexec_b32 s0, s1
	s_cbranch_execz .LBB229_19
.LBB229_23:                             ;   in Loop: Header=BB229_9 Depth=1
	v_add_nc_u64_e32 v[32:33], s[6:7], v[18:19]
	global_store_b16 v[32:33], v29, off
	s_wait_xcnt 0x0
	s_or_b32 exec_lo, exec_lo, s0
	s_and_saveexec_b32 s0, s2
	s_cbranch_execz .LBB229_8
.LBB229_24:                             ;   in Loop: Header=BB229_9 Depth=1
	v_add_nc_u64_e32 v[28:29], s[6:7], v[22:23]
	global_store_b16 v[28:29], v31, off
	s_branch .LBB229_8
.LBB229_25:
	s_endpgm
	.section	.rodata,"a",@progbits
	.p2align	6, 0x0
	.amdhsa_kernel _ZN2at6native12_GLOBAL__N_125multi_tensor_apply_kernelINS1_18TensorListMetadataILi2EEENS1_14UnaryOpFunctorIN3c104HalfELi2ELi1ELi1EEEJNS0_4SqrtIfEEEEEvT_T0_DpT1_
		.amdhsa_group_segment_fixed_size 0
		.amdhsa_private_segment_fixed_size 0
		.amdhsa_kernarg_size 3408
		.amdhsa_user_sgpr_count 2
		.amdhsa_user_sgpr_dispatch_ptr 0
		.amdhsa_user_sgpr_queue_ptr 0
		.amdhsa_user_sgpr_kernarg_segment_ptr 1
		.amdhsa_user_sgpr_dispatch_id 0
		.amdhsa_user_sgpr_kernarg_preload_length 0
		.amdhsa_user_sgpr_kernarg_preload_offset 0
		.amdhsa_user_sgpr_private_segment_size 0
		.amdhsa_wavefront_size32 1
		.amdhsa_uses_dynamic_stack 0
		.amdhsa_enable_private_segment 0
		.amdhsa_system_sgpr_workgroup_id_x 1
		.amdhsa_system_sgpr_workgroup_id_y 0
		.amdhsa_system_sgpr_workgroup_id_z 0
		.amdhsa_system_sgpr_workgroup_info 0
		.amdhsa_system_vgpr_workitem_id 0
		.amdhsa_next_free_vgpr 36
		.amdhsa_next_free_sgpr 20
		.amdhsa_named_barrier_count 0
		.amdhsa_reserve_vcc 1
		.amdhsa_float_round_mode_32 0
		.amdhsa_float_round_mode_16_64 0
		.amdhsa_float_denorm_mode_32 3
		.amdhsa_float_denorm_mode_16_64 3
		.amdhsa_fp16_overflow 0
		.amdhsa_memory_ordered 1
		.amdhsa_forward_progress 1
		.amdhsa_inst_pref_size 17
		.amdhsa_round_robin_scheduling 0
		.amdhsa_exception_fp_ieee_invalid_op 0
		.amdhsa_exception_fp_denorm_src 0
		.amdhsa_exception_fp_ieee_div_zero 0
		.amdhsa_exception_fp_ieee_overflow 0
		.amdhsa_exception_fp_ieee_underflow 0
		.amdhsa_exception_fp_ieee_inexact 0
		.amdhsa_exception_int_div_zero 0
	.end_amdhsa_kernel
	.section	.text._ZN2at6native12_GLOBAL__N_125multi_tensor_apply_kernelINS1_18TensorListMetadataILi2EEENS1_14UnaryOpFunctorIN3c104HalfELi2ELi1ELi1EEEJNS0_4SqrtIfEEEEEvT_T0_DpT1_,"axG",@progbits,_ZN2at6native12_GLOBAL__N_125multi_tensor_apply_kernelINS1_18TensorListMetadataILi2EEENS1_14UnaryOpFunctorIN3c104HalfELi2ELi1ELi1EEEJNS0_4SqrtIfEEEEEvT_T0_DpT1_,comdat
.Lfunc_end229:
	.size	_ZN2at6native12_GLOBAL__N_125multi_tensor_apply_kernelINS1_18TensorListMetadataILi2EEENS1_14UnaryOpFunctorIN3c104HalfELi2ELi1ELi1EEEJNS0_4SqrtIfEEEEEvT_T0_DpT1_, .Lfunc_end229-_ZN2at6native12_GLOBAL__N_125multi_tensor_apply_kernelINS1_18TensorListMetadataILi2EEENS1_14UnaryOpFunctorIN3c104HalfELi2ELi1ELi1EEEJNS0_4SqrtIfEEEEEvT_T0_DpT1_
                                        ; -- End function
	.set _ZN2at6native12_GLOBAL__N_125multi_tensor_apply_kernelINS1_18TensorListMetadataILi2EEENS1_14UnaryOpFunctorIN3c104HalfELi2ELi1ELi1EEEJNS0_4SqrtIfEEEEEvT_T0_DpT1_.num_vgpr, 36
	.set _ZN2at6native12_GLOBAL__N_125multi_tensor_apply_kernelINS1_18TensorListMetadataILi2EEENS1_14UnaryOpFunctorIN3c104HalfELi2ELi1ELi1EEEJNS0_4SqrtIfEEEEEvT_T0_DpT1_.num_agpr, 0
	.set _ZN2at6native12_GLOBAL__N_125multi_tensor_apply_kernelINS1_18TensorListMetadataILi2EEENS1_14UnaryOpFunctorIN3c104HalfELi2ELi1ELi1EEEJNS0_4SqrtIfEEEEEvT_T0_DpT1_.numbered_sgpr, 20
	.set _ZN2at6native12_GLOBAL__N_125multi_tensor_apply_kernelINS1_18TensorListMetadataILi2EEENS1_14UnaryOpFunctorIN3c104HalfELi2ELi1ELi1EEEJNS0_4SqrtIfEEEEEvT_T0_DpT1_.num_named_barrier, 0
	.set _ZN2at6native12_GLOBAL__N_125multi_tensor_apply_kernelINS1_18TensorListMetadataILi2EEENS1_14UnaryOpFunctorIN3c104HalfELi2ELi1ELi1EEEJNS0_4SqrtIfEEEEEvT_T0_DpT1_.private_seg_size, 0
	.set _ZN2at6native12_GLOBAL__N_125multi_tensor_apply_kernelINS1_18TensorListMetadataILi2EEENS1_14UnaryOpFunctorIN3c104HalfELi2ELi1ELi1EEEJNS0_4SqrtIfEEEEEvT_T0_DpT1_.uses_vcc, 1
	.set _ZN2at6native12_GLOBAL__N_125multi_tensor_apply_kernelINS1_18TensorListMetadataILi2EEENS1_14UnaryOpFunctorIN3c104HalfELi2ELi1ELi1EEEJNS0_4SqrtIfEEEEEvT_T0_DpT1_.uses_flat_scratch, 0
	.set _ZN2at6native12_GLOBAL__N_125multi_tensor_apply_kernelINS1_18TensorListMetadataILi2EEENS1_14UnaryOpFunctorIN3c104HalfELi2ELi1ELi1EEEJNS0_4SqrtIfEEEEEvT_T0_DpT1_.has_dyn_sized_stack, 0
	.set _ZN2at6native12_GLOBAL__N_125multi_tensor_apply_kernelINS1_18TensorListMetadataILi2EEENS1_14UnaryOpFunctorIN3c104HalfELi2ELi1ELi1EEEJNS0_4SqrtIfEEEEEvT_T0_DpT1_.has_recursion, 0
	.set _ZN2at6native12_GLOBAL__N_125multi_tensor_apply_kernelINS1_18TensorListMetadataILi2EEENS1_14UnaryOpFunctorIN3c104HalfELi2ELi1ELi1EEEJNS0_4SqrtIfEEEEEvT_T0_DpT1_.has_indirect_call, 0
	.section	.AMDGPU.csdata,"",@progbits
; Kernel info:
; codeLenInByte = 2076
; TotalNumSgprs: 22
; NumVgprs: 36
; ScratchSize: 0
; MemoryBound: 0
; FloatMode: 240
; IeeeMode: 1
; LDSByteSize: 0 bytes/workgroup (compile time only)
; SGPRBlocks: 0
; VGPRBlocks: 2
; NumSGPRsForWavesPerEU: 22
; NumVGPRsForWavesPerEU: 36
; NamedBarCnt: 0
; Occupancy: 16
; WaveLimiterHint : 0
; COMPUTE_PGM_RSRC2:SCRATCH_EN: 0
; COMPUTE_PGM_RSRC2:USER_SGPR: 2
; COMPUTE_PGM_RSRC2:TRAP_HANDLER: 0
; COMPUTE_PGM_RSRC2:TGID_X_EN: 1
; COMPUTE_PGM_RSRC2:TGID_Y_EN: 0
; COMPUTE_PGM_RSRC2:TGID_Z_EN: 0
; COMPUTE_PGM_RSRC2:TIDIG_COMP_CNT: 0
	.section	.text._ZN2at6native12_GLOBAL__N_125multi_tensor_apply_kernelINS1_18TensorListMetadataILi2EEENS1_14UnaryOpFunctorIN3c108BFloat16ELi2ELi1ELi1EEEJNS0_4SqrtIfEEEEEvT_T0_DpT1_,"axG",@progbits,_ZN2at6native12_GLOBAL__N_125multi_tensor_apply_kernelINS1_18TensorListMetadataILi2EEENS1_14UnaryOpFunctorIN3c108BFloat16ELi2ELi1ELi1EEEJNS0_4SqrtIfEEEEEvT_T0_DpT1_,comdat
	.globl	_ZN2at6native12_GLOBAL__N_125multi_tensor_apply_kernelINS1_18TensorListMetadataILi2EEENS1_14UnaryOpFunctorIN3c108BFloat16ELi2ELi1ELi1EEEJNS0_4SqrtIfEEEEEvT_T0_DpT1_ ; -- Begin function _ZN2at6native12_GLOBAL__N_125multi_tensor_apply_kernelINS1_18TensorListMetadataILi2EEENS1_14UnaryOpFunctorIN3c108BFloat16ELi2ELi1ELi1EEEJNS0_4SqrtIfEEEEEvT_T0_DpT1_
	.p2align	8
	.type	_ZN2at6native12_GLOBAL__N_125multi_tensor_apply_kernelINS1_18TensorListMetadataILi2EEENS1_14UnaryOpFunctorIN3c108BFloat16ELi2ELi1ELi1EEEJNS0_4SqrtIfEEEEEvT_T0_DpT1_,@function
_ZN2at6native12_GLOBAL__N_125multi_tensor_apply_kernelINS1_18TensorListMetadataILi2EEENS1_14UnaryOpFunctorIN3c108BFloat16ELi2ELi1ELi1EEEJNS0_4SqrtIfEEEEEvT_T0_DpT1_: ; @_ZN2at6native12_GLOBAL__N_125multi_tensor_apply_kernelINS1_18TensorListMetadataILi2EEENS1_14UnaryOpFunctorIN3c108BFloat16ELi2ELi1ELi1EEEJNS0_4SqrtIfEEEEEvT_T0_DpT1_
; %bb.0:
	s_bfe_u32 s2, ttmp6, 0x4000c
	s_and_b32 s3, ttmp6, 15
	s_add_co_i32 s2, s2, 1
	s_getreg_b32 s4, hwreg(HW_REG_IB_STS2, 6, 4)
	s_mul_i32 s2, ttmp9, s2
	s_delay_alu instid0(SALU_CYCLE_1)
	s_add_co_i32 s3, s3, s2
	s_cmp_eq_u32 s4, 0
	s_cselect_b32 s2, ttmp9, s3
	s_mov_b32 s3, 0
	s_load_u8 s8, s[0:1], s2 offset:0x600
	s_add_nc_u64 s[4:5], s[0:1], s[2:3]
	s_mul_u64 s[6:7], s[2:3], 3
	s_delay_alu instid0(SALU_CYCLE_1)
	s_add_nc_u64 s[4:5], s[4:5], s[6:7]
	s_load_b32 s6, s[4:5], 0x740
	s_wait_kmcnt 0x0
	s_clause 0x2
	s_load_b64 s[10:11], s[0:1], s8 offset:0x0 scale_offset
	s_load_b64 s[12:13], s[0:1], s8 offset:0x200 scale_offset
	;; [unrolled: 1-line block ×3, first 2 shown]
	s_mov_b32 s5, s3
	s_ashr_i32 s7, s6, 31
	s_wait_xcnt 0x0
	s_lshl_b64 s[8:9], s[6:7], 17
	s_wait_kmcnt 0x0
	s_and_b64 s[18:19], s[12:13], 7
	s_add_nc_u64 s[16:17], s[10:11], s[8:9]
	s_and_b32 s4, s14, 3
	s_and_b32 s2, s16, 7
	s_or_b64 s[4:5], s[18:19], s[4:5]
	s_lshl_b64 s[6:7], s[6:7], 16
	s_or_b64 s[2:3], s[4:5], s[2:3]
	s_sub_nc_u64 s[14:15], s[14:15], s[6:7]
	s_cmp_eq_u64 s[2:3], 0
	s_mov_b32 s2, -1
	s_cbranch_scc0 .LBB230_5
; %bb.1:
	v_min_i64 v[2:3], 0x10000, s[14:15]
	v_dual_mov_b32 v5, 0 :: v_dual_lshlrev_b32 v4, 2, v0
	s_mov_b32 s20, exec_lo
	s_delay_alu instid0(VALU_DEP_1)
	v_cmpx_lt_i64_e64 v[4:5], v[2:3]
	s_cbranch_execz .LBB230_4
; %bb.2:
	s_load_b32 s2, s[0:1], 0xc5c
	v_dual_mov_b32 v1, v5 :: v_dual_lshlrev_b32 v4, 3, v0
	s_mov_b32 s17, 0
	s_delay_alu instid0(SALU_CYCLE_1) | instskip(NEXT) | instid1(VALU_DEP_1)
	s_mov_b32 s19, s17
	v_add_nc_u64_e32 v[4:5], s[8:9], v[4:5]
	s_delay_alu instid0(VALU_DEP_2) | instskip(SKIP_3) | instid1(SALU_CYCLE_1)
	v_mov_b64_e32 v[6:7], v[0:1]
	s_mov_b32 s21, s17
	s_wait_kmcnt 0x0
	s_and_b32 s16, s2, 0xffff
	s_lshl_b32 s18, s16, 3
.LBB230_3:                              ; =>This Inner Loop Header: Depth=1
	s_delay_alu instid0(VALU_DEP_2) | instskip(NEXT) | instid1(VALU_DEP_2)
	v_add_nc_u64_e32 v[8:9], s[10:11], v[4:5]
	v_add_nc_u64_e32 v[6:7], s[16:17], v[6:7]
	global_load_b64 v[8:9], v[8:9], off
	v_lshlrev_b64_e32 v[10:11], 2, v[6:7]
	s_wait_loadcnt 0x0
	v_lshlrev_b32_e32 v1, 16, v8
	v_and_b32_e32 v12, 0xffff0000, v8
	s_wait_xcnt 0x0
	v_alignbit_b32 v8, v9, v8, 16
	v_and_b32_e32 v9, 0xffff0000, v9
	s_delay_alu instid0(VALU_DEP_3) | instskip(NEXT) | instid1(VALU_DEP_3)
	v_cmp_gt_f32_e32 vcc_lo, 0xf800000, v12
	v_and_b32_e32 v8, 0xffff0000, v8
	s_delay_alu instid0(VALU_DEP_3) | instskip(SKIP_1) | instid1(VALU_DEP_3)
	v_cmp_gt_f32_e64 s2, 0xf800000, v9
	v_dual_mul_f32 v14, 0x4f800000, v12 :: v_dual_mul_f32 v15, 0x4f800000, v9
	v_dual_mul_f32 v16, 0x4f800000, v8 :: v_dual_mul_f32 v13, 0x4f800000, v1
	v_cmp_gt_f32_e64 s3, 0xf800000, v1
	v_cmp_gt_f32_e64 s4, 0xf800000, v8
	s_delay_alu instid0(VALU_DEP_2) | instskip(NEXT) | instid1(VALU_DEP_2)
	v_dual_cndmask_b32 v14, v12, v14, vcc_lo :: v_dual_cndmask_b32 v13, v1, v13, s3
	v_cndmask_b32_e64 v16, v8, v16, s4
	s_delay_alu instid0(VALU_DEP_2) | instskip(NEXT) | instid1(VALU_DEP_2)
	v_sqrt_f32_e32 v18, v14
	v_sqrt_f32_e32 v17, v13
	v_cndmask_b32_e64 v15, v9, v15, s2
	s_delay_alu instid0(VALU_DEP_2) | instskip(NEXT) | instid1(TRANS32_DEP_2)
	v_sqrt_f32_e32 v20, v16
	v_dual_add_nc_u32 v23, -1, v18 :: v_dual_add_nc_u32 v22, 1, v17
	v_add_nc_u32_e32 v21, -1, v17
	s_delay_alu instid0(VALU_DEP_3) | instskip(NEXT) | instid1(VALU_DEP_2)
	v_sqrt_f32_e32 v19, v15
	v_dual_add_nc_u32 v24, 1, v18 :: v_dual_fma_f32 v29, -v23, v18, v14
	s_delay_alu instid0(VALU_DEP_2) | instskip(NEXT) | instid1(TRANS32_DEP_1)
	v_dual_fma_f32 v28, -v22, v17, v13 :: v_dual_fma_f32 v27, -v21, v17, v13
	v_dual_add_nc_u32 v31, -1, v20 :: v_dual_add_nc_u32 v26, 1, v19
	v_add_nc_u32_e32 v25, -1, v19
	s_delay_alu instid0(VALU_DEP_3) | instskip(SKIP_1) | instid1(VALU_DEP_3)
	v_cmp_ge_f32_e64 s5, 0, v27
	v_dual_fma_f32 v30, -v24, v18, v14 :: v_dual_add_nc_u32 v32, 1, v20
	v_dual_fma_f32 v34, -v26, v19, v15 :: v_dual_fma_f32 v33, -v25, v19, v15
	s_delay_alu instid0(VALU_DEP_3) | instskip(SKIP_4) | instid1(VALU_DEP_4)
	v_cndmask_b32_e64 v17, v17, v21, s5
	v_cmp_ge_f32_e64 s5, 0, v29
	v_fma_f32 v21, -v31, v20, v16
	v_cmp_lt_f32_e64 s7, 0, v28
	v_cmp_ge_f32_e64 s6, 0, v33
	v_cndmask_b32_e64 v18, v18, v23, s5
	v_cmp_lt_f32_e64 s5, 0, v30
	s_delay_alu instid0(VALU_DEP_3) | instskip(SKIP_1) | instid1(VALU_DEP_3)
	v_dual_fma_f32 v23, -v32, v20, v16 :: v_dual_cndmask_b32 v19, v19, v25, s6
	v_cmp_lt_f32_e64 s6, 0, v34
	v_dual_cndmask_b32 v17, v17, v22, s7 :: v_dual_cndmask_b32 v18, v18, v24, s5
	v_cmp_ge_f32_e64 s5, 0, v21
	s_delay_alu instid0(VALU_DEP_3) | instskip(NEXT) | instid1(VALU_DEP_3)
	v_cndmask_b32_e64 v19, v19, v26, s6
	v_dual_mul_f32 v21, 0x37800000, v17 :: v_dual_mul_f32 v22, 0x37800000, v18
	s_delay_alu instid0(VALU_DEP_3) | instskip(SKIP_1) | instid1(VALU_DEP_4)
	v_cndmask_b32_e64 v20, v20, v31, s5
	v_cmp_lt_f32_e64 s5, 0, v23
	v_mul_f32_e32 v23, 0x37800000, v19
	s_delay_alu instid0(VALU_DEP_4) | instskip(SKIP_1) | instid1(VALU_DEP_4)
	v_cndmask_b32_e64 v17, v17, v21, s3
	v_cmp_class_f32_e64 s3, v13, 0x260
	v_dual_cndmask_b32 v18, v18, v22, vcc_lo :: v_dual_cndmask_b32 v20, v20, v32, s5
	v_cmp_class_f32_e64 vcc_lo, v14, 0x260
	s_delay_alu instid0(VALU_DEP_3) | instskip(SKIP_1) | instid1(VALU_DEP_4)
	v_dual_cndmask_b32 v19, v19, v23, s2 :: v_dual_cndmask_b32 v13, v17, v13, s3
	v_cmp_class_f32_e64 s2, v15, 0x260
	v_dual_mul_f32 v21, 0x37800000, v20 :: v_dual_cndmask_b32 v14, v18, v14
	v_cmp_class_f32_e64 vcc_lo, v16, 0x260
	s_delay_alu instid0(VALU_DEP_4) | instskip(NEXT) | instid1(VALU_DEP_3)
	v_bfe_u32 v18, v13, 16, 1
	v_dual_cndmask_b32 v15, v19, v15, s2 :: v_dual_cndmask_b32 v17, v20, v21, s4
	v_cmp_le_f32_e64 s2, 0, v1
	s_delay_alu instid0(VALU_DEP_3) | instskip(NEXT) | instid1(VALU_DEP_3)
	v_add3_u32 v13, v13, v18, 0x7fff
	v_bfe_u32 v19, v15, 16, 1
	s_delay_alu instid0(VALU_DEP_4)
	v_cndmask_b32_e32 v16, v17, v16, vcc_lo
	v_bfe_u32 v17, v14, 16, 1
	v_cmp_le_f32_e32 vcc_lo, 0, v12
	v_lshrrev_b32_e32 v13, 16, v13
	v_add3_u32 v15, v15, v19, 0x7fff
	v_bfe_u32 v18, v16, 16, 1
	v_add3_u32 v14, v14, v17, 0x7fff
	s_delay_alu instid0(VALU_DEP_4) | instskip(NEXT) | instid1(VALU_DEP_4)
	v_cndmask_b32_e64 v13, 0x7fc0, v13, s2
	v_and_b32_e32 v15, 0xffff0000, v15
	s_delay_alu instid0(VALU_DEP_4) | instskip(NEXT) | instid1(VALU_DEP_4)
	v_add3_u32 v16, v16, v18, 0x7fff
	v_and_b32_e32 v14, 0xffff0000, v14
	s_delay_alu instid0(VALU_DEP_1) | instskip(SKIP_1) | instid1(VALU_DEP_2)
	v_dual_cndmask_b32 v12, 0x7fc00000, v14 :: v_dual_lshrrev_b32 v1, 16, v16
	v_cmp_le_f32_e32 vcc_lo, 0, v9
	v_or_b32_e32 v12, v13, v12
	v_cndmask_b32_e32 v14, 0x7fc00000, v15, vcc_lo
	v_cmp_le_f32_e32 vcc_lo, 0, v8
	v_add_nc_u64_e32 v[8:9], s[12:13], v[4:5]
	v_add_nc_u64_e32 v[4:5], s[18:19], v[4:5]
	v_cndmask_b32_e32 v1, 0x7fc0, v1, vcc_lo
	v_cmp_ge_i64_e32 vcc_lo, v[10:11], v[2:3]
	v_or3_b32 v10, v12, 0, 0
	s_delay_alu instid0(VALU_DEP_3)
	v_or3_b32 v11, 0, v1, v14
	s_or_b32 s21, vcc_lo, s21
	global_store_b64 v[8:9], v[10:11], off
	s_wait_xcnt 0x0
	s_and_not1_b32 exec_lo, exec_lo, s21
	s_cbranch_execnz .LBB230_3
.LBB230_4:
	s_or_b32 exec_lo, exec_lo, s20
	s_mov_b32 s2, 0
.LBB230_5:
	s_delay_alu instid0(SALU_CYCLE_1)
	s_and_not1_b32 vcc_lo, exec_lo, s2
	s_cbranch_vccnz .LBB230_25
; %bb.6:
	v_cmp_lt_i64_e64 s2, s[14:15], 1
	s_and_b32 vcc_lo, exec_lo, s2
	s_cbranch_vccnz .LBB230_25
; %bb.7:
	s_load_b32 s0, s[0:1], 0xc5c
	v_min_i64 v[2:3], 0x10000, s[14:15]
	v_min_u64 v[4:5], 0x10000, s[14:15]
	v_dual_mov_b32 v1, 0 :: v_dual_lshlrev_b32 v10, 1, v0
	s_mov_b32 s7, 0
	s_delay_alu instid0(SALU_CYCLE_1) | instskip(NEXT) | instid1(VALU_DEP_1)
	s_mov_b32 s5, s7
	v_dual_mov_b32 v11, v1 :: v_dual_mov_b32 v27, v1
	s_wait_xcnt 0x0
	s_mov_b32 s1, s7
	s_mov_b32 s3, s7
	s_delay_alu instid0(VALU_DEP_1) | instskip(SKIP_2) | instid1(SALU_CYCLE_1)
	v_add_nc_u64_e32 v[6:7], s[10:11], v[10:11]
	s_wait_kmcnt 0x0
	s_and_b32 s6, s0, 0xffff
	v_add_nc_u64_e32 v[8:9], s[6:7], v[0:1]
	v_mad_nc_u64_u32 v[22:23], s6, 6, v[10:11]
	s_lshl_b32 s4, s6, 2
	s_mul_i32 s2, s6, 3
	v_add_nc_u64_e32 v[18:19], s[4:5], v[10:11]
	s_lshl_b32 s0, s6, 1
	v_add_nc_u64_e32 v[10:11], s[12:13], v[10:11]
	v_lshlrev_b32_e32 v26, 1, v8
	v_add_nc_u64_e32 v[12:13], s[2:3], v[0:1]
	v_add_nc_u64_e32 v[14:15], s[0:1], v[0:1]
	s_lshl_b32 s6, s6, 3
	v_add_nc_u64_e32 v[16:17], s[10:11], v[18:19]
	v_add_nc_u64_e32 v[18:19], s[12:13], v[18:19]
	v_add_nc_u64_e32 v[20:21], s[10:11], v[22:23]
	v_add_nc_u64_e32 v[22:23], s[12:13], v[22:23]
	v_add_nc_u64_e32 v[24:25], s[10:11], v[26:27]
	v_add_nc_u64_e32 v[26:27], s[12:13], v[26:27]
	s_mov_b64 s[10:11], 0
	s_branch .LBB230_9
.LBB230_8:                              ;   in Loop: Header=BB230_9 Depth=1
	s_wait_xcnt 0x0
	s_or_b32 exec_lo, exec_lo, s1
	s_add_nc_u64 s[10:11], s[10:11], s[4:5]
	v_add_nc_u64_e32 v[6:7], s[6:7], v[6:7]
	v_cmp_ge_i64_e32 vcc_lo, s[10:11], v[2:3]
	v_add_nc_u64_e32 v[10:11], s[6:7], v[10:11]
	v_add_nc_u64_e32 v[20:21], s[6:7], v[20:21]
	;; [unrolled: 1-line block ×7, first 2 shown]
	s_cbranch_vccnz .LBB230_25
.LBB230_9:                              ; =>This Inner Loop Header: Depth=1
	v_add_nc_u64_e32 v[28:29], s[10:11], v[0:1]
	v_mov_b32_e32 v31, 0
	s_delay_alu instid0(VALU_DEP_2)
	v_cmp_lt_u64_e64 s2, v[28:29], v[4:5]
	s_and_saveexec_b32 s0, s2
	s_cbranch_execz .LBB230_11
; %bb.10:                               ;   in Loop: Header=BB230_9 Depth=1
	v_add_nc_u64_e32 v[28:29], s[8:9], v[6:7]
	global_load_u16 v28, v[28:29], off
	s_wait_loadcnt 0x0
	v_lshlrev_b32_e32 v31, 16, v28
.LBB230_11:                             ;   in Loop: Header=BB230_9 Depth=1
	s_wait_xcnt 0x0
	s_or_b32 exec_lo, exec_lo, s0
	v_add_nc_u64_e32 v[28:29], s[10:11], v[8:9]
	v_mov_b32_e32 v30, 0
	s_delay_alu instid0(VALU_DEP_2)
	v_cmp_lt_u64_e64 s1, v[28:29], v[4:5]
	v_mov_b32_e32 v29, 0
	s_and_saveexec_b32 s0, s1
	s_cbranch_execz .LBB230_13
; %bb.12:                               ;   in Loop: Header=BB230_9 Depth=1
	v_add_nc_u64_e32 v[32:33], s[8:9], v[24:25]
	global_load_u16 v28, v[32:33], off
	s_wait_loadcnt 0x0
	v_lshlrev_b32_e32 v30, 16, v28
.LBB230_13:                             ;   in Loop: Header=BB230_9 Depth=1
	s_wait_xcnt 0x0
	s_or_b32 exec_lo, exec_lo, s0
	v_add_nc_u64_e32 v[32:33], s[10:11], v[14:15]
	s_delay_alu instid0(VALU_DEP_1)
	v_cmp_lt_u64_e64 s0, v[32:33], v[4:5]
	s_and_saveexec_b32 s3, s0
	s_cbranch_execz .LBB230_15
; %bb.14:                               ;   in Loop: Header=BB230_9 Depth=1
	v_add_nc_u64_e32 v[28:29], s[8:9], v[16:17]
	global_load_u16 v28, v[28:29], off
	s_wait_loadcnt 0x0
	v_lshlrev_b32_e32 v29, 16, v28
.LBB230_15:                             ;   in Loop: Header=BB230_9 Depth=1
	s_or_b32 exec_lo, exec_lo, s3
	v_add_nc_u64_e32 v[32:33], s[10:11], v[12:13]
	v_mov_b32_e32 v28, 0
	s_delay_alu instid0(VALU_DEP_2)
	v_cmp_lt_u64_e32 vcc_lo, v[32:33], v[4:5]
	s_and_saveexec_b32 s3, vcc_lo
	s_cbranch_execnz .LBB230_20
; %bb.16:                               ;   in Loop: Header=BB230_9 Depth=1
	s_or_b32 exec_lo, exec_lo, s3
	s_and_saveexec_b32 s12, s2
	s_cbranch_execnz .LBB230_21
.LBB230_17:                             ;   in Loop: Header=BB230_9 Depth=1
	s_or_b32 exec_lo, exec_lo, s12
	s_and_saveexec_b32 s3, s1
	s_cbranch_execnz .LBB230_22
.LBB230_18:                             ;   in Loop: Header=BB230_9 Depth=1
	s_or_b32 exec_lo, exec_lo, s3
	s_and_saveexec_b32 s2, s0
	s_cbranch_execnz .LBB230_23
.LBB230_19:                             ;   in Loop: Header=BB230_9 Depth=1
	s_or_b32 exec_lo, exec_lo, s2
	s_and_saveexec_b32 s1, vcc_lo
	s_cbranch_execz .LBB230_8
	s_branch .LBB230_24
.LBB230_20:                             ;   in Loop: Header=BB230_9 Depth=1
	v_add_nc_u64_e32 v[32:33], s[8:9], v[20:21]
	global_load_u16 v28, v[32:33], off
	s_wait_loadcnt 0x0
	v_lshlrev_b32_e32 v28, 16, v28
	s_wait_xcnt 0x0
	s_or_b32 exec_lo, exec_lo, s3
	s_and_saveexec_b32 s12, s2
	s_cbranch_execz .LBB230_17
.LBB230_21:                             ;   in Loop: Header=BB230_9 Depth=1
	v_mul_f32_e32 v32, 0x4f800000, v31
	v_cmp_gt_f32_e64 s2, 0xf800000, v31
	s_delay_alu instid0(VALU_DEP_1) | instskip(NEXT) | instid1(VALU_DEP_1)
	v_cndmask_b32_e64 v32, v31, v32, s2
	v_sqrt_f32_e32 v33, v32
	v_nop
	s_delay_alu instid0(TRANS32_DEP_1) | instskip(NEXT) | instid1(VALU_DEP_1)
	v_dual_add_nc_u32 v34, -1, v33 :: v_dual_add_nc_u32 v35, 1, v33
	v_dual_fma_f32 v36, -v34, v33, v32 :: v_dual_fma_f32 v37, -v35, v33, v32
	s_delay_alu instid0(VALU_DEP_1) | instskip(NEXT) | instid1(VALU_DEP_1)
	v_cmp_ge_f32_e64 s3, 0, v36
	v_cndmask_b32_e64 v33, v33, v34, s3
	s_delay_alu instid0(VALU_DEP_3) | instskip(NEXT) | instid1(VALU_DEP_1)
	v_cmp_lt_f32_e64 s3, 0, v37
	v_cndmask_b32_e64 v33, v33, v35, s3
	s_delay_alu instid0(VALU_DEP_1) | instskip(NEXT) | instid1(VALU_DEP_1)
	v_mul_f32_e32 v34, 0x37800000, v33
	v_cndmask_b32_e64 v33, v33, v34, s2
	v_cmp_class_f32_e64 s2, v32, 0x260
	s_delay_alu instid0(VALU_DEP_1) | instskip(SKIP_1) | instid1(VALU_DEP_2)
	v_cndmask_b32_e64 v32, v33, v32, s2
	v_cmp_le_f32_e64 s2, 0, v31
	v_bfe_u32 v33, v32, 16, 1
	s_delay_alu instid0(VALU_DEP_1) | instskip(NEXT) | instid1(VALU_DEP_1)
	v_add3_u32 v32, v32, v33, 0x7fff
	v_lshrrev_b32_e32 v34, 16, v32
	v_add_nc_u64_e32 v[32:33], s[8:9], v[10:11]
	s_delay_alu instid0(VALU_DEP_2)
	v_cndmask_b32_e64 v31, 0x7fc0, v34, s2
	global_store_b16 v[32:33], v31, off
	s_wait_xcnt 0x0
	s_or_b32 exec_lo, exec_lo, s12
	s_and_saveexec_b32 s3, s1
	s_cbranch_execz .LBB230_18
.LBB230_22:                             ;   in Loop: Header=BB230_9 Depth=1
	v_mul_f32_e32 v31, 0x4f800000, v30
	v_cmp_gt_f32_e64 s1, 0xf800000, v30
	s_delay_alu instid0(VALU_DEP_1) | instskip(NEXT) | instid1(VALU_DEP_1)
	v_cndmask_b32_e64 v31, v30, v31, s1
	v_sqrt_f32_e32 v32, v31
	v_nop
	s_delay_alu instid0(TRANS32_DEP_1) | instskip(NEXT) | instid1(VALU_DEP_1)
	v_dual_add_nc_u32 v33, -1, v32 :: v_dual_add_nc_u32 v34, 1, v32
	v_dual_fma_f32 v35, -v33, v32, v31 :: v_dual_fma_f32 v36, -v34, v32, v31
	s_delay_alu instid0(VALU_DEP_1) | instskip(NEXT) | instid1(VALU_DEP_1)
	v_cmp_ge_f32_e64 s2, 0, v35
	v_cndmask_b32_e64 v32, v32, v33, s2
	s_delay_alu instid0(VALU_DEP_3) | instskip(NEXT) | instid1(VALU_DEP_1)
	v_cmp_lt_f32_e64 s2, 0, v36
	v_cndmask_b32_e64 v32, v32, v34, s2
	s_delay_alu instid0(VALU_DEP_1) | instskip(NEXT) | instid1(VALU_DEP_1)
	v_mul_f32_e32 v33, 0x37800000, v32
	v_cndmask_b32_e64 v32, v32, v33, s1
	v_cmp_class_f32_e64 s1, v31, 0x260
	s_delay_alu instid0(VALU_DEP_1) | instskip(SKIP_1) | instid1(VALU_DEP_2)
	v_cndmask_b32_e64 v31, v32, v31, s1
	v_cmp_le_f32_e64 s1, 0, v30
	v_bfe_u32 v32, v31, 16, 1
	s_delay_alu instid0(VALU_DEP_1) | instskip(SKIP_1) | instid1(VALU_DEP_2)
	v_add3_u32 v31, v31, v32, 0x7fff
	v_add_nc_u64_e32 v[32:33], s[8:9], v[26:27]
	v_lshrrev_b32_e32 v31, 16, v31
	s_delay_alu instid0(VALU_DEP_1)
	v_cndmask_b32_e64 v30, 0x7fc0, v31, s1
	global_store_b16 v[32:33], v30, off
	s_wait_xcnt 0x0
	s_or_b32 exec_lo, exec_lo, s3
	s_and_saveexec_b32 s2, s0
	s_cbranch_execz .LBB230_19
.LBB230_23:                             ;   in Loop: Header=BB230_9 Depth=1
	v_mul_f32_e32 v30, 0x4f800000, v29
	v_cmp_gt_f32_e64 s0, 0xf800000, v29
	s_delay_alu instid0(VALU_DEP_1) | instskip(NEXT) | instid1(VALU_DEP_1)
	v_cndmask_b32_e64 v30, v29, v30, s0
	v_sqrt_f32_e32 v31, v30
	v_nop
	s_delay_alu instid0(TRANS32_DEP_1) | instskip(NEXT) | instid1(VALU_DEP_1)
	v_dual_add_nc_u32 v32, -1, v31 :: v_dual_add_nc_u32 v33, 1, v31
	v_dual_fma_f32 v34, -v32, v31, v30 :: v_dual_fma_f32 v35, -v33, v31, v30
	s_delay_alu instid0(VALU_DEP_1) | instskip(NEXT) | instid1(VALU_DEP_1)
	v_cmp_ge_f32_e64 s1, 0, v34
	v_cndmask_b32_e64 v31, v31, v32, s1
	s_delay_alu instid0(VALU_DEP_3) | instskip(NEXT) | instid1(VALU_DEP_1)
	v_cmp_lt_f32_e64 s1, 0, v35
	v_cndmask_b32_e64 v31, v31, v33, s1
	s_delay_alu instid0(VALU_DEP_1) | instskip(NEXT) | instid1(VALU_DEP_1)
	v_mul_f32_e32 v32, 0x37800000, v31
	v_cndmask_b32_e64 v31, v31, v32, s0
	v_cmp_class_f32_e64 s0, v30, 0x260
	s_delay_alu instid0(VALU_DEP_1) | instskip(SKIP_1) | instid1(VALU_DEP_2)
	v_cndmask_b32_e64 v30, v31, v30, s0
	v_cmp_le_f32_e64 s0, 0, v29
	v_bfe_u32 v31, v30, 16, 1
	s_delay_alu instid0(VALU_DEP_1) | instskip(NEXT) | instid1(VALU_DEP_1)
	v_add3_u32 v30, v30, v31, 0x7fff
	v_lshrrev_b32_e32 v32, 16, v30
	v_add_nc_u64_e32 v[30:31], s[8:9], v[18:19]
	s_delay_alu instid0(VALU_DEP_2)
	v_cndmask_b32_e64 v29, 0x7fc0, v32, s0
	global_store_b16 v[30:31], v29, off
	s_wait_xcnt 0x0
	s_or_b32 exec_lo, exec_lo, s2
	s_and_saveexec_b32 s1, vcc_lo
	s_cbranch_execz .LBB230_8
.LBB230_24:                             ;   in Loop: Header=BB230_9 Depth=1
	v_mul_f32_e32 v29, 0x4f800000, v28
	v_cmp_gt_f32_e32 vcc_lo, 0xf800000, v28
	s_delay_alu instid0(VALU_DEP_2) | instskip(NEXT) | instid1(VALU_DEP_1)
	v_cndmask_b32_e32 v29, v28, v29, vcc_lo
	v_sqrt_f32_e32 v30, v29
	v_nop
	s_delay_alu instid0(TRANS32_DEP_1) | instskip(NEXT) | instid1(VALU_DEP_1)
	v_dual_add_nc_u32 v31, -1, v30 :: v_dual_add_nc_u32 v32, 1, v30
	v_dual_fma_f32 v33, -v31, v30, v29 :: v_dual_fma_f32 v34, -v32, v30, v29
	s_delay_alu instid0(VALU_DEP_1) | instskip(NEXT) | instid1(VALU_DEP_1)
	v_cmp_ge_f32_e64 s0, 0, v33
	v_cndmask_b32_e64 v30, v30, v31, s0
	s_delay_alu instid0(VALU_DEP_3) | instskip(NEXT) | instid1(VALU_DEP_1)
	v_cmp_lt_f32_e64 s0, 0, v34
	v_cndmask_b32_e64 v30, v30, v32, s0
	s_delay_alu instid0(VALU_DEP_1) | instskip(NEXT) | instid1(VALU_DEP_1)
	v_mul_f32_e32 v31, 0x37800000, v30
	v_cndmask_b32_e32 v30, v30, v31, vcc_lo
	v_cmp_class_f32_e64 vcc_lo, v29, 0x260
	s_delay_alu instid0(VALU_DEP_2) | instskip(SKIP_1) | instid1(VALU_DEP_2)
	v_cndmask_b32_e32 v29, v30, v29, vcc_lo
	v_cmp_le_f32_e32 vcc_lo, 0, v28
	v_bfe_u32 v30, v29, 16, 1
	s_delay_alu instid0(VALU_DEP_1) | instskip(SKIP_1) | instid1(VALU_DEP_2)
	v_add3_u32 v29, v29, v30, 0x7fff
	v_add_nc_u64_e32 v[30:31], s[8:9], v[22:23]
	v_lshrrev_b32_e32 v29, 16, v29
	s_delay_alu instid0(VALU_DEP_1)
	v_cndmask_b32_e32 v28, 0x7fc0, v29, vcc_lo
	global_store_b16 v[30:31], v28, off
	s_branch .LBB230_8
.LBB230_25:
	s_endpgm
	.section	.rodata,"a",@progbits
	.p2align	6, 0x0
	.amdhsa_kernel _ZN2at6native12_GLOBAL__N_125multi_tensor_apply_kernelINS1_18TensorListMetadataILi2EEENS1_14UnaryOpFunctorIN3c108BFloat16ELi2ELi1ELi1EEEJNS0_4SqrtIfEEEEEvT_T0_DpT1_
		.amdhsa_group_segment_fixed_size 0
		.amdhsa_private_segment_fixed_size 0
		.amdhsa_kernarg_size 3408
		.amdhsa_user_sgpr_count 2
		.amdhsa_user_sgpr_dispatch_ptr 0
		.amdhsa_user_sgpr_queue_ptr 0
		.amdhsa_user_sgpr_kernarg_segment_ptr 1
		.amdhsa_user_sgpr_dispatch_id 0
		.amdhsa_user_sgpr_kernarg_preload_length 0
		.amdhsa_user_sgpr_kernarg_preload_offset 0
		.amdhsa_user_sgpr_private_segment_size 0
		.amdhsa_wavefront_size32 1
		.amdhsa_uses_dynamic_stack 0
		.amdhsa_enable_private_segment 0
		.amdhsa_system_sgpr_workgroup_id_x 1
		.amdhsa_system_sgpr_workgroup_id_y 0
		.amdhsa_system_sgpr_workgroup_id_z 0
		.amdhsa_system_sgpr_workgroup_info 0
		.amdhsa_system_vgpr_workitem_id 0
		.amdhsa_next_free_vgpr 38
		.amdhsa_next_free_sgpr 22
		.amdhsa_named_barrier_count 0
		.amdhsa_reserve_vcc 1
		.amdhsa_float_round_mode_32 0
		.amdhsa_float_round_mode_16_64 0
		.amdhsa_float_denorm_mode_32 3
		.amdhsa_float_denorm_mode_16_64 3
		.amdhsa_fp16_overflow 0
		.amdhsa_memory_ordered 1
		.amdhsa_forward_progress 1
		.amdhsa_inst_pref_size 21
		.amdhsa_round_robin_scheduling 0
		.amdhsa_exception_fp_ieee_invalid_op 0
		.amdhsa_exception_fp_denorm_src 0
		.amdhsa_exception_fp_ieee_div_zero 0
		.amdhsa_exception_fp_ieee_overflow 0
		.amdhsa_exception_fp_ieee_underflow 0
		.amdhsa_exception_fp_ieee_inexact 0
		.amdhsa_exception_int_div_zero 0
	.end_amdhsa_kernel
	.section	.text._ZN2at6native12_GLOBAL__N_125multi_tensor_apply_kernelINS1_18TensorListMetadataILi2EEENS1_14UnaryOpFunctorIN3c108BFloat16ELi2ELi1ELi1EEEJNS0_4SqrtIfEEEEEvT_T0_DpT1_,"axG",@progbits,_ZN2at6native12_GLOBAL__N_125multi_tensor_apply_kernelINS1_18TensorListMetadataILi2EEENS1_14UnaryOpFunctorIN3c108BFloat16ELi2ELi1ELi1EEEJNS0_4SqrtIfEEEEEvT_T0_DpT1_,comdat
.Lfunc_end230:
	.size	_ZN2at6native12_GLOBAL__N_125multi_tensor_apply_kernelINS1_18TensorListMetadataILi2EEENS1_14UnaryOpFunctorIN3c108BFloat16ELi2ELi1ELi1EEEJNS0_4SqrtIfEEEEEvT_T0_DpT1_, .Lfunc_end230-_ZN2at6native12_GLOBAL__N_125multi_tensor_apply_kernelINS1_18TensorListMetadataILi2EEENS1_14UnaryOpFunctorIN3c108BFloat16ELi2ELi1ELi1EEEJNS0_4SqrtIfEEEEEvT_T0_DpT1_
                                        ; -- End function
	.set _ZN2at6native12_GLOBAL__N_125multi_tensor_apply_kernelINS1_18TensorListMetadataILi2EEENS1_14UnaryOpFunctorIN3c108BFloat16ELi2ELi1ELi1EEEJNS0_4SqrtIfEEEEEvT_T0_DpT1_.num_vgpr, 38
	.set _ZN2at6native12_GLOBAL__N_125multi_tensor_apply_kernelINS1_18TensorListMetadataILi2EEENS1_14UnaryOpFunctorIN3c108BFloat16ELi2ELi1ELi1EEEJNS0_4SqrtIfEEEEEvT_T0_DpT1_.num_agpr, 0
	.set _ZN2at6native12_GLOBAL__N_125multi_tensor_apply_kernelINS1_18TensorListMetadataILi2EEENS1_14UnaryOpFunctorIN3c108BFloat16ELi2ELi1ELi1EEEJNS0_4SqrtIfEEEEEvT_T0_DpT1_.numbered_sgpr, 22
	.set _ZN2at6native12_GLOBAL__N_125multi_tensor_apply_kernelINS1_18TensorListMetadataILi2EEENS1_14UnaryOpFunctorIN3c108BFloat16ELi2ELi1ELi1EEEJNS0_4SqrtIfEEEEEvT_T0_DpT1_.num_named_barrier, 0
	.set _ZN2at6native12_GLOBAL__N_125multi_tensor_apply_kernelINS1_18TensorListMetadataILi2EEENS1_14UnaryOpFunctorIN3c108BFloat16ELi2ELi1ELi1EEEJNS0_4SqrtIfEEEEEvT_T0_DpT1_.private_seg_size, 0
	.set _ZN2at6native12_GLOBAL__N_125multi_tensor_apply_kernelINS1_18TensorListMetadataILi2EEENS1_14UnaryOpFunctorIN3c108BFloat16ELi2ELi1ELi1EEEJNS0_4SqrtIfEEEEEvT_T0_DpT1_.uses_vcc, 1
	.set _ZN2at6native12_GLOBAL__N_125multi_tensor_apply_kernelINS1_18TensorListMetadataILi2EEENS1_14UnaryOpFunctorIN3c108BFloat16ELi2ELi1ELi1EEEJNS0_4SqrtIfEEEEEvT_T0_DpT1_.uses_flat_scratch, 0
	.set _ZN2at6native12_GLOBAL__N_125multi_tensor_apply_kernelINS1_18TensorListMetadataILi2EEENS1_14UnaryOpFunctorIN3c108BFloat16ELi2ELi1ELi1EEEJNS0_4SqrtIfEEEEEvT_T0_DpT1_.has_dyn_sized_stack, 0
	.set _ZN2at6native12_GLOBAL__N_125multi_tensor_apply_kernelINS1_18TensorListMetadataILi2EEENS1_14UnaryOpFunctorIN3c108BFloat16ELi2ELi1ELi1EEEJNS0_4SqrtIfEEEEEvT_T0_DpT1_.has_recursion, 0
	.set _ZN2at6native12_GLOBAL__N_125multi_tensor_apply_kernelINS1_18TensorListMetadataILi2EEENS1_14UnaryOpFunctorIN3c108BFloat16ELi2ELi1ELi1EEEJNS0_4SqrtIfEEEEEvT_T0_DpT1_.has_indirect_call, 0
	.section	.AMDGPU.csdata,"",@progbits
; Kernel info:
; codeLenInByte = 2564
; TotalNumSgprs: 24
; NumVgprs: 38
; ScratchSize: 0
; MemoryBound: 0
; FloatMode: 240
; IeeeMode: 1
; LDSByteSize: 0 bytes/workgroup (compile time only)
; SGPRBlocks: 0
; VGPRBlocks: 2
; NumSGPRsForWavesPerEU: 24
; NumVGPRsForWavesPerEU: 38
; NamedBarCnt: 0
; Occupancy: 16
; WaveLimiterHint : 0
; COMPUTE_PGM_RSRC2:SCRATCH_EN: 0
; COMPUTE_PGM_RSRC2:USER_SGPR: 2
; COMPUTE_PGM_RSRC2:TRAP_HANDLER: 0
; COMPUTE_PGM_RSRC2:TGID_X_EN: 1
; COMPUTE_PGM_RSRC2:TGID_Y_EN: 0
; COMPUTE_PGM_RSRC2:TGID_Z_EN: 0
; COMPUTE_PGM_RSRC2:TIDIG_COMP_CNT: 0
	.section	.text._ZN2at6native12_GLOBAL__N_125multi_tensor_apply_kernelINS1_18TensorListMetadataILi1EEENS1_14UnaryOpFunctorIdLi1ELi1ELi0EEEJNS0_4SqrtIdEEEEEvT_T0_DpT1_,"axG",@progbits,_ZN2at6native12_GLOBAL__N_125multi_tensor_apply_kernelINS1_18TensorListMetadataILi1EEENS1_14UnaryOpFunctorIdLi1ELi1ELi0EEEJNS0_4SqrtIdEEEEEvT_T0_DpT1_,comdat
	.globl	_ZN2at6native12_GLOBAL__N_125multi_tensor_apply_kernelINS1_18TensorListMetadataILi1EEENS1_14UnaryOpFunctorIdLi1ELi1ELi0EEEJNS0_4SqrtIdEEEEEvT_T0_DpT1_ ; -- Begin function _ZN2at6native12_GLOBAL__N_125multi_tensor_apply_kernelINS1_18TensorListMetadataILi1EEENS1_14UnaryOpFunctorIdLi1ELi1ELi0EEEJNS0_4SqrtIdEEEEEvT_T0_DpT1_
	.p2align	8
	.type	_ZN2at6native12_GLOBAL__N_125multi_tensor_apply_kernelINS1_18TensorListMetadataILi1EEENS1_14UnaryOpFunctorIdLi1ELi1ELi0EEEJNS0_4SqrtIdEEEEEvT_T0_DpT1_,@function
_ZN2at6native12_GLOBAL__N_125multi_tensor_apply_kernelINS1_18TensorListMetadataILi1EEENS1_14UnaryOpFunctorIdLi1ELi1ELi0EEEJNS0_4SqrtIdEEEEEvT_T0_DpT1_: ; @_ZN2at6native12_GLOBAL__N_125multi_tensor_apply_kernelINS1_18TensorListMetadataILi1EEENS1_14UnaryOpFunctorIdLi1ELi1ELi0EEEJNS0_4SqrtIdEEEEEvT_T0_DpT1_
; %bb.0:
	s_bfe_u32 s2, ttmp6, 0x4000c
	s_and_b32 s3, ttmp6, 15
	s_add_co_i32 s2, s2, 1
	s_getreg_b32 s4, hwreg(HW_REG_IB_STS2, 6, 4)
	s_mul_i32 s2, ttmp9, s2
	s_delay_alu instid0(SALU_CYCLE_1)
	s_add_co_i32 s3, s3, s2
	s_cmp_eq_u32 s4, 0
	s_cselect_b32 s2, ttmp9, s3
	s_mov_b32 s3, 0
	s_load_u8 s8, s[0:1], s2 offset:0x6e0
	s_add_nc_u64 s[4:5], s[0:1], s[2:3]
	s_mul_u64 s[6:7], s[2:3], 3
	s_delay_alu instid0(SALU_CYCLE_1)
	s_add_nc_u64 s[4:5], s[4:5], s[6:7]
	s_load_b32 s10, s[4:5], 0x820
	s_wait_kmcnt 0x0
	s_clause 0x1
	s_load_b64 s[6:7], s[0:1], s8 offset:0x0 scale_offset
	s_load_b64 s[12:13], s[0:1], s8 offset:0x370 scale_offset
	s_ashr_i32 s11, s10, 31
	s_wait_kmcnt 0x0
	s_and_b64 s[4:5], s[6:7], 31
	s_and_b32 s2, s12, 3
	s_lshl_b64 s[8:9], s[10:11], 19
	s_or_b64 s[2:3], s[4:5], s[2:3]
	s_lshl_b64 s[4:5], s[10:11], 16
	s_cmp_eq_u64 s[2:3], 0
	s_sub_nc_u64 s[10:11], s[12:13], s[4:5]
	s_cbranch_scc1 .LBB231_21
; %bb.1:
	v_cmp_lt_i64_e64 s2, s[10:11], 1
	s_and_b32 vcc_lo, exec_lo, s2
	s_cbranch_vccnz .LBB231_20
; %bb.2:
	s_load_b32 s4, s[0:1], 0xd3c
	v_min_i64 v[2:3], 0x10000, s[10:11]
	v_min_u64 v[4:5], 0x10000, s[10:11]
	v_dual_mov_b32 v1, 0 :: v_dual_lshlrev_b32 v8, 3, v0
	s_mov_b32 s19, 0
	s_add_nc_u64 s[2:3], s[6:7], s[8:9]
	s_mov_b32 s5, s19
	s_delay_alu instid0(VALU_DEP_1)
	v_mov_b32_e32 v15, v1
	s_mov_b32 s17, s19
	s_mov_b32 s13, s19
	;; [unrolled: 1-line block ×3, first 2 shown]
	s_mov_b64 s[20:21], 0
	s_wait_kmcnt 0x0
	s_and_b32 s18, s4, 0xffff
	s_delay_alu instid0(SALU_CYCLE_1)
	v_add_nc_u64_e32 v[6:7], s[18:19], v[0:1]
	v_mov_b32_e32 v9, v1
	s_lshl_b32 s4, s18, 1
	s_mul_i32 s16, s18, 3
	v_add_nc_u64_e32 v[12:13], s[4:5], v[0:1]
	v_add_nc_u64_e32 v[10:11], s[16:17], v[0:1]
	s_lshl_b32 s12, s18, 2
	v_lshlrev_b32_e32 v14, 3, v6
	v_add_nc_u64_e32 v[8:9], s[2:3], v[8:9]
	s_lshl_b32 s14, s18, 5
	s_mul_u64 s[16:17], s[18:19], 24
	s_lshl_b32 s18, s18, 4
	v_add_nc_u64_e32 v[14:15], s[2:3], v[14:15]
	s_branch .LBB231_4
.LBB231_3:                              ;   in Loop: Header=BB231_4 Depth=1
	s_wait_xcnt 0x0
	s_or_b32 exec_lo, exec_lo, s2
	s_add_nc_u64 s[20:21], s[20:21], s[12:13]
	v_add_nc_u64_e32 v[8:9], s[14:15], v[8:9]
	v_cmp_lt_i64_e32 vcc_lo, s[20:21], v[2:3]
	v_add_nc_u64_e32 v[14:15], s[14:15], v[14:15]
	s_cbranch_vccz .LBB231_20
.LBB231_4:                              ; =>This Inner Loop Header: Depth=1
	v_add_nc_u64_e32 v[18:19], s[20:21], v[0:1]
	v_mov_b64_e32 v[16:17], 0
	s_delay_alu instid0(VALU_DEP_2)
	v_cmp_lt_u64_e32 vcc_lo, v[18:19], v[4:5]
	v_mov_b64_e32 v[18:19], 0
	s_and_saveexec_b32 s3, vcc_lo
	s_cbranch_execz .LBB231_6
; %bb.5:                                ;   in Loop: Header=BB231_4 Depth=1
	global_load_b64 v[18:19], v[8:9], off
	s_wait_loadcnt 0x0
	v_cmp_gt_f64_e64 s2, 0x10000000, v[18:19]
	s_delay_alu instid0(VALU_DEP_1) | instskip(NEXT) | instid1(VALU_DEP_1)
	v_cndmask_b32_e64 v20, 0, 0x100, s2
	v_ldexp_f64 v[18:19], v[18:19], v20
	s_delay_alu instid0(VALU_DEP_1) | instskip(SKIP_1) | instid1(TRANS32_DEP_1)
	v_rsq_f64_e32 v[20:21], v[18:19]
	v_nop
	v_mul_f64_e32 v[22:23], v[18:19], v[20:21]
	v_mul_f64_e32 v[20:21], 0.5, v[20:21]
	s_delay_alu instid0(VALU_DEP_1) | instskip(NEXT) | instid1(VALU_DEP_1)
	v_fma_f64 v[24:25], -v[20:21], v[22:23], 0.5
	v_fmac_f64_e32 v[22:23], v[22:23], v[24:25]
	v_fmac_f64_e32 v[20:21], v[20:21], v[24:25]
	s_delay_alu instid0(VALU_DEP_2) | instskip(NEXT) | instid1(VALU_DEP_1)
	v_fma_f64 v[24:25], -v[22:23], v[22:23], v[18:19]
	v_fmac_f64_e32 v[22:23], v[24:25], v[20:21]
	s_delay_alu instid0(VALU_DEP_1) | instskip(NEXT) | instid1(VALU_DEP_1)
	v_fma_f64 v[24:25], -v[22:23], v[22:23], v[18:19]
	v_fmac_f64_e32 v[22:23], v[24:25], v[20:21]
	v_cndmask_b32_e64 v20, 0, 0xffffff80, s2
	v_cmp_class_f64_e64 s2, v[18:19], 0x260
	s_delay_alu instid0(VALU_DEP_2) | instskip(NEXT) | instid1(VALU_DEP_1)
	v_ldexp_f64 v[20:21], v[22:23], v20
	v_dual_cndmask_b32 v19, v21, v19, s2 :: v_dual_cndmask_b32 v18, v20, v18, s2
.LBB231_6:                              ;   in Loop: Header=BB231_4 Depth=1
	s_wait_xcnt 0x0
	s_or_b32 exec_lo, exec_lo, s3
	v_add_nc_u64_e32 v[20:21], s[20:21], v[6:7]
	s_delay_alu instid0(VALU_DEP_1)
	v_cmp_lt_u64_e64 s2, v[20:21], v[4:5]
	s_and_saveexec_b32 s4, s2
	s_cbranch_execz .LBB231_8
; %bb.7:                                ;   in Loop: Header=BB231_4 Depth=1
	global_load_b64 v[16:17], v[14:15], off
	s_wait_loadcnt 0x0
	v_cmp_gt_f64_e64 s3, 0x10000000, v[16:17]
	s_delay_alu instid0(VALU_DEP_1) | instskip(NEXT) | instid1(VALU_DEP_1)
	v_cndmask_b32_e64 v20, 0, 0x100, s3
	v_ldexp_f64 v[16:17], v[16:17], v20
	s_delay_alu instid0(VALU_DEP_1) | instskip(SKIP_1) | instid1(TRANS32_DEP_1)
	v_rsq_f64_e32 v[20:21], v[16:17]
	v_nop
	v_mul_f64_e32 v[22:23], v[16:17], v[20:21]
	v_mul_f64_e32 v[20:21], 0.5, v[20:21]
	s_delay_alu instid0(VALU_DEP_1) | instskip(NEXT) | instid1(VALU_DEP_1)
	v_fma_f64 v[24:25], -v[20:21], v[22:23], 0.5
	v_fmac_f64_e32 v[22:23], v[22:23], v[24:25]
	v_fmac_f64_e32 v[20:21], v[20:21], v[24:25]
	s_delay_alu instid0(VALU_DEP_2) | instskip(NEXT) | instid1(VALU_DEP_1)
	v_fma_f64 v[24:25], -v[22:23], v[22:23], v[16:17]
	v_fmac_f64_e32 v[22:23], v[24:25], v[20:21]
	s_delay_alu instid0(VALU_DEP_1) | instskip(NEXT) | instid1(VALU_DEP_1)
	v_fma_f64 v[24:25], -v[22:23], v[22:23], v[16:17]
	v_fmac_f64_e32 v[22:23], v[24:25], v[20:21]
	v_cndmask_b32_e64 v20, 0, 0xffffff80, s3
	v_cmp_class_f64_e64 s3, v[16:17], 0x260
	s_delay_alu instid0(VALU_DEP_2) | instskip(NEXT) | instid1(VALU_DEP_1)
	v_ldexp_f64 v[20:21], v[22:23], v20
	v_dual_cndmask_b32 v17, v21, v17, s3 :: v_dual_cndmask_b32 v16, v20, v16, s3
.LBB231_8:                              ;   in Loop: Header=BB231_4 Depth=1
	s_wait_xcnt 0x0
	s_or_b32 exec_lo, exec_lo, s4
	v_add_nc_u64_e32 v[24:25], s[20:21], v[12:13]
	v_mov_b64_e32 v[22:23], 0
	v_add_nc_u64_e32 v[20:21], s[18:19], v[8:9]
	s_delay_alu instid0(VALU_DEP_3)
	v_cmp_lt_u64_e64 s3, v[24:25], v[4:5]
	v_mov_b64_e32 v[24:25], 0
	s_and_saveexec_b32 s5, s3
	s_cbranch_execz .LBB231_10
; %bb.9:                                ;   in Loop: Header=BB231_4 Depth=1
	global_load_b64 v[24:25], v[20:21], off
	s_wait_loadcnt 0x0
	v_cmp_gt_f64_e64 s4, 0x10000000, v[24:25]
	s_delay_alu instid0(VALU_DEP_1) | instskip(NEXT) | instid1(VALU_DEP_1)
	v_cndmask_b32_e64 v26, 0, 0x100, s4
	v_ldexp_f64 v[24:25], v[24:25], v26
	s_delay_alu instid0(VALU_DEP_1) | instskip(SKIP_1) | instid1(TRANS32_DEP_1)
	v_rsq_f64_e32 v[26:27], v[24:25]
	v_nop
	v_mul_f64_e32 v[28:29], v[24:25], v[26:27]
	v_mul_f64_e32 v[26:27], 0.5, v[26:27]
	s_delay_alu instid0(VALU_DEP_1) | instskip(NEXT) | instid1(VALU_DEP_1)
	v_fma_f64 v[30:31], -v[26:27], v[28:29], 0.5
	v_fmac_f64_e32 v[28:29], v[28:29], v[30:31]
	v_fmac_f64_e32 v[26:27], v[26:27], v[30:31]
	s_delay_alu instid0(VALU_DEP_2) | instskip(NEXT) | instid1(VALU_DEP_1)
	v_fma_f64 v[30:31], -v[28:29], v[28:29], v[24:25]
	v_fmac_f64_e32 v[28:29], v[30:31], v[26:27]
	s_delay_alu instid0(VALU_DEP_1) | instskip(NEXT) | instid1(VALU_DEP_1)
	v_fma_f64 v[30:31], -v[28:29], v[28:29], v[24:25]
	v_fmac_f64_e32 v[28:29], v[30:31], v[26:27]
	v_cndmask_b32_e64 v26, 0, 0xffffff80, s4
	v_cmp_class_f64_e64 s4, v[24:25], 0x260
	s_delay_alu instid0(VALU_DEP_2) | instskip(NEXT) | instid1(VALU_DEP_1)
	v_ldexp_f64 v[26:27], v[28:29], v26
	v_dual_cndmask_b32 v25, v27, v25, s4 :: v_dual_cndmask_b32 v24, v26, v24, s4
.LBB231_10:                             ;   in Loop: Header=BB231_4 Depth=1
	s_wait_xcnt 0x0
	s_or_b32 exec_lo, exec_lo, s5
	v_add_nc_u64_e32 v[26:27], s[20:21], v[10:11]
	s_delay_alu instid0(VALU_DEP_1)
	v_cmp_lt_u64_e64 s4, v[26:27], v[4:5]
	v_add_nc_u64_e32 v[26:27], s[16:17], v[8:9]
	s_and_saveexec_b32 s22, s4
	s_cbranch_execnz .LBB231_15
; %bb.11:                               ;   in Loop: Header=BB231_4 Depth=1
	s_or_b32 exec_lo, exec_lo, s22
	s_and_saveexec_b32 s5, vcc_lo
	s_cbranch_execnz .LBB231_16
.LBB231_12:                             ;   in Loop: Header=BB231_4 Depth=1
	s_or_b32 exec_lo, exec_lo, s5
	s_and_saveexec_b32 s5, s2
	s_cbranch_execnz .LBB231_17
.LBB231_13:                             ;   in Loop: Header=BB231_4 Depth=1
	s_or_b32 exec_lo, exec_lo, s5
	s_and_saveexec_b32 s2, s3
	s_cbranch_execnz .LBB231_18
.LBB231_14:                             ;   in Loop: Header=BB231_4 Depth=1
	s_or_b32 exec_lo, exec_lo, s2
	s_and_saveexec_b32 s2, s4
	s_cbranch_execz .LBB231_3
	s_branch .LBB231_19
.LBB231_15:                             ;   in Loop: Header=BB231_4 Depth=1
	global_load_b64 v[22:23], v[26:27], off
	s_wait_loadcnt 0x0
	v_cmp_gt_f64_e64 s5, 0x10000000, v[22:23]
	s_delay_alu instid0(VALU_DEP_1) | instskip(NEXT) | instid1(VALU_DEP_1)
	v_cndmask_b32_e64 v28, 0, 0x100, s5
	v_ldexp_f64 v[22:23], v[22:23], v28
	s_delay_alu instid0(VALU_DEP_1) | instskip(SKIP_1) | instid1(TRANS32_DEP_1)
	v_rsq_f64_e32 v[28:29], v[22:23]
	v_nop
	v_mul_f64_e32 v[30:31], v[22:23], v[28:29]
	v_mul_f64_e32 v[28:29], 0.5, v[28:29]
	s_delay_alu instid0(VALU_DEP_1) | instskip(NEXT) | instid1(VALU_DEP_1)
	v_fma_f64 v[32:33], -v[28:29], v[30:31], 0.5
	v_fmac_f64_e32 v[30:31], v[30:31], v[32:33]
	v_fmac_f64_e32 v[28:29], v[28:29], v[32:33]
	s_delay_alu instid0(VALU_DEP_2) | instskip(NEXT) | instid1(VALU_DEP_1)
	v_fma_f64 v[32:33], -v[30:31], v[30:31], v[22:23]
	v_fmac_f64_e32 v[30:31], v[32:33], v[28:29]
	s_delay_alu instid0(VALU_DEP_1) | instskip(NEXT) | instid1(VALU_DEP_1)
	v_fma_f64 v[32:33], -v[30:31], v[30:31], v[22:23]
	v_fmac_f64_e32 v[30:31], v[32:33], v[28:29]
	v_cndmask_b32_e64 v28, 0, 0xffffff80, s5
	v_cmp_class_f64_e64 s5, v[22:23], 0x260
	s_delay_alu instid0(VALU_DEP_2) | instskip(NEXT) | instid1(VALU_DEP_1)
	v_ldexp_f64 v[28:29], v[30:31], v28
	v_dual_cndmask_b32 v23, v29, v23, s5 :: v_dual_cndmask_b32 v22, v28, v22, s5
	s_wait_xcnt 0x0
	s_or_b32 exec_lo, exec_lo, s22
	s_and_saveexec_b32 s5, vcc_lo
	s_cbranch_execz .LBB231_12
.LBB231_16:                             ;   in Loop: Header=BB231_4 Depth=1
	global_store_b64 v[8:9], v[18:19], off
	s_wait_xcnt 0x0
	s_or_b32 exec_lo, exec_lo, s5
	s_and_saveexec_b32 s5, s2
	s_cbranch_execz .LBB231_13
.LBB231_17:                             ;   in Loop: Header=BB231_4 Depth=1
	global_store_b64 v[14:15], v[16:17], off
	s_wait_xcnt 0x0
	s_or_b32 exec_lo, exec_lo, s5
	s_and_saveexec_b32 s2, s3
	s_cbranch_execz .LBB231_14
.LBB231_18:                             ;   in Loop: Header=BB231_4 Depth=1
	global_store_b64 v[20:21], v[24:25], off
	s_wait_xcnt 0x0
	s_or_b32 exec_lo, exec_lo, s2
	s_and_saveexec_b32 s2, s4
	s_cbranch_execz .LBB231_3
.LBB231_19:                             ;   in Loop: Header=BB231_4 Depth=1
	global_store_b64 v[26:27], v[22:23], off
	s_branch .LBB231_3
.LBB231_20:
	s_cbranch_execz .LBB231_22
	s_branch .LBB231_25
.LBB231_21:
.LBB231_22:
	v_min_i64 v[2:3], 0x10000, s[10:11]
	v_dual_mov_b32 v5, 0 :: v_dual_lshlrev_b32 v4, 2, v0
	s_mov_b32 s2, exec_lo
	s_delay_alu instid0(VALU_DEP_1)
	v_cmpx_lt_i64_e64 v[4:5], v[2:3]
	s_cbranch_execz .LBB231_25
; %bb.23:
	s_load_b32 s2, s[0:1], 0xd3c
	v_dual_mov_b32 v1, v5 :: v_dual_lshlrev_b32 v4, 5, v0
	s_wait_xcnt 0x0
	s_add_nc_u64 s[0:1], s[6:7], s[8:9]
	s_mov_b32 s5, 0
	s_delay_alu instid0(VALU_DEP_1) | instskip(SKIP_2) | instid1(VALU_DEP_1)
	v_add_nc_u64_e32 v[6:7], s[0:1], v[4:5]
	s_mov_b32 s7, s5
	s_mov_b32 s3, s5
	v_add_nc_u64_e32 v[4:5], 16, v[6:7]
	s_wait_kmcnt 0x0
	s_and_b32 s4, s2, 0xffff
	s_delay_alu instid0(SALU_CYCLE_1)
	s_lshl_b32 s6, s4, 5
.LBB231_24:                             ; =>This Inner Loop Header: Depth=1
	s_clause 0x1
	global_load_b128 v[6:9], v[4:5], off offset:-16
	global_load_b128 v[10:13], v[4:5], off
	v_add_nc_u64_e32 v[0:1], s[4:5], v[0:1]
	s_wait_loadcnt 0x1
	v_cmp_gt_f64_e32 vcc_lo, 0x10000000, v[6:7]
	v_cmp_gt_f64_e64 s0, 0x10000000, v[8:9]
	s_wait_loadcnt 0x0
	v_cmp_gt_f64_e64 s2, 0x10000000, v[12:13]
	v_cmp_gt_f64_e64 s1, 0x10000000, v[10:11]
	v_cndmask_b32_e64 v14, 0, 0x100, vcc_lo
	s_delay_alu instid0(VALU_DEP_4) | instskip(NEXT) | instid1(VALU_DEP_3)
	v_cndmask_b32_e64 v15, 0, 0x100, s0
	v_cndmask_b32_e64 v16, 0, 0x100, s1
	s_delay_alu instid0(VALU_DEP_3) | instskip(SKIP_1) | instid1(VALU_DEP_4)
	v_ldexp_f64 v[6:7], v[6:7], v14
	v_cndmask_b32_e64 v14, 0, 0x100, s2
	v_ldexp_f64 v[8:9], v[8:9], v15
	s_delay_alu instid0(VALU_DEP_4) | instskip(NEXT) | instid1(VALU_DEP_3)
	v_ldexp_f64 v[10:11], v[10:11], v16
	v_ldexp_f64 v[12:13], v[12:13], v14
	v_rsq_f64_e32 v[14:15], v[6:7]
	s_delay_alu instid0(VALU_DEP_3) | instskip(NEXT) | instid1(VALU_DEP_2)
	v_rsq_f64_e32 v[16:17], v[8:9]
	v_rsq_f64_e32 v[18:19], v[10:11]
	s_delay_alu instid0(VALU_DEP_1) | instskip(NEXT) | instid1(TRANS32_DEP_3)
	v_rsq_f64_e32 v[20:21], v[12:13]
	v_mul_f64_e32 v[24:25], v[8:9], v[16:17]
	v_mul_f64_e32 v[16:17], 0.5, v[16:17]
	s_delay_alu instid0(TRANS32_DEP_1) | instskip(SKIP_1) | instid1(VALU_DEP_3)
	v_mul_f64_e32 v[28:29], v[12:13], v[20:21]
	v_mul_f64_e32 v[20:21], 0.5, v[20:21]
	v_fma_f64 v[32:33], -v[16:17], v[24:25], 0.5
	s_delay_alu instid0(VALU_DEP_2) | instskip(NEXT) | instid1(VALU_DEP_2)
	v_fma_f64 v[36:37], -v[20:21], v[28:29], 0.5
	v_fmac_f64_e32 v[24:25], v[24:25], v[32:33]
	v_fmac_f64_e32 v[16:17], v[16:17], v[32:33]
	s_delay_alu instid0(VALU_DEP_3) | instskip(SKIP_1) | instid1(VALU_DEP_4)
	v_fmac_f64_e32 v[28:29], v[28:29], v[36:37]
	v_fmac_f64_e32 v[20:21], v[20:21], v[36:37]
	v_fma_f64 v[32:33], -v[24:25], v[24:25], v[8:9]
	s_delay_alu instid0(VALU_DEP_3) | instskip(NEXT) | instid1(VALU_DEP_2)
	v_fma_f64 v[36:37], -v[28:29], v[28:29], v[12:13]
	v_fmac_f64_e32 v[24:25], v[32:33], v[16:17]
	s_delay_alu instid0(VALU_DEP_2) | instskip(NEXT) | instid1(VALU_DEP_2)
	v_fmac_f64_e32 v[28:29], v[36:37], v[20:21]
	v_fma_f64 v[32:33], -v[24:25], v[24:25], v[8:9]
	s_delay_alu instid0(VALU_DEP_2) | instskip(NEXT) | instid1(VALU_DEP_2)
	v_fma_f64 v[36:37], -v[28:29], v[28:29], v[12:13]
	v_fmac_f64_e32 v[24:25], v[32:33], v[16:17]
	v_cndmask_b32_e64 v16, 0, 0xffffff80, s0
	v_cmp_class_f64_e64 s0, v[8:9], 0x260
	s_delay_alu instid0(VALU_DEP_4)
	v_fmac_f64_e32 v[28:29], v[36:37], v[20:21]
	v_cndmask_b32_e64 v20, 0, 0xffffff80, s2
	v_cmp_class_f64_e64 s2, v[12:13], 0x260
	v_ldexp_f64 v[16:17], v[24:25], v16
	v_mul_f64_e32 v[22:23], v[6:7], v[14:15]
	v_mul_f64_e32 v[14:15], 0.5, v[14:15]
	v_ldexp_f64 v[20:21], v[28:29], v20
	s_delay_alu instid0(TRANS32_DEP_2) | instskip(SKIP_4) | instid1(VALU_DEP_4)
	v_mul_f64_e32 v[26:27], v[10:11], v[18:19]
	v_dual_mul_f64 v[18:19], 0.5, v[18:19] :: v_dual_cndmask_b32 v9, v17, v9, s0
	v_cndmask_b32_e64 v8, v16, v8, s0
	v_fma_f64 v[30:31], -v[14:15], v[22:23], 0.5
	v_dual_cndmask_b32 v13, v21, v13, s2 :: v_dual_cndmask_b32 v12, v20, v12, s2
	v_fma_f64 v[34:35], -v[18:19], v[26:27], 0.5
	s_delay_alu instid0(VALU_DEP_3) | instskip(SKIP_1) | instid1(VALU_DEP_3)
	v_fmac_f64_e32 v[22:23], v[22:23], v[30:31]
	v_fmac_f64_e32 v[14:15], v[14:15], v[30:31]
	;; [unrolled: 1-line block ×4, first 2 shown]
	s_delay_alu instid0(VALU_DEP_4) | instskip(NEXT) | instid1(VALU_DEP_3)
	v_fma_f64 v[30:31], -v[22:23], v[22:23], v[6:7]
	v_fma_f64 v[34:35], -v[26:27], v[26:27], v[10:11]
	s_delay_alu instid0(VALU_DEP_2) | instskip(NEXT) | instid1(VALU_DEP_2)
	v_fmac_f64_e32 v[22:23], v[30:31], v[14:15]
	v_fmac_f64_e32 v[26:27], v[34:35], v[18:19]
	s_delay_alu instid0(VALU_DEP_2) | instskip(NEXT) | instid1(VALU_DEP_2)
	v_fma_f64 v[30:31], -v[22:23], v[22:23], v[6:7]
	v_fma_f64 v[34:35], -v[26:27], v[26:27], v[10:11]
	s_delay_alu instid0(VALU_DEP_2) | instskip(SKIP_2) | instid1(VALU_DEP_4)
	v_fmac_f64_e32 v[22:23], v[30:31], v[14:15]
	v_cndmask_b32_e64 v14, 0, 0xffffff80, vcc_lo
	v_cmp_class_f64_e64 vcc_lo, v[6:7], 0x260
	v_fmac_f64_e32 v[26:27], v[34:35], v[18:19]
	v_cndmask_b32_e64 v18, 0, 0xffffff80, s1
	v_cmp_class_f64_e64 s1, v[10:11], 0x260
	v_ldexp_f64 v[14:15], v[22:23], v14
	v_lshlrev_b64_e32 v[22:23], 2, v[0:1]
	s_delay_alu instid0(VALU_DEP_4) | instskip(NEXT) | instid1(VALU_DEP_3)
	v_ldexp_f64 v[18:19], v[26:27], v18
	v_dual_cndmask_b32 v7, v15, v7 :: v_dual_cndmask_b32 v6, v14, v6
	s_delay_alu instid0(VALU_DEP_3) | instskip(NEXT) | instid1(VALU_DEP_3)
	v_cmp_ge_i64_e32 vcc_lo, v[22:23], v[2:3]
	v_dual_cndmask_b32 v11, v19, v11, s1 :: v_dual_cndmask_b32 v10, v18, v10, s1
	s_clause 0x1
	global_store_b128 v[4:5], v[6:9], off offset:-16
	global_store_b128 v[4:5], v[10:13], off
	s_wait_xcnt 0x0
	v_add_nc_u64_e32 v[4:5], s[6:7], v[4:5]
	s_or_b32 s3, vcc_lo, s3
	s_delay_alu instid0(SALU_CYCLE_1)
	s_and_not1_b32 exec_lo, exec_lo, s3
	s_cbranch_execnz .LBB231_24
.LBB231_25:
	s_endpgm
	.section	.rodata,"a",@progbits
	.p2align	6, 0x0
	.amdhsa_kernel _ZN2at6native12_GLOBAL__N_125multi_tensor_apply_kernelINS1_18TensorListMetadataILi1EEENS1_14UnaryOpFunctorIdLi1ELi1ELi0EEEJNS0_4SqrtIdEEEEEvT_T0_DpT1_
		.amdhsa_group_segment_fixed_size 0
		.amdhsa_private_segment_fixed_size 0
		.amdhsa_kernarg_size 3632
		.amdhsa_user_sgpr_count 2
		.amdhsa_user_sgpr_dispatch_ptr 0
		.amdhsa_user_sgpr_queue_ptr 0
		.amdhsa_user_sgpr_kernarg_segment_ptr 1
		.amdhsa_user_sgpr_dispatch_id 0
		.amdhsa_user_sgpr_kernarg_preload_length 0
		.amdhsa_user_sgpr_kernarg_preload_offset 0
		.amdhsa_user_sgpr_private_segment_size 0
		.amdhsa_wavefront_size32 1
		.amdhsa_uses_dynamic_stack 0
		.amdhsa_enable_private_segment 0
		.amdhsa_system_sgpr_workgroup_id_x 1
		.amdhsa_system_sgpr_workgroup_id_y 0
		.amdhsa_system_sgpr_workgroup_id_z 0
		.amdhsa_system_sgpr_workgroup_info 0
		.amdhsa_system_vgpr_workitem_id 0
		.amdhsa_next_free_vgpr 38
		.amdhsa_next_free_sgpr 23
		.amdhsa_named_barrier_count 0
		.amdhsa_reserve_vcc 1
		.amdhsa_float_round_mode_32 0
		.amdhsa_float_round_mode_16_64 0
		.amdhsa_float_denorm_mode_32 3
		.amdhsa_float_denorm_mode_16_64 3
		.amdhsa_fp16_overflow 0
		.amdhsa_memory_ordered 1
		.amdhsa_forward_progress 1
		.amdhsa_inst_pref_size 17
		.amdhsa_round_robin_scheduling 0
		.amdhsa_exception_fp_ieee_invalid_op 0
		.amdhsa_exception_fp_denorm_src 0
		.amdhsa_exception_fp_ieee_div_zero 0
		.amdhsa_exception_fp_ieee_overflow 0
		.amdhsa_exception_fp_ieee_underflow 0
		.amdhsa_exception_fp_ieee_inexact 0
		.amdhsa_exception_int_div_zero 0
	.end_amdhsa_kernel
	.section	.text._ZN2at6native12_GLOBAL__N_125multi_tensor_apply_kernelINS1_18TensorListMetadataILi1EEENS1_14UnaryOpFunctorIdLi1ELi1ELi0EEEJNS0_4SqrtIdEEEEEvT_T0_DpT1_,"axG",@progbits,_ZN2at6native12_GLOBAL__N_125multi_tensor_apply_kernelINS1_18TensorListMetadataILi1EEENS1_14UnaryOpFunctorIdLi1ELi1ELi0EEEJNS0_4SqrtIdEEEEEvT_T0_DpT1_,comdat
.Lfunc_end231:
	.size	_ZN2at6native12_GLOBAL__N_125multi_tensor_apply_kernelINS1_18TensorListMetadataILi1EEENS1_14UnaryOpFunctorIdLi1ELi1ELi0EEEJNS0_4SqrtIdEEEEEvT_T0_DpT1_, .Lfunc_end231-_ZN2at6native12_GLOBAL__N_125multi_tensor_apply_kernelINS1_18TensorListMetadataILi1EEENS1_14UnaryOpFunctorIdLi1ELi1ELi0EEEJNS0_4SqrtIdEEEEEvT_T0_DpT1_
                                        ; -- End function
	.set _ZN2at6native12_GLOBAL__N_125multi_tensor_apply_kernelINS1_18TensorListMetadataILi1EEENS1_14UnaryOpFunctorIdLi1ELi1ELi0EEEJNS0_4SqrtIdEEEEEvT_T0_DpT1_.num_vgpr, 38
	.set _ZN2at6native12_GLOBAL__N_125multi_tensor_apply_kernelINS1_18TensorListMetadataILi1EEENS1_14UnaryOpFunctorIdLi1ELi1ELi0EEEJNS0_4SqrtIdEEEEEvT_T0_DpT1_.num_agpr, 0
	.set _ZN2at6native12_GLOBAL__N_125multi_tensor_apply_kernelINS1_18TensorListMetadataILi1EEENS1_14UnaryOpFunctorIdLi1ELi1ELi0EEEJNS0_4SqrtIdEEEEEvT_T0_DpT1_.numbered_sgpr, 23
	.set _ZN2at6native12_GLOBAL__N_125multi_tensor_apply_kernelINS1_18TensorListMetadataILi1EEENS1_14UnaryOpFunctorIdLi1ELi1ELi0EEEJNS0_4SqrtIdEEEEEvT_T0_DpT1_.num_named_barrier, 0
	.set _ZN2at6native12_GLOBAL__N_125multi_tensor_apply_kernelINS1_18TensorListMetadataILi1EEENS1_14UnaryOpFunctorIdLi1ELi1ELi0EEEJNS0_4SqrtIdEEEEEvT_T0_DpT1_.private_seg_size, 0
	.set _ZN2at6native12_GLOBAL__N_125multi_tensor_apply_kernelINS1_18TensorListMetadataILi1EEENS1_14UnaryOpFunctorIdLi1ELi1ELi0EEEJNS0_4SqrtIdEEEEEvT_T0_DpT1_.uses_vcc, 1
	.set _ZN2at6native12_GLOBAL__N_125multi_tensor_apply_kernelINS1_18TensorListMetadataILi1EEENS1_14UnaryOpFunctorIdLi1ELi1ELi0EEEJNS0_4SqrtIdEEEEEvT_T0_DpT1_.uses_flat_scratch, 0
	.set _ZN2at6native12_GLOBAL__N_125multi_tensor_apply_kernelINS1_18TensorListMetadataILi1EEENS1_14UnaryOpFunctorIdLi1ELi1ELi0EEEJNS0_4SqrtIdEEEEEvT_T0_DpT1_.has_dyn_sized_stack, 0
	.set _ZN2at6native12_GLOBAL__N_125multi_tensor_apply_kernelINS1_18TensorListMetadataILi1EEENS1_14UnaryOpFunctorIdLi1ELi1ELi0EEEJNS0_4SqrtIdEEEEEvT_T0_DpT1_.has_recursion, 0
	.set _ZN2at6native12_GLOBAL__N_125multi_tensor_apply_kernelINS1_18TensorListMetadataILi1EEENS1_14UnaryOpFunctorIdLi1ELi1ELi0EEEJNS0_4SqrtIdEEEEEvT_T0_DpT1_.has_indirect_call, 0
	.section	.AMDGPU.csdata,"",@progbits
; Kernel info:
; codeLenInByte = 2136
; TotalNumSgprs: 25
; NumVgprs: 38
; ScratchSize: 0
; MemoryBound: 1
; FloatMode: 240
; IeeeMode: 1
; LDSByteSize: 0 bytes/workgroup (compile time only)
; SGPRBlocks: 0
; VGPRBlocks: 2
; NumSGPRsForWavesPerEU: 25
; NumVGPRsForWavesPerEU: 38
; NamedBarCnt: 0
; Occupancy: 16
; WaveLimiterHint : 0
; COMPUTE_PGM_RSRC2:SCRATCH_EN: 0
; COMPUTE_PGM_RSRC2:USER_SGPR: 2
; COMPUTE_PGM_RSRC2:TRAP_HANDLER: 0
; COMPUTE_PGM_RSRC2:TGID_X_EN: 1
; COMPUTE_PGM_RSRC2:TGID_Y_EN: 0
; COMPUTE_PGM_RSRC2:TGID_Z_EN: 0
; COMPUTE_PGM_RSRC2:TIDIG_COMP_CNT: 0
	.section	.text._ZN2at6native12_GLOBAL__N_125multi_tensor_apply_kernelINS1_18TensorListMetadataILi1EEENS1_14UnaryOpFunctorIfLi1ELi1ELi0EEEJNS0_4SqrtIfEEEEEvT_T0_DpT1_,"axG",@progbits,_ZN2at6native12_GLOBAL__N_125multi_tensor_apply_kernelINS1_18TensorListMetadataILi1EEENS1_14UnaryOpFunctorIfLi1ELi1ELi0EEEJNS0_4SqrtIfEEEEEvT_T0_DpT1_,comdat
	.globl	_ZN2at6native12_GLOBAL__N_125multi_tensor_apply_kernelINS1_18TensorListMetadataILi1EEENS1_14UnaryOpFunctorIfLi1ELi1ELi0EEEJNS0_4SqrtIfEEEEEvT_T0_DpT1_ ; -- Begin function _ZN2at6native12_GLOBAL__N_125multi_tensor_apply_kernelINS1_18TensorListMetadataILi1EEENS1_14UnaryOpFunctorIfLi1ELi1ELi0EEEJNS0_4SqrtIfEEEEEvT_T0_DpT1_
	.p2align	8
	.type	_ZN2at6native12_GLOBAL__N_125multi_tensor_apply_kernelINS1_18TensorListMetadataILi1EEENS1_14UnaryOpFunctorIfLi1ELi1ELi0EEEJNS0_4SqrtIfEEEEEvT_T0_DpT1_,@function
_ZN2at6native12_GLOBAL__N_125multi_tensor_apply_kernelINS1_18TensorListMetadataILi1EEENS1_14UnaryOpFunctorIfLi1ELi1ELi0EEEJNS0_4SqrtIfEEEEEvT_T0_DpT1_: ; @_ZN2at6native12_GLOBAL__N_125multi_tensor_apply_kernelINS1_18TensorListMetadataILi1EEENS1_14UnaryOpFunctorIfLi1ELi1ELi0EEEJNS0_4SqrtIfEEEEEvT_T0_DpT1_
; %bb.0:
	s_bfe_u32 s2, ttmp6, 0x4000c
	s_and_b32 s3, ttmp6, 15
	s_add_co_i32 s2, s2, 1
	s_getreg_b32 s4, hwreg(HW_REG_IB_STS2, 6, 4)
	s_mul_i32 s2, ttmp9, s2
	s_delay_alu instid0(SALU_CYCLE_1)
	s_add_co_i32 s3, s3, s2
	s_cmp_eq_u32 s4, 0
	s_cselect_b32 s2, ttmp9, s3
	s_mov_b32 s3, 0
	s_load_u8 s10, s[0:1], s2 offset:0x6e0
	s_add_nc_u64 s[4:5], s[0:1], s[2:3]
	s_mul_u64 s[6:7], s[2:3], 3
	s_delay_alu instid0(SALU_CYCLE_1)
	s_add_nc_u64 s[4:5], s[4:5], s[6:7]
	s_load_b32 s6, s[4:5], 0x820
	s_wait_kmcnt 0x0
	s_clause 0x1
	s_load_b64 s[8:9], s[0:1], s10 offset:0x0 scale_offset
	s_load_b64 s[12:13], s[0:1], s10 offset:0x370 scale_offset
	s_ashr_i32 s7, s6, 31
	s_wait_kmcnt 0x0
	s_and_b64 s[4:5], s[8:9], 15
	s_and_b32 s2, s12, 3
	s_lshl_b64 s[10:11], s[6:7], 18
	s_or_b64 s[2:3], s[4:5], s[2:3]
	s_lshl_b64 s[4:5], s[6:7], 16
	s_cmp_eq_u64 s[2:3], 0
	s_sub_nc_u64 s[12:13], s[12:13], s[4:5]
	s_cbranch_scc1 .LBB232_21
; %bb.1:
	v_cmp_lt_i64_e64 s2, s[12:13], 1
	s_and_b32 vcc_lo, exec_lo, s2
	s_cbranch_vccnz .LBB232_20
; %bb.2:
	s_load_b32 s4, s[0:1], 0xd3c
	v_min_i64 v[2:3], 0x10000, s[12:13]
	v_min_u64 v[4:5], 0x10000, s[12:13]
	v_dual_mov_b32 v1, 0 :: v_dual_lshlrev_b32 v8, 2, v0
	s_mov_b32 s21, 0
	s_add_nc_u64 s[2:3], s[8:9], s[10:11]
	s_mov_b32 s5, s21
	s_delay_alu instid0(VALU_DEP_1)
	v_mov_b32_e32 v15, v1
	s_mov_b32 s7, s21
	s_mov_b32 s15, s21
	;; [unrolled: 1-line block ×3, first 2 shown]
	s_mov_b64 s[22:23], 0
	s_wait_kmcnt 0x0
	s_and_b32 s20, s4, 0xffff
	s_delay_alu instid0(SALU_CYCLE_1)
	v_add_nc_u64_e32 v[6:7], s[20:21], v[0:1]
	v_mov_b32_e32 v9, v1
	s_lshl_b32 s4, s20, 1
	s_mul_i32 s6, s20, 3
	v_add_nc_u64_e32 v[12:13], s[4:5], v[0:1]
	v_add_nc_u64_e32 v[10:11], s[6:7], v[0:1]
	s_lshl_b32 s14, s20, 2
	v_lshlrev_b32_e32 v14, 2, v6
	v_add_nc_u64_e32 v[8:9], s[2:3], v[8:9]
	s_lshl_b32 s16, s20, 4
	s_mul_u64 s[18:19], s[20:21], 12
	s_lshl_b32 s20, s20, 3
	v_add_nc_u64_e32 v[14:15], s[2:3], v[14:15]
	s_branch .LBB232_4
.LBB232_3:                              ;   in Loop: Header=BB232_4 Depth=1
	s_wait_xcnt 0x0
	s_or_b32 exec_lo, exec_lo, s2
	s_add_nc_u64 s[22:23], s[22:23], s[14:15]
	v_add_nc_u64_e32 v[8:9], s[16:17], v[8:9]
	v_cmp_lt_i64_e32 vcc_lo, s[22:23], v[2:3]
	v_add_nc_u64_e32 v[14:15], s[16:17], v[14:15]
	s_cbranch_vccz .LBB232_20
.LBB232_4:                              ; =>This Inner Loop Header: Depth=1
	v_add_nc_u64_e32 v[16:17], s[22:23], v[0:1]
	v_mov_b32_e32 v20, 0
	s_delay_alu instid0(VALU_DEP_2)
	v_cmp_lt_u64_e32 vcc_lo, v[16:17], v[4:5]
	s_and_saveexec_b32 s4, vcc_lo
	s_cbranch_execz .LBB232_6
; %bb.5:                                ;   in Loop: Header=BB232_4 Depth=1
	global_load_b32 v16, v[8:9], off
	s_wait_loadcnt 0x0
	v_mul_f32_e32 v17, 0x4f800000, v16
	v_cmp_gt_f32_e64 s2, 0xf800000, v16
	s_delay_alu instid0(VALU_DEP_1) | instskip(NEXT) | instid1(VALU_DEP_1)
	v_cndmask_b32_e64 v16, v16, v17, s2
	v_sqrt_f32_e32 v17, v16
	v_nop
	s_delay_alu instid0(TRANS32_DEP_1) | instskip(NEXT) | instid1(VALU_DEP_1)
	v_dual_add_nc_u32 v18, -1, v17 :: v_dual_add_nc_u32 v19, 1, v17
	v_fma_f32 v20, -v18, v17, v16
	s_delay_alu instid0(VALU_DEP_1) | instskip(NEXT) | instid1(VALU_DEP_1)
	v_cmp_ge_f32_e64 s3, 0, v20
	v_dual_fma_f32 v21, -v19, v17, v16 :: v_dual_cndmask_b32 v17, v17, v18, s3
	s_delay_alu instid0(VALU_DEP_1) | instskip(NEXT) | instid1(VALU_DEP_1)
	v_cmp_lt_f32_e64 s3, 0, v21
	v_cndmask_b32_e64 v17, v17, v19, s3
	s_delay_alu instid0(VALU_DEP_1) | instskip(NEXT) | instid1(VALU_DEP_1)
	v_mul_f32_e32 v18, 0x37800000, v17
	v_cndmask_b32_e64 v17, v17, v18, s2
	v_cmp_class_f32_e64 s2, v16, 0x260
	s_delay_alu instid0(VALU_DEP_1)
	v_cndmask_b32_e64 v20, v17, v16, s2
.LBB232_6:                              ;   in Loop: Header=BB232_4 Depth=1
	s_wait_xcnt 0x0
	s_or_b32 exec_lo, exec_lo, s4
	v_add_nc_u64_e32 v[16:17], s[22:23], v[6:7]
	v_dual_mov_b32 v21, 0 :: v_dual_mov_b32 v22, 0
	s_delay_alu instid0(VALU_DEP_2)
	v_cmp_lt_u64_e64 s2, v[16:17], v[4:5]
	s_and_saveexec_b32 s5, s2
	s_cbranch_execz .LBB232_8
; %bb.7:                                ;   in Loop: Header=BB232_4 Depth=1
	global_load_b32 v16, v[14:15], off
	s_wait_loadcnt 0x0
	v_mul_f32_e32 v17, 0x4f800000, v16
	v_cmp_gt_f32_e64 s3, 0xf800000, v16
	s_delay_alu instid0(VALU_DEP_1) | instskip(NEXT) | instid1(VALU_DEP_1)
	v_cndmask_b32_e64 v16, v16, v17, s3
	v_sqrt_f32_e32 v17, v16
	v_nop
	s_delay_alu instid0(TRANS32_DEP_1) | instskip(NEXT) | instid1(VALU_DEP_1)
	v_dual_add_nc_u32 v18, -1, v17 :: v_dual_add_nc_u32 v19, 1, v17
	v_fma_f32 v22, -v18, v17, v16
	s_delay_alu instid0(VALU_DEP_1) | instskip(NEXT) | instid1(VALU_DEP_1)
	v_cmp_ge_f32_e64 s4, 0, v22
	v_dual_fma_f32 v23, -v19, v17, v16 :: v_dual_cndmask_b32 v17, v17, v18, s4
	s_delay_alu instid0(VALU_DEP_1) | instskip(NEXT) | instid1(VALU_DEP_1)
	v_cmp_lt_f32_e64 s4, 0, v23
	v_cndmask_b32_e64 v17, v17, v19, s4
	s_delay_alu instid0(VALU_DEP_1) | instskip(NEXT) | instid1(VALU_DEP_1)
	v_mul_f32_e32 v18, 0x37800000, v17
	v_cndmask_b32_e64 v17, v17, v18, s3
	v_cmp_class_f32_e64 s3, v16, 0x260
	s_delay_alu instid0(VALU_DEP_1)
	v_cndmask_b32_e64 v22, v17, v16, s3
.LBB232_8:                              ;   in Loop: Header=BB232_4 Depth=1
	s_wait_xcnt 0x0
	s_or_b32 exec_lo, exec_lo, s5
	v_add_nc_u64_e32 v[16:17], s[22:23], v[12:13]
	s_delay_alu instid0(VALU_DEP_1)
	v_cmp_lt_u64_e64 s3, v[16:17], v[4:5]
	v_add_nc_u64_e32 v[16:17], s[20:21], v[8:9]
	s_and_saveexec_b32 s6, s3
	s_cbranch_execz .LBB232_10
; %bb.9:                                ;   in Loop: Header=BB232_4 Depth=1
	global_load_b32 v18, v[16:17], off
	s_wait_loadcnt 0x0
	v_mul_f32_e32 v19, 0x4f800000, v18
	v_cmp_gt_f32_e64 s4, 0xf800000, v18
	s_delay_alu instid0(VALU_DEP_1) | instskip(NEXT) | instid1(VALU_DEP_1)
	v_cndmask_b32_e64 v18, v18, v19, s4
	v_sqrt_f32_e32 v19, v18
	v_nop
	s_delay_alu instid0(TRANS32_DEP_1) | instskip(NEXT) | instid1(VALU_DEP_1)
	v_dual_add_nc_u32 v21, -1, v19 :: v_dual_add_nc_u32 v23, 1, v19
	v_dual_fma_f32 v24, -v21, v19, v18 :: v_dual_fma_f32 v25, -v23, v19, v18
	s_delay_alu instid0(VALU_DEP_1) | instskip(NEXT) | instid1(VALU_DEP_1)
	v_cmp_ge_f32_e64 s5, 0, v24
	v_cndmask_b32_e64 v19, v19, v21, s5
	s_delay_alu instid0(VALU_DEP_3) | instskip(NEXT) | instid1(VALU_DEP_1)
	v_cmp_lt_f32_e64 s5, 0, v25
	v_cndmask_b32_e64 v19, v19, v23, s5
	s_delay_alu instid0(VALU_DEP_1) | instskip(NEXT) | instid1(VALU_DEP_1)
	v_mul_f32_e32 v21, 0x37800000, v19
	v_cndmask_b32_e64 v19, v19, v21, s4
	v_cmp_class_f32_e64 s4, v18, 0x260
	s_delay_alu instid0(VALU_DEP_1)
	v_cndmask_b32_e64 v21, v19, v18, s4
.LBB232_10:                             ;   in Loop: Header=BB232_4 Depth=1
	s_wait_xcnt 0x0
	s_or_b32 exec_lo, exec_lo, s6
	v_add_nc_u64_e32 v[18:19], s[22:23], v[10:11]
	v_mov_b32_e32 v23, 0
	s_delay_alu instid0(VALU_DEP_2)
	v_cmp_lt_u64_e64 s4, v[18:19], v[4:5]
	v_add_nc_u64_e32 v[18:19], s[18:19], v[8:9]
	s_and_saveexec_b32 s7, s4
	s_cbranch_execnz .LBB232_15
; %bb.11:                               ;   in Loop: Header=BB232_4 Depth=1
	s_or_b32 exec_lo, exec_lo, s7
	s_and_saveexec_b32 s5, vcc_lo
	s_cbranch_execnz .LBB232_16
.LBB232_12:                             ;   in Loop: Header=BB232_4 Depth=1
	s_or_b32 exec_lo, exec_lo, s5
	s_and_saveexec_b32 s5, s2
	s_cbranch_execnz .LBB232_17
.LBB232_13:                             ;   in Loop: Header=BB232_4 Depth=1
	s_or_b32 exec_lo, exec_lo, s5
	s_and_saveexec_b32 s2, s3
	s_cbranch_execnz .LBB232_18
.LBB232_14:                             ;   in Loop: Header=BB232_4 Depth=1
	s_or_b32 exec_lo, exec_lo, s2
	s_and_saveexec_b32 s2, s4
	s_cbranch_execz .LBB232_3
	s_branch .LBB232_19
.LBB232_15:                             ;   in Loop: Header=BB232_4 Depth=1
	global_load_b32 v23, v[18:19], off
	s_wait_loadcnt 0x0
	v_mul_f32_e32 v24, 0x4f800000, v23
	v_cmp_gt_f32_e64 s5, 0xf800000, v23
	s_delay_alu instid0(VALU_DEP_1) | instskip(NEXT) | instid1(VALU_DEP_1)
	v_cndmask_b32_e64 v23, v23, v24, s5
	v_sqrt_f32_e32 v24, v23
	v_nop
	s_delay_alu instid0(TRANS32_DEP_1) | instskip(NEXT) | instid1(VALU_DEP_1)
	v_dual_add_nc_u32 v25, -1, v24 :: v_dual_add_nc_u32 v26, 1, v24
	v_fma_f32 v27, -v25, v24, v23
	s_delay_alu instid0(VALU_DEP_1) | instskip(NEXT) | instid1(VALU_DEP_1)
	v_cmp_ge_f32_e64 s6, 0, v27
	v_dual_fma_f32 v28, -v26, v24, v23 :: v_dual_cndmask_b32 v24, v24, v25, s6
	s_delay_alu instid0(VALU_DEP_1) | instskip(NEXT) | instid1(VALU_DEP_1)
	v_cmp_lt_f32_e64 s6, 0, v28
	v_cndmask_b32_e64 v24, v24, v26, s6
	s_delay_alu instid0(VALU_DEP_1) | instskip(NEXT) | instid1(VALU_DEP_1)
	v_mul_f32_e32 v25, 0x37800000, v24
	v_cndmask_b32_e64 v24, v24, v25, s5
	v_cmp_class_f32_e64 s5, v23, 0x260
	s_delay_alu instid0(VALU_DEP_1)
	v_cndmask_b32_e64 v23, v24, v23, s5
	s_wait_xcnt 0x0
	s_or_b32 exec_lo, exec_lo, s7
	s_and_saveexec_b32 s5, vcc_lo
	s_cbranch_execz .LBB232_12
.LBB232_16:                             ;   in Loop: Header=BB232_4 Depth=1
	global_store_b32 v[8:9], v20, off
	s_wait_xcnt 0x0
	s_or_b32 exec_lo, exec_lo, s5
	s_and_saveexec_b32 s5, s2
	s_cbranch_execz .LBB232_13
.LBB232_17:                             ;   in Loop: Header=BB232_4 Depth=1
	global_store_b32 v[14:15], v22, off
	s_wait_xcnt 0x0
	s_or_b32 exec_lo, exec_lo, s5
	s_and_saveexec_b32 s2, s3
	s_cbranch_execz .LBB232_14
.LBB232_18:                             ;   in Loop: Header=BB232_4 Depth=1
	global_store_b32 v[16:17], v21, off
	s_wait_xcnt 0x0
	s_or_b32 exec_lo, exec_lo, s2
	s_and_saveexec_b32 s2, s4
	s_cbranch_execz .LBB232_3
.LBB232_19:                             ;   in Loop: Header=BB232_4 Depth=1
	global_store_b32 v[18:19], v23, off
	s_branch .LBB232_3
.LBB232_20:
	s_cbranch_execz .LBB232_22
	s_branch .LBB232_30
.LBB232_21:
.LBB232_22:
	v_min_i64 v[2:3], 0x10000, s[12:13]
	v_dual_mov_b32 v5, 0 :: v_dual_lshlrev_b32 v4, 2, v0
	s_mov_b32 s2, exec_lo
	s_delay_alu instid0(VALU_DEP_1)
	v_cmpx_lt_i64_e64 v[4:5], v[2:3]
	s_cbranch_execz .LBB232_30
; %bb.23:
	v_dual_mov_b32 v7, v5 :: v_dual_add_nc_u32 v6, 4, v4
	s_mov_b32 s13, 0
	s_load_b32 s0, s[0:1], 0xd3c
	v_dual_mov_b32 v1, v5 :: v_dual_mov_b32 v9, s13
	s_delay_alu instid0(VALU_DEP_2) | instskip(SKIP_2) | instid1(SALU_CYCLE_1)
	v_max_i64 v[6:7], v[2:3], v[6:7]
	s_wait_kmcnt 0x0
	s_and_b32 s12, s0, 0xffff
	s_cmp_eq_u32 s12, 1
	s_cselect_b32 s0, -1, 0
	s_delay_alu instid0(VALU_DEP_1) | instskip(NEXT) | instid1(VALU_DEP_1)
	v_add_nc_u64_e32 v[6:7], -4, v[6:7]
	v_cmp_ne_u64_e32 vcc_lo, v[6:7], v[4:5]
	v_cndmask_b32_e64 v8, 0, 1, vcc_lo
	s_delay_alu instid0(VALU_DEP_1) | instskip(NEXT) | instid1(VALU_DEP_1)
	v_or_b32_e32 v4, v4, v8
	v_sub_nc_u64_e32 v[6:7], v[6:7], v[4:5]
	s_delay_alu instid0(VALU_DEP_1) | instskip(NEXT) | instid1(VALU_DEP_1)
	v_lshrrev_b64 v[6:7], 2, v[6:7]
	v_add_nc_u64_e32 v[6:7], v[6:7], v[8:9]
	s_delay_alu instid0(VALU_DEP_1)
	v_cmp_ne_u64_e32 vcc_lo, 0, v[6:7]
	s_and_b32 s1, vcc_lo, s0
	s_mov_b32 s0, -1
	s_and_saveexec_b32 s14, s1
	s_cbranch_execz .LBB232_27
; %bb.24:
	v_dual_mov_b32 v9, 0 :: v_dual_lshlrev_b32 v8, 4, v0
	v_add_nc_u64_e32 v[4:5], 1, v[6:7]
	s_add_nc_u64 s[0:1], s[8:9], s[10:11]
	s_delay_alu instid0(VALU_DEP_2) | instid1(SALU_CYCLE_1)
	v_add_nc_u64_e32 v[8:9], s[0:1], v[8:9]
	s_delay_alu instid0(VALU_DEP_2) | instskip(NEXT) | instid1(VALU_DEP_2)
	v_dual_mov_b32 v7, v5 :: v_dual_bitop2_b32 v6, -2, v4 bitop3:0x40
	v_add_nc_u64_e32 v[8:9], 28, v[8:9]
	s_delay_alu instid0(VALU_DEP_2)
	v_mov_b64_e32 v[10:11], v[6:7]
.LBB232_25:                             ; =>This Inner Loop Header: Depth=1
	s_clause 0x1
	global_load_b128 v[12:15], v[8:9], off offset:-12
	global_load_b128 v[16:19], v[8:9], off offset:-28
	v_add_nc_u64_e32 v[10:11], -2, v[10:11]
	s_wait_loadcnt 0x0
	v_dual_mul_f32 v20, 0x4f800000, v12 :: v_dual_mul_f32 v23, 0x4f800000, v17
	v_cmp_gt_f32_e32 vcc_lo, 0xf800000, v12
	v_dual_mul_f32 v21, 0x4f800000, v16 :: v_dual_mul_f32 v22, 0x4f800000, v13
	v_cmp_gt_f32_e64 s0, 0xf800000, v16
	v_cmp_gt_f32_e64 s1, 0xf800000, v13
	v_cndmask_b32_e32 v12, v12, v20, vcc_lo
	v_cmp_gt_f32_e64 s2, 0xf800000, v17
	v_dual_mul_f32 v24, 0x4f800000, v14 :: v_dual_mul_f32 v27, 0x4f800000, v19
	s_delay_alu instid0(VALU_DEP_4) | instskip(NEXT) | instid1(VALU_DEP_4)
	v_dual_cndmask_b32 v16, v16, v21, s0 :: v_dual_cndmask_b32 v13, v13, v22, s1
	v_sqrt_f32_e32 v20, v12
	s_delay_alu instid0(VALU_DEP_3) | instskip(SKIP_1) | instid1(VALU_DEP_3)
	v_cndmask_b32_e64 v17, v17, v23, s2
	v_cmp_gt_f32_e64 s3, 0xf800000, v14
	v_sqrt_f32_e32 v21, v16
	v_sqrt_f32_e32 v22, v13
	v_dual_mul_f32 v25, 0x4f800000, v18 :: v_dual_mul_f32 v26, 0x4f800000, v15
	s_delay_alu instid0(TRANS32_DEP_3) | instskip(SKIP_1) | instid1(TRANS32_DEP_2)
	v_dual_add_nc_u32 v28, -1, v20 :: v_dual_add_nc_u32 v29, 1, v20
	v_cmp_gt_f32_e64 s4, 0xf800000, v18
	v_dual_add_nc_u32 v30, -1, v21 :: v_dual_add_nc_u32 v31, 1, v21
	s_delay_alu instid0(VALU_DEP_3)
	v_dual_fma_f32 v44, -v28, v20, v12 :: v_dual_fma_f32 v45, -v29, v20, v12
	v_cmp_gt_f32_e64 s5, 0xf800000, v15
	v_cndmask_b32_e64 v14, v14, v24, s3
	v_sqrt_f32_e32 v23, v17
	v_dual_add_nc_u32 v32, -1, v22 :: v_dual_add_nc_u32 v33, 1, v22
	v_dual_fma_f32 v46, -v30, v21, v16 :: v_dual_fma_f32 v47, -v31, v21, v16
	v_cmp_ge_f32_e64 s7, 0, v44
	v_cndmask_b32_e64 v15, v15, v26, s5
	v_cmp_gt_f32_e64 s6, 0xf800000, v19
	v_cndmask_b32_e64 v18, v18, v25, s4
	v_sqrt_f32_e32 v24, v14
	v_dual_add_nc_u32 v34, -1, v23 :: v_dual_add_nc_u32 v35, 1, v23
	v_dual_fma_f32 v48, -v32, v22, v13 :: v_dual_fma_f32 v49, -v33, v22, v13
	v_cndmask_b32_e64 v20, v20, v28, s7
	v_cmp_ge_f32_e64 s7, 0, v46
	v_cndmask_b32_e64 v19, v19, v27, s6
	v_sqrt_f32_e32 v25, v18
	v_dual_add_nc_u32 v36, -1, v24 :: v_dual_add_nc_u32 v37, 1, v24
	v_dual_fma_f32 v50, -v34, v23, v17 :: v_dual_fma_f32 v51, -v35, v23, v17
	v_cndmask_b32_e64 v21, v21, v30, s7
	v_cmp_ge_f32_e64 s7, 0, v48
	v_sqrt_f32_e32 v26, v15
	s_delay_alu instid0(TRANS32_DEP_2) | instskip(SKIP_1) | instid1(VALU_DEP_3)
	v_dual_add_nc_u32 v38, -1, v25 :: v_dual_add_nc_u32 v39, 1, v25
	v_dual_fma_f32 v52, -v36, v24, v14 :: v_dual_fma_f32 v53, -v37, v24, v14
	v_cndmask_b32_e64 v22, v22, v32, s7
	v_cmp_ge_f32_e64 s7, 0, v50
	v_sqrt_f32_e32 v27, v19
	s_delay_alu instid0(TRANS32_DEP_2) | instskip(SKIP_1) | instid1(VALU_DEP_3)
	v_dual_add_nc_u32 v40, -1, v26 :: v_dual_add_nc_u32 v41, 1, v26
	v_dual_fma_f32 v54, -v38, v25, v18 :: v_dual_fma_f32 v55, -v39, v25, v18
	v_cndmask_b32_e64 v23, v23, v34, s7
	v_cmp_ge_f32_e64 s7, 0, v52
	s_delay_alu instid0(TRANS32_DEP_1) | instskip(SKIP_1) | instid1(VALU_DEP_3)
	v_dual_add_nc_u32 v42, -1, v27 :: v_dual_add_nc_u32 v43, 1, v27
	v_dual_fma_f32 v56, -v40, v26, v15 :: v_dual_fma_f32 v57, -v41, v26, v15
	v_cndmask_b32_e64 v24, v24, v36, s7
	v_cmp_ge_f32_e64 s7, 0, v54
	s_delay_alu instid0(VALU_DEP_4) | instskip(NEXT) | instid1(VALU_DEP_2)
	v_dual_fma_f32 v58, -v42, v27, v19 :: v_dual_fma_f32 v59, -v43, v27, v19
	v_cndmask_b32_e64 v25, v25, v38, s7
	v_cmp_ge_f32_e64 s7, 0, v56
	s_delay_alu instid0(VALU_DEP_1) | instskip(NEXT) | instid1(VALU_DEP_4)
	v_cndmask_b32_e64 v26, v26, v40, s7
	v_cmp_ge_f32_e64 s7, 0, v58
	s_delay_alu instid0(VALU_DEP_1) | instskip(SKIP_1) | instid1(VALU_DEP_1)
	v_cndmask_b32_e64 v27, v27, v42, s7
	v_cmp_lt_f32_e64 s7, 0, v45
	v_cndmask_b32_e64 v20, v20, v29, s7
	v_cmp_lt_f32_e64 s7, 0, v47
	s_delay_alu instid0(VALU_DEP_1) | instskip(SKIP_1) | instid1(VALU_DEP_2)
	v_cndmask_b32_e64 v21, v21, v31, s7
	v_cmp_lt_f32_e64 s7, 0, v49
	v_dual_mul_f32 v28, 0x37800000, v20 :: v_dual_mul_f32 v29, 0x37800000, v21
	s_delay_alu instid0(VALU_DEP_2) | instskip(SKIP_1) | instid1(VALU_DEP_3)
	v_cndmask_b32_e64 v22, v22, v33, s7
	v_cmp_lt_f32_e64 s7, 0, v51
	v_cndmask_b32_e32 v20, v20, v28, vcc_lo
	v_cmp_class_f32_e64 vcc_lo, v12, 0x260
	s_delay_alu instid0(VALU_DEP_3) | instskip(SKIP_1) | instid1(VALU_DEP_2)
	v_dual_cndmask_b32 v21, v21, v29, s0 :: v_dual_cndmask_b32 v23, v23, v35, s7
	v_cmp_lt_f32_e64 s7, 0, v53
	v_dual_mul_f32 v30, 0x37800000, v22 :: v_dual_mul_f32 v31, 0x37800000, v23
	s_delay_alu instid0(VALU_DEP_2) | instskip(SKIP_1) | instid1(VALU_DEP_3)
	v_cndmask_b32_e64 v24, v24, v37, s7
	v_cmp_lt_f32_e64 s7, 0, v55
	v_dual_cndmask_b32 v22, v22, v30, s1 :: v_dual_cndmask_b32 v23, v23, v31, s2
	s_delay_alu instid0(VALU_DEP_2) | instskip(SKIP_2) | instid1(VALU_DEP_3)
	v_dual_cndmask_b32 v12, v20, v12, vcc_lo :: v_dual_cndmask_b32 v25, v25, v39, s7
	v_cmp_lt_f32_e64 s7, 0, v57
	v_cmp_class_f32_e64 vcc_lo, v16, 0x260
	v_dual_mul_f32 v32, 0x37800000, v24 :: v_dual_mul_f32 v33, 0x37800000, v25
	s_delay_alu instid0(VALU_DEP_3) | instskip(SKIP_4) | instid1(VALU_DEP_4)
	v_cndmask_b32_e64 v26, v26, v41, s7
	v_cmp_lt_f32_e64 s7, 0, v59
	v_cndmask_b32_e32 v16, v21, v16, vcc_lo
	v_cmp_class_f32_e64 vcc_lo, v13, 0x260
	v_dual_cndmask_b32 v24, v24, v32, s3 :: v_dual_cndmask_b32 v25, v25, v33, s4
	v_cndmask_b32_e64 v27, v27, v43, s7
	v_dual_mul_f32 v34, 0x37800000, v26 :: v_dual_cndmask_b32 v13, v22, v13
	v_cmp_class_f32_e64 vcc_lo, v17, 0x260
	s_delay_alu instid0(VALU_DEP_3) | instskip(NEXT) | instid1(VALU_DEP_2)
	v_mul_f32_e32 v35, 0x37800000, v27
	v_dual_cndmask_b32 v26, v26, v34, s5 :: v_dual_cndmask_b32 v17, v23, v17, vcc_lo
	v_cmp_class_f32_e64 vcc_lo, v14, 0x260
	s_delay_alu instid0(VALU_DEP_1) | instskip(SKIP_3) | instid1(VALU_DEP_4)
	v_dual_cndmask_b32 v27, v27, v35, s6 :: v_dual_cndmask_b32 v14, v24, v14, vcc_lo
	v_cmp_class_f32_e64 vcc_lo, v18, 0x260
	v_cndmask_b32_e32 v18, v25, v18, vcc_lo
	v_cmp_class_f32_e64 vcc_lo, v19, 0x260
	v_cndmask_b32_e32 v19, v27, v19, vcc_lo
	;; [unrolled: 2-line block ×3, first 2 shown]
	v_cmp_eq_u64_e32 vcc_lo, 0, v[10:11]
	s_clause 0x1
	global_store_b128 v[8:9], v[16:19], off offset:-28
	global_store_b128 v[8:9], v[12:15], off offset:-12
	s_wait_xcnt 0x0
	v_add_nc_u64_e32 v[8:9], 32, v[8:9]
	s_or_b32 s13, vcc_lo, s13
	s_delay_alu instid0(SALU_CYCLE_1)
	s_and_not1_b32 exec_lo, exec_lo, s13
	s_cbranch_execnz .LBB232_25
; %bb.26:
	s_or_b32 exec_lo, exec_lo, s13
	v_cmp_ne_u64_e32 vcc_lo, v[4:5], v[6:7]
	v_add_nc_u64_e32 v[0:1], v[6:7], v[0:1]
	s_or_not1_b32 s0, vcc_lo, exec_lo
.LBB232_27:
	s_or_b32 exec_lo, exec_lo, s14
	s_delay_alu instid0(SALU_CYCLE_1)
	s_and_b32 exec_lo, exec_lo, s0
	s_cbranch_execz .LBB232_30
; %bb.28:
	s_add_nc_u64 s[0:1], s[8:9], s[10:11]
	s_mov_b32 s13, 0
	v_lshl_add_u64 v[4:5], v[0:1], 4, s[0:1]
	s_lshl_b32 s4, s12, 4
	s_mov_b32 s5, s13
	s_mov_b32 s6, s13
	s_delay_alu instid0(VALU_DEP_1)
	v_add_nc_u64_e32 v[4:5], 8, v[4:5]
.LBB232_29:                             ; =>This Inner Loop Header: Depth=1
	global_load_b128 v[6:9], v[4:5], off offset:-8
	v_add_nc_u64_e32 v[0:1], s[12:13], v[0:1]
	s_wait_loadcnt 0x0
	v_dual_mul_f32 v10, 0x4f800000, v6 :: v_dual_mul_f32 v11, 0x4f800000, v7
	v_cmp_gt_f32_e32 vcc_lo, 0xf800000, v6
	v_cmp_gt_f32_e64 s0, 0xf800000, v7
	v_dual_mul_f32 v12, 0x4f800000, v8 :: v_dual_mul_f32 v13, 0x4f800000, v9
	v_cmp_gt_f32_e64 s1, 0xf800000, v8
	s_delay_alu instid0(VALU_DEP_3) | instskip(SKIP_1) | instid1(VALU_DEP_3)
	v_dual_cndmask_b32 v6, v6, v10, vcc_lo :: v_dual_cndmask_b32 v7, v7, v11, s0
	v_cmp_gt_f32_e64 s2, 0xf800000, v9
	v_cndmask_b32_e64 v8, v8, v12, s1
	s_delay_alu instid0(VALU_DEP_3) | instskip(NEXT) | instid1(VALU_DEP_3)
	v_sqrt_f32_e32 v10, v6
	v_sqrt_f32_e32 v11, v7
	s_delay_alu instid0(VALU_DEP_2) | instskip(NEXT) | instid1(VALU_DEP_2)
	v_cndmask_b32_e64 v9, v9, v13, s2
	v_sqrt_f32_e32 v12, v8
	s_delay_alu instid0(TRANS32_DEP_3) | instskip(NEXT) | instid1(TRANS32_DEP_2)
	v_dual_add_nc_u32 v14, -1, v10 :: v_dual_add_nc_u32 v15, 1, v10
	v_dual_add_nc_u32 v16, -1, v11 :: v_dual_add_nc_u32 v17, 1, v11
	s_delay_alu instid0(VALU_DEP_3) | instskip(NEXT) | instid1(VALU_DEP_2)
	v_sqrt_f32_e32 v13, v9
	v_dual_fma_f32 v22, -v14, v10, v6 :: v_dual_fma_f32 v23, -v15, v10, v6
	s_delay_alu instid0(TRANS32_DEP_2) | instskip(NEXT) | instid1(VALU_DEP_3)
	v_dual_add_nc_u32 v18, -1, v12 :: v_dual_add_nc_u32 v19, 1, v12
	v_dual_fma_f32 v24, -v16, v11, v7 :: v_dual_fma_f32 v25, -v17, v11, v7
	s_delay_alu instid0(VALU_DEP_3) | instskip(NEXT) | instid1(TRANS32_DEP_1)
	v_cmp_ge_f32_e64 s3, 0, v22
	v_dual_add_nc_u32 v20, -1, v13 :: v_dual_add_nc_u32 v21, 1, v13
	s_delay_alu instid0(VALU_DEP_4) | instskip(NEXT) | instid1(VALU_DEP_3)
	v_dual_fma_f32 v26, -v18, v12, v8 :: v_dual_fma_f32 v27, -v19, v12, v8
	v_cndmask_b32_e64 v10, v10, v14, s3
	v_cmp_ge_f32_e64 s3, 0, v24
	s_delay_alu instid0(VALU_DEP_4) | instskip(NEXT) | instid1(VALU_DEP_2)
	v_dual_fma_f32 v28, -v20, v13, v9 :: v_dual_fma_f32 v29, -v21, v13, v9
	v_cndmask_b32_e64 v11, v11, v16, s3
	v_cmp_ge_f32_e64 s3, 0, v26
	s_delay_alu instid0(VALU_DEP_1) | instskip(NEXT) | instid1(VALU_DEP_4)
	v_cndmask_b32_e64 v12, v12, v18, s3
	v_cmp_ge_f32_e64 s3, 0, v28
	s_delay_alu instid0(VALU_DEP_1) | instskip(SKIP_1) | instid1(VALU_DEP_1)
	v_cndmask_b32_e64 v13, v13, v20, s3
	v_cmp_lt_f32_e64 s3, 0, v23
	v_cndmask_b32_e64 v14, v10, v15, s3
	v_cmp_lt_f32_e64 s3, 0, v25
	s_delay_alu instid0(VALU_DEP_1) | instskip(SKIP_1) | instid1(VALU_DEP_4)
	v_cndmask_b32_e64 v15, v11, v17, s3
	v_cmp_lt_f32_e64 s3, 0, v27
	v_mul_f32_e32 v16, 0x37800000, v14
	v_lshlrev_b64_e32 v[10:11], 2, v[0:1]
	s_delay_alu instid0(VALU_DEP_4) | instskip(NEXT) | instid1(VALU_DEP_4)
	v_mul_f32_e32 v17, 0x37800000, v15
	v_cndmask_b32_e64 v12, v12, v19, s3
	v_cmp_lt_f32_e64 s3, 0, v29
	v_cndmask_b32_e32 v14, v14, v16, vcc_lo
	v_cmp_class_f32_e64 vcc_lo, v6, 0x260
	v_cndmask_b32_e64 v15, v15, v17, s0
	s_delay_alu instid0(VALU_DEP_4) | instskip(SKIP_3) | instid1(VALU_DEP_4)
	v_cndmask_b32_e64 v13, v13, v21, s3
	v_mul_f32_e32 v18, 0x37800000, v12
	v_cndmask_b32_e32 v6, v14, v6, vcc_lo
	v_cmp_class_f32_e64 vcc_lo, v7, 0x260
	v_mul_f32_e32 v19, 0x37800000, v13
	s_delay_alu instid0(VALU_DEP_2) | instskip(SKIP_1) | instid1(VALU_DEP_1)
	v_dual_cndmask_b32 v12, v12, v18, s1 :: v_dual_cndmask_b32 v7, v15, v7, vcc_lo
	v_cmp_class_f32_e64 vcc_lo, v8, 0x260
	v_dual_cndmask_b32 v13, v13, v19, s2 :: v_dual_cndmask_b32 v8, v12, v8, vcc_lo
	v_cmp_class_f32_e64 vcc_lo, v9, 0x260
	s_delay_alu instid0(VALU_DEP_2)
	v_cndmask_b32_e32 v9, v13, v9, vcc_lo
	v_cmp_ge_i64_e32 vcc_lo, v[10:11], v[2:3]
	global_store_b128 v[4:5], v[6:9], off offset:-8
	s_wait_xcnt 0x0
	v_add_nc_u64_e32 v[4:5], s[4:5], v[4:5]
	s_or_b32 s6, vcc_lo, s6
	s_delay_alu instid0(SALU_CYCLE_1)
	s_and_not1_b32 exec_lo, exec_lo, s6
	s_cbranch_execnz .LBB232_29
.LBB232_30:
	s_endpgm
	.section	.rodata,"a",@progbits
	.p2align	6, 0x0
	.amdhsa_kernel _ZN2at6native12_GLOBAL__N_125multi_tensor_apply_kernelINS1_18TensorListMetadataILi1EEENS1_14UnaryOpFunctorIfLi1ELi1ELi0EEEJNS0_4SqrtIfEEEEEvT_T0_DpT1_
		.amdhsa_group_segment_fixed_size 0
		.amdhsa_private_segment_fixed_size 0
		.amdhsa_kernarg_size 3632
		.amdhsa_user_sgpr_count 2
		.amdhsa_user_sgpr_dispatch_ptr 0
		.amdhsa_user_sgpr_queue_ptr 0
		.amdhsa_user_sgpr_kernarg_segment_ptr 1
		.amdhsa_user_sgpr_dispatch_id 0
		.amdhsa_user_sgpr_kernarg_preload_length 0
		.amdhsa_user_sgpr_kernarg_preload_offset 0
		.amdhsa_user_sgpr_private_segment_size 0
		.amdhsa_wavefront_size32 1
		.amdhsa_uses_dynamic_stack 0
		.amdhsa_enable_private_segment 0
		.amdhsa_system_sgpr_workgroup_id_x 1
		.amdhsa_system_sgpr_workgroup_id_y 0
		.amdhsa_system_sgpr_workgroup_id_z 0
		.amdhsa_system_sgpr_workgroup_info 0
		.amdhsa_system_vgpr_workitem_id 0
		.amdhsa_next_free_vgpr 60
		.amdhsa_next_free_sgpr 24
		.amdhsa_named_barrier_count 0
		.amdhsa_reserve_vcc 1
		.amdhsa_float_round_mode_32 0
		.amdhsa_float_round_mode_16_64 0
		.amdhsa_float_denorm_mode_32 3
		.amdhsa_float_denorm_mode_16_64 3
		.amdhsa_fp16_overflow 0
		.amdhsa_memory_ordered 1
		.amdhsa_forward_progress 1
		.amdhsa_inst_pref_size 26
		.amdhsa_round_robin_scheduling 0
		.amdhsa_exception_fp_ieee_invalid_op 0
		.amdhsa_exception_fp_denorm_src 0
		.amdhsa_exception_fp_ieee_div_zero 0
		.amdhsa_exception_fp_ieee_overflow 0
		.amdhsa_exception_fp_ieee_underflow 0
		.amdhsa_exception_fp_ieee_inexact 0
		.amdhsa_exception_int_div_zero 0
	.end_amdhsa_kernel
	.section	.text._ZN2at6native12_GLOBAL__N_125multi_tensor_apply_kernelINS1_18TensorListMetadataILi1EEENS1_14UnaryOpFunctorIfLi1ELi1ELi0EEEJNS0_4SqrtIfEEEEEvT_T0_DpT1_,"axG",@progbits,_ZN2at6native12_GLOBAL__N_125multi_tensor_apply_kernelINS1_18TensorListMetadataILi1EEENS1_14UnaryOpFunctorIfLi1ELi1ELi0EEEJNS0_4SqrtIfEEEEEvT_T0_DpT1_,comdat
.Lfunc_end232:
	.size	_ZN2at6native12_GLOBAL__N_125multi_tensor_apply_kernelINS1_18TensorListMetadataILi1EEENS1_14UnaryOpFunctorIfLi1ELi1ELi0EEEJNS0_4SqrtIfEEEEEvT_T0_DpT1_, .Lfunc_end232-_ZN2at6native12_GLOBAL__N_125multi_tensor_apply_kernelINS1_18TensorListMetadataILi1EEENS1_14UnaryOpFunctorIfLi1ELi1ELi0EEEJNS0_4SqrtIfEEEEEvT_T0_DpT1_
                                        ; -- End function
	.set _ZN2at6native12_GLOBAL__N_125multi_tensor_apply_kernelINS1_18TensorListMetadataILi1EEENS1_14UnaryOpFunctorIfLi1ELi1ELi0EEEJNS0_4SqrtIfEEEEEvT_T0_DpT1_.num_vgpr, 60
	.set _ZN2at6native12_GLOBAL__N_125multi_tensor_apply_kernelINS1_18TensorListMetadataILi1EEENS1_14UnaryOpFunctorIfLi1ELi1ELi0EEEJNS0_4SqrtIfEEEEEvT_T0_DpT1_.num_agpr, 0
	.set _ZN2at6native12_GLOBAL__N_125multi_tensor_apply_kernelINS1_18TensorListMetadataILi1EEENS1_14UnaryOpFunctorIfLi1ELi1ELi0EEEJNS0_4SqrtIfEEEEEvT_T0_DpT1_.numbered_sgpr, 24
	.set _ZN2at6native12_GLOBAL__N_125multi_tensor_apply_kernelINS1_18TensorListMetadataILi1EEENS1_14UnaryOpFunctorIfLi1ELi1ELi0EEEJNS0_4SqrtIfEEEEEvT_T0_DpT1_.num_named_barrier, 0
	.set _ZN2at6native12_GLOBAL__N_125multi_tensor_apply_kernelINS1_18TensorListMetadataILi1EEENS1_14UnaryOpFunctorIfLi1ELi1ELi0EEEJNS0_4SqrtIfEEEEEvT_T0_DpT1_.private_seg_size, 0
	.set _ZN2at6native12_GLOBAL__N_125multi_tensor_apply_kernelINS1_18TensorListMetadataILi1EEENS1_14UnaryOpFunctorIfLi1ELi1ELi0EEEJNS0_4SqrtIfEEEEEvT_T0_DpT1_.uses_vcc, 1
	.set _ZN2at6native12_GLOBAL__N_125multi_tensor_apply_kernelINS1_18TensorListMetadataILi1EEENS1_14UnaryOpFunctorIfLi1ELi1ELi0EEEJNS0_4SqrtIfEEEEEvT_T0_DpT1_.uses_flat_scratch, 0
	.set _ZN2at6native12_GLOBAL__N_125multi_tensor_apply_kernelINS1_18TensorListMetadataILi1EEENS1_14UnaryOpFunctorIfLi1ELi1ELi0EEEJNS0_4SqrtIfEEEEEvT_T0_DpT1_.has_dyn_sized_stack, 0
	.set _ZN2at6native12_GLOBAL__N_125multi_tensor_apply_kernelINS1_18TensorListMetadataILi1EEENS1_14UnaryOpFunctorIfLi1ELi1ELi0EEEJNS0_4SqrtIfEEEEEvT_T0_DpT1_.has_recursion, 0
	.set _ZN2at6native12_GLOBAL__N_125multi_tensor_apply_kernelINS1_18TensorListMetadataILi1EEENS1_14UnaryOpFunctorIfLi1ELi1ELi0EEEJNS0_4SqrtIfEEEEEvT_T0_DpT1_.has_indirect_call, 0
	.section	.AMDGPU.csdata,"",@progbits
; Kernel info:
; codeLenInByte = 3276
; TotalNumSgprs: 26
; NumVgprs: 60
; ScratchSize: 0
; MemoryBound: 0
; FloatMode: 240
; IeeeMode: 1
; LDSByteSize: 0 bytes/workgroup (compile time only)
; SGPRBlocks: 0
; VGPRBlocks: 3
; NumSGPRsForWavesPerEU: 26
; NumVGPRsForWavesPerEU: 60
; NamedBarCnt: 0
; Occupancy: 16
; WaveLimiterHint : 0
; COMPUTE_PGM_RSRC2:SCRATCH_EN: 0
; COMPUTE_PGM_RSRC2:USER_SGPR: 2
; COMPUTE_PGM_RSRC2:TRAP_HANDLER: 0
; COMPUTE_PGM_RSRC2:TGID_X_EN: 1
; COMPUTE_PGM_RSRC2:TGID_Y_EN: 0
; COMPUTE_PGM_RSRC2:TGID_Z_EN: 0
; COMPUTE_PGM_RSRC2:TIDIG_COMP_CNT: 0
	.section	.text._ZN2at6native12_GLOBAL__N_125multi_tensor_apply_kernelINS1_18TensorListMetadataILi1EEENS1_14UnaryOpFunctorIN3c107complexIdEELi1ELi1ELi0EEEJNS0_4SqrtIS8_EEEEEvT_T0_DpT1_,"axG",@progbits,_ZN2at6native12_GLOBAL__N_125multi_tensor_apply_kernelINS1_18TensorListMetadataILi1EEENS1_14UnaryOpFunctorIN3c107complexIdEELi1ELi1ELi0EEEJNS0_4SqrtIS8_EEEEEvT_T0_DpT1_,comdat
	.globl	_ZN2at6native12_GLOBAL__N_125multi_tensor_apply_kernelINS1_18TensorListMetadataILi1EEENS1_14UnaryOpFunctorIN3c107complexIdEELi1ELi1ELi0EEEJNS0_4SqrtIS8_EEEEEvT_T0_DpT1_ ; -- Begin function _ZN2at6native12_GLOBAL__N_125multi_tensor_apply_kernelINS1_18TensorListMetadataILi1EEENS1_14UnaryOpFunctorIN3c107complexIdEELi1ELi1ELi0EEEJNS0_4SqrtIS8_EEEEEvT_T0_DpT1_
	.p2align	8
	.type	_ZN2at6native12_GLOBAL__N_125multi_tensor_apply_kernelINS1_18TensorListMetadataILi1EEENS1_14UnaryOpFunctorIN3c107complexIdEELi1ELi1ELi0EEEJNS0_4SqrtIS8_EEEEEvT_T0_DpT1_,@function
_ZN2at6native12_GLOBAL__N_125multi_tensor_apply_kernelINS1_18TensorListMetadataILi1EEENS1_14UnaryOpFunctorIN3c107complexIdEELi1ELi1ELi0EEEJNS0_4SqrtIS8_EEEEEvT_T0_DpT1_: ; @_ZN2at6native12_GLOBAL__N_125multi_tensor_apply_kernelINS1_18TensorListMetadataILi1EEENS1_14UnaryOpFunctorIN3c107complexIdEELi1ELi1ELi0EEEJNS0_4SqrtIS8_EEEEEvT_T0_DpT1_
; %bb.0:
	s_bfe_u32 s2, ttmp6, 0x4000c
	s_and_b32 s3, ttmp6, 15
	s_add_co_i32 s2, s2, 1
	s_getreg_b32 s4, hwreg(HW_REG_IB_STS2, 6, 4)
	s_mul_i32 s2, ttmp9, s2
	s_delay_alu instid0(SALU_CYCLE_1)
	s_add_co_i32 s3, s3, s2
	s_cmp_eq_u32 s4, 0
	s_cselect_b32 s2, ttmp9, s3
	s_mov_b32 s3, 0
	s_load_u8 s10, s[0:1], s2 offset:0x6e0
	s_add_nc_u64 s[4:5], s[0:1], s[2:3]
	s_mul_u64 s[6:7], s[2:3], 3
	s_delay_alu instid0(SALU_CYCLE_1)
	s_add_nc_u64 s[4:5], s[4:5], s[6:7]
	s_load_b32 s6, s[4:5], 0x820
	s_wait_kmcnt 0x0
	s_clause 0x1
	s_load_b64 s[8:9], s[0:1], s10 offset:0x0 scale_offset
	s_load_b64 s[12:13], s[0:1], s10 offset:0x370 scale_offset
	s_ashr_i32 s7, s6, 31
	s_wait_xcnt 0x0
	s_lshl_b64 s[10:11], s[6:7], 20
	s_wait_kmcnt 0x0
	s_and_b32 s2, s12, 3
	s_add_nc_u64 s[14:15], s[8:9], s[10:11]
	s_delay_alu instid0(SALU_CYCLE_1) | instskip(NEXT) | instid1(SALU_CYCLE_1)
	s_and_b64 s[4:5], s[14:15], 63
	s_or_b64 s[2:3], s[4:5], s[2:3]
	s_lshl_b64 s[4:5], s[6:7], 16
	s_cmp_eq_u64 s[2:3], 0
	s_sub_nc_u64 s[12:13], s[12:13], s[4:5]
	s_cbranch_scc1 .LBB233_149
; %bb.1:
	v_cmp_lt_i64_e64 s2, s[12:13], 1
	s_and_b32 vcc_lo, exec_lo, s2
	s_cbranch_vccnz .LBB233_148
; %bb.2:
	s_load_b32 s2, s[0:1], 0xd3c
	v_min_i64 v[24:25], 0x10000, s[12:13]
	v_min_u64 v[26:27], 0x10000, s[12:13]
	v_dual_mov_b32 v1, 0 :: v_dual_lshlrev_b32 v28, 4, v0
	s_mov_b32 s3, 0
	s_mov_b64 s[16:17], 0x7fda827999fcef32
	s_mov_b32 s5, s3
	s_delay_alu instid0(VALU_DEP_1)
	v_dual_mov_b32 v29, v1 :: v_dual_mov_b32 v37, v1
	s_mov_b32 s7, s3
	s_mov_b32 s19, s3
	;; [unrolled: 1-line block ×3, first 2 shown]
	s_mov_b64 s[22:23], 0
	s_wait_kmcnt 0x0
	s_and_b32 s2, s2, 0xffff
	s_delay_alu instid0(SALU_CYCLE_1)
	v_mad_nc_u64_u32 v[30:31], s2, 48, v[28:29]
	s_lshl_b32 s4, s2, 1
	s_mul_i32 s6, s2, 3
	s_lshl_b32 s18, s2, 2
	s_lshl_b32 s20, s2, 6
	v_add_nc_u64_e32 v[32:33], s[2:3], v[0:1]
	s_lshl_b32 s2, s2, 5
	v_add_nc_u64_e32 v[38:39], s[6:7], v[0:1]
	v_add_nc_u64_e32 v[34:35], s[2:3], v[28:29]
	;; [unrolled: 1-line block ×3, first 2 shown]
	s_delay_alu instid0(VALU_DEP_4) | instskip(NEXT) | instid1(VALU_DEP_3)
	v_dual_lshlrev_b32 v36, 4, v32 :: v_dual_bitop2_b32 v30, 8, v30 bitop3:0x54
	v_or_b32_e32 v34, 8, v34
	s_branch .LBB233_4
.LBB233_3:                              ;   in Loop: Header=BB233_4 Depth=1
	s_wait_xcnt 0x0
	s_or_b32 exec_lo, exec_lo, s2
	s_add_nc_u64 s[22:23], s[22:23], s[18:19]
	s_add_nc_u64 s[14:15], s[14:15], s[20:21]
	v_cmp_ge_i64_e32 vcc_lo, s[22:23], v[24:25]
	s_cbranch_vccnz .LBB233_148
.LBB233_4:                              ; =>This Inner Loop Header: Depth=1
	v_add_nc_u64_e32 v[2:3], s[22:23], v[0:1]
	v_mov_b64_e32 v[4:5], 0
	v_add_nc_u64_e32 v[42:43], s[14:15], v[28:29]
	v_mov_b64_e32 v[8:9], 0
	v_mov_b64_e32 v[6:7], 0
	v_cmp_lt_u64_e64 s2, v[2:3], v[26:27]
	s_and_saveexec_b32 s3, s2
	s_cbranch_execz .LBB233_6
; %bb.5:                                ;   in Loop: Header=BB233_4 Depth=1
	global_load_b128 v[6:9], v[42:43], off
.LBB233_6:                              ;   in Loop: Header=BB233_4 Depth=1
	s_wait_xcnt 0x0
	s_or_b32 exec_lo, exec_lo, s3
	v_add_nc_u64_e32 v[2:3], s[22:23], v[32:33]
	v_add_nc_u64_e32 v[44:45], s[14:15], v[36:37]
	s_delay_alu instid0(VALU_DEP_2)
	v_cmp_lt_u64_e64 s3, v[2:3], v[26:27]
	v_mov_b64_e32 v[2:3], 0
	s_and_saveexec_b32 s4, s3
	s_cbranch_execz .LBB233_8
; %bb.7:                                ;   in Loop: Header=BB233_4 Depth=1
	global_load_b128 v[2:5], v[44:45], off
.LBB233_8:                              ;   in Loop: Header=BB233_4 Depth=1
	s_wait_xcnt 0x0
	s_or_b32 exec_lo, exec_lo, s4
	v_add_nc_u64_e32 v[10:11], s[22:23], v[40:41]
	v_mov_b64_e32 v[12:13], 0
	v_add_nc_u64_e32 v[46:47], s[14:15], v[34:35]
	v_mov_b64_e32 v[16:17], 0
	v_mov_b64_e32 v[14:15], 0
	v_cmp_lt_u64_e64 s4, v[10:11], v[26:27]
	s_and_saveexec_b32 s5, s4
	s_cbranch_execz .LBB233_10
; %bb.9:                                ;   in Loop: Header=BB233_4 Depth=1
	global_load_b128 v[14:17], v[46:47], off offset:-8
.LBB233_10:                             ;   in Loop: Header=BB233_4 Depth=1
	s_wait_xcnt 0x0
	s_or_b32 exec_lo, exec_lo, s5
	v_add_nc_u64_e32 v[10:11], s[22:23], v[38:39]
	v_add_nc_u64_e32 v[48:49], s[14:15], v[30:31]
	s_delay_alu instid0(VALU_DEP_2)
	v_cmp_lt_u64_e64 s5, v[10:11], v[26:27]
	v_mov_b64_e32 v[10:11], 0
	s_and_saveexec_b32 s6, s5
	s_cbranch_execz .LBB233_12
; %bb.11:                               ;   in Loop: Header=BB233_4 Depth=1
	global_load_b128 v[10:13], v[48:49], off offset:-8
.LBB233_12:                             ;   in Loop: Header=BB233_4 Depth=1
	s_wait_xcnt 0x0
	s_or_b32 exec_lo, exec_lo, s6
	s_wait_loadcnt 0x0
	v_cmp_neq_f64_e32 vcc_lo, 0, v[6:7]
	v_cmp_neq_f64_e64 s6, 0, v[8:9]
	v_mov_b64_e32 v[18:19], 0
	v_mov_b64_e32 v[20:21], 0
	s_or_b32 s6, vcc_lo, s6
	s_delay_alu instid0(SALU_CYCLE_1)
	s_and_saveexec_b32 s24, s6
	s_cbranch_execz .LBB233_38
; %bb.13:                               ;   in Loop: Header=BB233_4 Depth=1
	v_mov_b64_e32 v[20:21], 0x7ff0000000000000
	s_mov_b32 s25, exec_lo
	v_cmpx_neq_f64_e64 0x7ff00000, |v[8:9]|
	s_cbranch_execz .LBB233_37
; %bb.14:                               ;   in Loop: Header=BB233_4 Depth=1
                                        ; implicit-def: $vgpr20_vgpr21
	s_mov_b32 s6, exec_lo
	v_cmpx_o_f64_e32 v[6:7], v[6:7]
	s_xor_b32 s26, exec_lo, s6
	s_cbranch_execz .LBB233_34
; %bb.15:                               ;   in Loop: Header=BB233_4 Depth=1
                                        ; implicit-def: $vgpr20_vgpr21
	s_mov_b32 s7, exec_lo
	v_cmpx_neq_f64_e64 0x7ff00000, |v[6:7]|
	s_xor_b32 s27, exec_lo, s7
	s_cbranch_execz .LBB233_28
; %bb.16:                               ;   in Loop: Header=BB233_4 Depth=1
	v_max_num_f64_e64 v[20:21], |v[6:7]|, |v[6:7]|
	v_max_num_f64_e64 v[22:23], |v[8:9]|, |v[8:9]|
                                        ; implicit-def: $sgpr28
	s_delay_alu instid0(VALU_DEP_1) | instskip(NEXT) | instid1(VALU_DEP_1)
	v_max_num_f64_e32 v[20:21], v[22:23], v[20:21]
	v_cmp_nle_f64_e64 s6, s[16:17], v[20:21]
	s_and_saveexec_b32 s7, s6
	s_delay_alu instid0(SALU_CYCLE_1)
	s_xor_b32 s7, exec_lo, s7
	s_cbranch_execz .LBB233_20
; %bb.17:                               ;   in Loop: Header=BB233_4 Depth=1
	v_cmp_ge_f64_e64 s28, 0x200000, |v[6:7]|
	v_cmp_ge_f64_e64 s29, 0x200000, |v[8:9]|
	s_and_b32 s30, s29, s28
	s_mov_b32 s28, 0
	s_and_saveexec_b32 s29, s30
	s_cbranch_execz .LBB233_19
; %bb.18:                               ;   in Loop: Header=BB233_4 Depth=1
	v_mul_f64_e32 v[6:7], 4.0, v[6:7]
	v_mul_f64_e32 v[8:9], 4.0, v[8:9]
	s_mov_b32 s28, exec_lo
.LBB233_19:                             ;   in Loop: Header=BB233_4 Depth=1
	s_or_b32 exec_lo, exec_lo, s29
.LBB233_20:                             ;   in Loop: Header=BB233_4 Depth=1
	s_and_not1_saveexec_b32 s7, s7
	s_cbranch_execz .LBB233_22
; %bb.21:                               ;   in Loop: Header=BB233_4 Depth=1
	s_delay_alu instid0(VALU_DEP_2) | instskip(NEXT) | instid1(VALU_DEP_2)
	v_ldexp_f64 v[6:7], v[6:7], -2
	v_ldexp_f64 v[8:9], v[8:9], -2
	s_and_not1_b32 s28, s28, exec_lo
.LBB233_22:                             ;   in Loop: Header=BB233_4 Depth=1
	s_or_b32 exec_lo, exec_lo, s7
	s_delay_alu instid0(VALU_DEP_1) | instskip(NEXT) | instid1(VALU_DEP_3)
	v_max_num_f64_e64 v[20:21], |v[8:9]|, |v[8:9]|
	v_max_num_f64_e64 v[22:23], |v[6:7]|, |v[6:7]|
	v_cmp_class_f64_e64 s29, v[6:7], 0x204
	v_cmp_class_f64_e64 s30, v[8:9], 0x204
	v_cmp_le_f64_e64 s7, 0, v[6:7]
	s_delay_alu instid0(VALU_DEP_4) | instskip(SKIP_1) | instid1(VALU_DEP_1)
	v_max_num_f64_e32 v[20:21], v[22:23], v[20:21]
	s_or_b32 s29, s30, s29
	v_frexp_exp_i32_f64_e32 v54, v[20:21]
	s_delay_alu instid0(VALU_DEP_1) | instskip(NEXT) | instid1(VALU_DEP_1)
	v_sub_nc_u32_e32 v22, 0, v54
	v_ldexp_f64 v[20:21], |v[8:9]|, v22
	v_ldexp_f64 v[22:23], |v[6:7]|, v22
	s_delay_alu instid0(VALU_DEP_2) | instskip(NEXT) | instid1(VALU_DEP_1)
	v_mul_f64_e32 v[20:21], v[20:21], v[20:21]
	v_fmac_f64_e32 v[20:21], v[22:23], v[22:23]
	s_delay_alu instid0(VALU_DEP_1) | instskip(SKIP_1) | instid1(TRANS32_DEP_1)
	v_rsq_f64_e32 v[22:23], v[20:21]
	v_cmp_eq_f64_e32 vcc_lo, 0, v[20:21]
	v_mul_f64_e32 v[50:51], v[20:21], v[22:23]
	v_mul_f64_e32 v[22:23], 0.5, v[22:23]
	s_delay_alu instid0(VALU_DEP_1) | instskip(NEXT) | instid1(VALU_DEP_1)
	v_fma_f64 v[52:53], -v[22:23], v[50:51], 0.5
	v_fmac_f64_e32 v[50:51], v[50:51], v[52:53]
	v_fmac_f64_e32 v[22:23], v[22:23], v[52:53]
	s_delay_alu instid0(VALU_DEP_2) | instskip(NEXT) | instid1(VALU_DEP_1)
	v_fma_f64 v[52:53], -v[50:51], v[50:51], v[20:21]
	v_fmac_f64_e32 v[50:51], v[52:53], v[22:23]
	s_delay_alu instid0(VALU_DEP_1) | instskip(SKIP_1) | instid1(VALU_DEP_2)
	v_dual_cndmask_b32 v21, v51, v21 :: v_dual_cndmask_b32 v20, v50, v20
	v_cmp_o_f64_e32 vcc_lo, v[8:9], v[8:9]
	v_ldexp_f64 v[20:21], v[20:21], v54
	s_delay_alu instid0(VALU_DEP_1) | instskip(NEXT) | instid1(VALU_DEP_2)
	v_cndmask_b32_e32 v20, 0, v20, vcc_lo
	v_cndmask_b32_e32 v21, 0x7ff80000, v21, vcc_lo
	s_delay_alu instid0(VALU_DEP_2) | instskip(NEXT) | instid1(VALU_DEP_2)
	v_cndmask_b32_e64 v22, v20, 0, s29
	v_cndmask_b32_e64 v23, v21, 0x7ff00000, s29
                                        ; implicit-def: $vgpr20_vgpr21
	s_and_saveexec_b32 s29, s7
	s_delay_alu instid0(SALU_CYCLE_1)
	s_xor_b32 s7, exec_lo, s29
	s_cbranch_execnz .LBB233_128
; %bb.23:                               ;   in Loop: Header=BB233_4 Depth=1
	s_and_not1_saveexec_b32 s7, s7
	s_cbranch_execnz .LBB233_129
.LBB233_24:                             ;   in Loop: Header=BB233_4 Depth=1
	s_or_b32 exec_lo, exec_lo, s7
	s_and_saveexec_b32 s7, s6
	s_delay_alu instid0(SALU_CYCLE_1)
	s_xor_b32 s6, exec_lo, s7
	s_cbranch_execnz .LBB233_130
.LBB233_25:                             ;   in Loop: Header=BB233_4 Depth=1
	s_and_not1_saveexec_b32 s6, s6
	s_cbranch_execz .LBB233_27
.LBB233_26:                             ;   in Loop: Header=BB233_4 Depth=1
	s_delay_alu instid0(VALU_DEP_2) | instskip(NEXT) | instid1(VALU_DEP_2)
	v_add_f64_e32 v[20:21], v[20:21], v[20:21]
	v_add_f64_e32 v[8:9], v[8:9], v[8:9]
.LBB233_27:                             ;   in Loop: Header=BB233_4 Depth=1
	s_or_b32 exec_lo, exec_lo, s6
.LBB233_28:                             ;   in Loop: Header=BB233_4 Depth=1
	s_and_not1_saveexec_b32 s6, s27
	s_cbranch_execz .LBB233_127
; %bb.29:                               ;   in Loop: Header=BB233_4 Depth=1
	s_delay_alu instid0(VALU_DEP_1) | instskip(SKIP_1) | instid1(VALU_DEP_1)
	v_add_f64_e64 v[22:23], v[8:9], -v[8:9]
	s_mov_b32 s7, exec_lo
	v_and_b32_e32 v21, 0x7fffffff, v23
	s_delay_alu instid0(VALU_DEP_2)
	v_mov_b32_e32 v20, v22
	v_cmpx_lt_i64_e32 -1, v[6:7]
	s_xor_b32 s7, exec_lo, s7
; %bb.30:                               ;   in Loop: Header=BB233_4 Depth=1
	v_bfi_b32 v23, 0x7fffffff, v23, v9
	v_mov_b64_e32 v[20:21], v[6:7]
	s_delay_alu instid0(VALU_DEP_2)
	v_mov_b64_e32 v[8:9], v[22:23]
; %bb.31:                               ;   in Loop: Header=BB233_4 Depth=1
	s_and_not1_saveexec_b32 s7, s7
; %bb.32:                               ;   in Loop: Header=BB233_4 Depth=1
	s_delay_alu instid0(VALU_DEP_1) | instskip(NEXT) | instid1(VALU_DEP_1)
	v_bfi_b32 v7, 0x7fffffff, v7, v9
	v_mov_b64_e32 v[8:9], v[6:7]
; %bb.33:                               ;   in Loop: Header=BB233_4 Depth=1
	s_or_b32 exec_lo, exec_lo, s7
	s_delay_alu instid0(SALU_CYCLE_1)
	s_or_b32 exec_lo, exec_lo, s6
.LBB233_34:                             ;   in Loop: Header=BB233_4 Depth=1
	s_and_not1_saveexec_b32 s6, s26
	s_cbranch_execz .LBB233_36
.LBB233_35:                             ;   in Loop: Header=BB233_4 Depth=1
	s_delay_alu instid0(VALU_DEP_1) | instskip(NEXT) | instid1(VALU_DEP_1)
	v_add_f64_e64 v[8:9], v[8:9], -v[8:9]
	v_div_scale_f64 v[20:21], vcc_lo, v[8:9], v[8:9], v[8:9]
	s_delay_alu instid0(VALU_DEP_1) | instskip(SKIP_1) | instid1(TRANS32_DEP_1)
	v_rcp_f64_e32 v[22:23], v[20:21]
	v_nop
	v_fma_f64 v[50:51], -v[20:21], v[22:23], 1.0
	s_delay_alu instid0(VALU_DEP_1) | instskip(NEXT) | instid1(VALU_DEP_1)
	v_fmac_f64_e32 v[22:23], v[22:23], v[50:51]
	v_fma_f64 v[50:51], -v[20:21], v[22:23], 1.0
	s_delay_alu instid0(VALU_DEP_1) | instskip(NEXT) | instid1(VALU_DEP_1)
	v_fmac_f64_e32 v[22:23], v[22:23], v[50:51]
	v_mul_f64_e32 v[50:51], v[20:21], v[22:23]
	s_delay_alu instid0(VALU_DEP_1) | instskip(NEXT) | instid1(VALU_DEP_1)
	v_fma_f64 v[20:21], -v[20:21], v[50:51], v[20:21]
	v_div_fmas_f64 v[20:21], v[20:21], v[22:23], v[50:51]
	s_delay_alu instid0(VALU_DEP_1)
	v_div_fixup_f64 v[8:9], v[20:21], v[8:9], v[8:9]
	v_mov_b64_e32 v[20:21], v[6:7]
.LBB233_36:                             ;   in Loop: Header=BB233_4 Depth=1
	s_or_b32 exec_lo, exec_lo, s6
.LBB233_37:                             ;   in Loop: Header=BB233_4 Depth=1
	s_delay_alu instid0(SALU_CYCLE_1)
	s_or_b32 exec_lo, exec_lo, s25
.LBB233_38:                             ;   in Loop: Header=BB233_4 Depth=1
	s_delay_alu instid0(SALU_CYCLE_1) | instskip(SKIP_3) | instid1(SALU_CYCLE_1)
	s_or_b32 exec_lo, exec_lo, s24
	v_cmp_neq_f64_e32 vcc_lo, 0, v[2:3]
	v_cmp_neq_f64_e64 s6, 0, v[4:5]
	s_or_b32 s6, vcc_lo, s6
	s_and_saveexec_b32 s24, s6
	s_cbranch_execz .LBB233_65
; %bb.39:                               ;   in Loop: Header=BB233_4 Depth=1
	v_mov_b64_e32 v[18:19], 0x7ff0000000000000
	s_mov_b32 s25, exec_lo
	v_cmpx_neq_f64_e64 0x7ff00000, |v[4:5]|
	s_cbranch_execz .LBB233_64
; %bb.40:                               ;   in Loop: Header=BB233_4 Depth=1
                                        ; implicit-def: $vgpr18_vgpr19
	s_mov_b32 s6, exec_lo
	v_cmpx_o_f64_e32 v[2:3], v[2:3]
	s_xor_b32 s26, exec_lo, s6
	s_cbranch_execz .LBB233_61
; %bb.41:                               ;   in Loop: Header=BB233_4 Depth=1
                                        ; implicit-def: $vgpr18_vgpr19
	s_mov_b32 s7, exec_lo
	v_cmpx_neq_f64_e64 0x7ff00000, |v[2:3]|
	s_xor_b32 s27, exec_lo, s7
	s_cbranch_execz .LBB233_54
; %bb.42:                               ;   in Loop: Header=BB233_4 Depth=1
	v_max_num_f64_e64 v[6:7], |v[2:3]|, |v[2:3]|
	v_max_num_f64_e64 v[18:19], |v[4:5]|, |v[4:5]|
                                        ; implicit-def: $sgpr28
	s_delay_alu instid0(VALU_DEP_1) | instskip(NEXT) | instid1(VALU_DEP_1)
	v_max_num_f64_e32 v[6:7], v[18:19], v[6:7]
	v_cmp_nle_f64_e64 s6, s[16:17], v[6:7]
	s_and_saveexec_b32 s7, s6
	s_delay_alu instid0(SALU_CYCLE_1)
	s_xor_b32 s7, exec_lo, s7
	s_cbranch_execz .LBB233_46
; %bb.43:                               ;   in Loop: Header=BB233_4 Depth=1
	v_cmp_ge_f64_e64 s28, 0x200000, |v[2:3]|
	v_cmp_ge_f64_e64 s29, 0x200000, |v[4:5]|
	s_and_b32 s30, s29, s28
	s_mov_b32 s28, 0
	s_and_saveexec_b32 s29, s30
	s_cbranch_execz .LBB233_45
; %bb.44:                               ;   in Loop: Header=BB233_4 Depth=1
	v_mul_f64_e32 v[2:3], 4.0, v[2:3]
	v_mul_f64_e32 v[4:5], 4.0, v[4:5]
	s_mov_b32 s28, exec_lo
.LBB233_45:                             ;   in Loop: Header=BB233_4 Depth=1
	s_or_b32 exec_lo, exec_lo, s29
.LBB233_46:                             ;   in Loop: Header=BB233_4 Depth=1
	s_and_not1_saveexec_b32 s7, s7
	s_cbranch_execz .LBB233_48
; %bb.47:                               ;   in Loop: Header=BB233_4 Depth=1
	s_delay_alu instid0(VALU_DEP_2) | instskip(NEXT) | instid1(VALU_DEP_2)
	v_ldexp_f64 v[2:3], v[2:3], -2
	v_ldexp_f64 v[4:5], v[4:5], -2
	s_and_not1_b32 s28, s28, exec_lo
.LBB233_48:                             ;   in Loop: Header=BB233_4 Depth=1
	s_or_b32 exec_lo, exec_lo, s7
	s_delay_alu instid0(VALU_DEP_1) | instskip(NEXT) | instid1(VALU_DEP_3)
	v_max_num_f64_e64 v[6:7], |v[4:5]|, |v[4:5]|
	v_max_num_f64_e64 v[18:19], |v[2:3]|, |v[2:3]|
	v_cmp_class_f64_e64 s29, v[2:3], 0x204
	v_cmp_class_f64_e64 s30, v[4:5], 0x204
	v_cmp_le_f64_e64 s7, 0, v[2:3]
	s_delay_alu instid0(VALU_DEP_4) | instskip(SKIP_1) | instid1(VALU_DEP_1)
	v_max_num_f64_e32 v[6:7], v[18:19], v[6:7]
	s_or_b32 s29, s30, s29
	v_frexp_exp_i32_f64_e32 v52, v[6:7]
	s_delay_alu instid0(VALU_DEP_1) | instskip(NEXT) | instid1(VALU_DEP_1)
	v_sub_nc_u32_e32 v18, 0, v52
	v_ldexp_f64 v[6:7], |v[4:5]|, v18
	v_ldexp_f64 v[18:19], |v[2:3]|, v18
	s_delay_alu instid0(VALU_DEP_2) | instskip(NEXT) | instid1(VALU_DEP_1)
	v_mul_f64_e32 v[6:7], v[6:7], v[6:7]
	v_fmac_f64_e32 v[6:7], v[18:19], v[18:19]
	s_delay_alu instid0(VALU_DEP_1) | instskip(SKIP_1) | instid1(TRANS32_DEP_1)
	v_rsq_f64_e32 v[18:19], v[6:7]
	v_cmp_eq_f64_e32 vcc_lo, 0, v[6:7]
	v_mul_f64_e32 v[22:23], v[6:7], v[18:19]
	v_mul_f64_e32 v[18:19], 0.5, v[18:19]
	s_delay_alu instid0(VALU_DEP_1) | instskip(NEXT) | instid1(VALU_DEP_1)
	v_fma_f64 v[50:51], -v[18:19], v[22:23], 0.5
	v_fmac_f64_e32 v[22:23], v[22:23], v[50:51]
	v_fmac_f64_e32 v[18:19], v[18:19], v[50:51]
	s_delay_alu instid0(VALU_DEP_2) | instskip(NEXT) | instid1(VALU_DEP_1)
	v_fma_f64 v[50:51], -v[22:23], v[22:23], v[6:7]
	v_fmac_f64_e32 v[22:23], v[50:51], v[18:19]
                                        ; implicit-def: $vgpr18_vgpr19
	s_delay_alu instid0(VALU_DEP_1) | instskip(SKIP_1) | instid1(VALU_DEP_2)
	v_dual_cndmask_b32 v7, v23, v7 :: v_dual_cndmask_b32 v6, v22, v6
	v_cmp_o_f64_e32 vcc_lo, v[4:5], v[4:5]
	v_ldexp_f64 v[6:7], v[6:7], v52
	s_delay_alu instid0(VALU_DEP_1) | instskip(NEXT) | instid1(VALU_DEP_2)
	v_cndmask_b32_e32 v6, 0, v6, vcc_lo
	v_cndmask_b32_e32 v7, 0x7ff80000, v7, vcc_lo
	s_delay_alu instid0(VALU_DEP_2) | instskip(NEXT) | instid1(VALU_DEP_2)
	v_cndmask_b32_e64 v6, v6, 0, s29
	v_cndmask_b32_e64 v7, v7, 0x7ff00000, s29
	s_and_saveexec_b32 s29, s7
	s_delay_alu instid0(SALU_CYCLE_1)
	s_xor_b32 s7, exec_lo, s29
	s_cbranch_execnz .LBB233_133
; %bb.49:                               ;   in Loop: Header=BB233_4 Depth=1
	s_and_not1_saveexec_b32 s7, s7
	s_cbranch_execnz .LBB233_134
.LBB233_50:                             ;   in Loop: Header=BB233_4 Depth=1
	s_or_b32 exec_lo, exec_lo, s7
	s_and_saveexec_b32 s7, s6
	s_delay_alu instid0(SALU_CYCLE_1)
	s_xor_b32 s6, exec_lo, s7
	s_cbranch_execnz .LBB233_135
.LBB233_51:                             ;   in Loop: Header=BB233_4 Depth=1
	s_and_not1_saveexec_b32 s6, s6
	s_cbranch_execz .LBB233_53
.LBB233_52:                             ;   in Loop: Header=BB233_4 Depth=1
	s_delay_alu instid0(VALU_DEP_2) | instskip(NEXT) | instid1(VALU_DEP_2)
	v_add_f64_e32 v[18:19], v[18:19], v[18:19]
	v_add_f64_e32 v[4:5], v[4:5], v[4:5]
.LBB233_53:                             ;   in Loop: Header=BB233_4 Depth=1
	s_or_b32 exec_lo, exec_lo, s6
.LBB233_54:                             ;   in Loop: Header=BB233_4 Depth=1
	s_and_not1_saveexec_b32 s6, s27
	s_cbranch_execz .LBB233_60
; %bb.55:                               ;   in Loop: Header=BB233_4 Depth=1
	s_delay_alu instid0(VALU_DEP_1) | instskip(SKIP_1) | instid1(VALU_DEP_1)
	v_add_f64_e64 v[6:7], v[4:5], -v[4:5]
	s_mov_b32 s7, exec_lo
	v_and_b32_e32 v19, 0x7fffffff, v7
	s_delay_alu instid0(VALU_DEP_2)
	v_mov_b32_e32 v18, v6
	v_cmpx_lt_i64_e32 -1, v[2:3]
	s_xor_b32 s7, exec_lo, s7
; %bb.56:                               ;   in Loop: Header=BB233_4 Depth=1
	v_bfi_b32 v7, 0x7fffffff, v7, v5
	v_mov_b64_e32 v[18:19], v[2:3]
	s_delay_alu instid0(VALU_DEP_2)
	v_mov_b64_e32 v[4:5], v[6:7]
; %bb.57:                               ;   in Loop: Header=BB233_4 Depth=1
	s_and_not1_saveexec_b32 s7, s7
; %bb.58:                               ;   in Loop: Header=BB233_4 Depth=1
	s_delay_alu instid0(VALU_DEP_1) | instskip(NEXT) | instid1(VALU_DEP_1)
	v_bfi_b32 v3, 0x7fffffff, v3, v5
	v_mov_b64_e32 v[4:5], v[2:3]
; %bb.59:                               ;   in Loop: Header=BB233_4 Depth=1
	s_or_b32 exec_lo, exec_lo, s7
.LBB233_60:                             ;   in Loop: Header=BB233_4 Depth=1
	s_delay_alu instid0(SALU_CYCLE_1)
	s_or_b32 exec_lo, exec_lo, s6
.LBB233_61:                             ;   in Loop: Header=BB233_4 Depth=1
	s_and_not1_saveexec_b32 s6, s26
	s_cbranch_execz .LBB233_63
; %bb.62:                               ;   in Loop: Header=BB233_4 Depth=1
	s_delay_alu instid0(VALU_DEP_1) | instskip(NEXT) | instid1(VALU_DEP_1)
	v_add_f64_e64 v[4:5], v[4:5], -v[4:5]
	v_div_scale_f64 v[6:7], vcc_lo, v[4:5], v[4:5], v[4:5]
	s_delay_alu instid0(VALU_DEP_1) | instskip(SKIP_1) | instid1(TRANS32_DEP_1)
	v_rcp_f64_e32 v[18:19], v[6:7]
	v_nop
	v_fma_f64 v[22:23], -v[6:7], v[18:19], 1.0
	s_delay_alu instid0(VALU_DEP_1) | instskip(NEXT) | instid1(VALU_DEP_1)
	v_fmac_f64_e32 v[18:19], v[18:19], v[22:23]
	v_fma_f64 v[22:23], -v[6:7], v[18:19], 1.0
	s_delay_alu instid0(VALU_DEP_1) | instskip(NEXT) | instid1(VALU_DEP_1)
	v_fmac_f64_e32 v[18:19], v[18:19], v[22:23]
	v_mul_f64_e32 v[22:23], v[6:7], v[18:19]
	s_delay_alu instid0(VALU_DEP_1) | instskip(NEXT) | instid1(VALU_DEP_1)
	v_fma_f64 v[6:7], -v[6:7], v[22:23], v[6:7]
	v_div_fmas_f64 v[6:7], v[6:7], v[18:19], v[22:23]
	v_mov_b64_e32 v[18:19], v[2:3]
	s_delay_alu instid0(VALU_DEP_2)
	v_div_fixup_f64 v[4:5], v[6:7], v[4:5], v[4:5]
.LBB233_63:                             ;   in Loop: Header=BB233_4 Depth=1
	s_or_b32 exec_lo, exec_lo, s6
.LBB233_64:                             ;   in Loop: Header=BB233_4 Depth=1
	s_delay_alu instid0(SALU_CYCLE_1)
	s_or_b32 exec_lo, exec_lo, s25
.LBB233_65:                             ;   in Loop: Header=BB233_4 Depth=1
	s_delay_alu instid0(SALU_CYCLE_1)
	s_or_b32 exec_lo, exec_lo, s24
	v_cmp_neq_f64_e32 vcc_lo, 0, v[14:15]
	v_cmp_neq_f64_e64 s6, 0, v[16:17]
	v_mov_b64_e32 v[2:3], 0
	v_mov_b64_e32 v[6:7], 0
	s_or_b32 s6, vcc_lo, s6
	s_delay_alu instid0(SALU_CYCLE_1)
	s_and_saveexec_b32 s24, s6
	s_cbranch_execz .LBB233_92
; %bb.66:                               ;   in Loop: Header=BB233_4 Depth=1
	v_mov_b64_e32 v[6:7], 0x7ff0000000000000
	s_mov_b32 s25, exec_lo
	v_cmpx_neq_f64_e64 0x7ff00000, |v[16:17]|
	s_cbranch_execz .LBB233_91
; %bb.67:                               ;   in Loop: Header=BB233_4 Depth=1
                                        ; implicit-def: $vgpr6_vgpr7
	s_mov_b32 s6, exec_lo
	v_cmpx_o_f64_e32 v[14:15], v[14:15]
	s_xor_b32 s26, exec_lo, s6
	s_cbranch_execz .LBB233_88
; %bb.68:                               ;   in Loop: Header=BB233_4 Depth=1
                                        ; implicit-def: $vgpr6_vgpr7
	s_mov_b32 s7, exec_lo
	v_cmpx_neq_f64_e64 0x7ff00000, |v[14:15]|
	s_xor_b32 s27, exec_lo, s7
	s_cbranch_execz .LBB233_81
; %bb.69:                               ;   in Loop: Header=BB233_4 Depth=1
	v_max_num_f64_e64 v[6:7], |v[14:15]|, |v[14:15]|
	v_max_num_f64_e64 v[22:23], |v[16:17]|, |v[16:17]|
                                        ; implicit-def: $sgpr28
	s_delay_alu instid0(VALU_DEP_1) | instskip(NEXT) | instid1(VALU_DEP_1)
	v_max_num_f64_e32 v[6:7], v[22:23], v[6:7]
	v_cmp_nle_f64_e64 s6, s[16:17], v[6:7]
	s_and_saveexec_b32 s7, s6
	s_delay_alu instid0(SALU_CYCLE_1)
	s_xor_b32 s7, exec_lo, s7
	s_cbranch_execz .LBB233_73
; %bb.70:                               ;   in Loop: Header=BB233_4 Depth=1
	v_cmp_ge_f64_e64 s28, 0x200000, |v[14:15]|
	v_cmp_ge_f64_e64 s29, 0x200000, |v[16:17]|
	s_and_b32 s30, s29, s28
	s_mov_b32 s28, 0
	s_and_saveexec_b32 s29, s30
	s_cbranch_execz .LBB233_72
; %bb.71:                               ;   in Loop: Header=BB233_4 Depth=1
	v_mul_f64_e32 v[14:15], 4.0, v[14:15]
	v_mul_f64_e32 v[16:17], 4.0, v[16:17]
	s_mov_b32 s28, exec_lo
.LBB233_72:                             ;   in Loop: Header=BB233_4 Depth=1
	s_or_b32 exec_lo, exec_lo, s29
.LBB233_73:                             ;   in Loop: Header=BB233_4 Depth=1
	s_and_not1_saveexec_b32 s7, s7
	s_cbranch_execz .LBB233_75
; %bb.74:                               ;   in Loop: Header=BB233_4 Depth=1
	s_delay_alu instid0(VALU_DEP_2) | instskip(NEXT) | instid1(VALU_DEP_2)
	v_ldexp_f64 v[14:15], v[14:15], -2
	v_ldexp_f64 v[16:17], v[16:17], -2
	s_and_not1_b32 s28, s28, exec_lo
.LBB233_75:                             ;   in Loop: Header=BB233_4 Depth=1
	s_or_b32 exec_lo, exec_lo, s7
	s_delay_alu instid0(VALU_DEP_1) | instskip(NEXT) | instid1(VALU_DEP_3)
	v_max_num_f64_e64 v[6:7], |v[16:17]|, |v[16:17]|
	v_max_num_f64_e64 v[22:23], |v[14:15]|, |v[14:15]|
	v_cmp_class_f64_e64 s29, v[14:15], 0x204
	v_cmp_class_f64_e64 s30, v[16:17], 0x204
	v_cmp_le_f64_e64 s7, 0, v[14:15]
	s_delay_alu instid0(VALU_DEP_4) | instskip(SKIP_1) | instid1(VALU_DEP_1)
	v_max_num_f64_e32 v[6:7], v[22:23], v[6:7]
	s_or_b32 s29, s30, s29
	v_frexp_exp_i32_f64_e32 v54, v[6:7]
	s_delay_alu instid0(VALU_DEP_1) | instskip(NEXT) | instid1(VALU_DEP_1)
	v_sub_nc_u32_e32 v22, 0, v54
	v_ldexp_f64 v[6:7], |v[16:17]|, v22
	v_ldexp_f64 v[22:23], |v[14:15]|, v22
	s_delay_alu instid0(VALU_DEP_2) | instskip(NEXT) | instid1(VALU_DEP_1)
	v_mul_f64_e32 v[6:7], v[6:7], v[6:7]
	v_fmac_f64_e32 v[6:7], v[22:23], v[22:23]
	s_delay_alu instid0(VALU_DEP_1) | instskip(SKIP_1) | instid1(TRANS32_DEP_1)
	v_rsq_f64_e32 v[22:23], v[6:7]
	v_cmp_eq_f64_e32 vcc_lo, 0, v[6:7]
	v_mul_f64_e32 v[50:51], v[6:7], v[22:23]
	v_mul_f64_e32 v[22:23], 0.5, v[22:23]
	s_delay_alu instid0(VALU_DEP_1) | instskip(NEXT) | instid1(VALU_DEP_1)
	v_fma_f64 v[52:53], -v[22:23], v[50:51], 0.5
	v_fmac_f64_e32 v[50:51], v[50:51], v[52:53]
	v_fmac_f64_e32 v[22:23], v[22:23], v[52:53]
	s_delay_alu instid0(VALU_DEP_2) | instskip(NEXT) | instid1(VALU_DEP_1)
	v_fma_f64 v[52:53], -v[50:51], v[50:51], v[6:7]
	v_fmac_f64_e32 v[50:51], v[52:53], v[22:23]
	s_delay_alu instid0(VALU_DEP_1) | instskip(SKIP_1) | instid1(VALU_DEP_2)
	v_dual_cndmask_b32 v7, v51, v7 :: v_dual_cndmask_b32 v6, v50, v6
	v_cmp_o_f64_e32 vcc_lo, v[16:17], v[16:17]
	v_ldexp_f64 v[6:7], v[6:7], v54
	s_delay_alu instid0(VALU_DEP_1) | instskip(NEXT) | instid1(VALU_DEP_2)
	v_cndmask_b32_e32 v6, 0, v6, vcc_lo
	v_cndmask_b32_e32 v7, 0x7ff80000, v7, vcc_lo
	s_delay_alu instid0(VALU_DEP_2) | instskip(NEXT) | instid1(VALU_DEP_2)
	v_cndmask_b32_e64 v22, v6, 0, s29
	v_cndmask_b32_e64 v23, v7, 0x7ff00000, s29
                                        ; implicit-def: $vgpr6_vgpr7
	s_and_saveexec_b32 s29, s7
	s_delay_alu instid0(SALU_CYCLE_1)
	s_xor_b32 s7, exec_lo, s29
	s_cbranch_execnz .LBB233_138
; %bb.76:                               ;   in Loop: Header=BB233_4 Depth=1
	s_and_not1_saveexec_b32 s7, s7
	s_cbranch_execnz .LBB233_139
.LBB233_77:                             ;   in Loop: Header=BB233_4 Depth=1
	s_or_b32 exec_lo, exec_lo, s7
	s_and_saveexec_b32 s7, s6
	s_delay_alu instid0(SALU_CYCLE_1)
	s_xor_b32 s6, exec_lo, s7
	s_cbranch_execnz .LBB233_140
.LBB233_78:                             ;   in Loop: Header=BB233_4 Depth=1
	s_and_not1_saveexec_b32 s6, s6
	s_cbranch_execz .LBB233_80
.LBB233_79:                             ;   in Loop: Header=BB233_4 Depth=1
	s_delay_alu instid0(VALU_DEP_2) | instskip(NEXT) | instid1(VALU_DEP_2)
	v_add_f64_e32 v[6:7], v[6:7], v[6:7]
	v_add_f64_e32 v[16:17], v[16:17], v[16:17]
.LBB233_80:                             ;   in Loop: Header=BB233_4 Depth=1
	s_or_b32 exec_lo, exec_lo, s6
.LBB233_81:                             ;   in Loop: Header=BB233_4 Depth=1
	s_and_not1_saveexec_b32 s6, s27
	s_cbranch_execz .LBB233_87
; %bb.82:                               ;   in Loop: Header=BB233_4 Depth=1
	s_delay_alu instid0(VALU_DEP_1) | instskip(SKIP_1) | instid1(VALU_DEP_1)
	v_add_f64_e64 v[22:23], v[16:17], -v[16:17]
	s_mov_b32 s7, exec_lo
	v_and_b32_e32 v7, 0x7fffffff, v23
	s_delay_alu instid0(VALU_DEP_2)
	v_mov_b32_e32 v6, v22
	v_cmpx_lt_i64_e32 -1, v[14:15]
	s_xor_b32 s7, exec_lo, s7
; %bb.83:                               ;   in Loop: Header=BB233_4 Depth=1
	v_bfi_b32 v23, 0x7fffffff, v23, v17
	v_mov_b64_e32 v[6:7], v[14:15]
	s_delay_alu instid0(VALU_DEP_2)
	v_mov_b64_e32 v[16:17], v[22:23]
; %bb.84:                               ;   in Loop: Header=BB233_4 Depth=1
	s_and_not1_saveexec_b32 s7, s7
; %bb.85:                               ;   in Loop: Header=BB233_4 Depth=1
	s_delay_alu instid0(VALU_DEP_1) | instskip(NEXT) | instid1(VALU_DEP_1)
	v_bfi_b32 v15, 0x7fffffff, v15, v17
	v_mov_b64_e32 v[16:17], v[14:15]
; %bb.86:                               ;   in Loop: Header=BB233_4 Depth=1
	s_or_b32 exec_lo, exec_lo, s7
.LBB233_87:                             ;   in Loop: Header=BB233_4 Depth=1
	s_delay_alu instid0(SALU_CYCLE_1)
	s_or_b32 exec_lo, exec_lo, s6
.LBB233_88:                             ;   in Loop: Header=BB233_4 Depth=1
	s_and_not1_saveexec_b32 s6, s26
	s_cbranch_execz .LBB233_90
; %bb.89:                               ;   in Loop: Header=BB233_4 Depth=1
	s_delay_alu instid0(VALU_DEP_1) | instskip(NEXT) | instid1(VALU_DEP_1)
	v_add_f64_e64 v[6:7], v[16:17], -v[16:17]
	v_div_scale_f64 v[16:17], vcc_lo, v[6:7], v[6:7], v[6:7]
	s_delay_alu instid0(VALU_DEP_1) | instskip(SKIP_1) | instid1(TRANS32_DEP_1)
	v_rcp_f64_e32 v[22:23], v[16:17]
	v_nop
	v_fma_f64 v[50:51], -v[16:17], v[22:23], 1.0
	s_delay_alu instid0(VALU_DEP_1) | instskip(NEXT) | instid1(VALU_DEP_1)
	v_fmac_f64_e32 v[22:23], v[22:23], v[50:51]
	v_fma_f64 v[50:51], -v[16:17], v[22:23], 1.0
	s_delay_alu instid0(VALU_DEP_1) | instskip(NEXT) | instid1(VALU_DEP_1)
	v_fmac_f64_e32 v[22:23], v[22:23], v[50:51]
	v_mul_f64_e32 v[50:51], v[16:17], v[22:23]
	s_delay_alu instid0(VALU_DEP_1) | instskip(NEXT) | instid1(VALU_DEP_1)
	v_fma_f64 v[16:17], -v[16:17], v[50:51], v[16:17]
	v_div_fmas_f64 v[16:17], v[16:17], v[22:23], v[50:51]
	s_delay_alu instid0(VALU_DEP_1)
	v_div_fixup_f64 v[16:17], v[16:17], v[6:7], v[6:7]
	v_mov_b64_e32 v[6:7], v[14:15]
.LBB233_90:                             ;   in Loop: Header=BB233_4 Depth=1
	s_or_b32 exec_lo, exec_lo, s6
.LBB233_91:                             ;   in Loop: Header=BB233_4 Depth=1
	s_delay_alu instid0(SALU_CYCLE_1)
	s_or_b32 exec_lo, exec_lo, s25
.LBB233_92:                             ;   in Loop: Header=BB233_4 Depth=1
	s_delay_alu instid0(SALU_CYCLE_1) | instskip(SKIP_3) | instid1(SALU_CYCLE_1)
	s_or_b32 exec_lo, exec_lo, s24
	v_cmp_neq_f64_e32 vcc_lo, 0, v[10:11]
	v_cmp_neq_f64_e64 s6, 0, v[12:13]
	s_or_b32 s6, vcc_lo, s6
	s_and_saveexec_b32 s24, s6
	s_cbranch_execnz .LBB233_97
; %bb.93:                               ;   in Loop: Header=BB233_4 Depth=1
	s_or_b32 exec_lo, exec_lo, s24
	s_and_saveexec_b32 s6, s2
	s_delay_alu instid0(SALU_CYCLE_1)
	s_xor_b32 s2, exec_lo, s6
	s_cbranch_execnz .LBB233_123
.LBB233_94:                             ;   in Loop: Header=BB233_4 Depth=1
	s_or_b32 exec_lo, exec_lo, s2
	s_and_saveexec_b32 s2, s3
	s_cbranch_execnz .LBB233_124
.LBB233_95:                             ;   in Loop: Header=BB233_4 Depth=1
	s_or_b32 exec_lo, exec_lo, s2
	s_and_saveexec_b32 s2, s4
	s_cbranch_execnz .LBB233_125
.LBB233_96:                             ;   in Loop: Header=BB233_4 Depth=1
	s_or_b32 exec_lo, exec_lo, s2
	s_and_saveexec_b32 s2, s5
	s_cbranch_execz .LBB233_3
	s_branch .LBB233_126
.LBB233_97:                             ;   in Loop: Header=BB233_4 Depth=1
	v_mov_b64_e32 v[2:3], 0x7ff0000000000000
	s_mov_b32 s25, exec_lo
	v_cmpx_neq_f64_e64 0x7ff00000, |v[12:13]|
	s_cbranch_execz .LBB233_122
; %bb.98:                               ;   in Loop: Header=BB233_4 Depth=1
                                        ; implicit-def: $vgpr2_vgpr3
	s_mov_b32 s6, exec_lo
	v_cmpx_o_f64_e32 v[10:11], v[10:11]
	s_xor_b32 s26, exec_lo, s6
	s_cbranch_execz .LBB233_119
; %bb.99:                               ;   in Loop: Header=BB233_4 Depth=1
                                        ; implicit-def: $vgpr2_vgpr3
	s_mov_b32 s7, exec_lo
	v_cmpx_neq_f64_e64 0x7ff00000, |v[10:11]|
	s_xor_b32 s27, exec_lo, s7
	s_cbranch_execz .LBB233_112
; %bb.100:                              ;   in Loop: Header=BB233_4 Depth=1
	v_max_num_f64_e64 v[2:3], |v[10:11]|, |v[10:11]|
	v_max_num_f64_e64 v[14:15], |v[12:13]|, |v[12:13]|
                                        ; implicit-def: $sgpr28
	s_delay_alu instid0(VALU_DEP_1) | instskip(NEXT) | instid1(VALU_DEP_1)
	v_max_num_f64_e32 v[2:3], v[14:15], v[2:3]
	v_cmp_nle_f64_e64 s6, s[16:17], v[2:3]
	s_and_saveexec_b32 s7, s6
	s_delay_alu instid0(SALU_CYCLE_1)
	s_xor_b32 s7, exec_lo, s7
	s_cbranch_execz .LBB233_104
; %bb.101:                              ;   in Loop: Header=BB233_4 Depth=1
	v_cmp_ge_f64_e64 s28, 0x200000, |v[10:11]|
	v_cmp_ge_f64_e64 s29, 0x200000, |v[12:13]|
	s_and_b32 s30, s29, s28
	s_mov_b32 s28, 0
	s_and_saveexec_b32 s29, s30
	s_cbranch_execz .LBB233_103
; %bb.102:                              ;   in Loop: Header=BB233_4 Depth=1
	v_mul_f64_e32 v[10:11], 4.0, v[10:11]
	v_mul_f64_e32 v[12:13], 4.0, v[12:13]
	s_mov_b32 s28, exec_lo
.LBB233_103:                            ;   in Loop: Header=BB233_4 Depth=1
	s_or_b32 exec_lo, exec_lo, s29
.LBB233_104:                            ;   in Loop: Header=BB233_4 Depth=1
	s_and_not1_saveexec_b32 s7, s7
	s_cbranch_execz .LBB233_106
; %bb.105:                              ;   in Loop: Header=BB233_4 Depth=1
	s_delay_alu instid0(VALU_DEP_2) | instskip(NEXT) | instid1(VALU_DEP_2)
	v_ldexp_f64 v[10:11], v[10:11], -2
	v_ldexp_f64 v[12:13], v[12:13], -2
	s_and_not1_b32 s28, s28, exec_lo
.LBB233_106:                            ;   in Loop: Header=BB233_4 Depth=1
	s_or_b32 exec_lo, exec_lo, s7
	s_delay_alu instid0(VALU_DEP_1) | instskip(NEXT) | instid1(VALU_DEP_3)
	v_max_num_f64_e64 v[2:3], |v[12:13]|, |v[12:13]|
	v_max_num_f64_e64 v[14:15], |v[10:11]|, |v[10:11]|
	v_cmp_class_f64_e64 s29, v[10:11], 0x204
	v_cmp_class_f64_e64 s30, v[12:13], 0x204
	v_cmp_le_f64_e64 s7, 0, v[10:11]
	s_delay_alu instid0(VALU_DEP_4) | instskip(SKIP_1) | instid1(VALU_DEP_1)
	v_max_num_f64_e32 v[2:3], v[14:15], v[2:3]
	s_or_b32 s29, s30, s29
	v_frexp_exp_i32_f64_e32 v52, v[2:3]
	s_delay_alu instid0(VALU_DEP_1) | instskip(NEXT) | instid1(VALU_DEP_1)
	v_sub_nc_u32_e32 v14, 0, v52
	v_ldexp_f64 v[2:3], |v[12:13]|, v14
	v_ldexp_f64 v[14:15], |v[10:11]|, v14
	s_delay_alu instid0(VALU_DEP_2) | instskip(NEXT) | instid1(VALU_DEP_1)
	v_mul_f64_e32 v[2:3], v[2:3], v[2:3]
	v_fmac_f64_e32 v[2:3], v[14:15], v[14:15]
	s_delay_alu instid0(VALU_DEP_1) | instskip(SKIP_1) | instid1(TRANS32_DEP_1)
	v_rsq_f64_e32 v[14:15], v[2:3]
	v_cmp_eq_f64_e32 vcc_lo, 0, v[2:3]
	v_mul_f64_e32 v[22:23], v[2:3], v[14:15]
	v_mul_f64_e32 v[14:15], 0.5, v[14:15]
	s_delay_alu instid0(VALU_DEP_1) | instskip(NEXT) | instid1(VALU_DEP_1)
	v_fma_f64 v[50:51], -v[14:15], v[22:23], 0.5
	v_fmac_f64_e32 v[22:23], v[22:23], v[50:51]
	v_fmac_f64_e32 v[14:15], v[14:15], v[50:51]
	s_delay_alu instid0(VALU_DEP_2) | instskip(NEXT) | instid1(VALU_DEP_1)
	v_fma_f64 v[50:51], -v[22:23], v[22:23], v[2:3]
	v_fmac_f64_e32 v[22:23], v[50:51], v[14:15]
	s_delay_alu instid0(VALU_DEP_1) | instskip(SKIP_1) | instid1(VALU_DEP_2)
	v_dual_cndmask_b32 v3, v23, v3 :: v_dual_cndmask_b32 v2, v22, v2
	v_cmp_o_f64_e32 vcc_lo, v[12:13], v[12:13]
	v_ldexp_f64 v[2:3], v[2:3], v52
	s_delay_alu instid0(VALU_DEP_1) | instskip(NEXT) | instid1(VALU_DEP_2)
	v_cndmask_b32_e32 v2, 0, v2, vcc_lo
	v_cndmask_b32_e32 v3, 0x7ff80000, v3, vcc_lo
	s_delay_alu instid0(VALU_DEP_2) | instskip(NEXT) | instid1(VALU_DEP_2)
	v_cndmask_b32_e64 v14, v2, 0, s29
	v_cndmask_b32_e64 v15, v3, 0x7ff00000, s29
                                        ; implicit-def: $vgpr2_vgpr3
	s_and_saveexec_b32 s29, s7
	s_delay_alu instid0(SALU_CYCLE_1)
	s_xor_b32 s7, exec_lo, s29
	s_cbranch_execnz .LBB233_143
; %bb.107:                              ;   in Loop: Header=BB233_4 Depth=1
	s_and_not1_saveexec_b32 s7, s7
	s_cbranch_execnz .LBB233_144
.LBB233_108:                            ;   in Loop: Header=BB233_4 Depth=1
	s_or_b32 exec_lo, exec_lo, s7
	s_and_saveexec_b32 s7, s6
	s_delay_alu instid0(SALU_CYCLE_1)
	s_xor_b32 s6, exec_lo, s7
	s_cbranch_execnz .LBB233_145
.LBB233_109:                            ;   in Loop: Header=BB233_4 Depth=1
	s_and_not1_saveexec_b32 s6, s6
	s_cbranch_execz .LBB233_111
.LBB233_110:                            ;   in Loop: Header=BB233_4 Depth=1
	s_delay_alu instid0(VALU_DEP_2) | instskip(NEXT) | instid1(VALU_DEP_2)
	v_add_f64_e32 v[2:3], v[2:3], v[2:3]
	v_add_f64_e32 v[12:13], v[12:13], v[12:13]
.LBB233_111:                            ;   in Loop: Header=BB233_4 Depth=1
	s_or_b32 exec_lo, exec_lo, s6
.LBB233_112:                            ;   in Loop: Header=BB233_4 Depth=1
	s_and_not1_saveexec_b32 s6, s27
	s_cbranch_execz .LBB233_118
; %bb.113:                              ;   in Loop: Header=BB233_4 Depth=1
	s_delay_alu instid0(VALU_DEP_1) | instskip(SKIP_1) | instid1(VALU_DEP_1)
	v_add_f64_e64 v[14:15], v[12:13], -v[12:13]
	s_mov_b32 s7, exec_lo
	v_and_b32_e32 v3, 0x7fffffff, v15
	s_delay_alu instid0(VALU_DEP_2)
	v_mov_b32_e32 v2, v14
	v_cmpx_lt_i64_e32 -1, v[10:11]
	s_xor_b32 s7, exec_lo, s7
; %bb.114:                              ;   in Loop: Header=BB233_4 Depth=1
	v_bfi_b32 v15, 0x7fffffff, v15, v13
	v_mov_b64_e32 v[2:3], v[10:11]
	s_delay_alu instid0(VALU_DEP_2)
	v_mov_b64_e32 v[12:13], v[14:15]
; %bb.115:                              ;   in Loop: Header=BB233_4 Depth=1
	s_and_not1_saveexec_b32 s7, s7
; %bb.116:                              ;   in Loop: Header=BB233_4 Depth=1
	s_delay_alu instid0(VALU_DEP_1) | instskip(NEXT) | instid1(VALU_DEP_1)
	v_bfi_b32 v11, 0x7fffffff, v11, v13
	v_mov_b64_e32 v[12:13], v[10:11]
; %bb.117:                              ;   in Loop: Header=BB233_4 Depth=1
	s_or_b32 exec_lo, exec_lo, s7
.LBB233_118:                            ;   in Loop: Header=BB233_4 Depth=1
	s_delay_alu instid0(SALU_CYCLE_1)
	s_or_b32 exec_lo, exec_lo, s6
.LBB233_119:                            ;   in Loop: Header=BB233_4 Depth=1
	s_and_not1_saveexec_b32 s6, s26
	s_cbranch_execz .LBB233_121
; %bb.120:                              ;   in Loop: Header=BB233_4 Depth=1
	s_delay_alu instid0(VALU_DEP_1) | instskip(NEXT) | instid1(VALU_DEP_1)
	v_add_f64_e64 v[2:3], v[12:13], -v[12:13]
	v_div_scale_f64 v[12:13], vcc_lo, v[2:3], v[2:3], v[2:3]
	s_delay_alu instid0(VALU_DEP_1) | instskip(SKIP_1) | instid1(TRANS32_DEP_1)
	v_rcp_f64_e32 v[14:15], v[12:13]
	v_nop
	v_fma_f64 v[22:23], -v[12:13], v[14:15], 1.0
	s_delay_alu instid0(VALU_DEP_1) | instskip(NEXT) | instid1(VALU_DEP_1)
	v_fmac_f64_e32 v[14:15], v[14:15], v[22:23]
	v_fma_f64 v[22:23], -v[12:13], v[14:15], 1.0
	s_delay_alu instid0(VALU_DEP_1) | instskip(NEXT) | instid1(VALU_DEP_1)
	v_fmac_f64_e32 v[14:15], v[14:15], v[22:23]
	v_mul_f64_e32 v[22:23], v[12:13], v[14:15]
	s_delay_alu instid0(VALU_DEP_1) | instskip(NEXT) | instid1(VALU_DEP_1)
	v_fma_f64 v[12:13], -v[12:13], v[22:23], v[12:13]
	v_div_fmas_f64 v[12:13], v[12:13], v[14:15], v[22:23]
	s_delay_alu instid0(VALU_DEP_1)
	v_div_fixup_f64 v[12:13], v[12:13], v[2:3], v[2:3]
	v_mov_b64_e32 v[2:3], v[10:11]
.LBB233_121:                            ;   in Loop: Header=BB233_4 Depth=1
	s_or_b32 exec_lo, exec_lo, s6
.LBB233_122:                            ;   in Loop: Header=BB233_4 Depth=1
	s_delay_alu instid0(SALU_CYCLE_1) | instskip(NEXT) | instid1(SALU_CYCLE_1)
	s_or_b32 exec_lo, exec_lo, s25
	s_or_b32 exec_lo, exec_lo, s24
	s_and_saveexec_b32 s6, s2
	s_delay_alu instid0(SALU_CYCLE_1)
	s_xor_b32 s2, exec_lo, s6
	s_cbranch_execz .LBB233_94
.LBB233_123:                            ;   in Loop: Header=BB233_4 Depth=1
	v_dual_mov_b32 v22, v8 :: v_dual_mov_b32 v23, v9
	global_store_b128 v[42:43], v[20:23], off
	s_wait_xcnt 0x0
	s_or_b32 exec_lo, exec_lo, s2
	s_and_saveexec_b32 s2, s3
	s_cbranch_execz .LBB233_95
.LBB233_124:                            ;   in Loop: Header=BB233_4 Depth=1
	v_dual_mov_b32 v20, v4 :: v_dual_mov_b32 v21, v5
	global_store_b128 v[44:45], v[18:21], off
	s_wait_xcnt 0x0
	s_or_b32 exec_lo, exec_lo, s2
	s_and_saveexec_b32 s2, s4
	s_cbranch_execz .LBB233_96
.LBB233_125:                            ;   in Loop: Header=BB233_4 Depth=1
	v_dual_mov_b32 v8, v16 :: v_dual_mov_b32 v9, v17
	global_store_b128 v[46:47], v[6:9], off offset:-8
	s_wait_xcnt 0x0
	s_or_b32 exec_lo, exec_lo, s2
	s_and_saveexec_b32 s2, s5
	s_cbranch_execz .LBB233_3
.LBB233_126:                            ;   in Loop: Header=BB233_4 Depth=1
	s_delay_alu instid0(VALU_DEP_1)
	v_dual_mov_b32 v4, v12 :: v_dual_mov_b32 v5, v13
	global_store_b128 v[48:49], v[2:5], off offset:-8
	s_branch .LBB233_3
.LBB233_127:                            ;   in Loop: Header=BB233_4 Depth=1
	s_or_b32 exec_lo, exec_lo, s6
	s_and_not1_saveexec_b32 s6, s26
	s_cbranch_execnz .LBB233_35
	s_branch .LBB233_36
.LBB233_128:                            ;   in Loop: Header=BB233_4 Depth=1
	s_delay_alu instid0(VALU_DEP_1) | instskip(NEXT) | instid1(VALU_DEP_1)
	v_add_f64_e32 v[6:7], v[6:7], v[22:23]
	v_mul_f64_e32 v[6:7], 0.5, v[6:7]
	s_delay_alu instid0(VALU_DEP_1) | instskip(SKIP_1) | instid1(VALU_DEP_1)
	v_cmp_gt_f64_e32 vcc_lo, 0x10000000, v[6:7]
	v_cndmask_b32_e64 v20, 0, 0x100, vcc_lo
	v_ldexp_f64 v[6:7], v[6:7], v20
	s_delay_alu instid0(VALU_DEP_1) | instskip(SKIP_1) | instid1(TRANS32_DEP_1)
	v_rsq_f64_e32 v[20:21], v[6:7]
	v_nop
	v_mul_f64_e32 v[22:23], v[6:7], v[20:21]
	v_mul_f64_e32 v[20:21], 0.5, v[20:21]
	s_delay_alu instid0(VALU_DEP_1) | instskip(NEXT) | instid1(VALU_DEP_1)
	v_fma_f64 v[50:51], -v[20:21], v[22:23], 0.5
	v_fmac_f64_e32 v[22:23], v[22:23], v[50:51]
	v_fmac_f64_e32 v[20:21], v[20:21], v[50:51]
	s_delay_alu instid0(VALU_DEP_2) | instskip(NEXT) | instid1(VALU_DEP_1)
	v_fma_f64 v[50:51], -v[22:23], v[22:23], v[6:7]
	v_fmac_f64_e32 v[22:23], v[50:51], v[20:21]
	s_delay_alu instid0(VALU_DEP_1) | instskip(NEXT) | instid1(VALU_DEP_1)
	v_fma_f64 v[50:51], -v[22:23], v[22:23], v[6:7]
	v_fmac_f64_e32 v[22:23], v[50:51], v[20:21]
	v_cndmask_b32_e64 v20, 0, 0xffffff80, vcc_lo
	v_cmp_class_f64_e64 vcc_lo, v[6:7], 0x260
	s_delay_alu instid0(VALU_DEP_2) | instskip(NEXT) | instid1(VALU_DEP_1)
	v_ldexp_f64 v[20:21], v[22:23], v20
	v_dual_cndmask_b32 v21, v21, v7 :: v_dual_cndmask_b32 v20, v20, v6
	s_delay_alu instid0(VALU_DEP_1) | instskip(NEXT) | instid1(VALU_DEP_1)
	v_add_f64_e32 v[6:7], v[20:21], v[20:21]
	v_div_scale_f64 v[22:23], null, v[6:7], v[6:7], v[8:9]
	s_delay_alu instid0(VALU_DEP_1) | instskip(SKIP_1) | instid1(TRANS32_DEP_1)
	v_rcp_f64_e32 v[50:51], v[22:23]
	v_nop
	v_fma_f64 v[52:53], -v[22:23], v[50:51], 1.0
	s_delay_alu instid0(VALU_DEP_1) | instskip(NEXT) | instid1(VALU_DEP_1)
	v_fmac_f64_e32 v[50:51], v[50:51], v[52:53]
	v_fma_f64 v[52:53], -v[22:23], v[50:51], 1.0
	s_delay_alu instid0(VALU_DEP_1) | instskip(SKIP_1) | instid1(VALU_DEP_1)
	v_fmac_f64_e32 v[50:51], v[50:51], v[52:53]
	v_div_scale_f64 v[52:53], vcc_lo, v[8:9], v[6:7], v[8:9]
	v_mul_f64_e32 v[54:55], v[52:53], v[50:51]
	s_delay_alu instid0(VALU_DEP_1) | instskip(NEXT) | instid1(VALU_DEP_1)
	v_fma_f64 v[22:23], -v[22:23], v[54:55], v[52:53]
	v_div_fmas_f64 v[22:23], v[22:23], v[50:51], v[54:55]
	s_delay_alu instid0(VALU_DEP_1)
	v_div_fixup_f64 v[8:9], v[22:23], v[6:7], v[8:9]
                                        ; implicit-def: $vgpr22_vgpr23
	s_and_not1_saveexec_b32 s7, s7
	s_cbranch_execz .LBB233_24
.LBB233_129:                            ;   in Loop: Header=BB233_4 Depth=1
	v_add_f64_e64 v[6:7], v[22:23], -v[6:7]
	s_delay_alu instid0(VALU_DEP_1) | instskip(NEXT) | instid1(VALU_DEP_1)
	v_mul_f64_e32 v[6:7], 0.5, v[6:7]
	v_cmp_gt_f64_e32 vcc_lo, 0x10000000, v[6:7]
	v_cndmask_b32_e64 v20, 0, 0x100, vcc_lo
	s_delay_alu instid0(VALU_DEP_1) | instskip(NEXT) | instid1(VALU_DEP_1)
	v_ldexp_f64 v[6:7], v[6:7], v20
	v_rsq_f64_e32 v[20:21], v[6:7]
	v_nop
	s_delay_alu instid0(TRANS32_DEP_1) | instskip(SKIP_1) | instid1(VALU_DEP_1)
	v_mul_f64_e32 v[22:23], v[6:7], v[20:21]
	v_mul_f64_e32 v[20:21], 0.5, v[20:21]
	v_fma_f64 v[50:51], -v[20:21], v[22:23], 0.5
	s_delay_alu instid0(VALU_DEP_1) | instskip(SKIP_1) | instid1(VALU_DEP_2)
	v_fmac_f64_e32 v[22:23], v[22:23], v[50:51]
	v_fmac_f64_e32 v[20:21], v[20:21], v[50:51]
	v_fma_f64 v[50:51], -v[22:23], v[22:23], v[6:7]
	s_delay_alu instid0(VALU_DEP_1) | instskip(NEXT) | instid1(VALU_DEP_1)
	v_fmac_f64_e32 v[22:23], v[50:51], v[20:21]
	v_fma_f64 v[50:51], -v[22:23], v[22:23], v[6:7]
	s_delay_alu instid0(VALU_DEP_1) | instskip(SKIP_2) | instid1(VALU_DEP_2)
	v_fmac_f64_e32 v[22:23], v[50:51], v[20:21]
	v_cndmask_b32_e64 v20, 0, 0xffffff80, vcc_lo
	v_cmp_class_f64_e64 vcc_lo, v[6:7], 0x260
	v_ldexp_f64 v[20:21], v[22:23], v20
	v_and_b32_e32 v23, 0x7fffffff, v9
	s_delay_alu instid0(VALU_DEP_2) | instskip(NEXT) | instid1(VALU_DEP_3)
	v_dual_mov_b32 v22, v8 :: v_dual_cndmask_b32 v7, v21, v7
	v_cndmask_b32_e32 v6, v20, v6, vcc_lo
	s_delay_alu instid0(VALU_DEP_1) | instskip(SKIP_1) | instid1(VALU_DEP_2)
	v_add_f64_e32 v[20:21], v[6:7], v[6:7]
	v_bfi_b32 v7, 0x7fffffff, v7, v9
	v_div_scale_f64 v[50:51], null, v[20:21], v[20:21], v[22:23]
	v_div_scale_f64 v[22:23], vcc_lo, v[22:23], v[20:21], v[22:23]
	s_delay_alu instid0(VALU_DEP_2) | instskip(SKIP_1) | instid1(TRANS32_DEP_1)
	v_rcp_f64_e32 v[52:53], v[50:51]
	v_nop
	v_fma_f64 v[54:55], -v[50:51], v[52:53], 1.0
	s_delay_alu instid0(VALU_DEP_1) | instskip(NEXT) | instid1(VALU_DEP_1)
	v_fmac_f64_e32 v[52:53], v[52:53], v[54:55]
	v_fma_f64 v[54:55], -v[50:51], v[52:53], 1.0
	s_delay_alu instid0(VALU_DEP_1) | instskip(NEXT) | instid1(VALU_DEP_1)
	v_fmac_f64_e32 v[52:53], v[52:53], v[54:55]
	v_mul_f64_e32 v[54:55], v[22:23], v[52:53]
	s_delay_alu instid0(VALU_DEP_1) | instskip(NEXT) | instid1(VALU_DEP_1)
	v_fma_f64 v[22:23], -v[50:51], v[54:55], v[22:23]
	v_div_fmas_f64 v[22:23], v[22:23], v[52:53], v[54:55]
	s_delay_alu instid0(VALU_DEP_1) | instskip(SKIP_3) | instid1(SALU_CYCLE_1)
	v_div_fixup_f64 v[20:21], v[22:23], v[20:21], |v[8:9]|
	v_mov_b64_e32 v[8:9], v[6:7]
	s_or_b32 exec_lo, exec_lo, s7
	s_and_saveexec_b32 s7, s6
	s_xor_b32 s6, exec_lo, s7
	s_cbranch_execz .LBB233_25
.LBB233_130:                            ;   in Loop: Header=BB233_4 Depth=1
	s_and_saveexec_b32 s7, s28
	s_cbranch_execz .LBB233_132
; %bb.131:                              ;   in Loop: Header=BB233_4 Depth=1
	s_delay_alu instid0(VALU_DEP_2) | instskip(NEXT) | instid1(VALU_DEP_2)
	v_mul_f64_e32 v[20:21], 0.5, v[20:21]
	v_mul_f64_e32 v[8:9], 0.5, v[8:9]
.LBB233_132:                            ;   in Loop: Header=BB233_4 Depth=1
	s_or_b32 exec_lo, exec_lo, s7
	s_and_not1_saveexec_b32 s6, s6
	s_cbranch_execnz .LBB233_26
	s_branch .LBB233_27
.LBB233_133:                            ;   in Loop: Header=BB233_4 Depth=1
	s_delay_alu instid0(VALU_DEP_1) | instskip(NEXT) | instid1(VALU_DEP_1)
	v_add_f64_e32 v[2:3], v[2:3], v[6:7]
	v_mul_f64_e32 v[2:3], 0.5, v[2:3]
	s_delay_alu instid0(VALU_DEP_1) | instskip(SKIP_1) | instid1(VALU_DEP_1)
	v_cmp_gt_f64_e32 vcc_lo, 0x10000000, v[2:3]
	v_cndmask_b32_e64 v6, 0, 0x100, vcc_lo
	v_ldexp_f64 v[2:3], v[2:3], v6
	s_delay_alu instid0(VALU_DEP_1) | instskip(SKIP_1) | instid1(TRANS32_DEP_1)
	v_rsq_f64_e32 v[6:7], v[2:3]
	v_nop
	v_mul_f64_e32 v[18:19], v[2:3], v[6:7]
	v_mul_f64_e32 v[6:7], 0.5, v[6:7]
	s_delay_alu instid0(VALU_DEP_1) | instskip(NEXT) | instid1(VALU_DEP_1)
	v_fma_f64 v[22:23], -v[6:7], v[18:19], 0.5
	v_fmac_f64_e32 v[18:19], v[18:19], v[22:23]
	v_fmac_f64_e32 v[6:7], v[6:7], v[22:23]
	s_delay_alu instid0(VALU_DEP_2) | instskip(NEXT) | instid1(VALU_DEP_1)
	v_fma_f64 v[22:23], -v[18:19], v[18:19], v[2:3]
	v_fmac_f64_e32 v[18:19], v[22:23], v[6:7]
	s_delay_alu instid0(VALU_DEP_1) | instskip(NEXT) | instid1(VALU_DEP_1)
	v_fma_f64 v[22:23], -v[18:19], v[18:19], v[2:3]
	v_fmac_f64_e32 v[18:19], v[22:23], v[6:7]
	v_cndmask_b32_e64 v6, 0, 0xffffff80, vcc_lo
	v_cmp_class_f64_e64 vcc_lo, v[2:3], 0x260
	s_delay_alu instid0(VALU_DEP_2) | instskip(NEXT) | instid1(VALU_DEP_1)
	v_ldexp_f64 v[6:7], v[18:19], v6
	v_dual_cndmask_b32 v19, v7, v3 :: v_dual_cndmask_b32 v18, v6, v2
	s_delay_alu instid0(VALU_DEP_1) | instskip(NEXT) | instid1(VALU_DEP_1)
	v_add_f64_e32 v[2:3], v[18:19], v[18:19]
	v_div_scale_f64 v[6:7], null, v[2:3], v[2:3], v[4:5]
	s_delay_alu instid0(VALU_DEP_1) | instskip(SKIP_1) | instid1(TRANS32_DEP_1)
	v_rcp_f64_e32 v[22:23], v[6:7]
	v_nop
	v_fma_f64 v[50:51], -v[6:7], v[22:23], 1.0
	s_delay_alu instid0(VALU_DEP_1) | instskip(NEXT) | instid1(VALU_DEP_1)
	v_fmac_f64_e32 v[22:23], v[22:23], v[50:51]
	v_fma_f64 v[50:51], -v[6:7], v[22:23], 1.0
	s_delay_alu instid0(VALU_DEP_1) | instskip(SKIP_1) | instid1(VALU_DEP_1)
	v_fmac_f64_e32 v[22:23], v[22:23], v[50:51]
	v_div_scale_f64 v[50:51], vcc_lo, v[4:5], v[2:3], v[4:5]
	v_mul_f64_e32 v[52:53], v[50:51], v[22:23]
	s_delay_alu instid0(VALU_DEP_1) | instskip(NEXT) | instid1(VALU_DEP_1)
	v_fma_f64 v[6:7], -v[6:7], v[52:53], v[50:51]
	v_div_fmas_f64 v[6:7], v[6:7], v[22:23], v[52:53]
	s_delay_alu instid0(VALU_DEP_1)
	v_div_fixup_f64 v[4:5], v[6:7], v[2:3], v[4:5]
                                        ; implicit-def: $vgpr6_vgpr7
	s_and_not1_saveexec_b32 s7, s7
	s_cbranch_execz .LBB233_50
.LBB233_134:                            ;   in Loop: Header=BB233_4 Depth=1
	v_add_f64_e64 v[2:3], v[6:7], -v[2:3]
	s_delay_alu instid0(VALU_DEP_1) | instskip(NEXT) | instid1(VALU_DEP_1)
	v_mul_f64_e32 v[2:3], 0.5, v[2:3]
	v_cmp_gt_f64_e32 vcc_lo, 0x10000000, v[2:3]
	v_cndmask_b32_e64 v6, 0, 0x100, vcc_lo
	s_delay_alu instid0(VALU_DEP_1) | instskip(NEXT) | instid1(VALU_DEP_1)
	v_ldexp_f64 v[2:3], v[2:3], v6
	v_rsq_f64_e32 v[6:7], v[2:3]
	v_nop
	s_delay_alu instid0(TRANS32_DEP_1) | instskip(SKIP_1) | instid1(VALU_DEP_1)
	v_mul_f64_e32 v[18:19], v[2:3], v[6:7]
	v_mul_f64_e32 v[6:7], 0.5, v[6:7]
	v_fma_f64 v[22:23], -v[6:7], v[18:19], 0.5
	s_delay_alu instid0(VALU_DEP_1) | instskip(SKIP_1) | instid1(VALU_DEP_2)
	v_fmac_f64_e32 v[18:19], v[18:19], v[22:23]
	v_fmac_f64_e32 v[6:7], v[6:7], v[22:23]
	v_fma_f64 v[22:23], -v[18:19], v[18:19], v[2:3]
	s_delay_alu instid0(VALU_DEP_1) | instskip(NEXT) | instid1(VALU_DEP_1)
	v_fmac_f64_e32 v[18:19], v[22:23], v[6:7]
	v_fma_f64 v[22:23], -v[18:19], v[18:19], v[2:3]
	s_delay_alu instid0(VALU_DEP_1) | instskip(SKIP_2) | instid1(VALU_DEP_2)
	v_fmac_f64_e32 v[18:19], v[22:23], v[6:7]
	v_cndmask_b32_e64 v6, 0, 0xffffff80, vcc_lo
	v_cmp_class_f64_e64 vcc_lo, v[2:3], 0x260
	v_ldexp_f64 v[6:7], v[18:19], v6
	v_and_b32_e32 v19, 0x7fffffff, v5
	s_delay_alu instid0(VALU_DEP_2) | instskip(NEXT) | instid1(VALU_DEP_3)
	v_dual_mov_b32 v18, v4 :: v_dual_cndmask_b32 v3, v7, v3
	v_cndmask_b32_e32 v2, v6, v2, vcc_lo
	s_delay_alu instid0(VALU_DEP_1) | instskip(SKIP_1) | instid1(VALU_DEP_2)
	v_add_f64_e32 v[6:7], v[2:3], v[2:3]
	v_bfi_b32 v3, 0x7fffffff, v3, v5
	v_div_scale_f64 v[22:23], null, v[6:7], v[6:7], v[18:19]
	v_div_scale_f64 v[18:19], vcc_lo, v[18:19], v[6:7], v[18:19]
	s_delay_alu instid0(VALU_DEP_2) | instskip(SKIP_1) | instid1(TRANS32_DEP_1)
	v_rcp_f64_e32 v[50:51], v[22:23]
	v_nop
	v_fma_f64 v[52:53], -v[22:23], v[50:51], 1.0
	s_delay_alu instid0(VALU_DEP_1) | instskip(NEXT) | instid1(VALU_DEP_1)
	v_fmac_f64_e32 v[50:51], v[50:51], v[52:53]
	v_fma_f64 v[52:53], -v[22:23], v[50:51], 1.0
	s_delay_alu instid0(VALU_DEP_1) | instskip(NEXT) | instid1(VALU_DEP_1)
	v_fmac_f64_e32 v[50:51], v[50:51], v[52:53]
	v_mul_f64_e32 v[52:53], v[18:19], v[50:51]
	s_delay_alu instid0(VALU_DEP_1) | instskip(NEXT) | instid1(VALU_DEP_1)
	v_fma_f64 v[18:19], -v[22:23], v[52:53], v[18:19]
	v_div_fmas_f64 v[18:19], v[18:19], v[50:51], v[52:53]
	s_delay_alu instid0(VALU_DEP_1) | instskip(SKIP_3) | instid1(SALU_CYCLE_1)
	v_div_fixup_f64 v[18:19], v[18:19], v[6:7], |v[4:5]|
	v_mov_b64_e32 v[4:5], v[2:3]
	s_or_b32 exec_lo, exec_lo, s7
	s_and_saveexec_b32 s7, s6
	s_xor_b32 s6, exec_lo, s7
	s_cbranch_execz .LBB233_51
.LBB233_135:                            ;   in Loop: Header=BB233_4 Depth=1
	s_and_saveexec_b32 s7, s28
	s_cbranch_execz .LBB233_137
; %bb.136:                              ;   in Loop: Header=BB233_4 Depth=1
	s_delay_alu instid0(VALU_DEP_2) | instskip(NEXT) | instid1(VALU_DEP_2)
	v_mul_f64_e32 v[18:19], 0.5, v[18:19]
	v_mul_f64_e32 v[4:5], 0.5, v[4:5]
.LBB233_137:                            ;   in Loop: Header=BB233_4 Depth=1
	s_or_b32 exec_lo, exec_lo, s7
	s_and_not1_saveexec_b32 s6, s6
	s_cbranch_execnz .LBB233_52
	s_branch .LBB233_53
.LBB233_138:                            ;   in Loop: Header=BB233_4 Depth=1
	s_delay_alu instid0(VALU_DEP_1) | instskip(NEXT) | instid1(VALU_DEP_1)
	v_add_f64_e32 v[6:7], v[14:15], v[22:23]
	v_mul_f64_e32 v[6:7], 0.5, v[6:7]
	s_delay_alu instid0(VALU_DEP_1) | instskip(SKIP_1) | instid1(VALU_DEP_1)
	v_cmp_gt_f64_e32 vcc_lo, 0x10000000, v[6:7]
	v_cndmask_b32_e64 v14, 0, 0x100, vcc_lo
	v_ldexp_f64 v[6:7], v[6:7], v14
	s_delay_alu instid0(VALU_DEP_1) | instskip(SKIP_1) | instid1(TRANS32_DEP_1)
	v_rsq_f64_e32 v[14:15], v[6:7]
	v_nop
	v_mul_f64_e32 v[22:23], v[6:7], v[14:15]
	v_mul_f64_e32 v[14:15], 0.5, v[14:15]
	s_delay_alu instid0(VALU_DEP_1) | instskip(NEXT) | instid1(VALU_DEP_1)
	v_fma_f64 v[50:51], -v[14:15], v[22:23], 0.5
	v_fmac_f64_e32 v[22:23], v[22:23], v[50:51]
	v_fmac_f64_e32 v[14:15], v[14:15], v[50:51]
	s_delay_alu instid0(VALU_DEP_2) | instskip(NEXT) | instid1(VALU_DEP_1)
	v_fma_f64 v[50:51], -v[22:23], v[22:23], v[6:7]
	v_fmac_f64_e32 v[22:23], v[50:51], v[14:15]
	s_delay_alu instid0(VALU_DEP_1) | instskip(NEXT) | instid1(VALU_DEP_1)
	v_fma_f64 v[50:51], -v[22:23], v[22:23], v[6:7]
	v_fmac_f64_e32 v[22:23], v[50:51], v[14:15]
	v_cndmask_b32_e64 v14, 0, 0xffffff80, vcc_lo
	v_cmp_class_f64_e64 vcc_lo, v[6:7], 0x260
	s_delay_alu instid0(VALU_DEP_2) | instskip(NEXT) | instid1(VALU_DEP_1)
	v_ldexp_f64 v[14:15], v[22:23], v14
	v_dual_cndmask_b32 v7, v15, v7 :: v_dual_cndmask_b32 v6, v14, v6
	s_delay_alu instid0(VALU_DEP_1) | instskip(NEXT) | instid1(VALU_DEP_1)
	v_add_f64_e32 v[14:15], v[6:7], v[6:7]
	v_div_scale_f64 v[22:23], null, v[14:15], v[14:15], v[16:17]
	s_delay_alu instid0(VALU_DEP_1) | instskip(SKIP_1) | instid1(TRANS32_DEP_1)
	v_rcp_f64_e32 v[50:51], v[22:23]
	v_nop
	v_fma_f64 v[52:53], -v[22:23], v[50:51], 1.0
	s_delay_alu instid0(VALU_DEP_1) | instskip(NEXT) | instid1(VALU_DEP_1)
	v_fmac_f64_e32 v[50:51], v[50:51], v[52:53]
	v_fma_f64 v[52:53], -v[22:23], v[50:51], 1.0
	s_delay_alu instid0(VALU_DEP_1) | instskip(SKIP_1) | instid1(VALU_DEP_1)
	v_fmac_f64_e32 v[50:51], v[50:51], v[52:53]
	v_div_scale_f64 v[52:53], vcc_lo, v[16:17], v[14:15], v[16:17]
	v_mul_f64_e32 v[54:55], v[52:53], v[50:51]
	s_delay_alu instid0(VALU_DEP_1) | instskip(NEXT) | instid1(VALU_DEP_1)
	v_fma_f64 v[22:23], -v[22:23], v[54:55], v[52:53]
	v_div_fmas_f64 v[22:23], v[22:23], v[50:51], v[54:55]
	s_delay_alu instid0(VALU_DEP_1)
	v_div_fixup_f64 v[16:17], v[22:23], v[14:15], v[16:17]
                                        ; implicit-def: $vgpr22_vgpr23
	s_and_not1_saveexec_b32 s7, s7
	s_cbranch_execz .LBB233_77
.LBB233_139:                            ;   in Loop: Header=BB233_4 Depth=1
	v_add_f64_e64 v[6:7], v[22:23], -v[14:15]
	s_delay_alu instid0(VALU_DEP_1) | instskip(NEXT) | instid1(VALU_DEP_1)
	v_mul_f64_e32 v[6:7], 0.5, v[6:7]
	v_cmp_gt_f64_e32 vcc_lo, 0x10000000, v[6:7]
	v_cndmask_b32_e64 v14, 0, 0x100, vcc_lo
	s_delay_alu instid0(VALU_DEP_1) | instskip(NEXT) | instid1(VALU_DEP_1)
	v_ldexp_f64 v[6:7], v[6:7], v14
	v_rsq_f64_e32 v[14:15], v[6:7]
	v_nop
	s_delay_alu instid0(TRANS32_DEP_1) | instskip(SKIP_1) | instid1(VALU_DEP_1)
	v_mul_f64_e32 v[22:23], v[6:7], v[14:15]
	v_mul_f64_e32 v[14:15], 0.5, v[14:15]
	v_fma_f64 v[50:51], -v[14:15], v[22:23], 0.5
	s_delay_alu instid0(VALU_DEP_1) | instskip(SKIP_1) | instid1(VALU_DEP_2)
	v_fmac_f64_e32 v[22:23], v[22:23], v[50:51]
	v_fmac_f64_e32 v[14:15], v[14:15], v[50:51]
	v_fma_f64 v[50:51], -v[22:23], v[22:23], v[6:7]
	s_delay_alu instid0(VALU_DEP_1) | instskip(NEXT) | instid1(VALU_DEP_1)
	v_fmac_f64_e32 v[22:23], v[50:51], v[14:15]
	v_fma_f64 v[50:51], -v[22:23], v[22:23], v[6:7]
	s_delay_alu instid0(VALU_DEP_1) | instskip(SKIP_2) | instid1(VALU_DEP_2)
	v_fmac_f64_e32 v[22:23], v[50:51], v[14:15]
	v_cndmask_b32_e64 v14, 0, 0xffffff80, vcc_lo
	v_cmp_class_f64_e64 vcc_lo, v[6:7], 0x260
	v_ldexp_f64 v[14:15], v[22:23], v14
	v_and_b32_e32 v23, 0x7fffffff, v17
	s_delay_alu instid0(VALU_DEP_2) | instskip(NEXT) | instid1(VALU_DEP_3)
	v_dual_mov_b32 v22, v16 :: v_dual_cndmask_b32 v15, v15, v7
	v_cndmask_b32_e32 v14, v14, v6, vcc_lo
	s_delay_alu instid0(VALU_DEP_1) | instskip(SKIP_1) | instid1(VALU_DEP_2)
	v_add_f64_e32 v[6:7], v[14:15], v[14:15]
	v_bfi_b32 v15, 0x7fffffff, v15, v17
	v_div_scale_f64 v[50:51], null, v[6:7], v[6:7], v[22:23]
	v_div_scale_f64 v[22:23], vcc_lo, v[22:23], v[6:7], v[22:23]
	s_delay_alu instid0(VALU_DEP_2) | instskip(SKIP_1) | instid1(TRANS32_DEP_1)
	v_rcp_f64_e32 v[52:53], v[50:51]
	v_nop
	v_fma_f64 v[54:55], -v[50:51], v[52:53], 1.0
	s_delay_alu instid0(VALU_DEP_1) | instskip(NEXT) | instid1(VALU_DEP_1)
	v_fmac_f64_e32 v[52:53], v[52:53], v[54:55]
	v_fma_f64 v[54:55], -v[50:51], v[52:53], 1.0
	s_delay_alu instid0(VALU_DEP_1) | instskip(NEXT) | instid1(VALU_DEP_1)
	v_fmac_f64_e32 v[52:53], v[52:53], v[54:55]
	v_mul_f64_e32 v[54:55], v[22:23], v[52:53]
	s_delay_alu instid0(VALU_DEP_1) | instskip(NEXT) | instid1(VALU_DEP_1)
	v_fma_f64 v[22:23], -v[50:51], v[54:55], v[22:23]
	v_div_fmas_f64 v[22:23], v[22:23], v[52:53], v[54:55]
	s_delay_alu instid0(VALU_DEP_1) | instskip(SKIP_3) | instid1(SALU_CYCLE_1)
	v_div_fixup_f64 v[6:7], v[22:23], v[6:7], |v[16:17]|
	v_mov_b64_e32 v[16:17], v[14:15]
	s_or_b32 exec_lo, exec_lo, s7
	s_and_saveexec_b32 s7, s6
	s_xor_b32 s6, exec_lo, s7
	s_cbranch_execz .LBB233_78
.LBB233_140:                            ;   in Loop: Header=BB233_4 Depth=1
	s_and_saveexec_b32 s7, s28
	s_cbranch_execz .LBB233_142
; %bb.141:                              ;   in Loop: Header=BB233_4 Depth=1
	s_delay_alu instid0(VALU_DEP_2) | instskip(NEXT) | instid1(VALU_DEP_2)
	v_mul_f64_e32 v[6:7], 0.5, v[6:7]
	v_mul_f64_e32 v[16:17], 0.5, v[16:17]
.LBB233_142:                            ;   in Loop: Header=BB233_4 Depth=1
	s_or_b32 exec_lo, exec_lo, s7
	s_and_not1_saveexec_b32 s6, s6
	s_cbranch_execnz .LBB233_79
	s_branch .LBB233_80
.LBB233_143:                            ;   in Loop: Header=BB233_4 Depth=1
	s_delay_alu instid0(VALU_DEP_1) | instskip(NEXT) | instid1(VALU_DEP_1)
	v_add_f64_e32 v[2:3], v[10:11], v[14:15]
	v_mul_f64_e32 v[2:3], 0.5, v[2:3]
	s_delay_alu instid0(VALU_DEP_1) | instskip(SKIP_1) | instid1(VALU_DEP_1)
	v_cmp_gt_f64_e32 vcc_lo, 0x10000000, v[2:3]
	v_cndmask_b32_e64 v10, 0, 0x100, vcc_lo
	v_ldexp_f64 v[2:3], v[2:3], v10
	s_delay_alu instid0(VALU_DEP_1) | instskip(SKIP_1) | instid1(TRANS32_DEP_1)
	v_rsq_f64_e32 v[10:11], v[2:3]
	v_nop
	v_mul_f64_e32 v[14:15], v[2:3], v[10:11]
	v_mul_f64_e32 v[10:11], 0.5, v[10:11]
	s_delay_alu instid0(VALU_DEP_1) | instskip(NEXT) | instid1(VALU_DEP_1)
	v_fma_f64 v[22:23], -v[10:11], v[14:15], 0.5
	v_fmac_f64_e32 v[14:15], v[14:15], v[22:23]
	v_fmac_f64_e32 v[10:11], v[10:11], v[22:23]
	s_delay_alu instid0(VALU_DEP_2) | instskip(NEXT) | instid1(VALU_DEP_1)
	v_fma_f64 v[22:23], -v[14:15], v[14:15], v[2:3]
	v_fmac_f64_e32 v[14:15], v[22:23], v[10:11]
	s_delay_alu instid0(VALU_DEP_1) | instskip(NEXT) | instid1(VALU_DEP_1)
	v_fma_f64 v[22:23], -v[14:15], v[14:15], v[2:3]
	v_fmac_f64_e32 v[14:15], v[22:23], v[10:11]
	v_cndmask_b32_e64 v10, 0, 0xffffff80, vcc_lo
	v_cmp_class_f64_e64 vcc_lo, v[2:3], 0x260
	s_delay_alu instid0(VALU_DEP_2) | instskip(NEXT) | instid1(VALU_DEP_1)
	v_ldexp_f64 v[10:11], v[14:15], v10
	v_dual_cndmask_b32 v3, v11, v3 :: v_dual_cndmask_b32 v2, v10, v2
	s_delay_alu instid0(VALU_DEP_1) | instskip(NEXT) | instid1(VALU_DEP_1)
	v_add_f64_e32 v[10:11], v[2:3], v[2:3]
	v_div_scale_f64 v[14:15], null, v[10:11], v[10:11], v[12:13]
	s_delay_alu instid0(VALU_DEP_1) | instskip(SKIP_1) | instid1(TRANS32_DEP_1)
	v_rcp_f64_e32 v[22:23], v[14:15]
	v_nop
	v_fma_f64 v[50:51], -v[14:15], v[22:23], 1.0
	s_delay_alu instid0(VALU_DEP_1) | instskip(NEXT) | instid1(VALU_DEP_1)
	v_fmac_f64_e32 v[22:23], v[22:23], v[50:51]
	v_fma_f64 v[50:51], -v[14:15], v[22:23], 1.0
	s_delay_alu instid0(VALU_DEP_1) | instskip(SKIP_1) | instid1(VALU_DEP_1)
	v_fmac_f64_e32 v[22:23], v[22:23], v[50:51]
	v_div_scale_f64 v[50:51], vcc_lo, v[12:13], v[10:11], v[12:13]
	v_mul_f64_e32 v[52:53], v[50:51], v[22:23]
	s_delay_alu instid0(VALU_DEP_1) | instskip(NEXT) | instid1(VALU_DEP_1)
	v_fma_f64 v[14:15], -v[14:15], v[52:53], v[50:51]
	v_div_fmas_f64 v[14:15], v[14:15], v[22:23], v[52:53]
	s_delay_alu instid0(VALU_DEP_1)
	v_div_fixup_f64 v[12:13], v[14:15], v[10:11], v[12:13]
                                        ; implicit-def: $vgpr14_vgpr15
	s_and_not1_saveexec_b32 s7, s7
	s_cbranch_execz .LBB233_108
.LBB233_144:                            ;   in Loop: Header=BB233_4 Depth=1
	v_add_f64_e64 v[2:3], v[14:15], -v[10:11]
	s_delay_alu instid0(VALU_DEP_1) | instskip(NEXT) | instid1(VALU_DEP_1)
	v_mul_f64_e32 v[2:3], 0.5, v[2:3]
	v_cmp_gt_f64_e32 vcc_lo, 0x10000000, v[2:3]
	v_cndmask_b32_e64 v10, 0, 0x100, vcc_lo
	s_delay_alu instid0(VALU_DEP_1) | instskip(NEXT) | instid1(VALU_DEP_1)
	v_ldexp_f64 v[2:3], v[2:3], v10
	v_rsq_f64_e32 v[10:11], v[2:3]
	v_nop
	s_delay_alu instid0(TRANS32_DEP_1) | instskip(SKIP_1) | instid1(VALU_DEP_1)
	v_mul_f64_e32 v[14:15], v[2:3], v[10:11]
	v_mul_f64_e32 v[10:11], 0.5, v[10:11]
	v_fma_f64 v[22:23], -v[10:11], v[14:15], 0.5
	s_delay_alu instid0(VALU_DEP_1) | instskip(SKIP_1) | instid1(VALU_DEP_2)
	v_fmac_f64_e32 v[14:15], v[14:15], v[22:23]
	v_fmac_f64_e32 v[10:11], v[10:11], v[22:23]
	v_fma_f64 v[22:23], -v[14:15], v[14:15], v[2:3]
	s_delay_alu instid0(VALU_DEP_1) | instskip(NEXT) | instid1(VALU_DEP_1)
	v_fmac_f64_e32 v[14:15], v[22:23], v[10:11]
	v_fma_f64 v[22:23], -v[14:15], v[14:15], v[2:3]
	s_delay_alu instid0(VALU_DEP_1) | instskip(SKIP_2) | instid1(VALU_DEP_2)
	v_fmac_f64_e32 v[14:15], v[22:23], v[10:11]
	v_cndmask_b32_e64 v10, 0, 0xffffff80, vcc_lo
	v_cmp_class_f64_e64 vcc_lo, v[2:3], 0x260
	v_ldexp_f64 v[10:11], v[14:15], v10
	v_and_b32_e32 v15, 0x7fffffff, v13
	s_delay_alu instid0(VALU_DEP_2) | instskip(NEXT) | instid1(VALU_DEP_3)
	v_dual_mov_b32 v14, v12 :: v_dual_cndmask_b32 v11, v11, v3
	v_cndmask_b32_e32 v10, v10, v2, vcc_lo
	s_delay_alu instid0(VALU_DEP_1) | instskip(SKIP_1) | instid1(VALU_DEP_2)
	v_add_f64_e32 v[2:3], v[10:11], v[10:11]
	v_bfi_b32 v11, 0x7fffffff, v11, v13
	v_div_scale_f64 v[22:23], null, v[2:3], v[2:3], v[14:15]
	v_div_scale_f64 v[14:15], vcc_lo, v[14:15], v[2:3], v[14:15]
	s_delay_alu instid0(VALU_DEP_2) | instskip(SKIP_1) | instid1(TRANS32_DEP_1)
	v_rcp_f64_e32 v[50:51], v[22:23]
	v_nop
	v_fma_f64 v[52:53], -v[22:23], v[50:51], 1.0
	s_delay_alu instid0(VALU_DEP_1) | instskip(NEXT) | instid1(VALU_DEP_1)
	v_fmac_f64_e32 v[50:51], v[50:51], v[52:53]
	v_fma_f64 v[52:53], -v[22:23], v[50:51], 1.0
	s_delay_alu instid0(VALU_DEP_1) | instskip(NEXT) | instid1(VALU_DEP_1)
	v_fmac_f64_e32 v[50:51], v[50:51], v[52:53]
	v_mul_f64_e32 v[52:53], v[14:15], v[50:51]
	s_delay_alu instid0(VALU_DEP_1) | instskip(NEXT) | instid1(VALU_DEP_1)
	v_fma_f64 v[14:15], -v[22:23], v[52:53], v[14:15]
	v_div_fmas_f64 v[14:15], v[14:15], v[50:51], v[52:53]
	s_delay_alu instid0(VALU_DEP_1) | instskip(SKIP_3) | instid1(SALU_CYCLE_1)
	v_div_fixup_f64 v[2:3], v[14:15], v[2:3], |v[12:13]|
	v_mov_b64_e32 v[12:13], v[10:11]
	s_or_b32 exec_lo, exec_lo, s7
	s_and_saveexec_b32 s7, s6
	s_xor_b32 s6, exec_lo, s7
	s_cbranch_execz .LBB233_109
.LBB233_145:                            ;   in Loop: Header=BB233_4 Depth=1
	s_and_saveexec_b32 s7, s28
	s_cbranch_execz .LBB233_147
; %bb.146:                              ;   in Loop: Header=BB233_4 Depth=1
	s_delay_alu instid0(VALU_DEP_2) | instskip(NEXT) | instid1(VALU_DEP_2)
	v_mul_f64_e32 v[2:3], 0.5, v[2:3]
	v_mul_f64_e32 v[12:13], 0.5, v[12:13]
.LBB233_147:                            ;   in Loop: Header=BB233_4 Depth=1
	s_or_b32 exec_lo, exec_lo, s7
	s_and_not1_saveexec_b32 s6, s6
	s_cbranch_execnz .LBB233_110
	s_branch .LBB233_111
.LBB233_148:
	s_cbranch_execz .LBB233_150
	s_branch .LBB233_281
.LBB233_149:
.LBB233_150:
	v_min_i64 v[26:27], 0x10000, s[12:13]
	v_dual_mov_b32 v3, 0 :: v_dual_lshlrev_b32 v2, 2, v0
	s_mov_b32 s2, exec_lo
	s_delay_alu instid0(VALU_DEP_1)
	v_cmpx_lt_i64_e64 v[2:3], v[26:27]
	s_cbranch_execz .LBB233_281
; %bb.151:
	s_load_b32 s4, s[0:1], 0xd3c
	v_dual_mov_b32 v1, v3 :: v_dual_lshlrev_b32 v2, 6, v0
	s_wait_xcnt 0x0
	s_add_nc_u64 s[0:1], s[8:9], s[10:11]
	s_mov_b32 s5, 0
	s_mov_b64 s[2:3], 0x7fda827999fcef32
	v_add_nc_u64_e32 v[28:29], s[0:1], v[2:3]
	s_mov_b32 s7, s5
	s_mov_b32 s8, s5
	s_wait_kmcnt 0x0
	s_and_b32 s4, s4, 0xffff
	s_delay_alu instid0(SALU_CYCLE_1)
	s_lshl_b32 s6, s4, 6
	s_branch .LBB233_155
.LBB233_152:                            ;   in Loop: Header=BB233_155 Depth=1
	s_or_b32 exec_lo, exec_lo, s0
.LBB233_153:                            ;   in Loop: Header=BB233_155 Depth=1
	s_delay_alu instid0(SALU_CYCLE_1)
	s_or_b32 exec_lo, exec_lo, s10
.LBB233_154:                            ;   in Loop: Header=BB233_155 Depth=1
	s_delay_alu instid0(SALU_CYCLE_1) | instskip(SKIP_4) | instid1(VALU_DEP_4)
	s_or_b32 exec_lo, exec_lo, s9
	v_add_nc_u64_e32 v[0:1], s[4:5], v[0:1]
	v_dual_mov_b32 v24, v16 :: v_dual_mov_b32 v25, v17
	v_dual_mov_b32 v16, v8 :: v_dual_mov_b32 v17, v9
	;; [unrolled: 1-line block ×3, first 2 shown]
	v_lshlrev_b64_e32 v[2:3], 2, v[0:1]
	v_dual_mov_b32 v12, v4 :: v_dual_mov_b32 v13, v5
	s_clause 0x3
	global_store_b128 v[28:29], v[22:25], off
	global_store_b128 v[28:29], v[18:21], off offset:16
	global_store_b128 v[28:29], v[14:17], off offset:32
	global_store_b128 v[28:29], v[10:13], off offset:48
	v_cmp_ge_i64_e32 vcc_lo, v[2:3], v[26:27]
	s_wait_xcnt 0x0
	v_add_nc_u64_e32 v[28:29], s[6:7], v[28:29]
	s_or_b32 s8, vcc_lo, s8
	s_delay_alu instid0(SALU_CYCLE_1)
	s_and_not1_b32 exec_lo, exec_lo, s8
	s_cbranch_execz .LBB233_281
.LBB233_155:                            ; =>This Inner Loop Header: Depth=1
	s_clause 0x3
	global_load_b128 v[14:17], v[28:29], off
	global_load_b128 v[10:13], v[28:29], off offset:16
	global_load_b128 v[2:5], v[28:29], off offset:48
	;; [unrolled: 1-line block ×3, first 2 shown]
	v_mov_b64_e32 v[18:19], 0
	v_mov_b64_e32 v[22:23], 0
	s_wait_loadcnt 0x3
	v_cmp_neq_f64_e32 vcc_lo, 0, v[14:15]
	v_cmp_neq_f64_e64 s0, 0, v[16:17]
	s_or_b32 s0, vcc_lo, s0
	s_wait_xcnt 0x0
	s_and_saveexec_b32 s9, s0
	s_cbranch_execz .LBB233_181
; %bb.156:                              ;   in Loop: Header=BB233_155 Depth=1
	v_mov_b64_e32 v[22:23], 0x7ff0000000000000
	s_mov_b32 s10, exec_lo
	v_cmpx_neq_f64_e64 0x7ff00000, |v[16:17]|
	s_cbranch_execz .LBB233_180
; %bb.157:                              ;   in Loop: Header=BB233_155 Depth=1
                                        ; implicit-def: $vgpr22_vgpr23
	s_mov_b32 s0, exec_lo
	v_cmpx_o_f64_e32 v[14:15], v[14:15]
	s_xor_b32 s11, exec_lo, s0
	s_cbranch_execz .LBB233_177
; %bb.158:                              ;   in Loop: Header=BB233_155 Depth=1
                                        ; implicit-def: $vgpr22_vgpr23
	s_mov_b32 s1, exec_lo
	v_cmpx_neq_f64_e64 0x7ff00000, |v[14:15]|
	s_xor_b32 s12, exec_lo, s1
	s_cbranch_execz .LBB233_171
; %bb.159:                              ;   in Loop: Header=BB233_155 Depth=1
	v_max_num_f64_e64 v[20:21], |v[16:17]|, |v[16:17]|
	v_max_num_f64_e64 v[22:23], |v[14:15]|, |v[14:15]|
                                        ; implicit-def: $sgpr13
	s_delay_alu instid0(VALU_DEP_1) | instskip(NEXT) | instid1(VALU_DEP_1)
	v_max_num_f64_e32 v[20:21], v[22:23], v[20:21]
	v_cmp_nle_f64_e64 s0, s[2:3], v[20:21]
	s_and_saveexec_b32 s1, s0
	s_delay_alu instid0(SALU_CYCLE_1)
	s_xor_b32 s1, exec_lo, s1
	s_cbranch_execz .LBB233_163
; %bb.160:                              ;   in Loop: Header=BB233_155 Depth=1
	v_cmp_ge_f64_e64 s13, 0x200000, |v[14:15]|
	v_cmp_ge_f64_e64 s14, 0x200000, |v[16:17]|
	s_and_b32 s15, s13, s14
	s_mov_b32 s13, 0
	s_and_saveexec_b32 s14, s15
	s_cbranch_execz .LBB233_162
; %bb.161:                              ;   in Loop: Header=BB233_155 Depth=1
	v_mul_f64_e32 v[14:15], 4.0, v[14:15]
	v_mul_f64_e32 v[16:17], 4.0, v[16:17]
	s_mov_b32 s13, exec_lo
.LBB233_162:                            ;   in Loop: Header=BB233_155 Depth=1
	s_or_b32 exec_lo, exec_lo, s14
.LBB233_163:                            ;   in Loop: Header=BB233_155 Depth=1
	s_and_not1_saveexec_b32 s1, s1
	s_cbranch_execz .LBB233_165
; %bb.164:                              ;   in Loop: Header=BB233_155 Depth=1
	s_delay_alu instid0(VALU_DEP_2) | instskip(NEXT) | instid1(VALU_DEP_2)
	v_ldexp_f64 v[14:15], v[14:15], -2
	v_ldexp_f64 v[16:17], v[16:17], -2
	s_and_not1_b32 s13, s13, exec_lo
.LBB233_165:                            ;   in Loop: Header=BB233_155 Depth=1
	s_or_b32 exec_lo, exec_lo, s1
	s_delay_alu instid0(VALU_DEP_1) | instskip(NEXT) | instid1(VALU_DEP_3)
	v_max_num_f64_e64 v[20:21], |v[16:17]|, |v[16:17]|
	v_max_num_f64_e64 v[22:23], |v[14:15]|, |v[14:15]|
	v_cmp_class_f64_e64 s14, v[14:15], 0x204
	v_cmp_class_f64_e64 s15, v[16:17], 0x204
	v_cmp_le_f64_e64 s1, 0, v[14:15]
	s_delay_alu instid0(VALU_DEP_4) | instskip(SKIP_1) | instid1(VALU_DEP_1)
	v_max_num_f64_e32 v[20:21], v[22:23], v[20:21]
	s_or_b32 s14, s15, s14
	v_frexp_exp_i32_f64_e32 v32, v[20:21]
	s_delay_alu instid0(VALU_DEP_1) | instskip(NEXT) | instid1(VALU_DEP_1)
	v_sub_nc_u32_e32 v22, 0, v32
	v_ldexp_f64 v[20:21], |v[16:17]|, v22
	v_ldexp_f64 v[22:23], |v[14:15]|, v22
	s_delay_alu instid0(VALU_DEP_2) | instskip(NEXT) | instid1(VALU_DEP_1)
	v_mul_f64_e32 v[20:21], v[20:21], v[20:21]
	v_fmac_f64_e32 v[20:21], v[22:23], v[22:23]
	s_delay_alu instid0(VALU_DEP_1) | instskip(SKIP_1) | instid1(TRANS32_DEP_1)
	v_rsq_f64_e32 v[22:23], v[20:21]
	v_cmp_eq_f64_e32 vcc_lo, 0, v[20:21]
	v_mul_f64_e32 v[24:25], v[20:21], v[22:23]
	v_mul_f64_e32 v[22:23], 0.5, v[22:23]
	s_delay_alu instid0(VALU_DEP_1) | instskip(NEXT) | instid1(VALU_DEP_1)
	v_fma_f64 v[30:31], -v[22:23], v[24:25], 0.5
	v_fmac_f64_e32 v[24:25], v[24:25], v[30:31]
	v_fmac_f64_e32 v[22:23], v[22:23], v[30:31]
	s_delay_alu instid0(VALU_DEP_2) | instskip(NEXT) | instid1(VALU_DEP_1)
	v_fma_f64 v[30:31], -v[24:25], v[24:25], v[20:21]
	v_fmac_f64_e32 v[24:25], v[30:31], v[22:23]
                                        ; implicit-def: $vgpr22_vgpr23
	s_delay_alu instid0(VALU_DEP_1) | instskip(SKIP_1) | instid1(VALU_DEP_2)
	v_dual_cndmask_b32 v21, v25, v21 :: v_dual_cndmask_b32 v20, v24, v20
	v_cmp_o_f64_e32 vcc_lo, v[16:17], v[16:17]
	v_ldexp_f64 v[20:21], v[20:21], v32
	s_delay_alu instid0(VALU_DEP_1) | instskip(NEXT) | instid1(VALU_DEP_2)
	v_cndmask_b32_e32 v20, 0, v20, vcc_lo
	v_cndmask_b32_e32 v21, 0x7ff80000, v21, vcc_lo
	s_delay_alu instid0(VALU_DEP_2) | instskip(NEXT) | instid1(VALU_DEP_2)
	v_cndmask_b32_e64 v20, v20, 0, s14
	v_cndmask_b32_e64 v21, v21, 0x7ff00000, s14
	s_and_saveexec_b32 s14, s1
	s_delay_alu instid0(SALU_CYCLE_1)
	s_xor_b32 s1, exec_lo, s14
	s_cbranch_execnz .LBB233_261
; %bb.166:                              ;   in Loop: Header=BB233_155 Depth=1
	s_and_not1_saveexec_b32 s1, s1
	s_cbranch_execnz .LBB233_262
.LBB233_167:                            ;   in Loop: Header=BB233_155 Depth=1
	s_or_b32 exec_lo, exec_lo, s1
	s_and_saveexec_b32 s1, s0
	s_delay_alu instid0(SALU_CYCLE_1)
	s_xor_b32 s0, exec_lo, s1
	s_cbranch_execnz .LBB233_263
.LBB233_168:                            ;   in Loop: Header=BB233_155 Depth=1
	s_and_not1_saveexec_b32 s0, s0
	s_cbranch_execz .LBB233_170
.LBB233_169:                            ;   in Loop: Header=BB233_155 Depth=1
	s_delay_alu instid0(VALU_DEP_2) | instskip(NEXT) | instid1(VALU_DEP_2)
	v_add_f64_e32 v[22:23], v[22:23], v[22:23]
	v_add_f64_e32 v[16:17], v[16:17], v[16:17]
.LBB233_170:                            ;   in Loop: Header=BB233_155 Depth=1
	s_or_b32 exec_lo, exec_lo, s0
.LBB233_171:                            ;   in Loop: Header=BB233_155 Depth=1
	s_and_not1_saveexec_b32 s0, s12
	s_cbranch_execz .LBB233_260
; %bb.172:                              ;   in Loop: Header=BB233_155 Depth=1
	s_delay_alu instid0(VALU_DEP_1) | instskip(SKIP_1) | instid1(VALU_DEP_1)
	v_add_f64_e64 v[20:21], v[16:17], -v[16:17]
	s_mov_b32 s1, exec_lo
	v_and_b32_e32 v23, 0x7fffffff, v21
	s_delay_alu instid0(VALU_DEP_2)
	v_mov_b32_e32 v22, v20
	v_cmpx_lt_i64_e32 -1, v[14:15]
	s_xor_b32 s1, exec_lo, s1
; %bb.173:                              ;   in Loop: Header=BB233_155 Depth=1
	v_bfi_b32 v21, 0x7fffffff, v21, v17
	v_mov_b64_e32 v[22:23], v[14:15]
	s_delay_alu instid0(VALU_DEP_2)
	v_mov_b64_e32 v[16:17], v[20:21]
; %bb.174:                              ;   in Loop: Header=BB233_155 Depth=1
	s_and_not1_saveexec_b32 s1, s1
; %bb.175:                              ;   in Loop: Header=BB233_155 Depth=1
	s_delay_alu instid0(VALU_DEP_1) | instskip(NEXT) | instid1(VALU_DEP_1)
	v_bfi_b32 v15, 0x7fffffff, v15, v17
	v_mov_b64_e32 v[16:17], v[14:15]
; %bb.176:                              ;   in Loop: Header=BB233_155 Depth=1
	s_or_b32 exec_lo, exec_lo, s1
	s_delay_alu instid0(SALU_CYCLE_1)
	s_or_b32 exec_lo, exec_lo, s0
.LBB233_177:                            ;   in Loop: Header=BB233_155 Depth=1
	s_and_not1_saveexec_b32 s0, s11
	s_cbranch_execz .LBB233_179
.LBB233_178:                            ;   in Loop: Header=BB233_155 Depth=1
	s_delay_alu instid0(VALU_DEP_1) | instskip(NEXT) | instid1(VALU_DEP_1)
	v_add_f64_e64 v[16:17], v[16:17], -v[16:17]
	v_div_scale_f64 v[20:21], vcc_lo, v[16:17], v[16:17], v[16:17]
	s_delay_alu instid0(VALU_DEP_1) | instskip(SKIP_1) | instid1(TRANS32_DEP_1)
	v_rcp_f64_e32 v[22:23], v[20:21]
	v_nop
	v_fma_f64 v[24:25], -v[20:21], v[22:23], 1.0
	s_delay_alu instid0(VALU_DEP_1) | instskip(NEXT) | instid1(VALU_DEP_1)
	v_fmac_f64_e32 v[22:23], v[22:23], v[24:25]
	v_fma_f64 v[24:25], -v[20:21], v[22:23], 1.0
	s_delay_alu instid0(VALU_DEP_1) | instskip(NEXT) | instid1(VALU_DEP_1)
	v_fmac_f64_e32 v[22:23], v[22:23], v[24:25]
	v_mul_f64_e32 v[24:25], v[20:21], v[22:23]
	s_delay_alu instid0(VALU_DEP_1) | instskip(NEXT) | instid1(VALU_DEP_1)
	v_fma_f64 v[20:21], -v[20:21], v[24:25], v[20:21]
	v_div_fmas_f64 v[20:21], v[20:21], v[22:23], v[24:25]
	v_mov_b64_e32 v[22:23], v[14:15]
	s_delay_alu instid0(VALU_DEP_2)
	v_div_fixup_f64 v[16:17], v[20:21], v[16:17], v[16:17]
.LBB233_179:                            ;   in Loop: Header=BB233_155 Depth=1
	s_or_b32 exec_lo, exec_lo, s0
.LBB233_180:                            ;   in Loop: Header=BB233_155 Depth=1
	s_delay_alu instid0(SALU_CYCLE_1)
	s_or_b32 exec_lo, exec_lo, s10
.LBB233_181:                            ;   in Loop: Header=BB233_155 Depth=1
	s_delay_alu instid0(SALU_CYCLE_1) | instskip(SKIP_4) | instid1(SALU_CYCLE_1)
	s_or_b32 exec_lo, exec_lo, s9
	s_wait_loadcnt 0x2
	v_cmp_neq_f64_e32 vcc_lo, 0, v[10:11]
	v_cmp_neq_f64_e64 s0, 0, v[12:13]
	s_or_b32 s0, vcc_lo, s0
	s_and_saveexec_b32 s9, s0
	s_cbranch_execz .LBB233_208
; %bb.182:                              ;   in Loop: Header=BB233_155 Depth=1
	v_mov_b64_e32 v[18:19], 0x7ff0000000000000
	s_mov_b32 s10, exec_lo
	v_cmpx_neq_f64_e64 0x7ff00000, |v[12:13]|
	s_cbranch_execz .LBB233_207
; %bb.183:                              ;   in Loop: Header=BB233_155 Depth=1
                                        ; implicit-def: $vgpr18_vgpr19
	s_mov_b32 s0, exec_lo
	v_cmpx_o_f64_e32 v[10:11], v[10:11]
	s_xor_b32 s11, exec_lo, s0
	s_cbranch_execz .LBB233_204
; %bb.184:                              ;   in Loop: Header=BB233_155 Depth=1
                                        ; implicit-def: $vgpr18_vgpr19
	s_mov_b32 s1, exec_lo
	v_cmpx_neq_f64_e64 0x7ff00000, |v[10:11]|
	s_xor_b32 s12, exec_lo, s1
	s_cbranch_execz .LBB233_197
; %bb.185:                              ;   in Loop: Header=BB233_155 Depth=1
	v_max_num_f64_e64 v[14:15], |v[12:13]|, |v[12:13]|
	v_max_num_f64_e64 v[18:19], |v[10:11]|, |v[10:11]|
                                        ; implicit-def: $sgpr13
	s_delay_alu instid0(VALU_DEP_1) | instskip(NEXT) | instid1(VALU_DEP_1)
	v_max_num_f64_e32 v[14:15], v[18:19], v[14:15]
	v_cmp_nle_f64_e64 s0, s[2:3], v[14:15]
	s_and_saveexec_b32 s1, s0
	s_delay_alu instid0(SALU_CYCLE_1)
	s_xor_b32 s1, exec_lo, s1
	s_cbranch_execz .LBB233_189
; %bb.186:                              ;   in Loop: Header=BB233_155 Depth=1
	v_cmp_ge_f64_e64 s13, 0x200000, |v[10:11]|
	v_cmp_ge_f64_e64 s14, 0x200000, |v[12:13]|
	s_and_b32 s15, s13, s14
	s_mov_b32 s13, 0
	s_and_saveexec_b32 s14, s15
	s_cbranch_execz .LBB233_188
; %bb.187:                              ;   in Loop: Header=BB233_155 Depth=1
	v_mul_f64_e32 v[10:11], 4.0, v[10:11]
	v_mul_f64_e32 v[12:13], 4.0, v[12:13]
	s_mov_b32 s13, exec_lo
.LBB233_188:                            ;   in Loop: Header=BB233_155 Depth=1
	s_or_b32 exec_lo, exec_lo, s14
.LBB233_189:                            ;   in Loop: Header=BB233_155 Depth=1
	s_and_not1_saveexec_b32 s1, s1
	s_cbranch_execz .LBB233_191
; %bb.190:                              ;   in Loop: Header=BB233_155 Depth=1
	s_delay_alu instid0(VALU_DEP_2) | instskip(NEXT) | instid1(VALU_DEP_2)
	v_ldexp_f64 v[10:11], v[10:11], -2
	v_ldexp_f64 v[12:13], v[12:13], -2
	s_and_not1_b32 s13, s13, exec_lo
.LBB233_191:                            ;   in Loop: Header=BB233_155 Depth=1
	s_or_b32 exec_lo, exec_lo, s1
	s_delay_alu instid0(VALU_DEP_1) | instskip(NEXT) | instid1(VALU_DEP_3)
	v_max_num_f64_e64 v[14:15], |v[12:13]|, |v[12:13]|
	v_max_num_f64_e64 v[18:19], |v[10:11]|, |v[10:11]|
	v_cmp_class_f64_e64 s14, v[10:11], 0x204
	v_cmp_class_f64_e64 s15, v[12:13], 0x204
	v_cmp_le_f64_e64 s1, 0, v[10:11]
	s_delay_alu instid0(VALU_DEP_4) | instskip(SKIP_1) | instid1(VALU_DEP_1)
	v_max_num_f64_e32 v[14:15], v[18:19], v[14:15]
	s_or_b32 s14, s15, s14
	v_frexp_exp_i32_f64_e32 v30, v[14:15]
	s_delay_alu instid0(VALU_DEP_1) | instskip(NEXT) | instid1(VALU_DEP_1)
	v_sub_nc_u32_e32 v18, 0, v30
	v_ldexp_f64 v[14:15], |v[12:13]|, v18
	v_ldexp_f64 v[18:19], |v[10:11]|, v18
	s_delay_alu instid0(VALU_DEP_2) | instskip(NEXT) | instid1(VALU_DEP_1)
	v_mul_f64_e32 v[14:15], v[14:15], v[14:15]
	v_fmac_f64_e32 v[14:15], v[18:19], v[18:19]
	s_delay_alu instid0(VALU_DEP_1) | instskip(SKIP_1) | instid1(TRANS32_DEP_1)
	v_rsq_f64_e32 v[18:19], v[14:15]
	v_cmp_eq_f64_e32 vcc_lo, 0, v[14:15]
	v_mul_f64_e32 v[20:21], v[14:15], v[18:19]
	v_mul_f64_e32 v[18:19], 0.5, v[18:19]
	s_delay_alu instid0(VALU_DEP_1) | instskip(NEXT) | instid1(VALU_DEP_1)
	v_fma_f64 v[24:25], -v[18:19], v[20:21], 0.5
	v_fmac_f64_e32 v[20:21], v[20:21], v[24:25]
	v_fmac_f64_e32 v[18:19], v[18:19], v[24:25]
	s_delay_alu instid0(VALU_DEP_2) | instskip(NEXT) | instid1(VALU_DEP_1)
	v_fma_f64 v[24:25], -v[20:21], v[20:21], v[14:15]
	v_fmac_f64_e32 v[20:21], v[24:25], v[18:19]
                                        ; implicit-def: $vgpr18_vgpr19
	s_delay_alu instid0(VALU_DEP_1) | instskip(SKIP_1) | instid1(VALU_DEP_2)
	v_dual_cndmask_b32 v15, v21, v15 :: v_dual_cndmask_b32 v14, v20, v14
	v_cmp_o_f64_e32 vcc_lo, v[12:13], v[12:13]
	v_ldexp_f64 v[14:15], v[14:15], v30
	s_delay_alu instid0(VALU_DEP_1) | instskip(NEXT) | instid1(VALU_DEP_2)
	v_cndmask_b32_e32 v14, 0, v14, vcc_lo
	v_cndmask_b32_e32 v15, 0x7ff80000, v15, vcc_lo
	s_delay_alu instid0(VALU_DEP_2) | instskip(NEXT) | instid1(VALU_DEP_2)
	v_cndmask_b32_e64 v14, v14, 0, s14
	v_cndmask_b32_e64 v15, v15, 0x7ff00000, s14
	s_and_saveexec_b32 s14, s1
	s_delay_alu instid0(SALU_CYCLE_1)
	s_xor_b32 s1, exec_lo, s14
	s_cbranch_execnz .LBB233_266
; %bb.192:                              ;   in Loop: Header=BB233_155 Depth=1
	s_and_not1_saveexec_b32 s1, s1
	s_cbranch_execnz .LBB233_267
.LBB233_193:                            ;   in Loop: Header=BB233_155 Depth=1
	s_or_b32 exec_lo, exec_lo, s1
	s_and_saveexec_b32 s1, s0
	s_delay_alu instid0(SALU_CYCLE_1)
	s_xor_b32 s0, exec_lo, s1
	s_cbranch_execnz .LBB233_268
.LBB233_194:                            ;   in Loop: Header=BB233_155 Depth=1
	s_and_not1_saveexec_b32 s0, s0
	s_cbranch_execz .LBB233_196
.LBB233_195:                            ;   in Loop: Header=BB233_155 Depth=1
	s_delay_alu instid0(VALU_DEP_2) | instskip(NEXT) | instid1(VALU_DEP_2)
	v_add_f64_e32 v[18:19], v[18:19], v[18:19]
	v_add_f64_e32 v[12:13], v[12:13], v[12:13]
.LBB233_196:                            ;   in Loop: Header=BB233_155 Depth=1
	s_or_b32 exec_lo, exec_lo, s0
.LBB233_197:                            ;   in Loop: Header=BB233_155 Depth=1
	s_and_not1_saveexec_b32 s0, s12
	s_cbranch_execz .LBB233_203
; %bb.198:                              ;   in Loop: Header=BB233_155 Depth=1
	s_delay_alu instid0(VALU_DEP_1) | instskip(SKIP_1) | instid1(VALU_DEP_1)
	v_add_f64_e64 v[14:15], v[12:13], -v[12:13]
	s_mov_b32 s1, exec_lo
	v_and_b32_e32 v19, 0x7fffffff, v15
	s_delay_alu instid0(VALU_DEP_2)
	v_mov_b32_e32 v18, v14
	v_cmpx_lt_i64_e32 -1, v[10:11]
	s_xor_b32 s1, exec_lo, s1
; %bb.199:                              ;   in Loop: Header=BB233_155 Depth=1
	v_bfi_b32 v15, 0x7fffffff, v15, v13
	v_mov_b64_e32 v[18:19], v[10:11]
	s_delay_alu instid0(VALU_DEP_2)
	v_mov_b64_e32 v[12:13], v[14:15]
; %bb.200:                              ;   in Loop: Header=BB233_155 Depth=1
	s_and_not1_saveexec_b32 s1, s1
; %bb.201:                              ;   in Loop: Header=BB233_155 Depth=1
	s_delay_alu instid0(VALU_DEP_1) | instskip(NEXT) | instid1(VALU_DEP_1)
	v_bfi_b32 v11, 0x7fffffff, v11, v13
	v_mov_b64_e32 v[12:13], v[10:11]
; %bb.202:                              ;   in Loop: Header=BB233_155 Depth=1
	s_or_b32 exec_lo, exec_lo, s1
.LBB233_203:                            ;   in Loop: Header=BB233_155 Depth=1
	s_delay_alu instid0(SALU_CYCLE_1)
	s_or_b32 exec_lo, exec_lo, s0
.LBB233_204:                            ;   in Loop: Header=BB233_155 Depth=1
	s_and_not1_saveexec_b32 s0, s11
	s_cbranch_execz .LBB233_206
; %bb.205:                              ;   in Loop: Header=BB233_155 Depth=1
	s_delay_alu instid0(VALU_DEP_1) | instskip(NEXT) | instid1(VALU_DEP_1)
	v_add_f64_e64 v[12:13], v[12:13], -v[12:13]
	v_div_scale_f64 v[14:15], vcc_lo, v[12:13], v[12:13], v[12:13]
	s_delay_alu instid0(VALU_DEP_1) | instskip(SKIP_1) | instid1(TRANS32_DEP_1)
	v_rcp_f64_e32 v[18:19], v[14:15]
	v_nop
	v_fma_f64 v[20:21], -v[14:15], v[18:19], 1.0
	s_delay_alu instid0(VALU_DEP_1) | instskip(NEXT) | instid1(VALU_DEP_1)
	v_fmac_f64_e32 v[18:19], v[18:19], v[20:21]
	v_fma_f64 v[20:21], -v[14:15], v[18:19], 1.0
	s_delay_alu instid0(VALU_DEP_1) | instskip(NEXT) | instid1(VALU_DEP_1)
	v_fmac_f64_e32 v[18:19], v[18:19], v[20:21]
	v_mul_f64_e32 v[20:21], v[14:15], v[18:19]
	s_delay_alu instid0(VALU_DEP_1) | instskip(NEXT) | instid1(VALU_DEP_1)
	v_fma_f64 v[14:15], -v[14:15], v[20:21], v[14:15]
	v_div_fmas_f64 v[14:15], v[14:15], v[18:19], v[20:21]
	v_mov_b64_e32 v[18:19], v[10:11]
	s_delay_alu instid0(VALU_DEP_2)
	v_div_fixup_f64 v[12:13], v[14:15], v[12:13], v[12:13]
.LBB233_206:                            ;   in Loop: Header=BB233_155 Depth=1
	s_or_b32 exec_lo, exec_lo, s0
.LBB233_207:                            ;   in Loop: Header=BB233_155 Depth=1
	s_delay_alu instid0(SALU_CYCLE_1)
	s_or_b32 exec_lo, exec_lo, s10
.LBB233_208:                            ;   in Loop: Header=BB233_155 Depth=1
	s_delay_alu instid0(SALU_CYCLE_1)
	s_or_b32 exec_lo, exec_lo, s9
	s_wait_loadcnt 0x0
	v_cmp_neq_f64_e32 vcc_lo, 0, v[6:7]
	v_cmp_neq_f64_e64 s0, 0, v[8:9]
	v_mov_b64_e32 v[10:11], 0
	v_mov_b64_e32 v[14:15], 0
	s_or_b32 s0, vcc_lo, s0
	s_delay_alu instid0(SALU_CYCLE_1)
	s_and_saveexec_b32 s9, s0
	s_cbranch_execz .LBB233_235
; %bb.209:                              ;   in Loop: Header=BB233_155 Depth=1
	v_mov_b64_e32 v[14:15], 0x7ff0000000000000
	s_mov_b32 s10, exec_lo
	v_cmpx_neq_f64_e64 0x7ff00000, |v[8:9]|
	s_cbranch_execz .LBB233_234
; %bb.210:                              ;   in Loop: Header=BB233_155 Depth=1
                                        ; implicit-def: $vgpr14_vgpr15
	s_mov_b32 s0, exec_lo
	v_cmpx_o_f64_e32 v[6:7], v[6:7]
	s_xor_b32 s11, exec_lo, s0
	s_cbranch_execz .LBB233_231
; %bb.211:                              ;   in Loop: Header=BB233_155 Depth=1
                                        ; implicit-def: $vgpr14_vgpr15
	s_mov_b32 s1, exec_lo
	v_cmpx_neq_f64_e64 0x7ff00000, |v[6:7]|
	s_xor_b32 s12, exec_lo, s1
	s_cbranch_execz .LBB233_224
; %bb.212:                              ;   in Loop: Header=BB233_155 Depth=1
	v_max_num_f64_e64 v[14:15], |v[8:9]|, |v[8:9]|
	v_max_num_f64_e64 v[20:21], |v[6:7]|, |v[6:7]|
                                        ; implicit-def: $sgpr13
	s_delay_alu instid0(VALU_DEP_1) | instskip(NEXT) | instid1(VALU_DEP_1)
	v_max_num_f64_e32 v[14:15], v[20:21], v[14:15]
	v_cmp_nle_f64_e64 s0, s[2:3], v[14:15]
	s_and_saveexec_b32 s1, s0
	s_delay_alu instid0(SALU_CYCLE_1)
	s_xor_b32 s1, exec_lo, s1
	s_cbranch_execz .LBB233_216
; %bb.213:                              ;   in Loop: Header=BB233_155 Depth=1
	v_cmp_ge_f64_e64 s13, 0x200000, |v[6:7]|
	v_cmp_ge_f64_e64 s14, 0x200000, |v[8:9]|
	s_and_b32 s15, s13, s14
	s_mov_b32 s13, 0
	s_and_saveexec_b32 s14, s15
	s_cbranch_execz .LBB233_215
; %bb.214:                              ;   in Loop: Header=BB233_155 Depth=1
	v_mul_f64_e32 v[6:7], 4.0, v[6:7]
	v_mul_f64_e32 v[8:9], 4.0, v[8:9]
	s_mov_b32 s13, exec_lo
.LBB233_215:                            ;   in Loop: Header=BB233_155 Depth=1
	s_or_b32 exec_lo, exec_lo, s14
.LBB233_216:                            ;   in Loop: Header=BB233_155 Depth=1
	s_and_not1_saveexec_b32 s1, s1
	s_cbranch_execz .LBB233_218
; %bb.217:                              ;   in Loop: Header=BB233_155 Depth=1
	s_delay_alu instid0(VALU_DEP_2) | instskip(NEXT) | instid1(VALU_DEP_2)
	v_ldexp_f64 v[6:7], v[6:7], -2
	v_ldexp_f64 v[8:9], v[8:9], -2
	s_and_not1_b32 s13, s13, exec_lo
.LBB233_218:                            ;   in Loop: Header=BB233_155 Depth=1
	s_or_b32 exec_lo, exec_lo, s1
	s_delay_alu instid0(VALU_DEP_1) | instskip(NEXT) | instid1(VALU_DEP_3)
	v_max_num_f64_e64 v[14:15], |v[8:9]|, |v[8:9]|
	v_max_num_f64_e64 v[20:21], |v[6:7]|, |v[6:7]|
	v_cmp_class_f64_e64 s14, v[6:7], 0x204
	v_cmp_class_f64_e64 s15, v[8:9], 0x204
	v_cmp_le_f64_e64 s1, 0, v[6:7]
	s_delay_alu instid0(VALU_DEP_4) | instskip(SKIP_1) | instid1(VALU_DEP_1)
	v_max_num_f64_e32 v[14:15], v[20:21], v[14:15]
	s_or_b32 s14, s15, s14
	v_frexp_exp_i32_f64_e32 v32, v[14:15]
	s_delay_alu instid0(VALU_DEP_1) | instskip(NEXT) | instid1(VALU_DEP_1)
	v_sub_nc_u32_e32 v20, 0, v32
	v_ldexp_f64 v[14:15], |v[8:9]|, v20
	v_ldexp_f64 v[20:21], |v[6:7]|, v20
	s_delay_alu instid0(VALU_DEP_2) | instskip(NEXT) | instid1(VALU_DEP_1)
	v_mul_f64_e32 v[14:15], v[14:15], v[14:15]
	v_fmac_f64_e32 v[14:15], v[20:21], v[20:21]
	s_delay_alu instid0(VALU_DEP_1) | instskip(SKIP_1) | instid1(TRANS32_DEP_1)
	v_rsq_f64_e32 v[20:21], v[14:15]
	v_cmp_eq_f64_e32 vcc_lo, 0, v[14:15]
	v_mul_f64_e32 v[24:25], v[14:15], v[20:21]
	v_mul_f64_e32 v[20:21], 0.5, v[20:21]
	s_delay_alu instid0(VALU_DEP_1) | instskip(NEXT) | instid1(VALU_DEP_1)
	v_fma_f64 v[30:31], -v[20:21], v[24:25], 0.5
	v_fmac_f64_e32 v[24:25], v[24:25], v[30:31]
	v_fmac_f64_e32 v[20:21], v[20:21], v[30:31]
	s_delay_alu instid0(VALU_DEP_2) | instskip(NEXT) | instid1(VALU_DEP_1)
	v_fma_f64 v[30:31], -v[24:25], v[24:25], v[14:15]
	v_fmac_f64_e32 v[24:25], v[30:31], v[20:21]
	s_delay_alu instid0(VALU_DEP_1) | instskip(SKIP_1) | instid1(VALU_DEP_2)
	v_dual_cndmask_b32 v15, v25, v15 :: v_dual_cndmask_b32 v14, v24, v14
	v_cmp_o_f64_e32 vcc_lo, v[8:9], v[8:9]
	v_ldexp_f64 v[14:15], v[14:15], v32
	s_delay_alu instid0(VALU_DEP_1) | instskip(NEXT) | instid1(VALU_DEP_2)
	v_cndmask_b32_e32 v14, 0, v14, vcc_lo
	v_cndmask_b32_e32 v15, 0x7ff80000, v15, vcc_lo
	s_delay_alu instid0(VALU_DEP_2) | instskip(NEXT) | instid1(VALU_DEP_2)
	v_cndmask_b32_e64 v20, v14, 0, s14
	v_cndmask_b32_e64 v21, v15, 0x7ff00000, s14
                                        ; implicit-def: $vgpr14_vgpr15
	s_and_saveexec_b32 s14, s1
	s_delay_alu instid0(SALU_CYCLE_1)
	s_xor_b32 s1, exec_lo, s14
	s_cbranch_execnz .LBB233_271
; %bb.219:                              ;   in Loop: Header=BB233_155 Depth=1
	s_and_not1_saveexec_b32 s1, s1
	s_cbranch_execnz .LBB233_272
.LBB233_220:                            ;   in Loop: Header=BB233_155 Depth=1
	s_or_b32 exec_lo, exec_lo, s1
	s_and_saveexec_b32 s1, s0
	s_delay_alu instid0(SALU_CYCLE_1)
	s_xor_b32 s0, exec_lo, s1
	s_cbranch_execnz .LBB233_273
.LBB233_221:                            ;   in Loop: Header=BB233_155 Depth=1
	s_and_not1_saveexec_b32 s0, s0
	s_cbranch_execz .LBB233_223
.LBB233_222:                            ;   in Loop: Header=BB233_155 Depth=1
	s_delay_alu instid0(VALU_DEP_2) | instskip(NEXT) | instid1(VALU_DEP_2)
	v_add_f64_e32 v[14:15], v[14:15], v[14:15]
	v_add_f64_e32 v[8:9], v[8:9], v[8:9]
.LBB233_223:                            ;   in Loop: Header=BB233_155 Depth=1
	s_or_b32 exec_lo, exec_lo, s0
.LBB233_224:                            ;   in Loop: Header=BB233_155 Depth=1
	s_and_not1_saveexec_b32 s0, s12
	s_cbranch_execz .LBB233_230
; %bb.225:                              ;   in Loop: Header=BB233_155 Depth=1
	s_delay_alu instid0(VALU_DEP_1) | instskip(SKIP_1) | instid1(VALU_DEP_1)
	v_add_f64_e64 v[20:21], v[8:9], -v[8:9]
	s_mov_b32 s1, exec_lo
	v_and_b32_e32 v15, 0x7fffffff, v21
	s_delay_alu instid0(VALU_DEP_2)
	v_mov_b32_e32 v14, v20
	v_cmpx_lt_i64_e32 -1, v[6:7]
	s_xor_b32 s1, exec_lo, s1
; %bb.226:                              ;   in Loop: Header=BB233_155 Depth=1
	v_bfi_b32 v21, 0x7fffffff, v21, v9
	v_mov_b64_e32 v[14:15], v[6:7]
	s_delay_alu instid0(VALU_DEP_2)
	v_mov_b64_e32 v[8:9], v[20:21]
; %bb.227:                              ;   in Loop: Header=BB233_155 Depth=1
	s_and_not1_saveexec_b32 s1, s1
; %bb.228:                              ;   in Loop: Header=BB233_155 Depth=1
	s_delay_alu instid0(VALU_DEP_1) | instskip(NEXT) | instid1(VALU_DEP_1)
	v_bfi_b32 v7, 0x7fffffff, v7, v9
	v_mov_b64_e32 v[8:9], v[6:7]
; %bb.229:                              ;   in Loop: Header=BB233_155 Depth=1
	s_or_b32 exec_lo, exec_lo, s1
.LBB233_230:                            ;   in Loop: Header=BB233_155 Depth=1
	s_delay_alu instid0(SALU_CYCLE_1)
	s_or_b32 exec_lo, exec_lo, s0
.LBB233_231:                            ;   in Loop: Header=BB233_155 Depth=1
	s_and_not1_saveexec_b32 s0, s11
	s_cbranch_execz .LBB233_233
; %bb.232:                              ;   in Loop: Header=BB233_155 Depth=1
	s_delay_alu instid0(VALU_DEP_1) | instskip(NEXT) | instid1(VALU_DEP_1)
	v_add_f64_e64 v[8:9], v[8:9], -v[8:9]
	v_div_scale_f64 v[14:15], vcc_lo, v[8:9], v[8:9], v[8:9]
	s_delay_alu instid0(VALU_DEP_1) | instskip(SKIP_1) | instid1(TRANS32_DEP_1)
	v_rcp_f64_e32 v[20:21], v[14:15]
	v_nop
	v_fma_f64 v[24:25], -v[14:15], v[20:21], 1.0
	s_delay_alu instid0(VALU_DEP_1) | instskip(NEXT) | instid1(VALU_DEP_1)
	v_fmac_f64_e32 v[20:21], v[20:21], v[24:25]
	v_fma_f64 v[24:25], -v[14:15], v[20:21], 1.0
	s_delay_alu instid0(VALU_DEP_1) | instskip(NEXT) | instid1(VALU_DEP_1)
	v_fmac_f64_e32 v[20:21], v[20:21], v[24:25]
	v_mul_f64_e32 v[24:25], v[14:15], v[20:21]
	s_delay_alu instid0(VALU_DEP_1) | instskip(NEXT) | instid1(VALU_DEP_1)
	v_fma_f64 v[14:15], -v[14:15], v[24:25], v[14:15]
	v_div_fmas_f64 v[14:15], v[14:15], v[20:21], v[24:25]
	s_delay_alu instid0(VALU_DEP_1)
	v_div_fixup_f64 v[8:9], v[14:15], v[8:9], v[8:9]
	v_mov_b64_e32 v[14:15], v[6:7]
.LBB233_233:                            ;   in Loop: Header=BB233_155 Depth=1
	s_or_b32 exec_lo, exec_lo, s0
.LBB233_234:                            ;   in Loop: Header=BB233_155 Depth=1
	s_delay_alu instid0(SALU_CYCLE_1)
	s_or_b32 exec_lo, exec_lo, s10
.LBB233_235:                            ;   in Loop: Header=BB233_155 Depth=1
	s_delay_alu instid0(SALU_CYCLE_1) | instskip(SKIP_3) | instid1(SALU_CYCLE_1)
	s_or_b32 exec_lo, exec_lo, s9
	v_cmp_neq_f64_e32 vcc_lo, 0, v[2:3]
	v_cmp_neq_f64_e64 s0, 0, v[4:5]
	s_or_b32 s0, vcc_lo, s0
	s_and_saveexec_b32 s9, s0
	s_cbranch_execz .LBB233_154
; %bb.236:                              ;   in Loop: Header=BB233_155 Depth=1
	v_mov_b64_e32 v[10:11], 0x7ff0000000000000
	s_mov_b32 s10, exec_lo
	v_cmpx_neq_f64_e64 0x7ff00000, |v[4:5]|
	s_cbranch_execz .LBB233_153
; %bb.237:                              ;   in Loop: Header=BB233_155 Depth=1
                                        ; implicit-def: $vgpr10_vgpr11
	s_mov_b32 s0, exec_lo
	v_cmpx_o_f64_e32 v[2:3], v[2:3]
	s_xor_b32 s11, exec_lo, s0
	s_cbranch_execz .LBB233_258
; %bb.238:                              ;   in Loop: Header=BB233_155 Depth=1
                                        ; implicit-def: $vgpr10_vgpr11
	s_mov_b32 s1, exec_lo
	v_cmpx_neq_f64_e64 0x7ff00000, |v[2:3]|
	s_xor_b32 s12, exec_lo, s1
	s_cbranch_execz .LBB233_251
; %bb.239:                              ;   in Loop: Header=BB233_155 Depth=1
	v_max_num_f64_e64 v[6:7], |v[4:5]|, |v[4:5]|
	v_max_num_f64_e64 v[10:11], |v[2:3]|, |v[2:3]|
                                        ; implicit-def: $sgpr13
	s_delay_alu instid0(VALU_DEP_1) | instskip(NEXT) | instid1(VALU_DEP_1)
	v_max_num_f64_e32 v[6:7], v[10:11], v[6:7]
	v_cmp_nle_f64_e64 s0, s[2:3], v[6:7]
	s_and_saveexec_b32 s1, s0
	s_delay_alu instid0(SALU_CYCLE_1)
	s_xor_b32 s1, exec_lo, s1
	s_cbranch_execz .LBB233_243
; %bb.240:                              ;   in Loop: Header=BB233_155 Depth=1
	v_cmp_ge_f64_e64 s13, 0x200000, |v[2:3]|
	v_cmp_ge_f64_e64 s14, 0x200000, |v[4:5]|
	s_and_b32 s15, s13, s14
	s_mov_b32 s13, 0
	s_and_saveexec_b32 s14, s15
	s_cbranch_execz .LBB233_242
; %bb.241:                              ;   in Loop: Header=BB233_155 Depth=1
	v_mul_f64_e32 v[2:3], 4.0, v[2:3]
	v_mul_f64_e32 v[4:5], 4.0, v[4:5]
	s_mov_b32 s13, exec_lo
.LBB233_242:                            ;   in Loop: Header=BB233_155 Depth=1
	s_or_b32 exec_lo, exec_lo, s14
.LBB233_243:                            ;   in Loop: Header=BB233_155 Depth=1
	s_and_not1_saveexec_b32 s1, s1
	s_cbranch_execz .LBB233_245
; %bb.244:                              ;   in Loop: Header=BB233_155 Depth=1
	s_delay_alu instid0(VALU_DEP_2) | instskip(NEXT) | instid1(VALU_DEP_2)
	v_ldexp_f64 v[2:3], v[2:3], -2
	v_ldexp_f64 v[4:5], v[4:5], -2
	s_and_not1_b32 s13, s13, exec_lo
.LBB233_245:                            ;   in Loop: Header=BB233_155 Depth=1
	s_or_b32 exec_lo, exec_lo, s1
	s_delay_alu instid0(VALU_DEP_1) | instskip(NEXT) | instid1(VALU_DEP_3)
	v_max_num_f64_e64 v[6:7], |v[4:5]|, |v[4:5]|
	v_max_num_f64_e64 v[10:11], |v[2:3]|, |v[2:3]|
	v_cmp_class_f64_e64 s14, v[2:3], 0x204
	v_cmp_class_f64_e64 s15, v[4:5], 0x204
	v_cmp_le_f64_e64 s1, 0, v[2:3]
	s_delay_alu instid0(VALU_DEP_4) | instskip(SKIP_1) | instid1(VALU_DEP_1)
	v_max_num_f64_e32 v[6:7], v[10:11], v[6:7]
	s_or_b32 s14, s15, s14
	v_frexp_exp_i32_f64_e32 v30, v[6:7]
	s_delay_alu instid0(VALU_DEP_1) | instskip(NEXT) | instid1(VALU_DEP_1)
	v_sub_nc_u32_e32 v10, 0, v30
	v_ldexp_f64 v[6:7], |v[4:5]|, v10
	v_ldexp_f64 v[10:11], |v[2:3]|, v10
	s_delay_alu instid0(VALU_DEP_2) | instskip(NEXT) | instid1(VALU_DEP_1)
	v_mul_f64_e32 v[6:7], v[6:7], v[6:7]
	v_fmac_f64_e32 v[6:7], v[10:11], v[10:11]
	s_delay_alu instid0(VALU_DEP_1) | instskip(SKIP_1) | instid1(TRANS32_DEP_1)
	v_rsq_f64_e32 v[10:11], v[6:7]
	v_cmp_eq_f64_e32 vcc_lo, 0, v[6:7]
	v_mul_f64_e32 v[20:21], v[6:7], v[10:11]
	v_mul_f64_e32 v[10:11], 0.5, v[10:11]
	s_delay_alu instid0(VALU_DEP_1) | instskip(NEXT) | instid1(VALU_DEP_1)
	v_fma_f64 v[24:25], -v[10:11], v[20:21], 0.5
	v_fmac_f64_e32 v[20:21], v[20:21], v[24:25]
	v_fmac_f64_e32 v[10:11], v[10:11], v[24:25]
	s_delay_alu instid0(VALU_DEP_2) | instskip(NEXT) | instid1(VALU_DEP_1)
	v_fma_f64 v[24:25], -v[20:21], v[20:21], v[6:7]
	v_fmac_f64_e32 v[20:21], v[24:25], v[10:11]
                                        ; implicit-def: $vgpr10_vgpr11
	s_delay_alu instid0(VALU_DEP_1) | instskip(SKIP_1) | instid1(VALU_DEP_2)
	v_dual_cndmask_b32 v7, v21, v7 :: v_dual_cndmask_b32 v6, v20, v6
	v_cmp_o_f64_e32 vcc_lo, v[4:5], v[4:5]
	v_ldexp_f64 v[6:7], v[6:7], v30
	s_delay_alu instid0(VALU_DEP_1) | instskip(NEXT) | instid1(VALU_DEP_2)
	v_cndmask_b32_e32 v6, 0, v6, vcc_lo
	v_cndmask_b32_e32 v7, 0x7ff80000, v7, vcc_lo
	s_delay_alu instid0(VALU_DEP_2) | instskip(NEXT) | instid1(VALU_DEP_2)
	v_cndmask_b32_e64 v6, v6, 0, s14
	v_cndmask_b32_e64 v7, v7, 0x7ff00000, s14
	s_and_saveexec_b32 s14, s1
	s_delay_alu instid0(SALU_CYCLE_1)
	s_xor_b32 s1, exec_lo, s14
	s_cbranch_execnz .LBB233_276
; %bb.246:                              ;   in Loop: Header=BB233_155 Depth=1
	s_and_not1_saveexec_b32 s1, s1
	s_cbranch_execnz .LBB233_277
.LBB233_247:                            ;   in Loop: Header=BB233_155 Depth=1
	s_or_b32 exec_lo, exec_lo, s1
	s_and_saveexec_b32 s1, s0
	s_delay_alu instid0(SALU_CYCLE_1)
	s_xor_b32 s0, exec_lo, s1
	s_cbranch_execnz .LBB233_278
.LBB233_248:                            ;   in Loop: Header=BB233_155 Depth=1
	s_and_not1_saveexec_b32 s0, s0
	s_cbranch_execz .LBB233_250
.LBB233_249:                            ;   in Loop: Header=BB233_155 Depth=1
	s_delay_alu instid0(VALU_DEP_2) | instskip(NEXT) | instid1(VALU_DEP_2)
	v_add_f64_e32 v[10:11], v[10:11], v[10:11]
	v_add_f64_e32 v[4:5], v[4:5], v[4:5]
.LBB233_250:                            ;   in Loop: Header=BB233_155 Depth=1
	s_or_b32 exec_lo, exec_lo, s0
.LBB233_251:                            ;   in Loop: Header=BB233_155 Depth=1
	s_and_not1_saveexec_b32 s0, s12
	s_cbranch_execz .LBB233_257
; %bb.252:                              ;   in Loop: Header=BB233_155 Depth=1
	s_delay_alu instid0(VALU_DEP_1) | instskip(SKIP_1) | instid1(VALU_DEP_1)
	v_add_f64_e64 v[6:7], v[4:5], -v[4:5]
	s_mov_b32 s1, exec_lo
	v_and_b32_e32 v11, 0x7fffffff, v7
	s_delay_alu instid0(VALU_DEP_2)
	v_mov_b32_e32 v10, v6
	v_cmpx_lt_i64_e32 -1, v[2:3]
	s_xor_b32 s1, exec_lo, s1
; %bb.253:                              ;   in Loop: Header=BB233_155 Depth=1
	v_bfi_b32 v7, 0x7fffffff, v7, v5
	v_mov_b64_e32 v[10:11], v[2:3]
	s_delay_alu instid0(VALU_DEP_2)
	v_mov_b64_e32 v[4:5], v[6:7]
; %bb.254:                              ;   in Loop: Header=BB233_155 Depth=1
	s_and_not1_saveexec_b32 s1, s1
; %bb.255:                              ;   in Loop: Header=BB233_155 Depth=1
	s_delay_alu instid0(VALU_DEP_1) | instskip(NEXT) | instid1(VALU_DEP_1)
	v_bfi_b32 v3, 0x7fffffff, v3, v5
	v_mov_b64_e32 v[4:5], v[2:3]
; %bb.256:                              ;   in Loop: Header=BB233_155 Depth=1
	s_or_b32 exec_lo, exec_lo, s1
.LBB233_257:                            ;   in Loop: Header=BB233_155 Depth=1
	s_delay_alu instid0(SALU_CYCLE_1)
	s_or_b32 exec_lo, exec_lo, s0
.LBB233_258:                            ;   in Loop: Header=BB233_155 Depth=1
	s_and_not1_saveexec_b32 s0, s11
	s_cbranch_execz .LBB233_152
; %bb.259:                              ;   in Loop: Header=BB233_155 Depth=1
	s_delay_alu instid0(VALU_DEP_1) | instskip(NEXT) | instid1(VALU_DEP_1)
	v_add_f64_e64 v[4:5], v[4:5], -v[4:5]
	v_div_scale_f64 v[6:7], vcc_lo, v[4:5], v[4:5], v[4:5]
	s_delay_alu instid0(VALU_DEP_1) | instskip(SKIP_1) | instid1(TRANS32_DEP_1)
	v_rcp_f64_e32 v[10:11], v[6:7]
	v_nop
	v_fma_f64 v[20:21], -v[6:7], v[10:11], 1.0
	s_delay_alu instid0(VALU_DEP_1) | instskip(NEXT) | instid1(VALU_DEP_1)
	v_fmac_f64_e32 v[10:11], v[10:11], v[20:21]
	v_fma_f64 v[20:21], -v[6:7], v[10:11], 1.0
	s_delay_alu instid0(VALU_DEP_1) | instskip(NEXT) | instid1(VALU_DEP_1)
	v_fmac_f64_e32 v[10:11], v[10:11], v[20:21]
	v_mul_f64_e32 v[20:21], v[6:7], v[10:11]
	s_delay_alu instid0(VALU_DEP_1) | instskip(NEXT) | instid1(VALU_DEP_1)
	v_fma_f64 v[6:7], -v[6:7], v[20:21], v[6:7]
	v_div_fmas_f64 v[6:7], v[6:7], v[10:11], v[20:21]
	v_mov_b64_e32 v[10:11], v[2:3]
	s_delay_alu instid0(VALU_DEP_2)
	v_div_fixup_f64 v[4:5], v[6:7], v[4:5], v[4:5]
	s_branch .LBB233_152
.LBB233_260:                            ;   in Loop: Header=BB233_155 Depth=1
	s_or_b32 exec_lo, exec_lo, s0
	s_and_not1_saveexec_b32 s0, s11
	s_cbranch_execnz .LBB233_178
	s_branch .LBB233_179
.LBB233_261:                            ;   in Loop: Header=BB233_155 Depth=1
	s_delay_alu instid0(VALU_DEP_1) | instskip(NEXT) | instid1(VALU_DEP_1)
	v_add_f64_e32 v[14:15], v[14:15], v[20:21]
	v_mul_f64_e32 v[14:15], 0.5, v[14:15]
	s_delay_alu instid0(VALU_DEP_1) | instskip(SKIP_1) | instid1(VALU_DEP_1)
	v_cmp_gt_f64_e32 vcc_lo, 0x10000000, v[14:15]
	v_cndmask_b32_e64 v20, 0, 0x100, vcc_lo
	v_ldexp_f64 v[14:15], v[14:15], v20
	s_delay_alu instid0(VALU_DEP_1) | instskip(SKIP_1) | instid1(TRANS32_DEP_1)
	v_rsq_f64_e32 v[20:21], v[14:15]
	v_nop
	v_mul_f64_e32 v[22:23], v[14:15], v[20:21]
	v_mul_f64_e32 v[20:21], 0.5, v[20:21]
	s_delay_alu instid0(VALU_DEP_1) | instskip(NEXT) | instid1(VALU_DEP_1)
	v_fma_f64 v[24:25], -v[20:21], v[22:23], 0.5
	v_fmac_f64_e32 v[22:23], v[22:23], v[24:25]
	v_fmac_f64_e32 v[20:21], v[20:21], v[24:25]
	s_delay_alu instid0(VALU_DEP_2) | instskip(NEXT) | instid1(VALU_DEP_1)
	v_fma_f64 v[24:25], -v[22:23], v[22:23], v[14:15]
	v_fmac_f64_e32 v[22:23], v[24:25], v[20:21]
	s_delay_alu instid0(VALU_DEP_1) | instskip(NEXT) | instid1(VALU_DEP_1)
	v_fma_f64 v[24:25], -v[22:23], v[22:23], v[14:15]
	v_fmac_f64_e32 v[22:23], v[24:25], v[20:21]
	v_cndmask_b32_e64 v20, 0, 0xffffff80, vcc_lo
	v_cmp_class_f64_e64 vcc_lo, v[14:15], 0x260
	s_delay_alu instid0(VALU_DEP_2) | instskip(NEXT) | instid1(VALU_DEP_1)
	v_ldexp_f64 v[20:21], v[22:23], v20
	v_dual_cndmask_b32 v23, v21, v15 :: v_dual_cndmask_b32 v22, v20, v14
	s_delay_alu instid0(VALU_DEP_1) | instskip(NEXT) | instid1(VALU_DEP_1)
	v_add_f64_e32 v[14:15], v[22:23], v[22:23]
	v_div_scale_f64 v[20:21], null, v[14:15], v[14:15], v[16:17]
	s_delay_alu instid0(VALU_DEP_1) | instskip(SKIP_1) | instid1(TRANS32_DEP_1)
	v_rcp_f64_e32 v[24:25], v[20:21]
	v_nop
	v_fma_f64 v[30:31], -v[20:21], v[24:25], 1.0
	s_delay_alu instid0(VALU_DEP_1) | instskip(NEXT) | instid1(VALU_DEP_1)
	v_fmac_f64_e32 v[24:25], v[24:25], v[30:31]
	v_fma_f64 v[30:31], -v[20:21], v[24:25], 1.0
	s_delay_alu instid0(VALU_DEP_1) | instskip(SKIP_1) | instid1(VALU_DEP_1)
	v_fmac_f64_e32 v[24:25], v[24:25], v[30:31]
	v_div_scale_f64 v[30:31], vcc_lo, v[16:17], v[14:15], v[16:17]
	v_mul_f64_e32 v[32:33], v[30:31], v[24:25]
	s_delay_alu instid0(VALU_DEP_1) | instskip(NEXT) | instid1(VALU_DEP_1)
	v_fma_f64 v[20:21], -v[20:21], v[32:33], v[30:31]
	v_div_fmas_f64 v[20:21], v[20:21], v[24:25], v[32:33]
	s_delay_alu instid0(VALU_DEP_1)
	v_div_fixup_f64 v[16:17], v[20:21], v[14:15], v[16:17]
                                        ; implicit-def: $vgpr20_vgpr21
	s_and_not1_saveexec_b32 s1, s1
	s_cbranch_execz .LBB233_167
.LBB233_262:                            ;   in Loop: Header=BB233_155 Depth=1
	v_add_f64_e64 v[14:15], v[20:21], -v[14:15]
	s_delay_alu instid0(VALU_DEP_1) | instskip(NEXT) | instid1(VALU_DEP_1)
	v_mul_f64_e32 v[14:15], 0.5, v[14:15]
	v_cmp_gt_f64_e32 vcc_lo, 0x10000000, v[14:15]
	v_cndmask_b32_e64 v20, 0, 0x100, vcc_lo
	s_delay_alu instid0(VALU_DEP_1) | instskip(NEXT) | instid1(VALU_DEP_1)
	v_ldexp_f64 v[14:15], v[14:15], v20
	v_rsq_f64_e32 v[20:21], v[14:15]
	v_nop
	s_delay_alu instid0(TRANS32_DEP_1) | instskip(SKIP_1) | instid1(VALU_DEP_1)
	v_mul_f64_e32 v[22:23], v[14:15], v[20:21]
	v_mul_f64_e32 v[20:21], 0.5, v[20:21]
	v_fma_f64 v[24:25], -v[20:21], v[22:23], 0.5
	s_delay_alu instid0(VALU_DEP_1) | instskip(SKIP_1) | instid1(VALU_DEP_2)
	v_fmac_f64_e32 v[22:23], v[22:23], v[24:25]
	v_fmac_f64_e32 v[20:21], v[20:21], v[24:25]
	v_fma_f64 v[24:25], -v[22:23], v[22:23], v[14:15]
	s_delay_alu instid0(VALU_DEP_1) | instskip(NEXT) | instid1(VALU_DEP_1)
	v_fmac_f64_e32 v[22:23], v[24:25], v[20:21]
	v_fma_f64 v[24:25], -v[22:23], v[22:23], v[14:15]
	s_delay_alu instid0(VALU_DEP_1) | instskip(SKIP_2) | instid1(VALU_DEP_2)
	v_fmac_f64_e32 v[22:23], v[24:25], v[20:21]
	v_cndmask_b32_e64 v20, 0, 0xffffff80, vcc_lo
	v_cmp_class_f64_e64 vcc_lo, v[14:15], 0x260
	v_ldexp_f64 v[20:21], v[22:23], v20
	v_and_b32_e32 v23, 0x7fffffff, v17
	s_delay_alu instid0(VALU_DEP_2) | instskip(NEXT) | instid1(VALU_DEP_3)
	v_dual_mov_b32 v22, v16 :: v_dual_cndmask_b32 v15, v21, v15
	v_cndmask_b32_e32 v14, v20, v14, vcc_lo
	s_delay_alu instid0(VALU_DEP_1) | instskip(SKIP_1) | instid1(VALU_DEP_2)
	v_add_f64_e32 v[20:21], v[14:15], v[14:15]
	v_bfi_b32 v15, 0x7fffffff, v15, v17
	v_div_scale_f64 v[24:25], null, v[20:21], v[20:21], v[22:23]
	v_div_scale_f64 v[22:23], vcc_lo, v[22:23], v[20:21], v[22:23]
	s_delay_alu instid0(VALU_DEP_2) | instskip(SKIP_1) | instid1(TRANS32_DEP_1)
	v_rcp_f64_e32 v[30:31], v[24:25]
	v_nop
	v_fma_f64 v[32:33], -v[24:25], v[30:31], 1.0
	s_delay_alu instid0(VALU_DEP_1) | instskip(NEXT) | instid1(VALU_DEP_1)
	v_fmac_f64_e32 v[30:31], v[30:31], v[32:33]
	v_fma_f64 v[32:33], -v[24:25], v[30:31], 1.0
	s_delay_alu instid0(VALU_DEP_1) | instskip(NEXT) | instid1(VALU_DEP_1)
	v_fmac_f64_e32 v[30:31], v[30:31], v[32:33]
	v_mul_f64_e32 v[32:33], v[22:23], v[30:31]
	s_delay_alu instid0(VALU_DEP_1) | instskip(NEXT) | instid1(VALU_DEP_1)
	v_fma_f64 v[22:23], -v[24:25], v[32:33], v[22:23]
	v_div_fmas_f64 v[22:23], v[22:23], v[30:31], v[32:33]
	s_delay_alu instid0(VALU_DEP_1) | instskip(SKIP_3) | instid1(SALU_CYCLE_1)
	v_div_fixup_f64 v[22:23], v[22:23], v[20:21], |v[16:17]|
	v_mov_b64_e32 v[16:17], v[14:15]
	s_or_b32 exec_lo, exec_lo, s1
	s_and_saveexec_b32 s1, s0
	s_xor_b32 s0, exec_lo, s1
	s_cbranch_execz .LBB233_168
.LBB233_263:                            ;   in Loop: Header=BB233_155 Depth=1
	s_and_saveexec_b32 s1, s13
	s_cbranch_execz .LBB233_265
; %bb.264:                              ;   in Loop: Header=BB233_155 Depth=1
	s_delay_alu instid0(VALU_DEP_2) | instskip(NEXT) | instid1(VALU_DEP_2)
	v_mul_f64_e32 v[22:23], 0.5, v[22:23]
	v_mul_f64_e32 v[16:17], 0.5, v[16:17]
.LBB233_265:                            ;   in Loop: Header=BB233_155 Depth=1
	s_or_b32 exec_lo, exec_lo, s1
	s_and_not1_saveexec_b32 s0, s0
	s_cbranch_execnz .LBB233_169
	s_branch .LBB233_170
.LBB233_266:                            ;   in Loop: Header=BB233_155 Depth=1
	s_delay_alu instid0(VALU_DEP_1) | instskip(NEXT) | instid1(VALU_DEP_1)
	v_add_f64_e32 v[10:11], v[10:11], v[14:15]
	v_mul_f64_e32 v[10:11], 0.5, v[10:11]
	s_delay_alu instid0(VALU_DEP_1) | instskip(SKIP_1) | instid1(VALU_DEP_1)
	v_cmp_gt_f64_e32 vcc_lo, 0x10000000, v[10:11]
	v_cndmask_b32_e64 v14, 0, 0x100, vcc_lo
	v_ldexp_f64 v[10:11], v[10:11], v14
	s_delay_alu instid0(VALU_DEP_1) | instskip(SKIP_1) | instid1(TRANS32_DEP_1)
	v_rsq_f64_e32 v[14:15], v[10:11]
	v_nop
	v_mul_f64_e32 v[18:19], v[10:11], v[14:15]
	v_mul_f64_e32 v[14:15], 0.5, v[14:15]
	s_delay_alu instid0(VALU_DEP_1) | instskip(NEXT) | instid1(VALU_DEP_1)
	v_fma_f64 v[20:21], -v[14:15], v[18:19], 0.5
	v_fmac_f64_e32 v[18:19], v[18:19], v[20:21]
	v_fmac_f64_e32 v[14:15], v[14:15], v[20:21]
	s_delay_alu instid0(VALU_DEP_2) | instskip(NEXT) | instid1(VALU_DEP_1)
	v_fma_f64 v[20:21], -v[18:19], v[18:19], v[10:11]
	v_fmac_f64_e32 v[18:19], v[20:21], v[14:15]
	s_delay_alu instid0(VALU_DEP_1) | instskip(NEXT) | instid1(VALU_DEP_1)
	v_fma_f64 v[20:21], -v[18:19], v[18:19], v[10:11]
	v_fmac_f64_e32 v[18:19], v[20:21], v[14:15]
	v_cndmask_b32_e64 v14, 0, 0xffffff80, vcc_lo
	v_cmp_class_f64_e64 vcc_lo, v[10:11], 0x260
	s_delay_alu instid0(VALU_DEP_2) | instskip(NEXT) | instid1(VALU_DEP_1)
	v_ldexp_f64 v[14:15], v[18:19], v14
	v_dual_cndmask_b32 v19, v15, v11 :: v_dual_cndmask_b32 v18, v14, v10
	s_delay_alu instid0(VALU_DEP_1) | instskip(NEXT) | instid1(VALU_DEP_1)
	v_add_f64_e32 v[10:11], v[18:19], v[18:19]
	v_div_scale_f64 v[14:15], null, v[10:11], v[10:11], v[12:13]
	s_delay_alu instid0(VALU_DEP_1) | instskip(SKIP_1) | instid1(TRANS32_DEP_1)
	v_rcp_f64_e32 v[20:21], v[14:15]
	v_nop
	v_fma_f64 v[24:25], -v[14:15], v[20:21], 1.0
	s_delay_alu instid0(VALU_DEP_1) | instskip(NEXT) | instid1(VALU_DEP_1)
	v_fmac_f64_e32 v[20:21], v[20:21], v[24:25]
	v_fma_f64 v[24:25], -v[14:15], v[20:21], 1.0
	s_delay_alu instid0(VALU_DEP_1) | instskip(SKIP_1) | instid1(VALU_DEP_1)
	v_fmac_f64_e32 v[20:21], v[20:21], v[24:25]
	v_div_scale_f64 v[24:25], vcc_lo, v[12:13], v[10:11], v[12:13]
	v_mul_f64_e32 v[30:31], v[24:25], v[20:21]
	s_delay_alu instid0(VALU_DEP_1) | instskip(NEXT) | instid1(VALU_DEP_1)
	v_fma_f64 v[14:15], -v[14:15], v[30:31], v[24:25]
	v_div_fmas_f64 v[14:15], v[14:15], v[20:21], v[30:31]
	s_delay_alu instid0(VALU_DEP_1)
	v_div_fixup_f64 v[12:13], v[14:15], v[10:11], v[12:13]
                                        ; implicit-def: $vgpr14_vgpr15
	s_and_not1_saveexec_b32 s1, s1
	s_cbranch_execz .LBB233_193
.LBB233_267:                            ;   in Loop: Header=BB233_155 Depth=1
	v_add_f64_e64 v[10:11], v[14:15], -v[10:11]
	s_delay_alu instid0(VALU_DEP_1) | instskip(NEXT) | instid1(VALU_DEP_1)
	v_mul_f64_e32 v[10:11], 0.5, v[10:11]
	v_cmp_gt_f64_e32 vcc_lo, 0x10000000, v[10:11]
	v_cndmask_b32_e64 v14, 0, 0x100, vcc_lo
	s_delay_alu instid0(VALU_DEP_1) | instskip(NEXT) | instid1(VALU_DEP_1)
	v_ldexp_f64 v[10:11], v[10:11], v14
	v_rsq_f64_e32 v[14:15], v[10:11]
	v_nop
	s_delay_alu instid0(TRANS32_DEP_1) | instskip(SKIP_1) | instid1(VALU_DEP_1)
	v_mul_f64_e32 v[18:19], v[10:11], v[14:15]
	v_mul_f64_e32 v[14:15], 0.5, v[14:15]
	v_fma_f64 v[20:21], -v[14:15], v[18:19], 0.5
	s_delay_alu instid0(VALU_DEP_1) | instskip(SKIP_1) | instid1(VALU_DEP_2)
	v_fmac_f64_e32 v[18:19], v[18:19], v[20:21]
	v_fmac_f64_e32 v[14:15], v[14:15], v[20:21]
	v_fma_f64 v[20:21], -v[18:19], v[18:19], v[10:11]
	s_delay_alu instid0(VALU_DEP_1) | instskip(NEXT) | instid1(VALU_DEP_1)
	v_fmac_f64_e32 v[18:19], v[20:21], v[14:15]
	v_fma_f64 v[20:21], -v[18:19], v[18:19], v[10:11]
	s_delay_alu instid0(VALU_DEP_1) | instskip(SKIP_2) | instid1(VALU_DEP_2)
	v_fmac_f64_e32 v[18:19], v[20:21], v[14:15]
	v_cndmask_b32_e64 v14, 0, 0xffffff80, vcc_lo
	v_cmp_class_f64_e64 vcc_lo, v[10:11], 0x260
	v_ldexp_f64 v[14:15], v[18:19], v14
	v_and_b32_e32 v19, 0x7fffffff, v13
	s_delay_alu instid0(VALU_DEP_2) | instskip(NEXT) | instid1(VALU_DEP_3)
	v_dual_mov_b32 v18, v12 :: v_dual_cndmask_b32 v11, v15, v11
	v_cndmask_b32_e32 v10, v14, v10, vcc_lo
	s_delay_alu instid0(VALU_DEP_1) | instskip(SKIP_1) | instid1(VALU_DEP_2)
	v_add_f64_e32 v[14:15], v[10:11], v[10:11]
	v_bfi_b32 v11, 0x7fffffff, v11, v13
	v_div_scale_f64 v[20:21], null, v[14:15], v[14:15], v[18:19]
	v_div_scale_f64 v[18:19], vcc_lo, v[18:19], v[14:15], v[18:19]
	s_delay_alu instid0(VALU_DEP_2) | instskip(SKIP_1) | instid1(TRANS32_DEP_1)
	v_rcp_f64_e32 v[24:25], v[20:21]
	v_nop
	v_fma_f64 v[30:31], -v[20:21], v[24:25], 1.0
	s_delay_alu instid0(VALU_DEP_1) | instskip(NEXT) | instid1(VALU_DEP_1)
	v_fmac_f64_e32 v[24:25], v[24:25], v[30:31]
	v_fma_f64 v[30:31], -v[20:21], v[24:25], 1.0
	s_delay_alu instid0(VALU_DEP_1) | instskip(NEXT) | instid1(VALU_DEP_1)
	v_fmac_f64_e32 v[24:25], v[24:25], v[30:31]
	v_mul_f64_e32 v[30:31], v[18:19], v[24:25]
	s_delay_alu instid0(VALU_DEP_1) | instskip(NEXT) | instid1(VALU_DEP_1)
	v_fma_f64 v[18:19], -v[20:21], v[30:31], v[18:19]
	v_div_fmas_f64 v[18:19], v[18:19], v[24:25], v[30:31]
	s_delay_alu instid0(VALU_DEP_1) | instskip(SKIP_3) | instid1(SALU_CYCLE_1)
	v_div_fixup_f64 v[18:19], v[18:19], v[14:15], |v[12:13]|
	v_mov_b64_e32 v[12:13], v[10:11]
	s_or_b32 exec_lo, exec_lo, s1
	s_and_saveexec_b32 s1, s0
	s_xor_b32 s0, exec_lo, s1
	s_cbranch_execz .LBB233_194
.LBB233_268:                            ;   in Loop: Header=BB233_155 Depth=1
	s_and_saveexec_b32 s1, s13
	s_cbranch_execz .LBB233_270
; %bb.269:                              ;   in Loop: Header=BB233_155 Depth=1
	s_delay_alu instid0(VALU_DEP_2) | instskip(NEXT) | instid1(VALU_DEP_2)
	v_mul_f64_e32 v[18:19], 0.5, v[18:19]
	v_mul_f64_e32 v[12:13], 0.5, v[12:13]
.LBB233_270:                            ;   in Loop: Header=BB233_155 Depth=1
	s_or_b32 exec_lo, exec_lo, s1
	s_and_not1_saveexec_b32 s0, s0
	s_cbranch_execnz .LBB233_195
	s_branch .LBB233_196
.LBB233_271:                            ;   in Loop: Header=BB233_155 Depth=1
	s_delay_alu instid0(VALU_DEP_1) | instskip(NEXT) | instid1(VALU_DEP_1)
	v_add_f64_e32 v[6:7], v[6:7], v[20:21]
	v_mul_f64_e32 v[6:7], 0.5, v[6:7]
	s_delay_alu instid0(VALU_DEP_1) | instskip(SKIP_1) | instid1(VALU_DEP_1)
	v_cmp_gt_f64_e32 vcc_lo, 0x10000000, v[6:7]
	v_cndmask_b32_e64 v14, 0, 0x100, vcc_lo
	v_ldexp_f64 v[6:7], v[6:7], v14
	s_delay_alu instid0(VALU_DEP_1) | instskip(SKIP_1) | instid1(TRANS32_DEP_1)
	v_rsq_f64_e32 v[14:15], v[6:7]
	v_nop
	v_mul_f64_e32 v[20:21], v[6:7], v[14:15]
	v_mul_f64_e32 v[14:15], 0.5, v[14:15]
	s_delay_alu instid0(VALU_DEP_1) | instskip(NEXT) | instid1(VALU_DEP_1)
	v_fma_f64 v[24:25], -v[14:15], v[20:21], 0.5
	v_fmac_f64_e32 v[20:21], v[20:21], v[24:25]
	v_fmac_f64_e32 v[14:15], v[14:15], v[24:25]
	s_delay_alu instid0(VALU_DEP_2) | instskip(NEXT) | instid1(VALU_DEP_1)
	v_fma_f64 v[24:25], -v[20:21], v[20:21], v[6:7]
	v_fmac_f64_e32 v[20:21], v[24:25], v[14:15]
	s_delay_alu instid0(VALU_DEP_1) | instskip(NEXT) | instid1(VALU_DEP_1)
	v_fma_f64 v[24:25], -v[20:21], v[20:21], v[6:7]
	v_fmac_f64_e32 v[20:21], v[24:25], v[14:15]
	v_cndmask_b32_e64 v14, 0, 0xffffff80, vcc_lo
	v_cmp_class_f64_e64 vcc_lo, v[6:7], 0x260
	s_delay_alu instid0(VALU_DEP_2) | instskip(NEXT) | instid1(VALU_DEP_1)
	v_ldexp_f64 v[14:15], v[20:21], v14
	v_dual_cndmask_b32 v15, v15, v7 :: v_dual_cndmask_b32 v14, v14, v6
	s_delay_alu instid0(VALU_DEP_1) | instskip(NEXT) | instid1(VALU_DEP_1)
	v_add_f64_e32 v[6:7], v[14:15], v[14:15]
	v_div_scale_f64 v[20:21], null, v[6:7], v[6:7], v[8:9]
	s_delay_alu instid0(VALU_DEP_1) | instskip(SKIP_1) | instid1(TRANS32_DEP_1)
	v_rcp_f64_e32 v[24:25], v[20:21]
	v_nop
	v_fma_f64 v[30:31], -v[20:21], v[24:25], 1.0
	s_delay_alu instid0(VALU_DEP_1) | instskip(NEXT) | instid1(VALU_DEP_1)
	v_fmac_f64_e32 v[24:25], v[24:25], v[30:31]
	v_fma_f64 v[30:31], -v[20:21], v[24:25], 1.0
	s_delay_alu instid0(VALU_DEP_1) | instskip(SKIP_1) | instid1(VALU_DEP_1)
	v_fmac_f64_e32 v[24:25], v[24:25], v[30:31]
	v_div_scale_f64 v[30:31], vcc_lo, v[8:9], v[6:7], v[8:9]
	v_mul_f64_e32 v[32:33], v[30:31], v[24:25]
	s_delay_alu instid0(VALU_DEP_1) | instskip(NEXT) | instid1(VALU_DEP_1)
	v_fma_f64 v[20:21], -v[20:21], v[32:33], v[30:31]
	v_div_fmas_f64 v[20:21], v[20:21], v[24:25], v[32:33]
	s_delay_alu instid0(VALU_DEP_1)
	v_div_fixup_f64 v[8:9], v[20:21], v[6:7], v[8:9]
                                        ; implicit-def: $vgpr20_vgpr21
	s_and_not1_saveexec_b32 s1, s1
	s_cbranch_execz .LBB233_220
.LBB233_272:                            ;   in Loop: Header=BB233_155 Depth=1
	v_add_f64_e64 v[6:7], v[20:21], -v[6:7]
	s_delay_alu instid0(VALU_DEP_1) | instskip(NEXT) | instid1(VALU_DEP_1)
	v_mul_f64_e32 v[6:7], 0.5, v[6:7]
	v_cmp_gt_f64_e32 vcc_lo, 0x10000000, v[6:7]
	v_cndmask_b32_e64 v14, 0, 0x100, vcc_lo
	s_delay_alu instid0(VALU_DEP_1) | instskip(NEXT) | instid1(VALU_DEP_1)
	v_ldexp_f64 v[6:7], v[6:7], v14
	v_rsq_f64_e32 v[14:15], v[6:7]
	v_nop
	s_delay_alu instid0(TRANS32_DEP_1) | instskip(SKIP_1) | instid1(VALU_DEP_1)
	v_mul_f64_e32 v[20:21], v[6:7], v[14:15]
	v_mul_f64_e32 v[14:15], 0.5, v[14:15]
	v_fma_f64 v[24:25], -v[14:15], v[20:21], 0.5
	s_delay_alu instid0(VALU_DEP_1) | instskip(SKIP_1) | instid1(VALU_DEP_2)
	v_fmac_f64_e32 v[20:21], v[20:21], v[24:25]
	v_fmac_f64_e32 v[14:15], v[14:15], v[24:25]
	v_fma_f64 v[24:25], -v[20:21], v[20:21], v[6:7]
	s_delay_alu instid0(VALU_DEP_1) | instskip(NEXT) | instid1(VALU_DEP_1)
	v_fmac_f64_e32 v[20:21], v[24:25], v[14:15]
	v_fma_f64 v[24:25], -v[20:21], v[20:21], v[6:7]
	s_delay_alu instid0(VALU_DEP_1) | instskip(SKIP_2) | instid1(VALU_DEP_2)
	v_fmac_f64_e32 v[20:21], v[24:25], v[14:15]
	v_cndmask_b32_e64 v14, 0, 0xffffff80, vcc_lo
	v_cmp_class_f64_e64 vcc_lo, v[6:7], 0x260
	v_ldexp_f64 v[14:15], v[20:21], v14
	v_and_b32_e32 v21, 0x7fffffff, v9
	s_delay_alu instid0(VALU_DEP_2) | instskip(NEXT) | instid1(VALU_DEP_3)
	v_dual_mov_b32 v20, v8 :: v_dual_cndmask_b32 v7, v15, v7
	v_cndmask_b32_e32 v6, v14, v6, vcc_lo
	s_delay_alu instid0(VALU_DEP_1) | instskip(SKIP_1) | instid1(VALU_DEP_2)
	v_add_f64_e32 v[14:15], v[6:7], v[6:7]
	v_bfi_b32 v7, 0x7fffffff, v7, v9
	v_div_scale_f64 v[24:25], null, v[14:15], v[14:15], v[20:21]
	v_div_scale_f64 v[20:21], vcc_lo, v[20:21], v[14:15], v[20:21]
	s_delay_alu instid0(VALU_DEP_2) | instskip(SKIP_1) | instid1(TRANS32_DEP_1)
	v_rcp_f64_e32 v[30:31], v[24:25]
	v_nop
	v_fma_f64 v[32:33], -v[24:25], v[30:31], 1.0
	s_delay_alu instid0(VALU_DEP_1) | instskip(NEXT) | instid1(VALU_DEP_1)
	v_fmac_f64_e32 v[30:31], v[30:31], v[32:33]
	v_fma_f64 v[32:33], -v[24:25], v[30:31], 1.0
	s_delay_alu instid0(VALU_DEP_1) | instskip(NEXT) | instid1(VALU_DEP_1)
	v_fmac_f64_e32 v[30:31], v[30:31], v[32:33]
	v_mul_f64_e32 v[32:33], v[20:21], v[30:31]
	s_delay_alu instid0(VALU_DEP_1) | instskip(NEXT) | instid1(VALU_DEP_1)
	v_fma_f64 v[20:21], -v[24:25], v[32:33], v[20:21]
	v_div_fmas_f64 v[20:21], v[20:21], v[30:31], v[32:33]
	s_delay_alu instid0(VALU_DEP_1) | instskip(SKIP_3) | instid1(SALU_CYCLE_1)
	v_div_fixup_f64 v[14:15], v[20:21], v[14:15], |v[8:9]|
	v_mov_b64_e32 v[8:9], v[6:7]
	s_or_b32 exec_lo, exec_lo, s1
	s_and_saveexec_b32 s1, s0
	s_xor_b32 s0, exec_lo, s1
	s_cbranch_execz .LBB233_221
.LBB233_273:                            ;   in Loop: Header=BB233_155 Depth=1
	s_and_saveexec_b32 s1, s13
	s_cbranch_execz .LBB233_275
; %bb.274:                              ;   in Loop: Header=BB233_155 Depth=1
	s_delay_alu instid0(VALU_DEP_2) | instskip(NEXT) | instid1(VALU_DEP_2)
	v_mul_f64_e32 v[14:15], 0.5, v[14:15]
	v_mul_f64_e32 v[8:9], 0.5, v[8:9]
.LBB233_275:                            ;   in Loop: Header=BB233_155 Depth=1
	s_or_b32 exec_lo, exec_lo, s1
	s_and_not1_saveexec_b32 s0, s0
	s_cbranch_execnz .LBB233_222
	s_branch .LBB233_223
.LBB233_276:                            ;   in Loop: Header=BB233_155 Depth=1
	s_delay_alu instid0(VALU_DEP_1) | instskip(NEXT) | instid1(VALU_DEP_1)
	v_add_f64_e32 v[2:3], v[2:3], v[6:7]
	v_mul_f64_e32 v[2:3], 0.5, v[2:3]
	s_delay_alu instid0(VALU_DEP_1) | instskip(SKIP_1) | instid1(VALU_DEP_1)
	v_cmp_gt_f64_e32 vcc_lo, 0x10000000, v[2:3]
	v_cndmask_b32_e64 v6, 0, 0x100, vcc_lo
	v_ldexp_f64 v[2:3], v[2:3], v6
	s_delay_alu instid0(VALU_DEP_1) | instskip(SKIP_1) | instid1(TRANS32_DEP_1)
	v_rsq_f64_e32 v[6:7], v[2:3]
	v_nop
	v_mul_f64_e32 v[10:11], v[2:3], v[6:7]
	v_mul_f64_e32 v[6:7], 0.5, v[6:7]
	s_delay_alu instid0(VALU_DEP_1) | instskip(NEXT) | instid1(VALU_DEP_1)
	v_fma_f64 v[20:21], -v[6:7], v[10:11], 0.5
	v_fmac_f64_e32 v[10:11], v[10:11], v[20:21]
	v_fmac_f64_e32 v[6:7], v[6:7], v[20:21]
	s_delay_alu instid0(VALU_DEP_2) | instskip(NEXT) | instid1(VALU_DEP_1)
	v_fma_f64 v[20:21], -v[10:11], v[10:11], v[2:3]
	v_fmac_f64_e32 v[10:11], v[20:21], v[6:7]
	s_delay_alu instid0(VALU_DEP_1) | instskip(NEXT) | instid1(VALU_DEP_1)
	v_fma_f64 v[20:21], -v[10:11], v[10:11], v[2:3]
	v_fmac_f64_e32 v[10:11], v[20:21], v[6:7]
	v_cndmask_b32_e64 v6, 0, 0xffffff80, vcc_lo
	v_cmp_class_f64_e64 vcc_lo, v[2:3], 0x260
	s_delay_alu instid0(VALU_DEP_2) | instskip(NEXT) | instid1(VALU_DEP_1)
	v_ldexp_f64 v[6:7], v[10:11], v6
	v_dual_cndmask_b32 v11, v7, v3 :: v_dual_cndmask_b32 v10, v6, v2
	s_delay_alu instid0(VALU_DEP_1) | instskip(NEXT) | instid1(VALU_DEP_1)
	v_add_f64_e32 v[2:3], v[10:11], v[10:11]
	v_div_scale_f64 v[6:7], null, v[2:3], v[2:3], v[4:5]
	s_delay_alu instid0(VALU_DEP_1) | instskip(SKIP_1) | instid1(TRANS32_DEP_1)
	v_rcp_f64_e32 v[20:21], v[6:7]
	v_nop
	v_fma_f64 v[24:25], -v[6:7], v[20:21], 1.0
	s_delay_alu instid0(VALU_DEP_1) | instskip(NEXT) | instid1(VALU_DEP_1)
	v_fmac_f64_e32 v[20:21], v[20:21], v[24:25]
	v_fma_f64 v[24:25], -v[6:7], v[20:21], 1.0
	s_delay_alu instid0(VALU_DEP_1) | instskip(SKIP_1) | instid1(VALU_DEP_1)
	v_fmac_f64_e32 v[20:21], v[20:21], v[24:25]
	v_div_scale_f64 v[24:25], vcc_lo, v[4:5], v[2:3], v[4:5]
	v_mul_f64_e32 v[30:31], v[24:25], v[20:21]
	s_delay_alu instid0(VALU_DEP_1) | instskip(NEXT) | instid1(VALU_DEP_1)
	v_fma_f64 v[6:7], -v[6:7], v[30:31], v[24:25]
	v_div_fmas_f64 v[6:7], v[6:7], v[20:21], v[30:31]
	s_delay_alu instid0(VALU_DEP_1)
	v_div_fixup_f64 v[4:5], v[6:7], v[2:3], v[4:5]
                                        ; implicit-def: $vgpr6_vgpr7
	s_and_not1_saveexec_b32 s1, s1
	s_cbranch_execz .LBB233_247
.LBB233_277:                            ;   in Loop: Header=BB233_155 Depth=1
	v_add_f64_e64 v[2:3], v[6:7], -v[2:3]
	s_delay_alu instid0(VALU_DEP_1) | instskip(NEXT) | instid1(VALU_DEP_1)
	v_mul_f64_e32 v[2:3], 0.5, v[2:3]
	v_cmp_gt_f64_e32 vcc_lo, 0x10000000, v[2:3]
	v_cndmask_b32_e64 v6, 0, 0x100, vcc_lo
	s_delay_alu instid0(VALU_DEP_1) | instskip(NEXT) | instid1(VALU_DEP_1)
	v_ldexp_f64 v[2:3], v[2:3], v6
	v_rsq_f64_e32 v[6:7], v[2:3]
	v_nop
	s_delay_alu instid0(TRANS32_DEP_1) | instskip(SKIP_1) | instid1(VALU_DEP_1)
	v_mul_f64_e32 v[10:11], v[2:3], v[6:7]
	v_mul_f64_e32 v[6:7], 0.5, v[6:7]
	v_fma_f64 v[20:21], -v[6:7], v[10:11], 0.5
	s_delay_alu instid0(VALU_DEP_1) | instskip(SKIP_1) | instid1(VALU_DEP_2)
	v_fmac_f64_e32 v[10:11], v[10:11], v[20:21]
	v_fmac_f64_e32 v[6:7], v[6:7], v[20:21]
	v_fma_f64 v[20:21], -v[10:11], v[10:11], v[2:3]
	s_delay_alu instid0(VALU_DEP_1) | instskip(NEXT) | instid1(VALU_DEP_1)
	v_fmac_f64_e32 v[10:11], v[20:21], v[6:7]
	v_fma_f64 v[20:21], -v[10:11], v[10:11], v[2:3]
	s_delay_alu instid0(VALU_DEP_1) | instskip(SKIP_2) | instid1(VALU_DEP_2)
	v_fmac_f64_e32 v[10:11], v[20:21], v[6:7]
	v_cndmask_b32_e64 v6, 0, 0xffffff80, vcc_lo
	v_cmp_class_f64_e64 vcc_lo, v[2:3], 0x260
	v_ldexp_f64 v[6:7], v[10:11], v6
	v_and_b32_e32 v11, 0x7fffffff, v5
	s_delay_alu instid0(VALU_DEP_2) | instskip(NEXT) | instid1(VALU_DEP_3)
	v_dual_mov_b32 v10, v4 :: v_dual_cndmask_b32 v3, v7, v3
	v_cndmask_b32_e32 v2, v6, v2, vcc_lo
	s_delay_alu instid0(VALU_DEP_1) | instskip(SKIP_1) | instid1(VALU_DEP_2)
	v_add_f64_e32 v[6:7], v[2:3], v[2:3]
	v_bfi_b32 v3, 0x7fffffff, v3, v5
	v_div_scale_f64 v[20:21], null, v[6:7], v[6:7], v[10:11]
	v_div_scale_f64 v[10:11], vcc_lo, v[10:11], v[6:7], v[10:11]
	s_delay_alu instid0(VALU_DEP_2) | instskip(SKIP_1) | instid1(TRANS32_DEP_1)
	v_rcp_f64_e32 v[24:25], v[20:21]
	v_nop
	v_fma_f64 v[30:31], -v[20:21], v[24:25], 1.0
	s_delay_alu instid0(VALU_DEP_1) | instskip(NEXT) | instid1(VALU_DEP_1)
	v_fmac_f64_e32 v[24:25], v[24:25], v[30:31]
	v_fma_f64 v[30:31], -v[20:21], v[24:25], 1.0
	s_delay_alu instid0(VALU_DEP_1) | instskip(NEXT) | instid1(VALU_DEP_1)
	v_fmac_f64_e32 v[24:25], v[24:25], v[30:31]
	v_mul_f64_e32 v[30:31], v[10:11], v[24:25]
	s_delay_alu instid0(VALU_DEP_1) | instskip(NEXT) | instid1(VALU_DEP_1)
	v_fma_f64 v[10:11], -v[20:21], v[30:31], v[10:11]
	v_div_fmas_f64 v[10:11], v[10:11], v[24:25], v[30:31]
	s_delay_alu instid0(VALU_DEP_1) | instskip(SKIP_3) | instid1(SALU_CYCLE_1)
	v_div_fixup_f64 v[10:11], v[10:11], v[6:7], |v[4:5]|
	v_mov_b64_e32 v[4:5], v[2:3]
	s_or_b32 exec_lo, exec_lo, s1
	s_and_saveexec_b32 s1, s0
	s_xor_b32 s0, exec_lo, s1
	s_cbranch_execz .LBB233_248
.LBB233_278:                            ;   in Loop: Header=BB233_155 Depth=1
	s_and_saveexec_b32 s1, s13
	s_cbranch_execz .LBB233_280
; %bb.279:                              ;   in Loop: Header=BB233_155 Depth=1
	s_delay_alu instid0(VALU_DEP_2) | instskip(NEXT) | instid1(VALU_DEP_2)
	v_mul_f64_e32 v[10:11], 0.5, v[10:11]
	v_mul_f64_e32 v[4:5], 0.5, v[4:5]
.LBB233_280:                            ;   in Loop: Header=BB233_155 Depth=1
	s_or_b32 exec_lo, exec_lo, s1
	s_and_not1_saveexec_b32 s0, s0
	s_cbranch_execnz .LBB233_249
	s_branch .LBB233_250
.LBB233_281:
	s_endpgm
	.section	.rodata,"a",@progbits
	.p2align	6, 0x0
	.amdhsa_kernel _ZN2at6native12_GLOBAL__N_125multi_tensor_apply_kernelINS1_18TensorListMetadataILi1EEENS1_14UnaryOpFunctorIN3c107complexIdEELi1ELi1ELi0EEEJNS0_4SqrtIS8_EEEEEvT_T0_DpT1_
		.amdhsa_group_segment_fixed_size 0
		.amdhsa_private_segment_fixed_size 0
		.amdhsa_kernarg_size 3632
		.amdhsa_user_sgpr_count 2
		.amdhsa_user_sgpr_dispatch_ptr 0
		.amdhsa_user_sgpr_queue_ptr 0
		.amdhsa_user_sgpr_kernarg_segment_ptr 1
		.amdhsa_user_sgpr_dispatch_id 0
		.amdhsa_user_sgpr_kernarg_preload_length 0
		.amdhsa_user_sgpr_kernarg_preload_offset 0
		.amdhsa_user_sgpr_private_segment_size 0
		.amdhsa_wavefront_size32 1
		.amdhsa_uses_dynamic_stack 0
		.amdhsa_enable_private_segment 0
		.amdhsa_system_sgpr_workgroup_id_x 1
		.amdhsa_system_sgpr_workgroup_id_y 0
		.amdhsa_system_sgpr_workgroup_id_z 0
		.amdhsa_system_sgpr_workgroup_info 0
		.amdhsa_system_vgpr_workitem_id 0
		.amdhsa_next_free_vgpr 56
		.amdhsa_next_free_sgpr 31
		.amdhsa_named_barrier_count 0
		.amdhsa_reserve_vcc 1
		.amdhsa_float_round_mode_32 0
		.amdhsa_float_round_mode_16_64 0
		.amdhsa_float_denorm_mode_32 3
		.amdhsa_float_denorm_mode_16_64 3
		.amdhsa_fp16_overflow 0
		.amdhsa_memory_ordered 1
		.amdhsa_forward_progress 1
		.amdhsa_inst_pref_size 97
		.amdhsa_round_robin_scheduling 0
		.amdhsa_exception_fp_ieee_invalid_op 0
		.amdhsa_exception_fp_denorm_src 0
		.amdhsa_exception_fp_ieee_div_zero 0
		.amdhsa_exception_fp_ieee_overflow 0
		.amdhsa_exception_fp_ieee_underflow 0
		.amdhsa_exception_fp_ieee_inexact 0
		.amdhsa_exception_int_div_zero 0
	.end_amdhsa_kernel
	.section	.text._ZN2at6native12_GLOBAL__N_125multi_tensor_apply_kernelINS1_18TensorListMetadataILi1EEENS1_14UnaryOpFunctorIN3c107complexIdEELi1ELi1ELi0EEEJNS0_4SqrtIS8_EEEEEvT_T0_DpT1_,"axG",@progbits,_ZN2at6native12_GLOBAL__N_125multi_tensor_apply_kernelINS1_18TensorListMetadataILi1EEENS1_14UnaryOpFunctorIN3c107complexIdEELi1ELi1ELi0EEEJNS0_4SqrtIS8_EEEEEvT_T0_DpT1_,comdat
.Lfunc_end233:
	.size	_ZN2at6native12_GLOBAL__N_125multi_tensor_apply_kernelINS1_18TensorListMetadataILi1EEENS1_14UnaryOpFunctorIN3c107complexIdEELi1ELi1ELi0EEEJNS0_4SqrtIS8_EEEEEvT_T0_DpT1_, .Lfunc_end233-_ZN2at6native12_GLOBAL__N_125multi_tensor_apply_kernelINS1_18TensorListMetadataILi1EEENS1_14UnaryOpFunctorIN3c107complexIdEELi1ELi1ELi0EEEJNS0_4SqrtIS8_EEEEEvT_T0_DpT1_
                                        ; -- End function
	.set _ZN2at6native12_GLOBAL__N_125multi_tensor_apply_kernelINS1_18TensorListMetadataILi1EEENS1_14UnaryOpFunctorIN3c107complexIdEELi1ELi1ELi0EEEJNS0_4SqrtIS8_EEEEEvT_T0_DpT1_.num_vgpr, 56
	.set _ZN2at6native12_GLOBAL__N_125multi_tensor_apply_kernelINS1_18TensorListMetadataILi1EEENS1_14UnaryOpFunctorIN3c107complexIdEELi1ELi1ELi0EEEJNS0_4SqrtIS8_EEEEEvT_T0_DpT1_.num_agpr, 0
	.set _ZN2at6native12_GLOBAL__N_125multi_tensor_apply_kernelINS1_18TensorListMetadataILi1EEENS1_14UnaryOpFunctorIN3c107complexIdEELi1ELi1ELi0EEEJNS0_4SqrtIS8_EEEEEvT_T0_DpT1_.numbered_sgpr, 31
	.set _ZN2at6native12_GLOBAL__N_125multi_tensor_apply_kernelINS1_18TensorListMetadataILi1EEENS1_14UnaryOpFunctorIN3c107complexIdEELi1ELi1ELi0EEEJNS0_4SqrtIS8_EEEEEvT_T0_DpT1_.num_named_barrier, 0
	.set _ZN2at6native12_GLOBAL__N_125multi_tensor_apply_kernelINS1_18TensorListMetadataILi1EEENS1_14UnaryOpFunctorIN3c107complexIdEELi1ELi1ELi0EEEJNS0_4SqrtIS8_EEEEEvT_T0_DpT1_.private_seg_size, 0
	.set _ZN2at6native12_GLOBAL__N_125multi_tensor_apply_kernelINS1_18TensorListMetadataILi1EEENS1_14UnaryOpFunctorIN3c107complexIdEELi1ELi1ELi0EEEJNS0_4SqrtIS8_EEEEEvT_T0_DpT1_.uses_vcc, 1
	.set _ZN2at6native12_GLOBAL__N_125multi_tensor_apply_kernelINS1_18TensorListMetadataILi1EEENS1_14UnaryOpFunctorIN3c107complexIdEELi1ELi1ELi0EEEJNS0_4SqrtIS8_EEEEEvT_T0_DpT1_.uses_flat_scratch, 0
	.set _ZN2at6native12_GLOBAL__N_125multi_tensor_apply_kernelINS1_18TensorListMetadataILi1EEENS1_14UnaryOpFunctorIN3c107complexIdEELi1ELi1ELi0EEEJNS0_4SqrtIS8_EEEEEvT_T0_DpT1_.has_dyn_sized_stack, 0
	.set _ZN2at6native12_GLOBAL__N_125multi_tensor_apply_kernelINS1_18TensorListMetadataILi1EEENS1_14UnaryOpFunctorIN3c107complexIdEELi1ELi1ELi0EEEJNS0_4SqrtIS8_EEEEEvT_T0_DpT1_.has_recursion, 0
	.set _ZN2at6native12_GLOBAL__N_125multi_tensor_apply_kernelINS1_18TensorListMetadataILi1EEENS1_14UnaryOpFunctorIN3c107complexIdEELi1ELi1ELi0EEEJNS0_4SqrtIS8_EEEEEvT_T0_DpT1_.has_indirect_call, 0
	.section	.AMDGPU.csdata,"",@progbits
; Kernel info:
; codeLenInByte = 12296
; TotalNumSgprs: 33
; NumVgprs: 56
; ScratchSize: 0
; MemoryBound: 1
; FloatMode: 240
; IeeeMode: 1
; LDSByteSize: 0 bytes/workgroup (compile time only)
; SGPRBlocks: 0
; VGPRBlocks: 3
; NumSGPRsForWavesPerEU: 33
; NumVGPRsForWavesPerEU: 56
; NamedBarCnt: 0
; Occupancy: 16
; WaveLimiterHint : 0
; COMPUTE_PGM_RSRC2:SCRATCH_EN: 0
; COMPUTE_PGM_RSRC2:USER_SGPR: 2
; COMPUTE_PGM_RSRC2:TRAP_HANDLER: 0
; COMPUTE_PGM_RSRC2:TGID_X_EN: 1
; COMPUTE_PGM_RSRC2:TGID_Y_EN: 0
; COMPUTE_PGM_RSRC2:TGID_Z_EN: 0
; COMPUTE_PGM_RSRC2:TIDIG_COMP_CNT: 0
	.section	.text._ZN2at6native12_GLOBAL__N_125multi_tensor_apply_kernelINS1_18TensorListMetadataILi1EEENS1_14UnaryOpFunctorIN3c107complexIfEELi1ELi1ELi0EEEJNS0_4SqrtIS8_EEEEEvT_T0_DpT1_,"axG",@progbits,_ZN2at6native12_GLOBAL__N_125multi_tensor_apply_kernelINS1_18TensorListMetadataILi1EEENS1_14UnaryOpFunctorIN3c107complexIfEELi1ELi1ELi0EEEJNS0_4SqrtIS8_EEEEEvT_T0_DpT1_,comdat
	.globl	_ZN2at6native12_GLOBAL__N_125multi_tensor_apply_kernelINS1_18TensorListMetadataILi1EEENS1_14UnaryOpFunctorIN3c107complexIfEELi1ELi1ELi0EEEJNS0_4SqrtIS8_EEEEEvT_T0_DpT1_ ; -- Begin function _ZN2at6native12_GLOBAL__N_125multi_tensor_apply_kernelINS1_18TensorListMetadataILi1EEENS1_14UnaryOpFunctorIN3c107complexIfEELi1ELi1ELi0EEEJNS0_4SqrtIS8_EEEEEvT_T0_DpT1_
	.p2align	8
	.type	_ZN2at6native12_GLOBAL__N_125multi_tensor_apply_kernelINS1_18TensorListMetadataILi1EEENS1_14UnaryOpFunctorIN3c107complexIfEELi1ELi1ELi0EEEJNS0_4SqrtIS8_EEEEEvT_T0_DpT1_,@function
_ZN2at6native12_GLOBAL__N_125multi_tensor_apply_kernelINS1_18TensorListMetadataILi1EEENS1_14UnaryOpFunctorIN3c107complexIfEELi1ELi1ELi0EEEJNS0_4SqrtIS8_EEEEEvT_T0_DpT1_: ; @_ZN2at6native12_GLOBAL__N_125multi_tensor_apply_kernelINS1_18TensorListMetadataILi1EEENS1_14UnaryOpFunctorIN3c107complexIfEELi1ELi1ELi0EEEJNS0_4SqrtIS8_EEEEEvT_T0_DpT1_
; %bb.0:
	s_bfe_u32 s2, ttmp6, 0x4000c
	s_and_b32 s3, ttmp6, 15
	s_add_co_i32 s2, s2, 1
	s_getreg_b32 s4, hwreg(HW_REG_IB_STS2, 6, 4)
	s_mul_i32 s2, ttmp9, s2
	s_delay_alu instid0(SALU_CYCLE_1)
	s_add_co_i32 s3, s3, s2
	s_cmp_eq_u32 s4, 0
	s_cselect_b32 s2, ttmp9, s3
	s_mov_b32 s3, 0
	s_load_u8 s10, s[0:1], s2 offset:0x6e0
	s_add_nc_u64 s[4:5], s[0:1], s[2:3]
	s_mul_u64 s[6:7], s[2:3], 3
	s_delay_alu instid0(SALU_CYCLE_1)
	s_add_nc_u64 s[4:5], s[4:5], s[6:7]
	s_load_b32 s6, s[4:5], 0x820
	s_wait_kmcnt 0x0
	s_clause 0x1
	s_load_b64 s[8:9], s[0:1], s10 offset:0x0 scale_offset
	s_load_b64 s[12:13], s[0:1], s10 offset:0x370 scale_offset
	s_ashr_i32 s7, s6, 31
	s_wait_xcnt 0x0
	s_lshl_b64 s[10:11], s[6:7], 19
	s_wait_kmcnt 0x0
	s_and_b32 s2, s12, 3
	s_add_nc_u64 s[14:15], s[8:9], s[10:11]
	s_delay_alu instid0(SALU_CYCLE_1) | instskip(NEXT) | instid1(SALU_CYCLE_1)
	s_and_b64 s[4:5], s[14:15], 31
	s_or_b64 s[2:3], s[4:5], s[2:3]
	s_lshl_b64 s[4:5], s[6:7], 16
	s_cmp_eq_u64 s[2:3], 0
	s_sub_nc_u64 s[12:13], s[12:13], s[4:5]
	s_cbranch_scc1 .LBB234_141
; %bb.1:
	v_cmp_lt_i64_e64 s2, s[12:13], 1
	s_and_b32 vcc_lo, exec_lo, s2
	s_cbranch_vccnz .LBB234_140
; %bb.2:
	s_load_b32 s2, s[0:1], 0xd3c
	v_min_i64 v[2:3], 0x10000, s[12:13]
	v_min_u64 v[4:5], 0x10000, s[12:13]
	v_dual_mov_b32 v1, 0 :: v_dual_lshlrev_b32 v6, 3, v0
	s_mov_b32 s3, 0
	s_mov_b32 s22, 0x3e800000
	;; [unrolled: 1-line block ×5, first 2 shown]
	v_mov_b32_e32 v19, v1
	s_mov_b32 s17, s3
	s_mov_b32 s19, s3
	s_wait_kmcnt 0x0
	s_and_b32 s2, s2, 0xffff
	s_delay_alu instid0(SALU_CYCLE_1)
	v_add_nc_u64_e32 v[8:9], s[2:3], v[0:1]
	v_mov_b32_e32 v7, v1
	s_lshl_b32 s4, s2, 1
	s_mul_i32 s6, s2, 3
	s_lshl_b32 s20, s2, 4
	v_add_nc_u64_e32 v[12:13], s[6:7], v[0:1]
	v_add_nc_u64_e32 v[16:17], s[4:5], v[0:1]
	v_lshlrev_b32_e32 v18, 3, v8
	v_mad_nc_u64_u32 v[10:11], s2, 24, v[6:7]
	v_add_nc_u64_e32 v[14:15], s[20:21], v[6:7]
	s_lshl_b32 s16, s2, 2
	s_lshl_b32 s18, s2, 5
	s_mov_b64 s[20:21], 0
	s_branch .LBB234_4
.LBB234_3:                              ;   in Loop: Header=BB234_4 Depth=1
	s_wait_xcnt 0x0
	s_or_b32 exec_lo, exec_lo, s2
	s_add_nc_u64 s[20:21], s[20:21], s[16:17]
	s_add_nc_u64 s[14:15], s[14:15], s[18:19]
	v_cmp_ge_i64_e32 vcc_lo, s[20:21], v[2:3]
	s_cbranch_vccnz .LBB234_140
.LBB234_4:                              ; =>This Inner Loop Header: Depth=1
	v_add_nc_u64_e32 v[22:23], s[20:21], v[0:1]
	v_mov_b64_e32 v[24:25], 0
	v_add_nc_u64_e32 v[20:21], s[14:15], v[6:7]
	v_mov_b64_e32 v[32:33], 0
	s_delay_alu instid0(VALU_DEP_4)
	v_cmp_lt_u64_e64 s2, v[22:23], v[4:5]
	s_and_saveexec_b32 s3, s2
	s_cbranch_execz .LBB234_6
; %bb.5:                                ;   in Loop: Header=BB234_4 Depth=1
	global_load_b64 v[32:33], v[20:21], off
.LBB234_6:                              ;   in Loop: Header=BB234_4 Depth=1
	s_wait_xcnt 0x0
	s_or_b32 exec_lo, exec_lo, s3
	v_add_nc_u64_e32 v[22:23], s[20:21], v[8:9]
	s_delay_alu instid0(VALU_DEP_1)
	v_cmp_lt_u64_e64 s3, v[22:23], v[4:5]
	v_add_nc_u64_e32 v[22:23], s[14:15], v[18:19]
	s_and_saveexec_b32 s4, s3
	s_cbranch_execz .LBB234_8
; %bb.7:                                ;   in Loop: Header=BB234_4 Depth=1
	global_load_b64 v[24:25], v[22:23], off
.LBB234_8:                              ;   in Loop: Header=BB234_4 Depth=1
	s_wait_xcnt 0x0
	s_or_b32 exec_lo, exec_lo, s4
	v_add_nc_u64_e32 v[28:29], s[20:21], v[16:17]
	v_mov_b64_e32 v[30:31], 0
	v_add_nc_u64_e32 v[26:27], s[14:15], v[14:15]
	v_mov_b64_e32 v[34:35], 0
	s_delay_alu instid0(VALU_DEP_4)
	v_cmp_lt_u64_e64 s4, v[28:29], v[4:5]
	s_and_saveexec_b32 s5, s4
	s_cbranch_execz .LBB234_10
; %bb.9:                                ;   in Loop: Header=BB234_4 Depth=1
	global_load_b64 v[34:35], v[26:27], off
.LBB234_10:                             ;   in Loop: Header=BB234_4 Depth=1
	s_wait_xcnt 0x0
	s_or_b32 exec_lo, exec_lo, s5
	v_add_nc_u64_e32 v[28:29], s[20:21], v[12:13]
	s_delay_alu instid0(VALU_DEP_1)
	v_cmp_lt_u64_e64 s5, v[28:29], v[4:5]
	v_add_nc_u64_e32 v[28:29], s[14:15], v[10:11]
	s_and_saveexec_b32 s6, s5
	s_cbranch_execz .LBB234_12
; %bb.11:                               ;   in Loop: Header=BB234_4 Depth=1
	global_load_b64 v[30:31], v[28:29], off
.LBB234_12:                             ;   in Loop: Header=BB234_4 Depth=1
	s_wait_xcnt 0x0
	s_or_b32 exec_lo, exec_lo, s6
	s_wait_loadcnt 0x0
	v_cmp_neq_f32_e32 vcc_lo, 0, v32
	v_cmp_neq_f32_e64 s6, 0, v33
	v_dual_mov_b32 v36, 0 :: v_dual_mov_b32 v38, 0
	s_or_b32 s6, vcc_lo, s6
	s_delay_alu instid0(SALU_CYCLE_1)
	s_and_saveexec_b32 s23, s6
	s_cbranch_execz .LBB234_41
; %bb.13:                               ;   in Loop: Header=BB234_4 Depth=1
	v_mov_b32_e32 v38, 0x7f800000
	s_mov_b32 s24, exec_lo
	v_cmpx_neq_f32_e64 0x7f800000, |v33|
	s_cbranch_execz .LBB234_40
; %bb.14:                               ;   in Loop: Header=BB234_4 Depth=1
                                        ; implicit-def: $vgpr38
	s_mov_b32 s6, exec_lo
	v_cmpx_o_f32_e32 v32, v32
	s_xor_b32 s25, exec_lo, s6
	s_cbranch_execz .LBB234_37
; %bb.15:                               ;   in Loop: Header=BB234_4 Depth=1
                                        ; implicit-def: $vgpr38
	s_mov_b32 s7, exec_lo
	v_cmpx_neq_f32_e64 0x7f800000, |v32|
	s_xor_b32 s26, exec_lo, s7
	s_cbranch_execz .LBB234_31
; %bb.16:                               ;   in Loop: Header=BB234_4 Depth=1
	v_max_num_f32_e64 v37, |v32|, |v32|
	v_max_num_f32_e64 v38, |v33|, |v33|
                                        ; implicit-def: $sgpr27
	s_delay_alu instid0(VALU_DEP_1) | instskip(NEXT) | instid1(VALU_DEP_1)
	v_max_num_f32_e32 v37, v38, v37
	v_cmp_nle_f32_e64 s6, 0x7ed413cb, v37
	s_and_saveexec_b32 s7, s6
	s_delay_alu instid0(SALU_CYCLE_1)
	s_xor_b32 s7, exec_lo, s7
	s_cbranch_execz .LBB234_20
; %bb.17:                               ;   in Loop: Header=BB234_4 Depth=1
	v_cmp_ge_f32_e64 s27, 0x1000000, |v32|
	v_cmp_ge_f32_e64 s28, 0x1000000, |v33|
	s_and_b32 s29, s28, s27
	s_mov_b32 s27, 0
	s_and_saveexec_b32 s28, s29
; %bb.18:                               ;   in Loop: Header=BB234_4 Depth=1
	v_pk_mul_f32 v[32:33], v[32:33], 4.0 op_sel_hi:[1,0]
	s_mov_b32 s27, exec_lo
; %bb.19:                               ;   in Loop: Header=BB234_4 Depth=1
	s_or_b32 exec_lo, exec_lo, s28
.LBB234_20:                             ;   in Loop: Header=BB234_4 Depth=1
	s_and_not1_saveexec_b32 s7, s7
; %bb.21:                               ;   in Loop: Header=BB234_4 Depth=1
	s_delay_alu instid0(VALU_DEP_1)
	v_pk_mul_f32 v[32:33], v[32:33], s[22:23] op_sel_hi:[1,0]
	s_and_not1_b32 s27, s27, exec_lo
; %bb.22:                               ;   in Loop: Header=BB234_4 Depth=1
	s_or_b32 exec_lo, exec_lo, s7
	s_delay_alu instid0(VALU_DEP_1) | instskip(NEXT) | instid1(VALU_DEP_2)
	v_max_num_f32_e64 v37, |v33|, |v33|
	v_max_num_f32_e64 v38, |v32|, |v32|
	s_delay_alu instid0(VALU_DEP_1) | instskip(NEXT) | instid1(VALU_DEP_1)
	v_max_num_f32_e32 v37, v38, v37
	v_cvt_f64_f32_e32 v[38:39], v37
	s_delay_alu instid0(VALU_DEP_1) | instskip(NEXT) | instid1(VALU_DEP_1)
	v_frexp_exp_i32_f64_e32 v38, v[38:39]
	v_sub_nc_u32_e32 v39, 0, v38
	v_cmp_neq_f32_e64 s7, 0x7f800000, v37
                                        ; implicit-def: $vgpr37
	s_delay_alu instid0(VALU_DEP_2) | instskip(SKIP_1) | instid1(VALU_DEP_2)
	v_ldexp_f32 v40, |v33|, v39
	v_ldexp_f32 v39, |v32|, v39
	v_mul_f32_e32 v40, v40, v40
	s_delay_alu instid0(VALU_DEP_1) | instskip(NEXT) | instid1(VALU_DEP_1)
	v_fmac_f32_e32 v40, v39, v39
	v_sqrt_f32_e32 v39, v40
	v_nop
	s_delay_alu instid0(TRANS32_DEP_1) | instskip(NEXT) | instid1(VALU_DEP_1)
	v_ldexp_f32 v38, v39, v38
                                        ; implicit-def: $vgpr39
	v_cndmask_b32_e64 v38, 0x7f800000, v38, s7
	s_mov_b32 s7, exec_lo
	v_cmpx_le_f32_e32 0, v32
	s_xor_b32 s28, exec_lo, s7
	s_cbranch_execz .LBB234_24
; %bb.23:                               ;   in Loop: Header=BB234_4 Depth=1
	v_add_f32_e32 v32, v32, v38
	s_delay_alu instid0(VALU_DEP_1) | instskip(NEXT) | instid1(VALU_DEP_1)
	v_mul_f32_e32 v32, 0.5, v32
	v_mul_f32_e32 v37, 0x4f800000, v32
	v_cmp_gt_f32_e32 vcc_lo, 0xf800000, v32
	s_delay_alu instid0(VALU_DEP_2) | instskip(NEXT) | instid1(VALU_DEP_1)
	v_cndmask_b32_e32 v32, v32, v37, vcc_lo
	v_sqrt_f32_e32 v37, v32
	v_nop
	s_delay_alu instid0(TRANS32_DEP_1) | instskip(NEXT) | instid1(VALU_DEP_1)
	v_dual_add_nc_u32 v38, -1, v37 :: v_dual_add_nc_u32 v39, 1, v37
	v_dual_fma_f32 v40, -v38, v37, v32 :: v_dual_fma_f32 v41, -v39, v37, v32
	s_delay_alu instid0(VALU_DEP_1) | instskip(NEXT) | instid1(VALU_DEP_1)
	v_cmp_ge_f32_e64 s7, 0, v40
	v_cndmask_b32_e64 v37, v37, v38, s7
	s_delay_alu instid0(VALU_DEP_3) | instskip(NEXT) | instid1(VALU_DEP_1)
	v_cmp_lt_f32_e64 s7, 0, v41
	v_cndmask_b32_e64 v37, v37, v39, s7
	s_delay_alu instid0(VALU_DEP_1) | instskip(NEXT) | instid1(VALU_DEP_1)
	v_mul_f32_e32 v38, 0x37800000, v37
	v_cndmask_b32_e32 v37, v37, v38, vcc_lo
	v_cmp_class_f32_e64 vcc_lo, v32, 0x260
	s_delay_alu instid0(VALU_DEP_2) | instskip(NEXT) | instid1(VALU_DEP_1)
	v_cndmask_b32_e32 v37, v37, v32, vcc_lo
	v_add_f32_e32 v32, v37, v37
	s_delay_alu instid0(VALU_DEP_1) | instskip(NEXT) | instid1(VALU_DEP_1)
	v_div_scale_f32 v38, null, v32, v32, v33
	v_rcp_f32_e32 v39, v38
	v_nop
	s_delay_alu instid0(TRANS32_DEP_1) | instskip(NEXT) | instid1(VALU_DEP_1)
	v_fma_f32 v40, -v38, v39, 1.0
	v_fmac_f32_e32 v39, v40, v39
	v_div_scale_f32 v40, vcc_lo, v33, v32, v33
	s_delay_alu instid0(VALU_DEP_1) | instskip(NEXT) | instid1(VALU_DEP_1)
	v_mul_f32_e32 v41, v40, v39
	v_fma_f32 v42, -v38, v41, v40
	s_delay_alu instid0(VALU_DEP_1) | instskip(NEXT) | instid1(VALU_DEP_1)
	v_fmac_f32_e32 v41, v42, v39
	v_fma_f32 v38, -v38, v41, v40
	s_delay_alu instid0(VALU_DEP_1) | instskip(NEXT) | instid1(VALU_DEP_1)
	v_div_fmas_f32 v38, v38, v39, v41
	v_div_fixup_f32 v39, v38, v32, v33
                                        ; implicit-def: $vgpr38
                                        ; implicit-def: $vgpr32_vgpr33
	s_and_not1_saveexec_b32 s28, s28
	s_cbranch_execz .LBB234_26
	s_branch .LBB234_25
.LBB234_24:                             ;   in Loop: Header=BB234_4 Depth=1
	s_and_not1_saveexec_b32 s28, s28
	s_cbranch_execz .LBB234_26
.LBB234_25:                             ;   in Loop: Header=BB234_4 Depth=1
	v_sub_f32_e32 v32, v38, v32
	s_delay_alu instid0(VALU_DEP_1) | instskip(NEXT) | instid1(VALU_DEP_1)
	v_mul_f32_e32 v32, 0.5, v32
	v_mul_f32_e32 v37, 0x4f800000, v32
	v_cmp_gt_f32_e32 vcc_lo, 0xf800000, v32
	s_delay_alu instid0(VALU_DEP_2) | instskip(NEXT) | instid1(VALU_DEP_1)
	v_cndmask_b32_e32 v32, v32, v37, vcc_lo
	v_sqrt_f32_e32 v37, v32
	v_nop
	s_delay_alu instid0(TRANS32_DEP_1) | instskip(NEXT) | instid1(VALU_DEP_1)
	v_dual_add_nc_u32 v38, -1, v37 :: v_dual_add_nc_u32 v39, 1, v37
	v_dual_fma_f32 v40, -v38, v37, v32 :: v_dual_fma_f32 v41, -v39, v37, v32
	s_delay_alu instid0(VALU_DEP_1) | instskip(NEXT) | instid1(VALU_DEP_1)
	v_cmp_ge_f32_e64 s7, 0, v40
	v_cndmask_b32_e64 v37, v37, v38, s7
	s_delay_alu instid0(VALU_DEP_3) | instskip(NEXT) | instid1(VALU_DEP_1)
	v_cmp_lt_f32_e64 s7, 0, v41
	v_cndmask_b32_e64 v37, v37, v39, s7
	s_delay_alu instid0(VALU_DEP_1) | instskip(NEXT) | instid1(VALU_DEP_1)
	v_mul_f32_e32 v38, 0x37800000, v37
	v_cndmask_b32_e32 v37, v37, v38, vcc_lo
	v_cmp_class_f32_e64 vcc_lo, v32, 0x260
	s_delay_alu instid0(VALU_DEP_2) | instskip(SKIP_1) | instid1(VALU_DEP_2)
	v_cndmask_b32_e32 v32, v37, v32, vcc_lo
	v_and_b32_e32 v37, 0x7fffffff, v33
	v_add_f32_e32 v38, v32, v32
	s_delay_alu instid0(VALU_DEP_1) | instskip(SKIP_1) | instid1(VALU_DEP_2)
	v_div_scale_f32 v39, null, v38, v38, v37
	v_div_scale_f32 v37, vcc_lo, v37, v38, v37
	v_rcp_f32_e32 v40, v39
	v_nop
	s_delay_alu instid0(TRANS32_DEP_1) | instskip(NEXT) | instid1(VALU_DEP_1)
	v_fma_f32 v41, -v39, v40, 1.0
	v_fmac_f32_e32 v40, v41, v40
	s_delay_alu instid0(VALU_DEP_1) | instskip(NEXT) | instid1(VALU_DEP_1)
	v_mul_f32_e32 v41, v37, v40
	v_fma_f32 v42, -v39, v41, v37
	s_delay_alu instid0(VALU_DEP_1) | instskip(NEXT) | instid1(VALU_DEP_1)
	v_fmac_f32_e32 v41, v42, v40
	v_fma_f32 v37, -v39, v41, v37
	v_bfi_b32 v39, 0x7fffffff, v32, v33
	s_delay_alu instid0(VALU_DEP_2) | instskip(NEXT) | instid1(VALU_DEP_1)
	v_div_fmas_f32 v37, v37, v40, v41
	v_div_fixup_f32 v37, v37, v38, |v33|
.LBB234_26:                             ;   in Loop: Header=BB234_4 Depth=1
	s_or_b32 exec_lo, exec_lo, s28
                                        ; implicit-def: $vgpr33
                                        ; implicit-def: $vgpr38
	s_and_saveexec_b32 s7, s6
	s_delay_alu instid0(SALU_CYCLE_1)
	s_xor_b32 s6, exec_lo, s7
	s_cbranch_execz .LBB234_28
; %bb.27:                               ;   in Loop: Header=BB234_4 Depth=1
	v_dual_mul_f32 v32, 0.5, v37 :: v_dual_mul_f32 v33, 0.5, v39
	s_delay_alu instid0(VALU_DEP_1)
	v_dual_cndmask_b32 v38, v37, v32, s27 :: v_dual_cndmask_b32 v33, v39, v33, s27
                                        ; implicit-def: $vgpr37
                                        ; implicit-def: $vgpr39
	s_and_not1_saveexec_b32 s6, s6
	s_cbranch_execnz .LBB234_29
	s_branch .LBB234_30
.LBB234_28:                             ;   in Loop: Header=BB234_4 Depth=1
	s_and_not1_saveexec_b32 s6, s6
.LBB234_29:                             ;   in Loop: Header=BB234_4 Depth=1
	v_dual_add_f32 v38, v37, v37 :: v_dual_add_f32 v33, v39, v39
.LBB234_30:                             ;   in Loop: Header=BB234_4 Depth=1
	s_or_b32 exec_lo, exec_lo, s6
.LBB234_31:                             ;   in Loop: Header=BB234_4 Depth=1
	s_and_not1_saveexec_b32 s6, s26
	s_cbranch_execz .LBB234_53
; %bb.32:                               ;   in Loop: Header=BB234_4 Depth=1
	s_delay_alu instid0(VALU_DEP_1) | instskip(SKIP_1) | instid1(VALU_DEP_1)
	v_sub_f32_e32 v37, v33, v33
	s_mov_b32 s7, exec_lo
	v_and_b32_e32 v38, 0x7fffffff, v37
	v_cmpx_lt_i32_e32 -1, v32
	s_xor_b32 s7, exec_lo, s7
; %bb.33:                               ;   in Loop: Header=BB234_4 Depth=1
	v_bfi_b32 v33, 0x7fffffff, v37, v33
	v_mov_b32_e32 v38, v32
; %bb.34:                               ;   in Loop: Header=BB234_4 Depth=1
	s_and_not1_saveexec_b32 s7, s7
; %bb.35:                               ;   in Loop: Header=BB234_4 Depth=1
	s_delay_alu instid0(VALU_DEP_2)
	v_bfi_b32 v33, 0x7fffffff, v32, v33
; %bb.36:                               ;   in Loop: Header=BB234_4 Depth=1
	s_or_b32 exec_lo, exec_lo, s7
	s_delay_alu instid0(SALU_CYCLE_1)
	s_or_b32 exec_lo, exec_lo, s6
.LBB234_37:                             ;   in Loop: Header=BB234_4 Depth=1
	s_and_not1_saveexec_b32 s6, s25
	s_cbranch_execz .LBB234_39
.LBB234_38:                             ;   in Loop: Header=BB234_4 Depth=1
	v_sub_f32_e32 v33, v33, v33
	s_delay_alu instid0(VALU_DEP_1) | instskip(NEXT) | instid1(VALU_DEP_1)
	v_div_scale_f32 v37, vcc_lo, v33, v33, v33
	v_rcp_f32_e32 v38, v37
	v_nop
	s_delay_alu instid0(TRANS32_DEP_1) | instskip(NEXT) | instid1(VALU_DEP_1)
	v_fma_f32 v39, -v37, v38, 1.0
	v_fmac_f32_e32 v38, v39, v38
	s_delay_alu instid0(VALU_DEP_1) | instskip(NEXT) | instid1(VALU_DEP_1)
	v_mul_f32_e32 v39, v37, v38
	v_fma_f32 v40, -v37, v39, v37
	s_delay_alu instid0(VALU_DEP_1) | instskip(NEXT) | instid1(VALU_DEP_1)
	v_fmac_f32_e32 v39, v40, v38
	v_fma_f32 v37, -v37, v39, v37
	s_delay_alu instid0(VALU_DEP_1) | instskip(SKIP_1) | instid1(VALU_DEP_2)
	v_div_fmas_f32 v37, v37, v38, v39
	v_mov_b32_e32 v38, v32
	v_div_fixup_f32 v33, v37, v33, v33
.LBB234_39:                             ;   in Loop: Header=BB234_4 Depth=1
	s_or_b32 exec_lo, exec_lo, s6
.LBB234_40:                             ;   in Loop: Header=BB234_4 Depth=1
	s_delay_alu instid0(SALU_CYCLE_1)
	s_or_b32 exec_lo, exec_lo, s24
.LBB234_41:                             ;   in Loop: Header=BB234_4 Depth=1
	s_delay_alu instid0(SALU_CYCLE_1) | instskip(SKIP_3) | instid1(SALU_CYCLE_1)
	s_or_b32 exec_lo, exec_lo, s23
	v_cmp_neq_f32_e32 vcc_lo, 0, v24
	v_cmp_neq_f32_e64 s6, 0, v25
	s_or_b32 s6, vcc_lo, s6
	s_and_saveexec_b32 s23, s6
	s_cbranch_execz .LBB234_72
; %bb.42:                               ;   in Loop: Header=BB234_4 Depth=1
	v_mov_b32_e32 v36, 0x7f800000
	s_mov_b32 s24, exec_lo
	v_cmpx_neq_f32_e64 0x7f800000, |v25|
	s_cbranch_execz .LBB234_71
; %bb.43:                               ;   in Loop: Header=BB234_4 Depth=1
                                        ; implicit-def: $vgpr36
	s_mov_b32 s6, exec_lo
	v_cmpx_o_f32_e32 v24, v24
	s_xor_b32 s25, exec_lo, s6
	s_cbranch_execz .LBB234_68
; %bb.44:                               ;   in Loop: Header=BB234_4 Depth=1
                                        ; implicit-def: $vgpr36
	s_mov_b32 s7, exec_lo
	v_cmpx_neq_f32_e64 0x7f800000, |v24|
	s_xor_b32 s26, exec_lo, s7
	s_cbranch_execz .LBB234_61
; %bb.45:                               ;   in Loop: Header=BB234_4 Depth=1
	v_max_num_f32_e64 v32, |v24|, |v24|
	v_max_num_f32_e64 v36, |v25|, |v25|
                                        ; implicit-def: $sgpr27
	s_delay_alu instid0(VALU_DEP_1) | instskip(NEXT) | instid1(VALU_DEP_1)
	v_max_num_f32_e32 v32, v36, v32
	v_cmp_nle_f32_e64 s6, 0x7ed413cb, v32
	s_and_saveexec_b32 s7, s6
	s_delay_alu instid0(SALU_CYCLE_1)
	s_xor_b32 s7, exec_lo, s7
	s_cbranch_execz .LBB234_49
; %bb.46:                               ;   in Loop: Header=BB234_4 Depth=1
	v_cmp_ge_f32_e64 s27, 0x1000000, |v24|
	v_cmp_ge_f32_e64 s28, 0x1000000, |v25|
	s_and_b32 s29, s28, s27
	s_mov_b32 s27, 0
	s_and_saveexec_b32 s28, s29
; %bb.47:                               ;   in Loop: Header=BB234_4 Depth=1
	v_pk_mul_f32 v[24:25], v[24:25], 4.0 op_sel_hi:[1,0]
	s_mov_b32 s27, exec_lo
; %bb.48:                               ;   in Loop: Header=BB234_4 Depth=1
	s_or_b32 exec_lo, exec_lo, s28
.LBB234_49:                             ;   in Loop: Header=BB234_4 Depth=1
	s_and_not1_saveexec_b32 s7, s7
; %bb.50:                               ;   in Loop: Header=BB234_4 Depth=1
	s_delay_alu instid0(VALU_DEP_1)
	v_pk_mul_f32 v[24:25], v[24:25], s[22:23] op_sel_hi:[1,0]
	s_and_not1_b32 s27, s27, exec_lo
; %bb.51:                               ;   in Loop: Header=BB234_4 Depth=1
	s_or_b32 exec_lo, exec_lo, s7
	s_delay_alu instid0(VALU_DEP_1) | instskip(NEXT) | instid1(VALU_DEP_2)
	v_max_num_f32_e64 v32, |v25|, |v25|
	v_max_num_f32_e64 v36, |v24|, |v24|
	s_delay_alu instid0(VALU_DEP_1) | instskip(NEXT) | instid1(VALU_DEP_1)
	v_max_num_f32_e32 v32, v36, v32
	v_cvt_f64_f32_e32 v[36:37], v32
	s_delay_alu instid0(VALU_DEP_1) | instskip(NEXT) | instid1(VALU_DEP_1)
	v_frexp_exp_i32_f64_e32 v36, v[36:37]
	v_sub_nc_u32_e32 v37, 0, v36
	s_delay_alu instid0(VALU_DEP_1) | instskip(SKIP_1) | instid1(VALU_DEP_2)
	v_ldexp_f32 v39, |v25|, v37
	v_ldexp_f32 v37, |v24|, v37
	v_mul_f32_e32 v39, v39, v39
	v_cmp_neq_f32_e64 s7, 0x7f800000, v32
                                        ; implicit-def: $vgpr32
	s_delay_alu instid0(VALU_DEP_2) | instskip(NEXT) | instid1(VALU_DEP_1)
	v_fmac_f32_e32 v39, v37, v37
	v_sqrt_f32_e32 v37, v39
	v_nop
	s_delay_alu instid0(TRANS32_DEP_1) | instskip(NEXT) | instid1(VALU_DEP_1)
	v_ldexp_f32 v36, v37, v36
                                        ; implicit-def: $vgpr37
	v_cndmask_b32_e64 v36, 0x7f800000, v36, s7
	s_mov_b32 s7, exec_lo
	v_cmpx_le_f32_e32 0, v24
	s_xor_b32 s28, exec_lo, s7
	s_cbranch_execz .LBB234_54
; %bb.52:                               ;   in Loop: Header=BB234_4 Depth=1
	v_add_f32_e32 v24, v24, v36
	s_delay_alu instid0(VALU_DEP_1) | instskip(NEXT) | instid1(VALU_DEP_1)
	v_mul_f32_e32 v24, 0.5, v24
	v_mul_f32_e32 v32, 0x4f800000, v24
	v_cmp_gt_f32_e32 vcc_lo, 0xf800000, v24
	s_delay_alu instid0(VALU_DEP_2) | instskip(NEXT) | instid1(VALU_DEP_1)
	v_cndmask_b32_e32 v24, v24, v32, vcc_lo
	v_sqrt_f32_e32 v32, v24
	v_nop
	s_delay_alu instid0(TRANS32_DEP_1) | instskip(NEXT) | instid1(VALU_DEP_1)
	v_dual_add_nc_u32 v36, -1, v32 :: v_dual_add_nc_u32 v37, 1, v32
	v_dual_fma_f32 v39, -v36, v32, v24 :: v_dual_fma_f32 v40, -v37, v32, v24
	s_delay_alu instid0(VALU_DEP_1) | instskip(NEXT) | instid1(VALU_DEP_1)
	v_cmp_ge_f32_e64 s7, 0, v39
	v_cndmask_b32_e64 v32, v32, v36, s7
	s_delay_alu instid0(VALU_DEP_3) | instskip(NEXT) | instid1(VALU_DEP_1)
	v_cmp_lt_f32_e64 s7, 0, v40
	v_cndmask_b32_e64 v32, v32, v37, s7
	s_delay_alu instid0(VALU_DEP_1) | instskip(NEXT) | instid1(VALU_DEP_1)
	v_mul_f32_e32 v36, 0x37800000, v32
	v_cndmask_b32_e32 v32, v32, v36, vcc_lo
	v_cmp_class_f32_e64 vcc_lo, v24, 0x260
	s_delay_alu instid0(VALU_DEP_2) | instskip(NEXT) | instid1(VALU_DEP_1)
	v_cndmask_b32_e32 v32, v32, v24, vcc_lo
	v_add_f32_e32 v24, v32, v32
	s_delay_alu instid0(VALU_DEP_1) | instskip(NEXT) | instid1(VALU_DEP_1)
	v_div_scale_f32 v36, null, v24, v24, v25
	v_rcp_f32_e32 v37, v36
	v_nop
	s_delay_alu instid0(TRANS32_DEP_1) | instskip(NEXT) | instid1(VALU_DEP_1)
	v_fma_f32 v39, -v36, v37, 1.0
	v_fmac_f32_e32 v37, v39, v37
	v_div_scale_f32 v39, vcc_lo, v25, v24, v25
	s_delay_alu instid0(VALU_DEP_1) | instskip(NEXT) | instid1(VALU_DEP_1)
	v_mul_f32_e32 v40, v39, v37
	v_fma_f32 v41, -v36, v40, v39
	s_delay_alu instid0(VALU_DEP_1) | instskip(NEXT) | instid1(VALU_DEP_1)
	v_fmac_f32_e32 v40, v41, v37
	v_fma_f32 v36, -v36, v40, v39
	s_delay_alu instid0(VALU_DEP_1) | instskip(NEXT) | instid1(VALU_DEP_1)
	v_div_fmas_f32 v36, v36, v37, v40
	v_div_fixup_f32 v37, v36, v24, v25
                                        ; implicit-def: $vgpr36
                                        ; implicit-def: $vgpr24_vgpr25
	s_and_not1_saveexec_b32 s28, s28
	s_cbranch_execz .LBB234_56
	s_branch .LBB234_55
.LBB234_53:                             ;   in Loop: Header=BB234_4 Depth=1
	s_or_b32 exec_lo, exec_lo, s6
	s_and_not1_saveexec_b32 s6, s25
	s_cbranch_execnz .LBB234_38
	s_branch .LBB234_39
.LBB234_54:                             ;   in Loop: Header=BB234_4 Depth=1
	s_and_not1_saveexec_b32 s28, s28
	s_cbranch_execz .LBB234_56
.LBB234_55:                             ;   in Loop: Header=BB234_4 Depth=1
	v_sub_f32_e32 v24, v36, v24
	s_delay_alu instid0(VALU_DEP_1) | instskip(NEXT) | instid1(VALU_DEP_1)
	v_mul_f32_e32 v24, 0.5, v24
	v_mul_f32_e32 v32, 0x4f800000, v24
	v_cmp_gt_f32_e32 vcc_lo, 0xf800000, v24
	s_delay_alu instid0(VALU_DEP_2) | instskip(NEXT) | instid1(VALU_DEP_1)
	v_cndmask_b32_e32 v24, v24, v32, vcc_lo
	v_sqrt_f32_e32 v32, v24
	v_nop
	s_delay_alu instid0(TRANS32_DEP_1) | instskip(NEXT) | instid1(VALU_DEP_1)
	v_dual_add_nc_u32 v36, -1, v32 :: v_dual_add_nc_u32 v37, 1, v32
	v_dual_fma_f32 v39, -v36, v32, v24 :: v_dual_fma_f32 v40, -v37, v32, v24
	s_delay_alu instid0(VALU_DEP_1) | instskip(NEXT) | instid1(VALU_DEP_1)
	v_cmp_ge_f32_e64 s7, 0, v39
	v_cndmask_b32_e64 v32, v32, v36, s7
	s_delay_alu instid0(VALU_DEP_3) | instskip(NEXT) | instid1(VALU_DEP_1)
	v_cmp_lt_f32_e64 s7, 0, v40
	v_cndmask_b32_e64 v32, v32, v37, s7
	s_delay_alu instid0(VALU_DEP_1) | instskip(NEXT) | instid1(VALU_DEP_1)
	v_mul_f32_e32 v36, 0x37800000, v32
	v_cndmask_b32_e32 v32, v32, v36, vcc_lo
	v_cmp_class_f32_e64 vcc_lo, v24, 0x260
	s_delay_alu instid0(VALU_DEP_2) | instskip(SKIP_1) | instid1(VALU_DEP_2)
	v_cndmask_b32_e32 v24, v32, v24, vcc_lo
	v_and_b32_e32 v32, 0x7fffffff, v25
	v_add_f32_e32 v36, v24, v24
	s_delay_alu instid0(VALU_DEP_1) | instskip(SKIP_1) | instid1(VALU_DEP_2)
	v_div_scale_f32 v37, null, v36, v36, v32
	v_div_scale_f32 v32, vcc_lo, v32, v36, v32
	v_rcp_f32_e32 v39, v37
	v_nop
	s_delay_alu instid0(TRANS32_DEP_1) | instskip(NEXT) | instid1(VALU_DEP_1)
	v_fma_f32 v40, -v37, v39, 1.0
	v_fmac_f32_e32 v39, v40, v39
	s_delay_alu instid0(VALU_DEP_1) | instskip(NEXT) | instid1(VALU_DEP_1)
	v_mul_f32_e32 v40, v32, v39
	v_fma_f32 v41, -v37, v40, v32
	s_delay_alu instid0(VALU_DEP_1) | instskip(NEXT) | instid1(VALU_DEP_1)
	v_fmac_f32_e32 v40, v41, v39
	v_fma_f32 v32, -v37, v40, v32
	v_bfi_b32 v37, 0x7fffffff, v24, v25
	s_delay_alu instid0(VALU_DEP_2) | instskip(NEXT) | instid1(VALU_DEP_1)
	v_div_fmas_f32 v32, v32, v39, v40
	v_div_fixup_f32 v32, v32, v36, |v25|
.LBB234_56:                             ;   in Loop: Header=BB234_4 Depth=1
	s_or_b32 exec_lo, exec_lo, s28
                                        ; implicit-def: $vgpr25
                                        ; implicit-def: $vgpr36
	s_and_saveexec_b32 s7, s6
	s_delay_alu instid0(SALU_CYCLE_1)
	s_xor_b32 s6, exec_lo, s7
	s_cbranch_execz .LBB234_58
; %bb.57:                               ;   in Loop: Header=BB234_4 Depth=1
	v_dual_mul_f32 v24, 0.5, v32 :: v_dual_mul_f32 v25, 0.5, v37
	s_delay_alu instid0(VALU_DEP_1)
	v_dual_cndmask_b32 v36, v32, v24, s27 :: v_dual_cndmask_b32 v25, v37, v25, s27
                                        ; implicit-def: $vgpr32
                                        ; implicit-def: $vgpr37
	s_and_not1_saveexec_b32 s6, s6
	s_cbranch_execnz .LBB234_59
	s_branch .LBB234_60
.LBB234_58:                             ;   in Loop: Header=BB234_4 Depth=1
	s_and_not1_saveexec_b32 s6, s6
.LBB234_59:                             ;   in Loop: Header=BB234_4 Depth=1
	v_dual_add_f32 v36, v32, v32 :: v_dual_add_f32 v25, v37, v37
.LBB234_60:                             ;   in Loop: Header=BB234_4 Depth=1
	s_or_b32 exec_lo, exec_lo, s6
.LBB234_61:                             ;   in Loop: Header=BB234_4 Depth=1
	s_and_not1_saveexec_b32 s6, s26
	s_cbranch_execz .LBB234_67
; %bb.62:                               ;   in Loop: Header=BB234_4 Depth=1
	s_delay_alu instid0(VALU_DEP_1) | instskip(SKIP_1) | instid1(VALU_DEP_1)
	v_sub_f32_e32 v32, v25, v25
	s_mov_b32 s7, exec_lo
	v_and_b32_e32 v36, 0x7fffffff, v32
	v_cmpx_lt_i32_e32 -1, v24
	s_xor_b32 s7, exec_lo, s7
; %bb.63:                               ;   in Loop: Header=BB234_4 Depth=1
	v_bfi_b32 v25, 0x7fffffff, v32, v25
	v_mov_b32_e32 v36, v24
; %bb.64:                               ;   in Loop: Header=BB234_4 Depth=1
	s_and_not1_saveexec_b32 s7, s7
; %bb.65:                               ;   in Loop: Header=BB234_4 Depth=1
	s_delay_alu instid0(VALU_DEP_2)
	v_bfi_b32 v25, 0x7fffffff, v24, v25
; %bb.66:                               ;   in Loop: Header=BB234_4 Depth=1
	s_or_b32 exec_lo, exec_lo, s7
.LBB234_67:                             ;   in Loop: Header=BB234_4 Depth=1
	s_delay_alu instid0(SALU_CYCLE_1)
	s_or_b32 exec_lo, exec_lo, s6
.LBB234_68:                             ;   in Loop: Header=BB234_4 Depth=1
	s_and_not1_saveexec_b32 s6, s25
	s_cbranch_execz .LBB234_70
; %bb.69:                               ;   in Loop: Header=BB234_4 Depth=1
	v_sub_f32_e32 v25, v25, v25
	s_delay_alu instid0(VALU_DEP_1) | instskip(NEXT) | instid1(VALU_DEP_1)
	v_div_scale_f32 v32, vcc_lo, v25, v25, v25
	v_rcp_f32_e32 v36, v32
	v_nop
	s_delay_alu instid0(TRANS32_DEP_1) | instskip(NEXT) | instid1(VALU_DEP_1)
	v_fma_f32 v37, -v32, v36, 1.0
	v_fmac_f32_e32 v36, v37, v36
	s_delay_alu instid0(VALU_DEP_1) | instskip(NEXT) | instid1(VALU_DEP_1)
	v_mul_f32_e32 v37, v32, v36
	v_fma_f32 v39, -v32, v37, v32
	s_delay_alu instid0(VALU_DEP_1) | instskip(NEXT) | instid1(VALU_DEP_1)
	v_fmac_f32_e32 v37, v39, v36
	v_fma_f32 v32, -v32, v37, v32
	s_delay_alu instid0(VALU_DEP_1) | instskip(SKIP_1) | instid1(VALU_DEP_2)
	v_div_fmas_f32 v32, v32, v36, v37
	v_mov_b32_e32 v36, v24
	v_div_fixup_f32 v25, v32, v25, v25
.LBB234_70:                             ;   in Loop: Header=BB234_4 Depth=1
	s_or_b32 exec_lo, exec_lo, s6
.LBB234_71:                             ;   in Loop: Header=BB234_4 Depth=1
	s_delay_alu instid0(SALU_CYCLE_1)
	s_or_b32 exec_lo, exec_lo, s24
.LBB234_72:                             ;   in Loop: Header=BB234_4 Depth=1
	s_delay_alu instid0(SALU_CYCLE_1) | instskip(SKIP_4) | instid1(SALU_CYCLE_1)
	s_or_b32 exec_lo, exec_lo, s23
	v_cmp_neq_f32_e32 vcc_lo, 0, v34
	v_cmp_neq_f32_e64 s6, 0, v35
	v_dual_mov_b32 v24, 0 :: v_dual_mov_b32 v32, 0
	s_or_b32 s6, vcc_lo, s6
	s_and_saveexec_b32 s23, s6
	s_cbranch_execz .LBB234_102
; %bb.73:                               ;   in Loop: Header=BB234_4 Depth=1
	v_mov_b32_e32 v32, 0x7f800000
	s_mov_b32 s24, exec_lo
	v_cmpx_neq_f32_e64 0x7f800000, |v35|
	s_cbranch_execz .LBB234_101
; %bb.74:                               ;   in Loop: Header=BB234_4 Depth=1
                                        ; implicit-def: $vgpr32
	s_mov_b32 s6, exec_lo
	v_cmpx_o_f32_e32 v34, v34
	s_xor_b32 s25, exec_lo, s6
	s_cbranch_execz .LBB234_98
; %bb.75:                               ;   in Loop: Header=BB234_4 Depth=1
                                        ; implicit-def: $vgpr32
	s_mov_b32 s7, exec_lo
	v_cmpx_neq_f32_e64 0x7f800000, |v34|
	s_xor_b32 s26, exec_lo, s7
	s_cbranch_execz .LBB234_91
; %bb.76:                               ;   in Loop: Header=BB234_4 Depth=1
	v_max_num_f32_e64 v32, |v34|, |v34|
	v_max_num_f32_e64 v37, |v35|, |v35|
                                        ; implicit-def: $sgpr27
	s_delay_alu instid0(VALU_DEP_1) | instskip(NEXT) | instid1(VALU_DEP_1)
	v_max_num_f32_e32 v32, v37, v32
	v_cmp_nle_f32_e64 s6, 0x7ed413cb, v32
	s_and_saveexec_b32 s7, s6
	s_delay_alu instid0(SALU_CYCLE_1)
	s_xor_b32 s7, exec_lo, s7
	s_cbranch_execz .LBB234_80
; %bb.77:                               ;   in Loop: Header=BB234_4 Depth=1
	v_cmp_ge_f32_e64 s27, 0x1000000, |v34|
	v_cmp_ge_f32_e64 s28, 0x1000000, |v35|
	s_and_b32 s29, s28, s27
	s_mov_b32 s27, 0
	s_and_saveexec_b32 s28, s29
; %bb.78:                               ;   in Loop: Header=BB234_4 Depth=1
	v_pk_mul_f32 v[34:35], v[34:35], 4.0 op_sel_hi:[1,0]
	s_mov_b32 s27, exec_lo
; %bb.79:                               ;   in Loop: Header=BB234_4 Depth=1
	s_or_b32 exec_lo, exec_lo, s28
.LBB234_80:                             ;   in Loop: Header=BB234_4 Depth=1
	s_and_not1_saveexec_b32 s7, s7
; %bb.81:                               ;   in Loop: Header=BB234_4 Depth=1
	s_delay_alu instid0(VALU_DEP_1)
	v_pk_mul_f32 v[34:35], v[34:35], s[22:23] op_sel_hi:[1,0]
	s_and_not1_b32 s27, s27, exec_lo
; %bb.82:                               ;   in Loop: Header=BB234_4 Depth=1
	s_or_b32 exec_lo, exec_lo, s7
	s_delay_alu instid0(VALU_DEP_1) | instskip(NEXT) | instid1(VALU_DEP_2)
	v_max_num_f32_e64 v32, |v35|, |v35|
	v_max_num_f32_e64 v37, |v34|, |v34|
	s_delay_alu instid0(VALU_DEP_1) | instskip(NEXT) | instid1(VALU_DEP_1)
	v_max_num_f32_e32 v32, v37, v32
	v_cvt_f64_f32_e32 v[40:41], v32
	s_delay_alu instid0(VALU_DEP_1) | instskip(NEXT) | instid1(VALU_DEP_1)
	v_frexp_exp_i32_f64_e32 v37, v[40:41]
	v_sub_nc_u32_e32 v39, 0, v37
	v_cmp_neq_f32_e64 s7, 0x7f800000, v32
	s_delay_alu instid0(VALU_DEP_2) | instskip(SKIP_1) | instid1(VALU_DEP_2)
	v_ldexp_f32 v40, |v35|, v39
	v_ldexp_f32 v39, |v34|, v39
	v_mul_f32_e32 v40, v40, v40
	s_delay_alu instid0(VALU_DEP_1) | instskip(NEXT) | instid1(VALU_DEP_1)
	v_fmac_f32_e32 v40, v39, v39
	v_sqrt_f32_e32 v39, v40
	v_nop
	s_delay_alu instid0(TRANS32_DEP_1) | instskip(NEXT) | instid1(VALU_DEP_1)
	v_ldexp_f32 v37, v39, v37
                                        ; implicit-def: $vgpr39
	v_cndmask_b32_e64 v32, 0x7f800000, v37, s7
                                        ; implicit-def: $vgpr37
	s_mov_b32 s7, exec_lo
	v_cmpx_le_f32_e32 0, v34
	s_xor_b32 s28, exec_lo, s7
	s_cbranch_execz .LBB234_84
; %bb.83:                               ;   in Loop: Header=BB234_4 Depth=1
	v_add_f32_e32 v32, v34, v32
	s_delay_alu instid0(VALU_DEP_1) | instskip(NEXT) | instid1(VALU_DEP_1)
	v_mul_f32_e32 v32, 0.5, v32
	v_mul_f32_e32 v34, 0x4f800000, v32
	v_cmp_gt_f32_e32 vcc_lo, 0xf800000, v32
	s_delay_alu instid0(VALU_DEP_2) | instskip(NEXT) | instid1(VALU_DEP_1)
	v_cndmask_b32_e32 v32, v32, v34, vcc_lo
	v_sqrt_f32_e32 v34, v32
	v_nop
	s_delay_alu instid0(TRANS32_DEP_1) | instskip(NEXT) | instid1(VALU_DEP_1)
	v_dual_add_nc_u32 v37, -1, v34 :: v_dual_add_nc_u32 v39, 1, v34
	v_dual_fma_f32 v40, -v37, v34, v32 :: v_dual_fma_f32 v41, -v39, v34, v32
	s_delay_alu instid0(VALU_DEP_1) | instskip(NEXT) | instid1(VALU_DEP_1)
	v_cmp_ge_f32_e64 s7, 0, v40
	v_cndmask_b32_e64 v34, v34, v37, s7
	s_delay_alu instid0(VALU_DEP_3) | instskip(NEXT) | instid1(VALU_DEP_1)
	v_cmp_lt_f32_e64 s7, 0, v41
	v_cndmask_b32_e64 v34, v34, v39, s7
	s_delay_alu instid0(VALU_DEP_1) | instskip(NEXT) | instid1(VALU_DEP_1)
	v_mul_f32_e32 v37, 0x37800000, v34
	v_cndmask_b32_e32 v34, v34, v37, vcc_lo
	v_cmp_class_f32_e64 vcc_lo, v32, 0x260
	s_delay_alu instid0(VALU_DEP_2) | instskip(NEXT) | instid1(VALU_DEP_1)
	v_cndmask_b32_e32 v37, v34, v32, vcc_lo
	v_add_f32_e32 v32, v37, v37
	s_delay_alu instid0(VALU_DEP_1) | instskip(NEXT) | instid1(VALU_DEP_1)
	v_div_scale_f32 v34, null, v32, v32, v35
	v_rcp_f32_e32 v39, v34
	v_nop
	s_delay_alu instid0(TRANS32_DEP_1) | instskip(NEXT) | instid1(VALU_DEP_1)
	v_fma_f32 v40, -v34, v39, 1.0
	v_fmac_f32_e32 v39, v40, v39
	v_div_scale_f32 v40, vcc_lo, v35, v32, v35
	s_delay_alu instid0(VALU_DEP_1) | instskip(NEXT) | instid1(VALU_DEP_1)
	v_mul_f32_e32 v41, v40, v39
	v_fma_f32 v42, -v34, v41, v40
	s_delay_alu instid0(VALU_DEP_1) | instskip(NEXT) | instid1(VALU_DEP_1)
	v_fmac_f32_e32 v41, v42, v39
	v_fma_f32 v34, -v34, v41, v40
	s_delay_alu instid0(VALU_DEP_1) | instskip(NEXT) | instid1(VALU_DEP_1)
	v_div_fmas_f32 v34, v34, v39, v41
	v_div_fixup_f32 v39, v34, v32, v35
                                        ; implicit-def: $vgpr32
                                        ; implicit-def: $vgpr34_vgpr35
	s_and_not1_saveexec_b32 s28, s28
	s_cbranch_execz .LBB234_86
	s_branch .LBB234_85
.LBB234_84:                             ;   in Loop: Header=BB234_4 Depth=1
	s_and_not1_saveexec_b32 s28, s28
	s_cbranch_execz .LBB234_86
.LBB234_85:                             ;   in Loop: Header=BB234_4 Depth=1
	v_sub_f32_e32 v32, v32, v34
	s_delay_alu instid0(VALU_DEP_1) | instskip(NEXT) | instid1(VALU_DEP_1)
	v_mul_f32_e32 v32, 0.5, v32
	v_mul_f32_e32 v34, 0x4f800000, v32
	v_cmp_gt_f32_e32 vcc_lo, 0xf800000, v32
	s_delay_alu instid0(VALU_DEP_2) | instskip(NEXT) | instid1(VALU_DEP_1)
	v_cndmask_b32_e32 v32, v32, v34, vcc_lo
	v_sqrt_f32_e32 v34, v32
	v_nop
	s_delay_alu instid0(TRANS32_DEP_1) | instskip(NEXT) | instid1(VALU_DEP_1)
	v_dual_add_nc_u32 v37, -1, v34 :: v_dual_add_nc_u32 v39, 1, v34
	v_dual_fma_f32 v40, -v37, v34, v32 :: v_dual_fma_f32 v41, -v39, v34, v32
	s_delay_alu instid0(VALU_DEP_1) | instskip(NEXT) | instid1(VALU_DEP_1)
	v_cmp_ge_f32_e64 s7, 0, v40
	v_cndmask_b32_e64 v34, v34, v37, s7
	s_delay_alu instid0(VALU_DEP_3) | instskip(NEXT) | instid1(VALU_DEP_1)
	v_cmp_lt_f32_e64 s7, 0, v41
	v_cndmask_b32_e64 v34, v34, v39, s7
	s_delay_alu instid0(VALU_DEP_1) | instskip(NEXT) | instid1(VALU_DEP_1)
	v_mul_f32_e32 v37, 0x37800000, v34
	v_cndmask_b32_e32 v34, v34, v37, vcc_lo
	v_cmp_class_f32_e64 vcc_lo, v32, 0x260
	s_delay_alu instid0(VALU_DEP_2) | instskip(SKIP_1) | instid1(VALU_DEP_2)
	v_cndmask_b32_e32 v32, v34, v32, vcc_lo
	v_and_b32_e32 v34, 0x7fffffff, v35
	v_add_f32_e32 v37, v32, v32
	s_delay_alu instid0(VALU_DEP_1) | instskip(SKIP_1) | instid1(VALU_DEP_2)
	v_div_scale_f32 v39, null, v37, v37, v34
	v_div_scale_f32 v34, vcc_lo, v34, v37, v34
	v_rcp_f32_e32 v40, v39
	v_nop
	s_delay_alu instid0(TRANS32_DEP_1) | instskip(NEXT) | instid1(VALU_DEP_1)
	v_fma_f32 v41, -v39, v40, 1.0
	v_fmac_f32_e32 v40, v41, v40
	s_delay_alu instid0(VALU_DEP_1) | instskip(NEXT) | instid1(VALU_DEP_1)
	v_mul_f32_e32 v41, v34, v40
	v_fma_f32 v42, -v39, v41, v34
	s_delay_alu instid0(VALU_DEP_1) | instskip(NEXT) | instid1(VALU_DEP_1)
	v_fmac_f32_e32 v41, v42, v40
	v_fma_f32 v34, -v39, v41, v34
	v_bfi_b32 v39, 0x7fffffff, v32, v35
	s_delay_alu instid0(VALU_DEP_2) | instskip(NEXT) | instid1(VALU_DEP_1)
	v_div_fmas_f32 v34, v34, v40, v41
	v_div_fixup_f32 v37, v34, v37, |v35|
.LBB234_86:                             ;   in Loop: Header=BB234_4 Depth=1
	s_or_b32 exec_lo, exec_lo, s28
                                        ; implicit-def: $vgpr35
                                        ; implicit-def: $vgpr32
	s_and_saveexec_b32 s7, s6
	s_delay_alu instid0(SALU_CYCLE_1)
	s_xor_b32 s6, exec_lo, s7
	s_cbranch_execz .LBB234_88
; %bb.87:                               ;   in Loop: Header=BB234_4 Depth=1
	v_dual_mul_f32 v32, 0.5, v37 :: v_dual_mul_f32 v34, 0.5, v39
	s_delay_alu instid0(VALU_DEP_1)
	v_dual_cndmask_b32 v32, v37, v32, s27 :: v_dual_cndmask_b32 v35, v39, v34, s27
                                        ; implicit-def: $vgpr37
                                        ; implicit-def: $vgpr39
	s_and_not1_saveexec_b32 s6, s6
	s_cbranch_execnz .LBB234_89
	s_branch .LBB234_90
.LBB234_88:                             ;   in Loop: Header=BB234_4 Depth=1
	s_and_not1_saveexec_b32 s6, s6
.LBB234_89:                             ;   in Loop: Header=BB234_4 Depth=1
	v_dual_add_f32 v32, v37, v37 :: v_dual_add_f32 v35, v39, v39
.LBB234_90:                             ;   in Loop: Header=BB234_4 Depth=1
	s_or_b32 exec_lo, exec_lo, s6
.LBB234_91:                             ;   in Loop: Header=BB234_4 Depth=1
	s_and_not1_saveexec_b32 s6, s26
	s_cbranch_execz .LBB234_97
; %bb.92:                               ;   in Loop: Header=BB234_4 Depth=1
	s_delay_alu instid0(VALU_DEP_1) | instskip(SKIP_1) | instid1(VALU_DEP_1)
	v_sub_f32_e32 v37, v35, v35
	s_mov_b32 s7, exec_lo
	v_and_b32_e32 v32, 0x7fffffff, v37
	v_cmpx_lt_i32_e32 -1, v34
	s_xor_b32 s7, exec_lo, s7
; %bb.93:                               ;   in Loop: Header=BB234_4 Depth=1
	v_bfi_b32 v35, 0x7fffffff, v37, v35
	v_mov_b32_e32 v32, v34
; %bb.94:                               ;   in Loop: Header=BB234_4 Depth=1
	s_and_not1_saveexec_b32 s7, s7
; %bb.95:                               ;   in Loop: Header=BB234_4 Depth=1
	s_delay_alu instid0(VALU_DEP_2)
	v_bfi_b32 v35, 0x7fffffff, v34, v35
; %bb.96:                               ;   in Loop: Header=BB234_4 Depth=1
	s_or_b32 exec_lo, exec_lo, s7
.LBB234_97:                             ;   in Loop: Header=BB234_4 Depth=1
	s_delay_alu instid0(SALU_CYCLE_1)
	s_or_b32 exec_lo, exec_lo, s6
.LBB234_98:                             ;   in Loop: Header=BB234_4 Depth=1
	s_and_not1_saveexec_b32 s6, s25
	s_cbranch_execz .LBB234_100
; %bb.99:                               ;   in Loop: Header=BB234_4 Depth=1
	v_sub_f32_e32 v32, v35, v35
	s_delay_alu instid0(VALU_DEP_1) | instskip(NEXT) | instid1(VALU_DEP_1)
	v_div_scale_f32 v35, vcc_lo, v32, v32, v32
	v_rcp_f32_e32 v37, v35
	v_nop
	s_delay_alu instid0(TRANS32_DEP_1) | instskip(NEXT) | instid1(VALU_DEP_1)
	v_fma_f32 v39, -v35, v37, 1.0
	v_fmac_f32_e32 v37, v39, v37
	s_delay_alu instid0(VALU_DEP_1) | instskip(NEXT) | instid1(VALU_DEP_1)
	v_mul_f32_e32 v39, v35, v37
	v_fma_f32 v40, -v35, v39, v35
	s_delay_alu instid0(VALU_DEP_1) | instskip(NEXT) | instid1(VALU_DEP_1)
	v_fmac_f32_e32 v39, v40, v37
	v_fma_f32 v35, -v35, v39, v35
	s_delay_alu instid0(VALU_DEP_1) | instskip(NEXT) | instid1(VALU_DEP_1)
	v_div_fmas_f32 v35, v35, v37, v39
	v_div_fixup_f32 v35, v35, v32, v32
	v_mov_b32_e32 v32, v34
.LBB234_100:                            ;   in Loop: Header=BB234_4 Depth=1
	s_or_b32 exec_lo, exec_lo, s6
.LBB234_101:                            ;   in Loop: Header=BB234_4 Depth=1
	s_delay_alu instid0(SALU_CYCLE_1)
	s_or_b32 exec_lo, exec_lo, s24
.LBB234_102:                            ;   in Loop: Header=BB234_4 Depth=1
	s_delay_alu instid0(SALU_CYCLE_1) | instskip(SKIP_3) | instid1(SALU_CYCLE_1)
	s_or_b32 exec_lo, exec_lo, s23
	v_cmp_neq_f32_e32 vcc_lo, 0, v30
	v_cmp_neq_f32_e64 s6, 0, v31
	s_or_b32 s6, vcc_lo, s6
	s_and_saveexec_b32 s23, s6
	s_cbranch_execz .LBB234_114
; %bb.103:                              ;   in Loop: Header=BB234_4 Depth=1
	v_mov_b32_e32 v24, 0x7f800000
	s_mov_b32 s24, exec_lo
	v_cmpx_neq_f32_e64 0x7f800000, |v31|
	s_cbranch_execz .LBB234_135
; %bb.104:                              ;   in Loop: Header=BB234_4 Depth=1
                                        ; implicit-def: $vgpr24
	s_mov_b32 s6, exec_lo
	v_cmpx_o_f32_e32 v30, v30
	s_xor_b32 s25, exec_lo, s6
	s_cbranch_execz .LBB234_132
; %bb.105:                              ;   in Loop: Header=BB234_4 Depth=1
                                        ; implicit-def: $vgpr24
	s_mov_b32 s7, exec_lo
	v_cmpx_neq_f32_e64 0x7f800000, |v30|
	s_xor_b32 s26, exec_lo, s7
	s_cbranch_execz .LBB234_125
; %bb.106:                              ;   in Loop: Header=BB234_4 Depth=1
	v_max_num_f32_e64 v24, |v30|, |v30|
	v_max_num_f32_e64 v34, |v31|, |v31|
                                        ; implicit-def: $sgpr27
	s_delay_alu instid0(VALU_DEP_1) | instskip(NEXT) | instid1(VALU_DEP_1)
	v_max_num_f32_e32 v24, v34, v24
	v_cmp_nle_f32_e64 s6, 0x7ed413cb, v24
	s_and_saveexec_b32 s7, s6
	s_delay_alu instid0(SALU_CYCLE_1)
	s_xor_b32 s7, exec_lo, s7
	s_cbranch_execz .LBB234_110
; %bb.107:                              ;   in Loop: Header=BB234_4 Depth=1
	v_cmp_ge_f32_e64 s27, 0x1000000, |v30|
	v_cmp_ge_f32_e64 s28, 0x1000000, |v31|
	s_and_b32 s29, s28, s27
	s_mov_b32 s27, 0
	s_and_saveexec_b32 s28, s29
; %bb.108:                              ;   in Loop: Header=BB234_4 Depth=1
	v_pk_mul_f32 v[30:31], v[30:31], 4.0 op_sel_hi:[1,0]
	s_mov_b32 s27, exec_lo
; %bb.109:                              ;   in Loop: Header=BB234_4 Depth=1
	s_or_b32 exec_lo, exec_lo, s28
.LBB234_110:                            ;   in Loop: Header=BB234_4 Depth=1
	s_and_not1_saveexec_b32 s7, s7
; %bb.111:                              ;   in Loop: Header=BB234_4 Depth=1
	s_delay_alu instid0(VALU_DEP_1)
	v_pk_mul_f32 v[30:31], v[30:31], s[22:23] op_sel_hi:[1,0]
	s_and_not1_b32 s27, s27, exec_lo
; %bb.112:                              ;   in Loop: Header=BB234_4 Depth=1
	s_or_b32 exec_lo, exec_lo, s7
	s_delay_alu instid0(VALU_DEP_1) | instskip(NEXT) | instid1(VALU_DEP_2)
	v_max_num_f32_e64 v24, |v31|, |v31|
	v_max_num_f32_e64 v34, |v30|, |v30|
	s_delay_alu instid0(VALU_DEP_1) | instskip(NEXT) | instid1(VALU_DEP_1)
	v_max_num_f32_e32 v24, v34, v24
	v_cvt_f64_f32_e32 v[40:41], v24
	s_delay_alu instid0(VALU_DEP_1) | instskip(NEXT) | instid1(VALU_DEP_1)
	v_frexp_exp_i32_f64_e32 v34, v[40:41]
	v_sub_nc_u32_e32 v37, 0, v34
	v_cmp_neq_f32_e64 s7, 0x7f800000, v24
	s_delay_alu instid0(VALU_DEP_2) | instskip(SKIP_1) | instid1(VALU_DEP_2)
	v_ldexp_f32 v39, |v31|, v37
	v_ldexp_f32 v37, |v30|, v37
	v_mul_f32_e32 v39, v39, v39
	s_delay_alu instid0(VALU_DEP_1) | instskip(NEXT) | instid1(VALU_DEP_1)
	v_fmac_f32_e32 v39, v37, v37
	v_sqrt_f32_e32 v37, v39
	v_nop
	s_delay_alu instid0(TRANS32_DEP_1) | instskip(NEXT) | instid1(VALU_DEP_1)
	v_ldexp_f32 v34, v37, v34
                                        ; implicit-def: $vgpr37
	v_cndmask_b32_e64 v24, 0x7f800000, v34, s7
                                        ; implicit-def: $vgpr34
	s_mov_b32 s7, exec_lo
	v_cmpx_le_f32_e32 0, v30
	s_xor_b32 s28, exec_lo, s7
	s_cbranch_execz .LBB234_118
; %bb.113:                              ;   in Loop: Header=BB234_4 Depth=1
	v_add_f32_e32 v24, v30, v24
	s_delay_alu instid0(VALU_DEP_1) | instskip(NEXT) | instid1(VALU_DEP_1)
	v_mul_f32_e32 v24, 0.5, v24
	v_mul_f32_e32 v30, 0x4f800000, v24
	v_cmp_gt_f32_e32 vcc_lo, 0xf800000, v24
	s_delay_alu instid0(VALU_DEP_2) | instskip(NEXT) | instid1(VALU_DEP_1)
	v_cndmask_b32_e32 v24, v24, v30, vcc_lo
	v_sqrt_f32_e32 v30, v24
	v_nop
	s_delay_alu instid0(TRANS32_DEP_1) | instskip(NEXT) | instid1(VALU_DEP_1)
	v_dual_add_nc_u32 v34, -1, v30 :: v_dual_add_nc_u32 v37, 1, v30
	v_dual_fma_f32 v39, -v34, v30, v24 :: v_dual_fma_f32 v40, -v37, v30, v24
	s_delay_alu instid0(VALU_DEP_1) | instskip(NEXT) | instid1(VALU_DEP_1)
	v_cmp_ge_f32_e64 s7, 0, v39
	v_cndmask_b32_e64 v30, v30, v34, s7
	s_delay_alu instid0(VALU_DEP_3) | instskip(NEXT) | instid1(VALU_DEP_1)
	v_cmp_lt_f32_e64 s7, 0, v40
	v_cndmask_b32_e64 v30, v30, v37, s7
	s_delay_alu instid0(VALU_DEP_1) | instskip(NEXT) | instid1(VALU_DEP_1)
	v_mul_f32_e32 v34, 0x37800000, v30
	v_cndmask_b32_e32 v30, v30, v34, vcc_lo
	v_cmp_class_f32_e64 vcc_lo, v24, 0x260
	s_delay_alu instid0(VALU_DEP_2) | instskip(NEXT) | instid1(VALU_DEP_1)
	v_cndmask_b32_e32 v34, v30, v24, vcc_lo
	v_add_f32_e32 v24, v34, v34
	s_delay_alu instid0(VALU_DEP_1) | instskip(NEXT) | instid1(VALU_DEP_1)
	v_div_scale_f32 v30, null, v24, v24, v31
	v_rcp_f32_e32 v37, v30
	v_nop
	s_delay_alu instid0(TRANS32_DEP_1) | instskip(NEXT) | instid1(VALU_DEP_1)
	v_fma_f32 v39, -v30, v37, 1.0
	v_fmac_f32_e32 v37, v39, v37
	v_div_scale_f32 v39, vcc_lo, v31, v24, v31
	s_delay_alu instid0(VALU_DEP_1) | instskip(NEXT) | instid1(VALU_DEP_1)
	v_mul_f32_e32 v40, v39, v37
	v_fma_f32 v41, -v30, v40, v39
	s_delay_alu instid0(VALU_DEP_1) | instskip(NEXT) | instid1(VALU_DEP_1)
	v_fmac_f32_e32 v40, v41, v37
	v_fma_f32 v30, -v30, v40, v39
	s_delay_alu instid0(VALU_DEP_1) | instskip(NEXT) | instid1(VALU_DEP_1)
	v_div_fmas_f32 v30, v30, v37, v40
	v_div_fixup_f32 v37, v30, v24, v31
                                        ; implicit-def: $vgpr24
                                        ; implicit-def: $vgpr30_vgpr31
	s_and_not1_saveexec_b32 s28, s28
	s_cbranch_execz .LBB234_120
	s_branch .LBB234_119
.LBB234_114:                            ;   in Loop: Header=BB234_4 Depth=1
	s_or_b32 exec_lo, exec_lo, s23
	s_and_saveexec_b32 s6, s2
	s_delay_alu instid0(SALU_CYCLE_1)
	s_xor_b32 s2, exec_lo, s6
	s_cbranch_execz .LBB234_136
.LBB234_115:                            ;   in Loop: Header=BB234_4 Depth=1
	v_mov_b32_e32 v39, v33
	global_store_b64 v[20:21], v[38:39], off
	s_wait_xcnt 0x0
	s_or_b32 exec_lo, exec_lo, s2
	s_and_saveexec_b32 s2, s3
	s_cbranch_execnz .LBB234_137
.LBB234_116:                            ;   in Loop: Header=BB234_4 Depth=1
	s_or_b32 exec_lo, exec_lo, s2
	s_and_saveexec_b32 s2, s4
	s_cbranch_execz .LBB234_138
.LBB234_117:                            ;   in Loop: Header=BB234_4 Depth=1
	v_mov_b32_e32 v33, v35
	global_store_b64 v[26:27], v[32:33], off
	s_wait_xcnt 0x0
	s_or_b32 exec_lo, exec_lo, s2
	s_and_saveexec_b32 s2, s5
	s_cbranch_execz .LBB234_3
	s_branch .LBB234_139
.LBB234_118:                            ;   in Loop: Header=BB234_4 Depth=1
	s_and_not1_saveexec_b32 s28, s28
	s_cbranch_execz .LBB234_120
.LBB234_119:                            ;   in Loop: Header=BB234_4 Depth=1
	v_sub_f32_e32 v24, v24, v30
	s_delay_alu instid0(VALU_DEP_1) | instskip(NEXT) | instid1(VALU_DEP_1)
	v_mul_f32_e32 v24, 0.5, v24
	v_mul_f32_e32 v30, 0x4f800000, v24
	v_cmp_gt_f32_e32 vcc_lo, 0xf800000, v24
	s_delay_alu instid0(VALU_DEP_2) | instskip(NEXT) | instid1(VALU_DEP_1)
	v_cndmask_b32_e32 v24, v24, v30, vcc_lo
	v_sqrt_f32_e32 v30, v24
	v_nop
	s_delay_alu instid0(TRANS32_DEP_1) | instskip(NEXT) | instid1(VALU_DEP_1)
	v_dual_add_nc_u32 v34, -1, v30 :: v_dual_add_nc_u32 v37, 1, v30
	v_dual_fma_f32 v39, -v34, v30, v24 :: v_dual_fma_f32 v40, -v37, v30, v24
	s_delay_alu instid0(VALU_DEP_1) | instskip(NEXT) | instid1(VALU_DEP_1)
	v_cmp_ge_f32_e64 s7, 0, v39
	v_cndmask_b32_e64 v30, v30, v34, s7
	s_delay_alu instid0(VALU_DEP_3) | instskip(NEXT) | instid1(VALU_DEP_1)
	v_cmp_lt_f32_e64 s7, 0, v40
	v_cndmask_b32_e64 v30, v30, v37, s7
	s_delay_alu instid0(VALU_DEP_1) | instskip(NEXT) | instid1(VALU_DEP_1)
	v_mul_f32_e32 v34, 0x37800000, v30
	v_cndmask_b32_e32 v30, v30, v34, vcc_lo
	v_cmp_class_f32_e64 vcc_lo, v24, 0x260
	s_delay_alu instid0(VALU_DEP_2) | instskip(SKIP_1) | instid1(VALU_DEP_2)
	v_cndmask_b32_e32 v24, v30, v24, vcc_lo
	v_and_b32_e32 v30, 0x7fffffff, v31
	v_add_f32_e32 v34, v24, v24
	s_delay_alu instid0(VALU_DEP_1) | instskip(SKIP_1) | instid1(VALU_DEP_2)
	v_div_scale_f32 v37, null, v34, v34, v30
	v_div_scale_f32 v30, vcc_lo, v30, v34, v30
	v_rcp_f32_e32 v39, v37
	v_nop
	s_delay_alu instid0(TRANS32_DEP_1) | instskip(NEXT) | instid1(VALU_DEP_1)
	v_fma_f32 v40, -v37, v39, 1.0
	v_fmac_f32_e32 v39, v40, v39
	s_delay_alu instid0(VALU_DEP_1) | instskip(NEXT) | instid1(VALU_DEP_1)
	v_mul_f32_e32 v40, v30, v39
	v_fma_f32 v41, -v37, v40, v30
	s_delay_alu instid0(VALU_DEP_1) | instskip(NEXT) | instid1(VALU_DEP_1)
	v_fmac_f32_e32 v40, v41, v39
	v_fma_f32 v30, -v37, v40, v30
	v_bfi_b32 v37, 0x7fffffff, v24, v31
	s_delay_alu instid0(VALU_DEP_2) | instskip(NEXT) | instid1(VALU_DEP_1)
	v_div_fmas_f32 v30, v30, v39, v40
	v_div_fixup_f32 v34, v30, v34, |v31|
.LBB234_120:                            ;   in Loop: Header=BB234_4 Depth=1
	s_or_b32 exec_lo, exec_lo, s28
                                        ; implicit-def: $vgpr31
                                        ; implicit-def: $vgpr24
	s_and_saveexec_b32 s7, s6
	s_delay_alu instid0(SALU_CYCLE_1)
	s_xor_b32 s6, exec_lo, s7
	s_cbranch_execz .LBB234_122
; %bb.121:                              ;   in Loop: Header=BB234_4 Depth=1
	v_dual_mul_f32 v24, 0.5, v34 :: v_dual_mul_f32 v30, 0.5, v37
	s_delay_alu instid0(VALU_DEP_1)
	v_dual_cndmask_b32 v24, v34, v24, s27 :: v_dual_cndmask_b32 v31, v37, v30, s27
                                        ; implicit-def: $vgpr34
                                        ; implicit-def: $vgpr37
	s_and_not1_saveexec_b32 s6, s6
	s_cbranch_execnz .LBB234_123
	s_branch .LBB234_124
.LBB234_122:                            ;   in Loop: Header=BB234_4 Depth=1
	s_and_not1_saveexec_b32 s6, s6
.LBB234_123:                            ;   in Loop: Header=BB234_4 Depth=1
	v_dual_add_f32 v24, v34, v34 :: v_dual_add_f32 v31, v37, v37
.LBB234_124:                            ;   in Loop: Header=BB234_4 Depth=1
	s_or_b32 exec_lo, exec_lo, s6
.LBB234_125:                            ;   in Loop: Header=BB234_4 Depth=1
	s_and_not1_saveexec_b32 s6, s26
	s_cbranch_execz .LBB234_131
; %bb.126:                              ;   in Loop: Header=BB234_4 Depth=1
	s_delay_alu instid0(VALU_DEP_1) | instskip(SKIP_1) | instid1(VALU_DEP_1)
	v_sub_f32_e32 v34, v31, v31
	s_mov_b32 s7, exec_lo
	v_and_b32_e32 v24, 0x7fffffff, v34
	v_cmpx_lt_i32_e32 -1, v30
	s_xor_b32 s7, exec_lo, s7
; %bb.127:                              ;   in Loop: Header=BB234_4 Depth=1
	v_bfi_b32 v31, 0x7fffffff, v34, v31
	v_mov_b32_e32 v24, v30
; %bb.128:                              ;   in Loop: Header=BB234_4 Depth=1
	s_and_not1_saveexec_b32 s7, s7
; %bb.129:                              ;   in Loop: Header=BB234_4 Depth=1
	s_delay_alu instid0(VALU_DEP_2)
	v_bfi_b32 v31, 0x7fffffff, v30, v31
; %bb.130:                              ;   in Loop: Header=BB234_4 Depth=1
	s_or_b32 exec_lo, exec_lo, s7
.LBB234_131:                            ;   in Loop: Header=BB234_4 Depth=1
	s_delay_alu instid0(SALU_CYCLE_1)
	s_or_b32 exec_lo, exec_lo, s6
.LBB234_132:                            ;   in Loop: Header=BB234_4 Depth=1
	s_and_not1_saveexec_b32 s6, s25
	s_cbranch_execz .LBB234_134
; %bb.133:                              ;   in Loop: Header=BB234_4 Depth=1
	v_sub_f32_e32 v24, v31, v31
	s_delay_alu instid0(VALU_DEP_1) | instskip(NEXT) | instid1(VALU_DEP_1)
	v_div_scale_f32 v31, vcc_lo, v24, v24, v24
	v_rcp_f32_e32 v34, v31
	v_nop
	s_delay_alu instid0(TRANS32_DEP_1) | instskip(NEXT) | instid1(VALU_DEP_1)
	v_fma_f32 v37, -v31, v34, 1.0
	v_fmac_f32_e32 v34, v37, v34
	s_delay_alu instid0(VALU_DEP_1) | instskip(NEXT) | instid1(VALU_DEP_1)
	v_mul_f32_e32 v37, v31, v34
	v_fma_f32 v39, -v31, v37, v31
	s_delay_alu instid0(VALU_DEP_1) | instskip(NEXT) | instid1(VALU_DEP_1)
	v_fmac_f32_e32 v37, v39, v34
	v_fma_f32 v31, -v31, v37, v31
	s_delay_alu instid0(VALU_DEP_1) | instskip(NEXT) | instid1(VALU_DEP_1)
	v_div_fmas_f32 v31, v31, v34, v37
	v_div_fixup_f32 v31, v31, v24, v24
	v_mov_b32_e32 v24, v30
.LBB234_134:                            ;   in Loop: Header=BB234_4 Depth=1
	s_or_b32 exec_lo, exec_lo, s6
.LBB234_135:                            ;   in Loop: Header=BB234_4 Depth=1
	s_delay_alu instid0(SALU_CYCLE_1) | instskip(NEXT) | instid1(SALU_CYCLE_1)
	s_or_b32 exec_lo, exec_lo, s24
	s_or_b32 exec_lo, exec_lo, s23
	s_and_saveexec_b32 s6, s2
	s_delay_alu instid0(SALU_CYCLE_1)
	s_xor_b32 s2, exec_lo, s6
	s_cbranch_execnz .LBB234_115
.LBB234_136:                            ;   in Loop: Header=BB234_4 Depth=1
	s_or_b32 exec_lo, exec_lo, s2
	s_and_saveexec_b32 s2, s3
	s_cbranch_execz .LBB234_116
.LBB234_137:                            ;   in Loop: Header=BB234_4 Depth=1
	v_mov_b32_e32 v37, v25
	global_store_b64 v[22:23], v[36:37], off
	s_wait_xcnt 0x0
	s_or_b32 exec_lo, exec_lo, s2
	s_and_saveexec_b32 s2, s4
	s_cbranch_execnz .LBB234_117
.LBB234_138:                            ;   in Loop: Header=BB234_4 Depth=1
	s_or_b32 exec_lo, exec_lo, s2
	s_and_saveexec_b32 s2, s5
	s_cbranch_execz .LBB234_3
.LBB234_139:                            ;   in Loop: Header=BB234_4 Depth=1
	v_mov_b32_e32 v25, v31
	global_store_b64 v[28:29], v[24:25], off
	s_branch .LBB234_3
.LBB234_140:
	s_cbranch_execz .LBB234_142
	s_branch .LBB234_265
.LBB234_141:
.LBB234_142:
	v_min_i64 v[14:15], 0x10000, s[12:13]
	v_dual_mov_b32 v3, 0 :: v_dual_lshlrev_b32 v2, 2, v0
	s_mov_b32 s2, exec_lo
	s_delay_alu instid0(VALU_DEP_1)
	v_cmpx_lt_i64_e64 v[2:3], v[14:15]
	s_cbranch_execz .LBB234_265
; %bb.143:
	s_load_b32 s2, s[0:1], 0xd3c
	v_dual_mov_b32 v1, v3 :: v_dual_lshlrev_b32 v2, 5, v0
	s_wait_xcnt 0x0
	s_add_nc_u64 s[0:1], s[8:9], s[10:11]
	s_mov_b32 s3, 0
	s_mov_b32 s4, 0x3e800000
	v_add_nc_u64_e32 v[16:17], s[0:1], v[2:3]
	s_mov_b32 s7, s3
	s_mov_b32 s5, s3
	s_wait_kmcnt 0x0
	s_and_b32 s2, s2, 0xffff
	s_delay_alu instid0(SALU_CYCLE_1)
	s_lshl_b32 s6, s2, 5
	s_branch .LBB234_147
.LBB234_144:                            ;   in Loop: Header=BB234_147 Depth=1
	s_or_b32 exec_lo, exec_lo, s0
.LBB234_145:                            ;   in Loop: Header=BB234_147 Depth=1
	s_delay_alu instid0(SALU_CYCLE_1)
	s_or_b32 exec_lo, exec_lo, s9
.LBB234_146:                            ;   in Loop: Header=BB234_147 Depth=1
	s_delay_alu instid0(SALU_CYCLE_1)
	s_or_b32 exec_lo, exec_lo, s8
	v_add_nc_u64_e32 v[0:1], s[2:3], v[0:1]
	v_dual_mov_b32 v5, v13 :: v_dual_mov_b32 v13, v9
	s_clause 0x1
	global_store_b128 v[16:17], v[2:5], off
	global_store_b128 v[16:17], v[10:13], off offset:16
	v_lshlrev_b64_e32 v[6:7], 2, v[0:1]
	s_wait_xcnt 0x0
	v_add_nc_u64_e32 v[16:17], s[6:7], v[16:17]
	s_delay_alu instid0(VALU_DEP_2) | instskip(SKIP_1) | instid1(SALU_CYCLE_1)
	v_cmp_ge_i64_e32 vcc_lo, v[6:7], v[14:15]
	s_or_b32 s5, vcc_lo, s5
	s_and_not1_b32 exec_lo, exec_lo, s5
	s_cbranch_execz .LBB234_265
.LBB234_147:                            ; =>This Inner Loop Header: Depth=1
	s_clause 0x1
	global_load_b128 v[10:13], v[16:17], off
	global_load_b128 v[6:9], v[16:17], off offset:16
	v_dual_mov_b32 v4, 0 :: v_dual_mov_b32 v2, 0
	s_wait_loadcnt 0x1
	v_cmp_neq_f32_e32 vcc_lo, 0, v10
	v_cmp_neq_f32_e64 s0, 0, v11
	v_mov_b32_e32 v3, v11
	s_or_b32 s0, vcc_lo, s0
	s_wait_xcnt 0x0
	s_and_saveexec_b32 s8, s0
	s_cbranch_execz .LBB234_176
; %bb.148:                              ;   in Loop: Header=BB234_147 Depth=1
	v_dual_mov_b32 v2, 0x7f800000 :: v_dual_mov_b32 v3, v11
	s_mov_b32 s9, exec_lo
	v_cmpx_neq_f32_e64 0x7f800000, |v11|
	s_cbranch_execz .LBB234_175
; %bb.149:                              ;   in Loop: Header=BB234_147 Depth=1
	s_mov_b32 s0, exec_lo
	v_cmpx_o_f32_e32 v10, v10
	s_xor_b32 s10, exec_lo, s0
	s_cbranch_execz .LBB234_172
; %bb.150:                              ;   in Loop: Header=BB234_147 Depth=1
	s_mov_b32 s1, exec_lo
	v_cmpx_neq_f32_e64 0x7f800000, |v10|
	s_xor_b32 s11, exec_lo, s1
	s_cbranch_execz .LBB234_166
; %bb.151:                              ;   in Loop: Header=BB234_147 Depth=1
	v_max_num_f32_e64 v2, |v11|, |v11|
	v_max_num_f32_e64 v3, |v10|, |v10|
                                        ; implicit-def: $sgpr12
	s_delay_alu instid0(VALU_DEP_1) | instskip(NEXT) | instid1(VALU_DEP_1)
	v_max_num_f32_e32 v2, v3, v2
	v_cmp_nle_f32_e64 s0, 0x7ed413cb, v2
                                        ; implicit-def: $vgpr2_vgpr3
	s_and_saveexec_b32 s1, s0
	s_delay_alu instid0(SALU_CYCLE_1)
	s_xor_b32 s1, exec_lo, s1
	s_cbranch_execz .LBB234_155
; %bb.152:                              ;   in Loop: Header=BB234_147 Depth=1
	v_cmp_ge_f32_e64 s12, 0x1000000, |v10|
	v_cmp_ge_f32_e64 s13, 0x1000000, |v11|
	v_mov_b64_e32 v[2:3], v[10:11]
	s_and_b32 s14, s12, s13
	s_mov_b32 s12, 0
	s_and_saveexec_b32 s13, s14
; %bb.153:                              ;   in Loop: Header=BB234_147 Depth=1
	v_pk_mul_f32 v[2:3], v[10:11], 4.0 op_sel_hi:[1,0]
	s_mov_b32 s12, exec_lo
; %bb.154:                              ;   in Loop: Header=BB234_147 Depth=1
	s_or_b32 exec_lo, exec_lo, s13
.LBB234_155:                            ;   in Loop: Header=BB234_147 Depth=1
	s_and_not1_saveexec_b32 s1, s1
; %bb.156:                              ;   in Loop: Header=BB234_147 Depth=1
	v_pk_mul_f32 v[2:3], v[10:11], s[4:5] op_sel_hi:[1,0]
	s_and_not1_b32 s12, s12, exec_lo
; %bb.157:                              ;   in Loop: Header=BB234_147 Depth=1
	s_or_b32 exec_lo, exec_lo, s1
	s_delay_alu instid0(VALU_DEP_1) | instskip(NEXT) | instid1(VALU_DEP_2)
	v_max_num_f32_e64 v5, |v3|, |v3|
	v_max_num_f32_e64 v18, |v2|, |v2|
	s_delay_alu instid0(VALU_DEP_1) | instskip(NEXT) | instid1(VALU_DEP_1)
	v_max_num_f32_e32 v5, v18, v5
	v_cvt_f64_f32_e32 v[18:19], v5
	s_delay_alu instid0(VALU_DEP_1) | instskip(NEXT) | instid1(VALU_DEP_1)
	v_frexp_exp_i32_f64_e32 v18, v[18:19]
	v_sub_nc_u32_e32 v19, 0, v18
	v_cmp_neq_f32_e64 s1, 0x7f800000, v5
                                        ; implicit-def: $vgpr5
	s_delay_alu instid0(VALU_DEP_2) | instskip(SKIP_1) | instid1(VALU_DEP_2)
	v_ldexp_f32 v20, |v3|, v19
	v_ldexp_f32 v19, |v2|, v19
	v_mul_f32_e32 v20, v20, v20
	s_delay_alu instid0(VALU_DEP_1) | instskip(NEXT) | instid1(VALU_DEP_1)
	v_fmac_f32_e32 v20, v19, v19
	v_sqrt_f32_e32 v19, v20
	v_nop
	s_delay_alu instid0(TRANS32_DEP_1) | instskip(NEXT) | instid1(VALU_DEP_1)
	v_ldexp_f32 v18, v19, v18
	v_cndmask_b32_e64 v19, 0x7f800000, v18, s1
                                        ; implicit-def: $vgpr18
	s_mov_b32 s1, exec_lo
	v_cmpx_le_f32_e32 0, v2
	s_xor_b32 s13, exec_lo, s1
	s_cbranch_execz .LBB234_161
; %bb.158:                              ;   in Loop: Header=BB234_147 Depth=1
	v_add_f32_e32 v2, v2, v19
	s_delay_alu instid0(VALU_DEP_1) | instskip(NEXT) | instid1(VALU_DEP_1)
	v_mul_f32_e32 v2, 0.5, v2
	v_mul_f32_e32 v5, 0x4f800000, v2
	v_cmp_gt_f32_e32 vcc_lo, 0xf800000, v2
	s_delay_alu instid0(VALU_DEP_2) | instskip(NEXT) | instid1(VALU_DEP_1)
	v_cndmask_b32_e32 v2, v2, v5, vcc_lo
	v_sqrt_f32_e32 v5, v2
	v_nop
	s_delay_alu instid0(TRANS32_DEP_1) | instskip(NEXT) | instid1(VALU_DEP_1)
	v_dual_add_nc_u32 v18, -1, v5 :: v_dual_add_nc_u32 v19, 1, v5
	v_dual_fma_f32 v20, -v18, v5, v2 :: v_dual_fma_f32 v21, -v19, v5, v2
	s_delay_alu instid0(VALU_DEP_1) | instskip(NEXT) | instid1(VALU_DEP_1)
	v_cmp_ge_f32_e64 s1, 0, v20
	v_cndmask_b32_e64 v5, v5, v18, s1
	s_delay_alu instid0(VALU_DEP_3) | instskip(NEXT) | instid1(VALU_DEP_1)
	v_cmp_lt_f32_e64 s1, 0, v21
	v_cndmask_b32_e64 v5, v5, v19, s1
	s_delay_alu instid0(VALU_DEP_1) | instskip(NEXT) | instid1(VALU_DEP_1)
	v_mul_f32_e32 v18, 0x37800000, v5
	v_cndmask_b32_e32 v5, v5, v18, vcc_lo
	v_cmp_class_f32_e64 vcc_lo, v2, 0x260
	s_delay_alu instid0(VALU_DEP_2) | instskip(NEXT) | instid1(VALU_DEP_1)
	v_cndmask_b32_e32 v5, v5, v2, vcc_lo
	v_add_f32_e32 v2, v5, v5
	s_delay_alu instid0(VALU_DEP_1) | instskip(NEXT) | instid1(VALU_DEP_1)
	v_div_scale_f32 v18, null, v2, v2, v3
	v_rcp_f32_e32 v19, v18
	v_nop
	s_delay_alu instid0(TRANS32_DEP_1) | instskip(NEXT) | instid1(VALU_DEP_1)
	v_fma_f32 v20, -v18, v19, 1.0
	v_fmac_f32_e32 v19, v20, v19
	v_div_scale_f32 v20, vcc_lo, v3, v2, v3
	s_delay_alu instid0(VALU_DEP_1) | instskip(NEXT) | instid1(VALU_DEP_1)
	v_mul_f32_e32 v21, v20, v19
	v_fma_f32 v22, -v18, v21, v20
	s_delay_alu instid0(VALU_DEP_1) | instskip(NEXT) | instid1(VALU_DEP_1)
	v_fmac_f32_e32 v21, v22, v19
	v_fma_f32 v18, -v18, v21, v20
	s_delay_alu instid0(VALU_DEP_1) | instskip(NEXT) | instid1(VALU_DEP_1)
	v_div_fmas_f32 v18, v18, v19, v21
                                        ; implicit-def: $vgpr19
	v_div_fixup_f32 v18, v18, v2, v3
                                        ; implicit-def: $vgpr2_vgpr3
	s_and_not1_saveexec_b32 s13, s13
	s_cbranch_execnz .LBB234_162
.LBB234_159:                            ;   in Loop: Header=BB234_147 Depth=1
	s_or_b32 exec_lo, exec_lo, s13
	s_and_saveexec_b32 s1, s0
	s_delay_alu instid0(SALU_CYCLE_1)
	s_xor_b32 s0, exec_lo, s1
	s_cbranch_execz .LBB234_163
.LBB234_160:                            ;   in Loop: Header=BB234_147 Depth=1
	v_dual_mul_f32 v2, 0.5, v5 :: v_dual_mul_f32 v3, 0.5, v18
	s_delay_alu instid0(VALU_DEP_1)
	v_dual_cndmask_b32 v2, v5, v2, s12 :: v_dual_cndmask_b32 v3, v18, v3, s12
                                        ; implicit-def: $vgpr5
                                        ; implicit-def: $vgpr18
	s_and_not1_saveexec_b32 s0, s0
	s_cbranch_execnz .LBB234_164
	s_branch .LBB234_165
.LBB234_161:                            ;   in Loop: Header=BB234_147 Depth=1
	s_and_not1_saveexec_b32 s13, s13
	s_cbranch_execz .LBB234_159
.LBB234_162:                            ;   in Loop: Header=BB234_147 Depth=1
	v_sub_f32_e32 v2, v19, v2
	s_delay_alu instid0(VALU_DEP_1) | instskip(NEXT) | instid1(VALU_DEP_1)
	v_mul_f32_e32 v2, 0.5, v2
	v_mul_f32_e32 v5, 0x4f800000, v2
	v_cmp_gt_f32_e32 vcc_lo, 0xf800000, v2
	s_delay_alu instid0(VALU_DEP_2) | instskip(NEXT) | instid1(VALU_DEP_1)
	v_cndmask_b32_e32 v2, v2, v5, vcc_lo
	v_sqrt_f32_e32 v5, v2
	v_nop
	s_delay_alu instid0(TRANS32_DEP_1) | instskip(NEXT) | instid1(VALU_DEP_1)
	v_dual_add_nc_u32 v18, -1, v5 :: v_dual_add_nc_u32 v19, 1, v5
	v_dual_fma_f32 v20, -v18, v5, v2 :: v_dual_fma_f32 v21, -v19, v5, v2
	s_delay_alu instid0(VALU_DEP_1) | instskip(NEXT) | instid1(VALU_DEP_1)
	v_cmp_ge_f32_e64 s1, 0, v20
	v_cndmask_b32_e64 v5, v5, v18, s1
	s_delay_alu instid0(VALU_DEP_3) | instskip(NEXT) | instid1(VALU_DEP_1)
	v_cmp_lt_f32_e64 s1, 0, v21
	v_cndmask_b32_e64 v5, v5, v19, s1
	s_delay_alu instid0(VALU_DEP_1) | instskip(NEXT) | instid1(VALU_DEP_1)
	v_mul_f32_e32 v18, 0x37800000, v5
	v_cndmask_b32_e32 v5, v5, v18, vcc_lo
	v_cmp_class_f32_e64 vcc_lo, v2, 0x260
	s_delay_alu instid0(VALU_DEP_2) | instskip(SKIP_1) | instid1(VALU_DEP_2)
	v_cndmask_b32_e32 v2, v5, v2, vcc_lo
	v_and_b32_e32 v5, 0x7fffffff, v3
	v_add_f32_e32 v18, v2, v2
	s_delay_alu instid0(VALU_DEP_1) | instskip(SKIP_1) | instid1(VALU_DEP_2)
	v_div_scale_f32 v19, null, v18, v18, v5
	v_div_scale_f32 v5, vcc_lo, v5, v18, v5
	v_rcp_f32_e32 v20, v19
	v_nop
	s_delay_alu instid0(TRANS32_DEP_1) | instskip(NEXT) | instid1(VALU_DEP_1)
	v_fma_f32 v21, -v19, v20, 1.0
	v_fmac_f32_e32 v20, v21, v20
	s_delay_alu instid0(VALU_DEP_1) | instskip(NEXT) | instid1(VALU_DEP_1)
	v_mul_f32_e32 v21, v5, v20
	v_fma_f32 v22, -v19, v21, v5
	s_delay_alu instid0(VALU_DEP_1) | instskip(NEXT) | instid1(VALU_DEP_1)
	v_fmac_f32_e32 v21, v22, v20
	v_fma_f32 v5, -v19, v21, v5
	s_delay_alu instid0(VALU_DEP_1) | instskip(NEXT) | instid1(VALU_DEP_1)
	v_div_fmas_f32 v5, v5, v20, v21
	v_div_fixup_f32 v5, v5, v18, |v3|
	v_bfi_b32 v18, 0x7fffffff, v2, v3
	s_or_b32 exec_lo, exec_lo, s13
	s_and_saveexec_b32 s1, s0
	s_delay_alu instid0(SALU_CYCLE_1)
	s_xor_b32 s0, exec_lo, s1
	s_cbranch_execnz .LBB234_160
.LBB234_163:                            ;   in Loop: Header=BB234_147 Depth=1
	s_and_not1_saveexec_b32 s0, s0
.LBB234_164:                            ;   in Loop: Header=BB234_147 Depth=1
	v_dual_add_f32 v2, v5, v5 :: v_dual_add_f32 v3, v18, v18
.LBB234_165:                            ;   in Loop: Header=BB234_147 Depth=1
	s_or_b32 exec_lo, exec_lo, s0
.LBB234_166:                            ;   in Loop: Header=BB234_147 Depth=1
	s_and_not1_saveexec_b32 s0, s11
	s_cbranch_execz .LBB234_188
; %bb.167:                              ;   in Loop: Header=BB234_147 Depth=1
	v_sub_f32_e32 v3, v11, v11
	s_mov_b32 s1, exec_lo
	s_delay_alu instid0(VALU_DEP_1)
	v_and_b32_e32 v2, 0x7fffffff, v3
	v_cmpx_lt_i32_e32 -1, v10
	s_xor_b32 s1, exec_lo, s1
; %bb.168:                              ;   in Loop: Header=BB234_147 Depth=1
	v_bfi_b32 v3, 0x7fffffff, v3, v11
	v_mov_b32_e32 v2, v10
; %bb.169:                              ;   in Loop: Header=BB234_147 Depth=1
	s_and_not1_saveexec_b32 s1, s1
; %bb.170:                              ;   in Loop: Header=BB234_147 Depth=1
	v_bfi_b32 v3, 0x7fffffff, v10, v11
; %bb.171:                              ;   in Loop: Header=BB234_147 Depth=1
	s_or_b32 exec_lo, exec_lo, s1
	s_delay_alu instid0(SALU_CYCLE_1)
	s_or_b32 exec_lo, exec_lo, s0
.LBB234_172:                            ;   in Loop: Header=BB234_147 Depth=1
	s_and_not1_saveexec_b32 s0, s10
	s_cbranch_execz .LBB234_174
.LBB234_173:                            ;   in Loop: Header=BB234_147 Depth=1
	v_sub_f32_e32 v2, v11, v11
	s_delay_alu instid0(VALU_DEP_1) | instskip(NEXT) | instid1(VALU_DEP_1)
	v_div_scale_f32 v3, vcc_lo, v2, v2, v2
	v_rcp_f32_e32 v5, v3
	v_nop
	s_delay_alu instid0(TRANS32_DEP_1) | instskip(NEXT) | instid1(VALU_DEP_1)
	v_fma_f32 v11, -v3, v5, 1.0
	v_fmac_f32_e32 v5, v11, v5
	s_delay_alu instid0(VALU_DEP_1) | instskip(NEXT) | instid1(VALU_DEP_1)
	v_mul_f32_e32 v11, v3, v5
	v_fma_f32 v18, -v3, v11, v3
	s_delay_alu instid0(VALU_DEP_1) | instskip(NEXT) | instid1(VALU_DEP_1)
	v_fmac_f32_e32 v11, v18, v5
	v_fma_f32 v3, -v3, v11, v3
	s_delay_alu instid0(VALU_DEP_1) | instskip(NEXT) | instid1(VALU_DEP_1)
	v_div_fmas_f32 v3, v3, v5, v11
	v_div_fixup_f32 v3, v3, v2, v2
	v_mov_b32_e32 v2, v10
.LBB234_174:                            ;   in Loop: Header=BB234_147 Depth=1
	s_or_b32 exec_lo, exec_lo, s0
.LBB234_175:                            ;   in Loop: Header=BB234_147 Depth=1
	s_delay_alu instid0(SALU_CYCLE_1)
	s_or_b32 exec_lo, exec_lo, s9
.LBB234_176:                            ;   in Loop: Header=BB234_147 Depth=1
	s_delay_alu instid0(SALU_CYCLE_1) | instskip(SKIP_3) | instid1(SALU_CYCLE_1)
	s_or_b32 exec_lo, exec_lo, s8
	v_cmp_neq_f32_e32 vcc_lo, 0, v12
	v_cmp_neq_f32_e64 s0, 0, v13
	s_or_b32 s0, vcc_lo, s0
	s_and_saveexec_b32 s8, s0
	s_cbranch_execz .LBB234_207
; %bb.177:                              ;   in Loop: Header=BB234_147 Depth=1
	v_mov_b32_e32 v4, 0x7f800000
	s_mov_b32 s9, exec_lo
	v_cmpx_neq_f32_e64 0x7f800000, |v13|
	s_cbranch_execz .LBB234_206
; %bb.178:                              ;   in Loop: Header=BB234_147 Depth=1
	s_mov_b32 s0, exec_lo
	v_cmpx_o_f32_e32 v12, v12
	s_xor_b32 s10, exec_lo, s0
	s_cbranch_execz .LBB234_203
; %bb.179:                              ;   in Loop: Header=BB234_147 Depth=1
	s_mov_b32 s1, exec_lo
	v_cmpx_neq_f32_e64 0x7f800000, |v12|
	s_xor_b32 s11, exec_lo, s1
	s_cbranch_execz .LBB234_196
; %bb.180:                              ;   in Loop: Header=BB234_147 Depth=1
	v_max_num_f32_e64 v4, |v13|, |v13|
	v_max_num_f32_e64 v5, |v12|, |v12|
                                        ; implicit-def: $sgpr12
	s_delay_alu instid0(VALU_DEP_1) | instskip(NEXT) | instid1(VALU_DEP_1)
	v_max_num_f32_e32 v4, v5, v4
	v_cmp_nle_f32_e64 s0, 0x7ed413cb, v4
	s_and_saveexec_b32 s1, s0
	s_delay_alu instid0(SALU_CYCLE_1)
	s_xor_b32 s1, exec_lo, s1
	s_cbranch_execz .LBB234_184
; %bb.181:                              ;   in Loop: Header=BB234_147 Depth=1
	v_cmp_ge_f32_e64 s12, 0x1000000, |v12|
	v_cmp_ge_f32_e64 s13, 0x1000000, |v13|
	s_and_b32 s14, s12, s13
	s_mov_b32 s12, 0
	s_and_saveexec_b32 s13, s14
; %bb.182:                              ;   in Loop: Header=BB234_147 Depth=1
	v_pk_mul_f32 v[12:13], v[12:13], 4.0 op_sel_hi:[1,0]
	s_mov_b32 s12, exec_lo
; %bb.183:                              ;   in Loop: Header=BB234_147 Depth=1
	s_or_b32 exec_lo, exec_lo, s13
.LBB234_184:                            ;   in Loop: Header=BB234_147 Depth=1
	s_and_not1_saveexec_b32 s1, s1
; %bb.185:                              ;   in Loop: Header=BB234_147 Depth=1
	s_delay_alu instid0(VALU_DEP_1)
	v_pk_mul_f32 v[12:13], v[12:13], s[4:5] op_sel_hi:[1,0]
	s_and_not1_b32 s12, s12, exec_lo
; %bb.186:                              ;   in Loop: Header=BB234_147 Depth=1
	s_or_b32 exec_lo, exec_lo, s1
	s_delay_alu instid0(VALU_DEP_1) | instskip(NEXT) | instid1(VALU_DEP_2)
	v_max_num_f32_e64 v4, |v13|, |v13|
	v_max_num_f32_e64 v5, |v12|, |v12|
	s_delay_alu instid0(VALU_DEP_1) | instskip(NEXT) | instid1(VALU_DEP_1)
	v_max_num_f32_e32 v10, v5, v4
	v_cvt_f64_f32_e32 v[4:5], v10
	s_delay_alu instid0(VALU_DEP_1) | instskip(NEXT) | instid1(VALU_DEP_1)
	v_frexp_exp_i32_f64_e32 v4, v[4:5]
	v_sub_nc_u32_e32 v5, 0, v4
	v_cmp_neq_f32_e64 s1, 0x7f800000, v10
                                        ; implicit-def: $vgpr10
	s_delay_alu instid0(VALU_DEP_2) | instskip(SKIP_1) | instid1(VALU_DEP_2)
	v_ldexp_f32 v11, |v13|, v5
	v_ldexp_f32 v5, |v12|, v5
	v_mul_f32_e32 v11, v11, v11
	s_delay_alu instid0(VALU_DEP_1) | instskip(NEXT) | instid1(VALU_DEP_1)
	v_fmac_f32_e32 v11, v5, v5
	v_sqrt_f32_e32 v5, v11
	v_nop
	s_delay_alu instid0(TRANS32_DEP_1) | instskip(NEXT) | instid1(VALU_DEP_1)
	v_ldexp_f32 v4, v5, v4
                                        ; implicit-def: $vgpr5
	v_cndmask_b32_e64 v4, 0x7f800000, v4, s1
	s_mov_b32 s1, exec_lo
	v_cmpx_le_f32_e32 0, v12
	s_xor_b32 s13, exec_lo, s1
	s_cbranch_execz .LBB234_189
; %bb.187:                              ;   in Loop: Header=BB234_147 Depth=1
	v_add_f32_e32 v4, v12, v4
	s_delay_alu instid0(VALU_DEP_1) | instskip(NEXT) | instid1(VALU_DEP_1)
	v_mul_f32_e32 v4, 0.5, v4
	v_mul_f32_e32 v5, 0x4f800000, v4
	v_cmp_gt_f32_e32 vcc_lo, 0xf800000, v4
	s_delay_alu instid0(VALU_DEP_2) | instskip(NEXT) | instid1(VALU_DEP_1)
	v_cndmask_b32_e32 v4, v4, v5, vcc_lo
	v_sqrt_f32_e32 v5, v4
	v_nop
	s_delay_alu instid0(TRANS32_DEP_1) | instskip(NEXT) | instid1(VALU_DEP_1)
	v_dual_add_nc_u32 v10, -1, v5 :: v_dual_add_nc_u32 v11, 1, v5
	v_dual_fma_f32 v12, -v10, v5, v4 :: v_dual_fma_f32 v18, -v11, v5, v4
	s_delay_alu instid0(VALU_DEP_1) | instskip(NEXT) | instid1(VALU_DEP_1)
	v_cmp_ge_f32_e64 s1, 0, v12
	v_cndmask_b32_e64 v5, v5, v10, s1
	s_delay_alu instid0(VALU_DEP_3) | instskip(NEXT) | instid1(VALU_DEP_1)
	v_cmp_lt_f32_e64 s1, 0, v18
	v_cndmask_b32_e64 v5, v5, v11, s1
	s_delay_alu instid0(VALU_DEP_1) | instskip(NEXT) | instid1(VALU_DEP_1)
	v_mul_f32_e32 v10, 0x37800000, v5
	v_cndmask_b32_e32 v5, v5, v10, vcc_lo
	v_cmp_class_f32_e64 vcc_lo, v4, 0x260
	s_delay_alu instid0(VALU_DEP_2) | instskip(NEXT) | instid1(VALU_DEP_1)
	v_cndmask_b32_e32 v5, v5, v4, vcc_lo
	v_add_f32_e32 v4, v5, v5
	s_delay_alu instid0(VALU_DEP_1) | instskip(NEXT) | instid1(VALU_DEP_1)
	v_div_scale_f32 v10, null, v4, v4, v13
	v_rcp_f32_e32 v11, v10
	v_nop
	s_delay_alu instid0(TRANS32_DEP_1) | instskip(NEXT) | instid1(VALU_DEP_1)
	v_fma_f32 v12, -v10, v11, 1.0
	v_fmac_f32_e32 v11, v12, v11
	v_div_scale_f32 v12, vcc_lo, v13, v4, v13
	s_delay_alu instid0(VALU_DEP_1) | instskip(NEXT) | instid1(VALU_DEP_1)
	v_mul_f32_e32 v18, v12, v11
	v_fma_f32 v19, -v10, v18, v12
	s_delay_alu instid0(VALU_DEP_1) | instskip(NEXT) | instid1(VALU_DEP_1)
	v_fmac_f32_e32 v18, v19, v11
	v_fma_f32 v10, -v10, v18, v12
	s_delay_alu instid0(VALU_DEP_1) | instskip(NEXT) | instid1(VALU_DEP_1)
	v_div_fmas_f32 v10, v10, v11, v18
	v_div_fixup_f32 v10, v10, v4, v13
                                        ; implicit-def: $vgpr4
                                        ; implicit-def: $vgpr12_vgpr13
	s_and_not1_saveexec_b32 s13, s13
	s_cbranch_execz .LBB234_191
	s_branch .LBB234_190
.LBB234_188:                            ;   in Loop: Header=BB234_147 Depth=1
	s_or_b32 exec_lo, exec_lo, s0
	s_and_not1_saveexec_b32 s0, s10
	s_cbranch_execnz .LBB234_173
	s_branch .LBB234_174
.LBB234_189:                            ;   in Loop: Header=BB234_147 Depth=1
	s_and_not1_saveexec_b32 s13, s13
	s_cbranch_execz .LBB234_191
.LBB234_190:                            ;   in Loop: Header=BB234_147 Depth=1
	v_sub_f32_e32 v4, v4, v12
	s_delay_alu instid0(VALU_DEP_1) | instskip(NEXT) | instid1(VALU_DEP_1)
	v_mul_f32_e32 v4, 0.5, v4
	v_mul_f32_e32 v5, 0x4f800000, v4
	v_cmp_gt_f32_e32 vcc_lo, 0xf800000, v4
	s_delay_alu instid0(VALU_DEP_2) | instskip(NEXT) | instid1(VALU_DEP_1)
	v_cndmask_b32_e32 v4, v4, v5, vcc_lo
	v_sqrt_f32_e32 v5, v4
	v_nop
	s_delay_alu instid0(TRANS32_DEP_1) | instskip(NEXT) | instid1(VALU_DEP_1)
	v_dual_add_nc_u32 v10, -1, v5 :: v_dual_add_nc_u32 v11, 1, v5
	v_dual_fma_f32 v12, -v10, v5, v4 :: v_dual_fma_f32 v18, -v11, v5, v4
	s_delay_alu instid0(VALU_DEP_1) | instskip(NEXT) | instid1(VALU_DEP_1)
	v_cmp_ge_f32_e64 s1, 0, v12
	v_cndmask_b32_e64 v5, v5, v10, s1
	s_delay_alu instid0(VALU_DEP_3) | instskip(NEXT) | instid1(VALU_DEP_1)
	v_cmp_lt_f32_e64 s1, 0, v18
	v_cndmask_b32_e64 v5, v5, v11, s1
	s_delay_alu instid0(VALU_DEP_1) | instskip(NEXT) | instid1(VALU_DEP_1)
	v_mul_f32_e32 v10, 0x37800000, v5
	v_cndmask_b32_e32 v5, v5, v10, vcc_lo
	v_cmp_class_f32_e64 vcc_lo, v4, 0x260
	s_delay_alu instid0(VALU_DEP_2) | instskip(SKIP_1) | instid1(VALU_DEP_2)
	v_cndmask_b32_e32 v4, v5, v4, vcc_lo
	v_and_b32_e32 v5, 0x7fffffff, v13
	v_add_f32_e32 v10, v4, v4
	s_delay_alu instid0(VALU_DEP_1) | instskip(SKIP_1) | instid1(VALU_DEP_2)
	v_div_scale_f32 v11, null, v10, v10, v5
	v_div_scale_f32 v5, vcc_lo, v5, v10, v5
	v_rcp_f32_e32 v12, v11
	v_nop
	s_delay_alu instid0(TRANS32_DEP_1) | instskip(NEXT) | instid1(VALU_DEP_1)
	v_fma_f32 v18, -v11, v12, 1.0
	v_fmac_f32_e32 v12, v18, v12
	s_delay_alu instid0(VALU_DEP_1) | instskip(NEXT) | instid1(VALU_DEP_1)
	v_mul_f32_e32 v18, v5, v12
	v_fma_f32 v19, -v11, v18, v5
	s_delay_alu instid0(VALU_DEP_1) | instskip(NEXT) | instid1(VALU_DEP_1)
	v_fmac_f32_e32 v18, v19, v12
	v_fma_f32 v5, -v11, v18, v5
	s_delay_alu instid0(VALU_DEP_1) | instskip(NEXT) | instid1(VALU_DEP_1)
	v_div_fmas_f32 v5, v5, v12, v18
	v_div_fixup_f32 v5, v5, v10, |v13|
	v_bfi_b32 v10, 0x7fffffff, v4, v13
.LBB234_191:                            ;   in Loop: Header=BB234_147 Depth=1
	s_or_b32 exec_lo, exec_lo, s13
                                        ; implicit-def: $vgpr13
	s_and_saveexec_b32 s1, s0
	s_delay_alu instid0(SALU_CYCLE_1)
	s_xor_b32 s0, exec_lo, s1
	s_cbranch_execz .LBB234_193
; %bb.192:                              ;   in Loop: Header=BB234_147 Depth=1
	v_dual_mul_f32 v4, 0.5, v5 :: v_dual_mul_f32 v11, 0.5, v10
	s_delay_alu instid0(VALU_DEP_1)
	v_dual_cndmask_b32 v4, v5, v4, s12 :: v_dual_cndmask_b32 v13, v10, v11, s12
                                        ; implicit-def: $vgpr5
                                        ; implicit-def: $vgpr10
	s_and_not1_saveexec_b32 s0, s0
	s_cbranch_execnz .LBB234_194
	s_branch .LBB234_195
.LBB234_193:                            ;   in Loop: Header=BB234_147 Depth=1
	s_and_not1_saveexec_b32 s0, s0
.LBB234_194:                            ;   in Loop: Header=BB234_147 Depth=1
	v_dual_add_f32 v4, v5, v5 :: v_dual_add_f32 v13, v10, v10
.LBB234_195:                            ;   in Loop: Header=BB234_147 Depth=1
	s_or_b32 exec_lo, exec_lo, s0
.LBB234_196:                            ;   in Loop: Header=BB234_147 Depth=1
	s_and_not1_saveexec_b32 s0, s11
	s_cbranch_execz .LBB234_202
; %bb.197:                              ;   in Loop: Header=BB234_147 Depth=1
	s_delay_alu instid0(VALU_DEP_1) | instskip(SKIP_1) | instid1(VALU_DEP_1)
	v_sub_f32_e32 v5, v13, v13
	s_mov_b32 s1, exec_lo
	v_and_b32_e32 v4, 0x7fffffff, v5
	v_cmpx_lt_i32_e32 -1, v12
	s_xor_b32 s1, exec_lo, s1
; %bb.198:                              ;   in Loop: Header=BB234_147 Depth=1
	v_bfi_b32 v13, 0x7fffffff, v5, v13
	v_mov_b32_e32 v4, v12
; %bb.199:                              ;   in Loop: Header=BB234_147 Depth=1
	s_and_not1_saveexec_b32 s1, s1
; %bb.200:                              ;   in Loop: Header=BB234_147 Depth=1
	s_delay_alu instid0(VALU_DEP_2)
	v_bfi_b32 v13, 0x7fffffff, v12, v13
; %bb.201:                              ;   in Loop: Header=BB234_147 Depth=1
	s_or_b32 exec_lo, exec_lo, s1
.LBB234_202:                            ;   in Loop: Header=BB234_147 Depth=1
	s_delay_alu instid0(SALU_CYCLE_1)
	s_or_b32 exec_lo, exec_lo, s0
.LBB234_203:                            ;   in Loop: Header=BB234_147 Depth=1
	s_and_not1_saveexec_b32 s0, s10
	s_cbranch_execz .LBB234_205
; %bb.204:                              ;   in Loop: Header=BB234_147 Depth=1
	v_sub_f32_e32 v4, v13, v13
	s_delay_alu instid0(VALU_DEP_1) | instskip(NEXT) | instid1(VALU_DEP_1)
	v_div_scale_f32 v5, vcc_lo, v4, v4, v4
	v_rcp_f32_e32 v10, v5
	v_nop
	s_delay_alu instid0(TRANS32_DEP_1) | instskip(NEXT) | instid1(VALU_DEP_1)
	v_fma_f32 v11, -v5, v10, 1.0
	v_fmac_f32_e32 v10, v11, v10
	s_delay_alu instid0(VALU_DEP_1) | instskip(NEXT) | instid1(VALU_DEP_1)
	v_mul_f32_e32 v11, v5, v10
	v_fma_f32 v13, -v5, v11, v5
	s_delay_alu instid0(VALU_DEP_1) | instskip(NEXT) | instid1(VALU_DEP_1)
	v_fmac_f32_e32 v11, v13, v10
	v_fma_f32 v5, -v5, v11, v5
	s_delay_alu instid0(VALU_DEP_1) | instskip(NEXT) | instid1(VALU_DEP_1)
	v_div_fmas_f32 v5, v5, v10, v11
	v_div_fixup_f32 v13, v5, v4, v4
	v_mov_b32_e32 v4, v12
.LBB234_205:                            ;   in Loop: Header=BB234_147 Depth=1
	s_or_b32 exec_lo, exec_lo, s0
.LBB234_206:                            ;   in Loop: Header=BB234_147 Depth=1
	s_delay_alu instid0(SALU_CYCLE_1)
	s_or_b32 exec_lo, exec_lo, s9
.LBB234_207:                            ;   in Loop: Header=BB234_147 Depth=1
	s_delay_alu instid0(SALU_CYCLE_1)
	s_or_b32 exec_lo, exec_lo, s8
	s_wait_loadcnt 0x0
	v_cmp_neq_f32_e32 vcc_lo, 0, v6
	v_cmp_neq_f32_e64 s0, 0, v7
	v_dual_mov_b32 v12, 0 :: v_dual_mov_b32 v10, 0
	v_mov_b32_e32 v11, v7
	s_or_b32 s0, vcc_lo, s0
	s_delay_alu instid0(SALU_CYCLE_1)
	s_and_saveexec_b32 s8, s0
	s_cbranch_execz .LBB234_237
; %bb.208:                              ;   in Loop: Header=BB234_147 Depth=1
	v_dual_mov_b32 v10, 0x7f800000 :: v_dual_mov_b32 v11, v7
	s_mov_b32 s9, exec_lo
	v_cmpx_neq_f32_e64 0x7f800000, |v7|
	s_cbranch_execz .LBB234_236
; %bb.209:                              ;   in Loop: Header=BB234_147 Depth=1
	s_mov_b32 s0, exec_lo
	v_cmpx_o_f32_e32 v6, v6
	s_xor_b32 s10, exec_lo, s0
	s_cbranch_execz .LBB234_233
; %bb.210:                              ;   in Loop: Header=BB234_147 Depth=1
	s_mov_b32 s1, exec_lo
	v_cmpx_neq_f32_e64 0x7f800000, |v6|
	s_xor_b32 s11, exec_lo, s1
	s_cbranch_execz .LBB234_226
; %bb.211:                              ;   in Loop: Header=BB234_147 Depth=1
	v_max_num_f32_e64 v5, |v7|, |v7|
	v_max_num_f32_e64 v10, |v6|, |v6|
                                        ; implicit-def: $sgpr12
	s_delay_alu instid0(VALU_DEP_1) | instskip(NEXT) | instid1(VALU_DEP_1)
	v_max_num_f32_e32 v5, v10, v5
                                        ; implicit-def: $vgpr10_vgpr11
	v_cmp_nle_f32_e64 s0, 0x7ed413cb, v5
	s_and_saveexec_b32 s1, s0
	s_delay_alu instid0(SALU_CYCLE_1)
	s_xor_b32 s1, exec_lo, s1
	s_cbranch_execz .LBB234_215
; %bb.212:                              ;   in Loop: Header=BB234_147 Depth=1
	v_cmp_ge_f32_e64 s12, 0x1000000, |v6|
	v_cmp_ge_f32_e64 s13, 0x1000000, |v7|
	v_mov_b64_e32 v[10:11], v[6:7]
	s_and_b32 s14, s12, s13
	s_mov_b32 s12, 0
	s_and_saveexec_b32 s13, s14
; %bb.213:                              ;   in Loop: Header=BB234_147 Depth=1
	v_pk_mul_f32 v[10:11], v[6:7], 4.0 op_sel_hi:[1,0]
	s_mov_b32 s12, exec_lo
; %bb.214:                              ;   in Loop: Header=BB234_147 Depth=1
	s_or_b32 exec_lo, exec_lo, s13
.LBB234_215:                            ;   in Loop: Header=BB234_147 Depth=1
	s_and_not1_saveexec_b32 s1, s1
; %bb.216:                              ;   in Loop: Header=BB234_147 Depth=1
	v_pk_mul_f32 v[10:11], v[6:7], s[4:5] op_sel_hi:[1,0]
	s_and_not1_b32 s12, s12, exec_lo
; %bb.217:                              ;   in Loop: Header=BB234_147 Depth=1
	s_or_b32 exec_lo, exec_lo, s1
	s_delay_alu instid0(VALU_DEP_1) | instskip(NEXT) | instid1(VALU_DEP_2)
	v_max_num_f32_e64 v5, |v11|, |v11|
	v_max_num_f32_e64 v18, |v10|, |v10|
	s_delay_alu instid0(VALU_DEP_1) | instskip(NEXT) | instid1(VALU_DEP_1)
	v_max_num_f32_e32 v5, v18, v5
	v_cvt_f64_f32_e32 v[18:19], v5
	s_delay_alu instid0(VALU_DEP_1) | instskip(NEXT) | instid1(VALU_DEP_1)
	v_frexp_exp_i32_f64_e32 v18, v[18:19]
	v_sub_nc_u32_e32 v19, 0, v18
	v_cmp_neq_f32_e64 s1, 0x7f800000, v5
                                        ; implicit-def: $vgpr5
	s_delay_alu instid0(VALU_DEP_2) | instskip(SKIP_1) | instid1(VALU_DEP_2)
	v_ldexp_f32 v20, |v11|, v19
	v_ldexp_f32 v19, |v10|, v19
	v_mul_f32_e32 v20, v20, v20
	s_delay_alu instid0(VALU_DEP_1) | instskip(NEXT) | instid1(VALU_DEP_1)
	v_fmac_f32_e32 v20, v19, v19
	v_sqrt_f32_e32 v19, v20
	v_nop
	s_delay_alu instid0(TRANS32_DEP_1) | instskip(NEXT) | instid1(VALU_DEP_1)
	v_ldexp_f32 v18, v19, v18
	v_cndmask_b32_e64 v19, 0x7f800000, v18, s1
                                        ; implicit-def: $vgpr18
	s_mov_b32 s1, exec_lo
	v_cmpx_le_f32_e32 0, v10
	s_xor_b32 s13, exec_lo, s1
	s_cbranch_execz .LBB234_221
; %bb.218:                              ;   in Loop: Header=BB234_147 Depth=1
	v_add_f32_e32 v5, v10, v19
	s_delay_alu instid0(VALU_DEP_1) | instskip(NEXT) | instid1(VALU_DEP_1)
	v_mul_f32_e32 v5, 0.5, v5
	v_mul_f32_e32 v10, 0x4f800000, v5
	v_cmp_gt_f32_e32 vcc_lo, 0xf800000, v5
	s_delay_alu instid0(VALU_DEP_2) | instskip(NEXT) | instid1(VALU_DEP_1)
	v_cndmask_b32_e32 v5, v5, v10, vcc_lo
	v_sqrt_f32_e32 v10, v5
	v_nop
	s_delay_alu instid0(TRANS32_DEP_1) | instskip(NEXT) | instid1(VALU_DEP_1)
	v_dual_add_nc_u32 v18, -1, v10 :: v_dual_add_nc_u32 v19, 1, v10
	v_dual_fma_f32 v20, -v18, v10, v5 :: v_dual_fma_f32 v21, -v19, v10, v5
	s_delay_alu instid0(VALU_DEP_1) | instskip(NEXT) | instid1(VALU_DEP_1)
	v_cmp_ge_f32_e64 s1, 0, v20
	v_cndmask_b32_e64 v10, v10, v18, s1
	s_delay_alu instid0(VALU_DEP_3) | instskip(NEXT) | instid1(VALU_DEP_1)
	v_cmp_lt_f32_e64 s1, 0, v21
	v_cndmask_b32_e64 v10, v10, v19, s1
	s_delay_alu instid0(VALU_DEP_1) | instskip(NEXT) | instid1(VALU_DEP_1)
	v_mul_f32_e32 v18, 0x37800000, v10
	v_cndmask_b32_e32 v10, v10, v18, vcc_lo
	v_cmp_class_f32_e64 vcc_lo, v5, 0x260
	s_delay_alu instid0(VALU_DEP_2) | instskip(NEXT) | instid1(VALU_DEP_1)
	v_cndmask_b32_e32 v5, v10, v5, vcc_lo
	v_add_f32_e32 v10, v5, v5
	s_delay_alu instid0(VALU_DEP_1) | instskip(NEXT) | instid1(VALU_DEP_1)
	v_div_scale_f32 v18, null, v10, v10, v11
	v_rcp_f32_e32 v19, v18
	v_nop
	s_delay_alu instid0(TRANS32_DEP_1) | instskip(NEXT) | instid1(VALU_DEP_1)
	v_fma_f32 v20, -v18, v19, 1.0
	v_fmac_f32_e32 v19, v20, v19
	v_div_scale_f32 v20, vcc_lo, v11, v10, v11
	s_delay_alu instid0(VALU_DEP_1) | instskip(NEXT) | instid1(VALU_DEP_1)
	v_mul_f32_e32 v21, v20, v19
	v_fma_f32 v22, -v18, v21, v20
	s_delay_alu instid0(VALU_DEP_1) | instskip(NEXT) | instid1(VALU_DEP_1)
	v_fmac_f32_e32 v21, v22, v19
	v_fma_f32 v18, -v18, v21, v20
	s_delay_alu instid0(VALU_DEP_1) | instskip(NEXT) | instid1(VALU_DEP_1)
	v_div_fmas_f32 v18, v18, v19, v21
                                        ; implicit-def: $vgpr19
	v_div_fixup_f32 v18, v18, v10, v11
                                        ; implicit-def: $vgpr10_vgpr11
	s_and_not1_saveexec_b32 s13, s13
	s_cbranch_execnz .LBB234_222
.LBB234_219:                            ;   in Loop: Header=BB234_147 Depth=1
	s_or_b32 exec_lo, exec_lo, s13
	s_and_saveexec_b32 s1, s0
	s_delay_alu instid0(SALU_CYCLE_1)
	s_xor_b32 s0, exec_lo, s1
	s_cbranch_execz .LBB234_223
.LBB234_220:                            ;   in Loop: Header=BB234_147 Depth=1
	v_dual_mul_f32 v10, 0.5, v5 :: v_dual_mul_f32 v11, 0.5, v18
	s_delay_alu instid0(VALU_DEP_1)
	v_dual_cndmask_b32 v10, v5, v10, s12 :: v_dual_cndmask_b32 v11, v18, v11, s12
                                        ; implicit-def: $vgpr5
                                        ; implicit-def: $vgpr18
	s_and_not1_saveexec_b32 s0, s0
	s_cbranch_execnz .LBB234_224
	s_branch .LBB234_225
.LBB234_221:                            ;   in Loop: Header=BB234_147 Depth=1
	s_and_not1_saveexec_b32 s13, s13
	s_cbranch_execz .LBB234_219
.LBB234_222:                            ;   in Loop: Header=BB234_147 Depth=1
	v_sub_f32_e32 v5, v19, v10
	s_delay_alu instid0(VALU_DEP_1) | instskip(NEXT) | instid1(VALU_DEP_1)
	v_mul_f32_e32 v5, 0.5, v5
	v_mul_f32_e32 v10, 0x4f800000, v5
	v_cmp_gt_f32_e32 vcc_lo, 0xf800000, v5
	s_delay_alu instid0(VALU_DEP_2) | instskip(NEXT) | instid1(VALU_DEP_1)
	v_cndmask_b32_e32 v5, v5, v10, vcc_lo
	v_sqrt_f32_e32 v10, v5
	v_nop
	s_delay_alu instid0(TRANS32_DEP_1) | instskip(NEXT) | instid1(VALU_DEP_1)
	v_dual_add_nc_u32 v18, -1, v10 :: v_dual_add_nc_u32 v19, 1, v10
	v_dual_fma_f32 v20, -v18, v10, v5 :: v_dual_fma_f32 v21, -v19, v10, v5
	s_delay_alu instid0(VALU_DEP_1) | instskip(NEXT) | instid1(VALU_DEP_1)
	v_cmp_ge_f32_e64 s1, 0, v20
	v_cndmask_b32_e64 v10, v10, v18, s1
	s_delay_alu instid0(VALU_DEP_3) | instskip(NEXT) | instid1(VALU_DEP_1)
	v_cmp_lt_f32_e64 s1, 0, v21
	v_cndmask_b32_e64 v10, v10, v19, s1
	s_delay_alu instid0(VALU_DEP_1) | instskip(NEXT) | instid1(VALU_DEP_1)
	v_mul_f32_e32 v18, 0x37800000, v10
	v_cndmask_b32_e32 v10, v10, v18, vcc_lo
	v_cmp_class_f32_e64 vcc_lo, v5, 0x260
	s_delay_alu instid0(VALU_DEP_2) | instskip(SKIP_1) | instid1(VALU_DEP_2)
	v_cndmask_b32_e32 v10, v10, v5, vcc_lo
	v_and_b32_e32 v5, 0x7fffffff, v11
	v_add_f32_e32 v18, v10, v10
	s_delay_alu instid0(VALU_DEP_1) | instskip(SKIP_1) | instid1(VALU_DEP_2)
	v_div_scale_f32 v19, null, v18, v18, v5
	v_div_scale_f32 v5, vcc_lo, v5, v18, v5
	v_rcp_f32_e32 v20, v19
	v_nop
	s_delay_alu instid0(TRANS32_DEP_1) | instskip(NEXT) | instid1(VALU_DEP_1)
	v_fma_f32 v21, -v19, v20, 1.0
	v_fmac_f32_e32 v20, v21, v20
	s_delay_alu instid0(VALU_DEP_1) | instskip(NEXT) | instid1(VALU_DEP_1)
	v_mul_f32_e32 v21, v5, v20
	v_fma_f32 v22, -v19, v21, v5
	s_delay_alu instid0(VALU_DEP_1) | instskip(NEXT) | instid1(VALU_DEP_1)
	v_fmac_f32_e32 v21, v22, v20
	v_fma_f32 v5, -v19, v21, v5
	s_delay_alu instid0(VALU_DEP_1) | instskip(NEXT) | instid1(VALU_DEP_1)
	v_div_fmas_f32 v5, v5, v20, v21
	v_div_fixup_f32 v5, v5, v18, |v11|
	v_bfi_b32 v18, 0x7fffffff, v10, v11
	s_or_b32 exec_lo, exec_lo, s13
	s_and_saveexec_b32 s1, s0
	s_delay_alu instid0(SALU_CYCLE_1)
	s_xor_b32 s0, exec_lo, s1
	s_cbranch_execnz .LBB234_220
.LBB234_223:                            ;   in Loop: Header=BB234_147 Depth=1
	s_and_not1_saveexec_b32 s0, s0
.LBB234_224:                            ;   in Loop: Header=BB234_147 Depth=1
	v_dual_add_f32 v10, v5, v5 :: v_dual_add_f32 v11, v18, v18
.LBB234_225:                            ;   in Loop: Header=BB234_147 Depth=1
	s_or_b32 exec_lo, exec_lo, s0
.LBB234_226:                            ;   in Loop: Header=BB234_147 Depth=1
	s_and_not1_saveexec_b32 s0, s11
	s_cbranch_execz .LBB234_232
; %bb.227:                              ;   in Loop: Header=BB234_147 Depth=1
	v_sub_f32_e32 v5, v7, v7
	s_mov_b32 s1, exec_lo
	s_delay_alu instid0(VALU_DEP_1)
	v_and_b32_e32 v10, 0x7fffffff, v5
	v_cmpx_lt_i32_e32 -1, v6
	s_xor_b32 s1, exec_lo, s1
; %bb.228:                              ;   in Loop: Header=BB234_147 Depth=1
	v_bfi_b32 v11, 0x7fffffff, v5, v7
	v_mov_b32_e32 v10, v6
; %bb.229:                              ;   in Loop: Header=BB234_147 Depth=1
	s_and_not1_saveexec_b32 s1, s1
; %bb.230:                              ;   in Loop: Header=BB234_147 Depth=1
	v_bfi_b32 v11, 0x7fffffff, v6, v7
; %bb.231:                              ;   in Loop: Header=BB234_147 Depth=1
	s_or_b32 exec_lo, exec_lo, s1
.LBB234_232:                            ;   in Loop: Header=BB234_147 Depth=1
	s_delay_alu instid0(SALU_CYCLE_1)
	s_or_b32 exec_lo, exec_lo, s0
.LBB234_233:                            ;   in Loop: Header=BB234_147 Depth=1
	s_and_not1_saveexec_b32 s0, s10
	s_cbranch_execz .LBB234_235
; %bb.234:                              ;   in Loop: Header=BB234_147 Depth=1
	v_sub_f32_e32 v5, v7, v7
	s_delay_alu instid0(VALU_DEP_1) | instskip(NEXT) | instid1(VALU_DEP_1)
	v_div_scale_f32 v7, vcc_lo, v5, v5, v5
	v_rcp_f32_e32 v10, v7
	v_nop
	s_delay_alu instid0(TRANS32_DEP_1) | instskip(NEXT) | instid1(VALU_DEP_1)
	v_fma_f32 v11, -v7, v10, 1.0
	v_fmac_f32_e32 v10, v11, v10
	s_delay_alu instid0(VALU_DEP_1) | instskip(NEXT) | instid1(VALU_DEP_1)
	v_mul_f32_e32 v11, v7, v10
	v_fma_f32 v18, -v7, v11, v7
	s_delay_alu instid0(VALU_DEP_1) | instskip(NEXT) | instid1(VALU_DEP_1)
	v_fmac_f32_e32 v11, v18, v10
	v_fma_f32 v7, -v7, v11, v7
	s_delay_alu instid0(VALU_DEP_1) | instskip(SKIP_1) | instid1(VALU_DEP_2)
	v_div_fmas_f32 v7, v7, v10, v11
	v_mov_b32_e32 v10, v6
	v_div_fixup_f32 v11, v7, v5, v5
.LBB234_235:                            ;   in Loop: Header=BB234_147 Depth=1
	s_or_b32 exec_lo, exec_lo, s0
.LBB234_236:                            ;   in Loop: Header=BB234_147 Depth=1
	s_delay_alu instid0(SALU_CYCLE_1)
	s_or_b32 exec_lo, exec_lo, s9
.LBB234_237:                            ;   in Loop: Header=BB234_147 Depth=1
	s_delay_alu instid0(SALU_CYCLE_1) | instskip(SKIP_3) | instid1(SALU_CYCLE_1)
	s_or_b32 exec_lo, exec_lo, s8
	v_cmp_neq_f32_e32 vcc_lo, 0, v8
	v_cmp_neq_f32_e64 s0, 0, v9
	s_or_b32 s0, vcc_lo, s0
	s_and_saveexec_b32 s8, s0
	s_cbranch_execz .LBB234_146
; %bb.238:                              ;   in Loop: Header=BB234_147 Depth=1
	v_mov_b32_e32 v12, 0x7f800000
	s_mov_b32 s9, exec_lo
	v_cmpx_neq_f32_e64 0x7f800000, |v9|
	s_cbranch_execz .LBB234_145
; %bb.239:                              ;   in Loop: Header=BB234_147 Depth=1
	s_mov_b32 s0, exec_lo
	v_cmpx_o_f32_e32 v8, v8
	s_xor_b32 s10, exec_lo, s0
	s_cbranch_execz .LBB234_263
; %bb.240:                              ;   in Loop: Header=BB234_147 Depth=1
	s_mov_b32 s1, exec_lo
	v_cmpx_neq_f32_e64 0x7f800000, |v8|
	s_xor_b32 s11, exec_lo, s1
	s_cbranch_execz .LBB234_256
; %bb.241:                              ;   in Loop: Header=BB234_147 Depth=1
	v_max_num_f32_e64 v5, |v9|, |v9|
	v_max_num_f32_e64 v6, |v8|, |v8|
                                        ; implicit-def: $sgpr12
	s_delay_alu instid0(VALU_DEP_1) | instskip(NEXT) | instid1(VALU_DEP_1)
	v_max_num_f32_e32 v5, v6, v5
	v_cmp_nle_f32_e64 s0, 0x7ed413cb, v5
	s_and_saveexec_b32 s1, s0
	s_delay_alu instid0(SALU_CYCLE_1)
	s_xor_b32 s1, exec_lo, s1
	s_cbranch_execz .LBB234_245
; %bb.242:                              ;   in Loop: Header=BB234_147 Depth=1
	v_cmp_ge_f32_e64 s12, 0x1000000, |v8|
	v_cmp_ge_f32_e64 s13, 0x1000000, |v9|
	s_and_b32 s14, s12, s13
	s_mov_b32 s12, 0
	s_and_saveexec_b32 s13, s14
; %bb.243:                              ;   in Loop: Header=BB234_147 Depth=1
	v_pk_mul_f32 v[8:9], v[8:9], 4.0 op_sel_hi:[1,0]
	s_mov_b32 s12, exec_lo
; %bb.244:                              ;   in Loop: Header=BB234_147 Depth=1
	s_or_b32 exec_lo, exec_lo, s13
.LBB234_245:                            ;   in Loop: Header=BB234_147 Depth=1
	s_and_not1_saveexec_b32 s1, s1
; %bb.246:                              ;   in Loop: Header=BB234_147 Depth=1
	s_delay_alu instid0(VALU_DEP_1)
	v_pk_mul_f32 v[8:9], v[8:9], s[4:5] op_sel_hi:[1,0]
	s_and_not1_b32 s12, s12, exec_lo
; %bb.247:                              ;   in Loop: Header=BB234_147 Depth=1
	s_or_b32 exec_lo, exec_lo, s1
	s_delay_alu instid0(VALU_DEP_1) | instskip(NEXT) | instid1(VALU_DEP_2)
	v_max_num_f32_e64 v5, |v9|, |v9|
	v_max_num_f32_e64 v6, |v8|, |v8|
	s_delay_alu instid0(VALU_DEP_1) | instskip(NEXT) | instid1(VALU_DEP_1)
	v_max_num_f32_e32 v5, v6, v5
	v_cvt_f64_f32_e32 v[6:7], v5
	s_delay_alu instid0(VALU_DEP_1) | instskip(NEXT) | instid1(VALU_DEP_1)
	v_frexp_exp_i32_f64_e32 v6, v[6:7]
	v_sub_nc_u32_e32 v7, 0, v6
	v_cmp_neq_f32_e64 s1, 0x7f800000, v5
                                        ; implicit-def: $vgpr5
	s_delay_alu instid0(VALU_DEP_2) | instskip(SKIP_1) | instid1(VALU_DEP_2)
	v_ldexp_f32 v12, |v9|, v7
	v_ldexp_f32 v7, |v8|, v7
	v_mul_f32_e32 v12, v12, v12
	s_delay_alu instid0(VALU_DEP_1) | instskip(NEXT) | instid1(VALU_DEP_1)
	v_fmac_f32_e32 v12, v7, v7
	v_sqrt_f32_e32 v7, v12
	v_nop
	s_delay_alu instid0(TRANS32_DEP_1) | instskip(NEXT) | instid1(VALU_DEP_1)
	v_ldexp_f32 v6, v7, v6
	v_cndmask_b32_e64 v7, 0x7f800000, v6, s1
                                        ; implicit-def: $vgpr6
	s_mov_b32 s1, exec_lo
	v_cmpx_le_f32_e32 0, v8
	s_xor_b32 s13, exec_lo, s1
	s_cbranch_execz .LBB234_249
; %bb.248:                              ;   in Loop: Header=BB234_147 Depth=1
	v_add_f32_e32 v5, v8, v7
	s_delay_alu instid0(VALU_DEP_1) | instskip(NEXT) | instid1(VALU_DEP_1)
	v_mul_f32_e32 v5, 0.5, v5
	v_mul_f32_e32 v6, 0x4f800000, v5
	v_cmp_gt_f32_e32 vcc_lo, 0xf800000, v5
	s_delay_alu instid0(VALU_DEP_2) | instskip(NEXT) | instid1(VALU_DEP_1)
	v_cndmask_b32_e32 v5, v5, v6, vcc_lo
	v_sqrt_f32_e32 v6, v5
	v_nop
	s_delay_alu instid0(TRANS32_DEP_1) | instskip(NEXT) | instid1(VALU_DEP_1)
	v_dual_add_nc_u32 v7, -1, v6 :: v_dual_add_nc_u32 v8, 1, v6
	v_dual_fma_f32 v12, -v7, v6, v5 :: v_dual_fma_f32 v18, -v8, v6, v5
	s_delay_alu instid0(VALU_DEP_1) | instskip(NEXT) | instid1(VALU_DEP_1)
	v_cmp_ge_f32_e64 s1, 0, v12
	v_cndmask_b32_e64 v6, v6, v7, s1
	s_delay_alu instid0(VALU_DEP_3) | instskip(NEXT) | instid1(VALU_DEP_1)
	v_cmp_lt_f32_e64 s1, 0, v18
	v_cndmask_b32_e64 v6, v6, v8, s1
	s_delay_alu instid0(VALU_DEP_1) | instskip(NEXT) | instid1(VALU_DEP_1)
	v_mul_f32_e32 v7, 0x37800000, v6
	v_cndmask_b32_e32 v6, v6, v7, vcc_lo
	v_cmp_class_f32_e64 vcc_lo, v5, 0x260
	s_delay_alu instid0(VALU_DEP_2) | instskip(NEXT) | instid1(VALU_DEP_1)
	v_cndmask_b32_e32 v5, v6, v5, vcc_lo
	v_add_f32_e32 v6, v5, v5
	s_delay_alu instid0(VALU_DEP_1) | instskip(NEXT) | instid1(VALU_DEP_1)
	v_div_scale_f32 v7, null, v6, v6, v9
	v_rcp_f32_e32 v8, v7
	v_nop
	s_delay_alu instid0(TRANS32_DEP_1) | instskip(NEXT) | instid1(VALU_DEP_1)
	v_fma_f32 v12, -v7, v8, 1.0
	v_fmac_f32_e32 v8, v12, v8
	v_div_scale_f32 v12, vcc_lo, v9, v6, v9
	s_delay_alu instid0(VALU_DEP_1) | instskip(NEXT) | instid1(VALU_DEP_1)
	v_mul_f32_e32 v18, v12, v8
	v_fma_f32 v19, -v7, v18, v12
	s_delay_alu instid0(VALU_DEP_1) | instskip(NEXT) | instid1(VALU_DEP_1)
	v_fmac_f32_e32 v18, v19, v8
	v_fma_f32 v7, -v7, v18, v12
	s_delay_alu instid0(VALU_DEP_1) | instskip(NEXT) | instid1(VALU_DEP_1)
	v_div_fmas_f32 v7, v7, v8, v18
	v_div_fixup_f32 v6, v7, v6, v9
                                        ; implicit-def: $vgpr7
                                        ; implicit-def: $vgpr8_vgpr9
	s_and_not1_saveexec_b32 s13, s13
	s_cbranch_execz .LBB234_251
	s_branch .LBB234_250
.LBB234_249:                            ;   in Loop: Header=BB234_147 Depth=1
	s_and_not1_saveexec_b32 s13, s13
	s_cbranch_execz .LBB234_251
.LBB234_250:                            ;   in Loop: Header=BB234_147 Depth=1
	v_sub_f32_e32 v5, v7, v8
	s_delay_alu instid0(VALU_DEP_1) | instskip(NEXT) | instid1(VALU_DEP_1)
	v_mul_f32_e32 v5, 0.5, v5
	v_mul_f32_e32 v6, 0x4f800000, v5
	v_cmp_gt_f32_e32 vcc_lo, 0xf800000, v5
	s_delay_alu instid0(VALU_DEP_2) | instskip(NEXT) | instid1(VALU_DEP_1)
	v_cndmask_b32_e32 v5, v5, v6, vcc_lo
	v_sqrt_f32_e32 v6, v5
	v_nop
	s_delay_alu instid0(TRANS32_DEP_1) | instskip(NEXT) | instid1(VALU_DEP_1)
	v_dual_add_nc_u32 v7, -1, v6 :: v_dual_add_nc_u32 v8, 1, v6
	v_dual_fma_f32 v12, -v7, v6, v5 :: v_dual_fma_f32 v18, -v8, v6, v5
	s_delay_alu instid0(VALU_DEP_1) | instskip(NEXT) | instid1(VALU_DEP_1)
	v_cmp_ge_f32_e64 s1, 0, v12
	v_cndmask_b32_e64 v6, v6, v7, s1
	s_delay_alu instid0(VALU_DEP_3) | instskip(NEXT) | instid1(VALU_DEP_1)
	v_cmp_lt_f32_e64 s1, 0, v18
	v_cndmask_b32_e64 v6, v6, v8, s1
	s_delay_alu instid0(VALU_DEP_1) | instskip(NEXT) | instid1(VALU_DEP_1)
	v_mul_f32_e32 v7, 0x37800000, v6
	v_cndmask_b32_e32 v6, v6, v7, vcc_lo
	v_cmp_class_f32_e64 vcc_lo, v5, 0x260
	s_delay_alu instid0(VALU_DEP_2) | instskip(SKIP_1) | instid1(VALU_DEP_2)
	v_cndmask_b32_e32 v6, v6, v5, vcc_lo
	v_and_b32_e32 v5, 0x7fffffff, v9
	v_add_f32_e32 v7, v6, v6
	v_bfi_b32 v6, 0x7fffffff, v6, v9
	s_delay_alu instid0(VALU_DEP_2) | instskip(SKIP_1) | instid1(VALU_DEP_2)
	v_div_scale_f32 v8, null, v7, v7, v5
	v_div_scale_f32 v5, vcc_lo, v5, v7, v5
	v_rcp_f32_e32 v12, v8
	v_nop
	s_delay_alu instid0(TRANS32_DEP_1) | instskip(NEXT) | instid1(VALU_DEP_1)
	v_fma_f32 v18, -v8, v12, 1.0
	v_fmac_f32_e32 v12, v18, v12
	s_delay_alu instid0(VALU_DEP_1) | instskip(NEXT) | instid1(VALU_DEP_1)
	v_mul_f32_e32 v18, v5, v12
	v_fma_f32 v19, -v8, v18, v5
	s_delay_alu instid0(VALU_DEP_1) | instskip(NEXT) | instid1(VALU_DEP_1)
	v_fmac_f32_e32 v18, v19, v12
	v_fma_f32 v5, -v8, v18, v5
	s_delay_alu instid0(VALU_DEP_1) | instskip(NEXT) | instid1(VALU_DEP_1)
	v_div_fmas_f32 v5, v5, v12, v18
	v_div_fixup_f32 v5, v5, v7, |v9|
.LBB234_251:                            ;   in Loop: Header=BB234_147 Depth=1
	s_or_b32 exec_lo, exec_lo, s13
                                        ; implicit-def: $vgpr9
	s_and_saveexec_b32 s1, s0
	s_delay_alu instid0(SALU_CYCLE_1)
	s_xor_b32 s0, exec_lo, s1
	s_cbranch_execz .LBB234_253
; %bb.252:                              ;   in Loop: Header=BB234_147 Depth=1
	v_dual_mul_f32 v7, 0.5, v5 :: v_dual_mul_f32 v8, 0.5, v6
	s_delay_alu instid0(VALU_DEP_1)
	v_dual_cndmask_b32 v12, v5, v7, s12 :: v_dual_cndmask_b32 v9, v6, v8, s12
                                        ; implicit-def: $vgpr5
                                        ; implicit-def: $vgpr6
	s_and_not1_saveexec_b32 s0, s0
	s_cbranch_execnz .LBB234_254
	s_branch .LBB234_255
.LBB234_253:                            ;   in Loop: Header=BB234_147 Depth=1
	s_and_not1_saveexec_b32 s0, s0
.LBB234_254:                            ;   in Loop: Header=BB234_147 Depth=1
	v_dual_add_f32 v12, v5, v5 :: v_dual_add_f32 v9, v6, v6
.LBB234_255:                            ;   in Loop: Header=BB234_147 Depth=1
	s_or_b32 exec_lo, exec_lo, s0
.LBB234_256:                            ;   in Loop: Header=BB234_147 Depth=1
	s_and_not1_saveexec_b32 s0, s11
	s_cbranch_execz .LBB234_262
; %bb.257:                              ;   in Loop: Header=BB234_147 Depth=1
	s_delay_alu instid0(VALU_DEP_1) | instskip(SKIP_1) | instid1(VALU_DEP_1)
	v_sub_f32_e32 v5, v9, v9
	s_mov_b32 s1, exec_lo
	v_and_b32_e32 v12, 0x7fffffff, v5
	v_cmpx_lt_i32_e32 -1, v8
	s_xor_b32 s1, exec_lo, s1
; %bb.258:                              ;   in Loop: Header=BB234_147 Depth=1
	v_bfi_b32 v9, 0x7fffffff, v5, v9
	v_mov_b32_e32 v12, v8
; %bb.259:                              ;   in Loop: Header=BB234_147 Depth=1
	s_and_not1_saveexec_b32 s1, s1
; %bb.260:                              ;   in Loop: Header=BB234_147 Depth=1
	s_delay_alu instid0(VALU_DEP_2)
	v_bfi_b32 v9, 0x7fffffff, v8, v9
; %bb.261:                              ;   in Loop: Header=BB234_147 Depth=1
	s_or_b32 exec_lo, exec_lo, s1
.LBB234_262:                            ;   in Loop: Header=BB234_147 Depth=1
	s_delay_alu instid0(SALU_CYCLE_1)
	s_or_b32 exec_lo, exec_lo, s0
.LBB234_263:                            ;   in Loop: Header=BB234_147 Depth=1
	s_and_not1_saveexec_b32 s0, s10
	s_cbranch_execz .LBB234_144
; %bb.264:                              ;   in Loop: Header=BB234_147 Depth=1
	v_sub_f32_e32 v5, v9, v9
	s_delay_alu instid0(VALU_DEP_1) | instskip(NEXT) | instid1(VALU_DEP_1)
	v_div_scale_f32 v6, vcc_lo, v5, v5, v5
	v_rcp_f32_e32 v7, v6
	v_nop
	s_delay_alu instid0(TRANS32_DEP_1) | instskip(NEXT) | instid1(VALU_DEP_1)
	v_fma_f32 v9, -v6, v7, 1.0
	v_fmac_f32_e32 v7, v9, v7
	s_delay_alu instid0(VALU_DEP_1) | instskip(NEXT) | instid1(VALU_DEP_1)
	v_mul_f32_e32 v9, v6, v7
	v_fma_f32 v12, -v6, v9, v6
	s_delay_alu instid0(VALU_DEP_1) | instskip(NEXT) | instid1(VALU_DEP_1)
	v_fmac_f32_e32 v9, v12, v7
	v_dual_mov_b32 v12, v8 :: v_dual_fma_f32 v6, -v6, v9, v6
	s_delay_alu instid0(VALU_DEP_1) | instskip(NEXT) | instid1(VALU_DEP_1)
	v_div_fmas_f32 v6, v6, v7, v9
	v_div_fixup_f32 v9, v6, v5, v5
	s_branch .LBB234_144
.LBB234_265:
	s_endpgm
	.section	.rodata,"a",@progbits
	.p2align	6, 0x0
	.amdhsa_kernel _ZN2at6native12_GLOBAL__N_125multi_tensor_apply_kernelINS1_18TensorListMetadataILi1EEENS1_14UnaryOpFunctorIN3c107complexIfEELi1ELi1ELi0EEEJNS0_4SqrtIS8_EEEEEvT_T0_DpT1_
		.amdhsa_group_segment_fixed_size 0
		.amdhsa_private_segment_fixed_size 0
		.amdhsa_kernarg_size 3632
		.amdhsa_user_sgpr_count 2
		.amdhsa_user_sgpr_dispatch_ptr 0
		.amdhsa_user_sgpr_queue_ptr 0
		.amdhsa_user_sgpr_kernarg_segment_ptr 1
		.amdhsa_user_sgpr_dispatch_id 0
		.amdhsa_user_sgpr_kernarg_preload_length 0
		.amdhsa_user_sgpr_kernarg_preload_offset 0
		.amdhsa_user_sgpr_private_segment_size 0
		.amdhsa_wavefront_size32 1
		.amdhsa_uses_dynamic_stack 0
		.amdhsa_enable_private_segment 0
		.amdhsa_system_sgpr_workgroup_id_x 1
		.amdhsa_system_sgpr_workgroup_id_y 0
		.amdhsa_system_sgpr_workgroup_id_z 0
		.amdhsa_system_sgpr_workgroup_info 0
		.amdhsa_system_vgpr_workitem_id 0
		.amdhsa_next_free_vgpr 43
		.amdhsa_next_free_sgpr 30
		.amdhsa_named_barrier_count 0
		.amdhsa_reserve_vcc 1
		.amdhsa_float_round_mode_32 0
		.amdhsa_float_round_mode_16_64 0
		.amdhsa_float_denorm_mode_32 3
		.amdhsa_float_denorm_mode_16_64 3
		.amdhsa_fp16_overflow 0
		.amdhsa_memory_ordered 1
		.amdhsa_forward_progress 1
		.amdhsa_inst_pref_size 83
		.amdhsa_round_robin_scheduling 0
		.amdhsa_exception_fp_ieee_invalid_op 0
		.amdhsa_exception_fp_denorm_src 0
		.amdhsa_exception_fp_ieee_div_zero 0
		.amdhsa_exception_fp_ieee_overflow 0
		.amdhsa_exception_fp_ieee_underflow 0
		.amdhsa_exception_fp_ieee_inexact 0
		.amdhsa_exception_int_div_zero 0
	.end_amdhsa_kernel
	.section	.text._ZN2at6native12_GLOBAL__N_125multi_tensor_apply_kernelINS1_18TensorListMetadataILi1EEENS1_14UnaryOpFunctorIN3c107complexIfEELi1ELi1ELi0EEEJNS0_4SqrtIS8_EEEEEvT_T0_DpT1_,"axG",@progbits,_ZN2at6native12_GLOBAL__N_125multi_tensor_apply_kernelINS1_18TensorListMetadataILi1EEENS1_14UnaryOpFunctorIN3c107complexIfEELi1ELi1ELi0EEEJNS0_4SqrtIS8_EEEEEvT_T0_DpT1_,comdat
.Lfunc_end234:
	.size	_ZN2at6native12_GLOBAL__N_125multi_tensor_apply_kernelINS1_18TensorListMetadataILi1EEENS1_14UnaryOpFunctorIN3c107complexIfEELi1ELi1ELi0EEEJNS0_4SqrtIS8_EEEEEvT_T0_DpT1_, .Lfunc_end234-_ZN2at6native12_GLOBAL__N_125multi_tensor_apply_kernelINS1_18TensorListMetadataILi1EEENS1_14UnaryOpFunctorIN3c107complexIfEELi1ELi1ELi0EEEJNS0_4SqrtIS8_EEEEEvT_T0_DpT1_
                                        ; -- End function
	.set _ZN2at6native12_GLOBAL__N_125multi_tensor_apply_kernelINS1_18TensorListMetadataILi1EEENS1_14UnaryOpFunctorIN3c107complexIfEELi1ELi1ELi0EEEJNS0_4SqrtIS8_EEEEEvT_T0_DpT1_.num_vgpr, 43
	.set _ZN2at6native12_GLOBAL__N_125multi_tensor_apply_kernelINS1_18TensorListMetadataILi1EEENS1_14UnaryOpFunctorIN3c107complexIfEELi1ELi1ELi0EEEJNS0_4SqrtIS8_EEEEEvT_T0_DpT1_.num_agpr, 0
	.set _ZN2at6native12_GLOBAL__N_125multi_tensor_apply_kernelINS1_18TensorListMetadataILi1EEENS1_14UnaryOpFunctorIN3c107complexIfEELi1ELi1ELi0EEEJNS0_4SqrtIS8_EEEEEvT_T0_DpT1_.numbered_sgpr, 30
	.set _ZN2at6native12_GLOBAL__N_125multi_tensor_apply_kernelINS1_18TensorListMetadataILi1EEENS1_14UnaryOpFunctorIN3c107complexIfEELi1ELi1ELi0EEEJNS0_4SqrtIS8_EEEEEvT_T0_DpT1_.num_named_barrier, 0
	.set _ZN2at6native12_GLOBAL__N_125multi_tensor_apply_kernelINS1_18TensorListMetadataILi1EEENS1_14UnaryOpFunctorIN3c107complexIfEELi1ELi1ELi0EEEJNS0_4SqrtIS8_EEEEEvT_T0_DpT1_.private_seg_size, 0
	.set _ZN2at6native12_GLOBAL__N_125multi_tensor_apply_kernelINS1_18TensorListMetadataILi1EEENS1_14UnaryOpFunctorIN3c107complexIfEELi1ELi1ELi0EEEJNS0_4SqrtIS8_EEEEEvT_T0_DpT1_.uses_vcc, 1
	.set _ZN2at6native12_GLOBAL__N_125multi_tensor_apply_kernelINS1_18TensorListMetadataILi1EEENS1_14UnaryOpFunctorIN3c107complexIfEELi1ELi1ELi0EEEJNS0_4SqrtIS8_EEEEEvT_T0_DpT1_.uses_flat_scratch, 0
	.set _ZN2at6native12_GLOBAL__N_125multi_tensor_apply_kernelINS1_18TensorListMetadataILi1EEENS1_14UnaryOpFunctorIN3c107complexIfEELi1ELi1ELi0EEEJNS0_4SqrtIS8_EEEEEvT_T0_DpT1_.has_dyn_sized_stack, 0
	.set _ZN2at6native12_GLOBAL__N_125multi_tensor_apply_kernelINS1_18TensorListMetadataILi1EEENS1_14UnaryOpFunctorIN3c107complexIfEELi1ELi1ELi0EEEJNS0_4SqrtIS8_EEEEEvT_T0_DpT1_.has_recursion, 0
	.set _ZN2at6native12_GLOBAL__N_125multi_tensor_apply_kernelINS1_18TensorListMetadataILi1EEENS1_14UnaryOpFunctorIN3c107complexIfEELi1ELi1ELi0EEEJNS0_4SqrtIS8_EEEEEvT_T0_DpT1_.has_indirect_call, 0
	.section	.AMDGPU.csdata,"",@progbits
; Kernel info:
; codeLenInByte = 10500
; TotalNumSgprs: 32
; NumVgprs: 43
; ScratchSize: 0
; MemoryBound: 1
; FloatMode: 240
; IeeeMode: 1
; LDSByteSize: 0 bytes/workgroup (compile time only)
; SGPRBlocks: 0
; VGPRBlocks: 2
; NumSGPRsForWavesPerEU: 32
; NumVGPRsForWavesPerEU: 43
; NamedBarCnt: 0
; Occupancy: 16
; WaveLimiterHint : 0
; COMPUTE_PGM_RSRC2:SCRATCH_EN: 0
; COMPUTE_PGM_RSRC2:USER_SGPR: 2
; COMPUTE_PGM_RSRC2:TRAP_HANDLER: 0
; COMPUTE_PGM_RSRC2:TGID_X_EN: 1
; COMPUTE_PGM_RSRC2:TGID_Y_EN: 0
; COMPUTE_PGM_RSRC2:TGID_Z_EN: 0
; COMPUTE_PGM_RSRC2:TIDIG_COMP_CNT: 0
	.section	.text._ZN2at6native12_GLOBAL__N_125multi_tensor_apply_kernelINS1_18TensorListMetadataILi1EEENS1_14UnaryOpFunctorIN3c104HalfELi1ELi1ELi0EEEJNS0_4SqrtIfEEEEEvT_T0_DpT1_,"axG",@progbits,_ZN2at6native12_GLOBAL__N_125multi_tensor_apply_kernelINS1_18TensorListMetadataILi1EEENS1_14UnaryOpFunctorIN3c104HalfELi1ELi1ELi0EEEJNS0_4SqrtIfEEEEEvT_T0_DpT1_,comdat
	.globl	_ZN2at6native12_GLOBAL__N_125multi_tensor_apply_kernelINS1_18TensorListMetadataILi1EEENS1_14UnaryOpFunctorIN3c104HalfELi1ELi1ELi0EEEJNS0_4SqrtIfEEEEEvT_T0_DpT1_ ; -- Begin function _ZN2at6native12_GLOBAL__N_125multi_tensor_apply_kernelINS1_18TensorListMetadataILi1EEENS1_14UnaryOpFunctorIN3c104HalfELi1ELi1ELi0EEEJNS0_4SqrtIfEEEEEvT_T0_DpT1_
	.p2align	8
	.type	_ZN2at6native12_GLOBAL__N_125multi_tensor_apply_kernelINS1_18TensorListMetadataILi1EEENS1_14UnaryOpFunctorIN3c104HalfELi1ELi1ELi0EEEJNS0_4SqrtIfEEEEEvT_T0_DpT1_,@function
_ZN2at6native12_GLOBAL__N_125multi_tensor_apply_kernelINS1_18TensorListMetadataILi1EEENS1_14UnaryOpFunctorIN3c104HalfELi1ELi1ELi0EEEJNS0_4SqrtIfEEEEEvT_T0_DpT1_: ; @_ZN2at6native12_GLOBAL__N_125multi_tensor_apply_kernelINS1_18TensorListMetadataILi1EEENS1_14UnaryOpFunctorIN3c104HalfELi1ELi1ELi0EEEJNS0_4SqrtIfEEEEEvT_T0_DpT1_
; %bb.0:
	s_bfe_u32 s2, ttmp6, 0x4000c
	s_and_b32 s3, ttmp6, 15
	s_add_co_i32 s2, s2, 1
	s_getreg_b32 s4, hwreg(HW_REG_IB_STS2, 6, 4)
	s_mul_i32 s2, ttmp9, s2
	s_delay_alu instid0(SALU_CYCLE_1)
	s_add_co_i32 s3, s3, s2
	s_cmp_eq_u32 s4, 0
	s_cselect_b32 s2, ttmp9, s3
	s_mov_b32 s3, 0
	s_load_u8 s8, s[0:1], s2 offset:0x6e0
	s_add_nc_u64 s[4:5], s[0:1], s[2:3]
	s_mul_u64 s[6:7], s[2:3], 3
	s_delay_alu instid0(SALU_CYCLE_1)
	s_add_nc_u64 s[4:5], s[4:5], s[6:7]
	s_load_b32 s10, s[4:5], 0x820
	s_wait_kmcnt 0x0
	s_clause 0x1
	s_load_b64 s[6:7], s[0:1], s8 offset:0x0 scale_offset
	s_load_b64 s[12:13], s[0:1], s8 offset:0x370 scale_offset
	s_ashr_i32 s11, s10, 31
	s_wait_kmcnt 0x0
	s_and_b64 s[4:5], s[6:7], 7
	s_and_b32 s2, s12, 3
	s_lshl_b64 s[8:9], s[10:11], 17
	s_or_b64 s[2:3], s[4:5], s[2:3]
	s_lshl_b64 s[4:5], s[10:11], 16
	s_cmp_eq_u64 s[2:3], 0
	s_sub_nc_u64 s[10:11], s[12:13], s[4:5]
	s_cbranch_scc1 .LBB235_21
; %bb.1:
	v_cmp_lt_i64_e64 s2, s[10:11], 1
	s_and_b32 vcc_lo, exec_lo, s2
	s_cbranch_vccnz .LBB235_20
; %bb.2:
	s_load_b32 s2, s[0:1], 0xd3c
	v_min_i64 v[2:3], 0x10000, s[10:11]
	v_min_u64 v[4:5], 0x10000, s[10:11]
	v_dual_mov_b32 v1, 0 :: v_dual_lshlrev_b32 v8, 1, v0
	s_mov_b32 s3, 0
	s_add_nc_u64 s[4:5], s[6:7], s[8:9]
	s_mov_b32 s15, s3
	s_delay_alu instid0(VALU_DEP_1)
	v_mov_b32_e32 v15, v1
	s_mov_b32 s17, s3
	s_mov_b32 s13, s3
	s_mov_b64 s[18:19], 0
	s_wait_kmcnt 0x0
	s_and_b32 s2, s2, 0xffff
	s_delay_alu instid0(SALU_CYCLE_1)
	v_add_nc_u64_e32 v[6:7], s[2:3], v[0:1]
	v_mov_b32_e32 v9, v1
	s_lshl_b32 s14, s2, 1
	s_mul_i32 s16, s2, 3
	v_add_nc_u64_e32 v[12:13], s[14:15], v[0:1]
	v_add_nc_u64_e32 v[10:11], s[16:17], v[0:1]
	s_lshl_b32 s12, s2, 2
	v_lshlrev_b32_e32 v14, 1, v6
	v_add_nc_u64_e32 v[8:9], s[4:5], v[8:9]
	s_lshl_b32 s14, s2, 3
	s_mul_u64 s[16:17], s[2:3], 6
	s_delay_alu instid0(VALU_DEP_2)
	v_add_nc_u64_e32 v[14:15], s[4:5], v[14:15]
	s_branch .LBB235_4
.LBB235_3:                              ;   in Loop: Header=BB235_4 Depth=1
	s_wait_xcnt 0x0
	s_or_b32 exec_lo, exec_lo, s2
	s_add_nc_u64 s[18:19], s[18:19], s[12:13]
	v_add_nc_u64_e32 v[8:9], s[14:15], v[8:9]
	v_cmp_lt_i64_e32 vcc_lo, s[18:19], v[2:3]
	v_add_nc_u64_e32 v[14:15], s[14:15], v[14:15]
	s_cbranch_vccz .LBB235_20
.LBB235_4:                              ; =>This Inner Loop Header: Depth=1
	v_add_nc_u64_e32 v[16:17], s[18:19], v[0:1]
	v_mov_b32_e32 v20, 0
	s_delay_alu instid0(VALU_DEP_2)
	v_cmp_lt_u64_e32 vcc_lo, v[16:17], v[4:5]
	s_and_saveexec_b32 s3, vcc_lo
	s_cbranch_execz .LBB235_6
; %bb.5:                                ;   in Loop: Header=BB235_4 Depth=1
	global_load_u16 v16, v[8:9], off
	s_wait_loadcnt 0x0
	v_cvt_f32_f16_e32 v16, v16
	s_delay_alu instid0(VALU_DEP_1) | instskip(SKIP_1) | instid1(VALU_DEP_1)
	v_mul_f32_e32 v17, 0x4f800000, v16
	v_cmp_gt_f32_e64 s2, 0xf800000, v16
	v_cndmask_b32_e64 v16, v16, v17, s2
	s_delay_alu instid0(VALU_DEP_1) | instskip(SKIP_1) | instid1(TRANS32_DEP_1)
	v_rsq_f32_e32 v17, v16
	v_nop
	v_dual_mul_f32 v18, v16, v17 :: v_dual_mul_f32 v17, 0.5, v17
	s_delay_alu instid0(VALU_DEP_1) | instskip(NEXT) | instid1(VALU_DEP_1)
	v_fma_f32 v19, -v17, v18, 0.5
	v_dual_fmac_f32 v17, v17, v19 :: v_dual_fmac_f32 v18, v18, v19
	s_delay_alu instid0(VALU_DEP_1) | instskip(NEXT) | instid1(VALU_DEP_1)
	v_fma_f32 v20, -v18, v18, v16
	v_fmac_f32_e32 v18, v20, v17
	s_delay_alu instid0(VALU_DEP_1) | instskip(NEXT) | instid1(VALU_DEP_1)
	v_mul_f32_e32 v17, 0x37800000, v18
	v_cndmask_b32_e64 v17, v18, v17, s2
	v_cmp_class_f32_e64 s2, v16, 0x260
	s_delay_alu instid0(VALU_DEP_1) | instskip(NEXT) | instid1(VALU_DEP_1)
	v_cndmask_b32_e64 v16, v17, v16, s2
	v_cvt_f16_f32_e32 v20, v16
.LBB235_6:                              ;   in Loop: Header=BB235_4 Depth=1
	s_wait_xcnt 0x0
	s_or_b32 exec_lo, exec_lo, s3
	v_add_nc_u64_e32 v[16:17], s[18:19], v[6:7]
	v_dual_mov_b32 v21, 0 :: v_dual_mov_b32 v22, 0
	s_delay_alu instid0(VALU_DEP_2)
	v_cmp_lt_u64_e64 s2, v[16:17], v[4:5]
	s_and_saveexec_b32 s4, s2
	s_cbranch_execz .LBB235_8
; %bb.7:                                ;   in Loop: Header=BB235_4 Depth=1
	global_load_u16 v16, v[14:15], off
	s_wait_loadcnt 0x0
	v_cvt_f32_f16_e32 v16, v16
	s_delay_alu instid0(VALU_DEP_1) | instskip(SKIP_1) | instid1(VALU_DEP_1)
	v_mul_f32_e32 v17, 0x4f800000, v16
	v_cmp_gt_f32_e64 s3, 0xf800000, v16
	v_cndmask_b32_e64 v16, v16, v17, s3
	s_delay_alu instid0(VALU_DEP_1) | instskip(SKIP_1) | instid1(TRANS32_DEP_1)
	v_rsq_f32_e32 v17, v16
	v_nop
	v_dual_mul_f32 v18, v16, v17 :: v_dual_mul_f32 v17, 0.5, v17
	s_delay_alu instid0(VALU_DEP_1) | instskip(NEXT) | instid1(VALU_DEP_1)
	v_fma_f32 v19, -v17, v18, 0.5
	v_dual_fmac_f32 v17, v17, v19 :: v_dual_fmac_f32 v18, v18, v19
	s_delay_alu instid0(VALU_DEP_1) | instskip(NEXT) | instid1(VALU_DEP_1)
	v_fma_f32 v22, -v18, v18, v16
	v_fmac_f32_e32 v18, v22, v17
	s_delay_alu instid0(VALU_DEP_1) | instskip(NEXT) | instid1(VALU_DEP_1)
	v_mul_f32_e32 v17, 0x37800000, v18
	v_cndmask_b32_e64 v17, v18, v17, s3
	v_cmp_class_f32_e64 s3, v16, 0x260
	s_delay_alu instid0(VALU_DEP_1) | instskip(NEXT) | instid1(VALU_DEP_1)
	v_cndmask_b32_e64 v16, v17, v16, s3
	v_cvt_f16_f32_e32 v22, v16
.LBB235_8:                              ;   in Loop: Header=BB235_4 Depth=1
	s_wait_xcnt 0x0
	s_or_b32 exec_lo, exec_lo, s4
	v_add_nc_u64_e32 v[16:17], s[18:19], v[12:13]
	s_delay_alu instid0(VALU_DEP_1)
	v_cmp_lt_u64_e64 s3, v[16:17], v[4:5]
	v_add_nc_u64_e32 v[16:17], s[12:13], v[8:9]
	s_and_saveexec_b32 s5, s3
	s_cbranch_execz .LBB235_10
; %bb.9:                                ;   in Loop: Header=BB235_4 Depth=1
	global_load_u16 v18, v[16:17], off
	s_wait_loadcnt 0x0
	v_cvt_f32_f16_e32 v18, v18
	s_delay_alu instid0(VALU_DEP_1) | instskip(SKIP_1) | instid1(VALU_DEP_1)
	v_mul_f32_e32 v19, 0x4f800000, v18
	v_cmp_gt_f32_e64 s4, 0xf800000, v18
	v_cndmask_b32_e64 v18, v18, v19, s4
	s_delay_alu instid0(VALU_DEP_1) | instskip(SKIP_1) | instid1(TRANS32_DEP_1)
	v_rsq_f32_e32 v19, v18
	v_nop
	v_dual_mul_f32 v21, v18, v19 :: v_dual_mul_f32 v19, 0.5, v19
	s_delay_alu instid0(VALU_DEP_1) | instskip(NEXT) | instid1(VALU_DEP_1)
	v_fma_f32 v23, -v19, v21, 0.5
	v_dual_fmac_f32 v21, v21, v23 :: v_dual_fmac_f32 v19, v19, v23
	s_delay_alu instid0(VALU_DEP_1) | instskip(NEXT) | instid1(VALU_DEP_1)
	v_fma_f32 v24, -v21, v21, v18
	v_fmac_f32_e32 v21, v24, v19
	s_delay_alu instid0(VALU_DEP_1) | instskip(NEXT) | instid1(VALU_DEP_1)
	v_mul_f32_e32 v19, 0x37800000, v21
	v_cndmask_b32_e64 v19, v21, v19, s4
	v_cmp_class_f32_e64 s4, v18, 0x260
	s_delay_alu instid0(VALU_DEP_1) | instskip(NEXT) | instid1(VALU_DEP_1)
	v_cndmask_b32_e64 v18, v19, v18, s4
	v_cvt_f16_f32_e32 v21, v18
.LBB235_10:                             ;   in Loop: Header=BB235_4 Depth=1
	s_wait_xcnt 0x0
	s_or_b32 exec_lo, exec_lo, s5
	v_add_nc_u64_e32 v[18:19], s[18:19], v[10:11]
	v_mov_b32_e32 v23, 0
	s_delay_alu instid0(VALU_DEP_2)
	v_cmp_lt_u64_e64 s4, v[18:19], v[4:5]
	v_add_nc_u64_e32 v[18:19], s[16:17], v[8:9]
	s_and_saveexec_b32 s20, s4
	s_cbranch_execnz .LBB235_15
; %bb.11:                               ;   in Loop: Header=BB235_4 Depth=1
	s_or_b32 exec_lo, exec_lo, s20
	s_and_saveexec_b32 s5, vcc_lo
	s_cbranch_execnz .LBB235_16
.LBB235_12:                             ;   in Loop: Header=BB235_4 Depth=1
	s_or_b32 exec_lo, exec_lo, s5
	s_and_saveexec_b32 s5, s2
	s_cbranch_execnz .LBB235_17
.LBB235_13:                             ;   in Loop: Header=BB235_4 Depth=1
	s_or_b32 exec_lo, exec_lo, s5
	s_and_saveexec_b32 s2, s3
	s_cbranch_execnz .LBB235_18
.LBB235_14:                             ;   in Loop: Header=BB235_4 Depth=1
	s_or_b32 exec_lo, exec_lo, s2
	s_and_saveexec_b32 s2, s4
	s_cbranch_execz .LBB235_3
	s_branch .LBB235_19
.LBB235_15:                             ;   in Loop: Header=BB235_4 Depth=1
	global_load_u16 v23, v[18:19], off
	s_wait_loadcnt 0x0
	v_cvt_f32_f16_e32 v23, v23
	s_delay_alu instid0(VALU_DEP_1) | instskip(SKIP_1) | instid1(VALU_DEP_1)
	v_mul_f32_e32 v24, 0x4f800000, v23
	v_cmp_gt_f32_e64 s5, 0xf800000, v23
	v_cndmask_b32_e64 v23, v23, v24, s5
	s_delay_alu instid0(VALU_DEP_1) | instskip(SKIP_1) | instid1(TRANS32_DEP_1)
	v_rsq_f32_e32 v24, v23
	v_nop
	v_dual_mul_f32 v25, v23, v24 :: v_dual_mul_f32 v24, 0.5, v24
	s_delay_alu instid0(VALU_DEP_1) | instskip(NEXT) | instid1(VALU_DEP_1)
	v_fma_f32 v26, -v24, v25, 0.5
	v_dual_fmac_f32 v24, v24, v26 :: v_dual_fmac_f32 v25, v25, v26
	s_delay_alu instid0(VALU_DEP_1) | instskip(NEXT) | instid1(VALU_DEP_1)
	v_fma_f32 v27, -v25, v25, v23
	v_fmac_f32_e32 v25, v27, v24
	s_delay_alu instid0(VALU_DEP_1) | instskip(NEXT) | instid1(VALU_DEP_1)
	v_mul_f32_e32 v24, 0x37800000, v25
	v_cndmask_b32_e64 v24, v25, v24, s5
	v_cmp_class_f32_e64 s5, v23, 0x260
	s_delay_alu instid0(VALU_DEP_1) | instskip(NEXT) | instid1(VALU_DEP_1)
	v_cndmask_b32_e64 v23, v24, v23, s5
	v_cvt_f16_f32_e32 v23, v23
	s_wait_xcnt 0x0
	s_or_b32 exec_lo, exec_lo, s20
	s_and_saveexec_b32 s5, vcc_lo
	s_cbranch_execz .LBB235_12
.LBB235_16:                             ;   in Loop: Header=BB235_4 Depth=1
	global_store_b16 v[8:9], v20, off
	s_wait_xcnt 0x0
	s_or_b32 exec_lo, exec_lo, s5
	s_and_saveexec_b32 s5, s2
	s_cbranch_execz .LBB235_13
.LBB235_17:                             ;   in Loop: Header=BB235_4 Depth=1
	global_store_b16 v[14:15], v22, off
	s_wait_xcnt 0x0
	s_or_b32 exec_lo, exec_lo, s5
	s_and_saveexec_b32 s2, s3
	s_cbranch_execz .LBB235_14
.LBB235_18:                             ;   in Loop: Header=BB235_4 Depth=1
	global_store_b16 v[16:17], v21, off
	s_wait_xcnt 0x0
	s_or_b32 exec_lo, exec_lo, s2
	s_and_saveexec_b32 s2, s4
	s_cbranch_execz .LBB235_3
.LBB235_19:                             ;   in Loop: Header=BB235_4 Depth=1
	global_store_b16 v[18:19], v23, off
	s_branch .LBB235_3
.LBB235_20:
	s_cbranch_execz .LBB235_22
	s_branch .LBB235_25
.LBB235_21:
.LBB235_22:
	v_min_i64 v[2:3], 0x10000, s[10:11]
	v_dual_mov_b32 v5, 0 :: v_dual_lshlrev_b32 v4, 2, v0
	s_mov_b32 s2, exec_lo
	s_delay_alu instid0(VALU_DEP_1)
	v_cmpx_lt_i64_e64 v[4:5], v[2:3]
	s_cbranch_execz .LBB235_25
; %bb.23:
	s_load_b32 s2, s[0:1], 0xd3c
	v_dual_mov_b32 v1, v5 :: v_dual_lshlrev_b32 v4, 3, v0
	s_wait_xcnt 0x0
	s_add_nc_u64 s[0:1], s[6:7], s[8:9]
	s_mov_b32 s5, 0
	s_delay_alu instid0(VALU_DEP_1) | instskip(SKIP_2) | instid1(VALU_DEP_1)
	v_add_nc_u64_e32 v[6:7], s[0:1], v[4:5]
	s_mov_b32 s7, s5
	s_mov_b32 s3, s5
	v_add_nc_u64_e32 v[4:5], 4, v[6:7]
	s_wait_kmcnt 0x0
	s_and_b32 s4, s2, 0xffff
	s_delay_alu instid0(SALU_CYCLE_1)
	s_lshl_b32 s6, s4, 3
.LBB235_24:                             ; =>This Inner Loop Header: Depth=1
	global_load_b64 v[6:7], v[4:5], off offset:-4
	v_add_nc_u64_e32 v[0:1], s[4:5], v[0:1]
	s_wait_loadcnt 0x0
	v_cvt_f32_f16_e32 v8, v6
	v_lshrrev_b32_e32 v6, 16, v6
	v_cvt_f32_f16_e32 v9, v7
	s_delay_alu instid0(VALU_DEP_3) | instskip(SKIP_1) | instid1(VALU_DEP_4)
	v_dual_mul_f32 v10, 0x4f800000, v8 :: v_dual_lshrrev_b32 v7, 16, v7
	v_cmp_gt_f32_e32 vcc_lo, 0xf800000, v8
	v_cvt_f32_f16_e32 v6, v6
	s_delay_alu instid0(VALU_DEP_4) | instskip(NEXT) | instid1(VALU_DEP_4)
	v_mul_f32_e32 v11, 0x4f800000, v9
	v_cvt_f32_f16_e32 v7, v7
	v_cmp_gt_f32_e64 s0, 0xf800000, v9
	v_cndmask_b32_e32 v8, v8, v10, vcc_lo
	v_mul_f32_e32 v10, 0x4f800000, v6
	v_cmp_gt_f32_e64 s1, 0xf800000, v6
	v_cmp_gt_f32_e64 s2, 0xf800000, v7
	v_cndmask_b32_e64 v9, v9, v11, s0
	v_mul_f32_e32 v11, 0x4f800000, v7
	v_rsq_f32_e32 v12, v8
	v_cndmask_b32_e64 v6, v6, v10, s1
	s_delay_alu instid0(VALU_DEP_3) | instskip(NEXT) | instid1(VALU_DEP_2)
	v_rsq_f32_e32 v10, v9
	v_cndmask_b32_e64 v7, v7, v11, s2
	s_delay_alu instid0(VALU_DEP_2) | instskip(NEXT) | instid1(TRANS32_DEP_3)
	v_rsq_f32_e32 v11, v6
	v_dual_mul_f32 v13, v8, v12 :: v_dual_mul_f32 v12, 0.5, v12
	s_delay_alu instid0(VALU_DEP_2) | instskip(NEXT) | instid1(TRANS32_DEP_3)
	v_rsq_f32_e32 v14, v7
	v_dual_mul_f32 v15, v9, v10 :: v_dual_mul_f32 v10, 0.5, v10
	s_delay_alu instid0(VALU_DEP_2) | instskip(NEXT) | instid1(TRANS32_DEP_2)
	v_fma_f32 v16, -v12, v13, 0.5
	v_dual_mul_f32 v17, v6, v11 :: v_dual_mul_f32 v11, 0.5, v11
	s_delay_alu instid0(TRANS32_DEP_1) | instskip(NEXT) | instid1(VALU_DEP_4)
	v_dual_mul_f32 v18, v7, v14 :: v_dual_mul_f32 v14, 0.5, v14
	v_fma_f32 v19, -v10, v15, 0.5
	s_delay_alu instid0(VALU_DEP_4) | instskip(NEXT) | instid1(VALU_DEP_4)
	v_dual_fmac_f32 v13, v13, v16 :: v_dual_fmac_f32 v12, v12, v16
	v_fma_f32 v16, -v11, v17, 0.5
	s_delay_alu instid0(VALU_DEP_4) | instskip(NEXT) | instid1(VALU_DEP_4)
	v_fma_f32 v20, -v14, v18, 0.5
	v_dual_fmac_f32 v15, v15, v19 :: v_dual_fmac_f32 v10, v10, v19
	s_delay_alu instid0(VALU_DEP_4) | instskip(NEXT) | instid1(VALU_DEP_4)
	v_fma_f32 v19, -v13, v13, v8
	v_dual_fmac_f32 v17, v17, v16 :: v_dual_fmac_f32 v11, v11, v16
	s_delay_alu instid0(VALU_DEP_3) | instskip(SKIP_1) | instid1(VALU_DEP_3)
	v_dual_fmac_f32 v18, v18, v20 :: v_dual_fma_f32 v16, -v15, v15, v9
	v_fmac_f32_e32 v14, v14, v20
	v_dual_fmac_f32 v13, v19, v12 :: v_dual_fma_f32 v19, -v17, v17, v6
	s_delay_alu instid0(VALU_DEP_3) | instskip(NEXT) | instid1(VALU_DEP_2)
	v_fma_f32 v12, -v18, v18, v7
	v_dual_fmac_f32 v15, v16, v10 :: v_dual_mul_f32 v10, 0x37800000, v13
	s_delay_alu instid0(VALU_DEP_2) | instskip(NEXT) | instid1(VALU_DEP_2)
	v_dual_fmac_f32 v17, v19, v11 :: v_dual_fmac_f32 v18, v12, v14
	v_dual_mul_f32 v11, 0x37800000, v15 :: v_dual_cndmask_b32 v10, v13, v10
	s_delay_alu instid0(VALU_DEP_2) | instskip(SKIP_1) | instid1(VALU_DEP_1)
	v_mul_f32_e32 v13, 0x37800000, v17
	v_cmp_class_f32_e64 vcc_lo, v8, 0x260
	v_dual_cndmask_b32 v11, v15, v11, s0 :: v_dual_cndmask_b32 v8, v10, v8, vcc_lo
	v_cmp_class_f32_e64 vcc_lo, v9, 0x260
	s_delay_alu instid0(VALU_DEP_2) | instskip(NEXT) | instid1(VALU_DEP_1)
	v_dual_mul_f32 v12, 0x37800000, v18 :: v_dual_cndmask_b32 v9, v11, v9
	v_dual_cndmask_b32 v10, v18, v12, s2 :: v_dual_cndmask_b32 v12, v17, v13, s1
	v_cmp_class_f32_e64 vcc_lo, v7, 0x260
	s_delay_alu instid0(VALU_DEP_2) | instskip(SKIP_1) | instid1(VALU_DEP_4)
	v_cndmask_b32_e32 v10, v10, v7, vcc_lo
	v_cmp_class_f32_e64 vcc_lo, v6, 0x260
	v_cndmask_b32_e32 v11, v12, v6, vcc_lo
	v_lshlrev_b64_e32 v[6:7], 2, v[0:1]
	s_delay_alu instid0(VALU_DEP_4) | instskip(NEXT) | instid1(VALU_DEP_3)
	v_cvt_pk_f16_f32 v9, v9, v10
	v_cvt_pk_f16_f32 v8, v8, v11
	s_delay_alu instid0(VALU_DEP_3) | instskip(SKIP_4) | instid1(SALU_CYCLE_1)
	v_cmp_ge_i64_e32 vcc_lo, v[6:7], v[2:3]
	global_store_b64 v[4:5], v[8:9], off offset:-4
	s_wait_xcnt 0x0
	v_add_nc_u64_e32 v[4:5], s[6:7], v[4:5]
	s_or_b32 s3, vcc_lo, s3
	s_and_not1_b32 exec_lo, exec_lo, s3
	s_cbranch_execnz .LBB235_24
.LBB235_25:
	s_endpgm
	.section	.rodata,"a",@progbits
	.p2align	6, 0x0
	.amdhsa_kernel _ZN2at6native12_GLOBAL__N_125multi_tensor_apply_kernelINS1_18TensorListMetadataILi1EEENS1_14UnaryOpFunctorIN3c104HalfELi1ELi1ELi0EEEJNS0_4SqrtIfEEEEEvT_T0_DpT1_
		.amdhsa_group_segment_fixed_size 0
		.amdhsa_private_segment_fixed_size 0
		.amdhsa_kernarg_size 3632
		.amdhsa_user_sgpr_count 2
		.amdhsa_user_sgpr_dispatch_ptr 0
		.amdhsa_user_sgpr_queue_ptr 0
		.amdhsa_user_sgpr_kernarg_segment_ptr 1
		.amdhsa_user_sgpr_dispatch_id 0
		.amdhsa_user_sgpr_kernarg_preload_length 0
		.amdhsa_user_sgpr_kernarg_preload_offset 0
		.amdhsa_user_sgpr_private_segment_size 0
		.amdhsa_wavefront_size32 1
		.amdhsa_uses_dynamic_stack 0
		.amdhsa_enable_private_segment 0
		.amdhsa_system_sgpr_workgroup_id_x 1
		.amdhsa_system_sgpr_workgroup_id_y 0
		.amdhsa_system_sgpr_workgroup_id_z 0
		.amdhsa_system_sgpr_workgroup_info 0
		.amdhsa_system_vgpr_workitem_id 0
		.amdhsa_next_free_vgpr 28
		.amdhsa_next_free_sgpr 21
		.amdhsa_named_barrier_count 0
		.amdhsa_reserve_vcc 1
		.amdhsa_float_round_mode_32 0
		.amdhsa_float_round_mode_16_64 0
		.amdhsa_float_denorm_mode_32 3
		.amdhsa_float_denorm_mode_16_64 3
		.amdhsa_fp16_overflow 0
		.amdhsa_memory_ordered 1
		.amdhsa_forward_progress 1
		.amdhsa_inst_pref_size 16
		.amdhsa_round_robin_scheduling 0
		.amdhsa_exception_fp_ieee_invalid_op 0
		.amdhsa_exception_fp_denorm_src 0
		.amdhsa_exception_fp_ieee_div_zero 0
		.amdhsa_exception_fp_ieee_overflow 0
		.amdhsa_exception_fp_ieee_underflow 0
		.amdhsa_exception_fp_ieee_inexact 0
		.amdhsa_exception_int_div_zero 0
	.end_amdhsa_kernel
	.section	.text._ZN2at6native12_GLOBAL__N_125multi_tensor_apply_kernelINS1_18TensorListMetadataILi1EEENS1_14UnaryOpFunctorIN3c104HalfELi1ELi1ELi0EEEJNS0_4SqrtIfEEEEEvT_T0_DpT1_,"axG",@progbits,_ZN2at6native12_GLOBAL__N_125multi_tensor_apply_kernelINS1_18TensorListMetadataILi1EEENS1_14UnaryOpFunctorIN3c104HalfELi1ELi1ELi0EEEJNS0_4SqrtIfEEEEEvT_T0_DpT1_,comdat
.Lfunc_end235:
	.size	_ZN2at6native12_GLOBAL__N_125multi_tensor_apply_kernelINS1_18TensorListMetadataILi1EEENS1_14UnaryOpFunctorIN3c104HalfELi1ELi1ELi0EEEJNS0_4SqrtIfEEEEEvT_T0_DpT1_, .Lfunc_end235-_ZN2at6native12_GLOBAL__N_125multi_tensor_apply_kernelINS1_18TensorListMetadataILi1EEENS1_14UnaryOpFunctorIN3c104HalfELi1ELi1ELi0EEEJNS0_4SqrtIfEEEEEvT_T0_DpT1_
                                        ; -- End function
	.set _ZN2at6native12_GLOBAL__N_125multi_tensor_apply_kernelINS1_18TensorListMetadataILi1EEENS1_14UnaryOpFunctorIN3c104HalfELi1ELi1ELi0EEEJNS0_4SqrtIfEEEEEvT_T0_DpT1_.num_vgpr, 28
	.set _ZN2at6native12_GLOBAL__N_125multi_tensor_apply_kernelINS1_18TensorListMetadataILi1EEENS1_14UnaryOpFunctorIN3c104HalfELi1ELi1ELi0EEEJNS0_4SqrtIfEEEEEvT_T0_DpT1_.num_agpr, 0
	.set _ZN2at6native12_GLOBAL__N_125multi_tensor_apply_kernelINS1_18TensorListMetadataILi1EEENS1_14UnaryOpFunctorIN3c104HalfELi1ELi1ELi0EEEJNS0_4SqrtIfEEEEEvT_T0_DpT1_.numbered_sgpr, 21
	.set _ZN2at6native12_GLOBAL__N_125multi_tensor_apply_kernelINS1_18TensorListMetadataILi1EEENS1_14UnaryOpFunctorIN3c104HalfELi1ELi1ELi0EEEJNS0_4SqrtIfEEEEEvT_T0_DpT1_.num_named_barrier, 0
	.set _ZN2at6native12_GLOBAL__N_125multi_tensor_apply_kernelINS1_18TensorListMetadataILi1EEENS1_14UnaryOpFunctorIN3c104HalfELi1ELi1ELi0EEEJNS0_4SqrtIfEEEEEvT_T0_DpT1_.private_seg_size, 0
	.set _ZN2at6native12_GLOBAL__N_125multi_tensor_apply_kernelINS1_18TensorListMetadataILi1EEENS1_14UnaryOpFunctorIN3c104HalfELi1ELi1ELi0EEEJNS0_4SqrtIfEEEEEvT_T0_DpT1_.uses_vcc, 1
	.set _ZN2at6native12_GLOBAL__N_125multi_tensor_apply_kernelINS1_18TensorListMetadataILi1EEENS1_14UnaryOpFunctorIN3c104HalfELi1ELi1ELi0EEEJNS0_4SqrtIfEEEEEvT_T0_DpT1_.uses_flat_scratch, 0
	.set _ZN2at6native12_GLOBAL__N_125multi_tensor_apply_kernelINS1_18TensorListMetadataILi1EEENS1_14UnaryOpFunctorIN3c104HalfELi1ELi1ELi0EEEJNS0_4SqrtIfEEEEEvT_T0_DpT1_.has_dyn_sized_stack, 0
	.set _ZN2at6native12_GLOBAL__N_125multi_tensor_apply_kernelINS1_18TensorListMetadataILi1EEENS1_14UnaryOpFunctorIN3c104HalfELi1ELi1ELi0EEEJNS0_4SqrtIfEEEEEvT_T0_DpT1_.has_recursion, 0
	.set _ZN2at6native12_GLOBAL__N_125multi_tensor_apply_kernelINS1_18TensorListMetadataILi1EEENS1_14UnaryOpFunctorIN3c104HalfELi1ELi1ELi0EEEJNS0_4SqrtIfEEEEEvT_T0_DpT1_.has_indirect_call, 0
	.section	.AMDGPU.csdata,"",@progbits
; Kernel info:
; codeLenInByte = 1956
; TotalNumSgprs: 23
; NumVgprs: 28
; ScratchSize: 0
; MemoryBound: 0
; FloatMode: 240
; IeeeMode: 1
; LDSByteSize: 0 bytes/workgroup (compile time only)
; SGPRBlocks: 0
; VGPRBlocks: 1
; NumSGPRsForWavesPerEU: 23
; NumVGPRsForWavesPerEU: 28
; NamedBarCnt: 0
; Occupancy: 16
; WaveLimiterHint : 0
; COMPUTE_PGM_RSRC2:SCRATCH_EN: 0
; COMPUTE_PGM_RSRC2:USER_SGPR: 2
; COMPUTE_PGM_RSRC2:TRAP_HANDLER: 0
; COMPUTE_PGM_RSRC2:TGID_X_EN: 1
; COMPUTE_PGM_RSRC2:TGID_Y_EN: 0
; COMPUTE_PGM_RSRC2:TGID_Z_EN: 0
; COMPUTE_PGM_RSRC2:TIDIG_COMP_CNT: 0
	.section	.text._ZN2at6native12_GLOBAL__N_125multi_tensor_apply_kernelINS1_18TensorListMetadataILi1EEENS1_14UnaryOpFunctorIN3c108BFloat16ELi1ELi1ELi0EEEJNS0_4SqrtIfEEEEEvT_T0_DpT1_,"axG",@progbits,_ZN2at6native12_GLOBAL__N_125multi_tensor_apply_kernelINS1_18TensorListMetadataILi1EEENS1_14UnaryOpFunctorIN3c108BFloat16ELi1ELi1ELi0EEEJNS0_4SqrtIfEEEEEvT_T0_DpT1_,comdat
	.globl	_ZN2at6native12_GLOBAL__N_125multi_tensor_apply_kernelINS1_18TensorListMetadataILi1EEENS1_14UnaryOpFunctorIN3c108BFloat16ELi1ELi1ELi0EEEJNS0_4SqrtIfEEEEEvT_T0_DpT1_ ; -- Begin function _ZN2at6native12_GLOBAL__N_125multi_tensor_apply_kernelINS1_18TensorListMetadataILi1EEENS1_14UnaryOpFunctorIN3c108BFloat16ELi1ELi1ELi0EEEJNS0_4SqrtIfEEEEEvT_T0_DpT1_
	.p2align	8
	.type	_ZN2at6native12_GLOBAL__N_125multi_tensor_apply_kernelINS1_18TensorListMetadataILi1EEENS1_14UnaryOpFunctorIN3c108BFloat16ELi1ELi1ELi0EEEJNS0_4SqrtIfEEEEEvT_T0_DpT1_,@function
_ZN2at6native12_GLOBAL__N_125multi_tensor_apply_kernelINS1_18TensorListMetadataILi1EEENS1_14UnaryOpFunctorIN3c108BFloat16ELi1ELi1ELi0EEEJNS0_4SqrtIfEEEEEvT_T0_DpT1_: ; @_ZN2at6native12_GLOBAL__N_125multi_tensor_apply_kernelINS1_18TensorListMetadataILi1EEENS1_14UnaryOpFunctorIN3c108BFloat16ELi1ELi1ELi0EEEJNS0_4SqrtIfEEEEEvT_T0_DpT1_
; %bb.0:
	s_bfe_u32 s2, ttmp6, 0x4000c
	s_and_b32 s3, ttmp6, 15
	s_add_co_i32 s2, s2, 1
	s_getreg_b32 s4, hwreg(HW_REG_IB_STS2, 6, 4)
	s_mul_i32 s2, ttmp9, s2
	s_delay_alu instid0(SALU_CYCLE_1)
	s_add_co_i32 s3, s3, s2
	s_cmp_eq_u32 s4, 0
	s_cselect_b32 s2, ttmp9, s3
	s_mov_b32 s3, 0
	s_load_u8 s8, s[0:1], s2 offset:0x6e0
	s_add_nc_u64 s[4:5], s[0:1], s[2:3]
	s_mul_u64 s[6:7], s[2:3], 3
	s_delay_alu instid0(SALU_CYCLE_1)
	s_add_nc_u64 s[4:5], s[4:5], s[6:7]
	s_load_b32 s10, s[4:5], 0x820
	s_wait_kmcnt 0x0
	s_clause 0x1
	s_load_b64 s[6:7], s[0:1], s8 offset:0x0 scale_offset
	s_load_b64 s[12:13], s[0:1], s8 offset:0x370 scale_offset
	s_ashr_i32 s11, s10, 31
	s_wait_kmcnt 0x0
	s_and_b64 s[4:5], s[6:7], 7
	s_and_b32 s2, s12, 3
	s_lshl_b64 s[8:9], s[10:11], 17
	s_or_b64 s[2:3], s[4:5], s[2:3]
	s_lshl_b64 s[4:5], s[10:11], 16
	s_cmp_eq_u64 s[2:3], 0
	s_sub_nc_u64 s[10:11], s[12:13], s[4:5]
	s_cbranch_scc1 .LBB236_21
; %bb.1:
	v_cmp_lt_i64_e64 s2, s[10:11], 1
	s_and_b32 vcc_lo, exec_lo, s2
	s_cbranch_vccnz .LBB236_20
; %bb.2:
	s_load_b32 s2, s[0:1], 0xd3c
	v_min_i64 v[2:3], 0x10000, s[10:11]
	v_min_u64 v[4:5], 0x10000, s[10:11]
	v_dual_mov_b32 v1, 0 :: v_dual_lshlrev_b32 v8, 1, v0
	s_mov_b32 s3, 0
	s_add_nc_u64 s[4:5], s[6:7], s[8:9]
	s_mov_b32 s15, s3
	s_delay_alu instid0(VALU_DEP_1)
	v_mov_b32_e32 v15, v1
	s_mov_b32 s17, s3
	s_mov_b32 s13, s3
	s_mov_b64 s[18:19], 0
	s_wait_kmcnt 0x0
	s_and_b32 s2, s2, 0xffff
	s_delay_alu instid0(SALU_CYCLE_1)
	v_add_nc_u64_e32 v[6:7], s[2:3], v[0:1]
	v_mov_b32_e32 v9, v1
	s_lshl_b32 s14, s2, 1
	s_mul_i32 s16, s2, 3
	v_add_nc_u64_e32 v[12:13], s[14:15], v[0:1]
	v_add_nc_u64_e32 v[10:11], s[16:17], v[0:1]
	s_lshl_b32 s12, s2, 2
	v_lshlrev_b32_e32 v14, 1, v6
	v_add_nc_u64_e32 v[8:9], s[4:5], v[8:9]
	s_lshl_b32 s14, s2, 3
	s_mul_u64 s[16:17], s[2:3], 6
	s_delay_alu instid0(VALU_DEP_2)
	v_add_nc_u64_e32 v[14:15], s[4:5], v[14:15]
	s_branch .LBB236_4
.LBB236_3:                              ;   in Loop: Header=BB236_4 Depth=1
	s_wait_xcnt 0x0
	s_or_b32 exec_lo, exec_lo, s3
	s_add_nc_u64 s[18:19], s[18:19], s[12:13]
	v_add_nc_u64_e32 v[8:9], s[14:15], v[8:9]
	v_cmp_lt_i64_e32 vcc_lo, s[18:19], v[2:3]
	v_add_nc_u64_e32 v[14:15], s[14:15], v[14:15]
	s_cbranch_vccz .LBB236_20
.LBB236_4:                              ; =>This Inner Loop Header: Depth=1
	v_add_nc_u64_e32 v[16:17], s[18:19], v[0:1]
	v_mov_b32_e32 v23, 0
	s_delay_alu instid0(VALU_DEP_2)
	v_cmp_lt_u64_e64 s4, v[16:17], v[4:5]
	s_and_saveexec_b32 s2, s4
	s_cbranch_execz .LBB236_6
; %bb.5:                                ;   in Loop: Header=BB236_4 Depth=1
	global_load_u16 v16, v[8:9], off
	s_wait_loadcnt 0x0
	v_lshlrev_b32_e32 v23, 16, v16
.LBB236_6:                              ;   in Loop: Header=BB236_4 Depth=1
	s_wait_xcnt 0x0
	s_or_b32 exec_lo, exec_lo, s2
	v_add_nc_u64_e32 v[16:17], s[18:19], v[6:7]
	v_dual_mov_b32 v20, 0 :: v_dual_mov_b32 v22, 0
	s_delay_alu instid0(VALU_DEP_2)
	v_cmp_lt_u64_e64 s3, v[16:17], v[4:5]
	s_and_saveexec_b32 s2, s3
	s_cbranch_execz .LBB236_8
; %bb.7:                                ;   in Loop: Header=BB236_4 Depth=1
	global_load_u16 v16, v[14:15], off
	s_wait_loadcnt 0x0
	v_lshlrev_b32_e32 v22, 16, v16
.LBB236_8:                              ;   in Loop: Header=BB236_4 Depth=1
	s_wait_xcnt 0x0
	s_or_b32 exec_lo, exec_lo, s2
	v_add_nc_u64_e32 v[16:17], s[18:19], v[12:13]
	v_add_nc_u64_e32 v[18:19], s[12:13], v[8:9]
	s_delay_alu instid0(VALU_DEP_2)
	v_cmp_lt_u64_e64 s2, v[16:17], v[4:5]
	s_and_saveexec_b32 s5, s2
	s_cbranch_execz .LBB236_10
; %bb.9:                                ;   in Loop: Header=BB236_4 Depth=1
	global_load_u16 v16, v[18:19], off
	s_wait_loadcnt 0x0
	v_lshlrev_b32_e32 v20, 16, v16
.LBB236_10:                             ;   in Loop: Header=BB236_4 Depth=1
	s_wait_xcnt 0x0
	s_or_b32 exec_lo, exec_lo, s5
	v_add_nc_u64_e32 v[16:17], s[18:19], v[10:11]
	v_mov_b32_e32 v21, 0
	s_delay_alu instid0(VALU_DEP_2)
	v_cmp_lt_u64_e32 vcc_lo, v[16:17], v[4:5]
	v_add_nc_u64_e32 v[16:17], s[16:17], v[8:9]
	s_and_saveexec_b32 s5, vcc_lo
	s_cbranch_execnz .LBB236_15
; %bb.11:                               ;   in Loop: Header=BB236_4 Depth=1
	s_or_b32 exec_lo, exec_lo, s5
	s_and_saveexec_b32 s20, s4
	s_cbranch_execnz .LBB236_16
.LBB236_12:                             ;   in Loop: Header=BB236_4 Depth=1
	s_or_b32 exec_lo, exec_lo, s20
	s_and_saveexec_b32 s5, s3
	s_cbranch_execnz .LBB236_17
.LBB236_13:                             ;   in Loop: Header=BB236_4 Depth=1
	s_or_b32 exec_lo, exec_lo, s5
	s_and_saveexec_b32 s4, s2
	s_cbranch_execnz .LBB236_18
.LBB236_14:                             ;   in Loop: Header=BB236_4 Depth=1
	s_or_b32 exec_lo, exec_lo, s4
	s_and_saveexec_b32 s3, vcc_lo
	s_cbranch_execz .LBB236_3
	s_branch .LBB236_19
.LBB236_15:                             ;   in Loop: Header=BB236_4 Depth=1
	global_load_u16 v21, v[16:17], off
	s_wait_loadcnt 0x0
	v_lshlrev_b32_e32 v21, 16, v21
	s_wait_xcnt 0x0
	s_or_b32 exec_lo, exec_lo, s5
	s_and_saveexec_b32 s20, s4
	s_cbranch_execz .LBB236_12
.LBB236_16:                             ;   in Loop: Header=BB236_4 Depth=1
	v_mul_f32_e32 v24, 0x4f800000, v23
	v_cmp_gt_f32_e64 s4, 0xf800000, v23
	s_delay_alu instid0(VALU_DEP_1) | instskip(NEXT) | instid1(VALU_DEP_1)
	v_cndmask_b32_e64 v24, v23, v24, s4
	v_sqrt_f32_e32 v25, v24
	v_nop
	s_delay_alu instid0(TRANS32_DEP_1) | instskip(NEXT) | instid1(VALU_DEP_1)
	v_dual_add_nc_u32 v26, -1, v25 :: v_dual_add_nc_u32 v27, 1, v25
	v_dual_fma_f32 v28, -v26, v25, v24 :: v_dual_fma_f32 v29, -v27, v25, v24
	s_delay_alu instid0(VALU_DEP_1) | instskip(NEXT) | instid1(VALU_DEP_1)
	v_cmp_ge_f32_e64 s5, 0, v28
	v_cndmask_b32_e64 v25, v25, v26, s5
	s_delay_alu instid0(VALU_DEP_3) | instskip(NEXT) | instid1(VALU_DEP_1)
	v_cmp_lt_f32_e64 s5, 0, v29
	v_cndmask_b32_e64 v25, v25, v27, s5
	s_delay_alu instid0(VALU_DEP_1) | instskip(NEXT) | instid1(VALU_DEP_1)
	v_mul_f32_e32 v26, 0x37800000, v25
	v_cndmask_b32_e64 v25, v25, v26, s4
	v_cmp_class_f32_e64 s4, v24, 0x260
	s_delay_alu instid0(VALU_DEP_1) | instskip(SKIP_1) | instid1(VALU_DEP_2)
	v_cndmask_b32_e64 v24, v25, v24, s4
	v_cmp_le_f32_e64 s4, 0, v23
	v_bfe_u32 v25, v24, 16, 1
	s_delay_alu instid0(VALU_DEP_1) | instskip(NEXT) | instid1(VALU_DEP_1)
	v_add3_u32 v24, v24, v25, 0x7fff
	v_lshrrev_b32_e32 v24, 16, v24
	s_delay_alu instid0(VALU_DEP_1)
	v_cndmask_b32_e64 v23, 0x7fc0, v24, s4
	global_store_b16 v[8:9], v23, off
	s_wait_xcnt 0x0
	s_or_b32 exec_lo, exec_lo, s20
	s_and_saveexec_b32 s5, s3
	s_cbranch_execz .LBB236_13
.LBB236_17:                             ;   in Loop: Header=BB236_4 Depth=1
	v_mul_f32_e32 v23, 0x4f800000, v22
	v_cmp_gt_f32_e64 s3, 0xf800000, v22
	s_delay_alu instid0(VALU_DEP_1) | instskip(NEXT) | instid1(VALU_DEP_1)
	v_cndmask_b32_e64 v23, v22, v23, s3
	v_sqrt_f32_e32 v24, v23
	v_nop
	s_delay_alu instid0(TRANS32_DEP_1) | instskip(NEXT) | instid1(VALU_DEP_1)
	v_dual_add_nc_u32 v25, -1, v24 :: v_dual_add_nc_u32 v26, 1, v24
	v_dual_fma_f32 v27, -v25, v24, v23 :: v_dual_fma_f32 v28, -v26, v24, v23
	s_delay_alu instid0(VALU_DEP_1) | instskip(NEXT) | instid1(VALU_DEP_1)
	v_cmp_ge_f32_e64 s4, 0, v27
	v_cndmask_b32_e64 v24, v24, v25, s4
	s_delay_alu instid0(VALU_DEP_3) | instskip(NEXT) | instid1(VALU_DEP_1)
	v_cmp_lt_f32_e64 s4, 0, v28
	v_cndmask_b32_e64 v24, v24, v26, s4
	s_delay_alu instid0(VALU_DEP_1) | instskip(NEXT) | instid1(VALU_DEP_1)
	v_mul_f32_e32 v25, 0x37800000, v24
	v_cndmask_b32_e64 v24, v24, v25, s3
	v_cmp_class_f32_e64 s3, v23, 0x260
	s_delay_alu instid0(VALU_DEP_1) | instskip(SKIP_1) | instid1(VALU_DEP_2)
	v_cndmask_b32_e64 v23, v24, v23, s3
	v_cmp_le_f32_e64 s3, 0, v22
	v_bfe_u32 v24, v23, 16, 1
	s_delay_alu instid0(VALU_DEP_1) | instskip(NEXT) | instid1(VALU_DEP_1)
	v_add3_u32 v23, v23, v24, 0x7fff
	v_lshrrev_b32_e32 v23, 16, v23
	s_delay_alu instid0(VALU_DEP_1)
	v_cndmask_b32_e64 v22, 0x7fc0, v23, s3
	global_store_b16 v[14:15], v22, off
	s_wait_xcnt 0x0
	s_or_b32 exec_lo, exec_lo, s5
	s_and_saveexec_b32 s4, s2
	s_cbranch_execz .LBB236_14
.LBB236_18:                             ;   in Loop: Header=BB236_4 Depth=1
	v_mul_f32_e32 v22, 0x4f800000, v20
	v_cmp_gt_f32_e64 s2, 0xf800000, v20
	s_delay_alu instid0(VALU_DEP_1) | instskip(NEXT) | instid1(VALU_DEP_1)
	v_cndmask_b32_e64 v22, v20, v22, s2
	v_sqrt_f32_e32 v23, v22
	v_nop
	s_delay_alu instid0(TRANS32_DEP_1) | instskip(NEXT) | instid1(VALU_DEP_1)
	v_dual_add_nc_u32 v24, -1, v23 :: v_dual_add_nc_u32 v25, 1, v23
	v_dual_fma_f32 v26, -v24, v23, v22 :: v_dual_fma_f32 v27, -v25, v23, v22
	s_delay_alu instid0(VALU_DEP_1) | instskip(NEXT) | instid1(VALU_DEP_1)
	v_cmp_ge_f32_e64 s3, 0, v26
	v_cndmask_b32_e64 v23, v23, v24, s3
	s_delay_alu instid0(VALU_DEP_3) | instskip(NEXT) | instid1(VALU_DEP_1)
	v_cmp_lt_f32_e64 s3, 0, v27
	v_cndmask_b32_e64 v23, v23, v25, s3
	s_delay_alu instid0(VALU_DEP_1) | instskip(NEXT) | instid1(VALU_DEP_1)
	v_mul_f32_e32 v24, 0x37800000, v23
	v_cndmask_b32_e64 v23, v23, v24, s2
	v_cmp_class_f32_e64 s2, v22, 0x260
	s_delay_alu instid0(VALU_DEP_1) | instskip(SKIP_1) | instid1(VALU_DEP_2)
	v_cndmask_b32_e64 v22, v23, v22, s2
	v_cmp_le_f32_e64 s2, 0, v20
	v_bfe_u32 v23, v22, 16, 1
	s_delay_alu instid0(VALU_DEP_1) | instskip(NEXT) | instid1(VALU_DEP_1)
	v_add3_u32 v22, v22, v23, 0x7fff
	v_lshrrev_b32_e32 v22, 16, v22
	s_delay_alu instid0(VALU_DEP_1)
	v_cndmask_b32_e64 v20, 0x7fc0, v22, s2
	global_store_b16 v[18:19], v20, off
	s_wait_xcnt 0x0
	s_or_b32 exec_lo, exec_lo, s4
	s_and_saveexec_b32 s3, vcc_lo
	s_cbranch_execz .LBB236_3
.LBB236_19:                             ;   in Loop: Header=BB236_4 Depth=1
	v_cmp_gt_f32_e32 vcc_lo, 0xf800000, v21
	v_mul_f32_e32 v18, 0x4f800000, v21
	s_delay_alu instid0(VALU_DEP_1) | instskip(NEXT) | instid1(VALU_DEP_1)
	v_cndmask_b32_e32 v18, v21, v18, vcc_lo
	v_sqrt_f32_e32 v19, v18
	v_nop
	s_delay_alu instid0(TRANS32_DEP_1) | instskip(NEXT) | instid1(VALU_DEP_1)
	v_dual_add_nc_u32 v20, -1, v19 :: v_dual_add_nc_u32 v22, 1, v19
	v_fma_f32 v23, -v20, v19, v18
	s_delay_alu instid0(VALU_DEP_1) | instskip(NEXT) | instid1(VALU_DEP_1)
	v_cmp_ge_f32_e64 s2, 0, v23
	v_dual_fma_f32 v24, -v22, v19, v18 :: v_dual_cndmask_b32 v19, v19, v20, s2
	s_delay_alu instid0(VALU_DEP_1) | instskip(NEXT) | instid1(VALU_DEP_1)
	v_cmp_lt_f32_e64 s2, 0, v24
	v_cndmask_b32_e64 v19, v19, v22, s2
	s_delay_alu instid0(VALU_DEP_1) | instskip(NEXT) | instid1(VALU_DEP_1)
	v_mul_f32_e32 v20, 0x37800000, v19
	v_cndmask_b32_e32 v19, v19, v20, vcc_lo
	v_cmp_class_f32_e64 vcc_lo, v18, 0x260
	s_delay_alu instid0(VALU_DEP_2) | instskip(SKIP_1) | instid1(VALU_DEP_2)
	v_cndmask_b32_e32 v18, v19, v18, vcc_lo
	v_cmp_le_f32_e32 vcc_lo, 0, v21
	v_bfe_u32 v19, v18, 16, 1
	s_delay_alu instid0(VALU_DEP_1) | instskip(NEXT) | instid1(VALU_DEP_1)
	v_add3_u32 v18, v18, v19, 0x7fff
	v_lshrrev_b32_e32 v18, 16, v18
	s_delay_alu instid0(VALU_DEP_1)
	v_cndmask_b32_e32 v18, 0x7fc0, v18, vcc_lo
	global_store_b16 v[16:17], v18, off
	s_branch .LBB236_3
.LBB236_20:
	s_cbranch_execz .LBB236_22
	s_branch .LBB236_25
.LBB236_21:
.LBB236_22:
	v_min_i64 v[2:3], 0x10000, s[10:11]
	v_dual_mov_b32 v5, 0 :: v_dual_lshlrev_b32 v4, 2, v0
	s_mov_b32 s2, exec_lo
	s_delay_alu instid0(VALU_DEP_1)
	v_cmpx_lt_i64_e64 v[4:5], v[2:3]
	s_cbranch_execz .LBB236_25
; %bb.23:
	s_load_b32 s2, s[0:1], 0xd3c
	v_dual_mov_b32 v1, v5 :: v_dual_lshlrev_b32 v4, 3, v0
	s_wait_xcnt 0x0
	s_add_nc_u64 s[0:1], s[6:7], s[8:9]
	s_mov_b32 s5, 0
	s_delay_alu instid0(VALU_DEP_1) | instskip(SKIP_4) | instid1(SALU_CYCLE_1)
	v_add_nc_u64_e32 v[4:5], s[0:1], v[4:5]
	s_mov_b32 s7, s5
	s_mov_b32 s8, s5
	s_wait_kmcnt 0x0
	s_and_b32 s4, s2, 0xffff
	s_lshl_b32 s6, s4, 3
.LBB236_24:                             ; =>This Inner Loop Header: Depth=1
	global_load_b64 v[6:7], v[4:5], off
	v_add_nc_u64_e32 v[0:1], s[4:5], v[0:1]
	s_wait_loadcnt 0x0
	v_and_b32_e32 v9, 0xffff0000, v6
	v_lshlrev_b32_e32 v8, 16, v6
	v_alignbit_b32 v6, v7, v6, 16
	v_and_b32_e32 v7, 0xffff0000, v7
	s_delay_alu instid0(VALU_DEP_4) | instskip(NEXT) | instid1(VALU_DEP_4)
	v_mul_f32_e32 v11, 0x4f800000, v9
	v_cmp_gt_f32_e32 vcc_lo, 0xf800000, v8
	s_delay_alu instid0(VALU_DEP_4) | instskip(SKIP_3) | instid1(VALU_DEP_4)
	v_and_b32_e32 v6, 0xffff0000, v6
	v_mul_f32_e32 v10, 0x4f800000, v8
	v_cmp_gt_f32_e64 s0, 0xf800000, v9
	v_cmp_gt_f32_e64 s1, 0xf800000, v7
	v_mul_f32_e32 v13, 0x4f800000, v6
	s_delay_alu instid0(VALU_DEP_3) | instskip(SKIP_1) | instid1(VALU_DEP_2)
	v_dual_cndmask_b32 v10, v8, v10, vcc_lo :: v_dual_cndmask_b32 v11, v9, v11, s0
	v_cmp_gt_f32_e64 s2, 0xf800000, v6
	v_sqrt_f32_e32 v14, v10
	v_mul_f32_e32 v12, 0x4f800000, v7
	s_delay_alu instid0(VALU_DEP_3) | instskip(NEXT) | instid1(TRANS32_DEP_2)
	v_sqrt_f32_e32 v15, v11
	v_dual_cndmask_b32 v13, v6, v13, s2 :: v_dual_add_nc_u32 v19, 1, v14
	s_delay_alu instid0(VALU_DEP_2) | instskip(NEXT) | instid1(TRANS32_DEP_1)
	v_dual_cndmask_b32 v12, v7, v12, s1 :: v_dual_add_nc_u32 v18, -1, v14
	v_add_nc_u32_e32 v20, -1, v15
	s_delay_alu instid0(VALU_DEP_3) | instskip(NEXT) | instid1(VALU_DEP_3)
	v_sqrt_f32_e32 v17, v13
	v_fma_f32 v25, -v19, v14, v10
	s_delay_alu instid0(VALU_DEP_3) | instskip(NEXT) | instid1(VALU_DEP_2)
	v_sqrt_f32_e32 v16, v12
	v_dual_add_nc_u32 v21, 1, v15 :: v_dual_fma_f32 v26, -v20, v15, v11
	s_delay_alu instid0(TRANS32_DEP_2) | instskip(NEXT) | instid1(TRANS32_DEP_1)
	v_dual_fma_f32 v24, -v18, v14, v10 :: v_dual_add_nc_u32 v28, -1, v17
	v_dual_add_nc_u32 v23, 1, v16 :: v_dual_add_nc_u32 v22, -1, v16
	s_delay_alu instid0(VALU_DEP_2) | instskip(NEXT) | instid1(VALU_DEP_4)
	v_cmp_ge_f32_e64 s3, 0, v24
	v_dual_add_nc_u32 v29, 1, v17 :: v_dual_fma_f32 v27, -v21, v15, v11
	s_delay_alu instid0(VALU_DEP_3) | instskip(NEXT) | instid1(VALU_DEP_3)
	v_dual_fma_f32 v31, -v23, v16, v12 :: v_dual_fma_f32 v30, -v22, v16, v12
	v_cndmask_b32_e64 v14, v14, v18, s3
	v_cmp_ge_f32_e64 s3, 0, v26
	s_delay_alu instid0(VALU_DEP_1) | instskip(NEXT) | instid1(VALU_DEP_4)
	v_dual_fma_f32 v18, -v28, v17, v13 :: v_dual_cndmask_b32 v15, v15, v20, s3
	v_cmp_ge_f32_e64 s3, 0, v30
	s_delay_alu instid0(VALU_DEP_1) | instskip(SKIP_1) | instid1(VALU_DEP_1)
	v_dual_fma_f32 v20, -v29, v17, v13 :: v_dual_cndmask_b32 v16, v16, v22, s3
	v_cmp_lt_f32_e64 s3, 0, v25
	v_cndmask_b32_e64 v14, v14, v19, s3
	v_cmp_lt_f32_e64 s3, 0, v27
	s_delay_alu instid0(VALU_DEP_1) | instskip(SKIP_1) | instid1(VALU_DEP_2)
	v_cndmask_b32_e64 v15, v15, v21, s3
	v_cmp_ge_f32_e64 s3, 0, v18
	v_dual_mul_f32 v18, 0x37800000, v14 :: v_dual_mul_f32 v19, 0x37800000, v15
	s_delay_alu instid0(VALU_DEP_2) | instskip(SKIP_1) | instid1(VALU_DEP_3)
	v_cndmask_b32_e64 v17, v17, v28, s3
	v_cmp_lt_f32_e64 s3, 0, v31
	v_cndmask_b32_e32 v14, v14, v18, vcc_lo
	v_cmp_class_f32_e64 vcc_lo, v10, 0x260
	s_delay_alu instid0(VALU_DEP_3) | instskip(SKIP_1) | instid1(VALU_DEP_3)
	v_cndmask_b32_e64 v16, v16, v23, s3
	v_cmp_lt_f32_e64 s3, 0, v20
	v_dual_cndmask_b32 v15, v15, v19, s0 :: v_dual_cndmask_b32 v10, v14, v10, vcc_lo
	v_cmp_class_f32_e64 vcc_lo, v11, 0x260
	s_delay_alu instid0(VALU_DEP_4) | instskip(NEXT) | instid1(VALU_DEP_2)
	v_mul_f32_e32 v20, 0x37800000, v16
	v_dual_cndmask_b32 v17, v17, v29, s3 :: v_dual_cndmask_b32 v11, v15, v11, vcc_lo
	s_delay_alu instid0(VALU_DEP_2) | instskip(NEXT) | instid1(VALU_DEP_2)
	v_cndmask_b32_e64 v16, v16, v20, s1
	v_mul_f32_e32 v18, 0x37800000, v17
	v_cmp_class_f32_e64 vcc_lo, v12, 0x260
	s_delay_alu instid0(VALU_DEP_1) | instskip(SKIP_2) | instid1(VALU_DEP_3)
	v_dual_cndmask_b32 v14, v17, v18, s2 :: v_dual_cndmask_b32 v12, v16, v12, vcc_lo
	v_cmp_class_f32_e64 vcc_lo, v13, 0x260
	v_bfe_u32 v15, v10, 16, 1
	v_bfe_u32 v16, v12, 16, 1
	s_delay_alu instid0(VALU_DEP_2)
	v_add3_u32 v10, v10, v15, 0x7fff
	v_cndmask_b32_e32 v13, v14, v13, vcc_lo
	v_bfe_u32 v14, v11, 16, 1
	v_cmp_le_f32_e32 vcc_lo, 0, v9
	v_add3_u32 v12, v12, v16, 0x7fff
	v_lshrrev_b32_e32 v10, 16, v10
	v_bfe_u32 v17, v13, 16, 1
	v_add3_u32 v11, v11, v14, 0x7fff
	s_delay_alu instid0(VALU_DEP_4) | instskip(NEXT) | instid1(VALU_DEP_3)
	v_and_b32_e32 v12, 0xffff0000, v12
	v_add3_u32 v13, v13, v17, 0x7fff
	s_delay_alu instid0(VALU_DEP_3) | instskip(NEXT) | instid1(VALU_DEP_2)
	v_and_b32_e32 v11, 0xffff0000, v11
	v_lshrrev_b32_e32 v13, 16, v13
	s_delay_alu instid0(VALU_DEP_2) | instskip(SKIP_3) | instid1(VALU_DEP_2)
	v_cndmask_b32_e32 v9, 0x7fc00000, v11, vcc_lo
	v_cmp_le_f32_e32 vcc_lo, 0, v8
	v_cndmask_b32_e32 v8, 0x7fc0, v10, vcc_lo
	v_cmp_le_f32_e32 vcc_lo, 0, v7
	v_or_b32_e32 v8, v8, v9
	v_cndmask_b32_e32 v10, 0x7fc00000, v12, vcc_lo
	v_cmp_le_f32_e32 vcc_lo, 0, v6
	v_lshlrev_b64_e32 v[6:7], 2, v[0:1]
	s_delay_alu instid0(VALU_DEP_4) | instskip(SKIP_1) | instid1(VALU_DEP_3)
	v_or3_b32 v8, v8, 0, 0
	v_cndmask_b32_e32 v11, 0x7fc0, v13, vcc_lo
	v_cmp_ge_i64_e32 vcc_lo, v[6:7], v[2:3]
	s_delay_alu instid0(VALU_DEP_2) | instskip(SKIP_4) | instid1(SALU_CYCLE_1)
	v_or3_b32 v9, 0, v11, v10
	global_store_b64 v[4:5], v[8:9], off
	s_wait_xcnt 0x0
	v_add_nc_u64_e32 v[4:5], s[6:7], v[4:5]
	s_or_b32 s8, vcc_lo, s8
	s_and_not1_b32 exec_lo, exec_lo, s8
	s_cbranch_execnz .LBB236_24
.LBB236_25:
	s_endpgm
	.section	.rodata,"a",@progbits
	.p2align	6, 0x0
	.amdhsa_kernel _ZN2at6native12_GLOBAL__N_125multi_tensor_apply_kernelINS1_18TensorListMetadataILi1EEENS1_14UnaryOpFunctorIN3c108BFloat16ELi1ELi1ELi0EEEJNS0_4SqrtIfEEEEEvT_T0_DpT1_
		.amdhsa_group_segment_fixed_size 0
		.amdhsa_private_segment_fixed_size 0
		.amdhsa_kernarg_size 3632
		.amdhsa_user_sgpr_count 2
		.amdhsa_user_sgpr_dispatch_ptr 0
		.amdhsa_user_sgpr_queue_ptr 0
		.amdhsa_user_sgpr_kernarg_segment_ptr 1
		.amdhsa_user_sgpr_dispatch_id 0
		.amdhsa_user_sgpr_kernarg_preload_length 0
		.amdhsa_user_sgpr_kernarg_preload_offset 0
		.amdhsa_user_sgpr_private_segment_size 0
		.amdhsa_wavefront_size32 1
		.amdhsa_uses_dynamic_stack 0
		.amdhsa_enable_private_segment 0
		.amdhsa_system_sgpr_workgroup_id_x 1
		.amdhsa_system_sgpr_workgroup_id_y 0
		.amdhsa_system_sgpr_workgroup_id_z 0
		.amdhsa_system_sgpr_workgroup_info 0
		.amdhsa_system_vgpr_workitem_id 0
		.amdhsa_next_free_vgpr 32
		.amdhsa_next_free_sgpr 21
		.amdhsa_named_barrier_count 0
		.amdhsa_reserve_vcc 1
		.amdhsa_float_round_mode_32 0
		.amdhsa_float_round_mode_16_64 0
		.amdhsa_float_denorm_mode_32 3
		.amdhsa_float_denorm_mode_16_64 3
		.amdhsa_fp16_overflow 0
		.amdhsa_memory_ordered 1
		.amdhsa_forward_progress 1
		.amdhsa_inst_pref_size 20
		.amdhsa_round_robin_scheduling 0
		.amdhsa_exception_fp_ieee_invalid_op 0
		.amdhsa_exception_fp_denorm_src 0
		.amdhsa_exception_fp_ieee_div_zero 0
		.amdhsa_exception_fp_ieee_overflow 0
		.amdhsa_exception_fp_ieee_underflow 0
		.amdhsa_exception_fp_ieee_inexact 0
		.amdhsa_exception_int_div_zero 0
	.end_amdhsa_kernel
	.section	.text._ZN2at6native12_GLOBAL__N_125multi_tensor_apply_kernelINS1_18TensorListMetadataILi1EEENS1_14UnaryOpFunctorIN3c108BFloat16ELi1ELi1ELi0EEEJNS0_4SqrtIfEEEEEvT_T0_DpT1_,"axG",@progbits,_ZN2at6native12_GLOBAL__N_125multi_tensor_apply_kernelINS1_18TensorListMetadataILi1EEENS1_14UnaryOpFunctorIN3c108BFloat16ELi1ELi1ELi0EEEJNS0_4SqrtIfEEEEEvT_T0_DpT1_,comdat
.Lfunc_end236:
	.size	_ZN2at6native12_GLOBAL__N_125multi_tensor_apply_kernelINS1_18TensorListMetadataILi1EEENS1_14UnaryOpFunctorIN3c108BFloat16ELi1ELi1ELi0EEEJNS0_4SqrtIfEEEEEvT_T0_DpT1_, .Lfunc_end236-_ZN2at6native12_GLOBAL__N_125multi_tensor_apply_kernelINS1_18TensorListMetadataILi1EEENS1_14UnaryOpFunctorIN3c108BFloat16ELi1ELi1ELi0EEEJNS0_4SqrtIfEEEEEvT_T0_DpT1_
                                        ; -- End function
	.set _ZN2at6native12_GLOBAL__N_125multi_tensor_apply_kernelINS1_18TensorListMetadataILi1EEENS1_14UnaryOpFunctorIN3c108BFloat16ELi1ELi1ELi0EEEJNS0_4SqrtIfEEEEEvT_T0_DpT1_.num_vgpr, 32
	.set _ZN2at6native12_GLOBAL__N_125multi_tensor_apply_kernelINS1_18TensorListMetadataILi1EEENS1_14UnaryOpFunctorIN3c108BFloat16ELi1ELi1ELi0EEEJNS0_4SqrtIfEEEEEvT_T0_DpT1_.num_agpr, 0
	.set _ZN2at6native12_GLOBAL__N_125multi_tensor_apply_kernelINS1_18TensorListMetadataILi1EEENS1_14UnaryOpFunctorIN3c108BFloat16ELi1ELi1ELi0EEEJNS0_4SqrtIfEEEEEvT_T0_DpT1_.numbered_sgpr, 21
	.set _ZN2at6native12_GLOBAL__N_125multi_tensor_apply_kernelINS1_18TensorListMetadataILi1EEENS1_14UnaryOpFunctorIN3c108BFloat16ELi1ELi1ELi0EEEJNS0_4SqrtIfEEEEEvT_T0_DpT1_.num_named_barrier, 0
	.set _ZN2at6native12_GLOBAL__N_125multi_tensor_apply_kernelINS1_18TensorListMetadataILi1EEENS1_14UnaryOpFunctorIN3c108BFloat16ELi1ELi1ELi0EEEJNS0_4SqrtIfEEEEEvT_T0_DpT1_.private_seg_size, 0
	.set _ZN2at6native12_GLOBAL__N_125multi_tensor_apply_kernelINS1_18TensorListMetadataILi1EEENS1_14UnaryOpFunctorIN3c108BFloat16ELi1ELi1ELi0EEEJNS0_4SqrtIfEEEEEvT_T0_DpT1_.uses_vcc, 1
	.set _ZN2at6native12_GLOBAL__N_125multi_tensor_apply_kernelINS1_18TensorListMetadataILi1EEENS1_14UnaryOpFunctorIN3c108BFloat16ELi1ELi1ELi0EEEJNS0_4SqrtIfEEEEEvT_T0_DpT1_.uses_flat_scratch, 0
	.set _ZN2at6native12_GLOBAL__N_125multi_tensor_apply_kernelINS1_18TensorListMetadataILi1EEENS1_14UnaryOpFunctorIN3c108BFloat16ELi1ELi1ELi0EEEJNS0_4SqrtIfEEEEEvT_T0_DpT1_.has_dyn_sized_stack, 0
	.set _ZN2at6native12_GLOBAL__N_125multi_tensor_apply_kernelINS1_18TensorListMetadataILi1EEENS1_14UnaryOpFunctorIN3c108BFloat16ELi1ELi1ELi0EEEJNS0_4SqrtIfEEEEEvT_T0_DpT1_.has_recursion, 0
	.set _ZN2at6native12_GLOBAL__N_125multi_tensor_apply_kernelINS1_18TensorListMetadataILi1EEENS1_14UnaryOpFunctorIN3c108BFloat16ELi1ELi1ELi0EEEJNS0_4SqrtIfEEEEEvT_T0_DpT1_.has_indirect_call, 0
	.section	.AMDGPU.csdata,"",@progbits
; Kernel info:
; codeLenInByte = 2444
; TotalNumSgprs: 23
; NumVgprs: 32
; ScratchSize: 0
; MemoryBound: 0
; FloatMode: 240
; IeeeMode: 1
; LDSByteSize: 0 bytes/workgroup (compile time only)
; SGPRBlocks: 0
; VGPRBlocks: 1
; NumSGPRsForWavesPerEU: 23
; NumVGPRsForWavesPerEU: 32
; NamedBarCnt: 0
; Occupancy: 16
; WaveLimiterHint : 0
; COMPUTE_PGM_RSRC2:SCRATCH_EN: 0
; COMPUTE_PGM_RSRC2:USER_SGPR: 2
; COMPUTE_PGM_RSRC2:TRAP_HANDLER: 0
; COMPUTE_PGM_RSRC2:TGID_X_EN: 1
; COMPUTE_PGM_RSRC2:TGID_Y_EN: 0
; COMPUTE_PGM_RSRC2:TGID_Z_EN: 0
; COMPUTE_PGM_RSRC2:TIDIG_COMP_CNT: 0
	.section	.text._ZN2at6native12_GLOBAL__N_125multi_tensor_apply_kernelINS1_18TensorListMetadataILi2EEENS1_14UnaryOpFunctorIdLi2ELi1ELi1EEEJNS0_3ErfIdEEEEEvT_T0_DpT1_,"axG",@progbits,_ZN2at6native12_GLOBAL__N_125multi_tensor_apply_kernelINS1_18TensorListMetadataILi2EEENS1_14UnaryOpFunctorIdLi2ELi1ELi1EEEJNS0_3ErfIdEEEEEvT_T0_DpT1_,comdat
	.globl	_ZN2at6native12_GLOBAL__N_125multi_tensor_apply_kernelINS1_18TensorListMetadataILi2EEENS1_14UnaryOpFunctorIdLi2ELi1ELi1EEEJNS0_3ErfIdEEEEEvT_T0_DpT1_ ; -- Begin function _ZN2at6native12_GLOBAL__N_125multi_tensor_apply_kernelINS1_18TensorListMetadataILi2EEENS1_14UnaryOpFunctorIdLi2ELi1ELi1EEEJNS0_3ErfIdEEEEEvT_T0_DpT1_
	.p2align	8
	.type	_ZN2at6native12_GLOBAL__N_125multi_tensor_apply_kernelINS1_18TensorListMetadataILi2EEENS1_14UnaryOpFunctorIdLi2ELi1ELi1EEEJNS0_3ErfIdEEEEEvT_T0_DpT1_,@function
_ZN2at6native12_GLOBAL__N_125multi_tensor_apply_kernelINS1_18TensorListMetadataILi2EEENS1_14UnaryOpFunctorIdLi2ELi1ELi1EEEJNS0_3ErfIdEEEEEvT_T0_DpT1_: ; @_ZN2at6native12_GLOBAL__N_125multi_tensor_apply_kernelINS1_18TensorListMetadataILi2EEENS1_14UnaryOpFunctorIdLi2ELi1ELi1EEEJNS0_3ErfIdEEEEEvT_T0_DpT1_
; %bb.0:
	s_bfe_u32 s2, ttmp6, 0x4000c
	s_and_b32 s3, ttmp6, 15
	s_add_co_i32 s2, s2, 1
	s_getreg_b32 s4, hwreg(HW_REG_IB_STS2, 6, 4)
	s_mul_i32 s2, ttmp9, s2
	s_delay_alu instid0(SALU_CYCLE_1)
	s_add_co_i32 s3, s3, s2
	s_cmp_eq_u32 s4, 0
	s_cselect_b32 s2, ttmp9, s3
	s_mov_b32 s3, 0
	s_load_u8 s11, s[0:1], s2 offset:0x600
	s_add_nc_u64 s[4:5], s[0:1], s[2:3]
	s_mul_u64 s[6:7], s[2:3], 3
	s_mov_b32 s15, s3
	s_add_nc_u64 s[6:7], s[4:5], s[6:7]
	s_load_b32 s10, s[6:7], 0x740
	s_wait_kmcnt 0x0
	s_clause 0x2
	s_load_b64 s[4:5], s[0:1], s11 offset:0x0 scale_offset
	s_load_b64 s[8:9], s[0:1], s11 offset:0x200 scale_offset
	;; [unrolled: 1-line block ×3, first 2 shown]
	s_wait_xcnt 0x0
	s_ashr_i32 s11, s10, 31
	s_delay_alu instid0(SALU_CYCLE_1)
	s_lshl_b64 s[6:7], s[10:11], 19
	s_wait_kmcnt 0x0
	s_and_b64 s[18:19], s[8:9], 31
	s_add_nc_u64 s[16:17], s[4:5], s[6:7]
	s_and_b32 s14, s12, 3
	s_and_b32 s2, s16, 31
	s_or_b64 s[14:15], s[18:19], s[14:15]
	s_lshl_b64 s[10:11], s[10:11], 16
	s_or_b64 s[2:3], s[14:15], s[2:3]
	s_sub_nc_u64 s[10:11], s[12:13], s[10:11]
	s_cmp_eq_u64 s[2:3], 0
	s_mov_b32 s2, -1
	s_cbranch_scc0 .LBB237_21
; %bb.1:
	v_min_i64 v[18:19], 0x10000, s[10:11]
	v_dual_mov_b32 v3, 0 :: v_dual_lshlrev_b32 v2, 2, v0
	s_mov_b32 s3, exec_lo
	s_delay_alu instid0(VALU_DEP_1)
	v_cmpx_lt_i64_e64 v[2:3], v[18:19]
	s_cbranch_execz .LBB237_20
; %bb.2:
	s_load_b32 s2, s[0:1], 0xc5c
	v_dual_mov_b32 v1, v3 :: v_dual_lshlrev_b32 v2, 5, v0
	v_mov_b64_e32 v[22:23], 0x3e928af3fca7ab0c
	v_mov_b64_e32 v[24:25], 0x3e4d6e3ddfeb1f49
	s_mov_b32 s29, 0
	s_delay_alu instid0(VALU_DEP_3)
	v_mov_b64_e32 v[26:27], v[0:1]
	v_add_nc_u64_e32 v[20:21], s[6:7], v[2:3]
	s_mov_b64 s[12:13], 0xbcc145a3502a41cd
	s_mov_b64 s[14:15], 0x3c598d37c14b24be
	;; [unrolled: 1-line block ×12, first 2 shown]
	s_wait_kmcnt 0x0
	s_and_b32 s28, s2, 0xffff
	s_mov_b64 s[40:41], 0x3f0192fc1f9b1786
	s_mov_b64 s[42:43], 0xbf162cf3f4634b2e
	;; [unrolled: 1-line block ×12, first 2 shown]
	s_lshl_b32 s64, s28, 5
	s_mov_b32 s65, s29
	s_mov_b32 s33, s29
                                        ; implicit-def: $vgpr2_vgpr3
                                        ; implicit-def: $vgpr2_vgpr3
	;; [unrolled: 1-line block ×18, first 2 shown]
	s_branch .LBB237_4
.LBB237_3:                              ;   in Loop: Header=BB237_4 Depth=1
	s_or_b32 exec_lo, exec_lo, s2
	v_add_nc_u64_e32 v[26:27], s[28:29], v[26:27]
	s_delay_alu instid0(VALU_DEP_3)
	v_bfi_b32 v15, 0x7fffffff, v15, v3
	v_add_nc_u64_e32 v[2:3], s[8:9], v[20:21]
	v_add_nc_u64_e32 v[20:21], s[64:65], v[20:21]
	v_bfi_b32 v13, 0x7fffffff, v13, v9
	v_bfi_b32 v11, 0x7fffffff, v11, v7
	;; [unrolled: 1-line block ×3, first 2 shown]
	v_lshlrev_b64_e32 v[28:29], 2, v[26:27]
	s_clause 0x1
	global_store_b128 v[2:3], v[10:13], off
	global_store_b128 v[2:3], v[14:17], off offset:16
	v_cmp_ge_i64_e32 vcc_lo, v[28:29], v[18:19]
	s_or_b32 s33, vcc_lo, s33
	s_wait_xcnt 0x0
	s_and_not1_b32 exec_lo, exec_lo, s33
	s_cbranch_execz .LBB237_20
.LBB237_4:                              ; =>This Inner Loop Header: Depth=1
	v_add_nc_u64_e32 v[2:3], s[4:5], v[20:21]
	s_mov_b32 s66, exec_lo
                                        ; implicit-def: $vgpr10_vgpr11
	s_clause 0x1
	global_load_b128 v[6:9], v[2:3], off
	global_load_b128 v[2:5], v[2:3], off offset:16
	s_wait_loadcnt 0x1
	s_wait_xcnt 0x0
	v_cmpx_nlt_f64_e64 |v[6:7]|, 1.0
	s_xor_b32 s66, exec_lo, s66
	s_cbranch_execz .LBB237_6
; %bb.5:                                ;   in Loop: Header=BB237_4 Depth=1
	v_fma_f64 v[10:11], |v[6:7]|, s[14:15], s[12:13]
	s_delay_alu instid0(VALU_DEP_1) | instskip(NEXT) | instid1(VALU_DEP_1)
	v_fma_f64 v[10:11], |v[6:7]|, v[10:11], s[16:17]
	v_fma_f64 v[10:11], |v[6:7]|, v[10:11], s[18:19]
	s_delay_alu instid0(VALU_DEP_1) | instskip(NEXT) | instid1(VALU_DEP_1)
	v_fma_f64 v[10:11], |v[6:7]|, v[10:11], s[20:21]
	;; [unrolled: 3-line block ×11, first 2 shown]
	v_fma_f64 v[10:11], |v[6:7]|, v[10:11], |v[6:7]|
	s_delay_alu instid0(VALU_DEP_1) | instskip(SKIP_2) | instid1(VALU_DEP_3)
	v_mul_f64_e32 v[12:13], 0xbff71547652b82fe, v[10:11]
	v_cmp_ngt_f64_e32 vcc_lo, 0xc0900000, v[10:11]
	v_cmp_nlt_f64_e64 s2, 0x4090cc00, v[10:11]
	v_rndne_f64_e32 v[12:13], v[12:13]
	s_delay_alu instid0(VALU_DEP_1) | instskip(SKIP_1) | instid1(VALU_DEP_2)
	v_fma_f64 v[14:15], v[12:13], s[62:63], -v[10:11]
	v_cvt_i32_f64_e32 v1, v[12:13]
	v_fmac_f64_e32 v[14:15], 0xbc7abc9e3b39803f, v[12:13]
	s_delay_alu instid0(VALU_DEP_1) | instskip(NEXT) | instid1(VALU_DEP_1)
	v_fmamk_f64 v[16:17], v[14:15], 0x3e5ade156a5dcb37, v[22:23]
	v_fmaak_f64 v[16:17], v[14:15], v[16:17], 0x3ec71dee623fde64
	s_delay_alu instid0(VALU_DEP_1) | instskip(NEXT) | instid1(VALU_DEP_1)
	v_fmaak_f64 v[16:17], v[14:15], v[16:17], 0x3efa01997c89e6b0
	v_fmaak_f64 v[16:17], v[14:15], v[16:17], 0x3f2a01a014761f6e
	s_delay_alu instid0(VALU_DEP_1) | instskip(NEXT) | instid1(VALU_DEP_1)
	v_fmaak_f64 v[16:17], v[14:15], v[16:17], 0x3f56c16c1852b7b0
	;; [unrolled: 3-line block ×4, first 2 shown]
	v_fma_f64 v[16:17], v[14:15], v[16:17], 1.0
	s_delay_alu instid0(VALU_DEP_1) | instskip(NEXT) | instid1(VALU_DEP_1)
	v_fma_f64 v[12:13], v[14:15], v[16:17], 1.0
	v_ldexp_f64 v[12:13], v[12:13], v1
	s_delay_alu instid0(VALU_DEP_1) | instskip(NEXT) | instid1(VALU_DEP_1)
	v_add_f64_e64 v[12:13], -v[12:13], 1.0
	v_cndmask_b32_e32 v1, 0xfff00000, v13, vcc_lo
	s_and_b32 vcc_lo, s2, vcc_lo
	s_delay_alu instid0(VALU_DEP_2) | instskip(NEXT) | instid1(VALU_DEP_2)
	v_cndmask_b32_e32 v10, 0, v12, vcc_lo
	v_cndmask_b32_e64 v11, 0x3ff00000, v1, s2
.LBB237_6:                              ;   in Loop: Header=BB237_4 Depth=1
	s_and_not1_saveexec_b32 s2, s66
	s_cbranch_execz .LBB237_8
; %bb.7:                                ;   in Loop: Header=BB237_4 Depth=1
	v_mul_f64_e32 v[10:11], v[6:7], v[6:7]
	s_delay_alu instid0(VALU_DEP_1) | instskip(NEXT) | instid1(VALU_DEP_1)
	v_fmamk_f64 v[12:13], v[10:11], 0xbe0ab15c51d2ebeb, v[24:25]
	v_fmaak_f64 v[12:13], v[10:11], v[12:13], 0xbe85bfe763844720
	s_delay_alu instid0(VALU_DEP_1) | instskip(NEXT) | instid1(VALU_DEP_1)
	v_fmaak_f64 v[12:13], v[10:11], v[12:13], 0x3ebb97e44280cfb9
	v_fmaak_f64 v[12:13], v[10:11], v[12:13], 0xbeef4ca204c771c5
	s_delay_alu instid0(VALU_DEP_1) | instskip(NEXT) | instid1(VALU_DEP_1)
	v_fmaak_f64 v[12:13], v[10:11], v[12:13], 0x3f1f9a2b75531772
	;; [unrolled: 3-line block ×5, first 2 shown]
	v_fma_f64 v[10:11], |v[6:7]|, v[10:11], |v[6:7]|
.LBB237_8:                              ;   in Loop: Header=BB237_4 Depth=1
	s_or_b32 exec_lo, exec_lo, s2
	s_delay_alu instid0(SALU_CYCLE_1)
	s_mov_b32 s66, exec_lo
	v_cmpx_nlt_f64_e64 |v[8:9]|, 1.0
	s_xor_b32 s66, exec_lo, s66
	s_cbranch_execz .LBB237_10
; %bb.9:                                ;   in Loop: Header=BB237_4 Depth=1
	v_fma_f64 v[12:13], |v[8:9]|, s[14:15], s[12:13]
	s_delay_alu instid0(VALU_DEP_1) | instskip(NEXT) | instid1(VALU_DEP_1)
	v_fma_f64 v[12:13], |v[8:9]|, v[12:13], s[16:17]
	v_fma_f64 v[12:13], |v[8:9]|, v[12:13], s[18:19]
	s_delay_alu instid0(VALU_DEP_1) | instskip(NEXT) | instid1(VALU_DEP_1)
	v_fma_f64 v[12:13], |v[8:9]|, v[12:13], s[20:21]
	;; [unrolled: 3-line block ×11, first 2 shown]
	v_fma_f64 v[12:13], |v[8:9]|, v[12:13], |v[8:9]|
	s_delay_alu instid0(VALU_DEP_1) | instskip(SKIP_2) | instid1(VALU_DEP_3)
	v_mul_f64_e32 v[14:15], 0xbff71547652b82fe, v[12:13]
	v_cmp_ngt_f64_e32 vcc_lo, 0xc0900000, v[12:13]
	v_cmp_nlt_f64_e64 s2, 0x4090cc00, v[12:13]
	v_rndne_f64_e32 v[14:15], v[14:15]
	s_delay_alu instid0(VALU_DEP_1) | instskip(SKIP_1) | instid1(VALU_DEP_2)
	v_fma_f64 v[16:17], v[14:15], s[62:63], -v[12:13]
	v_cvt_i32_f64_e32 v1, v[14:15]
	v_fmac_f64_e32 v[16:17], 0xbc7abc9e3b39803f, v[14:15]
	s_delay_alu instid0(VALU_DEP_1) | instskip(NEXT) | instid1(VALU_DEP_1)
	v_fmamk_f64 v[28:29], v[16:17], 0x3e5ade156a5dcb37, v[22:23]
	v_fmaak_f64 v[28:29], v[16:17], v[28:29], 0x3ec71dee623fde64
	s_delay_alu instid0(VALU_DEP_1) | instskip(NEXT) | instid1(VALU_DEP_1)
	v_fmaak_f64 v[28:29], v[16:17], v[28:29], 0x3efa01997c89e6b0
	v_fmaak_f64 v[28:29], v[16:17], v[28:29], 0x3f2a01a014761f6e
	s_delay_alu instid0(VALU_DEP_1) | instskip(NEXT) | instid1(VALU_DEP_1)
	v_fmaak_f64 v[28:29], v[16:17], v[28:29], 0x3f56c16c1852b7b0
	;; [unrolled: 3-line block ×4, first 2 shown]
	v_fma_f64 v[28:29], v[16:17], v[28:29], 1.0
	s_delay_alu instid0(VALU_DEP_1) | instskip(NEXT) | instid1(VALU_DEP_1)
	v_fma_f64 v[14:15], v[16:17], v[28:29], 1.0
	v_ldexp_f64 v[14:15], v[14:15], v1
	s_delay_alu instid0(VALU_DEP_1) | instskip(NEXT) | instid1(VALU_DEP_1)
	v_add_f64_e64 v[14:15], -v[14:15], 1.0
	v_cndmask_b32_e32 v1, 0xfff00000, v15, vcc_lo
	s_and_b32 vcc_lo, s2, vcc_lo
	s_delay_alu instid0(VALU_DEP_2) | instskip(NEXT) | instid1(VALU_DEP_2)
	v_cndmask_b32_e32 v12, 0, v14, vcc_lo
	v_cndmask_b32_e64 v13, 0x3ff00000, v1, s2
.LBB237_10:                             ;   in Loop: Header=BB237_4 Depth=1
	s_and_not1_saveexec_b32 s2, s66
	s_cbranch_execz .LBB237_12
; %bb.11:                               ;   in Loop: Header=BB237_4 Depth=1
	v_mul_f64_e32 v[12:13], v[8:9], v[8:9]
	s_delay_alu instid0(VALU_DEP_1) | instskip(NEXT) | instid1(VALU_DEP_1)
	v_fmamk_f64 v[14:15], v[12:13], 0xbe0ab15c51d2ebeb, v[24:25]
	v_fmaak_f64 v[14:15], v[12:13], v[14:15], 0xbe85bfe763844720
	s_delay_alu instid0(VALU_DEP_1) | instskip(NEXT) | instid1(VALU_DEP_1)
	v_fmaak_f64 v[14:15], v[12:13], v[14:15], 0x3ebb97e44280cfb9
	v_fmaak_f64 v[14:15], v[12:13], v[14:15], 0xbeef4ca204c771c5
	s_delay_alu instid0(VALU_DEP_1) | instskip(NEXT) | instid1(VALU_DEP_1)
	v_fmaak_f64 v[14:15], v[12:13], v[14:15], 0x3f1f9a2b75531772
	;; [unrolled: 3-line block ×5, first 2 shown]
	v_fma_f64 v[12:13], |v[8:9]|, v[12:13], |v[8:9]|
.LBB237_12:                             ;   in Loop: Header=BB237_4 Depth=1
	s_or_b32 exec_lo, exec_lo, s2
	s_delay_alu instid0(SALU_CYCLE_1)
	s_mov_b32 s66, exec_lo
                                        ; implicit-def: $vgpr14_vgpr15
	s_wait_loadcnt 0x0
	v_cmpx_nlt_f64_e64 |v[2:3]|, 1.0
	s_xor_b32 s66, exec_lo, s66
	s_cbranch_execz .LBB237_14
; %bb.13:                               ;   in Loop: Header=BB237_4 Depth=1
	v_fma_f64 v[14:15], |v[2:3]|, s[14:15], s[12:13]
	s_delay_alu instid0(VALU_DEP_1) | instskip(NEXT) | instid1(VALU_DEP_1)
	v_fma_f64 v[14:15], |v[2:3]|, v[14:15], s[16:17]
	v_fma_f64 v[14:15], |v[2:3]|, v[14:15], s[18:19]
	s_delay_alu instid0(VALU_DEP_1) | instskip(NEXT) | instid1(VALU_DEP_1)
	v_fma_f64 v[14:15], |v[2:3]|, v[14:15], s[20:21]
	v_fma_f64 v[14:15], |v[2:3]|, v[14:15], s[22:23]
	s_delay_alu instid0(VALU_DEP_1) | instskip(NEXT) | instid1(VALU_DEP_1)
	v_fma_f64 v[14:15], |v[2:3]|, v[14:15], s[24:25]
	v_fma_f64 v[14:15], |v[2:3]|, v[14:15], s[26:27]
	s_delay_alu instid0(VALU_DEP_1) | instskip(NEXT) | instid1(VALU_DEP_1)
	v_fma_f64 v[14:15], |v[2:3]|, v[14:15], s[30:31]
	v_fma_f64 v[14:15], |v[2:3]|, v[14:15], s[34:35]
	s_delay_alu instid0(VALU_DEP_1) | instskip(NEXT) | instid1(VALU_DEP_1)
	v_fma_f64 v[14:15], |v[2:3]|, v[14:15], s[36:37]
	v_fma_f64 v[14:15], |v[2:3]|, v[14:15], s[38:39]
	s_delay_alu instid0(VALU_DEP_1) | instskip(NEXT) | instid1(VALU_DEP_1)
	v_fma_f64 v[14:15], |v[2:3]|, v[14:15], s[40:41]
	v_fma_f64 v[14:15], |v[2:3]|, v[14:15], s[42:43]
	s_delay_alu instid0(VALU_DEP_1) | instskip(NEXT) | instid1(VALU_DEP_1)
	v_fma_f64 v[14:15], |v[2:3]|, v[14:15], s[44:45]
	v_fma_f64 v[14:15], |v[2:3]|, v[14:15], s[46:47]
	s_delay_alu instid0(VALU_DEP_1) | instskip(NEXT) | instid1(VALU_DEP_1)
	v_fma_f64 v[14:15], |v[2:3]|, v[14:15], s[48:49]
	v_fma_f64 v[14:15], |v[2:3]|, v[14:15], s[50:51]
	s_delay_alu instid0(VALU_DEP_1) | instskip(NEXT) | instid1(VALU_DEP_1)
	v_fma_f64 v[14:15], |v[2:3]|, v[14:15], s[52:53]
	v_fma_f64 v[14:15], |v[2:3]|, v[14:15], s[54:55]
	s_delay_alu instid0(VALU_DEP_1) | instskip(NEXT) | instid1(VALU_DEP_1)
	v_fma_f64 v[14:15], |v[2:3]|, v[14:15], s[56:57]
	v_fma_f64 v[14:15], |v[2:3]|, v[14:15], s[58:59]
	s_delay_alu instid0(VALU_DEP_1) | instskip(NEXT) | instid1(VALU_DEP_1)
	v_fma_f64 v[14:15], |v[2:3]|, v[14:15], s[60:61]
	v_fma_f64 v[14:15], |v[2:3]|, v[14:15], |v[2:3]|
	s_delay_alu instid0(VALU_DEP_1) | instskip(SKIP_2) | instid1(VALU_DEP_3)
	v_mul_f64_e32 v[16:17], 0xbff71547652b82fe, v[14:15]
	v_cmp_ngt_f64_e32 vcc_lo, 0xc0900000, v[14:15]
	v_cmp_nlt_f64_e64 s2, 0x4090cc00, v[14:15]
	v_rndne_f64_e32 v[16:17], v[16:17]
	s_delay_alu instid0(VALU_DEP_1) | instskip(SKIP_1) | instid1(VALU_DEP_2)
	v_fma_f64 v[28:29], v[16:17], s[62:63], -v[14:15]
	v_cvt_i32_f64_e32 v1, v[16:17]
	v_fmac_f64_e32 v[28:29], 0xbc7abc9e3b39803f, v[16:17]
	s_delay_alu instid0(VALU_DEP_1) | instskip(NEXT) | instid1(VALU_DEP_1)
	v_fmamk_f64 v[30:31], v[28:29], 0x3e5ade156a5dcb37, v[22:23]
	v_fmaak_f64 v[30:31], v[28:29], v[30:31], 0x3ec71dee623fde64
	s_delay_alu instid0(VALU_DEP_1) | instskip(NEXT) | instid1(VALU_DEP_1)
	v_fmaak_f64 v[30:31], v[28:29], v[30:31], 0x3efa01997c89e6b0
	v_fmaak_f64 v[30:31], v[28:29], v[30:31], 0x3f2a01a014761f6e
	s_delay_alu instid0(VALU_DEP_1) | instskip(NEXT) | instid1(VALU_DEP_1)
	v_fmaak_f64 v[30:31], v[28:29], v[30:31], 0x3f56c16c1852b7b0
	;; [unrolled: 3-line block ×4, first 2 shown]
	v_fma_f64 v[30:31], v[28:29], v[30:31], 1.0
	s_delay_alu instid0(VALU_DEP_1) | instskip(NEXT) | instid1(VALU_DEP_1)
	v_fma_f64 v[16:17], v[28:29], v[30:31], 1.0
	v_ldexp_f64 v[16:17], v[16:17], v1
	s_delay_alu instid0(VALU_DEP_1) | instskip(NEXT) | instid1(VALU_DEP_1)
	v_add_f64_e64 v[16:17], -v[16:17], 1.0
	v_cndmask_b32_e32 v1, 0xfff00000, v17, vcc_lo
	s_and_b32 vcc_lo, s2, vcc_lo
	s_delay_alu instid0(VALU_DEP_2) | instskip(NEXT) | instid1(VALU_DEP_2)
	v_cndmask_b32_e32 v14, 0, v16, vcc_lo
	v_cndmask_b32_e64 v15, 0x3ff00000, v1, s2
.LBB237_14:                             ;   in Loop: Header=BB237_4 Depth=1
	s_and_not1_saveexec_b32 s2, s66
	s_cbranch_execz .LBB237_16
; %bb.15:                               ;   in Loop: Header=BB237_4 Depth=1
	v_mul_f64_e32 v[14:15], v[2:3], v[2:3]
	s_delay_alu instid0(VALU_DEP_1) | instskip(NEXT) | instid1(VALU_DEP_1)
	v_fmamk_f64 v[16:17], v[14:15], 0xbe0ab15c51d2ebeb, v[24:25]
	v_fmaak_f64 v[16:17], v[14:15], v[16:17], 0xbe85bfe763844720
	s_delay_alu instid0(VALU_DEP_1) | instskip(NEXT) | instid1(VALU_DEP_1)
	v_fmaak_f64 v[16:17], v[14:15], v[16:17], 0x3ebb97e44280cfb9
	v_fmaak_f64 v[16:17], v[14:15], v[16:17], 0xbeef4ca204c771c5
	s_delay_alu instid0(VALU_DEP_1) | instskip(NEXT) | instid1(VALU_DEP_1)
	v_fmaak_f64 v[16:17], v[14:15], v[16:17], 0x3f1f9a2b75531772
	;; [unrolled: 3-line block ×5, first 2 shown]
	v_fma_f64 v[14:15], |v[2:3]|, v[14:15], |v[2:3]|
.LBB237_16:                             ;   in Loop: Header=BB237_4 Depth=1
	s_or_b32 exec_lo, exec_lo, s2
	s_delay_alu instid0(SALU_CYCLE_1)
	s_mov_b32 s66, exec_lo
	v_cmpx_nlt_f64_e64 |v[4:5]|, 1.0
	s_xor_b32 s66, exec_lo, s66
	s_cbranch_execz .LBB237_18
; %bb.17:                               ;   in Loop: Header=BB237_4 Depth=1
	v_fma_f64 v[16:17], |v[4:5]|, s[14:15], s[12:13]
	s_delay_alu instid0(VALU_DEP_1) | instskip(NEXT) | instid1(VALU_DEP_1)
	v_fma_f64 v[16:17], |v[4:5]|, v[16:17], s[16:17]
	v_fma_f64 v[16:17], |v[4:5]|, v[16:17], s[18:19]
	s_delay_alu instid0(VALU_DEP_1) | instskip(NEXT) | instid1(VALU_DEP_1)
	v_fma_f64 v[16:17], |v[4:5]|, v[16:17], s[20:21]
	;; [unrolled: 3-line block ×11, first 2 shown]
	v_fma_f64 v[16:17], |v[4:5]|, v[16:17], |v[4:5]|
	s_delay_alu instid0(VALU_DEP_1) | instskip(SKIP_2) | instid1(VALU_DEP_3)
	v_mul_f64_e32 v[28:29], 0xbff71547652b82fe, v[16:17]
	v_cmp_ngt_f64_e32 vcc_lo, 0xc0900000, v[16:17]
	v_cmp_nlt_f64_e64 s2, 0x4090cc00, v[16:17]
	v_rndne_f64_e32 v[28:29], v[28:29]
	s_delay_alu instid0(VALU_DEP_1) | instskip(SKIP_1) | instid1(VALU_DEP_2)
	v_fma_f64 v[30:31], v[28:29], s[62:63], -v[16:17]
	v_cvt_i32_f64_e32 v1, v[28:29]
	v_fmac_f64_e32 v[30:31], 0xbc7abc9e3b39803f, v[28:29]
	s_delay_alu instid0(VALU_DEP_1) | instskip(NEXT) | instid1(VALU_DEP_1)
	v_fmamk_f64 v[32:33], v[30:31], 0x3e5ade156a5dcb37, v[22:23]
	v_fmaak_f64 v[32:33], v[30:31], v[32:33], 0x3ec71dee623fde64
	s_delay_alu instid0(VALU_DEP_1) | instskip(NEXT) | instid1(VALU_DEP_1)
	v_fmaak_f64 v[32:33], v[30:31], v[32:33], 0x3efa01997c89e6b0
	v_fmaak_f64 v[32:33], v[30:31], v[32:33], 0x3f2a01a014761f6e
	s_delay_alu instid0(VALU_DEP_1) | instskip(NEXT) | instid1(VALU_DEP_1)
	v_fmaak_f64 v[32:33], v[30:31], v[32:33], 0x3f56c16c1852b7b0
	;; [unrolled: 3-line block ×4, first 2 shown]
	v_fma_f64 v[32:33], v[30:31], v[32:33], 1.0
	s_delay_alu instid0(VALU_DEP_1) | instskip(NEXT) | instid1(VALU_DEP_1)
	v_fma_f64 v[28:29], v[30:31], v[32:33], 1.0
	v_ldexp_f64 v[28:29], v[28:29], v1
	s_delay_alu instid0(VALU_DEP_1) | instskip(NEXT) | instid1(VALU_DEP_1)
	v_add_f64_e64 v[28:29], -v[28:29], 1.0
	v_cndmask_b32_e32 v1, 0xfff00000, v29, vcc_lo
	s_and_b32 vcc_lo, s2, vcc_lo
	s_delay_alu instid0(VALU_DEP_2) | instskip(NEXT) | instid1(VALU_DEP_2)
	v_cndmask_b32_e32 v16, 0, v28, vcc_lo
	v_cndmask_b32_e64 v17, 0x3ff00000, v1, s2
.LBB237_18:                             ;   in Loop: Header=BB237_4 Depth=1
	s_and_not1_saveexec_b32 s2, s66
	s_cbranch_execz .LBB237_3
; %bb.19:                               ;   in Loop: Header=BB237_4 Depth=1
	v_mul_f64_e32 v[16:17], v[4:5], v[4:5]
	s_delay_alu instid0(VALU_DEP_1) | instskip(NEXT) | instid1(VALU_DEP_1)
	v_fmamk_f64 v[28:29], v[16:17], 0xbe0ab15c51d2ebeb, v[24:25]
	v_fmaak_f64 v[28:29], v[16:17], v[28:29], 0xbe85bfe763844720
	s_delay_alu instid0(VALU_DEP_1) | instskip(NEXT) | instid1(VALU_DEP_1)
	v_fmaak_f64 v[28:29], v[16:17], v[28:29], 0x3ebb97e44280cfb9
	v_fmaak_f64 v[28:29], v[16:17], v[28:29], 0xbeef4ca204c771c5
	s_delay_alu instid0(VALU_DEP_1) | instskip(NEXT) | instid1(VALU_DEP_1)
	v_fmaak_f64 v[28:29], v[16:17], v[28:29], 0x3f1f9a2b75531772
	;; [unrolled: 3-line block ×5, first 2 shown]
	v_fma_f64 v[16:17], |v[4:5]|, v[16:17], |v[4:5]|
	s_branch .LBB237_3
.LBB237_20:
	s_or_b32 exec_lo, exec_lo, s3
	s_mov_b32 s2, 0
.LBB237_21:
	s_delay_alu instid0(SALU_CYCLE_1)
	s_and_not1_b32 vcc_lo, exec_lo, s2
	s_cbranch_vccnz .LBB237_57
; %bb.22:
	v_cmp_lt_i64_e64 s2, s[10:11], 1
	s_and_b32 vcc_lo, exec_lo, s2
	s_cbranch_vccnz .LBB237_57
; %bb.23:
	s_load_b32 s0, s[0:1], 0xc5c
	v_min_i64 v[2:3], 0x10000, s[10:11]
	v_min_u64 v[4:5], 0x10000, s[10:11]
	v_dual_mov_b32 v1, 0 :: v_dual_lshlrev_b32 v10, 3, v0
	s_mov_b32 s61, 0
	v_mov_b64_e32 v[28:29], 0x3e928af3fca7ab0c
	s_mov_b32 s17, s61
	s_delay_alu instid0(VALU_DEP_2)
	v_dual_mov_b32 v11, v1 :: v_dual_mov_b32 v27, v1
	s_wait_xcnt 0x0
	s_mov_b32 s1, s61
	s_mov_b32 s3, s61
	v_mov_b64_e32 v[30:31], 0x3e4d6e3ddfeb1f49
	v_add_nc_u64_e32 v[6:7], s[4:5], v[10:11]
	s_mov_b64 s[10:11], 0xbcc145a3502a41cd
	s_mov_b64 s[12:13], 0x3c598d37c14b24be
	;; [unrolled: 1-line block ×6, first 2 shown]
	s_wait_kmcnt 0x0
	s_and_b32 s60, s0, 0xffff
	s_mov_b64 s[24:25], 0x3e7803aa312306d0
	v_add_nc_u64_e32 v[8:9], s[60:61], v[0:1]
	v_mad_nc_u64_u32 v[22:23], s60, 24, v[10:11]
	s_lshl_b32 s16, s60, 4
	s_mul_i32 s2, s60, 3
	v_add_nc_u64_e32 v[18:19], s[16:17], v[10:11]
	s_lshl_b32 s0, s60, 1
	v_add_nc_u64_e32 v[10:11], s[8:9], v[10:11]
	v_lshlrev_b32_e32 v26, 3, v8
	v_add_nc_u64_e32 v[12:13], s[2:3], v[0:1]
	v_add_nc_u64_e32 v[14:15], s[0:1], v[0:1]
	s_mov_b64 s[16:17], 0x3da4b9ba7074b644
	v_add_nc_u64_e32 v[16:17], s[4:5], v[18:19]
	v_add_nc_u64_e32 v[18:19], s[8:9], v[18:19]
	;; [unrolled: 1-line block ×6, first 2 shown]
	s_mov_b64 s[8:9], 0xbd61ffe55552ca22
	s_mov_b64 s[26:27], 0xbea1b0106f4c5a9b
	;; [unrolled: 1-line block ×16, first 2 shown]
	s_lshl_b32 s58, s60, 2
	s_mov_b32 s59, s61
	s_lshl_b32 s60, s60, 5
	s_mov_b64 s[62:63], 0
                                        ; implicit-def: $vgpr32_vgpr33
                                        ; implicit-def: $vgpr32_vgpr33
	;; [unrolled: 1-line block ×18, first 2 shown]
	s_branch .LBB237_25
.LBB237_24:                             ;   in Loop: Header=BB237_25 Depth=1
	s_wait_xcnt 0x0
	s_or_b32 exec_lo, exec_lo, s0
	s_add_nc_u64 s[62:63], s[62:63], s[58:59]
	v_add_nc_u64_e32 v[6:7], s[60:61], v[6:7]
	v_cmp_ge_i64_e32 vcc_lo, s[62:63], v[2:3]
	v_add_nc_u64_e32 v[10:11], s[60:61], v[10:11]
	v_add_nc_u64_e32 v[20:21], s[60:61], v[20:21]
	;; [unrolled: 1-line block ×7, first 2 shown]
	s_cbranch_vccnz .LBB237_57
.LBB237_25:                             ; =>This Inner Loop Header: Depth=1
	v_add_nc_u64_e32 v[34:35], s[62:63], v[0:1]
	v_mov_b64_e32 v[32:33], 0
	v_mov_b64_e32 v[36:37], 0
	s_delay_alu instid0(VALU_DEP_3)
	v_cmp_lt_u64_e32 vcc_lo, v[34:35], v[4:5]
	s_and_saveexec_b32 s0, vcc_lo
	s_cbranch_execz .LBB237_27
; %bb.26:                               ;   in Loop: Header=BB237_25 Depth=1
	v_add_nc_u64_e32 v[34:35], s[6:7], v[6:7]
	global_load_b64 v[36:37], v[34:35], off
.LBB237_27:                             ;   in Loop: Header=BB237_25 Depth=1
	s_wait_xcnt 0x0
	s_or_b32 exec_lo, exec_lo, s0
	v_add_nc_u64_e32 v[34:35], s[62:63], v[8:9]
	s_delay_alu instid0(VALU_DEP_1)
	v_cmp_lt_u64_e64 s0, v[34:35], v[4:5]
	s_and_saveexec_b32 s1, s0
	s_cbranch_execz .LBB237_29
; %bb.28:                               ;   in Loop: Header=BB237_25 Depth=1
	v_add_nc_u64_e32 v[32:33], s[6:7], v[24:25]
	global_load_b64 v[32:33], v[32:33], off
.LBB237_29:                             ;   in Loop: Header=BB237_25 Depth=1
	s_wait_xcnt 0x0
	s_or_b32 exec_lo, exec_lo, s1
	v_add_nc_u64_e32 v[38:39], s[62:63], v[14:15]
	v_mov_b64_e32 v[34:35], 0
	s_delay_alu instid0(VALU_DEP_2)
	v_cmp_lt_u64_e64 s1, v[38:39], v[4:5]
	v_mov_b64_e32 v[38:39], 0
	s_and_saveexec_b32 s2, s1
	s_cbranch_execz .LBB237_31
; %bb.30:                               ;   in Loop: Header=BB237_25 Depth=1
	v_add_nc_u64_e32 v[38:39], s[6:7], v[16:17]
	global_load_b64 v[38:39], v[38:39], off
.LBB237_31:                             ;   in Loop: Header=BB237_25 Depth=1
	s_wait_xcnt 0x0
	s_or_b32 exec_lo, exec_lo, s2
	v_add_nc_u64_e32 v[40:41], s[62:63], v[12:13]
	s_delay_alu instid0(VALU_DEP_1)
	v_cmp_lt_u64_e64 s2, v[40:41], v[4:5]
	s_and_saveexec_b32 s3, s2
	s_cbranch_execz .LBB237_33
; %bb.32:                               ;   in Loop: Header=BB237_25 Depth=1
	v_add_nc_u64_e32 v[34:35], s[6:7], v[20:21]
	global_load_b64 v[34:35], v[34:35], off
.LBB237_33:                             ;   in Loop: Header=BB237_25 Depth=1
	s_wait_xcnt 0x0
	s_or_b32 exec_lo, exec_lo, s3
                                        ; implicit-def: $vgpr40_vgpr41
	s_delay_alu instid0(SALU_CYCLE_1)
	s_mov_b32 s4, exec_lo
	s_wait_loadcnt 0x0
	v_cmpx_nlt_f64_e64 |v[36:37]|, 1.0
	s_xor_b32 s5, exec_lo, s4
	s_cbranch_execz .LBB237_35
; %bb.34:                               ;   in Loop: Header=BB237_25 Depth=1
	v_fma_f64 v[40:41], |v[36:37]|, s[12:13], s[10:11]
	s_delay_alu instid0(VALU_DEP_1) | instskip(NEXT) | instid1(VALU_DEP_1)
	v_fma_f64 v[40:41], |v[36:37]|, v[40:41], s[14:15]
	v_fma_f64 v[40:41], |v[36:37]|, v[40:41], s[8:9]
	s_delay_alu instid0(VALU_DEP_1) | instskip(NEXT) | instid1(VALU_DEP_1)
	v_fma_f64 v[40:41], |v[36:37]|, v[40:41], s[16:17]
	;; [unrolled: 3-line block ×11, first 2 shown]
	v_fma_f64 v[40:41], |v[36:37]|, v[40:41], |v[36:37]|
	s_delay_alu instid0(VALU_DEP_1) | instskip(SKIP_2) | instid1(VALU_DEP_3)
	v_mul_f64_e32 v[42:43], 0xbff71547652b82fe, v[40:41]
	v_cmp_ngt_f64_e64 s3, 0xc0900000, v[40:41]
	v_cmp_nlt_f64_e64 s4, 0x4090cc00, v[40:41]
	v_rndne_f64_e32 v[42:43], v[42:43]
	s_delay_alu instid0(VALU_DEP_1) | instskip(SKIP_1) | instid1(VALU_DEP_2)
	v_fma_f64 v[44:45], v[42:43], s[56:57], -v[40:41]
	v_cvt_i32_f64_e32 v48, v[42:43]
	v_fmac_f64_e32 v[44:45], 0xbc7abc9e3b39803f, v[42:43]
	s_delay_alu instid0(VALU_DEP_1) | instskip(NEXT) | instid1(VALU_DEP_1)
	v_fmamk_f64 v[46:47], v[44:45], 0x3e5ade156a5dcb37, v[28:29]
	v_fmaak_f64 v[46:47], v[44:45], v[46:47], 0x3ec71dee623fde64
	s_delay_alu instid0(VALU_DEP_1) | instskip(NEXT) | instid1(VALU_DEP_1)
	v_fmaak_f64 v[46:47], v[44:45], v[46:47], 0x3efa01997c89e6b0
	v_fmaak_f64 v[46:47], v[44:45], v[46:47], 0x3f2a01a014761f6e
	s_delay_alu instid0(VALU_DEP_1) | instskip(NEXT) | instid1(VALU_DEP_1)
	v_fmaak_f64 v[46:47], v[44:45], v[46:47], 0x3f56c16c1852b7b0
	;; [unrolled: 3-line block ×4, first 2 shown]
	v_fma_f64 v[46:47], v[44:45], v[46:47], 1.0
	s_delay_alu instid0(VALU_DEP_1) | instskip(NEXT) | instid1(VALU_DEP_1)
	v_fma_f64 v[42:43], v[44:45], v[46:47], 1.0
	v_ldexp_f64 v[42:43], v[42:43], v48
	s_delay_alu instid0(VALU_DEP_1) | instskip(NEXT) | instid1(VALU_DEP_1)
	v_add_f64_e64 v[42:43], -v[42:43], 1.0
	v_cndmask_b32_e64 v43, 0xfff00000, v43, s3
	s_and_b32 s3, s4, s3
	s_delay_alu instid0(VALU_DEP_2) | instid1(SALU_CYCLE_1)
	v_cndmask_b32_e64 v40, 0, v42, s3
	s_delay_alu instid0(VALU_DEP_2)
	v_cndmask_b32_e64 v41, 0x3ff00000, v43, s4
.LBB237_35:                             ;   in Loop: Header=BB237_25 Depth=1
	s_and_not1_saveexec_b32 s3, s5
	s_cbranch_execz .LBB237_37
; %bb.36:                               ;   in Loop: Header=BB237_25 Depth=1
	v_mul_f64_e32 v[40:41], v[36:37], v[36:37]
	s_delay_alu instid0(VALU_DEP_1) | instskip(NEXT) | instid1(VALU_DEP_1)
	v_fmamk_f64 v[42:43], v[40:41], 0xbe0ab15c51d2ebeb, v[30:31]
	v_fmaak_f64 v[42:43], v[40:41], v[42:43], 0xbe85bfe763844720
	s_delay_alu instid0(VALU_DEP_1) | instskip(NEXT) | instid1(VALU_DEP_1)
	v_fmaak_f64 v[42:43], v[40:41], v[42:43], 0x3ebb97e44280cfb9
	v_fmaak_f64 v[42:43], v[40:41], v[42:43], 0xbeef4ca204c771c5
	s_delay_alu instid0(VALU_DEP_1) | instskip(NEXT) | instid1(VALU_DEP_1)
	v_fmaak_f64 v[42:43], v[40:41], v[42:43], 0x3f1f9a2b75531772
	;; [unrolled: 3-line block ×5, first 2 shown]
	v_fma_f64 v[40:41], |v[36:37]|, v[40:41], |v[36:37]|
.LBB237_37:                             ;   in Loop: Header=BB237_25 Depth=1
	s_or_b32 exec_lo, exec_lo, s3
                                        ; implicit-def: $vgpr42_vgpr43
	s_delay_alu instid0(SALU_CYCLE_1)
	s_mov_b32 s4, exec_lo
	v_cmpx_nlt_f64_e64 |v[32:33]|, 1.0
	s_xor_b32 s5, exec_lo, s4
	s_cbranch_execz .LBB237_39
; %bb.38:                               ;   in Loop: Header=BB237_25 Depth=1
	v_fma_f64 v[42:43], |v[32:33]|, s[12:13], s[10:11]
	s_delay_alu instid0(VALU_DEP_1) | instskip(NEXT) | instid1(VALU_DEP_1)
	v_fma_f64 v[42:43], |v[32:33]|, v[42:43], s[14:15]
	v_fma_f64 v[42:43], |v[32:33]|, v[42:43], s[8:9]
	s_delay_alu instid0(VALU_DEP_1) | instskip(NEXT) | instid1(VALU_DEP_1)
	v_fma_f64 v[42:43], |v[32:33]|, v[42:43], s[16:17]
	;; [unrolled: 3-line block ×11, first 2 shown]
	v_fma_f64 v[42:43], |v[32:33]|, v[42:43], |v[32:33]|
	s_delay_alu instid0(VALU_DEP_1) | instskip(SKIP_2) | instid1(VALU_DEP_3)
	v_mul_f64_e32 v[44:45], 0xbff71547652b82fe, v[42:43]
	v_cmp_ngt_f64_e64 s3, 0xc0900000, v[42:43]
	v_cmp_nlt_f64_e64 s4, 0x4090cc00, v[42:43]
	v_rndne_f64_e32 v[44:45], v[44:45]
	s_delay_alu instid0(VALU_DEP_1) | instskip(SKIP_1) | instid1(VALU_DEP_2)
	v_fma_f64 v[46:47], v[44:45], s[56:57], -v[42:43]
	v_cvt_i32_f64_e32 v36, v[44:45]
	v_fmac_f64_e32 v[46:47], 0xbc7abc9e3b39803f, v[44:45]
	s_delay_alu instid0(VALU_DEP_1) | instskip(NEXT) | instid1(VALU_DEP_1)
	v_fmamk_f64 v[48:49], v[46:47], 0x3e5ade156a5dcb37, v[28:29]
	v_fmaak_f64 v[48:49], v[46:47], v[48:49], 0x3ec71dee623fde64
	s_delay_alu instid0(VALU_DEP_1) | instskip(NEXT) | instid1(VALU_DEP_1)
	v_fmaak_f64 v[48:49], v[46:47], v[48:49], 0x3efa01997c89e6b0
	v_fmaak_f64 v[48:49], v[46:47], v[48:49], 0x3f2a01a014761f6e
	s_delay_alu instid0(VALU_DEP_1) | instskip(NEXT) | instid1(VALU_DEP_1)
	v_fmaak_f64 v[48:49], v[46:47], v[48:49], 0x3f56c16c1852b7b0
	;; [unrolled: 3-line block ×4, first 2 shown]
	v_fma_f64 v[48:49], v[46:47], v[48:49], 1.0
	s_delay_alu instid0(VALU_DEP_1) | instskip(NEXT) | instid1(VALU_DEP_1)
	v_fma_f64 v[44:45], v[46:47], v[48:49], 1.0
	v_ldexp_f64 v[44:45], v[44:45], v36
	s_delay_alu instid0(VALU_DEP_1) | instskip(NEXT) | instid1(VALU_DEP_1)
	v_add_f64_e64 v[44:45], -v[44:45], 1.0
	v_cndmask_b32_e64 v36, 0xfff00000, v45, s3
	s_and_b32 s3, s4, s3
	s_delay_alu instid0(VALU_DEP_2) | instid1(SALU_CYCLE_1)
	v_cndmask_b32_e64 v42, 0, v44, s3
	s_delay_alu instid0(VALU_DEP_2)
	v_cndmask_b32_e64 v43, 0x3ff00000, v36, s4
.LBB237_39:                             ;   in Loop: Header=BB237_25 Depth=1
	s_and_not1_saveexec_b32 s3, s5
	s_cbranch_execz .LBB237_41
; %bb.40:                               ;   in Loop: Header=BB237_25 Depth=1
	v_mul_f64_e32 v[42:43], v[32:33], v[32:33]
	s_delay_alu instid0(VALU_DEP_1) | instskip(NEXT) | instid1(VALU_DEP_1)
	v_fmamk_f64 v[44:45], v[42:43], 0xbe0ab15c51d2ebeb, v[30:31]
	v_fmaak_f64 v[44:45], v[42:43], v[44:45], 0xbe85bfe763844720
	s_delay_alu instid0(VALU_DEP_1) | instskip(NEXT) | instid1(VALU_DEP_1)
	v_fmaak_f64 v[44:45], v[42:43], v[44:45], 0x3ebb97e44280cfb9
	v_fmaak_f64 v[44:45], v[42:43], v[44:45], 0xbeef4ca204c771c5
	s_delay_alu instid0(VALU_DEP_1) | instskip(NEXT) | instid1(VALU_DEP_1)
	v_fmaak_f64 v[44:45], v[42:43], v[44:45], 0x3f1f9a2b75531772
	;; [unrolled: 3-line block ×5, first 2 shown]
	v_fma_f64 v[42:43], |v[32:33]|, v[42:43], |v[32:33]|
.LBB237_41:                             ;   in Loop: Header=BB237_25 Depth=1
	s_or_b32 exec_lo, exec_lo, s3
                                        ; implicit-def: $vgpr44_vgpr45
	s_delay_alu instid0(SALU_CYCLE_1)
	s_mov_b32 s4, exec_lo
	v_cmpx_nlt_f64_e64 |v[38:39]|, 1.0
	s_xor_b32 s5, exec_lo, s4
	s_cbranch_execz .LBB237_43
; %bb.42:                               ;   in Loop: Header=BB237_25 Depth=1
	v_fma_f64 v[44:45], |v[38:39]|, s[12:13], s[10:11]
	s_delay_alu instid0(VALU_DEP_1) | instskip(NEXT) | instid1(VALU_DEP_1)
	v_fma_f64 v[44:45], |v[38:39]|, v[44:45], s[14:15]
	v_fma_f64 v[44:45], |v[38:39]|, v[44:45], s[8:9]
	s_delay_alu instid0(VALU_DEP_1) | instskip(NEXT) | instid1(VALU_DEP_1)
	v_fma_f64 v[44:45], |v[38:39]|, v[44:45], s[16:17]
	;; [unrolled: 3-line block ×11, first 2 shown]
	v_fma_f64 v[44:45], |v[38:39]|, v[44:45], |v[38:39]|
	s_delay_alu instid0(VALU_DEP_1) | instskip(SKIP_2) | instid1(VALU_DEP_3)
	v_mul_f64_e32 v[46:47], 0xbff71547652b82fe, v[44:45]
	v_cmp_ngt_f64_e64 s3, 0xc0900000, v[44:45]
	v_cmp_nlt_f64_e64 s4, 0x4090cc00, v[44:45]
	v_rndne_f64_e32 v[46:47], v[46:47]
	s_delay_alu instid0(VALU_DEP_1) | instskip(SKIP_1) | instid1(VALU_DEP_2)
	v_fma_f64 v[48:49], v[46:47], s[56:57], -v[44:45]
	v_cvt_i32_f64_e32 v32, v[46:47]
	v_fmac_f64_e32 v[48:49], 0xbc7abc9e3b39803f, v[46:47]
	s_delay_alu instid0(VALU_DEP_1) | instskip(NEXT) | instid1(VALU_DEP_1)
	v_fmamk_f64 v[50:51], v[48:49], 0x3e5ade156a5dcb37, v[28:29]
	v_fmaak_f64 v[50:51], v[48:49], v[50:51], 0x3ec71dee623fde64
	s_delay_alu instid0(VALU_DEP_1) | instskip(NEXT) | instid1(VALU_DEP_1)
	v_fmaak_f64 v[50:51], v[48:49], v[50:51], 0x3efa01997c89e6b0
	v_fmaak_f64 v[50:51], v[48:49], v[50:51], 0x3f2a01a014761f6e
	s_delay_alu instid0(VALU_DEP_1) | instskip(NEXT) | instid1(VALU_DEP_1)
	v_fmaak_f64 v[50:51], v[48:49], v[50:51], 0x3f56c16c1852b7b0
	;; [unrolled: 3-line block ×4, first 2 shown]
	v_fma_f64 v[50:51], v[48:49], v[50:51], 1.0
	s_delay_alu instid0(VALU_DEP_1) | instskip(NEXT) | instid1(VALU_DEP_1)
	v_fma_f64 v[46:47], v[48:49], v[50:51], 1.0
	v_ldexp_f64 v[46:47], v[46:47], v32
	s_delay_alu instid0(VALU_DEP_1) | instskip(NEXT) | instid1(VALU_DEP_1)
	v_add_f64_e64 v[46:47], -v[46:47], 1.0
	v_cndmask_b32_e64 v32, 0xfff00000, v47, s3
	s_and_b32 s3, s4, s3
	s_delay_alu instid0(VALU_DEP_2) | instid1(SALU_CYCLE_1)
	v_cndmask_b32_e64 v44, 0, v46, s3
	s_delay_alu instid0(VALU_DEP_2)
	v_cndmask_b32_e64 v45, 0x3ff00000, v32, s4
.LBB237_43:                             ;   in Loop: Header=BB237_25 Depth=1
	s_and_not1_saveexec_b32 s3, s5
	s_cbranch_execz .LBB237_45
; %bb.44:                               ;   in Loop: Header=BB237_25 Depth=1
	v_mul_f64_e32 v[44:45], v[38:39], v[38:39]
	s_delay_alu instid0(VALU_DEP_1) | instskip(NEXT) | instid1(VALU_DEP_1)
	v_fmamk_f64 v[46:47], v[44:45], 0xbe0ab15c51d2ebeb, v[30:31]
	v_fmaak_f64 v[46:47], v[44:45], v[46:47], 0xbe85bfe763844720
	s_delay_alu instid0(VALU_DEP_1) | instskip(NEXT) | instid1(VALU_DEP_1)
	v_fmaak_f64 v[46:47], v[44:45], v[46:47], 0x3ebb97e44280cfb9
	v_fmaak_f64 v[46:47], v[44:45], v[46:47], 0xbeef4ca204c771c5
	s_delay_alu instid0(VALU_DEP_1) | instskip(NEXT) | instid1(VALU_DEP_1)
	v_fmaak_f64 v[46:47], v[44:45], v[46:47], 0x3f1f9a2b75531772
	;; [unrolled: 3-line block ×5, first 2 shown]
	v_fma_f64 v[44:45], |v[38:39]|, v[44:45], |v[38:39]|
.LBB237_45:                             ;   in Loop: Header=BB237_25 Depth=1
	s_or_b32 exec_lo, exec_lo, s3
                                        ; implicit-def: $vgpr46_vgpr47
	s_delay_alu instid0(SALU_CYCLE_1)
	s_mov_b32 s4, exec_lo
	v_cmpx_nlt_f64_e64 |v[34:35]|, 1.0
	s_xor_b32 s5, exec_lo, s4
	s_cbranch_execnz .LBB237_51
; %bb.46:                               ;   in Loop: Header=BB237_25 Depth=1
	s_and_not1_saveexec_b32 s3, s5
	s_cbranch_execnz .LBB237_52
.LBB237_47:                             ;   in Loop: Header=BB237_25 Depth=1
	s_or_b32 exec_lo, exec_lo, s3
	s_and_saveexec_b32 s3, vcc_lo
	s_delay_alu instid0(SALU_CYCLE_1)
	s_xor_b32 s3, exec_lo, s3
	s_cbranch_execnz .LBB237_53
.LBB237_48:                             ;   in Loop: Header=BB237_25 Depth=1
	s_or_b32 exec_lo, exec_lo, s3
	s_and_saveexec_b32 s3, s0
	s_cbranch_execnz .LBB237_54
.LBB237_49:                             ;   in Loop: Header=BB237_25 Depth=1
	s_or_b32 exec_lo, exec_lo, s3
	s_and_saveexec_b32 s0, s1
	s_cbranch_execnz .LBB237_55
.LBB237_50:                             ;   in Loop: Header=BB237_25 Depth=1
	s_or_b32 exec_lo, exec_lo, s0
	s_and_saveexec_b32 s0, s2
	s_cbranch_execz .LBB237_24
	s_branch .LBB237_56
.LBB237_51:                             ;   in Loop: Header=BB237_25 Depth=1
	v_fma_f64 v[46:47], |v[34:35]|, s[12:13], s[10:11]
	s_delay_alu instid0(VALU_DEP_1) | instskip(NEXT) | instid1(VALU_DEP_1)
	v_fma_f64 v[46:47], |v[34:35]|, v[46:47], s[14:15]
	v_fma_f64 v[46:47], |v[34:35]|, v[46:47], s[8:9]
	s_delay_alu instid0(VALU_DEP_1) | instskip(NEXT) | instid1(VALU_DEP_1)
	v_fma_f64 v[46:47], |v[34:35]|, v[46:47], s[16:17]
	v_fma_f64 v[46:47], |v[34:35]|, v[46:47], s[18:19]
	s_delay_alu instid0(VALU_DEP_1) | instskip(NEXT) | instid1(VALU_DEP_1)
	v_fma_f64 v[46:47], |v[34:35]|, v[46:47], s[20:21]
	v_fma_f64 v[46:47], |v[34:35]|, v[46:47], s[22:23]
	s_delay_alu instid0(VALU_DEP_1) | instskip(NEXT) | instid1(VALU_DEP_1)
	v_fma_f64 v[46:47], |v[34:35]|, v[46:47], s[24:25]
	v_fma_f64 v[46:47], |v[34:35]|, v[46:47], s[26:27]
	s_delay_alu instid0(VALU_DEP_1) | instskip(NEXT) | instid1(VALU_DEP_1)
	v_fma_f64 v[46:47], |v[34:35]|, v[46:47], s[28:29]
	v_fma_f64 v[46:47], |v[34:35]|, v[46:47], s[30:31]
	s_delay_alu instid0(VALU_DEP_1) | instskip(NEXT) | instid1(VALU_DEP_1)
	v_fma_f64 v[46:47], |v[34:35]|, v[46:47], s[34:35]
	v_fma_f64 v[46:47], |v[34:35]|, v[46:47], s[36:37]
	s_delay_alu instid0(VALU_DEP_1) | instskip(NEXT) | instid1(VALU_DEP_1)
	v_fma_f64 v[46:47], |v[34:35]|, v[46:47], s[38:39]
	v_fma_f64 v[46:47], |v[34:35]|, v[46:47], s[40:41]
	s_delay_alu instid0(VALU_DEP_1) | instskip(NEXT) | instid1(VALU_DEP_1)
	v_fma_f64 v[46:47], |v[34:35]|, v[46:47], s[42:43]
	v_fma_f64 v[46:47], |v[34:35]|, v[46:47], s[44:45]
	s_delay_alu instid0(VALU_DEP_1) | instskip(NEXT) | instid1(VALU_DEP_1)
	v_fma_f64 v[46:47], |v[34:35]|, v[46:47], s[46:47]
	v_fma_f64 v[46:47], |v[34:35]|, v[46:47], s[48:49]
	s_delay_alu instid0(VALU_DEP_1) | instskip(NEXT) | instid1(VALU_DEP_1)
	v_fma_f64 v[46:47], |v[34:35]|, v[46:47], s[50:51]
	v_fma_f64 v[46:47], |v[34:35]|, v[46:47], s[52:53]
	s_delay_alu instid0(VALU_DEP_1) | instskip(NEXT) | instid1(VALU_DEP_1)
	v_fma_f64 v[46:47], |v[34:35]|, v[46:47], s[54:55]
	v_fma_f64 v[46:47], |v[34:35]|, v[46:47], |v[34:35]|
	s_delay_alu instid0(VALU_DEP_1) | instskip(SKIP_2) | instid1(VALU_DEP_3)
	v_mul_f64_e32 v[48:49], 0xbff71547652b82fe, v[46:47]
	v_cmp_ngt_f64_e64 s3, 0xc0900000, v[46:47]
	v_cmp_nlt_f64_e64 s4, 0x4090cc00, v[46:47]
	v_rndne_f64_e32 v[48:49], v[48:49]
	s_delay_alu instid0(VALU_DEP_1) | instskip(SKIP_1) | instid1(VALU_DEP_2)
	v_fma_f64 v[50:51], v[48:49], s[56:57], -v[46:47]
	v_cvt_i32_f64_e32 v32, v[48:49]
	v_fmac_f64_e32 v[50:51], 0xbc7abc9e3b39803f, v[48:49]
	s_delay_alu instid0(VALU_DEP_1) | instskip(NEXT) | instid1(VALU_DEP_1)
	v_fmamk_f64 v[52:53], v[50:51], 0x3e5ade156a5dcb37, v[28:29]
	v_fmaak_f64 v[52:53], v[50:51], v[52:53], 0x3ec71dee623fde64
	s_delay_alu instid0(VALU_DEP_1) | instskip(NEXT) | instid1(VALU_DEP_1)
	v_fmaak_f64 v[52:53], v[50:51], v[52:53], 0x3efa01997c89e6b0
	v_fmaak_f64 v[52:53], v[50:51], v[52:53], 0x3f2a01a014761f6e
	s_delay_alu instid0(VALU_DEP_1) | instskip(NEXT) | instid1(VALU_DEP_1)
	v_fmaak_f64 v[52:53], v[50:51], v[52:53], 0x3f56c16c1852b7b0
	;; [unrolled: 3-line block ×4, first 2 shown]
	v_fma_f64 v[52:53], v[50:51], v[52:53], 1.0
	s_delay_alu instid0(VALU_DEP_1) | instskip(NEXT) | instid1(VALU_DEP_1)
	v_fma_f64 v[48:49], v[50:51], v[52:53], 1.0
	v_ldexp_f64 v[48:49], v[48:49], v32
	s_delay_alu instid0(VALU_DEP_1) | instskip(NEXT) | instid1(VALU_DEP_1)
	v_add_f64_e64 v[48:49], -v[48:49], 1.0
	v_cndmask_b32_e64 v32, 0xfff00000, v49, s3
	s_and_b32 s3, s4, s3
	s_delay_alu instid0(VALU_DEP_2) | instid1(SALU_CYCLE_1)
	v_cndmask_b32_e64 v46, 0, v48, s3
	s_delay_alu instid0(VALU_DEP_2)
	v_cndmask_b32_e64 v47, 0x3ff00000, v32, s4
	s_and_not1_saveexec_b32 s3, s5
	s_cbranch_execz .LBB237_47
.LBB237_52:                             ;   in Loop: Header=BB237_25 Depth=1
	v_mul_f64_e32 v[46:47], v[34:35], v[34:35]
	s_delay_alu instid0(VALU_DEP_1) | instskip(NEXT) | instid1(VALU_DEP_1)
	v_fmamk_f64 v[48:49], v[46:47], 0xbe0ab15c51d2ebeb, v[30:31]
	v_fmaak_f64 v[48:49], v[46:47], v[48:49], 0xbe85bfe763844720
	s_delay_alu instid0(VALU_DEP_1) | instskip(NEXT) | instid1(VALU_DEP_1)
	v_fmaak_f64 v[48:49], v[46:47], v[48:49], 0x3ebb97e44280cfb9
	v_fmaak_f64 v[48:49], v[46:47], v[48:49], 0xbeef4ca204c771c5
	s_delay_alu instid0(VALU_DEP_1) | instskip(NEXT) | instid1(VALU_DEP_1)
	v_fmaak_f64 v[48:49], v[46:47], v[48:49], 0x3f1f9a2b75531772
	v_fmaak_f64 v[48:49], v[46:47], v[48:49], 0xbf4c02db0149d904
	s_delay_alu instid0(VALU_DEP_1) | instskip(NEXT) | instid1(VALU_DEP_1)
	v_fmaak_f64 v[48:49], v[46:47], v[48:49], 0x3f7565bccf7e2856
	v_fmaak_f64 v[48:49], v[46:47], v[48:49], 0xbf9b82ce311ee09b
	s_delay_alu instid0(VALU_DEP_1) | instskip(NEXT) | instid1(VALU_DEP_1)
	v_fmaak_f64 v[48:49], v[46:47], v[48:49], 0x3fbce2f21a0408d1
	v_fmaak_f64 v[48:49], v[46:47], v[48:49], 0xbfd812746b0379b2
	s_delay_alu instid0(VALU_DEP_1) | instskip(NEXT) | instid1(VALU_DEP_1)
	v_fmaak_f64 v[46:47], v[46:47], v[48:49], 0x3fc06eba8214db68
	v_fma_f64 v[46:47], |v[34:35]|, v[46:47], |v[34:35]|
	s_or_b32 exec_lo, exec_lo, s3
	s_and_saveexec_b32 s3, vcc_lo
	s_delay_alu instid0(SALU_CYCLE_1)
	s_xor_b32 s3, exec_lo, s3
	s_cbranch_execz .LBB237_48
.LBB237_53:                             ;   in Loop: Header=BB237_25 Depth=1
	v_add_nc_u64_e32 v[48:49], s[6:7], v[10:11]
	v_bfi_b32 v41, 0x7fffffff, v41, v37
	global_store_b64 v[48:49], v[40:41], off
	s_wait_xcnt 0x0
	s_or_b32 exec_lo, exec_lo, s3
	s_and_saveexec_b32 s3, s0
	s_cbranch_execz .LBB237_49
.LBB237_54:                             ;   in Loop: Header=BB237_25 Depth=1
	v_add_nc_u64_e32 v[36:37], s[6:7], v[26:27]
	s_delay_alu instid0(VALU_DEP_4)
	v_bfi_b32 v43, 0x7fffffff, v43, v33
	global_store_b64 v[36:37], v[42:43], off
	s_wait_xcnt 0x0
	s_or_b32 exec_lo, exec_lo, s3
	s_and_saveexec_b32 s0, s1
	s_cbranch_execz .LBB237_50
.LBB237_55:                             ;   in Loop: Header=BB237_25 Depth=1
	v_add_nc_u64_e32 v[32:33], s[6:7], v[18:19]
	s_delay_alu instid0(VALU_DEP_3)
	v_bfi_b32 v45, 0x7fffffff, v45, v39
	global_store_b64 v[32:33], v[44:45], off
	s_wait_xcnt 0x0
	s_or_b32 exec_lo, exec_lo, s0
	s_and_saveexec_b32 s0, s2
	s_cbranch_execz .LBB237_24
.LBB237_56:                             ;   in Loop: Header=BB237_25 Depth=1
	v_add_nc_u64_e32 v[32:33], s[6:7], v[22:23]
	s_delay_alu instid0(VALU_DEP_2)
	v_bfi_b32 v47, 0x7fffffff, v47, v35
	global_store_b64 v[32:33], v[46:47], off
	s_branch .LBB237_24
.LBB237_57:
	s_endpgm
	.section	.rodata,"a",@progbits
	.p2align	6, 0x0
	.amdhsa_kernel _ZN2at6native12_GLOBAL__N_125multi_tensor_apply_kernelINS1_18TensorListMetadataILi2EEENS1_14UnaryOpFunctorIdLi2ELi1ELi1EEEJNS0_3ErfIdEEEEEvT_T0_DpT1_
		.amdhsa_group_segment_fixed_size 0
		.amdhsa_private_segment_fixed_size 0
		.amdhsa_kernarg_size 3408
		.amdhsa_user_sgpr_count 2
		.amdhsa_user_sgpr_dispatch_ptr 0
		.amdhsa_user_sgpr_queue_ptr 0
		.amdhsa_user_sgpr_kernarg_segment_ptr 1
		.amdhsa_user_sgpr_dispatch_id 0
		.amdhsa_user_sgpr_kernarg_preload_length 0
		.amdhsa_user_sgpr_kernarg_preload_offset 0
		.amdhsa_user_sgpr_private_segment_size 0
		.amdhsa_wavefront_size32 1
		.amdhsa_uses_dynamic_stack 0
		.amdhsa_enable_private_segment 0
		.amdhsa_system_sgpr_workgroup_id_x 1
		.amdhsa_system_sgpr_workgroup_id_y 0
		.amdhsa_system_sgpr_workgroup_id_z 0
		.amdhsa_system_sgpr_workgroup_info 0
		.amdhsa_system_vgpr_workitem_id 0
		.amdhsa_next_free_vgpr 54
		.amdhsa_next_free_sgpr 67
		.amdhsa_named_barrier_count 0
		.amdhsa_reserve_vcc 1
		.amdhsa_float_round_mode_32 0
		.amdhsa_float_round_mode_16_64 0
		.amdhsa_float_denorm_mode_32 3
		.amdhsa_float_denorm_mode_16_64 3
		.amdhsa_fp16_overflow 0
		.amdhsa_memory_ordered 1
		.amdhsa_forward_progress 1
		.amdhsa_inst_pref_size 59
		.amdhsa_round_robin_scheduling 0
		.amdhsa_exception_fp_ieee_invalid_op 0
		.amdhsa_exception_fp_denorm_src 0
		.amdhsa_exception_fp_ieee_div_zero 0
		.amdhsa_exception_fp_ieee_overflow 0
		.amdhsa_exception_fp_ieee_underflow 0
		.amdhsa_exception_fp_ieee_inexact 0
		.amdhsa_exception_int_div_zero 0
	.end_amdhsa_kernel
	.section	.text._ZN2at6native12_GLOBAL__N_125multi_tensor_apply_kernelINS1_18TensorListMetadataILi2EEENS1_14UnaryOpFunctorIdLi2ELi1ELi1EEEJNS0_3ErfIdEEEEEvT_T0_DpT1_,"axG",@progbits,_ZN2at6native12_GLOBAL__N_125multi_tensor_apply_kernelINS1_18TensorListMetadataILi2EEENS1_14UnaryOpFunctorIdLi2ELi1ELi1EEEJNS0_3ErfIdEEEEEvT_T0_DpT1_,comdat
.Lfunc_end237:
	.size	_ZN2at6native12_GLOBAL__N_125multi_tensor_apply_kernelINS1_18TensorListMetadataILi2EEENS1_14UnaryOpFunctorIdLi2ELi1ELi1EEEJNS0_3ErfIdEEEEEvT_T0_DpT1_, .Lfunc_end237-_ZN2at6native12_GLOBAL__N_125multi_tensor_apply_kernelINS1_18TensorListMetadataILi2EEENS1_14UnaryOpFunctorIdLi2ELi1ELi1EEEJNS0_3ErfIdEEEEEvT_T0_DpT1_
                                        ; -- End function
	.set _ZN2at6native12_GLOBAL__N_125multi_tensor_apply_kernelINS1_18TensorListMetadataILi2EEENS1_14UnaryOpFunctorIdLi2ELi1ELi1EEEJNS0_3ErfIdEEEEEvT_T0_DpT1_.num_vgpr, 54
	.set _ZN2at6native12_GLOBAL__N_125multi_tensor_apply_kernelINS1_18TensorListMetadataILi2EEENS1_14UnaryOpFunctorIdLi2ELi1ELi1EEEJNS0_3ErfIdEEEEEvT_T0_DpT1_.num_agpr, 0
	.set _ZN2at6native12_GLOBAL__N_125multi_tensor_apply_kernelINS1_18TensorListMetadataILi2EEENS1_14UnaryOpFunctorIdLi2ELi1ELi1EEEJNS0_3ErfIdEEEEEvT_T0_DpT1_.numbered_sgpr, 67
	.set _ZN2at6native12_GLOBAL__N_125multi_tensor_apply_kernelINS1_18TensorListMetadataILi2EEENS1_14UnaryOpFunctorIdLi2ELi1ELi1EEEJNS0_3ErfIdEEEEEvT_T0_DpT1_.num_named_barrier, 0
	.set _ZN2at6native12_GLOBAL__N_125multi_tensor_apply_kernelINS1_18TensorListMetadataILi2EEENS1_14UnaryOpFunctorIdLi2ELi1ELi1EEEJNS0_3ErfIdEEEEEvT_T0_DpT1_.private_seg_size, 0
	.set _ZN2at6native12_GLOBAL__N_125multi_tensor_apply_kernelINS1_18TensorListMetadataILi2EEENS1_14UnaryOpFunctorIdLi2ELi1ELi1EEEJNS0_3ErfIdEEEEEvT_T0_DpT1_.uses_vcc, 1
	.set _ZN2at6native12_GLOBAL__N_125multi_tensor_apply_kernelINS1_18TensorListMetadataILi2EEENS1_14UnaryOpFunctorIdLi2ELi1ELi1EEEJNS0_3ErfIdEEEEEvT_T0_DpT1_.uses_flat_scratch, 0
	.set _ZN2at6native12_GLOBAL__N_125multi_tensor_apply_kernelINS1_18TensorListMetadataILi2EEENS1_14UnaryOpFunctorIdLi2ELi1ELi1EEEJNS0_3ErfIdEEEEEvT_T0_DpT1_.has_dyn_sized_stack, 0
	.set _ZN2at6native12_GLOBAL__N_125multi_tensor_apply_kernelINS1_18TensorListMetadataILi2EEENS1_14UnaryOpFunctorIdLi2ELi1ELi1EEEJNS0_3ErfIdEEEEEvT_T0_DpT1_.has_recursion, 0
	.set _ZN2at6native12_GLOBAL__N_125multi_tensor_apply_kernelINS1_18TensorListMetadataILi2EEENS1_14UnaryOpFunctorIdLi2ELi1ELi1EEEJNS0_3ErfIdEEEEEvT_T0_DpT1_.has_indirect_call, 0
	.section	.AMDGPU.csdata,"",@progbits
; Kernel info:
; codeLenInByte = 7460
; TotalNumSgprs: 69
; NumVgprs: 54
; ScratchSize: 0
; MemoryBound: 1
; FloatMode: 240
; IeeeMode: 1
; LDSByteSize: 0 bytes/workgroup (compile time only)
; SGPRBlocks: 0
; VGPRBlocks: 3
; NumSGPRsForWavesPerEU: 69
; NumVGPRsForWavesPerEU: 54
; NamedBarCnt: 0
; Occupancy: 16
; WaveLimiterHint : 0
; COMPUTE_PGM_RSRC2:SCRATCH_EN: 0
; COMPUTE_PGM_RSRC2:USER_SGPR: 2
; COMPUTE_PGM_RSRC2:TRAP_HANDLER: 0
; COMPUTE_PGM_RSRC2:TGID_X_EN: 1
; COMPUTE_PGM_RSRC2:TGID_Y_EN: 0
; COMPUTE_PGM_RSRC2:TGID_Z_EN: 0
; COMPUTE_PGM_RSRC2:TIDIG_COMP_CNT: 0
	.section	.text._ZN2at6native12_GLOBAL__N_125multi_tensor_apply_kernelINS1_18TensorListMetadataILi2EEENS1_14UnaryOpFunctorIfLi2ELi1ELi1EEEJNS0_3ErfIfEEEEEvT_T0_DpT1_,"axG",@progbits,_ZN2at6native12_GLOBAL__N_125multi_tensor_apply_kernelINS1_18TensorListMetadataILi2EEENS1_14UnaryOpFunctorIfLi2ELi1ELi1EEEJNS0_3ErfIfEEEEEvT_T0_DpT1_,comdat
	.globl	_ZN2at6native12_GLOBAL__N_125multi_tensor_apply_kernelINS1_18TensorListMetadataILi2EEENS1_14UnaryOpFunctorIfLi2ELi1ELi1EEEJNS0_3ErfIfEEEEEvT_T0_DpT1_ ; -- Begin function _ZN2at6native12_GLOBAL__N_125multi_tensor_apply_kernelINS1_18TensorListMetadataILi2EEENS1_14UnaryOpFunctorIfLi2ELi1ELi1EEEJNS0_3ErfIfEEEEEvT_T0_DpT1_
	.p2align	8
	.type	_ZN2at6native12_GLOBAL__N_125multi_tensor_apply_kernelINS1_18TensorListMetadataILi2EEENS1_14UnaryOpFunctorIfLi2ELi1ELi1EEEJNS0_3ErfIfEEEEEvT_T0_DpT1_,@function
_ZN2at6native12_GLOBAL__N_125multi_tensor_apply_kernelINS1_18TensorListMetadataILi2EEENS1_14UnaryOpFunctorIfLi2ELi1ELi1EEEJNS0_3ErfIfEEEEEvT_T0_DpT1_: ; @_ZN2at6native12_GLOBAL__N_125multi_tensor_apply_kernelINS1_18TensorListMetadataILi2EEENS1_14UnaryOpFunctorIfLi2ELi1ELi1EEEJNS0_3ErfIfEEEEEvT_T0_DpT1_
; %bb.0:
	s_bfe_u32 s2, ttmp6, 0x4000c
	s_and_b32 s3, ttmp6, 15
	s_add_co_i32 s2, s2, 1
	s_getreg_b32 s4, hwreg(HW_REG_IB_STS2, 6, 4)
	s_mul_i32 s2, ttmp9, s2
	s_mov_b32 s7, 0
	s_add_co_i32 s3, s3, s2
	s_cmp_eq_u32 s4, 0
	s_mov_b32 s15, s7
	s_cselect_b32 s6, ttmp9, s3
	s_load_u8 s11, s[0:1], s6 offset:0x600
	s_add_nc_u64 s[2:3], s[0:1], s[6:7]
	s_mul_u64 s[4:5], s[6:7], 3
	s_delay_alu instid0(SALU_CYCLE_1)
	s_add_nc_u64 s[4:5], s[2:3], s[4:5]
	s_load_b32 s10, s[4:5], 0x740
	s_wait_kmcnt 0x0
	s_clause 0x2
	s_load_b64 s[2:3], s[0:1], s11 offset:0x0 scale_offset
	s_load_b64 s[8:9], s[0:1], s11 offset:0x200 scale_offset
	;; [unrolled: 1-line block ×3, first 2 shown]
	s_wait_xcnt 0x0
	s_ashr_i32 s11, s10, 31
	s_delay_alu instid0(SALU_CYCLE_1)
	s_lshl_b64 s[4:5], s[10:11], 18
	s_wait_kmcnt 0x0
	s_and_b64 s[18:19], s[8:9], 15
	s_add_nc_u64 s[16:17], s[2:3], s[4:5]
	s_and_b32 s14, s12, 3
	s_and_b32 s6, s16, 15
	s_or_b64 s[14:15], s[18:19], s[14:15]
	s_lshl_b64 s[10:11], s[10:11], 16
	s_or_b64 s[14:15], s[14:15], s[6:7]
	s_sub_nc_u64 s[6:7], s[12:13], s[10:11]
	s_cmp_eq_u64 s[14:15], 0
	s_mov_b32 s10, -1
	s_cbranch_scc0 .LBB238_21
; %bb.1:
	v_min_i64 v[6:7], 0x10000, s[6:7]
	v_dual_mov_b32 v3, 0 :: v_dual_lshlrev_b32 v2, 2, v0
	s_mov_b32 s14, exec_lo
	s_delay_alu instid0(VALU_DEP_1)
	v_cmpx_lt_i64_e64 v[2:3], v[6:7]
	s_cbranch_execz .LBB238_20
; %bb.2:
	s_load_b32 s10, s[0:1], 0xc5c
	v_dual_mov_b32 v1, v3 :: v_dual_lshlrev_b32 v2, 4, v0
	s_mov_b32 s11, 0
	s_mov_b32 s15, 0x378e98ab
	s_mov_b32 s16, 0xba1345e1
	s_delay_alu instid0(VALU_DEP_1)
	v_add_nc_u64_e32 v[8:9], s[4:5], v[2:3]
	v_mov_b64_e32 v[10:11], v[0:1]
	s_mov_b32 s13, s11
	s_mov_b32 s17, s11
	s_wait_kmcnt 0x0
	s_and_b32 s10, s10, 0xffff
	s_delay_alu instid0(SALU_CYCLE_1)
	s_lshl_b32 s12, s10, 4
	s_branch .LBB238_4
.LBB238_3:                              ;   in Loop: Header=BB238_4 Depth=1
	s_or_b32 exec_lo, exec_lo, s18
	v_add_nc_u64_e32 v[10:11], s[10:11], v[10:11]
	v_bfi_b32 v4, 0x7fffffff, v13, v4
	v_bfi_b32 v3, 0x7fffffff, v12, v3
	v_add_nc_u64_e32 v[12:13], s[8:9], v[8:9]
	v_add_nc_u64_e32 v[8:9], s[12:13], v[8:9]
	v_bfi_b32 v2, 0x7fffffff, v1, v2
	v_bfi_b32 v5, 0x7fffffff, v14, v5
	v_lshlrev_b64_e32 v[16:17], 2, v[10:11]
	global_store_b128 v[12:13], v[2:5], off
	v_cmp_ge_i64_e32 vcc_lo, v[16:17], v[6:7]
	s_or_b32 s17, vcc_lo, s17
	s_wait_xcnt 0x0
	s_and_not1_b32 exec_lo, exec_lo, s17
	s_cbranch_execz .LBB238_20
.LBB238_4:                              ; =>This Inner Loop Header: Depth=1
	v_add_nc_u64_e32 v[2:3], s[2:3], v[8:9]
                                        ; implicit-def: $vgpr1
	global_load_b128 v[2:5], v[2:3], off
	s_wait_loadcnt 0x0
	v_cmp_nlt_f32_e64 s18, |v2|, 1.0
	s_wait_xcnt 0x0
	s_and_saveexec_b32 s19, s18
	s_delay_alu instid0(SALU_CYCLE_1)
	s_xor_b32 s18, exec_lo, s19
	s_cbranch_execz .LBB238_6
; %bb.5:                                ;   in Loop: Header=BB238_4 Depth=1
	v_fma_f32 v1, |v2|, s15, 0xb9c68948
	s_delay_alu instid0(VALU_DEP_1) | instskip(NEXT) | instid1(VALU_DEP_1)
	v_fma_f32 v1, |v2|, v1, 0x3b7cd369
	v_fma_f32 v1, |v2|, v1, 0xbcc618b2
	s_delay_alu instid0(VALU_DEP_1) | instskip(NEXT) | instid1(VALU_DEP_1)
	v_fma_f32 v1, |v2|, v1, 0x3dda74e4
	;; [unrolled: 3-line block ×3, first 2 shown]
	v_fma_f32 v1, |v2|, v1, |v2|
	s_delay_alu instid0(VALU_DEP_1) | instskip(SKIP_1) | instid1(VALU_DEP_2)
	v_mul_f32_e32 v12, 0xbfb8aa3b, v1
	v_cmp_nlt_f32_e32 vcc_lo, 0x42ce8ed0, v1
	v_fma_f32 v13, 0xbfb8aa3b, v1, -v12
	v_rndne_f32_e32 v14, v12
	s_delay_alu instid0(VALU_DEP_1) | instskip(NEXT) | instid1(VALU_DEP_1)
	v_dual_fmac_f32 v13, 0xb2a5705f, v1 :: v_dual_sub_f32 v12, v12, v14
	v_add_f32_e32 v12, v12, v13
	v_cvt_i32_f32_e32 v13, v14
	s_delay_alu instid0(VALU_DEP_2) | instskip(SKIP_1) | instid1(TRANS32_DEP_1)
	v_exp_f32_e32 v12, v12
	v_nop
	v_ldexp_f32 v12, v12, v13
	s_delay_alu instid0(VALU_DEP_1) | instskip(SKIP_1) | instid1(VALU_DEP_2)
	v_cndmask_b32_e32 v12, 0, v12, vcc_lo
	v_cmp_ngt_f32_e32 vcc_lo, 0xc2b17218, v1
	v_cndmask_b32_e32 v1, 0x7f800000, v12, vcc_lo
	s_delay_alu instid0(VALU_DEP_1)
	v_sub_f32_e32 v1, 1.0, v1
.LBB238_6:                              ;   in Loop: Header=BB238_4 Depth=1
	s_and_not1_saveexec_b32 s18, s18
	s_cbranch_execz .LBB238_8
; %bb.7:                                ;   in Loop: Header=BB238_4 Depth=1
	v_mul_f32_e32 v1, v2, v2
	s_delay_alu instid0(VALU_DEP_1) | instskip(NEXT) | instid1(VALU_DEP_1)
	v_fmaak_f32 v12, s16, v1, 0x3ba10414
	v_fmaak_f32 v12, v1, v12, 0xbcdac9b8
	s_delay_alu instid0(VALU_DEP_1) | instskip(NEXT) | instid1(VALU_DEP_1)
	v_fmaak_f32 v12, v1, v12, 0x3de703be
	v_fmaak_f32 v12, v1, v12, 0xbec09330
	s_delay_alu instid0(VALU_DEP_1) | instskip(NEXT) | instid1(VALU_DEP_1)
	v_fmaak_f32 v1, v1, v12, 0x3e0375d0
	v_fma_f32 v1, |v2|, v1, |v2|
.LBB238_8:                              ;   in Loop: Header=BB238_4 Depth=1
	s_or_b32 exec_lo, exec_lo, s18
	v_cmp_nlt_f32_e64 s18, |v3|, 1.0
                                        ; implicit-def: $vgpr12
	s_and_saveexec_b32 s19, s18
	s_delay_alu instid0(SALU_CYCLE_1)
	s_xor_b32 s18, exec_lo, s19
	s_cbranch_execz .LBB238_10
; %bb.9:                                ;   in Loop: Header=BB238_4 Depth=1
	v_fma_f32 v12, |v3|, s15, 0xb9c68948
	s_delay_alu instid0(VALU_DEP_1) | instskip(NEXT) | instid1(VALU_DEP_1)
	v_fma_f32 v12, |v3|, v12, 0x3b7cd369
	v_fma_f32 v12, |v3|, v12, 0xbcc618b2
	s_delay_alu instid0(VALU_DEP_1) | instskip(NEXT) | instid1(VALU_DEP_1)
	v_fma_f32 v12, |v3|, v12, 0x3dda74e4
	v_fma_f32 v12, |v3|, v12, 0x3f228afd
	s_delay_alu instid0(VALU_DEP_1) | instskip(NEXT) | instid1(VALU_DEP_1)
	v_fma_f32 v12, |v3|, v12, 0x3e03c728
	v_fma_f32 v12, |v3|, v12, |v3|
	s_delay_alu instid0(VALU_DEP_1) | instskip(SKIP_1) | instid1(VALU_DEP_2)
	v_mul_f32_e32 v13, 0xbfb8aa3b, v12
	v_cmp_nlt_f32_e32 vcc_lo, 0x42ce8ed0, v12
	v_fma_f32 v14, 0xbfb8aa3b, v12, -v13
	v_rndne_f32_e32 v15, v13
	s_delay_alu instid0(VALU_DEP_1) | instskip(NEXT) | instid1(VALU_DEP_1)
	v_dual_fmac_f32 v14, 0xb2a5705f, v12 :: v_dual_sub_f32 v13, v13, v15
	v_add_f32_e32 v13, v13, v14
	v_cvt_i32_f32_e32 v14, v15
	s_delay_alu instid0(VALU_DEP_2) | instskip(SKIP_1) | instid1(TRANS32_DEP_1)
	v_exp_f32_e32 v13, v13
	v_nop
	v_ldexp_f32 v13, v13, v14
	s_delay_alu instid0(VALU_DEP_1) | instskip(SKIP_1) | instid1(VALU_DEP_2)
	v_cndmask_b32_e32 v13, 0, v13, vcc_lo
	v_cmp_ngt_f32_e32 vcc_lo, 0xc2b17218, v12
	v_cndmask_b32_e32 v12, 0x7f800000, v13, vcc_lo
	s_delay_alu instid0(VALU_DEP_1)
	v_sub_f32_e32 v12, 1.0, v12
.LBB238_10:                             ;   in Loop: Header=BB238_4 Depth=1
	s_and_not1_saveexec_b32 s18, s18
	s_cbranch_execz .LBB238_12
; %bb.11:                               ;   in Loop: Header=BB238_4 Depth=1
	v_mul_f32_e32 v12, v3, v3
	s_delay_alu instid0(VALU_DEP_1) | instskip(NEXT) | instid1(VALU_DEP_1)
	v_fmaak_f32 v13, s16, v12, 0x3ba10414
	v_fmaak_f32 v13, v12, v13, 0xbcdac9b8
	s_delay_alu instid0(VALU_DEP_1) | instskip(NEXT) | instid1(VALU_DEP_1)
	v_fmaak_f32 v13, v12, v13, 0x3de703be
	v_fmaak_f32 v13, v12, v13, 0xbec09330
	s_delay_alu instid0(VALU_DEP_1) | instskip(NEXT) | instid1(VALU_DEP_1)
	v_fmaak_f32 v12, v12, v13, 0x3e0375d0
	v_fma_f32 v12, |v3|, v12, |v3|
.LBB238_12:                             ;   in Loop: Header=BB238_4 Depth=1
	s_or_b32 exec_lo, exec_lo, s18
	v_cmp_nlt_f32_e64 s18, |v4|, 1.0
                                        ; implicit-def: $vgpr13
	s_and_saveexec_b32 s19, s18
	s_delay_alu instid0(SALU_CYCLE_1)
	s_xor_b32 s18, exec_lo, s19
	s_cbranch_execz .LBB238_14
; %bb.13:                               ;   in Loop: Header=BB238_4 Depth=1
	v_fma_f32 v13, |v4|, s15, 0xb9c68948
	s_delay_alu instid0(VALU_DEP_1) | instskip(NEXT) | instid1(VALU_DEP_1)
	v_fma_f32 v13, |v4|, v13, 0x3b7cd369
	v_fma_f32 v13, |v4|, v13, 0xbcc618b2
	s_delay_alu instid0(VALU_DEP_1) | instskip(NEXT) | instid1(VALU_DEP_1)
	v_fma_f32 v13, |v4|, v13, 0x3dda74e4
	;; [unrolled: 3-line block ×3, first 2 shown]
	v_fma_f32 v13, |v4|, v13, |v4|
	s_delay_alu instid0(VALU_DEP_1) | instskip(SKIP_1) | instid1(VALU_DEP_2)
	v_mul_f32_e32 v14, 0xbfb8aa3b, v13
	v_cmp_nlt_f32_e32 vcc_lo, 0x42ce8ed0, v13
	v_fma_f32 v15, 0xbfb8aa3b, v13, -v14
	v_rndne_f32_e32 v16, v14
	s_delay_alu instid0(VALU_DEP_1) | instskip(NEXT) | instid1(VALU_DEP_1)
	v_dual_fmac_f32 v15, 0xb2a5705f, v13 :: v_dual_sub_f32 v14, v14, v16
	v_add_f32_e32 v14, v14, v15
	v_cvt_i32_f32_e32 v15, v16
	s_delay_alu instid0(VALU_DEP_2) | instskip(SKIP_1) | instid1(TRANS32_DEP_1)
	v_exp_f32_e32 v14, v14
	v_nop
	v_ldexp_f32 v14, v14, v15
	s_delay_alu instid0(VALU_DEP_1) | instskip(SKIP_1) | instid1(VALU_DEP_2)
	v_cndmask_b32_e32 v14, 0, v14, vcc_lo
	v_cmp_ngt_f32_e32 vcc_lo, 0xc2b17218, v13
	v_cndmask_b32_e32 v13, 0x7f800000, v14, vcc_lo
	s_delay_alu instid0(VALU_DEP_1)
	v_sub_f32_e32 v13, 1.0, v13
.LBB238_14:                             ;   in Loop: Header=BB238_4 Depth=1
	s_and_not1_saveexec_b32 s18, s18
	s_cbranch_execz .LBB238_16
; %bb.15:                               ;   in Loop: Header=BB238_4 Depth=1
	v_mul_f32_e32 v13, v4, v4
	s_delay_alu instid0(VALU_DEP_1) | instskip(NEXT) | instid1(VALU_DEP_1)
	v_fmaak_f32 v14, s16, v13, 0x3ba10414
	v_fmaak_f32 v14, v13, v14, 0xbcdac9b8
	s_delay_alu instid0(VALU_DEP_1) | instskip(NEXT) | instid1(VALU_DEP_1)
	v_fmaak_f32 v14, v13, v14, 0x3de703be
	v_fmaak_f32 v14, v13, v14, 0xbec09330
	s_delay_alu instid0(VALU_DEP_1) | instskip(NEXT) | instid1(VALU_DEP_1)
	v_fmaak_f32 v13, v13, v14, 0x3e0375d0
	v_fma_f32 v13, |v4|, v13, |v4|
.LBB238_16:                             ;   in Loop: Header=BB238_4 Depth=1
	s_or_b32 exec_lo, exec_lo, s18
	v_cmp_nlt_f32_e64 s18, |v5|, 1.0
                                        ; implicit-def: $vgpr14
	s_and_saveexec_b32 s19, s18
	s_delay_alu instid0(SALU_CYCLE_1)
	s_xor_b32 s18, exec_lo, s19
	s_cbranch_execz .LBB238_18
; %bb.17:                               ;   in Loop: Header=BB238_4 Depth=1
	v_fma_f32 v14, |v5|, s15, 0xb9c68948
	s_delay_alu instid0(VALU_DEP_1) | instskip(NEXT) | instid1(VALU_DEP_1)
	v_fma_f32 v14, |v5|, v14, 0x3b7cd369
	v_fma_f32 v14, |v5|, v14, 0xbcc618b2
	s_delay_alu instid0(VALU_DEP_1) | instskip(NEXT) | instid1(VALU_DEP_1)
	v_fma_f32 v14, |v5|, v14, 0x3dda74e4
	;; [unrolled: 3-line block ×3, first 2 shown]
	v_fma_f32 v14, |v5|, v14, |v5|
	s_delay_alu instid0(VALU_DEP_1) | instskip(SKIP_1) | instid1(VALU_DEP_2)
	v_mul_f32_e32 v15, 0xbfb8aa3b, v14
	v_cmp_nlt_f32_e32 vcc_lo, 0x42ce8ed0, v14
	v_fma_f32 v16, 0xbfb8aa3b, v14, -v15
	v_rndne_f32_e32 v17, v15
	s_delay_alu instid0(VALU_DEP_1) | instskip(NEXT) | instid1(VALU_DEP_1)
	v_dual_fmac_f32 v16, 0xb2a5705f, v14 :: v_dual_sub_f32 v15, v15, v17
	v_add_f32_e32 v15, v15, v16
	v_cvt_i32_f32_e32 v16, v17
	s_delay_alu instid0(VALU_DEP_2) | instskip(SKIP_1) | instid1(TRANS32_DEP_1)
	v_exp_f32_e32 v15, v15
	v_nop
	v_ldexp_f32 v15, v15, v16
	s_delay_alu instid0(VALU_DEP_1) | instskip(SKIP_1) | instid1(VALU_DEP_2)
	v_cndmask_b32_e32 v15, 0, v15, vcc_lo
	v_cmp_ngt_f32_e32 vcc_lo, 0xc2b17218, v14
	v_cndmask_b32_e32 v14, 0x7f800000, v15, vcc_lo
	s_delay_alu instid0(VALU_DEP_1)
	v_sub_f32_e32 v14, 1.0, v14
.LBB238_18:                             ;   in Loop: Header=BB238_4 Depth=1
	s_and_not1_saveexec_b32 s18, s18
	s_cbranch_execz .LBB238_3
; %bb.19:                               ;   in Loop: Header=BB238_4 Depth=1
	v_mul_f32_e32 v14, v5, v5
	s_delay_alu instid0(VALU_DEP_1) | instskip(NEXT) | instid1(VALU_DEP_1)
	v_fmaak_f32 v15, s16, v14, 0x3ba10414
	v_fmaak_f32 v15, v14, v15, 0xbcdac9b8
	s_delay_alu instid0(VALU_DEP_1) | instskip(NEXT) | instid1(VALU_DEP_1)
	v_fmaak_f32 v15, v14, v15, 0x3de703be
	v_fmaak_f32 v15, v14, v15, 0xbec09330
	s_delay_alu instid0(VALU_DEP_1) | instskip(NEXT) | instid1(VALU_DEP_1)
	v_fmaak_f32 v14, v14, v15, 0x3e0375d0
	v_fma_f32 v14, |v5|, v14, |v5|
	s_branch .LBB238_3
.LBB238_20:
	s_or_b32 exec_lo, exec_lo, s14
	s_mov_b32 s10, 0
.LBB238_21:
	s_delay_alu instid0(SALU_CYCLE_1)
	s_and_not1_b32 vcc_lo, exec_lo, s10
	s_cbranch_vccnz .LBB238_57
; %bb.22:
	v_cmp_lt_i64_e64 s10, s[6:7], 1
	s_and_b32 vcc_lo, exec_lo, s10
	s_cbranch_vccnz .LBB238_57
; %bb.23:
	s_load_b32 s0, s[0:1], 0xc5c
	v_min_i64 v[2:3], 0x10000, s[6:7]
	v_min_u64 v[4:5], 0x10000, s[6:7]
	v_dual_mov_b32 v1, 0 :: v_dual_lshlrev_b32 v12, 2, v0
	s_wait_xcnt 0x0
	s_mov_b32 s1, 0
	s_delay_alu instid0(SALU_CYCLE_1) | instskip(NEXT) | instid1(VALU_DEP_1)
	s_mov_b32 s15, s1
	v_dual_mov_b32 v13, v1 :: v_dual_mov_b32 v27, v1
	s_mov_b32 s11, s1
	s_mov_b32 s13, s1
	s_mov_b32 s7, s1
	s_delay_alu instid0(VALU_DEP_1) | instskip(SKIP_3) | instid1(SALU_CYCLE_1)
	v_add_nc_u64_e32 v[6:7], s[2:3], v[12:13]
	v_add_nc_u64_e32 v[8:9], s[8:9], v[12:13]
	s_wait_kmcnt 0x0
	s_and_b32 s0, s0, 0xffff
	v_add_nc_u64_e32 v[10:11], s[0:1], v[0:1]
	v_mad_nc_u64_u32 v[22:23], s0, 12, v[12:13]
	s_lshl_b32 s14, s0, 3
	s_lshl_b32 s10, s0, 1
	v_add_nc_u64_e32 v[18:19], s[14:15], v[12:13]
	s_mul_i32 s12, s0, 3
	v_add_nc_u64_e32 v[14:15], s[10:11], v[0:1]
	v_lshlrev_b32_e32 v26, 2, v10
	v_add_nc_u64_e32 v[12:13], s[12:13], v[0:1]
	s_lshl_b32 s6, s0, 2
	s_mov_b64 s[10:11], 0
	v_add_nc_u64_e32 v[16:17], s[2:3], v[18:19]
	v_add_nc_u64_e32 v[18:19], s[8:9], v[18:19]
	;; [unrolled: 1-line block ×6, first 2 shown]
	s_lshl_b32 s8, s0, 4
	s_mov_b32 s9, s1
	s_mov_b32 s12, 0x378e98ab
	;; [unrolled: 1-line block ×3, first 2 shown]
	s_branch .LBB238_25
.LBB238_24:                             ;   in Loop: Header=BB238_25 Depth=1
	s_wait_xcnt 0x0
	s_or_b32 exec_lo, exec_lo, s0
	s_add_nc_u64 s[10:11], s[10:11], s[6:7]
	v_add_nc_u64_e32 v[6:7], s[8:9], v[6:7]
	v_cmp_ge_i64_e32 vcc_lo, s[10:11], v[2:3]
	v_add_nc_u64_e32 v[8:9], s[8:9], v[8:9]
	v_add_nc_u64_e32 v[20:21], s[8:9], v[20:21]
	;; [unrolled: 1-line block ×7, first 2 shown]
	s_cbranch_vccnz .LBB238_57
.LBB238_25:                             ; =>This Inner Loop Header: Depth=1
	v_add_nc_u64_e32 v[28:29], s[10:11], v[0:1]
	s_delay_alu instid0(VALU_DEP_1)
	v_cmp_lt_u64_e32 vcc_lo, v[28:29], v[4:5]
	v_mov_b32_e32 v29, 0
	s_and_saveexec_b32 s0, vcc_lo
	s_cbranch_execz .LBB238_27
; %bb.26:                               ;   in Loop: Header=BB238_25 Depth=1
	v_add_nc_u64_e32 v[28:29], s[4:5], v[6:7]
	global_load_b32 v29, v[28:29], off
.LBB238_27:                             ;   in Loop: Header=BB238_25 Depth=1
	s_wait_xcnt 0x0
	s_or_b32 exec_lo, exec_lo, s0
	v_add_nc_u64_e32 v[30:31], s[10:11], v[10:11]
	v_mov_b32_e32 v28, 0
	s_delay_alu instid0(VALU_DEP_2)
	v_cmp_lt_u64_e64 s0, v[30:31], v[4:5]
	v_mov_b32_e32 v30, 0
	s_and_saveexec_b32 s1, s0
	s_cbranch_execz .LBB238_29
; %bb.28:                               ;   in Loop: Header=BB238_25 Depth=1
	v_add_nc_u64_e32 v[30:31], s[4:5], v[24:25]
	global_load_b32 v30, v[30:31], off
.LBB238_29:                             ;   in Loop: Header=BB238_25 Depth=1
	s_wait_xcnt 0x0
	s_or_b32 exec_lo, exec_lo, s1
	v_add_nc_u64_e32 v[32:33], s[10:11], v[14:15]
	s_delay_alu instid0(VALU_DEP_1)
	v_cmp_lt_u64_e64 s1, v[32:33], v[4:5]
	s_and_saveexec_b32 s2, s1
	s_cbranch_execz .LBB238_31
; %bb.30:                               ;   in Loop: Header=BB238_25 Depth=1
	v_add_nc_u64_e32 v[32:33], s[4:5], v[16:17]
	global_load_b32 v28, v[32:33], off
.LBB238_31:                             ;   in Loop: Header=BB238_25 Depth=1
	s_wait_xcnt 0x0
	s_or_b32 exec_lo, exec_lo, s2
	v_add_nc_u64_e32 v[32:33], s[10:11], v[12:13]
	v_mov_b32_e32 v31, 0
	s_delay_alu instid0(VALU_DEP_2)
	v_cmp_lt_u64_e64 s2, v[32:33], v[4:5]
	s_and_saveexec_b32 s3, s2
	s_cbranch_execz .LBB238_33
; %bb.32:                               ;   in Loop: Header=BB238_25 Depth=1
	v_add_nc_u64_e32 v[32:33], s[4:5], v[20:21]
	global_load_b32 v31, v[32:33], off
.LBB238_33:                             ;   in Loop: Header=BB238_25 Depth=1
	s_wait_xcnt 0x0
	s_or_b32 exec_lo, exec_lo, s3
	s_delay_alu instid0(SALU_CYCLE_1)
	s_mov_b32 s14, exec_lo
                                        ; implicit-def: $vgpr32
	s_wait_loadcnt 0x0
	v_cmpx_nlt_f32_e64 |v29|, 1.0
	s_xor_b32 s14, exec_lo, s14
	s_cbranch_execz .LBB238_35
; %bb.34:                               ;   in Loop: Header=BB238_25 Depth=1
	v_fma_f32 v32, |v29|, s12, 0xb9c68948
	s_delay_alu instid0(VALU_DEP_1) | instskip(NEXT) | instid1(VALU_DEP_1)
	v_fma_f32 v32, |v29|, v32, 0x3b7cd369
	v_fma_f32 v32, |v29|, v32, 0xbcc618b2
	s_delay_alu instid0(VALU_DEP_1) | instskip(NEXT) | instid1(VALU_DEP_1)
	v_fma_f32 v32, |v29|, v32, 0x3dda74e4
	;; [unrolled: 3-line block ×3, first 2 shown]
	v_fma_f32 v32, |v29|, v32, |v29|
	s_delay_alu instid0(VALU_DEP_1) | instskip(SKIP_1) | instid1(VALU_DEP_2)
	v_mul_f32_e32 v33, 0xbfb8aa3b, v32
	v_cmp_nlt_f32_e64 s3, 0x42ce8ed0, v32
	v_fma_f32 v34, 0xbfb8aa3b, v32, -v33
	v_rndne_f32_e32 v35, v33
	s_delay_alu instid0(VALU_DEP_1) | instskip(NEXT) | instid1(VALU_DEP_1)
	v_dual_fmac_f32 v34, 0xb2a5705f, v32 :: v_dual_sub_f32 v33, v33, v35
	v_add_f32_e32 v33, v33, v34
	v_cvt_i32_f32_e32 v34, v35
	s_delay_alu instid0(VALU_DEP_2) | instskip(SKIP_1) | instid1(TRANS32_DEP_1)
	v_exp_f32_e32 v33, v33
	v_nop
	v_ldexp_f32 v33, v33, v34
	s_delay_alu instid0(VALU_DEP_1) | instskip(SKIP_1) | instid1(VALU_DEP_1)
	v_cndmask_b32_e64 v33, 0, v33, s3
	v_cmp_ngt_f32_e64 s3, 0xc2b17218, v32
	v_cndmask_b32_e64 v32, 0x7f800000, v33, s3
	s_delay_alu instid0(VALU_DEP_1)
	v_sub_f32_e32 v32, 1.0, v32
.LBB238_35:                             ;   in Loop: Header=BB238_25 Depth=1
	s_and_not1_saveexec_b32 s3, s14
	s_cbranch_execz .LBB238_37
; %bb.36:                               ;   in Loop: Header=BB238_25 Depth=1
	v_mul_f32_e32 v32, v29, v29
	s_delay_alu instid0(VALU_DEP_1) | instskip(NEXT) | instid1(VALU_DEP_1)
	v_fmaak_f32 v33, s13, v32, 0x3ba10414
	v_fmaak_f32 v33, v32, v33, 0xbcdac9b8
	s_delay_alu instid0(VALU_DEP_1) | instskip(NEXT) | instid1(VALU_DEP_1)
	v_fmaak_f32 v33, v32, v33, 0x3de703be
	v_fmaak_f32 v33, v32, v33, 0xbec09330
	s_delay_alu instid0(VALU_DEP_1) | instskip(NEXT) | instid1(VALU_DEP_1)
	v_fmaak_f32 v32, v32, v33, 0x3e0375d0
	v_fma_f32 v32, |v29|, v32, |v29|
.LBB238_37:                             ;   in Loop: Header=BB238_25 Depth=1
	s_or_b32 exec_lo, exec_lo, s3
	s_delay_alu instid0(SALU_CYCLE_1)
	s_mov_b32 s14, exec_lo
                                        ; implicit-def: $vgpr33
	v_cmpx_nlt_f32_e64 |v30|, 1.0
	s_xor_b32 s14, exec_lo, s14
	s_cbranch_execz .LBB238_39
; %bb.38:                               ;   in Loop: Header=BB238_25 Depth=1
	v_fma_f32 v33, |v30|, s12, 0xb9c68948
	s_delay_alu instid0(VALU_DEP_1) | instskip(NEXT) | instid1(VALU_DEP_1)
	v_fma_f32 v33, |v30|, v33, 0x3b7cd369
	v_fma_f32 v33, |v30|, v33, 0xbcc618b2
	s_delay_alu instid0(VALU_DEP_1) | instskip(NEXT) | instid1(VALU_DEP_1)
	v_fma_f32 v33, |v30|, v33, 0x3dda74e4
	;; [unrolled: 3-line block ×3, first 2 shown]
	v_fma_f32 v33, |v30|, v33, |v30|
	s_delay_alu instid0(VALU_DEP_1) | instskip(SKIP_1) | instid1(VALU_DEP_2)
	v_mul_f32_e32 v34, 0xbfb8aa3b, v33
	v_cmp_nlt_f32_e64 s3, 0x42ce8ed0, v33
	v_fma_f32 v35, 0xbfb8aa3b, v33, -v34
	v_rndne_f32_e32 v36, v34
	s_delay_alu instid0(VALU_DEP_1) | instskip(NEXT) | instid1(VALU_DEP_1)
	v_dual_fmac_f32 v35, 0xb2a5705f, v33 :: v_dual_sub_f32 v34, v34, v36
	v_add_f32_e32 v34, v34, v35
	v_cvt_i32_f32_e32 v35, v36
	s_delay_alu instid0(VALU_DEP_2) | instskip(SKIP_1) | instid1(TRANS32_DEP_1)
	v_exp_f32_e32 v34, v34
	v_nop
	v_ldexp_f32 v34, v34, v35
	s_delay_alu instid0(VALU_DEP_1) | instskip(SKIP_1) | instid1(VALU_DEP_1)
	v_cndmask_b32_e64 v34, 0, v34, s3
	v_cmp_ngt_f32_e64 s3, 0xc2b17218, v33
	v_cndmask_b32_e64 v33, 0x7f800000, v34, s3
	s_delay_alu instid0(VALU_DEP_1)
	v_sub_f32_e32 v33, 1.0, v33
.LBB238_39:                             ;   in Loop: Header=BB238_25 Depth=1
	s_and_not1_saveexec_b32 s3, s14
	s_cbranch_execz .LBB238_41
; %bb.40:                               ;   in Loop: Header=BB238_25 Depth=1
	v_mul_f32_e32 v33, v30, v30
	s_delay_alu instid0(VALU_DEP_1) | instskip(NEXT) | instid1(VALU_DEP_1)
	v_fmaak_f32 v34, s13, v33, 0x3ba10414
	v_fmaak_f32 v34, v33, v34, 0xbcdac9b8
	s_delay_alu instid0(VALU_DEP_1) | instskip(NEXT) | instid1(VALU_DEP_1)
	v_fmaak_f32 v34, v33, v34, 0x3de703be
	v_fmaak_f32 v34, v33, v34, 0xbec09330
	s_delay_alu instid0(VALU_DEP_1) | instskip(NEXT) | instid1(VALU_DEP_1)
	v_fmaak_f32 v33, v33, v34, 0x3e0375d0
	v_fma_f32 v33, |v30|, v33, |v30|
.LBB238_41:                             ;   in Loop: Header=BB238_25 Depth=1
	s_or_b32 exec_lo, exec_lo, s3
	s_delay_alu instid0(SALU_CYCLE_1)
	s_mov_b32 s14, exec_lo
                                        ; implicit-def: $vgpr34
	v_cmpx_nlt_f32_e64 |v28|, 1.0
	s_xor_b32 s14, exec_lo, s14
	s_cbranch_execz .LBB238_43
; %bb.42:                               ;   in Loop: Header=BB238_25 Depth=1
	v_fma_f32 v34, |v28|, s12, 0xb9c68948
	s_delay_alu instid0(VALU_DEP_1) | instskip(NEXT) | instid1(VALU_DEP_1)
	v_fma_f32 v34, |v28|, v34, 0x3b7cd369
	v_fma_f32 v34, |v28|, v34, 0xbcc618b2
	s_delay_alu instid0(VALU_DEP_1) | instskip(NEXT) | instid1(VALU_DEP_1)
	v_fma_f32 v34, |v28|, v34, 0x3dda74e4
	;; [unrolled: 3-line block ×3, first 2 shown]
	v_fma_f32 v34, |v28|, v34, |v28|
	s_delay_alu instid0(VALU_DEP_1) | instskip(SKIP_1) | instid1(VALU_DEP_2)
	v_mul_f32_e32 v35, 0xbfb8aa3b, v34
	v_cmp_nlt_f32_e64 s3, 0x42ce8ed0, v34
	v_fma_f32 v36, 0xbfb8aa3b, v34, -v35
	v_rndne_f32_e32 v37, v35
	s_delay_alu instid0(VALU_DEP_1) | instskip(NEXT) | instid1(VALU_DEP_1)
	v_dual_fmac_f32 v36, 0xb2a5705f, v34 :: v_dual_sub_f32 v35, v35, v37
	v_add_f32_e32 v35, v35, v36
	v_cvt_i32_f32_e32 v36, v37
	s_delay_alu instid0(VALU_DEP_2) | instskip(SKIP_1) | instid1(TRANS32_DEP_1)
	v_exp_f32_e32 v35, v35
	v_nop
	v_ldexp_f32 v35, v35, v36
	s_delay_alu instid0(VALU_DEP_1) | instskip(SKIP_1) | instid1(VALU_DEP_1)
	v_cndmask_b32_e64 v35, 0, v35, s3
	v_cmp_ngt_f32_e64 s3, 0xc2b17218, v34
	v_cndmask_b32_e64 v34, 0x7f800000, v35, s3
	s_delay_alu instid0(VALU_DEP_1)
	v_sub_f32_e32 v34, 1.0, v34
.LBB238_43:                             ;   in Loop: Header=BB238_25 Depth=1
	s_and_not1_saveexec_b32 s3, s14
	s_cbranch_execz .LBB238_45
; %bb.44:                               ;   in Loop: Header=BB238_25 Depth=1
	v_mul_f32_e32 v34, v28, v28
	s_delay_alu instid0(VALU_DEP_1) | instskip(NEXT) | instid1(VALU_DEP_1)
	v_fmaak_f32 v35, s13, v34, 0x3ba10414
	v_fmaak_f32 v35, v34, v35, 0xbcdac9b8
	s_delay_alu instid0(VALU_DEP_1) | instskip(NEXT) | instid1(VALU_DEP_1)
	v_fmaak_f32 v35, v34, v35, 0x3de703be
	v_fmaak_f32 v35, v34, v35, 0xbec09330
	s_delay_alu instid0(VALU_DEP_1) | instskip(NEXT) | instid1(VALU_DEP_1)
	v_fmaak_f32 v34, v34, v35, 0x3e0375d0
	v_fma_f32 v34, |v28|, v34, |v28|
.LBB238_45:                             ;   in Loop: Header=BB238_25 Depth=1
	s_or_b32 exec_lo, exec_lo, s3
	s_delay_alu instid0(SALU_CYCLE_1)
	s_mov_b32 s14, exec_lo
                                        ; implicit-def: $vgpr35
	v_cmpx_nlt_f32_e64 |v31|, 1.0
	s_xor_b32 s14, exec_lo, s14
	s_cbranch_execnz .LBB238_51
; %bb.46:                               ;   in Loop: Header=BB238_25 Depth=1
	s_and_not1_saveexec_b32 s3, s14
	s_cbranch_execnz .LBB238_52
.LBB238_47:                             ;   in Loop: Header=BB238_25 Depth=1
	s_or_b32 exec_lo, exec_lo, s3
	s_and_saveexec_b32 s3, vcc_lo
	s_delay_alu instid0(SALU_CYCLE_1)
	s_xor_b32 s3, exec_lo, s3
	s_cbranch_execnz .LBB238_53
.LBB238_48:                             ;   in Loop: Header=BB238_25 Depth=1
	s_or_b32 exec_lo, exec_lo, s3
	s_and_saveexec_b32 s3, s0
	s_cbranch_execnz .LBB238_54
.LBB238_49:                             ;   in Loop: Header=BB238_25 Depth=1
	s_or_b32 exec_lo, exec_lo, s3
	s_and_saveexec_b32 s0, s1
	s_cbranch_execnz .LBB238_55
.LBB238_50:                             ;   in Loop: Header=BB238_25 Depth=1
	s_or_b32 exec_lo, exec_lo, s0
	s_and_saveexec_b32 s0, s2
	s_cbranch_execz .LBB238_24
	s_branch .LBB238_56
.LBB238_51:                             ;   in Loop: Header=BB238_25 Depth=1
	v_fma_f32 v35, |v31|, s12, 0xb9c68948
	s_delay_alu instid0(VALU_DEP_1) | instskip(NEXT) | instid1(VALU_DEP_1)
	v_fma_f32 v35, |v31|, v35, 0x3b7cd369
	v_fma_f32 v35, |v31|, v35, 0xbcc618b2
	s_delay_alu instid0(VALU_DEP_1) | instskip(NEXT) | instid1(VALU_DEP_1)
	v_fma_f32 v35, |v31|, v35, 0x3dda74e4
	;; [unrolled: 3-line block ×3, first 2 shown]
	v_fma_f32 v35, |v31|, v35, |v31|
	s_delay_alu instid0(VALU_DEP_1) | instskip(SKIP_1) | instid1(VALU_DEP_2)
	v_mul_f32_e32 v36, 0xbfb8aa3b, v35
	v_cmp_nlt_f32_e64 s3, 0x42ce8ed0, v35
	v_fma_f32 v37, 0xbfb8aa3b, v35, -v36
	v_rndne_f32_e32 v38, v36
	s_delay_alu instid0(VALU_DEP_1) | instskip(NEXT) | instid1(VALU_DEP_1)
	v_dual_fmac_f32 v37, 0xb2a5705f, v35 :: v_dual_sub_f32 v36, v36, v38
	v_add_f32_e32 v36, v36, v37
	v_cvt_i32_f32_e32 v37, v38
	s_delay_alu instid0(VALU_DEP_2) | instskip(SKIP_1) | instid1(TRANS32_DEP_1)
	v_exp_f32_e32 v36, v36
	v_nop
	v_ldexp_f32 v36, v36, v37
	s_delay_alu instid0(VALU_DEP_1) | instskip(SKIP_1) | instid1(VALU_DEP_1)
	v_cndmask_b32_e64 v36, 0, v36, s3
	v_cmp_ngt_f32_e64 s3, 0xc2b17218, v35
	v_cndmask_b32_e64 v35, 0x7f800000, v36, s3
	s_delay_alu instid0(VALU_DEP_1)
	v_sub_f32_e32 v35, 1.0, v35
	s_and_not1_saveexec_b32 s3, s14
	s_cbranch_execz .LBB238_47
.LBB238_52:                             ;   in Loop: Header=BB238_25 Depth=1
	v_mul_f32_e32 v35, v31, v31
	s_delay_alu instid0(VALU_DEP_1) | instskip(NEXT) | instid1(VALU_DEP_1)
	v_fmaak_f32 v36, s13, v35, 0x3ba10414
	v_fmaak_f32 v36, v35, v36, 0xbcdac9b8
	s_delay_alu instid0(VALU_DEP_1) | instskip(NEXT) | instid1(VALU_DEP_1)
	v_fmaak_f32 v36, v35, v36, 0x3de703be
	v_fmaak_f32 v36, v35, v36, 0xbec09330
	s_delay_alu instid0(VALU_DEP_1) | instskip(NEXT) | instid1(VALU_DEP_1)
	v_fmaak_f32 v35, v35, v36, 0x3e0375d0
	v_fma_f32 v35, |v31|, v35, |v31|
	s_or_b32 exec_lo, exec_lo, s3
	s_and_saveexec_b32 s3, vcc_lo
	s_delay_alu instid0(SALU_CYCLE_1)
	s_xor_b32 s3, exec_lo, s3
	s_cbranch_execz .LBB238_48
.LBB238_53:                             ;   in Loop: Header=BB238_25 Depth=1
	v_add_nc_u64_e32 v[36:37], s[4:5], v[8:9]
	v_bfi_b32 v29, 0x7fffffff, v32, v29
	global_store_b32 v[36:37], v29, off
	s_wait_xcnt 0x0
	s_or_b32 exec_lo, exec_lo, s3
	s_and_saveexec_b32 s3, s0
	s_cbranch_execz .LBB238_49
.LBB238_54:                             ;   in Loop: Header=BB238_25 Depth=1
	v_add_nc_u64_e32 v[36:37], s[4:5], v[26:27]
	v_bfi_b32 v29, 0x7fffffff, v33, v30
	global_store_b32 v[36:37], v29, off
	s_wait_xcnt 0x0
	s_or_b32 exec_lo, exec_lo, s3
	s_and_saveexec_b32 s0, s1
	s_cbranch_execz .LBB238_50
.LBB238_55:                             ;   in Loop: Header=BB238_25 Depth=1
	v_add_nc_u64_e32 v[32:33], s[4:5], v[18:19]
	v_bfi_b32 v28, 0x7fffffff, v34, v28
	global_store_b32 v[32:33], v28, off
	s_wait_xcnt 0x0
	s_or_b32 exec_lo, exec_lo, s0
	s_and_saveexec_b32 s0, s2
	s_cbranch_execz .LBB238_24
.LBB238_56:                             ;   in Loop: Header=BB238_25 Depth=1
	v_add_nc_u64_e32 v[28:29], s[4:5], v[22:23]
	v_bfi_b32 v30, 0x7fffffff, v35, v31
	global_store_b32 v[28:29], v30, off
	s_branch .LBB238_24
.LBB238_57:
	s_endpgm
	.section	.rodata,"a",@progbits
	.p2align	6, 0x0
	.amdhsa_kernel _ZN2at6native12_GLOBAL__N_125multi_tensor_apply_kernelINS1_18TensorListMetadataILi2EEENS1_14UnaryOpFunctorIfLi2ELi1ELi1EEEJNS0_3ErfIfEEEEEvT_T0_DpT1_
		.amdhsa_group_segment_fixed_size 0
		.amdhsa_private_segment_fixed_size 0
		.amdhsa_kernarg_size 3408
		.amdhsa_user_sgpr_count 2
		.amdhsa_user_sgpr_dispatch_ptr 0
		.amdhsa_user_sgpr_queue_ptr 0
		.amdhsa_user_sgpr_kernarg_segment_ptr 1
		.amdhsa_user_sgpr_dispatch_id 0
		.amdhsa_user_sgpr_kernarg_preload_length 0
		.amdhsa_user_sgpr_kernarg_preload_offset 0
		.amdhsa_user_sgpr_private_segment_size 0
		.amdhsa_wavefront_size32 1
		.amdhsa_uses_dynamic_stack 0
		.amdhsa_enable_private_segment 0
		.amdhsa_system_sgpr_workgroup_id_x 1
		.amdhsa_system_sgpr_workgroup_id_y 0
		.amdhsa_system_sgpr_workgroup_id_z 0
		.amdhsa_system_sgpr_workgroup_info 0
		.amdhsa_system_vgpr_workitem_id 0
		.amdhsa_next_free_vgpr 39
		.amdhsa_next_free_sgpr 20
		.amdhsa_named_barrier_count 0
		.amdhsa_reserve_vcc 1
		.amdhsa_float_round_mode_32 0
		.amdhsa_float_round_mode_16_64 0
		.amdhsa_float_denorm_mode_32 3
		.amdhsa_float_denorm_mode_16_64 3
		.amdhsa_fp16_overflow 0
		.amdhsa_memory_ordered 1
		.amdhsa_forward_progress 1
		.amdhsa_inst_pref_size 29
		.amdhsa_round_robin_scheduling 0
		.amdhsa_exception_fp_ieee_invalid_op 0
		.amdhsa_exception_fp_denorm_src 0
		.amdhsa_exception_fp_ieee_div_zero 0
		.amdhsa_exception_fp_ieee_overflow 0
		.amdhsa_exception_fp_ieee_underflow 0
		.amdhsa_exception_fp_ieee_inexact 0
		.amdhsa_exception_int_div_zero 0
	.end_amdhsa_kernel
	.section	.text._ZN2at6native12_GLOBAL__N_125multi_tensor_apply_kernelINS1_18TensorListMetadataILi2EEENS1_14UnaryOpFunctorIfLi2ELi1ELi1EEEJNS0_3ErfIfEEEEEvT_T0_DpT1_,"axG",@progbits,_ZN2at6native12_GLOBAL__N_125multi_tensor_apply_kernelINS1_18TensorListMetadataILi2EEENS1_14UnaryOpFunctorIfLi2ELi1ELi1EEEJNS0_3ErfIfEEEEEvT_T0_DpT1_,comdat
.Lfunc_end238:
	.size	_ZN2at6native12_GLOBAL__N_125multi_tensor_apply_kernelINS1_18TensorListMetadataILi2EEENS1_14UnaryOpFunctorIfLi2ELi1ELi1EEEJNS0_3ErfIfEEEEEvT_T0_DpT1_, .Lfunc_end238-_ZN2at6native12_GLOBAL__N_125multi_tensor_apply_kernelINS1_18TensorListMetadataILi2EEENS1_14UnaryOpFunctorIfLi2ELi1ELi1EEEJNS0_3ErfIfEEEEEvT_T0_DpT1_
                                        ; -- End function
	.set _ZN2at6native12_GLOBAL__N_125multi_tensor_apply_kernelINS1_18TensorListMetadataILi2EEENS1_14UnaryOpFunctorIfLi2ELi1ELi1EEEJNS0_3ErfIfEEEEEvT_T0_DpT1_.num_vgpr, 39
	.set _ZN2at6native12_GLOBAL__N_125multi_tensor_apply_kernelINS1_18TensorListMetadataILi2EEENS1_14UnaryOpFunctorIfLi2ELi1ELi1EEEJNS0_3ErfIfEEEEEvT_T0_DpT1_.num_agpr, 0
	.set _ZN2at6native12_GLOBAL__N_125multi_tensor_apply_kernelINS1_18TensorListMetadataILi2EEENS1_14UnaryOpFunctorIfLi2ELi1ELi1EEEJNS0_3ErfIfEEEEEvT_T0_DpT1_.numbered_sgpr, 20
	.set _ZN2at6native12_GLOBAL__N_125multi_tensor_apply_kernelINS1_18TensorListMetadataILi2EEENS1_14UnaryOpFunctorIfLi2ELi1ELi1EEEJNS0_3ErfIfEEEEEvT_T0_DpT1_.num_named_barrier, 0
	.set _ZN2at6native12_GLOBAL__N_125multi_tensor_apply_kernelINS1_18TensorListMetadataILi2EEENS1_14UnaryOpFunctorIfLi2ELi1ELi1EEEJNS0_3ErfIfEEEEEvT_T0_DpT1_.private_seg_size, 0
	.set _ZN2at6native12_GLOBAL__N_125multi_tensor_apply_kernelINS1_18TensorListMetadataILi2EEENS1_14UnaryOpFunctorIfLi2ELi1ELi1EEEJNS0_3ErfIfEEEEEvT_T0_DpT1_.uses_vcc, 1
	.set _ZN2at6native12_GLOBAL__N_125multi_tensor_apply_kernelINS1_18TensorListMetadataILi2EEENS1_14UnaryOpFunctorIfLi2ELi1ELi1EEEJNS0_3ErfIfEEEEEvT_T0_DpT1_.uses_flat_scratch, 0
	.set _ZN2at6native12_GLOBAL__N_125multi_tensor_apply_kernelINS1_18TensorListMetadataILi2EEENS1_14UnaryOpFunctorIfLi2ELi1ELi1EEEJNS0_3ErfIfEEEEEvT_T0_DpT1_.has_dyn_sized_stack, 0
	.set _ZN2at6native12_GLOBAL__N_125multi_tensor_apply_kernelINS1_18TensorListMetadataILi2EEENS1_14UnaryOpFunctorIfLi2ELi1ELi1EEEJNS0_3ErfIfEEEEEvT_T0_DpT1_.has_recursion, 0
	.set _ZN2at6native12_GLOBAL__N_125multi_tensor_apply_kernelINS1_18TensorListMetadataILi2EEENS1_14UnaryOpFunctorIfLi2ELi1ELi1EEEJNS0_3ErfIfEEEEEvT_T0_DpT1_.has_indirect_call, 0
	.section	.AMDGPU.csdata,"",@progbits
; Kernel info:
; codeLenInByte = 3664
; TotalNumSgprs: 22
; NumVgprs: 39
; ScratchSize: 0
; MemoryBound: 0
; FloatMode: 240
; IeeeMode: 1
; LDSByteSize: 0 bytes/workgroup (compile time only)
; SGPRBlocks: 0
; VGPRBlocks: 2
; NumSGPRsForWavesPerEU: 22
; NumVGPRsForWavesPerEU: 39
; NamedBarCnt: 0
; Occupancy: 16
; WaveLimiterHint : 0
; COMPUTE_PGM_RSRC2:SCRATCH_EN: 0
; COMPUTE_PGM_RSRC2:USER_SGPR: 2
; COMPUTE_PGM_RSRC2:TRAP_HANDLER: 0
; COMPUTE_PGM_RSRC2:TGID_X_EN: 1
; COMPUTE_PGM_RSRC2:TGID_Y_EN: 0
; COMPUTE_PGM_RSRC2:TGID_Z_EN: 0
; COMPUTE_PGM_RSRC2:TIDIG_COMP_CNT: 0
	.section	.text._ZN2at6native12_GLOBAL__N_125multi_tensor_apply_kernelINS1_18TensorListMetadataILi2EEENS1_14UnaryOpFunctorIN3c104HalfELi2ELi1ELi1EEEJNS0_3ErfIfEEEEEvT_T0_DpT1_,"axG",@progbits,_ZN2at6native12_GLOBAL__N_125multi_tensor_apply_kernelINS1_18TensorListMetadataILi2EEENS1_14UnaryOpFunctorIN3c104HalfELi2ELi1ELi1EEEJNS0_3ErfIfEEEEEvT_T0_DpT1_,comdat
	.globl	_ZN2at6native12_GLOBAL__N_125multi_tensor_apply_kernelINS1_18TensorListMetadataILi2EEENS1_14UnaryOpFunctorIN3c104HalfELi2ELi1ELi1EEEJNS0_3ErfIfEEEEEvT_T0_DpT1_ ; -- Begin function _ZN2at6native12_GLOBAL__N_125multi_tensor_apply_kernelINS1_18TensorListMetadataILi2EEENS1_14UnaryOpFunctorIN3c104HalfELi2ELi1ELi1EEEJNS0_3ErfIfEEEEEvT_T0_DpT1_
	.p2align	8
	.type	_ZN2at6native12_GLOBAL__N_125multi_tensor_apply_kernelINS1_18TensorListMetadataILi2EEENS1_14UnaryOpFunctorIN3c104HalfELi2ELi1ELi1EEEJNS0_3ErfIfEEEEEvT_T0_DpT1_,@function
_ZN2at6native12_GLOBAL__N_125multi_tensor_apply_kernelINS1_18TensorListMetadataILi2EEENS1_14UnaryOpFunctorIN3c104HalfELi2ELi1ELi1EEEJNS0_3ErfIfEEEEEvT_T0_DpT1_: ; @_ZN2at6native12_GLOBAL__N_125multi_tensor_apply_kernelINS1_18TensorListMetadataILi2EEENS1_14UnaryOpFunctorIN3c104HalfELi2ELi1ELi1EEEJNS0_3ErfIfEEEEEvT_T0_DpT1_
; %bb.0:
	s_bfe_u32 s2, ttmp6, 0x4000c
	s_and_b32 s3, ttmp6, 15
	s_add_co_i32 s2, s2, 1
	s_getreg_b32 s4, hwreg(HW_REG_IB_STS2, 6, 4)
	s_mul_i32 s2, ttmp9, s2
	s_mov_b32 s7, 0
	s_add_co_i32 s3, s3, s2
	s_cmp_eq_u32 s4, 0
	s_mov_b32 s15, s7
	s_cselect_b32 s6, ttmp9, s3
	s_load_u8 s11, s[0:1], s6 offset:0x600
	s_add_nc_u64 s[2:3], s[0:1], s[6:7]
	s_mul_u64 s[4:5], s[6:7], 3
	s_delay_alu instid0(SALU_CYCLE_1)
	s_add_nc_u64 s[4:5], s[2:3], s[4:5]
	s_load_b32 s10, s[4:5], 0x740
	s_wait_kmcnt 0x0
	s_clause 0x2
	s_load_b64 s[2:3], s[0:1], s11 offset:0x0 scale_offset
	s_load_b64 s[8:9], s[0:1], s11 offset:0x200 scale_offset
	s_load_b64 s[12:13], s[0:1], s11 offset:0x400 scale_offset
	s_wait_xcnt 0x0
	s_ashr_i32 s11, s10, 31
	s_delay_alu instid0(SALU_CYCLE_1)
	s_lshl_b64 s[4:5], s[10:11], 17
	s_wait_kmcnt 0x0
	s_and_b64 s[18:19], s[8:9], 7
	s_add_nc_u64 s[16:17], s[2:3], s[4:5]
	s_and_b32 s14, s12, 3
	s_and_b32 s6, s16, 7
	s_or_b64 s[14:15], s[18:19], s[14:15]
	s_lshl_b64 s[10:11], s[10:11], 16
	s_or_b64 s[14:15], s[14:15], s[6:7]
	s_sub_nc_u64 s[6:7], s[12:13], s[10:11]
	s_cmp_eq_u64 s[14:15], 0
	s_mov_b32 s10, -1
	s_cbranch_scc0 .LBB239_21
; %bb.1:
	v_min_i64 v[2:3], 0x10000, s[6:7]
	v_dual_mov_b32 v5, 0 :: v_dual_lshlrev_b32 v4, 2, v0
	s_mov_b32 s14, exec_lo
	s_delay_alu instid0(VALU_DEP_1)
	v_cmpx_lt_i64_e64 v[4:5], v[2:3]
	s_cbranch_execz .LBB239_20
; %bb.2:
	s_load_b32 s10, s[0:1], 0xc5c
	v_dual_mov_b32 v1, v5 :: v_dual_lshlrev_b32 v4, 3, v0
	s_mov_b32 s11, 0
	s_mov_b32 s15, 0x378e98ab
	;; [unrolled: 1-line block ×3, first 2 shown]
	s_delay_alu instid0(VALU_DEP_1)
	v_add_nc_u64_e32 v[4:5], s[4:5], v[4:5]
	v_mov_b64_e32 v[6:7], v[0:1]
	s_mov_b32 s13, s11
	s_mov_b32 s17, s11
	s_wait_kmcnt 0x0
	s_and_b32 s10, s10, 0xffff
	s_delay_alu instid0(SALU_CYCLE_1)
	s_lshl_b32 s12, s10, 3
	s_branch .LBB239_4
.LBB239_3:                              ;   in Loop: Header=BB239_4 Depth=1
	s_or_b32 exec_lo, exec_lo, s18
	v_add_nc_u64_e32 v[6:7], s[10:11], v[6:7]
	v_dual_lshrrev_b32 v12, 16, v12 :: v_dual_lshrrev_b32 v16, 16, v9
	v_dual_lshrrev_b32 v15, 16, v8 :: v_dual_lshrrev_b32 v1, 16, v1
	v_cvt_f16_f32_e32 v13, v13
	v_cvt_f16_f32_e32 v11, v11
	v_lshlrev_b64_e32 v[8:9], 2, v[6:7]
	v_cvt_f16_f32_e32 v10, v10
	v_cvt_f16_f32_e32 v14, v14
	v_bfi_b32 v12, 0x7fff, v13, v12
	s_delay_alu instid0(VALU_DEP_3) | instskip(NEXT) | instid1(VALU_DEP_3)
	v_bfi_b32 v1, 0x7fff, v10, v1
	v_bfi_b32 v13, 0x7fff, v14, v16
	;; [unrolled: 1-line block ×3, first 2 shown]
	v_cmp_ge_i64_e32 vcc_lo, v[8:9], v[2:3]
	v_add_nc_u64_e32 v[8:9], s[8:9], v[4:5]
	v_add_nc_u64_e32 v[4:5], s[12:13], v[4:5]
	v_pack_b32_f16 v11, v12, v13
	v_pack_b32_f16 v10, v1, v14
	s_or_b32 s17, vcc_lo, s17
	global_store_b64 v[8:9], v[10:11], off
	s_wait_xcnt 0x0
	s_and_not1_b32 exec_lo, exec_lo, s17
	s_cbranch_execz .LBB239_20
.LBB239_4:                              ; =>This Inner Loop Header: Depth=1
	v_add_nc_u64_e32 v[8:9], s[2:3], v[4:5]
                                        ; implicit-def: $vgpr10
	global_load_b64 v[8:9], v[8:9], off
	s_wait_loadcnt 0x0
	v_cvt_f32_f16_e32 v1, v8
	s_delay_alu instid0(VALU_DEP_1) | instskip(SKIP_2) | instid1(SALU_CYCLE_1)
	v_cmp_nlt_f32_e64 s18, |v1|, 1.0
	s_wait_xcnt 0x0
	s_and_saveexec_b32 s19, s18
	s_xor_b32 s18, exec_lo, s19
	s_cbranch_execz .LBB239_6
; %bb.5:                                ;   in Loop: Header=BB239_4 Depth=1
	v_fma_f32 v10, |v1|, s15, 0xb9c68948
	s_delay_alu instid0(VALU_DEP_1) | instskip(NEXT) | instid1(VALU_DEP_1)
	v_fma_f32 v10, |v1|, v10, 0x3b7cd369
	v_fma_f32 v10, |v1|, v10, 0xbcc618b2
	s_delay_alu instid0(VALU_DEP_1) | instskip(NEXT) | instid1(VALU_DEP_1)
	v_fma_f32 v10, |v1|, v10, 0x3dda74e4
	;; [unrolled: 3-line block ×3, first 2 shown]
	v_fma_f32 v10, |v1|, v10, |v1|
	s_delay_alu instid0(VALU_DEP_1) | instskip(SKIP_1) | instid1(VALU_DEP_2)
	v_mul_f32_e32 v11, 0xbfb8aa3b, v10
	v_cmp_nlt_f32_e32 vcc_lo, 0x42ce8ed0, v10
	v_fma_f32 v12, 0xbfb8aa3b, v10, -v11
	v_rndne_f32_e32 v13, v11
	s_delay_alu instid0(VALU_DEP_1) | instskip(NEXT) | instid1(VALU_DEP_1)
	v_dual_fmac_f32 v12, 0xb2a5705f, v10 :: v_dual_sub_f32 v11, v11, v13
	v_add_f32_e32 v11, v11, v12
	v_cvt_i32_f32_e32 v12, v13
	s_delay_alu instid0(VALU_DEP_2) | instskip(SKIP_1) | instid1(TRANS32_DEP_1)
	v_exp_f32_e32 v11, v11
	v_nop
	v_ldexp_f32 v11, v11, v12
	s_delay_alu instid0(VALU_DEP_1) | instskip(SKIP_1) | instid1(VALU_DEP_2)
	v_cndmask_b32_e32 v11, 0, v11, vcc_lo
	v_cmp_ngt_f32_e32 vcc_lo, 0xc2b17218, v10
	v_cndmask_b32_e32 v10, 0x7f800000, v11, vcc_lo
	s_delay_alu instid0(VALU_DEP_1)
	v_sub_f32_e32 v10, 1.0, v10
.LBB239_6:                              ;   in Loop: Header=BB239_4 Depth=1
	s_and_not1_saveexec_b32 s18, s18
	s_cbranch_execz .LBB239_8
; %bb.7:                                ;   in Loop: Header=BB239_4 Depth=1
	v_mul_f32_e32 v10, v1, v1
	s_delay_alu instid0(VALU_DEP_1) | instskip(NEXT) | instid1(VALU_DEP_1)
	v_fmaak_f32 v11, s16, v10, 0x3ba10414
	v_fmaak_f32 v11, v10, v11, 0xbcdac9b8
	s_delay_alu instid0(VALU_DEP_1) | instskip(NEXT) | instid1(VALU_DEP_1)
	v_fmaak_f32 v11, v10, v11, 0x3de703be
	v_fmaak_f32 v11, v10, v11, 0xbec09330
	s_delay_alu instid0(VALU_DEP_1) | instskip(NEXT) | instid1(VALU_DEP_1)
	v_fmaak_f32 v10, v10, v11, 0x3e0375d0
	v_fma_f32 v10, |v1|, v10, |v1|
.LBB239_8:                              ;   in Loop: Header=BB239_4 Depth=1
	s_or_b32 exec_lo, exec_lo, s18
	v_lshrrev_b32_e32 v8, 16, v8
                                        ; implicit-def: $vgpr11
	s_delay_alu instid0(VALU_DEP_1) | instskip(NEXT) | instid1(VALU_DEP_1)
	v_cvt_f32_f16_e32 v8, v8
	v_cmp_nlt_f32_e64 s18, |v8|, 1.0
	s_and_saveexec_b32 s19, s18
	s_delay_alu instid0(SALU_CYCLE_1)
	s_xor_b32 s18, exec_lo, s19
	s_cbranch_execz .LBB239_10
; %bb.9:                                ;   in Loop: Header=BB239_4 Depth=1
	v_fma_f32 v11, |v8|, s15, 0xb9c68948
	s_delay_alu instid0(VALU_DEP_1) | instskip(NEXT) | instid1(VALU_DEP_1)
	v_fma_f32 v11, |v8|, v11, 0x3b7cd369
	v_fma_f32 v11, |v8|, v11, 0xbcc618b2
	s_delay_alu instid0(VALU_DEP_1) | instskip(NEXT) | instid1(VALU_DEP_1)
	v_fma_f32 v11, |v8|, v11, 0x3dda74e4
	v_fma_f32 v11, |v8|, v11, 0x3f228afd
	s_delay_alu instid0(VALU_DEP_1) | instskip(NEXT) | instid1(VALU_DEP_1)
	v_fma_f32 v11, |v8|, v11, 0x3e03c728
	v_fma_f32 v11, |v8|, v11, |v8|
	s_delay_alu instid0(VALU_DEP_1) | instskip(SKIP_1) | instid1(VALU_DEP_2)
	v_mul_f32_e32 v12, 0xbfb8aa3b, v11
	v_cmp_nlt_f32_e32 vcc_lo, 0x42ce8ed0, v11
	v_fma_f32 v13, 0xbfb8aa3b, v11, -v12
	v_rndne_f32_e32 v14, v12
	s_delay_alu instid0(VALU_DEP_1) | instskip(NEXT) | instid1(VALU_DEP_1)
	v_dual_fmac_f32 v13, 0xb2a5705f, v11 :: v_dual_sub_f32 v12, v12, v14
	v_add_f32_e32 v12, v12, v13
	v_cvt_i32_f32_e32 v13, v14
	s_delay_alu instid0(VALU_DEP_2) | instskip(SKIP_1) | instid1(TRANS32_DEP_1)
	v_exp_f32_e32 v12, v12
	v_nop
	v_ldexp_f32 v12, v12, v13
	s_delay_alu instid0(VALU_DEP_1) | instskip(SKIP_1) | instid1(VALU_DEP_2)
	v_cndmask_b32_e32 v12, 0, v12, vcc_lo
	v_cmp_ngt_f32_e32 vcc_lo, 0xc2b17218, v11
	v_cndmask_b32_e32 v11, 0x7f800000, v12, vcc_lo
	s_delay_alu instid0(VALU_DEP_1)
	v_sub_f32_e32 v11, 1.0, v11
.LBB239_10:                             ;   in Loop: Header=BB239_4 Depth=1
	s_and_not1_saveexec_b32 s18, s18
	s_cbranch_execz .LBB239_12
; %bb.11:                               ;   in Loop: Header=BB239_4 Depth=1
	v_mul_f32_e32 v11, v8, v8
	s_delay_alu instid0(VALU_DEP_1) | instskip(NEXT) | instid1(VALU_DEP_1)
	v_fmaak_f32 v12, s16, v11, 0x3ba10414
	v_fmaak_f32 v12, v11, v12, 0xbcdac9b8
	s_delay_alu instid0(VALU_DEP_1) | instskip(NEXT) | instid1(VALU_DEP_1)
	v_fmaak_f32 v12, v11, v12, 0x3de703be
	v_fmaak_f32 v12, v11, v12, 0xbec09330
	s_delay_alu instid0(VALU_DEP_1) | instskip(NEXT) | instid1(VALU_DEP_1)
	v_fmaak_f32 v11, v11, v12, 0x3e0375d0
	v_fma_f32 v11, |v8|, v11, |v8|
.LBB239_12:                             ;   in Loop: Header=BB239_4 Depth=1
	s_or_b32 exec_lo, exec_lo, s18
	v_cvt_f32_f16_e32 v12, v9
                                        ; implicit-def: $vgpr13
	s_delay_alu instid0(VALU_DEP_1) | instskip(SKIP_1) | instid1(SALU_CYCLE_1)
	v_cmp_nlt_f32_e64 s18, |v12|, 1.0
	s_and_saveexec_b32 s19, s18
	s_xor_b32 s18, exec_lo, s19
	s_cbranch_execz .LBB239_14
; %bb.13:                               ;   in Loop: Header=BB239_4 Depth=1
	v_fma_f32 v13, |v12|, s15, 0xb9c68948
	s_delay_alu instid0(VALU_DEP_1) | instskip(NEXT) | instid1(VALU_DEP_1)
	v_fma_f32 v13, |v12|, v13, 0x3b7cd369
	v_fma_f32 v13, |v12|, v13, 0xbcc618b2
	s_delay_alu instid0(VALU_DEP_1) | instskip(NEXT) | instid1(VALU_DEP_1)
	v_fma_f32 v13, |v12|, v13, 0x3dda74e4
	;; [unrolled: 3-line block ×3, first 2 shown]
	v_fma_f32 v13, |v12|, v13, |v12|
	s_delay_alu instid0(VALU_DEP_1) | instskip(SKIP_1) | instid1(VALU_DEP_2)
	v_mul_f32_e32 v14, 0xbfb8aa3b, v13
	v_cmp_nlt_f32_e32 vcc_lo, 0x42ce8ed0, v13
	v_fma_f32 v15, 0xbfb8aa3b, v13, -v14
	v_rndne_f32_e32 v16, v14
	s_delay_alu instid0(VALU_DEP_1) | instskip(NEXT) | instid1(VALU_DEP_1)
	v_dual_fmac_f32 v15, 0xb2a5705f, v13 :: v_dual_sub_f32 v14, v14, v16
	v_add_f32_e32 v14, v14, v15
	v_cvt_i32_f32_e32 v15, v16
	s_delay_alu instid0(VALU_DEP_2) | instskip(SKIP_1) | instid1(TRANS32_DEP_1)
	v_exp_f32_e32 v14, v14
	v_nop
	v_ldexp_f32 v14, v14, v15
	s_delay_alu instid0(VALU_DEP_1) | instskip(SKIP_1) | instid1(VALU_DEP_2)
	v_cndmask_b32_e32 v14, 0, v14, vcc_lo
	v_cmp_ngt_f32_e32 vcc_lo, 0xc2b17218, v13
	v_cndmask_b32_e32 v13, 0x7f800000, v14, vcc_lo
	s_delay_alu instid0(VALU_DEP_1)
	v_sub_f32_e32 v13, 1.0, v13
.LBB239_14:                             ;   in Loop: Header=BB239_4 Depth=1
	s_and_not1_saveexec_b32 s18, s18
	s_cbranch_execz .LBB239_16
; %bb.15:                               ;   in Loop: Header=BB239_4 Depth=1
	v_mul_f32_e32 v13, v12, v12
	s_delay_alu instid0(VALU_DEP_1) | instskip(NEXT) | instid1(VALU_DEP_1)
	v_fmaak_f32 v14, s16, v13, 0x3ba10414
	v_fmaak_f32 v14, v13, v14, 0xbcdac9b8
	s_delay_alu instid0(VALU_DEP_1) | instskip(NEXT) | instid1(VALU_DEP_1)
	v_fmaak_f32 v14, v13, v14, 0x3de703be
	v_fmaak_f32 v14, v13, v14, 0xbec09330
	s_delay_alu instid0(VALU_DEP_1) | instskip(NEXT) | instid1(VALU_DEP_1)
	v_fmaak_f32 v13, v13, v14, 0x3e0375d0
	v_fma_f32 v13, |v12|, v13, |v12|
.LBB239_16:                             ;   in Loop: Header=BB239_4 Depth=1
	s_or_b32 exec_lo, exec_lo, s18
	v_lshrrev_b32_e32 v9, 16, v9
                                        ; implicit-def: $vgpr14
	s_delay_alu instid0(VALU_DEP_1) | instskip(NEXT) | instid1(VALU_DEP_1)
	v_cvt_f32_f16_e32 v9, v9
	v_cmp_nlt_f32_e64 s18, |v9|, 1.0
	s_and_saveexec_b32 s19, s18
	s_delay_alu instid0(SALU_CYCLE_1)
	s_xor_b32 s18, exec_lo, s19
	s_cbranch_execz .LBB239_18
; %bb.17:                               ;   in Loop: Header=BB239_4 Depth=1
	v_fma_f32 v14, |v9|, s15, 0xb9c68948
	s_delay_alu instid0(VALU_DEP_1) | instskip(NEXT) | instid1(VALU_DEP_1)
	v_fma_f32 v14, |v9|, v14, 0x3b7cd369
	v_fma_f32 v14, |v9|, v14, 0xbcc618b2
	s_delay_alu instid0(VALU_DEP_1) | instskip(NEXT) | instid1(VALU_DEP_1)
	v_fma_f32 v14, |v9|, v14, 0x3dda74e4
	;; [unrolled: 3-line block ×3, first 2 shown]
	v_fma_f32 v14, |v9|, v14, |v9|
	s_delay_alu instid0(VALU_DEP_1) | instskip(SKIP_1) | instid1(VALU_DEP_2)
	v_mul_f32_e32 v15, 0xbfb8aa3b, v14
	v_cmp_nlt_f32_e32 vcc_lo, 0x42ce8ed0, v14
	v_fma_f32 v16, 0xbfb8aa3b, v14, -v15
	v_rndne_f32_e32 v17, v15
	s_delay_alu instid0(VALU_DEP_1) | instskip(NEXT) | instid1(VALU_DEP_1)
	v_dual_fmac_f32 v16, 0xb2a5705f, v14 :: v_dual_sub_f32 v15, v15, v17
	v_add_f32_e32 v15, v15, v16
	v_cvt_i32_f32_e32 v16, v17
	s_delay_alu instid0(VALU_DEP_2) | instskip(SKIP_1) | instid1(TRANS32_DEP_1)
	v_exp_f32_e32 v15, v15
	v_nop
	v_ldexp_f32 v15, v15, v16
	s_delay_alu instid0(VALU_DEP_1) | instskip(SKIP_1) | instid1(VALU_DEP_2)
	v_cndmask_b32_e32 v15, 0, v15, vcc_lo
	v_cmp_ngt_f32_e32 vcc_lo, 0xc2b17218, v14
	v_cndmask_b32_e32 v14, 0x7f800000, v15, vcc_lo
	s_delay_alu instid0(VALU_DEP_1)
	v_sub_f32_e32 v14, 1.0, v14
.LBB239_18:                             ;   in Loop: Header=BB239_4 Depth=1
	s_and_not1_saveexec_b32 s18, s18
	s_cbranch_execz .LBB239_3
; %bb.19:                               ;   in Loop: Header=BB239_4 Depth=1
	v_mul_f32_e32 v14, v9, v9
	s_delay_alu instid0(VALU_DEP_1) | instskip(NEXT) | instid1(VALU_DEP_1)
	v_fmaak_f32 v15, s16, v14, 0x3ba10414
	v_fmaak_f32 v15, v14, v15, 0xbcdac9b8
	s_delay_alu instid0(VALU_DEP_1) | instskip(NEXT) | instid1(VALU_DEP_1)
	v_fmaak_f32 v15, v14, v15, 0x3de703be
	v_fmaak_f32 v15, v14, v15, 0xbec09330
	s_delay_alu instid0(VALU_DEP_1) | instskip(NEXT) | instid1(VALU_DEP_1)
	v_fmaak_f32 v14, v14, v15, 0x3e0375d0
	v_fma_f32 v14, |v9|, v14, |v9|
	s_branch .LBB239_3
.LBB239_20:
	s_or_b32 exec_lo, exec_lo, s14
	s_mov_b32 s10, 0
.LBB239_21:
	s_delay_alu instid0(SALU_CYCLE_1)
	s_and_not1_b32 vcc_lo, exec_lo, s10
	s_cbranch_vccnz .LBB239_57
; %bb.22:
	v_cmp_lt_i64_e64 s10, s[6:7], 1
	s_and_b32 vcc_lo, exec_lo, s10
	s_cbranch_vccnz .LBB239_57
; %bb.23:
	s_load_b32 s0, s[0:1], 0xc5c
	v_min_i64 v[2:3], 0x10000, s[6:7]
	v_min_u64 v[4:5], 0x10000, s[6:7]
	v_dual_mov_b32 v1, 0 :: v_dual_lshlrev_b32 v10, 1, v0
	s_wait_xcnt 0x0
	s_mov_b32 s1, 0
	s_delay_alu instid0(SALU_CYCLE_1) | instskip(NEXT) | instid1(VALU_DEP_1)
	s_mov_b32 s7, s1
	v_dual_mov_b32 v11, v1 :: v_dual_mov_b32 v27, v1
	s_mov_b32 s11, s1
	s_mov_b32 s13, s1
	s_delay_alu instid0(VALU_DEP_1) | instskip(SKIP_2) | instid1(SALU_CYCLE_1)
	v_add_nc_u64_e32 v[6:7], s[2:3], v[10:11]
	s_wait_kmcnt 0x0
	s_and_b32 s0, s0, 0xffff
	v_add_nc_u64_e32 v[8:9], s[0:1], v[0:1]
	v_mad_nc_u64_u32 v[22:23], s0, 6, v[10:11]
	s_lshl_b32 s6, s0, 2
	s_mul_i32 s12, s0, 3
	v_add_nc_u64_e32 v[18:19], s[6:7], v[10:11]
	s_lshl_b32 s10, s0, 1
	v_add_nc_u64_e32 v[10:11], s[8:9], v[10:11]
	v_lshlrev_b32_e32 v26, 1, v8
	v_add_nc_u64_e32 v[12:13], s[12:13], v[0:1]
	v_add_nc_u64_e32 v[14:15], s[10:11], v[0:1]
	s_mov_b64 s[10:11], 0
	v_add_nc_u64_e32 v[16:17], s[2:3], v[18:19]
	v_add_nc_u64_e32 v[18:19], s[8:9], v[18:19]
	;; [unrolled: 1-line block ×6, first 2 shown]
	s_lshl_b32 s8, s0, 3
	s_mov_b32 s9, s1
	s_mov_b32 s12, 0x378e98ab
	;; [unrolled: 1-line block ×3, first 2 shown]
	s_branch .LBB239_25
.LBB239_24:                             ;   in Loop: Header=BB239_25 Depth=1
	s_wait_xcnt 0x0
	s_or_b32 exec_lo, exec_lo, s0
	s_add_nc_u64 s[10:11], s[10:11], s[6:7]
	v_add_nc_u64_e32 v[6:7], s[8:9], v[6:7]
	v_cmp_ge_i64_e32 vcc_lo, s[10:11], v[2:3]
	v_add_nc_u64_e32 v[10:11], s[8:9], v[10:11]
	v_add_nc_u64_e32 v[20:21], s[8:9], v[20:21]
	v_add_nc_u64_e32 v[22:23], s[8:9], v[22:23]
	v_add_nc_u64_e32 v[16:17], s[8:9], v[16:17]
	v_add_nc_u64_e32 v[18:19], s[8:9], v[18:19]
	v_add_nc_u64_e32 v[24:25], s[8:9], v[24:25]
	v_add_nc_u64_e32 v[26:27], s[8:9], v[26:27]
	s_cbranch_vccnz .LBB239_57
.LBB239_25:                             ; =>This Inner Loop Header: Depth=1
	v_add_nc_u64_e32 v[28:29], s[10:11], v[0:1]
	s_delay_alu instid0(VALU_DEP_1)
	v_cmp_lt_u64_e32 vcc_lo, v[28:29], v[4:5]
	v_mov_b32_e32 v29, 0
	s_and_saveexec_b32 s0, vcc_lo
	s_cbranch_execz .LBB239_27
; %bb.26:                               ;   in Loop: Header=BB239_25 Depth=1
	v_add_nc_u64_e32 v[28:29], s[4:5], v[6:7]
	global_load_u16 v28, v[28:29], off
	s_wait_loadcnt 0x0
	v_cvt_f32_f16_e32 v29, v28
.LBB239_27:                             ;   in Loop: Header=BB239_25 Depth=1
	s_or_b32 exec_lo, exec_lo, s0
	v_add_nc_u64_e32 v[30:31], s[10:11], v[8:9]
	v_mov_b32_e32 v28, 0
	s_delay_alu instid0(VALU_DEP_2)
	v_cmp_lt_u64_e64 s0, v[30:31], v[4:5]
	v_mov_b32_e32 v30, 0
	s_and_saveexec_b32 s1, s0
	s_cbranch_execz .LBB239_29
; %bb.28:                               ;   in Loop: Header=BB239_25 Depth=1
	v_add_nc_u64_e32 v[30:31], s[4:5], v[24:25]
	global_load_u16 v30, v[30:31], off
	s_wait_loadcnt 0x0
	v_cvt_f32_f16_e32 v30, v30
.LBB239_29:                             ;   in Loop: Header=BB239_25 Depth=1
	s_or_b32 exec_lo, exec_lo, s1
	v_add_nc_u64_e32 v[32:33], s[10:11], v[14:15]
	s_delay_alu instid0(VALU_DEP_1)
	v_cmp_lt_u64_e64 s1, v[32:33], v[4:5]
	s_and_saveexec_b32 s2, s1
	s_cbranch_execz .LBB239_31
; %bb.30:                               ;   in Loop: Header=BB239_25 Depth=1
	v_add_nc_u64_e32 v[32:33], s[4:5], v[16:17]
	global_load_u16 v28, v[32:33], off
	s_wait_loadcnt 0x0
	v_cvt_f32_f16_e32 v28, v28
.LBB239_31:                             ;   in Loop: Header=BB239_25 Depth=1
	s_wait_xcnt 0x0
	s_or_b32 exec_lo, exec_lo, s2
	v_add_nc_u64_e32 v[32:33], s[10:11], v[12:13]
	v_mov_b32_e32 v31, 0
	s_delay_alu instid0(VALU_DEP_2)
	v_cmp_lt_u64_e64 s2, v[32:33], v[4:5]
	s_and_saveexec_b32 s3, s2
	s_cbranch_execz .LBB239_33
; %bb.32:                               ;   in Loop: Header=BB239_25 Depth=1
	v_add_nc_u64_e32 v[32:33], s[4:5], v[20:21]
	global_load_u16 v31, v[32:33], off
	s_wait_loadcnt 0x0
	v_cvt_f32_f16_e32 v31, v31
.LBB239_33:                             ;   in Loop: Header=BB239_25 Depth=1
	s_wait_xcnt 0x0
	s_or_b32 exec_lo, exec_lo, s3
	s_delay_alu instid0(SALU_CYCLE_1)
	s_mov_b32 s14, exec_lo
                                        ; implicit-def: $vgpr32
	v_cmpx_nlt_f32_e64 |v29|, 1.0
	s_xor_b32 s14, exec_lo, s14
	s_cbranch_execz .LBB239_35
; %bb.34:                               ;   in Loop: Header=BB239_25 Depth=1
	v_fma_f32 v32, |v29|, s12, 0xb9c68948
	s_delay_alu instid0(VALU_DEP_1) | instskip(NEXT) | instid1(VALU_DEP_1)
	v_fma_f32 v32, |v29|, v32, 0x3b7cd369
	v_fma_f32 v32, |v29|, v32, 0xbcc618b2
	s_delay_alu instid0(VALU_DEP_1) | instskip(NEXT) | instid1(VALU_DEP_1)
	v_fma_f32 v32, |v29|, v32, 0x3dda74e4
	;; [unrolled: 3-line block ×3, first 2 shown]
	v_fma_f32 v32, |v29|, v32, |v29|
	s_delay_alu instid0(VALU_DEP_1) | instskip(SKIP_1) | instid1(VALU_DEP_2)
	v_mul_f32_e32 v33, 0xbfb8aa3b, v32
	v_cmp_nlt_f32_e64 s3, 0x42ce8ed0, v32
	v_fma_f32 v34, 0xbfb8aa3b, v32, -v33
	v_rndne_f32_e32 v35, v33
	s_delay_alu instid0(VALU_DEP_1) | instskip(NEXT) | instid1(VALU_DEP_1)
	v_dual_fmac_f32 v34, 0xb2a5705f, v32 :: v_dual_sub_f32 v33, v33, v35
	v_add_f32_e32 v33, v33, v34
	v_cvt_i32_f32_e32 v34, v35
	s_delay_alu instid0(VALU_DEP_2) | instskip(SKIP_1) | instid1(TRANS32_DEP_1)
	v_exp_f32_e32 v33, v33
	v_nop
	v_ldexp_f32 v33, v33, v34
	s_delay_alu instid0(VALU_DEP_1) | instskip(SKIP_1) | instid1(VALU_DEP_1)
	v_cndmask_b32_e64 v33, 0, v33, s3
	v_cmp_ngt_f32_e64 s3, 0xc2b17218, v32
	v_cndmask_b32_e64 v32, 0x7f800000, v33, s3
	s_delay_alu instid0(VALU_DEP_1)
	v_sub_f32_e32 v32, 1.0, v32
.LBB239_35:                             ;   in Loop: Header=BB239_25 Depth=1
	s_and_not1_saveexec_b32 s3, s14
	s_cbranch_execz .LBB239_37
; %bb.36:                               ;   in Loop: Header=BB239_25 Depth=1
	v_mul_f32_e32 v32, v29, v29
	s_delay_alu instid0(VALU_DEP_1) | instskip(NEXT) | instid1(VALU_DEP_1)
	v_fmaak_f32 v33, s13, v32, 0x3ba10414
	v_fmaak_f32 v33, v32, v33, 0xbcdac9b8
	s_delay_alu instid0(VALU_DEP_1) | instskip(NEXT) | instid1(VALU_DEP_1)
	v_fmaak_f32 v33, v32, v33, 0x3de703be
	v_fmaak_f32 v33, v32, v33, 0xbec09330
	s_delay_alu instid0(VALU_DEP_1) | instskip(NEXT) | instid1(VALU_DEP_1)
	v_fmaak_f32 v32, v32, v33, 0x3e0375d0
	v_fma_f32 v32, |v29|, v32, |v29|
.LBB239_37:                             ;   in Loop: Header=BB239_25 Depth=1
	s_or_b32 exec_lo, exec_lo, s3
	s_delay_alu instid0(SALU_CYCLE_1)
	s_mov_b32 s14, exec_lo
                                        ; implicit-def: $vgpr33
	v_cmpx_nlt_f32_e64 |v30|, 1.0
	s_xor_b32 s14, exec_lo, s14
	s_cbranch_execz .LBB239_39
; %bb.38:                               ;   in Loop: Header=BB239_25 Depth=1
	v_fma_f32 v33, |v30|, s12, 0xb9c68948
	s_delay_alu instid0(VALU_DEP_1) | instskip(NEXT) | instid1(VALU_DEP_1)
	v_fma_f32 v33, |v30|, v33, 0x3b7cd369
	v_fma_f32 v33, |v30|, v33, 0xbcc618b2
	s_delay_alu instid0(VALU_DEP_1) | instskip(NEXT) | instid1(VALU_DEP_1)
	v_fma_f32 v33, |v30|, v33, 0x3dda74e4
	;; [unrolled: 3-line block ×3, first 2 shown]
	v_fma_f32 v33, |v30|, v33, |v30|
	s_delay_alu instid0(VALU_DEP_1) | instskip(SKIP_1) | instid1(VALU_DEP_2)
	v_mul_f32_e32 v34, 0xbfb8aa3b, v33
	v_cmp_nlt_f32_e64 s3, 0x42ce8ed0, v33
	v_fma_f32 v35, 0xbfb8aa3b, v33, -v34
	v_rndne_f32_e32 v36, v34
	s_delay_alu instid0(VALU_DEP_1) | instskip(NEXT) | instid1(VALU_DEP_1)
	v_dual_fmac_f32 v35, 0xb2a5705f, v33 :: v_dual_sub_f32 v34, v34, v36
	v_add_f32_e32 v34, v34, v35
	v_cvt_i32_f32_e32 v35, v36
	s_delay_alu instid0(VALU_DEP_2) | instskip(SKIP_1) | instid1(TRANS32_DEP_1)
	v_exp_f32_e32 v34, v34
	v_nop
	v_ldexp_f32 v34, v34, v35
	s_delay_alu instid0(VALU_DEP_1) | instskip(SKIP_1) | instid1(VALU_DEP_1)
	v_cndmask_b32_e64 v34, 0, v34, s3
	v_cmp_ngt_f32_e64 s3, 0xc2b17218, v33
	v_cndmask_b32_e64 v33, 0x7f800000, v34, s3
	s_delay_alu instid0(VALU_DEP_1)
	v_sub_f32_e32 v33, 1.0, v33
.LBB239_39:                             ;   in Loop: Header=BB239_25 Depth=1
	s_and_not1_saveexec_b32 s3, s14
	s_cbranch_execz .LBB239_41
; %bb.40:                               ;   in Loop: Header=BB239_25 Depth=1
	v_mul_f32_e32 v33, v30, v30
	s_delay_alu instid0(VALU_DEP_1) | instskip(NEXT) | instid1(VALU_DEP_1)
	v_fmaak_f32 v34, s13, v33, 0x3ba10414
	v_fmaak_f32 v34, v33, v34, 0xbcdac9b8
	s_delay_alu instid0(VALU_DEP_1) | instskip(NEXT) | instid1(VALU_DEP_1)
	v_fmaak_f32 v34, v33, v34, 0x3de703be
	v_fmaak_f32 v34, v33, v34, 0xbec09330
	s_delay_alu instid0(VALU_DEP_1) | instskip(NEXT) | instid1(VALU_DEP_1)
	v_fmaak_f32 v33, v33, v34, 0x3e0375d0
	v_fma_f32 v33, |v30|, v33, |v30|
.LBB239_41:                             ;   in Loop: Header=BB239_25 Depth=1
	s_or_b32 exec_lo, exec_lo, s3
	s_delay_alu instid0(SALU_CYCLE_1)
	s_mov_b32 s14, exec_lo
                                        ; implicit-def: $vgpr34
	v_cmpx_nlt_f32_e64 |v28|, 1.0
	s_xor_b32 s14, exec_lo, s14
	s_cbranch_execz .LBB239_43
; %bb.42:                               ;   in Loop: Header=BB239_25 Depth=1
	v_fma_f32 v34, |v28|, s12, 0xb9c68948
	s_delay_alu instid0(VALU_DEP_1) | instskip(NEXT) | instid1(VALU_DEP_1)
	v_fma_f32 v34, |v28|, v34, 0x3b7cd369
	v_fma_f32 v34, |v28|, v34, 0xbcc618b2
	s_delay_alu instid0(VALU_DEP_1) | instskip(NEXT) | instid1(VALU_DEP_1)
	v_fma_f32 v34, |v28|, v34, 0x3dda74e4
	;; [unrolled: 3-line block ×3, first 2 shown]
	v_fma_f32 v34, |v28|, v34, |v28|
	s_delay_alu instid0(VALU_DEP_1) | instskip(SKIP_1) | instid1(VALU_DEP_2)
	v_mul_f32_e32 v35, 0xbfb8aa3b, v34
	v_cmp_nlt_f32_e64 s3, 0x42ce8ed0, v34
	v_fma_f32 v36, 0xbfb8aa3b, v34, -v35
	v_rndne_f32_e32 v37, v35
	s_delay_alu instid0(VALU_DEP_1) | instskip(NEXT) | instid1(VALU_DEP_1)
	v_dual_fmac_f32 v36, 0xb2a5705f, v34 :: v_dual_sub_f32 v35, v35, v37
	v_add_f32_e32 v35, v35, v36
	v_cvt_i32_f32_e32 v36, v37
	s_delay_alu instid0(VALU_DEP_2) | instskip(SKIP_1) | instid1(TRANS32_DEP_1)
	v_exp_f32_e32 v35, v35
	v_nop
	v_ldexp_f32 v35, v35, v36
	s_delay_alu instid0(VALU_DEP_1) | instskip(SKIP_1) | instid1(VALU_DEP_1)
	v_cndmask_b32_e64 v35, 0, v35, s3
	v_cmp_ngt_f32_e64 s3, 0xc2b17218, v34
	v_cndmask_b32_e64 v34, 0x7f800000, v35, s3
	s_delay_alu instid0(VALU_DEP_1)
	v_sub_f32_e32 v34, 1.0, v34
.LBB239_43:                             ;   in Loop: Header=BB239_25 Depth=1
	s_and_not1_saveexec_b32 s3, s14
	s_cbranch_execz .LBB239_45
; %bb.44:                               ;   in Loop: Header=BB239_25 Depth=1
	v_mul_f32_e32 v34, v28, v28
	s_delay_alu instid0(VALU_DEP_1) | instskip(NEXT) | instid1(VALU_DEP_1)
	v_fmaak_f32 v35, s13, v34, 0x3ba10414
	v_fmaak_f32 v35, v34, v35, 0xbcdac9b8
	s_delay_alu instid0(VALU_DEP_1) | instskip(NEXT) | instid1(VALU_DEP_1)
	v_fmaak_f32 v35, v34, v35, 0x3de703be
	v_fmaak_f32 v35, v34, v35, 0xbec09330
	s_delay_alu instid0(VALU_DEP_1) | instskip(NEXT) | instid1(VALU_DEP_1)
	v_fmaak_f32 v34, v34, v35, 0x3e0375d0
	v_fma_f32 v34, |v28|, v34, |v28|
.LBB239_45:                             ;   in Loop: Header=BB239_25 Depth=1
	s_or_b32 exec_lo, exec_lo, s3
	s_delay_alu instid0(SALU_CYCLE_1)
	s_mov_b32 s14, exec_lo
                                        ; implicit-def: $vgpr35
	v_cmpx_nlt_f32_e64 |v31|, 1.0
	s_xor_b32 s14, exec_lo, s14
	s_cbranch_execnz .LBB239_51
; %bb.46:                               ;   in Loop: Header=BB239_25 Depth=1
	s_and_not1_saveexec_b32 s3, s14
	s_cbranch_execnz .LBB239_52
.LBB239_47:                             ;   in Loop: Header=BB239_25 Depth=1
	s_or_b32 exec_lo, exec_lo, s3
	s_and_saveexec_b32 s3, vcc_lo
	s_delay_alu instid0(SALU_CYCLE_1)
	s_xor_b32 s3, exec_lo, s3
	s_cbranch_execnz .LBB239_53
.LBB239_48:                             ;   in Loop: Header=BB239_25 Depth=1
	s_or_b32 exec_lo, exec_lo, s3
	s_and_saveexec_b32 s3, s0
	s_cbranch_execnz .LBB239_54
.LBB239_49:                             ;   in Loop: Header=BB239_25 Depth=1
	s_or_b32 exec_lo, exec_lo, s3
	s_and_saveexec_b32 s0, s1
	s_cbranch_execnz .LBB239_55
.LBB239_50:                             ;   in Loop: Header=BB239_25 Depth=1
	s_or_b32 exec_lo, exec_lo, s0
	s_and_saveexec_b32 s0, s2
	s_cbranch_execz .LBB239_24
	s_branch .LBB239_56
.LBB239_51:                             ;   in Loop: Header=BB239_25 Depth=1
	v_fma_f32 v35, |v31|, s12, 0xb9c68948
	s_delay_alu instid0(VALU_DEP_1) | instskip(NEXT) | instid1(VALU_DEP_1)
	v_fma_f32 v35, |v31|, v35, 0x3b7cd369
	v_fma_f32 v35, |v31|, v35, 0xbcc618b2
	s_delay_alu instid0(VALU_DEP_1) | instskip(NEXT) | instid1(VALU_DEP_1)
	v_fma_f32 v35, |v31|, v35, 0x3dda74e4
	v_fma_f32 v35, |v31|, v35, 0x3f228afd
	s_delay_alu instid0(VALU_DEP_1) | instskip(NEXT) | instid1(VALU_DEP_1)
	v_fma_f32 v35, |v31|, v35, 0x3e03c728
	v_fma_f32 v35, |v31|, v35, |v31|
	s_delay_alu instid0(VALU_DEP_1) | instskip(SKIP_1) | instid1(VALU_DEP_2)
	v_mul_f32_e32 v36, 0xbfb8aa3b, v35
	v_cmp_nlt_f32_e64 s3, 0x42ce8ed0, v35
	v_fma_f32 v37, 0xbfb8aa3b, v35, -v36
	v_rndne_f32_e32 v38, v36
	s_delay_alu instid0(VALU_DEP_1) | instskip(NEXT) | instid1(VALU_DEP_1)
	v_dual_fmac_f32 v37, 0xb2a5705f, v35 :: v_dual_sub_f32 v36, v36, v38
	v_add_f32_e32 v36, v36, v37
	v_cvt_i32_f32_e32 v37, v38
	s_delay_alu instid0(VALU_DEP_2) | instskip(SKIP_1) | instid1(TRANS32_DEP_1)
	v_exp_f32_e32 v36, v36
	v_nop
	v_ldexp_f32 v36, v36, v37
	s_delay_alu instid0(VALU_DEP_1) | instskip(SKIP_1) | instid1(VALU_DEP_1)
	v_cndmask_b32_e64 v36, 0, v36, s3
	v_cmp_ngt_f32_e64 s3, 0xc2b17218, v35
	v_cndmask_b32_e64 v35, 0x7f800000, v36, s3
	s_delay_alu instid0(VALU_DEP_1)
	v_sub_f32_e32 v35, 1.0, v35
	s_and_not1_saveexec_b32 s3, s14
	s_cbranch_execz .LBB239_47
.LBB239_52:                             ;   in Loop: Header=BB239_25 Depth=1
	v_mul_f32_e32 v35, v31, v31
	s_delay_alu instid0(VALU_DEP_1) | instskip(NEXT) | instid1(VALU_DEP_1)
	v_fmaak_f32 v36, s13, v35, 0x3ba10414
	v_fmaak_f32 v36, v35, v36, 0xbcdac9b8
	s_delay_alu instid0(VALU_DEP_1) | instskip(NEXT) | instid1(VALU_DEP_1)
	v_fmaak_f32 v36, v35, v36, 0x3de703be
	v_fmaak_f32 v36, v35, v36, 0xbec09330
	s_delay_alu instid0(VALU_DEP_1) | instskip(NEXT) | instid1(VALU_DEP_1)
	v_fmaak_f32 v35, v35, v36, 0x3e0375d0
	v_fma_f32 v35, |v31|, v35, |v31|
	s_or_b32 exec_lo, exec_lo, s3
	s_and_saveexec_b32 s3, vcc_lo
	s_delay_alu instid0(SALU_CYCLE_1)
	s_xor_b32 s3, exec_lo, s3
	s_cbranch_execz .LBB239_48
.LBB239_53:                             ;   in Loop: Header=BB239_25 Depth=1
	v_cvt_f16_f32_e32 v32, v32
	v_lshrrev_b32_e32 v29, 16, v29
	v_add_nc_u64_e32 v[36:37], s[4:5], v[10:11]
	s_delay_alu instid0(VALU_DEP_2)
	v_bfi_b32 v29, 0x7fff, v32, v29
	global_store_b16 v[36:37], v29, off
	s_wait_xcnt 0x0
	s_or_b32 exec_lo, exec_lo, s3
	s_and_saveexec_b32 s3, s0
	s_cbranch_execz .LBB239_49
.LBB239_54:                             ;   in Loop: Header=BB239_25 Depth=1
	v_cvt_f16_f32_e32 v29, v33
	v_lshrrev_b32_e32 v30, 16, v30
	v_add_nc_u64_e32 v[32:33], s[4:5], v[26:27]
	s_delay_alu instid0(VALU_DEP_2)
	v_bfi_b32 v29, 0x7fff, v29, v30
	global_store_b16 v[32:33], v29, off
	s_wait_xcnt 0x0
	s_or_b32 exec_lo, exec_lo, s3
	s_and_saveexec_b32 s0, s1
	s_cbranch_execz .LBB239_50
.LBB239_55:                             ;   in Loop: Header=BB239_25 Depth=1
	v_cvt_f16_f32_e32 v30, v34
	v_lshrrev_b32_e32 v32, 16, v28
	v_add_nc_u64_e32 v[28:29], s[4:5], v[18:19]
	s_delay_alu instid0(VALU_DEP_2)
	v_bfi_b32 v30, 0x7fff, v30, v32
	global_store_b16 v[28:29], v30, off
	s_wait_xcnt 0x0
	s_or_b32 exec_lo, exec_lo, s0
	s_and_saveexec_b32 s0, s2
	s_cbranch_execz .LBB239_24
.LBB239_56:                             ;   in Loop: Header=BB239_25 Depth=1
	v_cvt_f16_f32_e32 v30, v35
	v_lshrrev_b32_e32 v31, 16, v31
	v_add_nc_u64_e32 v[28:29], s[4:5], v[22:23]
	s_delay_alu instid0(VALU_DEP_2)
	v_bfi_b32 v30, 0x7fff, v30, v31
	global_store_b16 v[28:29], v30, off
	s_branch .LBB239_24
.LBB239_57:
	s_endpgm
	.section	.rodata,"a",@progbits
	.p2align	6, 0x0
	.amdhsa_kernel _ZN2at6native12_GLOBAL__N_125multi_tensor_apply_kernelINS1_18TensorListMetadataILi2EEENS1_14UnaryOpFunctorIN3c104HalfELi2ELi1ELi1EEEJNS0_3ErfIfEEEEEvT_T0_DpT1_
		.amdhsa_group_segment_fixed_size 0
		.amdhsa_private_segment_fixed_size 0
		.amdhsa_kernarg_size 3408
		.amdhsa_user_sgpr_count 2
		.amdhsa_user_sgpr_dispatch_ptr 0
		.amdhsa_user_sgpr_queue_ptr 0
		.amdhsa_user_sgpr_kernarg_segment_ptr 1
		.amdhsa_user_sgpr_dispatch_id 0
		.amdhsa_user_sgpr_kernarg_preload_length 0
		.amdhsa_user_sgpr_kernarg_preload_offset 0
		.amdhsa_user_sgpr_private_segment_size 0
		.amdhsa_wavefront_size32 1
		.amdhsa_uses_dynamic_stack 0
		.amdhsa_enable_private_segment 0
		.amdhsa_system_sgpr_workgroup_id_x 1
		.amdhsa_system_sgpr_workgroup_id_y 0
		.amdhsa_system_sgpr_workgroup_id_z 0
		.amdhsa_system_sgpr_workgroup_info 0
		.amdhsa_system_vgpr_workitem_id 0
		.amdhsa_next_free_vgpr 39
		.amdhsa_next_free_sgpr 20
		.amdhsa_named_barrier_count 0
		.amdhsa_reserve_vcc 1
		.amdhsa_float_round_mode_32 0
		.amdhsa_float_round_mode_16_64 0
		.amdhsa_float_denorm_mode_32 3
		.amdhsa_float_denorm_mode_16_64 3
		.amdhsa_fp16_overflow 0
		.amdhsa_memory_ordered 1
		.amdhsa_forward_progress 1
		.amdhsa_inst_pref_size 30
		.amdhsa_round_robin_scheduling 0
		.amdhsa_exception_fp_ieee_invalid_op 0
		.amdhsa_exception_fp_denorm_src 0
		.amdhsa_exception_fp_ieee_div_zero 0
		.amdhsa_exception_fp_ieee_overflow 0
		.amdhsa_exception_fp_ieee_underflow 0
		.amdhsa_exception_fp_ieee_inexact 0
		.amdhsa_exception_int_div_zero 0
	.end_amdhsa_kernel
	.section	.text._ZN2at6native12_GLOBAL__N_125multi_tensor_apply_kernelINS1_18TensorListMetadataILi2EEENS1_14UnaryOpFunctorIN3c104HalfELi2ELi1ELi1EEEJNS0_3ErfIfEEEEEvT_T0_DpT1_,"axG",@progbits,_ZN2at6native12_GLOBAL__N_125multi_tensor_apply_kernelINS1_18TensorListMetadataILi2EEENS1_14UnaryOpFunctorIN3c104HalfELi2ELi1ELi1EEEJNS0_3ErfIfEEEEEvT_T0_DpT1_,comdat
.Lfunc_end239:
	.size	_ZN2at6native12_GLOBAL__N_125multi_tensor_apply_kernelINS1_18TensorListMetadataILi2EEENS1_14UnaryOpFunctorIN3c104HalfELi2ELi1ELi1EEEJNS0_3ErfIfEEEEEvT_T0_DpT1_, .Lfunc_end239-_ZN2at6native12_GLOBAL__N_125multi_tensor_apply_kernelINS1_18TensorListMetadataILi2EEENS1_14UnaryOpFunctorIN3c104HalfELi2ELi1ELi1EEEJNS0_3ErfIfEEEEEvT_T0_DpT1_
                                        ; -- End function
	.set _ZN2at6native12_GLOBAL__N_125multi_tensor_apply_kernelINS1_18TensorListMetadataILi2EEENS1_14UnaryOpFunctorIN3c104HalfELi2ELi1ELi1EEEJNS0_3ErfIfEEEEEvT_T0_DpT1_.num_vgpr, 39
	.set _ZN2at6native12_GLOBAL__N_125multi_tensor_apply_kernelINS1_18TensorListMetadataILi2EEENS1_14UnaryOpFunctorIN3c104HalfELi2ELi1ELi1EEEJNS0_3ErfIfEEEEEvT_T0_DpT1_.num_agpr, 0
	.set _ZN2at6native12_GLOBAL__N_125multi_tensor_apply_kernelINS1_18TensorListMetadataILi2EEENS1_14UnaryOpFunctorIN3c104HalfELi2ELi1ELi1EEEJNS0_3ErfIfEEEEEvT_T0_DpT1_.numbered_sgpr, 20
	.set _ZN2at6native12_GLOBAL__N_125multi_tensor_apply_kernelINS1_18TensorListMetadataILi2EEENS1_14UnaryOpFunctorIN3c104HalfELi2ELi1ELi1EEEJNS0_3ErfIfEEEEEvT_T0_DpT1_.num_named_barrier, 0
	.set _ZN2at6native12_GLOBAL__N_125multi_tensor_apply_kernelINS1_18TensorListMetadataILi2EEENS1_14UnaryOpFunctorIN3c104HalfELi2ELi1ELi1EEEJNS0_3ErfIfEEEEEvT_T0_DpT1_.private_seg_size, 0
	.set _ZN2at6native12_GLOBAL__N_125multi_tensor_apply_kernelINS1_18TensorListMetadataILi2EEENS1_14UnaryOpFunctorIN3c104HalfELi2ELi1ELi1EEEJNS0_3ErfIfEEEEEvT_T0_DpT1_.uses_vcc, 1
	.set _ZN2at6native12_GLOBAL__N_125multi_tensor_apply_kernelINS1_18TensorListMetadataILi2EEENS1_14UnaryOpFunctorIN3c104HalfELi2ELi1ELi1EEEJNS0_3ErfIfEEEEEvT_T0_DpT1_.uses_flat_scratch, 0
	.set _ZN2at6native12_GLOBAL__N_125multi_tensor_apply_kernelINS1_18TensorListMetadataILi2EEENS1_14UnaryOpFunctorIN3c104HalfELi2ELi1ELi1EEEJNS0_3ErfIfEEEEEvT_T0_DpT1_.has_dyn_sized_stack, 0
	.set _ZN2at6native12_GLOBAL__N_125multi_tensor_apply_kernelINS1_18TensorListMetadataILi2EEENS1_14UnaryOpFunctorIN3c104HalfELi2ELi1ELi1EEEJNS0_3ErfIfEEEEEvT_T0_DpT1_.has_recursion, 0
	.set _ZN2at6native12_GLOBAL__N_125multi_tensor_apply_kernelINS1_18TensorListMetadataILi2EEENS1_14UnaryOpFunctorIN3c104HalfELi2ELi1ELi1EEEJNS0_3ErfIfEEEEEvT_T0_DpT1_.has_indirect_call, 0
	.section	.AMDGPU.csdata,"",@progbits
; Kernel info:
; codeLenInByte = 3816
; TotalNumSgprs: 22
; NumVgprs: 39
; ScratchSize: 0
; MemoryBound: 0
; FloatMode: 240
; IeeeMode: 1
; LDSByteSize: 0 bytes/workgroup (compile time only)
; SGPRBlocks: 0
; VGPRBlocks: 2
; NumSGPRsForWavesPerEU: 22
; NumVGPRsForWavesPerEU: 39
; NamedBarCnt: 0
; Occupancy: 16
; WaveLimiterHint : 0
; COMPUTE_PGM_RSRC2:SCRATCH_EN: 0
; COMPUTE_PGM_RSRC2:USER_SGPR: 2
; COMPUTE_PGM_RSRC2:TRAP_HANDLER: 0
; COMPUTE_PGM_RSRC2:TGID_X_EN: 1
; COMPUTE_PGM_RSRC2:TGID_Y_EN: 0
; COMPUTE_PGM_RSRC2:TGID_Z_EN: 0
; COMPUTE_PGM_RSRC2:TIDIG_COMP_CNT: 0
	.section	.text._ZN2at6native12_GLOBAL__N_125multi_tensor_apply_kernelINS1_18TensorListMetadataILi2EEENS1_14UnaryOpFunctorIN3c108BFloat16ELi2ELi1ELi1EEEJNS0_3ErfIfEEEEEvT_T0_DpT1_,"axG",@progbits,_ZN2at6native12_GLOBAL__N_125multi_tensor_apply_kernelINS1_18TensorListMetadataILi2EEENS1_14UnaryOpFunctorIN3c108BFloat16ELi2ELi1ELi1EEEJNS0_3ErfIfEEEEEvT_T0_DpT1_,comdat
	.globl	_ZN2at6native12_GLOBAL__N_125multi_tensor_apply_kernelINS1_18TensorListMetadataILi2EEENS1_14UnaryOpFunctorIN3c108BFloat16ELi2ELi1ELi1EEEJNS0_3ErfIfEEEEEvT_T0_DpT1_ ; -- Begin function _ZN2at6native12_GLOBAL__N_125multi_tensor_apply_kernelINS1_18TensorListMetadataILi2EEENS1_14UnaryOpFunctorIN3c108BFloat16ELi2ELi1ELi1EEEJNS0_3ErfIfEEEEEvT_T0_DpT1_
	.p2align	8
	.type	_ZN2at6native12_GLOBAL__N_125multi_tensor_apply_kernelINS1_18TensorListMetadataILi2EEENS1_14UnaryOpFunctorIN3c108BFloat16ELi2ELi1ELi1EEEJNS0_3ErfIfEEEEEvT_T0_DpT1_,@function
_ZN2at6native12_GLOBAL__N_125multi_tensor_apply_kernelINS1_18TensorListMetadataILi2EEENS1_14UnaryOpFunctorIN3c108BFloat16ELi2ELi1ELi1EEEJNS0_3ErfIfEEEEEvT_T0_DpT1_: ; @_ZN2at6native12_GLOBAL__N_125multi_tensor_apply_kernelINS1_18TensorListMetadataILi2EEENS1_14UnaryOpFunctorIN3c108BFloat16ELi2ELi1ELi1EEEJNS0_3ErfIfEEEEEvT_T0_DpT1_
; %bb.0:
	s_bfe_u32 s2, ttmp6, 0x4000c
	s_and_b32 s3, ttmp6, 15
	s_add_co_i32 s2, s2, 1
	s_getreg_b32 s4, hwreg(HW_REG_IB_STS2, 6, 4)
	s_mul_i32 s2, ttmp9, s2
	s_mov_b32 s7, 0
	s_add_co_i32 s3, s3, s2
	s_cmp_eq_u32 s4, 0
	s_mov_b32 s15, s7
	s_cselect_b32 s6, ttmp9, s3
	s_load_u8 s11, s[0:1], s6 offset:0x600
	s_add_nc_u64 s[2:3], s[0:1], s[6:7]
	s_mul_u64 s[4:5], s[6:7], 3
	s_delay_alu instid0(SALU_CYCLE_1)
	s_add_nc_u64 s[4:5], s[2:3], s[4:5]
	s_load_b32 s10, s[4:5], 0x740
	s_wait_kmcnt 0x0
	s_clause 0x2
	s_load_b64 s[2:3], s[0:1], s11 offset:0x0 scale_offset
	s_load_b64 s[8:9], s[0:1], s11 offset:0x200 scale_offset
	;; [unrolled: 1-line block ×3, first 2 shown]
	s_wait_xcnt 0x0
	s_ashr_i32 s11, s10, 31
	s_delay_alu instid0(SALU_CYCLE_1)
	s_lshl_b64 s[4:5], s[10:11], 17
	s_wait_kmcnt 0x0
	s_and_b64 s[18:19], s[8:9], 7
	s_add_nc_u64 s[16:17], s[2:3], s[4:5]
	s_and_b32 s14, s12, 3
	s_and_b32 s6, s16, 7
	s_or_b64 s[14:15], s[18:19], s[14:15]
	s_lshl_b64 s[10:11], s[10:11], 16
	s_or_b64 s[14:15], s[14:15], s[6:7]
	s_sub_nc_u64 s[6:7], s[12:13], s[10:11]
	s_cmp_eq_u64 s[14:15], 0
	s_mov_b32 s10, -1
	s_cbranch_scc0 .LBB240_21
; %bb.1:
	v_min_i64 v[2:3], 0x10000, s[6:7]
	v_dual_mov_b32 v5, 0 :: v_dual_lshlrev_b32 v4, 2, v0
	s_mov_b32 s14, exec_lo
	s_delay_alu instid0(VALU_DEP_1)
	v_cmpx_lt_i64_e64 v[4:5], v[2:3]
	s_cbranch_execz .LBB240_20
; %bb.2:
	s_load_b32 s10, s[0:1], 0xc5c
	v_dual_mov_b32 v1, v5 :: v_dual_lshlrev_b32 v4, 3, v0
	s_mov_b32 s11, 0
	s_mov_b32 s15, 0x378e98ab
	;; [unrolled: 1-line block ×3, first 2 shown]
	s_delay_alu instid0(VALU_DEP_1)
	v_add_nc_u64_e32 v[4:5], s[4:5], v[4:5]
	v_mov_b64_e32 v[6:7], v[0:1]
	s_mov_b32 s13, s11
	s_mov_b32 s17, s11
	s_wait_kmcnt 0x0
	s_and_b32 s10, s10, 0xffff
	s_delay_alu instid0(SALU_CYCLE_1)
	s_lshl_b32 s12, s10, 3
	s_branch .LBB240_4
.LBB240_3:                              ;   in Loop: Header=BB240_4 Depth=1
	s_or_b32 exec_lo, exec_lo, s18
	v_bfi_b32 v11, 0x7fffffff, v12, v11
	v_bfi_b32 v12, 0x7fffffff, v13, v8
	;; [unrolled: 1-line block ×4, first 2 shown]
	v_add_nc_u64_e32 v[6:7], s[10:11], v[6:7]
	v_bfe_u32 v8, v11, 16, 1
	v_bfe_u32 v9, v12, 16, 1
	;; [unrolled: 1-line block ×4, first 2 shown]
	v_cmp_o_f32_e32 vcc_lo, v11, v11
	v_add3_u32 v8, v11, v8, 0x7fff
	v_add3_u32 v9, v12, v9, 0x7fff
	;; [unrolled: 1-line block ×4, first 2 shown]
	s_delay_alu instid0(VALU_DEP_4) | instskip(NEXT) | instid1(VALU_DEP_4)
	v_and_b32_e32 v8, 0xffff0000, v8
	v_lshrrev_b32_e32 v15, 16, v9
	s_delay_alu instid0(VALU_DEP_4) | instskip(NEXT) | instid1(VALU_DEP_4)
	v_lshrrev_b32_e32 v9, 16, v13
	v_and_b32_e32 v13, 0xffff0000, v14
	s_delay_alu instid0(VALU_DEP_4) | instskip(SKIP_1) | instid1(VALU_DEP_4)
	v_cndmask_b32_e32 v11, 0x7fc00000, v8, vcc_lo
	v_cmp_o_f32_e32 vcc_lo, v1, v1
	v_cndmask_b32_e32 v1, 0x7fc0, v9, vcc_lo
	v_cmp_o_f32_e32 vcc_lo, v10, v10
	v_lshlrev_b64_e32 v[8:9], 2, v[6:7]
	s_delay_alu instid0(VALU_DEP_3)
	v_or_b32_e32 v1, v11, v1
	v_cndmask_b32_e32 v10, 0x7fc00000, v13, vcc_lo
	v_cmp_o_f32_e32 vcc_lo, v12, v12
	v_cndmask_b32_e32 v12, 0x7fc0, v15, vcc_lo
	v_cmp_ge_i64_e32 vcc_lo, v[8:9], v[2:3]
	v_add_nc_u64_e32 v[8:9], s[8:9], v[4:5]
	v_add_nc_u64_e32 v[4:5], s[12:13], v[4:5]
	s_delay_alu instid0(VALU_DEP_4)
	v_or3_b32 v11, 0, v12, v10
	v_or3_b32 v10, v1, 0, 0
	s_or_b32 s17, vcc_lo, s17
	global_store_b64 v[8:9], v[10:11], off
	s_wait_xcnt 0x0
	s_and_not1_b32 exec_lo, exec_lo, s17
	s_cbranch_execz .LBB240_20
.LBB240_4:                              ; =>This Inner Loop Header: Depth=1
	v_add_nc_u64_e32 v[8:9], s[2:3], v[4:5]
                                        ; implicit-def: $vgpr10
	global_load_b64 v[8:9], v[8:9], off
	s_wait_loadcnt 0x0
	v_lshlrev_b32_e32 v1, 16, v8
	s_delay_alu instid0(VALU_DEP_1) | instskip(SKIP_2) | instid1(SALU_CYCLE_1)
	v_cmp_nlt_f32_e64 s18, |v1|, 1.0
	s_wait_xcnt 0x0
	s_and_saveexec_b32 s19, s18
	s_xor_b32 s18, exec_lo, s19
	s_cbranch_execz .LBB240_6
; %bb.5:                                ;   in Loop: Header=BB240_4 Depth=1
	v_fma_f32 v10, |v1|, s15, 0xb9c68948
	s_delay_alu instid0(VALU_DEP_1) | instskip(NEXT) | instid1(VALU_DEP_1)
	v_fma_f32 v10, |v1|, v10, 0x3b7cd369
	v_fma_f32 v10, |v1|, v10, 0xbcc618b2
	s_delay_alu instid0(VALU_DEP_1) | instskip(NEXT) | instid1(VALU_DEP_1)
	v_fma_f32 v10, |v1|, v10, 0x3dda74e4
	v_fma_f32 v10, |v1|, v10, 0x3f228afd
	s_delay_alu instid0(VALU_DEP_1) | instskip(NEXT) | instid1(VALU_DEP_1)
	v_fma_f32 v10, |v1|, v10, 0x3e03c728
	v_fma_f32 v10, |v1|, v10, |v1|
	s_delay_alu instid0(VALU_DEP_1) | instskip(SKIP_1) | instid1(VALU_DEP_2)
	v_mul_f32_e32 v11, 0xbfb8aa3b, v10
	v_cmp_nlt_f32_e32 vcc_lo, 0x42ce8ed0, v10
	v_fma_f32 v12, 0xbfb8aa3b, v10, -v11
	v_rndne_f32_e32 v13, v11
	s_delay_alu instid0(VALU_DEP_1) | instskip(NEXT) | instid1(VALU_DEP_1)
	v_dual_fmac_f32 v12, 0xb2a5705f, v10 :: v_dual_sub_f32 v11, v11, v13
	v_add_f32_e32 v11, v11, v12
	v_cvt_i32_f32_e32 v12, v13
	s_delay_alu instid0(VALU_DEP_2) | instskip(SKIP_1) | instid1(TRANS32_DEP_1)
	v_exp_f32_e32 v11, v11
	v_nop
	v_ldexp_f32 v11, v11, v12
	s_delay_alu instid0(VALU_DEP_1) | instskip(SKIP_1) | instid1(VALU_DEP_2)
	v_cndmask_b32_e32 v11, 0, v11, vcc_lo
	v_cmp_ngt_f32_e32 vcc_lo, 0xc2b17218, v10
	v_cndmask_b32_e32 v10, 0x7f800000, v11, vcc_lo
	s_delay_alu instid0(VALU_DEP_1)
	v_sub_f32_e32 v10, 1.0, v10
.LBB240_6:                              ;   in Loop: Header=BB240_4 Depth=1
	s_and_not1_saveexec_b32 s18, s18
	s_cbranch_execz .LBB240_8
; %bb.7:                                ;   in Loop: Header=BB240_4 Depth=1
	v_mul_f32_e32 v10, v1, v1
	s_delay_alu instid0(VALU_DEP_1) | instskip(NEXT) | instid1(VALU_DEP_1)
	v_fmaak_f32 v11, s16, v10, 0x3ba10414
	v_fmaak_f32 v11, v10, v11, 0xbcdac9b8
	s_delay_alu instid0(VALU_DEP_1) | instskip(NEXT) | instid1(VALU_DEP_1)
	v_fmaak_f32 v11, v10, v11, 0x3de703be
	v_fmaak_f32 v11, v10, v11, 0xbec09330
	s_delay_alu instid0(VALU_DEP_1) | instskip(NEXT) | instid1(VALU_DEP_1)
	v_fmaak_f32 v10, v10, v11, 0x3e0375d0
	v_fma_f32 v10, |v1|, v10, |v1|
.LBB240_8:                              ;   in Loop: Header=BB240_4 Depth=1
	s_or_b32 exec_lo, exec_lo, s18
	v_and_b32_e32 v11, 0xffff0000, v8
                                        ; implicit-def: $vgpr12
	s_delay_alu instid0(VALU_DEP_1) | instskip(SKIP_1) | instid1(SALU_CYCLE_1)
	v_cmp_nlt_f32_e64 s18, |v11|, 1.0
	s_and_saveexec_b32 s19, s18
	s_xor_b32 s18, exec_lo, s19
	s_cbranch_execz .LBB240_10
; %bb.9:                                ;   in Loop: Header=BB240_4 Depth=1
	v_fma_f32 v12, |v11|, s15, 0xb9c68948
	s_delay_alu instid0(VALU_DEP_1) | instskip(NEXT) | instid1(VALU_DEP_1)
	v_fma_f32 v12, |v11|, v12, 0x3b7cd369
	v_fma_f32 v12, |v11|, v12, 0xbcc618b2
	s_delay_alu instid0(VALU_DEP_1) | instskip(NEXT) | instid1(VALU_DEP_1)
	v_fma_f32 v12, |v11|, v12, 0x3dda74e4
	;; [unrolled: 3-line block ×3, first 2 shown]
	v_fma_f32 v12, |v11|, v12, |v11|
	s_delay_alu instid0(VALU_DEP_1) | instskip(SKIP_1) | instid1(VALU_DEP_2)
	v_mul_f32_e32 v13, 0xbfb8aa3b, v12
	v_cmp_nlt_f32_e32 vcc_lo, 0x42ce8ed0, v12
	v_fma_f32 v14, 0xbfb8aa3b, v12, -v13
	v_rndne_f32_e32 v15, v13
	s_delay_alu instid0(VALU_DEP_1) | instskip(NEXT) | instid1(VALU_DEP_1)
	v_dual_fmac_f32 v14, 0xb2a5705f, v12 :: v_dual_sub_f32 v13, v13, v15
	v_add_f32_e32 v13, v13, v14
	v_cvt_i32_f32_e32 v14, v15
	s_delay_alu instid0(VALU_DEP_2) | instskip(SKIP_1) | instid1(TRANS32_DEP_1)
	v_exp_f32_e32 v13, v13
	v_nop
	v_ldexp_f32 v13, v13, v14
	s_delay_alu instid0(VALU_DEP_1) | instskip(SKIP_1) | instid1(VALU_DEP_2)
	v_cndmask_b32_e32 v13, 0, v13, vcc_lo
	v_cmp_ngt_f32_e32 vcc_lo, 0xc2b17218, v12
	v_cndmask_b32_e32 v12, 0x7f800000, v13, vcc_lo
	s_delay_alu instid0(VALU_DEP_1)
	v_sub_f32_e32 v12, 1.0, v12
.LBB240_10:                             ;   in Loop: Header=BB240_4 Depth=1
	s_and_not1_saveexec_b32 s18, s18
	s_cbranch_execz .LBB240_12
; %bb.11:                               ;   in Loop: Header=BB240_4 Depth=1
	v_mul_f32_e32 v12, v11, v11
	s_delay_alu instid0(VALU_DEP_1) | instskip(NEXT) | instid1(VALU_DEP_1)
	v_fmaak_f32 v13, s16, v12, 0x3ba10414
	v_fmaak_f32 v13, v12, v13, 0xbcdac9b8
	s_delay_alu instid0(VALU_DEP_1) | instskip(NEXT) | instid1(VALU_DEP_1)
	v_fmaak_f32 v13, v12, v13, 0x3de703be
	v_fmaak_f32 v13, v12, v13, 0xbec09330
	s_delay_alu instid0(VALU_DEP_1) | instskip(NEXT) | instid1(VALU_DEP_1)
	v_fmaak_f32 v12, v12, v13, 0x3e0375d0
	v_fma_f32 v12, |v11|, v12, |v11|
.LBB240_12:                             ;   in Loop: Header=BB240_4 Depth=1
	s_or_b32 exec_lo, exec_lo, s18
	v_alignbit_b32 v8, v9, v8, 16
                                        ; implicit-def: $vgpr13
	s_delay_alu instid0(VALU_DEP_1) | instskip(NEXT) | instid1(VALU_DEP_1)
	v_and_b32_e32 v8, 0xffff0000, v8
	v_cmp_nlt_f32_e64 s18, |v8|, 1.0
	s_and_saveexec_b32 s19, s18
	s_delay_alu instid0(SALU_CYCLE_1)
	s_xor_b32 s18, exec_lo, s19
	s_cbranch_execz .LBB240_14
; %bb.13:                               ;   in Loop: Header=BB240_4 Depth=1
	v_fma_f32 v13, |v8|, s15, 0xb9c68948
	s_delay_alu instid0(VALU_DEP_1) | instskip(NEXT) | instid1(VALU_DEP_1)
	v_fma_f32 v13, |v8|, v13, 0x3b7cd369
	v_fma_f32 v13, |v8|, v13, 0xbcc618b2
	s_delay_alu instid0(VALU_DEP_1) | instskip(NEXT) | instid1(VALU_DEP_1)
	v_fma_f32 v13, |v8|, v13, 0x3dda74e4
	;; [unrolled: 3-line block ×3, first 2 shown]
	v_fma_f32 v13, |v8|, v13, |v8|
	s_delay_alu instid0(VALU_DEP_1) | instskip(SKIP_1) | instid1(VALU_DEP_2)
	v_mul_f32_e32 v14, 0xbfb8aa3b, v13
	v_cmp_nlt_f32_e32 vcc_lo, 0x42ce8ed0, v13
	v_fma_f32 v15, 0xbfb8aa3b, v13, -v14
	v_rndne_f32_e32 v16, v14
	s_delay_alu instid0(VALU_DEP_1) | instskip(NEXT) | instid1(VALU_DEP_1)
	v_dual_fmac_f32 v15, 0xb2a5705f, v13 :: v_dual_sub_f32 v14, v14, v16
	v_add_f32_e32 v14, v14, v15
	v_cvt_i32_f32_e32 v15, v16
	s_delay_alu instid0(VALU_DEP_2) | instskip(SKIP_1) | instid1(TRANS32_DEP_1)
	v_exp_f32_e32 v14, v14
	v_nop
	v_ldexp_f32 v14, v14, v15
	s_delay_alu instid0(VALU_DEP_1) | instskip(SKIP_1) | instid1(VALU_DEP_2)
	v_cndmask_b32_e32 v14, 0, v14, vcc_lo
	v_cmp_ngt_f32_e32 vcc_lo, 0xc2b17218, v13
	v_cndmask_b32_e32 v13, 0x7f800000, v14, vcc_lo
	s_delay_alu instid0(VALU_DEP_1)
	v_sub_f32_e32 v13, 1.0, v13
.LBB240_14:                             ;   in Loop: Header=BB240_4 Depth=1
	s_and_not1_saveexec_b32 s18, s18
	s_cbranch_execz .LBB240_16
; %bb.15:                               ;   in Loop: Header=BB240_4 Depth=1
	v_mul_f32_e32 v13, v8, v8
	s_delay_alu instid0(VALU_DEP_1) | instskip(NEXT) | instid1(VALU_DEP_1)
	v_fmaak_f32 v14, s16, v13, 0x3ba10414
	v_fmaak_f32 v14, v13, v14, 0xbcdac9b8
	s_delay_alu instid0(VALU_DEP_1) | instskip(NEXT) | instid1(VALU_DEP_1)
	v_fmaak_f32 v14, v13, v14, 0x3de703be
	v_fmaak_f32 v14, v13, v14, 0xbec09330
	s_delay_alu instid0(VALU_DEP_1) | instskip(NEXT) | instid1(VALU_DEP_1)
	v_fmaak_f32 v13, v13, v14, 0x3e0375d0
	v_fma_f32 v13, |v8|, v13, |v8|
.LBB240_16:                             ;   in Loop: Header=BB240_4 Depth=1
	s_or_b32 exec_lo, exec_lo, s18
	v_and_b32_e32 v9, 0xffff0000, v9
                                        ; implicit-def: $vgpr14
	s_delay_alu instid0(VALU_DEP_1) | instskip(SKIP_1) | instid1(SALU_CYCLE_1)
	v_cmp_nlt_f32_e64 s18, |v9|, 1.0
	s_and_saveexec_b32 s19, s18
	s_xor_b32 s18, exec_lo, s19
	s_cbranch_execz .LBB240_18
; %bb.17:                               ;   in Loop: Header=BB240_4 Depth=1
	v_fma_f32 v14, |v9|, s15, 0xb9c68948
	s_delay_alu instid0(VALU_DEP_1) | instskip(NEXT) | instid1(VALU_DEP_1)
	v_fma_f32 v14, |v9|, v14, 0x3b7cd369
	v_fma_f32 v14, |v9|, v14, 0xbcc618b2
	s_delay_alu instid0(VALU_DEP_1) | instskip(NEXT) | instid1(VALU_DEP_1)
	v_fma_f32 v14, |v9|, v14, 0x3dda74e4
	;; [unrolled: 3-line block ×3, first 2 shown]
	v_fma_f32 v14, |v9|, v14, |v9|
	s_delay_alu instid0(VALU_DEP_1) | instskip(SKIP_1) | instid1(VALU_DEP_2)
	v_mul_f32_e32 v15, 0xbfb8aa3b, v14
	v_cmp_nlt_f32_e32 vcc_lo, 0x42ce8ed0, v14
	v_fma_f32 v16, 0xbfb8aa3b, v14, -v15
	v_rndne_f32_e32 v17, v15
	s_delay_alu instid0(VALU_DEP_1) | instskip(NEXT) | instid1(VALU_DEP_1)
	v_dual_fmac_f32 v16, 0xb2a5705f, v14 :: v_dual_sub_f32 v15, v15, v17
	v_add_f32_e32 v15, v15, v16
	v_cvt_i32_f32_e32 v16, v17
	s_delay_alu instid0(VALU_DEP_2) | instskip(SKIP_1) | instid1(TRANS32_DEP_1)
	v_exp_f32_e32 v15, v15
	v_nop
	v_ldexp_f32 v15, v15, v16
	s_delay_alu instid0(VALU_DEP_1) | instskip(SKIP_1) | instid1(VALU_DEP_2)
	v_cndmask_b32_e32 v15, 0, v15, vcc_lo
	v_cmp_ngt_f32_e32 vcc_lo, 0xc2b17218, v14
	v_cndmask_b32_e32 v14, 0x7f800000, v15, vcc_lo
	s_delay_alu instid0(VALU_DEP_1)
	v_sub_f32_e32 v14, 1.0, v14
.LBB240_18:                             ;   in Loop: Header=BB240_4 Depth=1
	s_and_not1_saveexec_b32 s18, s18
	s_cbranch_execz .LBB240_3
; %bb.19:                               ;   in Loop: Header=BB240_4 Depth=1
	v_mul_f32_e32 v14, v9, v9
	s_delay_alu instid0(VALU_DEP_1) | instskip(NEXT) | instid1(VALU_DEP_1)
	v_fmaak_f32 v15, s16, v14, 0x3ba10414
	v_fmaak_f32 v15, v14, v15, 0xbcdac9b8
	s_delay_alu instid0(VALU_DEP_1) | instskip(NEXT) | instid1(VALU_DEP_1)
	v_fmaak_f32 v15, v14, v15, 0x3de703be
	v_fmaak_f32 v15, v14, v15, 0xbec09330
	s_delay_alu instid0(VALU_DEP_1) | instskip(NEXT) | instid1(VALU_DEP_1)
	v_fmaak_f32 v14, v14, v15, 0x3e0375d0
	v_fma_f32 v14, |v9|, v14, |v9|
	s_branch .LBB240_3
.LBB240_20:
	s_or_b32 exec_lo, exec_lo, s14
	s_mov_b32 s10, 0
.LBB240_21:
	s_delay_alu instid0(SALU_CYCLE_1)
	s_and_not1_b32 vcc_lo, exec_lo, s10
	s_cbranch_vccnz .LBB240_57
; %bb.22:
	v_cmp_lt_i64_e64 s10, s[6:7], 1
	s_and_b32 vcc_lo, exec_lo, s10
	s_cbranch_vccnz .LBB240_57
; %bb.23:
	s_load_b32 s0, s[0:1], 0xc5c
	v_min_i64 v[2:3], 0x10000, s[6:7]
	v_min_u64 v[4:5], 0x10000, s[6:7]
	v_dual_mov_b32 v1, 0 :: v_dual_lshlrev_b32 v10, 1, v0
	s_wait_xcnt 0x0
	s_mov_b32 s1, 0
	s_delay_alu instid0(SALU_CYCLE_1) | instskip(NEXT) | instid1(VALU_DEP_1)
	s_mov_b32 s7, s1
	v_dual_mov_b32 v11, v1 :: v_dual_mov_b32 v27, v1
	s_mov_b32 s11, s1
	s_mov_b32 s13, s1
	s_delay_alu instid0(VALU_DEP_1) | instskip(SKIP_2) | instid1(SALU_CYCLE_1)
	v_add_nc_u64_e32 v[6:7], s[2:3], v[10:11]
	s_wait_kmcnt 0x0
	s_and_b32 s0, s0, 0xffff
	v_add_nc_u64_e32 v[8:9], s[0:1], v[0:1]
	v_mad_nc_u64_u32 v[22:23], s0, 6, v[10:11]
	s_lshl_b32 s6, s0, 2
	s_mul_i32 s12, s0, 3
	v_add_nc_u64_e32 v[18:19], s[6:7], v[10:11]
	s_lshl_b32 s10, s0, 1
	v_add_nc_u64_e32 v[10:11], s[8:9], v[10:11]
	v_lshlrev_b32_e32 v26, 1, v8
	v_add_nc_u64_e32 v[12:13], s[12:13], v[0:1]
	v_add_nc_u64_e32 v[14:15], s[10:11], v[0:1]
	s_mov_b64 s[10:11], 0
	v_add_nc_u64_e32 v[16:17], s[2:3], v[18:19]
	v_add_nc_u64_e32 v[18:19], s[8:9], v[18:19]
	;; [unrolled: 1-line block ×6, first 2 shown]
	s_lshl_b32 s8, s0, 3
	s_mov_b32 s9, s1
	s_mov_b32 s12, 0x378e98ab
	;; [unrolled: 1-line block ×3, first 2 shown]
	s_branch .LBB240_25
.LBB240_24:                             ;   in Loop: Header=BB240_25 Depth=1
	s_wait_xcnt 0x0
	s_or_b32 exec_lo, exec_lo, s0
	s_add_nc_u64 s[10:11], s[10:11], s[6:7]
	v_add_nc_u64_e32 v[6:7], s[8:9], v[6:7]
	v_cmp_ge_i64_e32 vcc_lo, s[10:11], v[2:3]
	v_add_nc_u64_e32 v[10:11], s[8:9], v[10:11]
	v_add_nc_u64_e32 v[20:21], s[8:9], v[20:21]
	;; [unrolled: 1-line block ×7, first 2 shown]
	s_cbranch_vccnz .LBB240_57
.LBB240_25:                             ; =>This Inner Loop Header: Depth=1
	v_add_nc_u64_e32 v[28:29], s[10:11], v[0:1]
	v_mov_b32_e32 v31, 0
	s_delay_alu instid0(VALU_DEP_2)
	v_cmp_lt_u64_e64 s2, v[28:29], v[4:5]
	s_and_saveexec_b32 s0, s2
	s_cbranch_execz .LBB240_27
; %bb.26:                               ;   in Loop: Header=BB240_25 Depth=1
	v_add_nc_u64_e32 v[28:29], s[4:5], v[6:7]
	global_load_u16 v28, v[28:29], off
	s_wait_loadcnt 0x0
	v_lshlrev_b32_e32 v31, 16, v28
.LBB240_27:                             ;   in Loop: Header=BB240_25 Depth=1
	s_wait_xcnt 0x0
	s_or_b32 exec_lo, exec_lo, s0
	v_add_nc_u64_e32 v[28:29], s[10:11], v[8:9]
	v_mov_b32_e32 v30, 0
	s_delay_alu instid0(VALU_DEP_2)
	v_cmp_lt_u64_e64 s1, v[28:29], v[4:5]
	v_mov_b32_e32 v28, 0
	s_and_saveexec_b32 s0, s1
	s_cbranch_execz .LBB240_29
; %bb.28:                               ;   in Loop: Header=BB240_25 Depth=1
	v_add_nc_u64_e32 v[32:33], s[4:5], v[24:25]
	global_load_u16 v29, v[32:33], off
	s_wait_loadcnt 0x0
	v_lshlrev_b32_e32 v30, 16, v29
.LBB240_29:                             ;   in Loop: Header=BB240_25 Depth=1
	s_wait_xcnt 0x0
	s_or_b32 exec_lo, exec_lo, s0
	v_add_nc_u64_e32 v[32:33], s[10:11], v[14:15]
	s_delay_alu instid0(VALU_DEP_1)
	v_cmp_lt_u64_e64 s0, v[32:33], v[4:5]
	s_and_saveexec_b32 s3, s0
	s_cbranch_execz .LBB240_31
; %bb.30:                               ;   in Loop: Header=BB240_25 Depth=1
	v_add_nc_u64_e32 v[28:29], s[4:5], v[16:17]
	global_load_u16 v28, v[28:29], off
	s_wait_loadcnt 0x0
	v_lshlrev_b32_e32 v28, 16, v28
.LBB240_31:                             ;   in Loop: Header=BB240_25 Depth=1
	s_or_b32 exec_lo, exec_lo, s3
	v_add_nc_u64_e32 v[32:33], s[10:11], v[12:13]
	v_mov_b32_e32 v29, 0
	s_delay_alu instid0(VALU_DEP_2)
	v_cmp_lt_u64_e32 vcc_lo, v[32:33], v[4:5]
	s_and_saveexec_b32 s3, vcc_lo
	s_cbranch_execz .LBB240_33
; %bb.32:                               ;   in Loop: Header=BB240_25 Depth=1
	v_add_nc_u64_e32 v[32:33], s[4:5], v[20:21]
	global_load_u16 v29, v[32:33], off
	s_wait_loadcnt 0x0
	v_lshlrev_b32_e32 v29, 16, v29
.LBB240_33:                             ;   in Loop: Header=BB240_25 Depth=1
	s_wait_xcnt 0x0
	s_or_b32 exec_lo, exec_lo, s3
	s_delay_alu instid0(SALU_CYCLE_1)
	s_mov_b32 s14, exec_lo
                                        ; implicit-def: $vgpr32
	v_cmpx_nlt_f32_e64 |v31|, 1.0
	s_xor_b32 s14, exec_lo, s14
	s_cbranch_execz .LBB240_35
; %bb.34:                               ;   in Loop: Header=BB240_25 Depth=1
	v_fma_f32 v32, |v31|, s12, 0xb9c68948
	s_delay_alu instid0(VALU_DEP_1) | instskip(NEXT) | instid1(VALU_DEP_1)
	v_fma_f32 v32, |v31|, v32, 0x3b7cd369
	v_fma_f32 v32, |v31|, v32, 0xbcc618b2
	s_delay_alu instid0(VALU_DEP_1) | instskip(NEXT) | instid1(VALU_DEP_1)
	v_fma_f32 v32, |v31|, v32, 0x3dda74e4
	;; [unrolled: 3-line block ×3, first 2 shown]
	v_fma_f32 v32, |v31|, v32, |v31|
	s_delay_alu instid0(VALU_DEP_1) | instskip(SKIP_1) | instid1(VALU_DEP_2)
	v_mul_f32_e32 v33, 0xbfb8aa3b, v32
	v_cmp_nlt_f32_e64 s3, 0x42ce8ed0, v32
	v_fma_f32 v34, 0xbfb8aa3b, v32, -v33
	v_rndne_f32_e32 v35, v33
	s_delay_alu instid0(VALU_DEP_1) | instskip(NEXT) | instid1(VALU_DEP_1)
	v_dual_fmac_f32 v34, 0xb2a5705f, v32 :: v_dual_sub_f32 v33, v33, v35
	v_add_f32_e32 v33, v33, v34
	v_cvt_i32_f32_e32 v34, v35
	s_delay_alu instid0(VALU_DEP_2) | instskip(SKIP_1) | instid1(TRANS32_DEP_1)
	v_exp_f32_e32 v33, v33
	v_nop
	v_ldexp_f32 v33, v33, v34
	s_delay_alu instid0(VALU_DEP_1) | instskip(SKIP_1) | instid1(VALU_DEP_1)
	v_cndmask_b32_e64 v33, 0, v33, s3
	v_cmp_ngt_f32_e64 s3, 0xc2b17218, v32
	v_cndmask_b32_e64 v32, 0x7f800000, v33, s3
	s_delay_alu instid0(VALU_DEP_1)
	v_sub_f32_e32 v32, 1.0, v32
.LBB240_35:                             ;   in Loop: Header=BB240_25 Depth=1
	s_and_not1_saveexec_b32 s3, s14
	s_cbranch_execz .LBB240_37
; %bb.36:                               ;   in Loop: Header=BB240_25 Depth=1
	v_mul_f32_e32 v32, v31, v31
	s_delay_alu instid0(VALU_DEP_1) | instskip(NEXT) | instid1(VALU_DEP_1)
	v_fmaak_f32 v33, s13, v32, 0x3ba10414
	v_fmaak_f32 v33, v32, v33, 0xbcdac9b8
	s_delay_alu instid0(VALU_DEP_1) | instskip(NEXT) | instid1(VALU_DEP_1)
	v_fmaak_f32 v33, v32, v33, 0x3de703be
	v_fmaak_f32 v33, v32, v33, 0xbec09330
	s_delay_alu instid0(VALU_DEP_1) | instskip(NEXT) | instid1(VALU_DEP_1)
	v_fmaak_f32 v32, v32, v33, 0x3e0375d0
	v_fma_f32 v32, |v31|, v32, |v31|
.LBB240_37:                             ;   in Loop: Header=BB240_25 Depth=1
	s_or_b32 exec_lo, exec_lo, s3
	s_delay_alu instid0(SALU_CYCLE_1)
	s_mov_b32 s14, exec_lo
                                        ; implicit-def: $vgpr33
	v_cmpx_nlt_f32_e64 |v30|, 1.0
	s_xor_b32 s14, exec_lo, s14
	s_cbranch_execz .LBB240_39
; %bb.38:                               ;   in Loop: Header=BB240_25 Depth=1
	v_fma_f32 v33, |v30|, s12, 0xb9c68948
	s_delay_alu instid0(VALU_DEP_1) | instskip(NEXT) | instid1(VALU_DEP_1)
	v_fma_f32 v33, |v30|, v33, 0x3b7cd369
	v_fma_f32 v33, |v30|, v33, 0xbcc618b2
	s_delay_alu instid0(VALU_DEP_1) | instskip(NEXT) | instid1(VALU_DEP_1)
	v_fma_f32 v33, |v30|, v33, 0x3dda74e4
	;; [unrolled: 3-line block ×3, first 2 shown]
	v_fma_f32 v33, |v30|, v33, |v30|
	s_delay_alu instid0(VALU_DEP_1) | instskip(SKIP_1) | instid1(VALU_DEP_2)
	v_mul_f32_e32 v34, 0xbfb8aa3b, v33
	v_cmp_nlt_f32_e64 s3, 0x42ce8ed0, v33
	v_fma_f32 v35, 0xbfb8aa3b, v33, -v34
	v_rndne_f32_e32 v36, v34
	s_delay_alu instid0(VALU_DEP_1) | instskip(NEXT) | instid1(VALU_DEP_1)
	v_dual_fmac_f32 v35, 0xb2a5705f, v33 :: v_dual_sub_f32 v34, v34, v36
	v_add_f32_e32 v34, v34, v35
	v_cvt_i32_f32_e32 v35, v36
	s_delay_alu instid0(VALU_DEP_2) | instskip(SKIP_1) | instid1(TRANS32_DEP_1)
	v_exp_f32_e32 v34, v34
	v_nop
	v_ldexp_f32 v34, v34, v35
	s_delay_alu instid0(VALU_DEP_1) | instskip(SKIP_1) | instid1(VALU_DEP_1)
	v_cndmask_b32_e64 v34, 0, v34, s3
	v_cmp_ngt_f32_e64 s3, 0xc2b17218, v33
	v_cndmask_b32_e64 v33, 0x7f800000, v34, s3
	s_delay_alu instid0(VALU_DEP_1)
	v_sub_f32_e32 v33, 1.0, v33
.LBB240_39:                             ;   in Loop: Header=BB240_25 Depth=1
	s_and_not1_saveexec_b32 s3, s14
	s_cbranch_execz .LBB240_41
; %bb.40:                               ;   in Loop: Header=BB240_25 Depth=1
	v_mul_f32_e32 v33, v30, v30
	s_delay_alu instid0(VALU_DEP_1) | instskip(NEXT) | instid1(VALU_DEP_1)
	v_fmaak_f32 v34, s13, v33, 0x3ba10414
	v_fmaak_f32 v34, v33, v34, 0xbcdac9b8
	s_delay_alu instid0(VALU_DEP_1) | instskip(NEXT) | instid1(VALU_DEP_1)
	v_fmaak_f32 v34, v33, v34, 0x3de703be
	v_fmaak_f32 v34, v33, v34, 0xbec09330
	s_delay_alu instid0(VALU_DEP_1) | instskip(NEXT) | instid1(VALU_DEP_1)
	v_fmaak_f32 v33, v33, v34, 0x3e0375d0
	v_fma_f32 v33, |v30|, v33, |v30|
.LBB240_41:                             ;   in Loop: Header=BB240_25 Depth=1
	s_or_b32 exec_lo, exec_lo, s3
	s_delay_alu instid0(SALU_CYCLE_1)
	s_mov_b32 s14, exec_lo
                                        ; implicit-def: $vgpr34
	v_cmpx_nlt_f32_e64 |v28|, 1.0
	s_xor_b32 s14, exec_lo, s14
	s_cbranch_execz .LBB240_43
; %bb.42:                               ;   in Loop: Header=BB240_25 Depth=1
	v_fma_f32 v34, |v28|, s12, 0xb9c68948
	s_delay_alu instid0(VALU_DEP_1) | instskip(NEXT) | instid1(VALU_DEP_1)
	v_fma_f32 v34, |v28|, v34, 0x3b7cd369
	v_fma_f32 v34, |v28|, v34, 0xbcc618b2
	s_delay_alu instid0(VALU_DEP_1) | instskip(NEXT) | instid1(VALU_DEP_1)
	v_fma_f32 v34, |v28|, v34, 0x3dda74e4
	;; [unrolled: 3-line block ×3, first 2 shown]
	v_fma_f32 v34, |v28|, v34, |v28|
	s_delay_alu instid0(VALU_DEP_1) | instskip(SKIP_1) | instid1(VALU_DEP_2)
	v_mul_f32_e32 v35, 0xbfb8aa3b, v34
	v_cmp_nlt_f32_e64 s3, 0x42ce8ed0, v34
	v_fma_f32 v36, 0xbfb8aa3b, v34, -v35
	v_rndne_f32_e32 v37, v35
	s_delay_alu instid0(VALU_DEP_1) | instskip(NEXT) | instid1(VALU_DEP_1)
	v_dual_fmac_f32 v36, 0xb2a5705f, v34 :: v_dual_sub_f32 v35, v35, v37
	v_add_f32_e32 v35, v35, v36
	v_cvt_i32_f32_e32 v36, v37
	s_delay_alu instid0(VALU_DEP_2) | instskip(SKIP_1) | instid1(TRANS32_DEP_1)
	v_exp_f32_e32 v35, v35
	v_nop
	v_ldexp_f32 v35, v35, v36
	s_delay_alu instid0(VALU_DEP_1) | instskip(SKIP_1) | instid1(VALU_DEP_1)
	v_cndmask_b32_e64 v35, 0, v35, s3
	v_cmp_ngt_f32_e64 s3, 0xc2b17218, v34
	v_cndmask_b32_e64 v34, 0x7f800000, v35, s3
	s_delay_alu instid0(VALU_DEP_1)
	v_sub_f32_e32 v34, 1.0, v34
.LBB240_43:                             ;   in Loop: Header=BB240_25 Depth=1
	s_and_not1_saveexec_b32 s3, s14
	s_cbranch_execz .LBB240_45
; %bb.44:                               ;   in Loop: Header=BB240_25 Depth=1
	v_mul_f32_e32 v34, v28, v28
	s_delay_alu instid0(VALU_DEP_1) | instskip(NEXT) | instid1(VALU_DEP_1)
	v_fmaak_f32 v35, s13, v34, 0x3ba10414
	v_fmaak_f32 v35, v34, v35, 0xbcdac9b8
	s_delay_alu instid0(VALU_DEP_1) | instskip(NEXT) | instid1(VALU_DEP_1)
	v_fmaak_f32 v35, v34, v35, 0x3de703be
	v_fmaak_f32 v35, v34, v35, 0xbec09330
	s_delay_alu instid0(VALU_DEP_1) | instskip(NEXT) | instid1(VALU_DEP_1)
	v_fmaak_f32 v34, v34, v35, 0x3e0375d0
	v_fma_f32 v34, |v28|, v34, |v28|
.LBB240_45:                             ;   in Loop: Header=BB240_25 Depth=1
	s_or_b32 exec_lo, exec_lo, s3
	s_delay_alu instid0(SALU_CYCLE_1)
	s_mov_b32 s14, exec_lo
                                        ; implicit-def: $vgpr35
	v_cmpx_nlt_f32_e64 |v29|, 1.0
	s_xor_b32 s14, exec_lo, s14
	s_cbranch_execnz .LBB240_51
; %bb.46:                               ;   in Loop: Header=BB240_25 Depth=1
	s_and_not1_saveexec_b32 s3, s14
	s_cbranch_execnz .LBB240_52
.LBB240_47:                             ;   in Loop: Header=BB240_25 Depth=1
	s_or_b32 exec_lo, exec_lo, s3
	s_and_saveexec_b32 s3, s2
	s_delay_alu instid0(SALU_CYCLE_1)
	s_xor_b32 s3, exec_lo, s3
	s_cbranch_execnz .LBB240_53
.LBB240_48:                             ;   in Loop: Header=BB240_25 Depth=1
	s_or_b32 exec_lo, exec_lo, s3
	s_and_saveexec_b32 s2, s1
	s_cbranch_execnz .LBB240_54
.LBB240_49:                             ;   in Loop: Header=BB240_25 Depth=1
	s_or_b32 exec_lo, exec_lo, s2
	s_and_saveexec_b32 s1, s0
	s_cbranch_execnz .LBB240_55
.LBB240_50:                             ;   in Loop: Header=BB240_25 Depth=1
	s_or_b32 exec_lo, exec_lo, s1
	s_and_saveexec_b32 s0, vcc_lo
	s_cbranch_execz .LBB240_24
	s_branch .LBB240_56
.LBB240_51:                             ;   in Loop: Header=BB240_25 Depth=1
	v_fma_f32 v35, |v29|, s12, 0xb9c68948
	s_delay_alu instid0(VALU_DEP_1) | instskip(NEXT) | instid1(VALU_DEP_1)
	v_fma_f32 v35, |v29|, v35, 0x3b7cd369
	v_fma_f32 v35, |v29|, v35, 0xbcc618b2
	s_delay_alu instid0(VALU_DEP_1) | instskip(NEXT) | instid1(VALU_DEP_1)
	v_fma_f32 v35, |v29|, v35, 0x3dda74e4
	;; [unrolled: 3-line block ×3, first 2 shown]
	v_fma_f32 v35, |v29|, v35, |v29|
	s_delay_alu instid0(VALU_DEP_1) | instskip(SKIP_1) | instid1(VALU_DEP_2)
	v_mul_f32_e32 v36, 0xbfb8aa3b, v35
	v_cmp_nlt_f32_e64 s3, 0x42ce8ed0, v35
	v_fma_f32 v37, 0xbfb8aa3b, v35, -v36
	v_rndne_f32_e32 v38, v36
	s_delay_alu instid0(VALU_DEP_1) | instskip(NEXT) | instid1(VALU_DEP_1)
	v_dual_fmac_f32 v37, 0xb2a5705f, v35 :: v_dual_sub_f32 v36, v36, v38
	v_add_f32_e32 v36, v36, v37
	v_cvt_i32_f32_e32 v37, v38
	s_delay_alu instid0(VALU_DEP_2) | instskip(SKIP_1) | instid1(TRANS32_DEP_1)
	v_exp_f32_e32 v36, v36
	v_nop
	v_ldexp_f32 v36, v36, v37
	s_delay_alu instid0(VALU_DEP_1) | instskip(SKIP_1) | instid1(VALU_DEP_1)
	v_cndmask_b32_e64 v36, 0, v36, s3
	v_cmp_ngt_f32_e64 s3, 0xc2b17218, v35
	v_cndmask_b32_e64 v35, 0x7f800000, v36, s3
	s_delay_alu instid0(VALU_DEP_1)
	v_sub_f32_e32 v35, 1.0, v35
	s_and_not1_saveexec_b32 s3, s14
	s_cbranch_execz .LBB240_47
.LBB240_52:                             ;   in Loop: Header=BB240_25 Depth=1
	v_mul_f32_e32 v35, v29, v29
	s_delay_alu instid0(VALU_DEP_1) | instskip(NEXT) | instid1(VALU_DEP_1)
	v_fmaak_f32 v36, s13, v35, 0x3ba10414
	v_fmaak_f32 v36, v35, v36, 0xbcdac9b8
	s_delay_alu instid0(VALU_DEP_1) | instskip(NEXT) | instid1(VALU_DEP_1)
	v_fmaak_f32 v36, v35, v36, 0x3de703be
	v_fmaak_f32 v36, v35, v36, 0xbec09330
	s_delay_alu instid0(VALU_DEP_1) | instskip(NEXT) | instid1(VALU_DEP_1)
	v_fmaak_f32 v35, v35, v36, 0x3e0375d0
	v_fma_f32 v35, |v29|, v35, |v29|
	s_or_b32 exec_lo, exec_lo, s3
	s_and_saveexec_b32 s3, s2
	s_delay_alu instid0(SALU_CYCLE_1)
	s_xor_b32 s3, exec_lo, s3
	s_cbranch_execz .LBB240_48
.LBB240_53:                             ;   in Loop: Header=BB240_25 Depth=1
	v_bfi_b32 v31, 0x7fffffff, v32, v31
	v_add_nc_u64_e32 v[36:37], s[4:5], v[10:11]
	s_delay_alu instid0(VALU_DEP_2) | instskip(SKIP_1) | instid1(VALU_DEP_2)
	v_bfe_u32 v32, v31, 16, 1
	v_cmp_o_f32_e64 s2, v31, v31
	v_add3_u32 v32, v31, v32, 0x7fff
	s_delay_alu instid0(VALU_DEP_1) | instskip(NEXT) | instid1(VALU_DEP_1)
	v_lshrrev_b32_e32 v32, 16, v32
	v_cndmask_b32_e64 v31, 0x7fc0, v32, s2
	global_store_b16 v[36:37], v31, off
	s_wait_xcnt 0x0
	s_or_b32 exec_lo, exec_lo, s3
	s_and_saveexec_b32 s2, s1
	s_cbranch_execz .LBB240_49
.LBB240_54:                             ;   in Loop: Header=BB240_25 Depth=1
	v_bfi_b32 v32, 0x7fffffff, v33, v30
	s_delay_alu instid0(VALU_DEP_1) | instskip(SKIP_1) | instid1(VALU_DEP_2)
	v_bfe_u32 v30, v32, 16, 1
	v_cmp_o_f32_e64 s1, v32, v32
	v_add3_u32 v30, v32, v30, 0x7fff
	s_delay_alu instid0(VALU_DEP_1) | instskip(SKIP_1) | instid1(VALU_DEP_2)
	v_lshrrev_b32_e32 v33, 16, v30
	v_add_nc_u64_e32 v[30:31], s[4:5], v[26:27]
	v_cndmask_b32_e64 v32, 0x7fc0, v33, s1
	global_store_b16 v[30:31], v32, off
	s_wait_xcnt 0x0
	s_or_b32 exec_lo, exec_lo, s2
	s_and_saveexec_b32 s1, s0
	s_cbranch_execz .LBB240_50
.LBB240_55:                             ;   in Loop: Header=BB240_25 Depth=1
	v_bfi_b32 v28, 0x7fffffff, v34, v28
	s_delay_alu instid0(VALU_DEP_1) | instskip(SKIP_1) | instid1(VALU_DEP_2)
	v_bfe_u32 v30, v28, 16, 1
	v_cmp_o_f32_e64 s0, v28, v28
	v_add3_u32 v30, v28, v30, 0x7fff
	s_delay_alu instid0(VALU_DEP_1) | instskip(SKIP_1) | instid1(VALU_DEP_2)
	v_lshrrev_b32_e32 v32, 16, v30
	v_add_nc_u64_e32 v[30:31], s[4:5], v[18:19]
	v_cndmask_b32_e64 v28, 0x7fc0, v32, s0
	global_store_b16 v[30:31], v28, off
	s_wait_xcnt 0x0
	s_or_b32 exec_lo, exec_lo, s1
	s_and_saveexec_b32 s0, vcc_lo
	s_cbranch_execz .LBB240_24
.LBB240_56:                             ;   in Loop: Header=BB240_25 Depth=1
	v_bfi_b32 v30, 0x7fffffff, v35, v29
	s_delay_alu instid0(VALU_DEP_1) | instskip(SKIP_1) | instid1(VALU_DEP_2)
	v_bfe_u32 v28, v30, 16, 1
	v_cmp_o_f32_e32 vcc_lo, v30, v30
	v_add3_u32 v28, v30, v28, 0x7fff
	s_delay_alu instid0(VALU_DEP_1) | instskip(SKIP_1) | instid1(VALU_DEP_2)
	v_lshrrev_b32_e32 v31, 16, v28
	v_add_nc_u64_e32 v[28:29], s[4:5], v[22:23]
	v_cndmask_b32_e32 v30, 0x7fc0, v31, vcc_lo
	global_store_b16 v[28:29], v30, off
	s_branch .LBB240_24
.LBB240_57:
	s_endpgm
	.section	.rodata,"a",@progbits
	.p2align	6, 0x0
	.amdhsa_kernel _ZN2at6native12_GLOBAL__N_125multi_tensor_apply_kernelINS1_18TensorListMetadataILi2EEENS1_14UnaryOpFunctorIN3c108BFloat16ELi2ELi1ELi1EEEJNS0_3ErfIfEEEEEvT_T0_DpT1_
		.amdhsa_group_segment_fixed_size 0
		.amdhsa_private_segment_fixed_size 0
		.amdhsa_kernarg_size 3408
		.amdhsa_user_sgpr_count 2
		.amdhsa_user_sgpr_dispatch_ptr 0
		.amdhsa_user_sgpr_queue_ptr 0
		.amdhsa_user_sgpr_kernarg_segment_ptr 1
		.amdhsa_user_sgpr_dispatch_id 0
		.amdhsa_user_sgpr_kernarg_preload_length 0
		.amdhsa_user_sgpr_kernarg_preload_offset 0
		.amdhsa_user_sgpr_private_segment_size 0
		.amdhsa_wavefront_size32 1
		.amdhsa_uses_dynamic_stack 0
		.amdhsa_enable_private_segment 0
		.amdhsa_system_sgpr_workgroup_id_x 1
		.amdhsa_system_sgpr_workgroup_id_y 0
		.amdhsa_system_sgpr_workgroup_id_z 0
		.amdhsa_system_sgpr_workgroup_info 0
		.amdhsa_system_vgpr_workitem_id 0
		.amdhsa_next_free_vgpr 39
		.amdhsa_next_free_sgpr 20
		.amdhsa_named_barrier_count 0
		.amdhsa_reserve_vcc 1
		.amdhsa_float_round_mode_32 0
		.amdhsa_float_round_mode_16_64 0
		.amdhsa_float_denorm_mode_32 3
		.amdhsa_float_denorm_mode_16_64 3
		.amdhsa_fp16_overflow 0
		.amdhsa_memory_ordered 1
		.amdhsa_forward_progress 1
		.amdhsa_inst_pref_size 33
		.amdhsa_round_robin_scheduling 0
		.amdhsa_exception_fp_ieee_invalid_op 0
		.amdhsa_exception_fp_denorm_src 0
		.amdhsa_exception_fp_ieee_div_zero 0
		.amdhsa_exception_fp_ieee_overflow 0
		.amdhsa_exception_fp_ieee_underflow 0
		.amdhsa_exception_fp_ieee_inexact 0
		.amdhsa_exception_int_div_zero 0
	.end_amdhsa_kernel
	.section	.text._ZN2at6native12_GLOBAL__N_125multi_tensor_apply_kernelINS1_18TensorListMetadataILi2EEENS1_14UnaryOpFunctorIN3c108BFloat16ELi2ELi1ELi1EEEJNS0_3ErfIfEEEEEvT_T0_DpT1_,"axG",@progbits,_ZN2at6native12_GLOBAL__N_125multi_tensor_apply_kernelINS1_18TensorListMetadataILi2EEENS1_14UnaryOpFunctorIN3c108BFloat16ELi2ELi1ELi1EEEJNS0_3ErfIfEEEEEvT_T0_DpT1_,comdat
.Lfunc_end240:
	.size	_ZN2at6native12_GLOBAL__N_125multi_tensor_apply_kernelINS1_18TensorListMetadataILi2EEENS1_14UnaryOpFunctorIN3c108BFloat16ELi2ELi1ELi1EEEJNS0_3ErfIfEEEEEvT_T0_DpT1_, .Lfunc_end240-_ZN2at6native12_GLOBAL__N_125multi_tensor_apply_kernelINS1_18TensorListMetadataILi2EEENS1_14UnaryOpFunctorIN3c108BFloat16ELi2ELi1ELi1EEEJNS0_3ErfIfEEEEEvT_T0_DpT1_
                                        ; -- End function
	.set _ZN2at6native12_GLOBAL__N_125multi_tensor_apply_kernelINS1_18TensorListMetadataILi2EEENS1_14UnaryOpFunctorIN3c108BFloat16ELi2ELi1ELi1EEEJNS0_3ErfIfEEEEEvT_T0_DpT1_.num_vgpr, 39
	.set _ZN2at6native12_GLOBAL__N_125multi_tensor_apply_kernelINS1_18TensorListMetadataILi2EEENS1_14UnaryOpFunctorIN3c108BFloat16ELi2ELi1ELi1EEEJNS0_3ErfIfEEEEEvT_T0_DpT1_.num_agpr, 0
	.set _ZN2at6native12_GLOBAL__N_125multi_tensor_apply_kernelINS1_18TensorListMetadataILi2EEENS1_14UnaryOpFunctorIN3c108BFloat16ELi2ELi1ELi1EEEJNS0_3ErfIfEEEEEvT_T0_DpT1_.numbered_sgpr, 20
	.set _ZN2at6native12_GLOBAL__N_125multi_tensor_apply_kernelINS1_18TensorListMetadataILi2EEENS1_14UnaryOpFunctorIN3c108BFloat16ELi2ELi1ELi1EEEJNS0_3ErfIfEEEEEvT_T0_DpT1_.num_named_barrier, 0
	.set _ZN2at6native12_GLOBAL__N_125multi_tensor_apply_kernelINS1_18TensorListMetadataILi2EEENS1_14UnaryOpFunctorIN3c108BFloat16ELi2ELi1ELi1EEEJNS0_3ErfIfEEEEEvT_T0_DpT1_.private_seg_size, 0
	.set _ZN2at6native12_GLOBAL__N_125multi_tensor_apply_kernelINS1_18TensorListMetadataILi2EEENS1_14UnaryOpFunctorIN3c108BFloat16ELi2ELi1ELi1EEEJNS0_3ErfIfEEEEEvT_T0_DpT1_.uses_vcc, 1
	.set _ZN2at6native12_GLOBAL__N_125multi_tensor_apply_kernelINS1_18TensorListMetadataILi2EEENS1_14UnaryOpFunctorIN3c108BFloat16ELi2ELi1ELi1EEEJNS0_3ErfIfEEEEEvT_T0_DpT1_.uses_flat_scratch, 0
	.set _ZN2at6native12_GLOBAL__N_125multi_tensor_apply_kernelINS1_18TensorListMetadataILi2EEENS1_14UnaryOpFunctorIN3c108BFloat16ELi2ELi1ELi1EEEJNS0_3ErfIfEEEEEvT_T0_DpT1_.has_dyn_sized_stack, 0
	.set _ZN2at6native12_GLOBAL__N_125multi_tensor_apply_kernelINS1_18TensorListMetadataILi2EEENS1_14UnaryOpFunctorIN3c108BFloat16ELi2ELi1ELi1EEEJNS0_3ErfIfEEEEEvT_T0_DpT1_.has_recursion, 0
	.set _ZN2at6native12_GLOBAL__N_125multi_tensor_apply_kernelINS1_18TensorListMetadataILi2EEENS1_14UnaryOpFunctorIN3c108BFloat16ELi2ELi1ELi1EEEJNS0_3ErfIfEEEEEvT_T0_DpT1_.has_indirect_call, 0
	.section	.AMDGPU.csdata,"",@progbits
; Kernel info:
; codeLenInByte = 4112
; TotalNumSgprs: 22
; NumVgprs: 39
; ScratchSize: 0
; MemoryBound: 0
; FloatMode: 240
; IeeeMode: 1
; LDSByteSize: 0 bytes/workgroup (compile time only)
; SGPRBlocks: 0
; VGPRBlocks: 2
; NumSGPRsForWavesPerEU: 22
; NumVGPRsForWavesPerEU: 39
; NamedBarCnt: 0
; Occupancy: 16
; WaveLimiterHint : 0
; COMPUTE_PGM_RSRC2:SCRATCH_EN: 0
; COMPUTE_PGM_RSRC2:USER_SGPR: 2
; COMPUTE_PGM_RSRC2:TRAP_HANDLER: 0
; COMPUTE_PGM_RSRC2:TGID_X_EN: 1
; COMPUTE_PGM_RSRC2:TGID_Y_EN: 0
; COMPUTE_PGM_RSRC2:TGID_Z_EN: 0
; COMPUTE_PGM_RSRC2:TIDIG_COMP_CNT: 0
	.section	.text._ZN2at6native12_GLOBAL__N_125multi_tensor_apply_kernelINS1_18TensorListMetadataILi1EEENS1_14UnaryOpFunctorIdLi1ELi1ELi0EEEJNS0_3ErfIdEEEEEvT_T0_DpT1_,"axG",@progbits,_ZN2at6native12_GLOBAL__N_125multi_tensor_apply_kernelINS1_18TensorListMetadataILi1EEENS1_14UnaryOpFunctorIdLi1ELi1ELi0EEEJNS0_3ErfIdEEEEEvT_T0_DpT1_,comdat
	.globl	_ZN2at6native12_GLOBAL__N_125multi_tensor_apply_kernelINS1_18TensorListMetadataILi1EEENS1_14UnaryOpFunctorIdLi1ELi1ELi0EEEJNS0_3ErfIdEEEEEvT_T0_DpT1_ ; -- Begin function _ZN2at6native12_GLOBAL__N_125multi_tensor_apply_kernelINS1_18TensorListMetadataILi1EEENS1_14UnaryOpFunctorIdLi1ELi1ELi0EEEJNS0_3ErfIdEEEEEvT_T0_DpT1_
	.p2align	8
	.type	_ZN2at6native12_GLOBAL__N_125multi_tensor_apply_kernelINS1_18TensorListMetadataILi1EEENS1_14UnaryOpFunctorIdLi1ELi1ELi0EEEJNS0_3ErfIdEEEEEvT_T0_DpT1_,@function
_ZN2at6native12_GLOBAL__N_125multi_tensor_apply_kernelINS1_18TensorListMetadataILi1EEENS1_14UnaryOpFunctorIdLi1ELi1ELi0EEEJNS0_3ErfIdEEEEEvT_T0_DpT1_: ; @_ZN2at6native12_GLOBAL__N_125multi_tensor_apply_kernelINS1_18TensorListMetadataILi1EEENS1_14UnaryOpFunctorIdLi1ELi1ELi0EEEJNS0_3ErfIdEEEEEvT_T0_DpT1_
; %bb.0:
	s_bfe_u32 s2, ttmp6, 0x4000c
	s_and_b32 s3, ttmp6, 15
	s_add_co_i32 s2, s2, 1
	s_getreg_b32 s4, hwreg(HW_REG_IB_STS2, 6, 4)
	s_mul_i32 s2, ttmp9, s2
	s_delay_alu instid0(SALU_CYCLE_1)
	s_add_co_i32 s3, s3, s2
	s_cmp_eq_u32 s4, 0
	s_cselect_b32 s2, ttmp9, s3
	s_mov_b32 s3, 0
	s_load_u8 s10, s[0:1], s2 offset:0x6e0
	s_add_nc_u64 s[4:5], s[0:1], s[2:3]
	s_mul_u64 s[6:7], s[2:3], 3
	s_delay_alu instid0(SALU_CYCLE_1)
	s_add_nc_u64 s[4:5], s[4:5], s[6:7]
	s_load_b32 s6, s[4:5], 0x820
	s_wait_kmcnt 0x0
	s_clause 0x1
	s_load_b64 s[8:9], s[0:1], s10 offset:0x0 scale_offset
	s_load_b64 s[12:13], s[0:1], s10 offset:0x370 scale_offset
	s_ashr_i32 s7, s6, 31
	s_wait_kmcnt 0x0
	s_and_b64 s[4:5], s[8:9], 31
	s_and_b32 s2, s12, 3
	s_lshl_b64 s[10:11], s[6:7], 19
	s_or_b64 s[2:3], s[4:5], s[2:3]
	s_lshl_b64 s[4:5], s[6:7], 16
	s_cmp_eq_u64 s[2:3], 0
	s_sub_nc_u64 s[12:13], s[12:13], s[4:5]
	s_cbranch_scc1 .LBB241_37
; %bb.1:
	v_cmp_lt_i64_e64 s2, s[12:13], 1
	s_and_b32 vcc_lo, exec_lo, s2
	s_cbranch_vccnz .LBB241_36
; %bb.2:
	s_load_b32 s4, s[0:1], 0xd3c
	v_min_i64 v[2:3], 0x10000, s[12:13]
	v_min_u64 v[4:5], 0x10000, s[12:13]
	v_dual_mov_b32 v1, 0 :: v_dual_lshlrev_b32 v8, 3, v0
	s_mov_b32 s71, 0
	s_add_nc_u64 s[2:3], s[8:9], s[10:11]
	s_mov_b32 s5, s71
	s_delay_alu instid0(VALU_DEP_1) | instskip(SKIP_3) | instid1(VALU_DEP_3)
	v_dual_mov_b32 v9, v1 :: v_dual_mov_b32 v15, v1
	s_mov_b32 s7, s71
	v_mov_b64_e32 v[16:17], 0x3e928af3fca7ab0c
	v_mov_b64_e32 v[18:19], 0x3e4d6e3ddfeb1f49
	v_add_nc_u64_e32 v[8:9], s[2:3], v[8:9]
	s_mov_b64 s[14:15], 0xbcc145a3502a41cd
	s_mov_b64 s[16:17], 0x3c598d37c14b24be
	s_mov_b64 s[18:19], 0x3d162deed735f9ec
	s_mov_b64 s[20:21], 0xbd61ffe55552ca22
	s_mov_b64 s[22:23], 0x3da4b9ba7074b644
	s_mov_b64 s[24:25], 0xbde20345a78ce240
	s_wait_kmcnt 0x0
	s_and_b32 s70, s4, 0xffff
	s_mov_b32 s27, s71
	v_add_nc_u64_e32 v[6:7], s[70:71], v[0:1]
	s_lshl_b32 s4, s70, 1
	s_mul_i32 s6, s70, 3
	v_add_nc_u64_e32 v[12:13], s[4:5], v[0:1]
	v_add_nc_u64_e32 v[10:11], s[6:7], v[0:1]
	s_lshl_b32 s26, s70, 2
	s_lshl_b32 s28, s70, 5
	v_lshlrev_b32_e32 v14, 3, v6
	s_mov_b64 s[30:31], 0x3e188b7a0cefddd8
	s_mov_b64 s[34:35], 0xbe4aded48c94b617
	s_mov_b64 s[36:37], 0x3e7803aa312306d0
	s_mov_b64 s[38:39], 0xbea1b0106f4c5a9b
	v_add_nc_u64_e32 v[14:15], s[2:3], v[14:15]
	s_mov_b64 s[40:41], 0x3ec58c0e7cfd79ae
	s_mov_b64 s[42:43], 0xbee59e386410fdf7
	;; [unrolled: 1-line block ×14, first 2 shown]
	s_mov_b32 s29, s71
	s_mul_u64 s[68:69], s[70:71], 24
	s_lshl_b32 s70, s70, 4
	s_mov_b64 s[72:73], 0
                                        ; implicit-def: $vgpr20_vgpr21
                                        ; implicit-def: $vgpr20_vgpr21
	;; [unrolled: 1-line block ×18, first 2 shown]
	s_branch .LBB241_4
.LBB241_3:                              ;   in Loop: Header=BB241_4 Depth=1
	s_wait_xcnt 0x0
	s_or_b32 exec_lo, exec_lo, s2
	s_add_nc_u64 s[72:73], s[72:73], s[26:27]
	v_add_nc_u64_e32 v[8:9], s[28:29], v[8:9]
	v_cmp_ge_i64_e32 vcc_lo, s[72:73], v[2:3]
	v_add_nc_u64_e32 v[14:15], s[28:29], v[14:15]
	s_cbranch_vccnz .LBB241_36
.LBB241_4:                              ; =>This Inner Loop Header: Depth=1
	v_add_nc_u64_e32 v[22:23], s[72:73], v[0:1]
	v_mov_b64_e32 v[20:21], 0
	v_mov_b64_e32 v[24:25], 0
	s_delay_alu instid0(VALU_DEP_3)
	v_cmp_lt_u64_e32 vcc_lo, v[22:23], v[4:5]
	s_and_saveexec_b32 s2, vcc_lo
	s_cbranch_execz .LBB241_6
; %bb.5:                                ;   in Loop: Header=BB241_4 Depth=1
	global_load_b64 v[24:25], v[8:9], off
.LBB241_6:                              ;   in Loop: Header=BB241_4 Depth=1
	s_wait_xcnt 0x0
	s_or_b32 exec_lo, exec_lo, s2
	v_add_nc_u64_e32 v[22:23], s[72:73], v[6:7]
	s_delay_alu instid0(VALU_DEP_1)
	v_cmp_lt_u64_e64 s2, v[22:23], v[4:5]
	s_and_saveexec_b32 s3, s2
	s_cbranch_execz .LBB241_8
; %bb.7:                                ;   in Loop: Header=BB241_4 Depth=1
	global_load_b64 v[20:21], v[14:15], off
.LBB241_8:                              ;   in Loop: Header=BB241_4 Depth=1
	s_wait_xcnt 0x0
	s_or_b32 exec_lo, exec_lo, s3
	v_add_nc_u64_e32 v[28:29], s[72:73], v[12:13]
	v_mov_b64_e32 v[22:23], 0
	v_add_nc_u64_e32 v[26:27], s[70:71], v[8:9]
	v_mov_b64_e32 v[30:31], 0
	s_delay_alu instid0(VALU_DEP_4)
	v_cmp_lt_u64_e64 s3, v[28:29], v[4:5]
	s_and_saveexec_b32 s4, s3
	s_cbranch_execz .LBB241_10
; %bb.9:                                ;   in Loop: Header=BB241_4 Depth=1
	global_load_b64 v[30:31], v[26:27], off
.LBB241_10:                             ;   in Loop: Header=BB241_4 Depth=1
	s_wait_xcnt 0x0
	s_or_b32 exec_lo, exec_lo, s4
	v_add_nc_u64_e32 v[28:29], s[72:73], v[10:11]
	s_delay_alu instid0(VALU_DEP_1)
	v_cmp_lt_u64_e64 s4, v[28:29], v[4:5]
	v_add_nc_u64_e32 v[28:29], s[68:69], v[8:9]
	s_and_saveexec_b32 s5, s4
	s_cbranch_execz .LBB241_12
; %bb.11:                               ;   in Loop: Header=BB241_4 Depth=1
	global_load_b64 v[22:23], v[28:29], off
.LBB241_12:                             ;   in Loop: Header=BB241_4 Depth=1
	s_wait_xcnt 0x0
	s_or_b32 exec_lo, exec_lo, s5
                                        ; implicit-def: $vgpr32_vgpr33
	s_delay_alu instid0(SALU_CYCLE_1)
	s_mov_b32 s6, exec_lo
	s_wait_loadcnt 0x0
	v_cmpx_nlt_f64_e64 |v[24:25]|, 1.0
	s_xor_b32 s7, exec_lo, s6
	s_cbranch_execz .LBB241_14
; %bb.13:                               ;   in Loop: Header=BB241_4 Depth=1
	v_fma_f64 v[32:33], |v[24:25]|, s[16:17], s[14:15]
	s_delay_alu instid0(VALU_DEP_1) | instskip(NEXT) | instid1(VALU_DEP_1)
	v_fma_f64 v[32:33], |v[24:25]|, v[32:33], s[18:19]
	v_fma_f64 v[32:33], |v[24:25]|, v[32:33], s[20:21]
	s_delay_alu instid0(VALU_DEP_1) | instskip(NEXT) | instid1(VALU_DEP_1)
	v_fma_f64 v[32:33], |v[24:25]|, v[32:33], s[22:23]
	v_fma_f64 v[32:33], |v[24:25]|, v[32:33], s[24:25]
	s_delay_alu instid0(VALU_DEP_1) | instskip(NEXT) | instid1(VALU_DEP_1)
	v_fma_f64 v[32:33], |v[24:25]|, v[32:33], s[30:31]
	v_fma_f64 v[32:33], |v[24:25]|, v[32:33], s[34:35]
	s_delay_alu instid0(VALU_DEP_1) | instskip(NEXT) | instid1(VALU_DEP_1)
	v_fma_f64 v[32:33], |v[24:25]|, v[32:33], s[36:37]
	v_fma_f64 v[32:33], |v[24:25]|, v[32:33], s[38:39]
	s_delay_alu instid0(VALU_DEP_1) | instskip(NEXT) | instid1(VALU_DEP_1)
	v_fma_f64 v[32:33], |v[24:25]|, v[32:33], s[40:41]
	v_fma_f64 v[32:33], |v[24:25]|, v[32:33], s[42:43]
	s_delay_alu instid0(VALU_DEP_1) | instskip(NEXT) | instid1(VALU_DEP_1)
	v_fma_f64 v[32:33], |v[24:25]|, v[32:33], s[44:45]
	v_fma_f64 v[32:33], |v[24:25]|, v[32:33], s[46:47]
	s_delay_alu instid0(VALU_DEP_1) | instskip(NEXT) | instid1(VALU_DEP_1)
	v_fma_f64 v[32:33], |v[24:25]|, v[32:33], s[48:49]
	v_fma_f64 v[32:33], |v[24:25]|, v[32:33], s[50:51]
	s_delay_alu instid0(VALU_DEP_1) | instskip(NEXT) | instid1(VALU_DEP_1)
	v_fma_f64 v[32:33], |v[24:25]|, v[32:33], s[52:53]
	v_fma_f64 v[32:33], |v[24:25]|, v[32:33], s[54:55]
	s_delay_alu instid0(VALU_DEP_1) | instskip(NEXT) | instid1(VALU_DEP_1)
	v_fma_f64 v[32:33], |v[24:25]|, v[32:33], s[56:57]
	v_fma_f64 v[32:33], |v[24:25]|, v[32:33], s[58:59]
	s_delay_alu instid0(VALU_DEP_1) | instskip(NEXT) | instid1(VALU_DEP_1)
	v_fma_f64 v[32:33], |v[24:25]|, v[32:33], s[60:61]
	v_fma_f64 v[32:33], |v[24:25]|, v[32:33], s[62:63]
	s_delay_alu instid0(VALU_DEP_1) | instskip(NEXT) | instid1(VALU_DEP_1)
	v_fma_f64 v[32:33], |v[24:25]|, v[32:33], s[64:65]
	v_fma_f64 v[32:33], |v[24:25]|, v[32:33], |v[24:25]|
	s_delay_alu instid0(VALU_DEP_1) | instskip(SKIP_2) | instid1(VALU_DEP_3)
	v_mul_f64_e32 v[34:35], 0xbff71547652b82fe, v[32:33]
	v_cmp_ngt_f64_e64 s5, 0xc0900000, v[32:33]
	v_cmp_nlt_f64_e64 s6, 0x4090cc00, v[32:33]
	v_rndne_f64_e32 v[34:35], v[34:35]
	s_delay_alu instid0(VALU_DEP_1) | instskip(SKIP_1) | instid1(VALU_DEP_2)
	v_fma_f64 v[36:37], v[34:35], s[66:67], -v[32:33]
	v_cvt_i32_f64_e32 v40, v[34:35]
	v_fmac_f64_e32 v[36:37], 0xbc7abc9e3b39803f, v[34:35]
	s_delay_alu instid0(VALU_DEP_1) | instskip(NEXT) | instid1(VALU_DEP_1)
	v_fmamk_f64 v[38:39], v[36:37], 0x3e5ade156a5dcb37, v[16:17]
	v_fmaak_f64 v[38:39], v[36:37], v[38:39], 0x3ec71dee623fde64
	s_delay_alu instid0(VALU_DEP_1) | instskip(NEXT) | instid1(VALU_DEP_1)
	v_fmaak_f64 v[38:39], v[36:37], v[38:39], 0x3efa01997c89e6b0
	v_fmaak_f64 v[38:39], v[36:37], v[38:39], 0x3f2a01a014761f6e
	s_delay_alu instid0(VALU_DEP_1) | instskip(NEXT) | instid1(VALU_DEP_1)
	v_fmaak_f64 v[38:39], v[36:37], v[38:39], 0x3f56c16c1852b7b0
	;; [unrolled: 3-line block ×4, first 2 shown]
	v_fma_f64 v[38:39], v[36:37], v[38:39], 1.0
	s_delay_alu instid0(VALU_DEP_1) | instskip(NEXT) | instid1(VALU_DEP_1)
	v_fma_f64 v[34:35], v[36:37], v[38:39], 1.0
	v_ldexp_f64 v[34:35], v[34:35], v40
	s_delay_alu instid0(VALU_DEP_1) | instskip(NEXT) | instid1(VALU_DEP_1)
	v_add_f64_e64 v[34:35], -v[34:35], 1.0
	v_cndmask_b32_e64 v35, 0xfff00000, v35, s5
	s_and_b32 s5, s6, s5
	s_delay_alu instid0(VALU_DEP_2) | instid1(SALU_CYCLE_1)
	v_cndmask_b32_e64 v32, 0, v34, s5
	s_delay_alu instid0(VALU_DEP_2)
	v_cndmask_b32_e64 v33, 0x3ff00000, v35, s6
.LBB241_14:                             ;   in Loop: Header=BB241_4 Depth=1
	s_and_not1_saveexec_b32 s5, s7
	s_cbranch_execz .LBB241_16
; %bb.15:                               ;   in Loop: Header=BB241_4 Depth=1
	v_mul_f64_e32 v[32:33], v[24:25], v[24:25]
	s_delay_alu instid0(VALU_DEP_1) | instskip(NEXT) | instid1(VALU_DEP_1)
	v_fmamk_f64 v[34:35], v[32:33], 0xbe0ab15c51d2ebeb, v[18:19]
	v_fmaak_f64 v[34:35], v[32:33], v[34:35], 0xbe85bfe763844720
	s_delay_alu instid0(VALU_DEP_1) | instskip(NEXT) | instid1(VALU_DEP_1)
	v_fmaak_f64 v[34:35], v[32:33], v[34:35], 0x3ebb97e44280cfb9
	v_fmaak_f64 v[34:35], v[32:33], v[34:35], 0xbeef4ca204c771c5
	s_delay_alu instid0(VALU_DEP_1) | instskip(NEXT) | instid1(VALU_DEP_1)
	v_fmaak_f64 v[34:35], v[32:33], v[34:35], 0x3f1f9a2b75531772
	;; [unrolled: 3-line block ×5, first 2 shown]
	v_fma_f64 v[32:33], |v[24:25]|, v[32:33], |v[24:25]|
.LBB241_16:                             ;   in Loop: Header=BB241_4 Depth=1
	s_or_b32 exec_lo, exec_lo, s5
                                        ; implicit-def: $vgpr34_vgpr35
	s_delay_alu instid0(SALU_CYCLE_1)
	s_mov_b32 s6, exec_lo
	v_cmpx_nlt_f64_e64 |v[20:21]|, 1.0
	s_xor_b32 s7, exec_lo, s6
	s_cbranch_execz .LBB241_18
; %bb.17:                               ;   in Loop: Header=BB241_4 Depth=1
	v_fma_f64 v[34:35], |v[20:21]|, s[16:17], s[14:15]
	s_delay_alu instid0(VALU_DEP_1) | instskip(NEXT) | instid1(VALU_DEP_1)
	v_fma_f64 v[34:35], |v[20:21]|, v[34:35], s[18:19]
	v_fma_f64 v[34:35], |v[20:21]|, v[34:35], s[20:21]
	s_delay_alu instid0(VALU_DEP_1) | instskip(NEXT) | instid1(VALU_DEP_1)
	v_fma_f64 v[34:35], |v[20:21]|, v[34:35], s[22:23]
	;; [unrolled: 3-line block ×11, first 2 shown]
	v_fma_f64 v[34:35], |v[20:21]|, v[34:35], |v[20:21]|
	s_delay_alu instid0(VALU_DEP_1) | instskip(SKIP_2) | instid1(VALU_DEP_3)
	v_mul_f64_e32 v[36:37], 0xbff71547652b82fe, v[34:35]
	v_cmp_ngt_f64_e64 s5, 0xc0900000, v[34:35]
	v_cmp_nlt_f64_e64 s6, 0x4090cc00, v[34:35]
	v_rndne_f64_e32 v[36:37], v[36:37]
	s_delay_alu instid0(VALU_DEP_1) | instskip(SKIP_1) | instid1(VALU_DEP_2)
	v_fma_f64 v[38:39], v[36:37], s[66:67], -v[34:35]
	v_cvt_i32_f64_e32 v24, v[36:37]
	v_fmac_f64_e32 v[38:39], 0xbc7abc9e3b39803f, v[36:37]
	s_delay_alu instid0(VALU_DEP_1) | instskip(NEXT) | instid1(VALU_DEP_1)
	v_fmamk_f64 v[40:41], v[38:39], 0x3e5ade156a5dcb37, v[16:17]
	v_fmaak_f64 v[40:41], v[38:39], v[40:41], 0x3ec71dee623fde64
	s_delay_alu instid0(VALU_DEP_1) | instskip(NEXT) | instid1(VALU_DEP_1)
	v_fmaak_f64 v[40:41], v[38:39], v[40:41], 0x3efa01997c89e6b0
	v_fmaak_f64 v[40:41], v[38:39], v[40:41], 0x3f2a01a014761f6e
	s_delay_alu instid0(VALU_DEP_1) | instskip(NEXT) | instid1(VALU_DEP_1)
	v_fmaak_f64 v[40:41], v[38:39], v[40:41], 0x3f56c16c1852b7b0
	;; [unrolled: 3-line block ×4, first 2 shown]
	v_fma_f64 v[40:41], v[38:39], v[40:41], 1.0
	s_delay_alu instid0(VALU_DEP_1) | instskip(NEXT) | instid1(VALU_DEP_1)
	v_fma_f64 v[36:37], v[38:39], v[40:41], 1.0
	v_ldexp_f64 v[36:37], v[36:37], v24
	s_delay_alu instid0(VALU_DEP_1) | instskip(NEXT) | instid1(VALU_DEP_1)
	v_add_f64_e64 v[36:37], -v[36:37], 1.0
	v_cndmask_b32_e64 v24, 0xfff00000, v37, s5
	s_and_b32 s5, s6, s5
	s_delay_alu instid0(VALU_DEP_2) | instid1(SALU_CYCLE_1)
	v_cndmask_b32_e64 v34, 0, v36, s5
	s_delay_alu instid0(VALU_DEP_2)
	v_cndmask_b32_e64 v35, 0x3ff00000, v24, s6
.LBB241_18:                             ;   in Loop: Header=BB241_4 Depth=1
	s_and_not1_saveexec_b32 s5, s7
	s_cbranch_execz .LBB241_20
; %bb.19:                               ;   in Loop: Header=BB241_4 Depth=1
	v_mul_f64_e32 v[34:35], v[20:21], v[20:21]
	s_delay_alu instid0(VALU_DEP_1) | instskip(NEXT) | instid1(VALU_DEP_1)
	v_fmamk_f64 v[36:37], v[34:35], 0xbe0ab15c51d2ebeb, v[18:19]
	v_fmaak_f64 v[36:37], v[34:35], v[36:37], 0xbe85bfe763844720
	s_delay_alu instid0(VALU_DEP_1) | instskip(NEXT) | instid1(VALU_DEP_1)
	v_fmaak_f64 v[36:37], v[34:35], v[36:37], 0x3ebb97e44280cfb9
	v_fmaak_f64 v[36:37], v[34:35], v[36:37], 0xbeef4ca204c771c5
	s_delay_alu instid0(VALU_DEP_1) | instskip(NEXT) | instid1(VALU_DEP_1)
	v_fmaak_f64 v[36:37], v[34:35], v[36:37], 0x3f1f9a2b75531772
	;; [unrolled: 3-line block ×5, first 2 shown]
	v_fma_f64 v[34:35], |v[20:21]|, v[34:35], |v[20:21]|
.LBB241_20:                             ;   in Loop: Header=BB241_4 Depth=1
	s_or_b32 exec_lo, exec_lo, s5
                                        ; implicit-def: $vgpr36_vgpr37
	s_delay_alu instid0(SALU_CYCLE_1)
	s_mov_b32 s6, exec_lo
	v_cmpx_nlt_f64_e64 |v[30:31]|, 1.0
	s_xor_b32 s7, exec_lo, s6
	s_cbranch_execz .LBB241_22
; %bb.21:                               ;   in Loop: Header=BB241_4 Depth=1
	v_fma_f64 v[36:37], |v[30:31]|, s[16:17], s[14:15]
	s_delay_alu instid0(VALU_DEP_1) | instskip(NEXT) | instid1(VALU_DEP_1)
	v_fma_f64 v[36:37], |v[30:31]|, v[36:37], s[18:19]
	v_fma_f64 v[36:37], |v[30:31]|, v[36:37], s[20:21]
	s_delay_alu instid0(VALU_DEP_1) | instskip(NEXT) | instid1(VALU_DEP_1)
	v_fma_f64 v[36:37], |v[30:31]|, v[36:37], s[22:23]
	;; [unrolled: 3-line block ×11, first 2 shown]
	v_fma_f64 v[36:37], |v[30:31]|, v[36:37], |v[30:31]|
	s_delay_alu instid0(VALU_DEP_1) | instskip(SKIP_2) | instid1(VALU_DEP_3)
	v_mul_f64_e32 v[38:39], 0xbff71547652b82fe, v[36:37]
	v_cmp_ngt_f64_e64 s5, 0xc0900000, v[36:37]
	v_cmp_nlt_f64_e64 s6, 0x4090cc00, v[36:37]
	v_rndne_f64_e32 v[38:39], v[38:39]
	s_delay_alu instid0(VALU_DEP_1) | instskip(SKIP_1) | instid1(VALU_DEP_2)
	v_fma_f64 v[40:41], v[38:39], s[66:67], -v[36:37]
	v_cvt_i32_f64_e32 v20, v[38:39]
	v_fmac_f64_e32 v[40:41], 0xbc7abc9e3b39803f, v[38:39]
	s_delay_alu instid0(VALU_DEP_1) | instskip(NEXT) | instid1(VALU_DEP_1)
	v_fmamk_f64 v[42:43], v[40:41], 0x3e5ade156a5dcb37, v[16:17]
	v_fmaak_f64 v[42:43], v[40:41], v[42:43], 0x3ec71dee623fde64
	s_delay_alu instid0(VALU_DEP_1) | instskip(NEXT) | instid1(VALU_DEP_1)
	v_fmaak_f64 v[42:43], v[40:41], v[42:43], 0x3efa01997c89e6b0
	v_fmaak_f64 v[42:43], v[40:41], v[42:43], 0x3f2a01a014761f6e
	s_delay_alu instid0(VALU_DEP_1) | instskip(NEXT) | instid1(VALU_DEP_1)
	v_fmaak_f64 v[42:43], v[40:41], v[42:43], 0x3f56c16c1852b7b0
	;; [unrolled: 3-line block ×4, first 2 shown]
	v_fma_f64 v[42:43], v[40:41], v[42:43], 1.0
	s_delay_alu instid0(VALU_DEP_1) | instskip(NEXT) | instid1(VALU_DEP_1)
	v_fma_f64 v[38:39], v[40:41], v[42:43], 1.0
	v_ldexp_f64 v[38:39], v[38:39], v20
	s_delay_alu instid0(VALU_DEP_1) | instskip(NEXT) | instid1(VALU_DEP_1)
	v_add_f64_e64 v[38:39], -v[38:39], 1.0
	v_cndmask_b32_e64 v20, 0xfff00000, v39, s5
	s_and_b32 s5, s6, s5
	s_delay_alu instid0(VALU_DEP_2) | instid1(SALU_CYCLE_1)
	v_cndmask_b32_e64 v36, 0, v38, s5
	s_delay_alu instid0(VALU_DEP_2)
	v_cndmask_b32_e64 v37, 0x3ff00000, v20, s6
.LBB241_22:                             ;   in Loop: Header=BB241_4 Depth=1
	s_and_not1_saveexec_b32 s5, s7
	s_cbranch_execz .LBB241_24
; %bb.23:                               ;   in Loop: Header=BB241_4 Depth=1
	v_mul_f64_e32 v[36:37], v[30:31], v[30:31]
	s_delay_alu instid0(VALU_DEP_1) | instskip(NEXT) | instid1(VALU_DEP_1)
	v_fmamk_f64 v[38:39], v[36:37], 0xbe0ab15c51d2ebeb, v[18:19]
	v_fmaak_f64 v[38:39], v[36:37], v[38:39], 0xbe85bfe763844720
	s_delay_alu instid0(VALU_DEP_1) | instskip(NEXT) | instid1(VALU_DEP_1)
	v_fmaak_f64 v[38:39], v[36:37], v[38:39], 0x3ebb97e44280cfb9
	v_fmaak_f64 v[38:39], v[36:37], v[38:39], 0xbeef4ca204c771c5
	s_delay_alu instid0(VALU_DEP_1) | instskip(NEXT) | instid1(VALU_DEP_1)
	v_fmaak_f64 v[38:39], v[36:37], v[38:39], 0x3f1f9a2b75531772
	;; [unrolled: 3-line block ×5, first 2 shown]
	v_fma_f64 v[36:37], |v[30:31]|, v[36:37], |v[30:31]|
.LBB241_24:                             ;   in Loop: Header=BB241_4 Depth=1
	s_or_b32 exec_lo, exec_lo, s5
                                        ; implicit-def: $vgpr38_vgpr39
	s_delay_alu instid0(SALU_CYCLE_1)
	s_mov_b32 s6, exec_lo
	v_cmpx_nlt_f64_e64 |v[22:23]|, 1.0
	s_xor_b32 s7, exec_lo, s6
	s_cbranch_execnz .LBB241_30
; %bb.25:                               ;   in Loop: Header=BB241_4 Depth=1
	s_and_not1_saveexec_b32 s5, s7
	s_cbranch_execnz .LBB241_31
.LBB241_26:                             ;   in Loop: Header=BB241_4 Depth=1
	s_or_b32 exec_lo, exec_lo, s5
	s_and_saveexec_b32 s5, vcc_lo
	s_delay_alu instid0(SALU_CYCLE_1)
	s_xor_b32 s5, exec_lo, s5
	s_cbranch_execnz .LBB241_32
.LBB241_27:                             ;   in Loop: Header=BB241_4 Depth=1
	s_or_b32 exec_lo, exec_lo, s5
	s_and_saveexec_b32 s5, s2
	s_cbranch_execnz .LBB241_33
.LBB241_28:                             ;   in Loop: Header=BB241_4 Depth=1
	s_or_b32 exec_lo, exec_lo, s5
	s_and_saveexec_b32 s2, s3
	s_cbranch_execnz .LBB241_34
.LBB241_29:                             ;   in Loop: Header=BB241_4 Depth=1
	s_or_b32 exec_lo, exec_lo, s2
	s_and_saveexec_b32 s2, s4
	s_cbranch_execz .LBB241_3
	s_branch .LBB241_35
.LBB241_30:                             ;   in Loop: Header=BB241_4 Depth=1
	v_fma_f64 v[38:39], |v[22:23]|, s[16:17], s[14:15]
	s_delay_alu instid0(VALU_DEP_1) | instskip(NEXT) | instid1(VALU_DEP_1)
	v_fma_f64 v[38:39], |v[22:23]|, v[38:39], s[18:19]
	v_fma_f64 v[38:39], |v[22:23]|, v[38:39], s[20:21]
	s_delay_alu instid0(VALU_DEP_1) | instskip(NEXT) | instid1(VALU_DEP_1)
	v_fma_f64 v[38:39], |v[22:23]|, v[38:39], s[22:23]
	;; [unrolled: 3-line block ×11, first 2 shown]
	v_fma_f64 v[38:39], |v[22:23]|, v[38:39], |v[22:23]|
	s_delay_alu instid0(VALU_DEP_1) | instskip(SKIP_2) | instid1(VALU_DEP_3)
	v_mul_f64_e32 v[40:41], 0xbff71547652b82fe, v[38:39]
	v_cmp_ngt_f64_e64 s5, 0xc0900000, v[38:39]
	v_cmp_nlt_f64_e64 s6, 0x4090cc00, v[38:39]
	v_rndne_f64_e32 v[40:41], v[40:41]
	s_delay_alu instid0(VALU_DEP_1) | instskip(SKIP_1) | instid1(VALU_DEP_2)
	v_fma_f64 v[42:43], v[40:41], s[66:67], -v[38:39]
	v_cvt_i32_f64_e32 v20, v[40:41]
	v_fmac_f64_e32 v[42:43], 0xbc7abc9e3b39803f, v[40:41]
	s_delay_alu instid0(VALU_DEP_1) | instskip(NEXT) | instid1(VALU_DEP_1)
	v_fmamk_f64 v[44:45], v[42:43], 0x3e5ade156a5dcb37, v[16:17]
	v_fmaak_f64 v[44:45], v[42:43], v[44:45], 0x3ec71dee623fde64
	s_delay_alu instid0(VALU_DEP_1) | instskip(NEXT) | instid1(VALU_DEP_1)
	v_fmaak_f64 v[44:45], v[42:43], v[44:45], 0x3efa01997c89e6b0
	v_fmaak_f64 v[44:45], v[42:43], v[44:45], 0x3f2a01a014761f6e
	s_delay_alu instid0(VALU_DEP_1) | instskip(NEXT) | instid1(VALU_DEP_1)
	v_fmaak_f64 v[44:45], v[42:43], v[44:45], 0x3f56c16c1852b7b0
	;; [unrolled: 3-line block ×4, first 2 shown]
	v_fma_f64 v[44:45], v[42:43], v[44:45], 1.0
	s_delay_alu instid0(VALU_DEP_1) | instskip(NEXT) | instid1(VALU_DEP_1)
	v_fma_f64 v[40:41], v[42:43], v[44:45], 1.0
	v_ldexp_f64 v[40:41], v[40:41], v20
	s_delay_alu instid0(VALU_DEP_1) | instskip(NEXT) | instid1(VALU_DEP_1)
	v_add_f64_e64 v[40:41], -v[40:41], 1.0
	v_cndmask_b32_e64 v20, 0xfff00000, v41, s5
	s_and_b32 s5, s6, s5
	s_delay_alu instid0(VALU_DEP_2) | instid1(SALU_CYCLE_1)
	v_cndmask_b32_e64 v38, 0, v40, s5
	s_delay_alu instid0(VALU_DEP_2)
	v_cndmask_b32_e64 v39, 0x3ff00000, v20, s6
	s_and_not1_saveexec_b32 s5, s7
	s_cbranch_execz .LBB241_26
.LBB241_31:                             ;   in Loop: Header=BB241_4 Depth=1
	v_mul_f64_e32 v[38:39], v[22:23], v[22:23]
	s_delay_alu instid0(VALU_DEP_1) | instskip(NEXT) | instid1(VALU_DEP_1)
	v_fmamk_f64 v[40:41], v[38:39], 0xbe0ab15c51d2ebeb, v[18:19]
	v_fmaak_f64 v[40:41], v[38:39], v[40:41], 0xbe85bfe763844720
	s_delay_alu instid0(VALU_DEP_1) | instskip(NEXT) | instid1(VALU_DEP_1)
	v_fmaak_f64 v[40:41], v[38:39], v[40:41], 0x3ebb97e44280cfb9
	v_fmaak_f64 v[40:41], v[38:39], v[40:41], 0xbeef4ca204c771c5
	s_delay_alu instid0(VALU_DEP_1) | instskip(NEXT) | instid1(VALU_DEP_1)
	v_fmaak_f64 v[40:41], v[38:39], v[40:41], 0x3f1f9a2b75531772
	;; [unrolled: 3-line block ×5, first 2 shown]
	v_fma_f64 v[38:39], |v[22:23]|, v[38:39], |v[22:23]|
	s_or_b32 exec_lo, exec_lo, s5
	s_and_saveexec_b32 s5, vcc_lo
	s_delay_alu instid0(SALU_CYCLE_1)
	s_xor_b32 s5, exec_lo, s5
	s_cbranch_execz .LBB241_27
.LBB241_32:                             ;   in Loop: Header=BB241_4 Depth=1
	s_delay_alu instid0(VALU_DEP_4)
	v_bfi_b32 v33, 0x7fffffff, v33, v25
	global_store_b64 v[8:9], v[32:33], off
	s_wait_xcnt 0x0
	s_or_b32 exec_lo, exec_lo, s5
	s_and_saveexec_b32 s5, s2
	s_cbranch_execz .LBB241_28
.LBB241_33:                             ;   in Loop: Header=BB241_4 Depth=1
	s_delay_alu instid0(VALU_DEP_3)
	v_bfi_b32 v35, 0x7fffffff, v35, v21
	global_store_b64 v[14:15], v[34:35], off
	s_wait_xcnt 0x0
	s_or_b32 exec_lo, exec_lo, s5
	s_and_saveexec_b32 s2, s3
	s_cbranch_execz .LBB241_29
.LBB241_34:                             ;   in Loop: Header=BB241_4 Depth=1
	s_delay_alu instid0(VALU_DEP_2)
	v_bfi_b32 v37, 0x7fffffff, v37, v31
	global_store_b64 v[26:27], v[36:37], off
	s_wait_xcnt 0x0
	s_or_b32 exec_lo, exec_lo, s2
	s_and_saveexec_b32 s2, s4
	s_cbranch_execz .LBB241_3
.LBB241_35:                             ;   in Loop: Header=BB241_4 Depth=1
	s_delay_alu instid0(VALU_DEP_1)
	v_bfi_b32 v39, 0x7fffffff, v39, v23
	global_store_b64 v[28:29], v[38:39], off
	s_branch .LBB241_3
.LBB241_36:
	s_cbranch_execz .LBB241_38
	s_branch .LBB241_57
.LBB241_37:
.LBB241_38:
	v_min_i64 v[18:19], 0x10000, s[12:13]
	v_dual_mov_b32 v3, 0 :: v_dual_lshlrev_b32 v2, 2, v0
	s_mov_b32 s2, exec_lo
	s_delay_alu instid0(VALU_DEP_1)
	v_cmpx_lt_i64_e64 v[2:3], v[18:19]
	s_cbranch_execz .LBB241_57
; %bb.39:
	s_load_b32 s0, s[0:1], 0xd3c
	v_dual_mov_b32 v1, v3 :: v_dual_lshlrev_b32 v2, 5, v0
	s_add_nc_u64 s[2:3], s[8:9], s[10:11]
	v_mov_b64_e32 v[22:23], 0x3e928af3fca7ab0c
	v_mov_b64_e32 v[24:25], 0x3e4d6e3ddfeb1f49
	s_delay_alu instid0(VALU_DEP_3)
	v_add_nc_u64_e32 v[2:3], s[2:3], v[2:3]
	s_mov_b32 s53, 0
	s_mov_b64 s[2:3], 0xbcc145a3502a41cd
	s_mov_b64 s[4:5], 0x3c598d37c14b24be
	;; [unrolled: 1-line block ×5, first 2 shown]
	v_add_nc_u64_e32 v[20:21], 16, v[2:3]
	s_mov_b64 s[12:13], 0xbde20345a78ce240
	s_mov_b64 s[14:15], 0x3e188b7a0cefddd8
	;; [unrolled: 1-line block ×6, first 2 shown]
	s_wait_kmcnt 0x0
	s_and_b32 s52, s0, 0xffff
	s_mov_b64 s[24:25], 0xbee59e386410fdf7
	s_mov_b64 s[26:27], 0x3f0192fc1f9b1786
	s_mov_b64 s[28:29], 0xbf162cf3f4634b2e
	s_mov_b64 s[30:31], 0x3f2314dfb42f7e4b
	s_mov_b64 s[34:35], 0xbf12cb68c047288a
	s_mov_b64 s[36:37], 0xbf4038ff7bbcce25
	s_mov_b64 s[38:39], 0x3f5a9466ae1babae
	s_mov_b64 s[40:41], 0xbf258be1e65a6063
	s_mov_b64 s[42:43], 0xbf939bc16738ee3a
	s_mov_b64 s[44:45], 0x3fba4fbc28146b69
	s_mov_b64 s[46:47], 0x3fe45f2da69750c4
	s_mov_b64 s[48:49], 0x3fc06ebb919fcca8
	s_mov_b64 s[50:51], 0xbfe62e42fefa39ef
	s_lshl_b32 s54, s52, 5
	s_mov_b32 s55, s53
	s_mov_b32 s1, s53
                                        ; implicit-def: $vgpr2_vgpr3
                                        ; implicit-def: $vgpr2_vgpr3
	;; [unrolled: 1-line block ×18, first 2 shown]
	s_branch .LBB241_41
.LBB241_40:                             ;   in Loop: Header=BB241_41 Depth=1
	s_or_b32 exec_lo, exec_lo, s0
	v_add_nc_u64_e32 v[0:1], s[52:53], v[0:1]
	s_delay_alu instid0(VALU_DEP_4)
	v_bfi_b32 v13, 0x7fffffff, v13, v9
	v_bfi_b32 v11, 0x7fffffff, v11, v7
	v_bfi_b32 v15, 0x7fffffff, v15, v3
	v_bfi_b32 v17, 0x7fffffff, v17, v5
	s_clause 0x1
	global_store_b128 v[20:21], v[10:13], off offset:-16
	global_store_b128 v[20:21], v[14:17], off
	v_lshlrev_b64_e32 v[26:27], 2, v[0:1]
	s_wait_xcnt 0x0
	v_add_nc_u64_e32 v[20:21], s[54:55], v[20:21]
	s_delay_alu instid0(VALU_DEP_2) | instskip(SKIP_1) | instid1(SALU_CYCLE_1)
	v_cmp_ge_i64_e32 vcc_lo, v[26:27], v[18:19]
	s_or_b32 s1, vcc_lo, s1
	s_and_not1_b32 exec_lo, exec_lo, s1
	s_cbranch_execz .LBB241_57
.LBB241_41:                             ; =>This Inner Loop Header: Depth=1
	s_clause 0x1
	global_load_b128 v[6:9], v[20:21], off offset:-16
	global_load_b128 v[2:5], v[20:21], off
	s_mov_b32 s33, exec_lo
                                        ; implicit-def: $vgpr10_vgpr11
	s_wait_loadcnt 0x1
	s_wait_xcnt 0x0
	v_cmpx_nlt_f64_e64 |v[6:7]|, 1.0
	s_xor_b32 s33, exec_lo, s33
	s_cbranch_execz .LBB241_43
; %bb.42:                               ;   in Loop: Header=BB241_41 Depth=1
	v_fma_f64 v[10:11], |v[6:7]|, s[4:5], s[2:3]
	s_delay_alu instid0(VALU_DEP_1) | instskip(NEXT) | instid1(VALU_DEP_1)
	v_fma_f64 v[10:11], |v[6:7]|, v[10:11], s[6:7]
	v_fma_f64 v[10:11], |v[6:7]|, v[10:11], s[8:9]
	s_delay_alu instid0(VALU_DEP_1) | instskip(NEXT) | instid1(VALU_DEP_1)
	v_fma_f64 v[10:11], |v[6:7]|, v[10:11], s[10:11]
	v_fma_f64 v[10:11], |v[6:7]|, v[10:11], s[12:13]
	s_delay_alu instid0(VALU_DEP_1) | instskip(NEXT) | instid1(VALU_DEP_1)
	v_fma_f64 v[10:11], |v[6:7]|, v[10:11], s[14:15]
	v_fma_f64 v[10:11], |v[6:7]|, v[10:11], s[16:17]
	s_delay_alu instid0(VALU_DEP_1) | instskip(NEXT) | instid1(VALU_DEP_1)
	v_fma_f64 v[10:11], |v[6:7]|, v[10:11], s[18:19]
	v_fma_f64 v[10:11], |v[6:7]|, v[10:11], s[20:21]
	s_delay_alu instid0(VALU_DEP_1) | instskip(NEXT) | instid1(VALU_DEP_1)
	v_fma_f64 v[10:11], |v[6:7]|, v[10:11], s[22:23]
	v_fma_f64 v[10:11], |v[6:7]|, v[10:11], s[24:25]
	s_delay_alu instid0(VALU_DEP_1) | instskip(NEXT) | instid1(VALU_DEP_1)
	v_fma_f64 v[10:11], |v[6:7]|, v[10:11], s[26:27]
	v_fma_f64 v[10:11], |v[6:7]|, v[10:11], s[28:29]
	s_delay_alu instid0(VALU_DEP_1) | instskip(NEXT) | instid1(VALU_DEP_1)
	v_fma_f64 v[10:11], |v[6:7]|, v[10:11], s[30:31]
	v_fma_f64 v[10:11], |v[6:7]|, v[10:11], s[34:35]
	s_delay_alu instid0(VALU_DEP_1) | instskip(NEXT) | instid1(VALU_DEP_1)
	v_fma_f64 v[10:11], |v[6:7]|, v[10:11], s[36:37]
	v_fma_f64 v[10:11], |v[6:7]|, v[10:11], s[38:39]
	s_delay_alu instid0(VALU_DEP_1) | instskip(NEXT) | instid1(VALU_DEP_1)
	v_fma_f64 v[10:11], |v[6:7]|, v[10:11], s[40:41]
	v_fma_f64 v[10:11], |v[6:7]|, v[10:11], s[42:43]
	s_delay_alu instid0(VALU_DEP_1) | instskip(NEXT) | instid1(VALU_DEP_1)
	v_fma_f64 v[10:11], |v[6:7]|, v[10:11], s[44:45]
	v_fma_f64 v[10:11], |v[6:7]|, v[10:11], s[46:47]
	s_delay_alu instid0(VALU_DEP_1) | instskip(NEXT) | instid1(VALU_DEP_1)
	v_fma_f64 v[10:11], |v[6:7]|, v[10:11], s[48:49]
	v_fma_f64 v[10:11], |v[6:7]|, v[10:11], |v[6:7]|
	s_delay_alu instid0(VALU_DEP_1) | instskip(SKIP_2) | instid1(VALU_DEP_3)
	v_mul_f64_e32 v[12:13], 0xbff71547652b82fe, v[10:11]
	v_cmp_ngt_f64_e32 vcc_lo, 0xc0900000, v[10:11]
	v_cmp_nlt_f64_e64 s0, 0x4090cc00, v[10:11]
	v_rndne_f64_e32 v[12:13], v[12:13]
	s_delay_alu instid0(VALU_DEP_1) | instskip(SKIP_1) | instid1(VALU_DEP_2)
	v_fma_f64 v[14:15], v[12:13], s[50:51], -v[10:11]
	v_cvt_i32_f64_e32 v26, v[12:13]
	v_fmac_f64_e32 v[14:15], 0xbc7abc9e3b39803f, v[12:13]
	s_delay_alu instid0(VALU_DEP_1) | instskip(NEXT) | instid1(VALU_DEP_1)
	v_fmamk_f64 v[16:17], v[14:15], 0x3e5ade156a5dcb37, v[22:23]
	v_fmaak_f64 v[16:17], v[14:15], v[16:17], 0x3ec71dee623fde64
	s_delay_alu instid0(VALU_DEP_1) | instskip(NEXT) | instid1(VALU_DEP_1)
	v_fmaak_f64 v[16:17], v[14:15], v[16:17], 0x3efa01997c89e6b0
	v_fmaak_f64 v[16:17], v[14:15], v[16:17], 0x3f2a01a014761f6e
	s_delay_alu instid0(VALU_DEP_1) | instskip(NEXT) | instid1(VALU_DEP_1)
	v_fmaak_f64 v[16:17], v[14:15], v[16:17], 0x3f56c16c1852b7b0
	;; [unrolled: 3-line block ×4, first 2 shown]
	v_fma_f64 v[16:17], v[14:15], v[16:17], 1.0
	s_delay_alu instid0(VALU_DEP_1) | instskip(NEXT) | instid1(VALU_DEP_1)
	v_fma_f64 v[12:13], v[14:15], v[16:17], 1.0
	v_ldexp_f64 v[12:13], v[12:13], v26
	s_delay_alu instid0(VALU_DEP_1) | instskip(NEXT) | instid1(VALU_DEP_1)
	v_add_f64_e64 v[12:13], -v[12:13], 1.0
	v_cndmask_b32_e32 v13, 0xfff00000, v13, vcc_lo
	s_and_b32 vcc_lo, s0, vcc_lo
	s_delay_alu instid0(VALU_DEP_2) | instskip(NEXT) | instid1(VALU_DEP_2)
	v_cndmask_b32_e32 v10, 0, v12, vcc_lo
	v_cndmask_b32_e64 v11, 0x3ff00000, v13, s0
.LBB241_43:                             ;   in Loop: Header=BB241_41 Depth=1
	s_and_not1_saveexec_b32 s0, s33
	s_cbranch_execz .LBB241_45
; %bb.44:                               ;   in Loop: Header=BB241_41 Depth=1
	v_mul_f64_e32 v[10:11], v[6:7], v[6:7]
	s_delay_alu instid0(VALU_DEP_1) | instskip(NEXT) | instid1(VALU_DEP_1)
	v_fmamk_f64 v[12:13], v[10:11], 0xbe0ab15c51d2ebeb, v[24:25]
	v_fmaak_f64 v[12:13], v[10:11], v[12:13], 0xbe85bfe763844720
	s_delay_alu instid0(VALU_DEP_1) | instskip(NEXT) | instid1(VALU_DEP_1)
	v_fmaak_f64 v[12:13], v[10:11], v[12:13], 0x3ebb97e44280cfb9
	v_fmaak_f64 v[12:13], v[10:11], v[12:13], 0xbeef4ca204c771c5
	s_delay_alu instid0(VALU_DEP_1) | instskip(NEXT) | instid1(VALU_DEP_1)
	v_fmaak_f64 v[12:13], v[10:11], v[12:13], 0x3f1f9a2b75531772
	;; [unrolled: 3-line block ×5, first 2 shown]
	v_fma_f64 v[10:11], |v[6:7]|, v[10:11], |v[6:7]|
.LBB241_45:                             ;   in Loop: Header=BB241_41 Depth=1
	s_or_b32 exec_lo, exec_lo, s0
	s_delay_alu instid0(SALU_CYCLE_1)
	s_mov_b32 s33, exec_lo
	v_cmpx_nlt_f64_e64 |v[8:9]|, 1.0
	s_xor_b32 s33, exec_lo, s33
	s_cbranch_execz .LBB241_47
; %bb.46:                               ;   in Loop: Header=BB241_41 Depth=1
	v_fma_f64 v[12:13], |v[8:9]|, s[4:5], s[2:3]
	s_delay_alu instid0(VALU_DEP_1) | instskip(NEXT) | instid1(VALU_DEP_1)
	v_fma_f64 v[12:13], |v[8:9]|, v[12:13], s[6:7]
	v_fma_f64 v[12:13], |v[8:9]|, v[12:13], s[8:9]
	s_delay_alu instid0(VALU_DEP_1) | instskip(NEXT) | instid1(VALU_DEP_1)
	v_fma_f64 v[12:13], |v[8:9]|, v[12:13], s[10:11]
	;; [unrolled: 3-line block ×11, first 2 shown]
	v_fma_f64 v[12:13], |v[8:9]|, v[12:13], |v[8:9]|
	s_delay_alu instid0(VALU_DEP_1) | instskip(SKIP_2) | instid1(VALU_DEP_3)
	v_mul_f64_e32 v[14:15], 0xbff71547652b82fe, v[12:13]
	v_cmp_ngt_f64_e32 vcc_lo, 0xc0900000, v[12:13]
	v_cmp_nlt_f64_e64 s0, 0x4090cc00, v[12:13]
	v_rndne_f64_e32 v[14:15], v[14:15]
	s_delay_alu instid0(VALU_DEP_1) | instskip(SKIP_1) | instid1(VALU_DEP_2)
	v_fma_f64 v[16:17], v[14:15], s[50:51], -v[12:13]
	v_cvt_i32_f64_e32 v6, v[14:15]
	v_fmac_f64_e32 v[16:17], 0xbc7abc9e3b39803f, v[14:15]
	s_delay_alu instid0(VALU_DEP_1) | instskip(NEXT) | instid1(VALU_DEP_1)
	v_fmamk_f64 v[26:27], v[16:17], 0x3e5ade156a5dcb37, v[22:23]
	v_fmaak_f64 v[26:27], v[16:17], v[26:27], 0x3ec71dee623fde64
	s_delay_alu instid0(VALU_DEP_1) | instskip(NEXT) | instid1(VALU_DEP_1)
	v_fmaak_f64 v[26:27], v[16:17], v[26:27], 0x3efa01997c89e6b0
	v_fmaak_f64 v[26:27], v[16:17], v[26:27], 0x3f2a01a014761f6e
	s_delay_alu instid0(VALU_DEP_1) | instskip(NEXT) | instid1(VALU_DEP_1)
	v_fmaak_f64 v[26:27], v[16:17], v[26:27], 0x3f56c16c1852b7b0
	v_fmaak_f64 v[26:27], v[16:17], v[26:27], 0x3f81111111122322
	s_delay_alu instid0(VALU_DEP_1) | instskip(NEXT) | instid1(VALU_DEP_1)
	v_fmaak_f64 v[26:27], v[16:17], v[26:27], 0x3fa55555555502a1
	v_fmaak_f64 v[26:27], v[16:17], v[26:27], 0x3fc5555555555511
	s_delay_alu instid0(VALU_DEP_1) | instskip(NEXT) | instid1(VALU_DEP_1)
	v_fmaak_f64 v[26:27], v[16:17], v[26:27], 0x3fe000000000000b
	v_fma_f64 v[26:27], v[16:17], v[26:27], 1.0
	s_delay_alu instid0(VALU_DEP_1) | instskip(NEXT) | instid1(VALU_DEP_1)
	v_fma_f64 v[14:15], v[16:17], v[26:27], 1.0
	v_ldexp_f64 v[14:15], v[14:15], v6
	s_delay_alu instid0(VALU_DEP_1) | instskip(NEXT) | instid1(VALU_DEP_1)
	v_add_f64_e64 v[14:15], -v[14:15], 1.0
	v_cndmask_b32_e32 v6, 0xfff00000, v15, vcc_lo
	s_and_b32 vcc_lo, s0, vcc_lo
	s_delay_alu instid0(VALU_DEP_2) | instskip(NEXT) | instid1(VALU_DEP_2)
	v_cndmask_b32_e32 v12, 0, v14, vcc_lo
	v_cndmask_b32_e64 v13, 0x3ff00000, v6, s0
.LBB241_47:                             ;   in Loop: Header=BB241_41 Depth=1
	s_and_not1_saveexec_b32 s0, s33
	s_cbranch_execz .LBB241_49
; %bb.48:                               ;   in Loop: Header=BB241_41 Depth=1
	v_mul_f64_e32 v[12:13], v[8:9], v[8:9]
	s_delay_alu instid0(VALU_DEP_1) | instskip(NEXT) | instid1(VALU_DEP_1)
	v_fmamk_f64 v[14:15], v[12:13], 0xbe0ab15c51d2ebeb, v[24:25]
	v_fmaak_f64 v[14:15], v[12:13], v[14:15], 0xbe85bfe763844720
	s_delay_alu instid0(VALU_DEP_1) | instskip(NEXT) | instid1(VALU_DEP_1)
	v_fmaak_f64 v[14:15], v[12:13], v[14:15], 0x3ebb97e44280cfb9
	v_fmaak_f64 v[14:15], v[12:13], v[14:15], 0xbeef4ca204c771c5
	s_delay_alu instid0(VALU_DEP_1) | instskip(NEXT) | instid1(VALU_DEP_1)
	v_fmaak_f64 v[14:15], v[12:13], v[14:15], 0x3f1f9a2b75531772
	;; [unrolled: 3-line block ×5, first 2 shown]
	v_fma_f64 v[12:13], |v[8:9]|, v[12:13], |v[8:9]|
.LBB241_49:                             ;   in Loop: Header=BB241_41 Depth=1
	s_or_b32 exec_lo, exec_lo, s0
	s_delay_alu instid0(SALU_CYCLE_1)
	s_mov_b32 s33, exec_lo
                                        ; implicit-def: $vgpr14_vgpr15
	s_wait_loadcnt 0x0
	v_cmpx_nlt_f64_e64 |v[2:3]|, 1.0
	s_xor_b32 s33, exec_lo, s33
	s_cbranch_execz .LBB241_51
; %bb.50:                               ;   in Loop: Header=BB241_41 Depth=1
	v_fma_f64 v[14:15], |v[2:3]|, s[4:5], s[2:3]
	s_delay_alu instid0(VALU_DEP_1) | instskip(NEXT) | instid1(VALU_DEP_1)
	v_fma_f64 v[14:15], |v[2:3]|, v[14:15], s[6:7]
	v_fma_f64 v[14:15], |v[2:3]|, v[14:15], s[8:9]
	s_delay_alu instid0(VALU_DEP_1) | instskip(NEXT) | instid1(VALU_DEP_1)
	v_fma_f64 v[14:15], |v[2:3]|, v[14:15], s[10:11]
	;; [unrolled: 3-line block ×11, first 2 shown]
	v_fma_f64 v[14:15], |v[2:3]|, v[14:15], |v[2:3]|
	s_delay_alu instid0(VALU_DEP_1) | instskip(SKIP_2) | instid1(VALU_DEP_3)
	v_mul_f64_e32 v[16:17], 0xbff71547652b82fe, v[14:15]
	v_cmp_ngt_f64_e32 vcc_lo, 0xc0900000, v[14:15]
	v_cmp_nlt_f64_e64 s0, 0x4090cc00, v[14:15]
	v_rndne_f64_e32 v[16:17], v[16:17]
	s_delay_alu instid0(VALU_DEP_1) | instskip(SKIP_1) | instid1(VALU_DEP_2)
	v_fma_f64 v[26:27], v[16:17], s[50:51], -v[14:15]
	v_cvt_i32_f64_e32 v6, v[16:17]
	v_fmac_f64_e32 v[26:27], 0xbc7abc9e3b39803f, v[16:17]
	s_delay_alu instid0(VALU_DEP_1) | instskip(NEXT) | instid1(VALU_DEP_1)
	v_fmamk_f64 v[28:29], v[26:27], 0x3e5ade156a5dcb37, v[22:23]
	v_fmaak_f64 v[28:29], v[26:27], v[28:29], 0x3ec71dee623fde64
	s_delay_alu instid0(VALU_DEP_1) | instskip(NEXT) | instid1(VALU_DEP_1)
	v_fmaak_f64 v[28:29], v[26:27], v[28:29], 0x3efa01997c89e6b0
	v_fmaak_f64 v[28:29], v[26:27], v[28:29], 0x3f2a01a014761f6e
	s_delay_alu instid0(VALU_DEP_1) | instskip(NEXT) | instid1(VALU_DEP_1)
	v_fmaak_f64 v[28:29], v[26:27], v[28:29], 0x3f56c16c1852b7b0
	;; [unrolled: 3-line block ×4, first 2 shown]
	v_fma_f64 v[28:29], v[26:27], v[28:29], 1.0
	s_delay_alu instid0(VALU_DEP_1) | instskip(NEXT) | instid1(VALU_DEP_1)
	v_fma_f64 v[16:17], v[26:27], v[28:29], 1.0
	v_ldexp_f64 v[16:17], v[16:17], v6
	s_delay_alu instid0(VALU_DEP_1) | instskip(NEXT) | instid1(VALU_DEP_1)
	v_add_f64_e64 v[16:17], -v[16:17], 1.0
	v_cndmask_b32_e32 v6, 0xfff00000, v17, vcc_lo
	s_and_b32 vcc_lo, s0, vcc_lo
	s_delay_alu instid0(VALU_DEP_2) | instskip(NEXT) | instid1(VALU_DEP_2)
	v_cndmask_b32_e32 v14, 0, v16, vcc_lo
	v_cndmask_b32_e64 v15, 0x3ff00000, v6, s0
.LBB241_51:                             ;   in Loop: Header=BB241_41 Depth=1
	s_and_not1_saveexec_b32 s0, s33
	s_cbranch_execz .LBB241_53
; %bb.52:                               ;   in Loop: Header=BB241_41 Depth=1
	v_mul_f64_e32 v[14:15], v[2:3], v[2:3]
	s_delay_alu instid0(VALU_DEP_1) | instskip(NEXT) | instid1(VALU_DEP_1)
	v_fmamk_f64 v[16:17], v[14:15], 0xbe0ab15c51d2ebeb, v[24:25]
	v_fmaak_f64 v[16:17], v[14:15], v[16:17], 0xbe85bfe763844720
	s_delay_alu instid0(VALU_DEP_1) | instskip(NEXT) | instid1(VALU_DEP_1)
	v_fmaak_f64 v[16:17], v[14:15], v[16:17], 0x3ebb97e44280cfb9
	v_fmaak_f64 v[16:17], v[14:15], v[16:17], 0xbeef4ca204c771c5
	s_delay_alu instid0(VALU_DEP_1) | instskip(NEXT) | instid1(VALU_DEP_1)
	v_fmaak_f64 v[16:17], v[14:15], v[16:17], 0x3f1f9a2b75531772
	;; [unrolled: 3-line block ×5, first 2 shown]
	v_fma_f64 v[14:15], |v[2:3]|, v[14:15], |v[2:3]|
.LBB241_53:                             ;   in Loop: Header=BB241_41 Depth=1
	s_or_b32 exec_lo, exec_lo, s0
	s_delay_alu instid0(SALU_CYCLE_1)
	s_mov_b32 s33, exec_lo
	v_cmpx_nlt_f64_e64 |v[4:5]|, 1.0
	s_xor_b32 s33, exec_lo, s33
	s_cbranch_execz .LBB241_55
; %bb.54:                               ;   in Loop: Header=BB241_41 Depth=1
	v_fma_f64 v[16:17], |v[4:5]|, s[4:5], s[2:3]
	s_delay_alu instid0(VALU_DEP_1) | instskip(NEXT) | instid1(VALU_DEP_1)
	v_fma_f64 v[16:17], |v[4:5]|, v[16:17], s[6:7]
	v_fma_f64 v[16:17], |v[4:5]|, v[16:17], s[8:9]
	s_delay_alu instid0(VALU_DEP_1) | instskip(NEXT) | instid1(VALU_DEP_1)
	v_fma_f64 v[16:17], |v[4:5]|, v[16:17], s[10:11]
	;; [unrolled: 3-line block ×11, first 2 shown]
	v_fma_f64 v[16:17], |v[4:5]|, v[16:17], |v[4:5]|
	s_delay_alu instid0(VALU_DEP_1) | instskip(SKIP_2) | instid1(VALU_DEP_3)
	v_mul_f64_e32 v[26:27], 0xbff71547652b82fe, v[16:17]
	v_cmp_ngt_f64_e32 vcc_lo, 0xc0900000, v[16:17]
	v_cmp_nlt_f64_e64 s0, 0x4090cc00, v[16:17]
	v_rndne_f64_e32 v[26:27], v[26:27]
	s_delay_alu instid0(VALU_DEP_1) | instskip(SKIP_1) | instid1(VALU_DEP_2)
	v_fma_f64 v[28:29], v[26:27], s[50:51], -v[16:17]
	v_cvt_i32_f64_e32 v2, v[26:27]
	v_fmac_f64_e32 v[28:29], 0xbc7abc9e3b39803f, v[26:27]
	s_delay_alu instid0(VALU_DEP_1) | instskip(NEXT) | instid1(VALU_DEP_1)
	v_fmamk_f64 v[30:31], v[28:29], 0x3e5ade156a5dcb37, v[22:23]
	v_fmaak_f64 v[30:31], v[28:29], v[30:31], 0x3ec71dee623fde64
	s_delay_alu instid0(VALU_DEP_1) | instskip(NEXT) | instid1(VALU_DEP_1)
	v_fmaak_f64 v[30:31], v[28:29], v[30:31], 0x3efa01997c89e6b0
	v_fmaak_f64 v[30:31], v[28:29], v[30:31], 0x3f2a01a014761f6e
	s_delay_alu instid0(VALU_DEP_1) | instskip(NEXT) | instid1(VALU_DEP_1)
	v_fmaak_f64 v[30:31], v[28:29], v[30:31], 0x3f56c16c1852b7b0
	v_fmaak_f64 v[30:31], v[28:29], v[30:31], 0x3f81111111122322
	s_delay_alu instid0(VALU_DEP_1) | instskip(NEXT) | instid1(VALU_DEP_1)
	v_fmaak_f64 v[30:31], v[28:29], v[30:31], 0x3fa55555555502a1
	v_fmaak_f64 v[30:31], v[28:29], v[30:31], 0x3fc5555555555511
	s_delay_alu instid0(VALU_DEP_1) | instskip(NEXT) | instid1(VALU_DEP_1)
	v_fmaak_f64 v[30:31], v[28:29], v[30:31], 0x3fe000000000000b
	v_fma_f64 v[30:31], v[28:29], v[30:31], 1.0
	s_delay_alu instid0(VALU_DEP_1) | instskip(NEXT) | instid1(VALU_DEP_1)
	v_fma_f64 v[26:27], v[28:29], v[30:31], 1.0
	v_ldexp_f64 v[26:27], v[26:27], v2
	s_delay_alu instid0(VALU_DEP_1) | instskip(NEXT) | instid1(VALU_DEP_1)
	v_add_f64_e64 v[26:27], -v[26:27], 1.0
	v_cndmask_b32_e32 v2, 0xfff00000, v27, vcc_lo
	s_and_b32 vcc_lo, s0, vcc_lo
	s_delay_alu instid0(VALU_DEP_2) | instskip(NEXT) | instid1(VALU_DEP_2)
	v_cndmask_b32_e32 v16, 0, v26, vcc_lo
	v_cndmask_b32_e64 v17, 0x3ff00000, v2, s0
.LBB241_55:                             ;   in Loop: Header=BB241_41 Depth=1
	s_and_not1_saveexec_b32 s0, s33
	s_cbranch_execz .LBB241_40
; %bb.56:                               ;   in Loop: Header=BB241_41 Depth=1
	v_mul_f64_e32 v[16:17], v[4:5], v[4:5]
	s_delay_alu instid0(VALU_DEP_1) | instskip(NEXT) | instid1(VALU_DEP_1)
	v_fmamk_f64 v[26:27], v[16:17], 0xbe0ab15c51d2ebeb, v[24:25]
	v_fmaak_f64 v[26:27], v[16:17], v[26:27], 0xbe85bfe763844720
	s_delay_alu instid0(VALU_DEP_1) | instskip(NEXT) | instid1(VALU_DEP_1)
	v_fmaak_f64 v[26:27], v[16:17], v[26:27], 0x3ebb97e44280cfb9
	v_fmaak_f64 v[26:27], v[16:17], v[26:27], 0xbeef4ca204c771c5
	s_delay_alu instid0(VALU_DEP_1) | instskip(NEXT) | instid1(VALU_DEP_1)
	v_fmaak_f64 v[26:27], v[16:17], v[26:27], 0x3f1f9a2b75531772
	;; [unrolled: 3-line block ×5, first 2 shown]
	v_fma_f64 v[16:17], |v[4:5]|, v[16:17], |v[4:5]|
	s_branch .LBB241_40
.LBB241_57:
	s_endpgm
	.section	.rodata,"a",@progbits
	.p2align	6, 0x0
	.amdhsa_kernel _ZN2at6native12_GLOBAL__N_125multi_tensor_apply_kernelINS1_18TensorListMetadataILi1EEENS1_14UnaryOpFunctorIdLi1ELi1ELi0EEEJNS0_3ErfIdEEEEEvT_T0_DpT1_
		.amdhsa_group_segment_fixed_size 0
		.amdhsa_private_segment_fixed_size 0
		.amdhsa_kernarg_size 3632
		.amdhsa_user_sgpr_count 2
		.amdhsa_user_sgpr_dispatch_ptr 0
		.amdhsa_user_sgpr_queue_ptr 0
		.amdhsa_user_sgpr_kernarg_segment_ptr 1
		.amdhsa_user_sgpr_dispatch_id 0
		.amdhsa_user_sgpr_kernarg_preload_length 0
		.amdhsa_user_sgpr_kernarg_preload_offset 0
		.amdhsa_user_sgpr_private_segment_size 0
		.amdhsa_wavefront_size32 1
		.amdhsa_uses_dynamic_stack 0
		.amdhsa_enable_private_segment 0
		.amdhsa_system_sgpr_workgroup_id_x 1
		.amdhsa_system_sgpr_workgroup_id_y 0
		.amdhsa_system_sgpr_workgroup_id_z 0
		.amdhsa_system_sgpr_workgroup_info 0
		.amdhsa_system_vgpr_workitem_id 0
		.amdhsa_next_free_vgpr 46
		.amdhsa_next_free_sgpr 74
		.amdhsa_named_barrier_count 0
		.amdhsa_reserve_vcc 1
		.amdhsa_float_round_mode_32 0
		.amdhsa_float_round_mode_16_64 0
		.amdhsa_float_denorm_mode_32 3
		.amdhsa_float_denorm_mode_16_64 3
		.amdhsa_fp16_overflow 0
		.amdhsa_memory_ordered 1
		.amdhsa_forward_progress 1
		.amdhsa_inst_pref_size 58
		.amdhsa_round_robin_scheduling 0
		.amdhsa_exception_fp_ieee_invalid_op 0
		.amdhsa_exception_fp_denorm_src 0
		.amdhsa_exception_fp_ieee_div_zero 0
		.amdhsa_exception_fp_ieee_overflow 0
		.amdhsa_exception_fp_ieee_underflow 0
		.amdhsa_exception_fp_ieee_inexact 0
		.amdhsa_exception_int_div_zero 0
	.end_amdhsa_kernel
	.section	.text._ZN2at6native12_GLOBAL__N_125multi_tensor_apply_kernelINS1_18TensorListMetadataILi1EEENS1_14UnaryOpFunctorIdLi1ELi1ELi0EEEJNS0_3ErfIdEEEEEvT_T0_DpT1_,"axG",@progbits,_ZN2at6native12_GLOBAL__N_125multi_tensor_apply_kernelINS1_18TensorListMetadataILi1EEENS1_14UnaryOpFunctorIdLi1ELi1ELi0EEEJNS0_3ErfIdEEEEEvT_T0_DpT1_,comdat
.Lfunc_end241:
	.size	_ZN2at6native12_GLOBAL__N_125multi_tensor_apply_kernelINS1_18TensorListMetadataILi1EEENS1_14UnaryOpFunctorIdLi1ELi1ELi0EEEJNS0_3ErfIdEEEEEvT_T0_DpT1_, .Lfunc_end241-_ZN2at6native12_GLOBAL__N_125multi_tensor_apply_kernelINS1_18TensorListMetadataILi1EEENS1_14UnaryOpFunctorIdLi1ELi1ELi0EEEJNS0_3ErfIdEEEEEvT_T0_DpT1_
                                        ; -- End function
	.set _ZN2at6native12_GLOBAL__N_125multi_tensor_apply_kernelINS1_18TensorListMetadataILi1EEENS1_14UnaryOpFunctorIdLi1ELi1ELi0EEEJNS0_3ErfIdEEEEEvT_T0_DpT1_.num_vgpr, 46
	.set _ZN2at6native12_GLOBAL__N_125multi_tensor_apply_kernelINS1_18TensorListMetadataILi1EEENS1_14UnaryOpFunctorIdLi1ELi1ELi0EEEJNS0_3ErfIdEEEEEvT_T0_DpT1_.num_agpr, 0
	.set _ZN2at6native12_GLOBAL__N_125multi_tensor_apply_kernelINS1_18TensorListMetadataILi1EEENS1_14UnaryOpFunctorIdLi1ELi1ELi0EEEJNS0_3ErfIdEEEEEvT_T0_DpT1_.numbered_sgpr, 74
	.set _ZN2at6native12_GLOBAL__N_125multi_tensor_apply_kernelINS1_18TensorListMetadataILi1EEENS1_14UnaryOpFunctorIdLi1ELi1ELi0EEEJNS0_3ErfIdEEEEEvT_T0_DpT1_.num_named_barrier, 0
	.set _ZN2at6native12_GLOBAL__N_125multi_tensor_apply_kernelINS1_18TensorListMetadataILi1EEENS1_14UnaryOpFunctorIdLi1ELi1ELi0EEEJNS0_3ErfIdEEEEEvT_T0_DpT1_.private_seg_size, 0
	.set _ZN2at6native12_GLOBAL__N_125multi_tensor_apply_kernelINS1_18TensorListMetadataILi1EEENS1_14UnaryOpFunctorIdLi1ELi1ELi0EEEJNS0_3ErfIdEEEEEvT_T0_DpT1_.uses_vcc, 1
	.set _ZN2at6native12_GLOBAL__N_125multi_tensor_apply_kernelINS1_18TensorListMetadataILi1EEENS1_14UnaryOpFunctorIdLi1ELi1ELi0EEEJNS0_3ErfIdEEEEEvT_T0_DpT1_.uses_flat_scratch, 0
	.set _ZN2at6native12_GLOBAL__N_125multi_tensor_apply_kernelINS1_18TensorListMetadataILi1EEENS1_14UnaryOpFunctorIdLi1ELi1ELi0EEEJNS0_3ErfIdEEEEEvT_T0_DpT1_.has_dyn_sized_stack, 0
	.set _ZN2at6native12_GLOBAL__N_125multi_tensor_apply_kernelINS1_18TensorListMetadataILi1EEENS1_14UnaryOpFunctorIdLi1ELi1ELi0EEEJNS0_3ErfIdEEEEEvT_T0_DpT1_.has_recursion, 0
	.set _ZN2at6native12_GLOBAL__N_125multi_tensor_apply_kernelINS1_18TensorListMetadataILi1EEENS1_14UnaryOpFunctorIdLi1ELi1ELi0EEEJNS0_3ErfIdEEEEEvT_T0_DpT1_.has_indirect_call, 0
	.section	.AMDGPU.csdata,"",@progbits
; Kernel info:
; codeLenInByte = 7340
; TotalNumSgprs: 76
; NumVgprs: 46
; ScratchSize: 0
; MemoryBound: 1
; FloatMode: 240
; IeeeMode: 1
; LDSByteSize: 0 bytes/workgroup (compile time only)
; SGPRBlocks: 0
; VGPRBlocks: 2
; NumSGPRsForWavesPerEU: 76
; NumVGPRsForWavesPerEU: 46
; NamedBarCnt: 0
; Occupancy: 16
; WaveLimiterHint : 0
; COMPUTE_PGM_RSRC2:SCRATCH_EN: 0
; COMPUTE_PGM_RSRC2:USER_SGPR: 2
; COMPUTE_PGM_RSRC2:TRAP_HANDLER: 0
; COMPUTE_PGM_RSRC2:TGID_X_EN: 1
; COMPUTE_PGM_RSRC2:TGID_Y_EN: 0
; COMPUTE_PGM_RSRC2:TGID_Z_EN: 0
; COMPUTE_PGM_RSRC2:TIDIG_COMP_CNT: 0
	.section	.text._ZN2at6native12_GLOBAL__N_125multi_tensor_apply_kernelINS1_18TensorListMetadataILi1EEENS1_14UnaryOpFunctorIfLi1ELi1ELi0EEEJNS0_3ErfIfEEEEEvT_T0_DpT1_,"axG",@progbits,_ZN2at6native12_GLOBAL__N_125multi_tensor_apply_kernelINS1_18TensorListMetadataILi1EEENS1_14UnaryOpFunctorIfLi1ELi1ELi0EEEJNS0_3ErfIfEEEEEvT_T0_DpT1_,comdat
	.globl	_ZN2at6native12_GLOBAL__N_125multi_tensor_apply_kernelINS1_18TensorListMetadataILi1EEENS1_14UnaryOpFunctorIfLi1ELi1ELi0EEEJNS0_3ErfIfEEEEEvT_T0_DpT1_ ; -- Begin function _ZN2at6native12_GLOBAL__N_125multi_tensor_apply_kernelINS1_18TensorListMetadataILi1EEENS1_14UnaryOpFunctorIfLi1ELi1ELi0EEEJNS0_3ErfIfEEEEEvT_T0_DpT1_
	.p2align	8
	.type	_ZN2at6native12_GLOBAL__N_125multi_tensor_apply_kernelINS1_18TensorListMetadataILi1EEENS1_14UnaryOpFunctorIfLi1ELi1ELi0EEEJNS0_3ErfIfEEEEEvT_T0_DpT1_,@function
_ZN2at6native12_GLOBAL__N_125multi_tensor_apply_kernelINS1_18TensorListMetadataILi1EEENS1_14UnaryOpFunctorIfLi1ELi1ELi0EEEJNS0_3ErfIfEEEEEvT_T0_DpT1_: ; @_ZN2at6native12_GLOBAL__N_125multi_tensor_apply_kernelINS1_18TensorListMetadataILi1EEENS1_14UnaryOpFunctorIfLi1ELi1ELi0EEEJNS0_3ErfIfEEEEEvT_T0_DpT1_
; %bb.0:
	s_bfe_u32 s2, ttmp6, 0x4000c
	s_and_b32 s3, ttmp6, 15
	s_add_co_i32 s2, s2, 1
	s_getreg_b32 s4, hwreg(HW_REG_IB_STS2, 6, 4)
	s_mul_i32 s2, ttmp9, s2
	s_delay_alu instid0(SALU_CYCLE_1)
	s_add_co_i32 s3, s3, s2
	s_cmp_eq_u32 s4, 0
	s_cselect_b32 s2, ttmp9, s3
	s_mov_b32 s3, 0
	s_load_u8 s8, s[0:1], s2 offset:0x6e0
	s_add_nc_u64 s[4:5], s[0:1], s[2:3]
	s_mul_u64 s[6:7], s[2:3], 3
	s_delay_alu instid0(SALU_CYCLE_1)
	s_add_nc_u64 s[4:5], s[4:5], s[6:7]
	s_load_b32 s10, s[4:5], 0x820
	s_wait_kmcnt 0x0
	s_clause 0x1
	s_load_b64 s[6:7], s[0:1], s8 offset:0x0 scale_offset
	s_load_b64 s[12:13], s[0:1], s8 offset:0x370 scale_offset
	s_ashr_i32 s11, s10, 31
	s_wait_kmcnt 0x0
	s_and_b64 s[4:5], s[6:7], 15
	s_and_b32 s2, s12, 3
	s_lshl_b64 s[8:9], s[10:11], 18
	s_or_b64 s[2:3], s[4:5], s[2:3]
	s_lshl_b64 s[4:5], s[10:11], 16
	s_cmp_eq_u64 s[2:3], 0
	s_sub_nc_u64 s[10:11], s[12:13], s[4:5]
	s_cbranch_scc1 .LBB242_37
; %bb.1:
	v_cmp_lt_i64_e64 s2, s[10:11], 1
	s_and_b32 vcc_lo, exec_lo, s2
	s_cbranch_vccnz .LBB242_36
; %bb.2:
	s_load_b32 s4, s[0:1], 0xd3c
	v_min_i64 v[2:3], 0x10000, s[10:11]
	v_min_u64 v[4:5], 0x10000, s[10:11]
	v_dual_mov_b32 v1, 0 :: v_dual_lshlrev_b32 v8, 2, v0
	s_mov_b32 s19, 0
	s_add_nc_u64 s[2:3], s[6:7], s[8:9]
	s_mov_b32 s5, s19
	s_delay_alu instid0(VALU_DEP_1)
	v_mov_b32_e32 v15, v1
	s_mov_b32 s21, s19
	s_mov_b32 s13, s19
	;; [unrolled: 1-line block ×5, first 2 shown]
	s_wait_kmcnt 0x0
	s_and_b32 s18, s4, 0xffff
	s_delay_alu instid0(SALU_CYCLE_1)
	v_add_nc_u64_e32 v[6:7], s[18:19], v[0:1]
	v_mov_b32_e32 v9, v1
	s_lshl_b32 s4, s18, 1
	s_mul_i32 s20, s18, 3
	v_add_nc_u64_e32 v[12:13], s[4:5], v[0:1]
	v_add_nc_u64_e32 v[10:11], s[20:21], v[0:1]
	s_lshl_b32 s12, s18, 2
	v_lshlrev_b32_e32 v14, 2, v6
	v_add_nc_u64_e32 v[8:9], s[2:3], v[8:9]
	s_lshl_b32 s14, s18, 4
	s_mul_u64 s[16:17], s[18:19], 12
	s_lshl_b32 s18, s18, 3
	v_add_nc_u64_e32 v[14:15], s[2:3], v[14:15]
	s_mov_b64 s[20:21], 0
	s_branch .LBB242_4
.LBB242_3:                              ;   in Loop: Header=BB242_4 Depth=1
	s_wait_xcnt 0x0
	s_or_b32 exec_lo, exec_lo, s2
	s_add_nc_u64 s[20:21], s[20:21], s[12:13]
	v_add_nc_u64_e32 v[8:9], s[14:15], v[8:9]
	v_cmp_ge_i64_e32 vcc_lo, s[20:21], v[2:3]
	v_add_nc_u64_e32 v[14:15], s[14:15], v[14:15]
	s_cbranch_vccnz .LBB242_36
.LBB242_4:                              ; =>This Inner Loop Header: Depth=1
	v_add_nc_u64_e32 v[16:17], s[20:21], v[0:1]
	v_mov_b32_e32 v21, 0
	s_delay_alu instid0(VALU_DEP_2)
	v_cmp_lt_u64_e32 vcc_lo, v[16:17], v[4:5]
	s_and_saveexec_b32 s2, vcc_lo
	s_cbranch_execz .LBB242_6
; %bb.5:                                ;   in Loop: Header=BB242_4 Depth=1
	global_load_b32 v21, v[8:9], off
.LBB242_6:                              ;   in Loop: Header=BB242_4 Depth=1
	s_wait_xcnt 0x0
	s_or_b32 exec_lo, exec_lo, s2
	v_add_nc_u64_e32 v[16:17], s[20:21], v[6:7]
	v_dual_mov_b32 v20, 0 :: v_dual_mov_b32 v22, 0
	s_delay_alu instid0(VALU_DEP_2)
	v_cmp_lt_u64_e64 s2, v[16:17], v[4:5]
	s_and_saveexec_b32 s3, s2
	s_cbranch_execz .LBB242_8
; %bb.7:                                ;   in Loop: Header=BB242_4 Depth=1
	global_load_b32 v22, v[14:15], off
.LBB242_8:                              ;   in Loop: Header=BB242_4 Depth=1
	s_wait_xcnt 0x0
	s_or_b32 exec_lo, exec_lo, s3
	v_add_nc_u64_e32 v[16:17], s[20:21], v[12:13]
	s_delay_alu instid0(VALU_DEP_1)
	v_cmp_lt_u64_e64 s3, v[16:17], v[4:5]
	v_add_nc_u64_e32 v[16:17], s[18:19], v[8:9]
	s_and_saveexec_b32 s4, s3
	s_cbranch_execz .LBB242_10
; %bb.9:                                ;   in Loop: Header=BB242_4 Depth=1
	global_load_b32 v20, v[16:17], off
.LBB242_10:                             ;   in Loop: Header=BB242_4 Depth=1
	s_wait_xcnt 0x0
	s_or_b32 exec_lo, exec_lo, s4
	v_add_nc_u64_e32 v[18:19], s[20:21], v[10:11]
	v_mov_b32_e32 v23, 0
	s_delay_alu instid0(VALU_DEP_2)
	v_cmp_lt_u64_e64 s4, v[18:19], v[4:5]
	v_add_nc_u64_e32 v[18:19], s[16:17], v[8:9]
	s_and_saveexec_b32 s5, s4
	s_cbranch_execz .LBB242_12
; %bb.11:                               ;   in Loop: Header=BB242_4 Depth=1
	global_load_b32 v23, v[18:19], off
.LBB242_12:                             ;   in Loop: Header=BB242_4 Depth=1
	s_wait_xcnt 0x0
	s_or_b32 exec_lo, exec_lo, s5
	s_delay_alu instid0(SALU_CYCLE_1)
	s_mov_b32 s24, exec_lo
                                        ; implicit-def: $vgpr24
	s_wait_loadcnt 0x0
	v_cmpx_nlt_f32_e64 |v21|, 1.0
	s_xor_b32 s24, exec_lo, s24
	s_cbranch_execz .LBB242_14
; %bb.13:                               ;   in Loop: Header=BB242_4 Depth=1
	v_fma_f32 v24, |v21|, s22, 0xb9c68948
	s_delay_alu instid0(VALU_DEP_1) | instskip(NEXT) | instid1(VALU_DEP_1)
	v_fma_f32 v24, |v21|, v24, 0x3b7cd369
	v_fma_f32 v24, |v21|, v24, 0xbcc618b2
	s_delay_alu instid0(VALU_DEP_1) | instskip(NEXT) | instid1(VALU_DEP_1)
	v_fma_f32 v24, |v21|, v24, 0x3dda74e4
	v_fma_f32 v24, |v21|, v24, 0x3f228afd
	s_delay_alu instid0(VALU_DEP_1) | instskip(NEXT) | instid1(VALU_DEP_1)
	v_fma_f32 v24, |v21|, v24, 0x3e03c728
	v_fma_f32 v24, |v21|, v24, |v21|
	s_delay_alu instid0(VALU_DEP_1) | instskip(SKIP_1) | instid1(VALU_DEP_2)
	v_mul_f32_e32 v25, 0xbfb8aa3b, v24
	v_cmp_nlt_f32_e64 s5, 0x42ce8ed0, v24
	v_fma_f32 v26, 0xbfb8aa3b, v24, -v25
	v_rndne_f32_e32 v27, v25
	s_delay_alu instid0(VALU_DEP_1) | instskip(NEXT) | instid1(VALU_DEP_1)
	v_dual_fmac_f32 v26, 0xb2a5705f, v24 :: v_dual_sub_f32 v25, v25, v27
	v_add_f32_e32 v25, v25, v26
	v_cvt_i32_f32_e32 v26, v27
	s_delay_alu instid0(VALU_DEP_2) | instskip(SKIP_1) | instid1(TRANS32_DEP_1)
	v_exp_f32_e32 v25, v25
	v_nop
	v_ldexp_f32 v25, v25, v26
	s_delay_alu instid0(VALU_DEP_1) | instskip(SKIP_1) | instid1(VALU_DEP_1)
	v_cndmask_b32_e64 v25, 0, v25, s5
	v_cmp_ngt_f32_e64 s5, 0xc2b17218, v24
	v_cndmask_b32_e64 v24, 0x7f800000, v25, s5
	s_delay_alu instid0(VALU_DEP_1)
	v_sub_f32_e32 v24, 1.0, v24
.LBB242_14:                             ;   in Loop: Header=BB242_4 Depth=1
	s_and_not1_saveexec_b32 s5, s24
	s_cbranch_execz .LBB242_16
; %bb.15:                               ;   in Loop: Header=BB242_4 Depth=1
	v_mul_f32_e32 v24, v21, v21
	s_delay_alu instid0(VALU_DEP_1) | instskip(NEXT) | instid1(VALU_DEP_1)
	v_fmaak_f32 v25, s23, v24, 0x3ba10414
	v_fmaak_f32 v25, v24, v25, 0xbcdac9b8
	s_delay_alu instid0(VALU_DEP_1) | instskip(NEXT) | instid1(VALU_DEP_1)
	v_fmaak_f32 v25, v24, v25, 0x3de703be
	v_fmaak_f32 v25, v24, v25, 0xbec09330
	s_delay_alu instid0(VALU_DEP_1) | instskip(NEXT) | instid1(VALU_DEP_1)
	v_fmaak_f32 v24, v24, v25, 0x3e0375d0
	v_fma_f32 v24, |v21|, v24, |v21|
.LBB242_16:                             ;   in Loop: Header=BB242_4 Depth=1
	s_or_b32 exec_lo, exec_lo, s5
	s_delay_alu instid0(SALU_CYCLE_1)
	s_mov_b32 s24, exec_lo
                                        ; implicit-def: $vgpr25
	v_cmpx_nlt_f32_e64 |v22|, 1.0
	s_xor_b32 s24, exec_lo, s24
	s_cbranch_execz .LBB242_18
; %bb.17:                               ;   in Loop: Header=BB242_4 Depth=1
	v_fma_f32 v25, |v22|, s22, 0xb9c68948
	s_delay_alu instid0(VALU_DEP_1) | instskip(NEXT) | instid1(VALU_DEP_1)
	v_fma_f32 v25, |v22|, v25, 0x3b7cd369
	v_fma_f32 v25, |v22|, v25, 0xbcc618b2
	s_delay_alu instid0(VALU_DEP_1) | instskip(NEXT) | instid1(VALU_DEP_1)
	v_fma_f32 v25, |v22|, v25, 0x3dda74e4
	;; [unrolled: 3-line block ×3, first 2 shown]
	v_fma_f32 v25, |v22|, v25, |v22|
	s_delay_alu instid0(VALU_DEP_1) | instskip(SKIP_1) | instid1(VALU_DEP_2)
	v_mul_f32_e32 v26, 0xbfb8aa3b, v25
	v_cmp_nlt_f32_e64 s5, 0x42ce8ed0, v25
	v_fma_f32 v27, 0xbfb8aa3b, v25, -v26
	v_rndne_f32_e32 v28, v26
	s_delay_alu instid0(VALU_DEP_1) | instskip(NEXT) | instid1(VALU_DEP_1)
	v_dual_fmac_f32 v27, 0xb2a5705f, v25 :: v_dual_sub_f32 v26, v26, v28
	v_add_f32_e32 v26, v26, v27
	v_cvt_i32_f32_e32 v27, v28
	s_delay_alu instid0(VALU_DEP_2) | instskip(SKIP_1) | instid1(TRANS32_DEP_1)
	v_exp_f32_e32 v26, v26
	v_nop
	v_ldexp_f32 v26, v26, v27
	s_delay_alu instid0(VALU_DEP_1) | instskip(SKIP_1) | instid1(VALU_DEP_1)
	v_cndmask_b32_e64 v26, 0, v26, s5
	v_cmp_ngt_f32_e64 s5, 0xc2b17218, v25
	v_cndmask_b32_e64 v25, 0x7f800000, v26, s5
	s_delay_alu instid0(VALU_DEP_1)
	v_sub_f32_e32 v25, 1.0, v25
.LBB242_18:                             ;   in Loop: Header=BB242_4 Depth=1
	s_and_not1_saveexec_b32 s5, s24
	s_cbranch_execz .LBB242_20
; %bb.19:                               ;   in Loop: Header=BB242_4 Depth=1
	v_mul_f32_e32 v25, v22, v22
	s_delay_alu instid0(VALU_DEP_1) | instskip(NEXT) | instid1(VALU_DEP_1)
	v_fmaak_f32 v26, s23, v25, 0x3ba10414
	v_fmaak_f32 v26, v25, v26, 0xbcdac9b8
	s_delay_alu instid0(VALU_DEP_1) | instskip(NEXT) | instid1(VALU_DEP_1)
	v_fmaak_f32 v26, v25, v26, 0x3de703be
	v_fmaak_f32 v26, v25, v26, 0xbec09330
	s_delay_alu instid0(VALU_DEP_1) | instskip(NEXT) | instid1(VALU_DEP_1)
	v_fmaak_f32 v25, v25, v26, 0x3e0375d0
	v_fma_f32 v25, |v22|, v25, |v22|
.LBB242_20:                             ;   in Loop: Header=BB242_4 Depth=1
	s_or_b32 exec_lo, exec_lo, s5
	s_delay_alu instid0(SALU_CYCLE_1)
	s_mov_b32 s24, exec_lo
                                        ; implicit-def: $vgpr26
	v_cmpx_nlt_f32_e64 |v20|, 1.0
	s_xor_b32 s24, exec_lo, s24
	s_cbranch_execz .LBB242_22
; %bb.21:                               ;   in Loop: Header=BB242_4 Depth=1
	v_fma_f32 v26, |v20|, s22, 0xb9c68948
	s_delay_alu instid0(VALU_DEP_1) | instskip(NEXT) | instid1(VALU_DEP_1)
	v_fma_f32 v26, |v20|, v26, 0x3b7cd369
	v_fma_f32 v26, |v20|, v26, 0xbcc618b2
	s_delay_alu instid0(VALU_DEP_1) | instskip(NEXT) | instid1(VALU_DEP_1)
	v_fma_f32 v26, |v20|, v26, 0x3dda74e4
	;; [unrolled: 3-line block ×3, first 2 shown]
	v_fma_f32 v26, |v20|, v26, |v20|
	s_delay_alu instid0(VALU_DEP_1) | instskip(SKIP_1) | instid1(VALU_DEP_2)
	v_mul_f32_e32 v27, 0xbfb8aa3b, v26
	v_cmp_nlt_f32_e64 s5, 0x42ce8ed0, v26
	v_fma_f32 v28, 0xbfb8aa3b, v26, -v27
	v_rndne_f32_e32 v29, v27
	s_delay_alu instid0(VALU_DEP_1) | instskip(NEXT) | instid1(VALU_DEP_1)
	v_dual_fmac_f32 v28, 0xb2a5705f, v26 :: v_dual_sub_f32 v27, v27, v29
	v_add_f32_e32 v27, v27, v28
	v_cvt_i32_f32_e32 v28, v29
	s_delay_alu instid0(VALU_DEP_2) | instskip(SKIP_1) | instid1(TRANS32_DEP_1)
	v_exp_f32_e32 v27, v27
	v_nop
	v_ldexp_f32 v27, v27, v28
	s_delay_alu instid0(VALU_DEP_1) | instskip(SKIP_1) | instid1(VALU_DEP_1)
	v_cndmask_b32_e64 v27, 0, v27, s5
	v_cmp_ngt_f32_e64 s5, 0xc2b17218, v26
	v_cndmask_b32_e64 v26, 0x7f800000, v27, s5
	s_delay_alu instid0(VALU_DEP_1)
	v_sub_f32_e32 v26, 1.0, v26
.LBB242_22:                             ;   in Loop: Header=BB242_4 Depth=1
	s_and_not1_saveexec_b32 s5, s24
	s_cbranch_execz .LBB242_24
; %bb.23:                               ;   in Loop: Header=BB242_4 Depth=1
	v_mul_f32_e32 v26, v20, v20
	s_delay_alu instid0(VALU_DEP_1) | instskip(NEXT) | instid1(VALU_DEP_1)
	v_fmaak_f32 v27, s23, v26, 0x3ba10414
	v_fmaak_f32 v27, v26, v27, 0xbcdac9b8
	s_delay_alu instid0(VALU_DEP_1) | instskip(NEXT) | instid1(VALU_DEP_1)
	v_fmaak_f32 v27, v26, v27, 0x3de703be
	v_fmaak_f32 v27, v26, v27, 0xbec09330
	s_delay_alu instid0(VALU_DEP_1) | instskip(NEXT) | instid1(VALU_DEP_1)
	v_fmaak_f32 v26, v26, v27, 0x3e0375d0
	v_fma_f32 v26, |v20|, v26, |v20|
.LBB242_24:                             ;   in Loop: Header=BB242_4 Depth=1
	s_or_b32 exec_lo, exec_lo, s5
	s_delay_alu instid0(SALU_CYCLE_1)
	s_mov_b32 s24, exec_lo
                                        ; implicit-def: $vgpr27
	v_cmpx_nlt_f32_e64 |v23|, 1.0
	s_xor_b32 s24, exec_lo, s24
	s_cbranch_execnz .LBB242_30
; %bb.25:                               ;   in Loop: Header=BB242_4 Depth=1
	s_and_not1_saveexec_b32 s5, s24
	s_cbranch_execnz .LBB242_31
.LBB242_26:                             ;   in Loop: Header=BB242_4 Depth=1
	s_or_b32 exec_lo, exec_lo, s5
	s_and_saveexec_b32 s5, vcc_lo
	s_delay_alu instid0(SALU_CYCLE_1)
	s_xor_b32 s5, exec_lo, s5
	s_cbranch_execnz .LBB242_32
.LBB242_27:                             ;   in Loop: Header=BB242_4 Depth=1
	s_or_b32 exec_lo, exec_lo, s5
	s_and_saveexec_b32 s5, s2
	s_cbranch_execnz .LBB242_33
.LBB242_28:                             ;   in Loop: Header=BB242_4 Depth=1
	s_or_b32 exec_lo, exec_lo, s5
	s_and_saveexec_b32 s2, s3
	s_cbranch_execnz .LBB242_34
.LBB242_29:                             ;   in Loop: Header=BB242_4 Depth=1
	s_or_b32 exec_lo, exec_lo, s2
	s_and_saveexec_b32 s2, s4
	s_cbranch_execz .LBB242_3
	s_branch .LBB242_35
.LBB242_30:                             ;   in Loop: Header=BB242_4 Depth=1
	v_fma_f32 v27, |v23|, s22, 0xb9c68948
	s_delay_alu instid0(VALU_DEP_1) | instskip(NEXT) | instid1(VALU_DEP_1)
	v_fma_f32 v27, |v23|, v27, 0x3b7cd369
	v_fma_f32 v27, |v23|, v27, 0xbcc618b2
	s_delay_alu instid0(VALU_DEP_1) | instskip(NEXT) | instid1(VALU_DEP_1)
	v_fma_f32 v27, |v23|, v27, 0x3dda74e4
	;; [unrolled: 3-line block ×3, first 2 shown]
	v_fma_f32 v27, |v23|, v27, |v23|
	s_delay_alu instid0(VALU_DEP_1) | instskip(SKIP_1) | instid1(VALU_DEP_2)
	v_mul_f32_e32 v28, 0xbfb8aa3b, v27
	v_cmp_nlt_f32_e64 s5, 0x42ce8ed0, v27
	v_fma_f32 v29, 0xbfb8aa3b, v27, -v28
	v_rndne_f32_e32 v30, v28
	s_delay_alu instid0(VALU_DEP_1) | instskip(NEXT) | instid1(VALU_DEP_1)
	v_dual_fmac_f32 v29, 0xb2a5705f, v27 :: v_dual_sub_f32 v28, v28, v30
	v_add_f32_e32 v28, v28, v29
	v_cvt_i32_f32_e32 v29, v30
	s_delay_alu instid0(VALU_DEP_2) | instskip(SKIP_1) | instid1(TRANS32_DEP_1)
	v_exp_f32_e32 v28, v28
	v_nop
	v_ldexp_f32 v28, v28, v29
	s_delay_alu instid0(VALU_DEP_1) | instskip(SKIP_1) | instid1(VALU_DEP_1)
	v_cndmask_b32_e64 v28, 0, v28, s5
	v_cmp_ngt_f32_e64 s5, 0xc2b17218, v27
	v_cndmask_b32_e64 v27, 0x7f800000, v28, s5
	s_delay_alu instid0(VALU_DEP_1)
	v_sub_f32_e32 v27, 1.0, v27
	s_and_not1_saveexec_b32 s5, s24
	s_cbranch_execz .LBB242_26
.LBB242_31:                             ;   in Loop: Header=BB242_4 Depth=1
	v_mul_f32_e32 v27, v23, v23
	s_delay_alu instid0(VALU_DEP_1) | instskip(NEXT) | instid1(VALU_DEP_1)
	v_fmaak_f32 v28, s23, v27, 0x3ba10414
	v_fmaak_f32 v28, v27, v28, 0xbcdac9b8
	s_delay_alu instid0(VALU_DEP_1) | instskip(NEXT) | instid1(VALU_DEP_1)
	v_fmaak_f32 v28, v27, v28, 0x3de703be
	v_fmaak_f32 v28, v27, v28, 0xbec09330
	s_delay_alu instid0(VALU_DEP_1) | instskip(NEXT) | instid1(VALU_DEP_1)
	v_fmaak_f32 v27, v27, v28, 0x3e0375d0
	v_fma_f32 v27, |v23|, v27, |v23|
	s_or_b32 exec_lo, exec_lo, s5
	s_and_saveexec_b32 s5, vcc_lo
	s_delay_alu instid0(SALU_CYCLE_1)
	s_xor_b32 s5, exec_lo, s5
	s_cbranch_execz .LBB242_27
.LBB242_32:                             ;   in Loop: Header=BB242_4 Depth=1
	v_bfi_b32 v21, 0x7fffffff, v24, v21
	global_store_b32 v[8:9], v21, off
	s_wait_xcnt 0x0
	s_or_b32 exec_lo, exec_lo, s5
	s_and_saveexec_b32 s5, s2
	s_cbranch_execz .LBB242_28
.LBB242_33:                             ;   in Loop: Header=BB242_4 Depth=1
	v_bfi_b32 v21, 0x7fffffff, v25, v22
	global_store_b32 v[14:15], v21, off
	s_wait_xcnt 0x0
	s_or_b32 exec_lo, exec_lo, s5
	s_and_saveexec_b32 s2, s3
	s_cbranch_execz .LBB242_29
.LBB242_34:                             ;   in Loop: Header=BB242_4 Depth=1
	v_bfi_b32 v20, 0x7fffffff, v26, v20
	global_store_b32 v[16:17], v20, off
	s_wait_xcnt 0x0
	s_or_b32 exec_lo, exec_lo, s2
	s_and_saveexec_b32 s2, s4
	s_cbranch_execz .LBB242_3
.LBB242_35:                             ;   in Loop: Header=BB242_4 Depth=1
	v_bfi_b32 v16, 0x7fffffff, v27, v23
	global_store_b32 v[18:19], v16, off
	s_branch .LBB242_3
.LBB242_36:
	s_cbranch_execz .LBB242_38
	s_branch .LBB242_57
.LBB242_37:
.LBB242_38:
	v_min_i64 v[6:7], 0x10000, s[10:11]
	v_dual_mov_b32 v3, 0 :: v_dual_lshlrev_b32 v2, 2, v0
	s_mov_b32 s2, exec_lo
	s_delay_alu instid0(VALU_DEP_1)
	v_cmpx_lt_i64_e64 v[2:3], v[6:7]
	s_cbranch_execz .LBB242_57
; %bb.39:
	s_load_b32 s2, s[0:1], 0xd3c
	v_dual_mov_b32 v1, v3 :: v_dual_lshlrev_b32 v2, 4, v0
	s_wait_xcnt 0x0
	s_add_nc_u64 s[0:1], s[6:7], s[8:9]
	s_mov_b32 s4, 0x378e98ab
	s_mov_b32 s5, 0xba1345e1
	v_add_nc_u64_e32 v[4:5], s[0:1], v[2:3]
	s_mov_b32 s1, 0
	s_delay_alu instid0(SALU_CYCLE_1) | instskip(SKIP_1) | instid1(VALU_DEP_1)
	s_mov_b32 s3, s1
	s_mov_b32 s6, s1
	v_add_nc_u64_e32 v[8:9], 8, v[4:5]
	s_wait_kmcnt 0x0
	s_and_b32 s0, s2, 0xffff
	s_delay_alu instid0(SALU_CYCLE_1)
	s_lshl_b32 s2, s0, 4
	s_branch .LBB242_41
.LBB242_40:                             ;   in Loop: Header=BB242_41 Depth=1
	s_or_b32 exec_lo, exec_lo, s7
	v_add_nc_u64_e32 v[0:1], s[0:1], v[0:1]
	v_bfi_b32 v4, 0x7fffffff, v12, v4
	v_bfi_b32 v3, 0x7fffffff, v11, v3
	;; [unrolled: 1-line block ×4, first 2 shown]
	v_lshlrev_b64_e32 v[14:15], 2, v[0:1]
	global_store_b128 v[8:9], v[2:5], off offset:-8
	s_wait_xcnt 0x0
	v_add_nc_u64_e32 v[8:9], s[2:3], v[8:9]
	v_cmp_ge_i64_e32 vcc_lo, v[14:15], v[6:7]
	s_or_b32 s6, vcc_lo, s6
	s_delay_alu instid0(SALU_CYCLE_1)
	s_and_not1_b32 exec_lo, exec_lo, s6
	s_cbranch_execz .LBB242_57
.LBB242_41:                             ; =>This Inner Loop Header: Depth=1
	global_load_b128 v[2:5], v[8:9], off offset:-8
                                        ; implicit-def: $vgpr10
	s_wait_loadcnt 0x0
	v_cmp_nlt_f32_e64 s7, |v2|, 1.0
	s_wait_xcnt 0x0
	s_and_saveexec_b32 s8, s7
	s_delay_alu instid0(SALU_CYCLE_1)
	s_xor_b32 s7, exec_lo, s8
	s_cbranch_execz .LBB242_43
; %bb.42:                               ;   in Loop: Header=BB242_41 Depth=1
	v_fma_f32 v10, |v2|, s4, 0xb9c68948
	s_delay_alu instid0(VALU_DEP_1) | instskip(NEXT) | instid1(VALU_DEP_1)
	v_fma_f32 v10, |v2|, v10, 0x3b7cd369
	v_fma_f32 v10, |v2|, v10, 0xbcc618b2
	s_delay_alu instid0(VALU_DEP_1) | instskip(NEXT) | instid1(VALU_DEP_1)
	v_fma_f32 v10, |v2|, v10, 0x3dda74e4
	;; [unrolled: 3-line block ×3, first 2 shown]
	v_fma_f32 v10, |v2|, v10, |v2|
	s_delay_alu instid0(VALU_DEP_1) | instskip(SKIP_1) | instid1(VALU_DEP_2)
	v_mul_f32_e32 v11, 0xbfb8aa3b, v10
	v_cmp_nlt_f32_e32 vcc_lo, 0x42ce8ed0, v10
	v_fma_f32 v12, 0xbfb8aa3b, v10, -v11
	v_rndne_f32_e32 v13, v11
	s_delay_alu instid0(VALU_DEP_1) | instskip(NEXT) | instid1(VALU_DEP_1)
	v_dual_fmac_f32 v12, 0xb2a5705f, v10 :: v_dual_sub_f32 v11, v11, v13
	v_add_f32_e32 v11, v11, v12
	v_cvt_i32_f32_e32 v12, v13
	s_delay_alu instid0(VALU_DEP_2) | instskip(SKIP_1) | instid1(TRANS32_DEP_1)
	v_exp_f32_e32 v11, v11
	v_nop
	v_ldexp_f32 v11, v11, v12
	s_delay_alu instid0(VALU_DEP_1) | instskip(SKIP_1) | instid1(VALU_DEP_2)
	v_cndmask_b32_e32 v11, 0, v11, vcc_lo
	v_cmp_ngt_f32_e32 vcc_lo, 0xc2b17218, v10
	v_cndmask_b32_e32 v10, 0x7f800000, v11, vcc_lo
	s_delay_alu instid0(VALU_DEP_1)
	v_sub_f32_e32 v10, 1.0, v10
.LBB242_43:                             ;   in Loop: Header=BB242_41 Depth=1
	s_and_not1_saveexec_b32 s7, s7
	s_cbranch_execz .LBB242_45
; %bb.44:                               ;   in Loop: Header=BB242_41 Depth=1
	v_mul_f32_e32 v10, v2, v2
	s_delay_alu instid0(VALU_DEP_1) | instskip(NEXT) | instid1(VALU_DEP_1)
	v_fmaak_f32 v11, s5, v10, 0x3ba10414
	v_fmaak_f32 v11, v10, v11, 0xbcdac9b8
	s_delay_alu instid0(VALU_DEP_1) | instskip(NEXT) | instid1(VALU_DEP_1)
	v_fmaak_f32 v11, v10, v11, 0x3de703be
	v_fmaak_f32 v11, v10, v11, 0xbec09330
	s_delay_alu instid0(VALU_DEP_1) | instskip(NEXT) | instid1(VALU_DEP_1)
	v_fmaak_f32 v10, v10, v11, 0x3e0375d0
	v_fma_f32 v10, |v2|, v10, |v2|
.LBB242_45:                             ;   in Loop: Header=BB242_41 Depth=1
	s_or_b32 exec_lo, exec_lo, s7
	v_cmp_nlt_f32_e64 s7, |v3|, 1.0
                                        ; implicit-def: $vgpr11
	s_and_saveexec_b32 s8, s7
	s_delay_alu instid0(SALU_CYCLE_1)
	s_xor_b32 s7, exec_lo, s8
	s_cbranch_execz .LBB242_47
; %bb.46:                               ;   in Loop: Header=BB242_41 Depth=1
	v_fma_f32 v11, |v3|, s4, 0xb9c68948
	s_delay_alu instid0(VALU_DEP_1) | instskip(NEXT) | instid1(VALU_DEP_1)
	v_fma_f32 v11, |v3|, v11, 0x3b7cd369
	v_fma_f32 v11, |v3|, v11, 0xbcc618b2
	s_delay_alu instid0(VALU_DEP_1) | instskip(NEXT) | instid1(VALU_DEP_1)
	v_fma_f32 v11, |v3|, v11, 0x3dda74e4
	;; [unrolled: 3-line block ×3, first 2 shown]
	v_fma_f32 v11, |v3|, v11, |v3|
	s_delay_alu instid0(VALU_DEP_1) | instskip(SKIP_1) | instid1(VALU_DEP_2)
	v_mul_f32_e32 v12, 0xbfb8aa3b, v11
	v_cmp_nlt_f32_e32 vcc_lo, 0x42ce8ed0, v11
	v_fma_f32 v13, 0xbfb8aa3b, v11, -v12
	v_rndne_f32_e32 v14, v12
	s_delay_alu instid0(VALU_DEP_1) | instskip(NEXT) | instid1(VALU_DEP_1)
	v_dual_fmac_f32 v13, 0xb2a5705f, v11 :: v_dual_sub_f32 v12, v12, v14
	v_add_f32_e32 v12, v12, v13
	v_cvt_i32_f32_e32 v13, v14
	s_delay_alu instid0(VALU_DEP_2) | instskip(SKIP_1) | instid1(TRANS32_DEP_1)
	v_exp_f32_e32 v12, v12
	v_nop
	v_ldexp_f32 v12, v12, v13
	s_delay_alu instid0(VALU_DEP_1) | instskip(SKIP_1) | instid1(VALU_DEP_2)
	v_cndmask_b32_e32 v12, 0, v12, vcc_lo
	v_cmp_ngt_f32_e32 vcc_lo, 0xc2b17218, v11
	v_cndmask_b32_e32 v11, 0x7f800000, v12, vcc_lo
	s_delay_alu instid0(VALU_DEP_1)
	v_sub_f32_e32 v11, 1.0, v11
.LBB242_47:                             ;   in Loop: Header=BB242_41 Depth=1
	s_and_not1_saveexec_b32 s7, s7
	s_cbranch_execz .LBB242_49
; %bb.48:                               ;   in Loop: Header=BB242_41 Depth=1
	v_mul_f32_e32 v11, v3, v3
	s_delay_alu instid0(VALU_DEP_1) | instskip(NEXT) | instid1(VALU_DEP_1)
	v_fmaak_f32 v12, s5, v11, 0x3ba10414
	v_fmaak_f32 v12, v11, v12, 0xbcdac9b8
	s_delay_alu instid0(VALU_DEP_1) | instskip(NEXT) | instid1(VALU_DEP_1)
	v_fmaak_f32 v12, v11, v12, 0x3de703be
	v_fmaak_f32 v12, v11, v12, 0xbec09330
	s_delay_alu instid0(VALU_DEP_1) | instskip(NEXT) | instid1(VALU_DEP_1)
	v_fmaak_f32 v11, v11, v12, 0x3e0375d0
	v_fma_f32 v11, |v3|, v11, |v3|
.LBB242_49:                             ;   in Loop: Header=BB242_41 Depth=1
	s_or_b32 exec_lo, exec_lo, s7
	v_cmp_nlt_f32_e64 s7, |v4|, 1.0
                                        ; implicit-def: $vgpr12
	s_and_saveexec_b32 s8, s7
	s_delay_alu instid0(SALU_CYCLE_1)
	s_xor_b32 s7, exec_lo, s8
	s_cbranch_execz .LBB242_51
; %bb.50:                               ;   in Loop: Header=BB242_41 Depth=1
	v_fma_f32 v12, |v4|, s4, 0xb9c68948
	s_delay_alu instid0(VALU_DEP_1) | instskip(NEXT) | instid1(VALU_DEP_1)
	v_fma_f32 v12, |v4|, v12, 0x3b7cd369
	v_fma_f32 v12, |v4|, v12, 0xbcc618b2
	s_delay_alu instid0(VALU_DEP_1) | instskip(NEXT) | instid1(VALU_DEP_1)
	v_fma_f32 v12, |v4|, v12, 0x3dda74e4
	;; [unrolled: 3-line block ×3, first 2 shown]
	v_fma_f32 v12, |v4|, v12, |v4|
	s_delay_alu instid0(VALU_DEP_1) | instskip(SKIP_1) | instid1(VALU_DEP_2)
	v_mul_f32_e32 v13, 0xbfb8aa3b, v12
	v_cmp_nlt_f32_e32 vcc_lo, 0x42ce8ed0, v12
	v_fma_f32 v14, 0xbfb8aa3b, v12, -v13
	v_rndne_f32_e32 v15, v13
	s_delay_alu instid0(VALU_DEP_1) | instskip(NEXT) | instid1(VALU_DEP_1)
	v_dual_fmac_f32 v14, 0xb2a5705f, v12 :: v_dual_sub_f32 v13, v13, v15
	v_add_f32_e32 v13, v13, v14
	v_cvt_i32_f32_e32 v14, v15
	s_delay_alu instid0(VALU_DEP_2) | instskip(SKIP_1) | instid1(TRANS32_DEP_1)
	v_exp_f32_e32 v13, v13
	v_nop
	v_ldexp_f32 v13, v13, v14
	s_delay_alu instid0(VALU_DEP_1) | instskip(SKIP_1) | instid1(VALU_DEP_2)
	v_cndmask_b32_e32 v13, 0, v13, vcc_lo
	v_cmp_ngt_f32_e32 vcc_lo, 0xc2b17218, v12
	v_cndmask_b32_e32 v12, 0x7f800000, v13, vcc_lo
	s_delay_alu instid0(VALU_DEP_1)
	v_sub_f32_e32 v12, 1.0, v12
.LBB242_51:                             ;   in Loop: Header=BB242_41 Depth=1
	s_and_not1_saveexec_b32 s7, s7
	s_cbranch_execz .LBB242_53
; %bb.52:                               ;   in Loop: Header=BB242_41 Depth=1
	v_mul_f32_e32 v12, v4, v4
	s_delay_alu instid0(VALU_DEP_1) | instskip(NEXT) | instid1(VALU_DEP_1)
	v_fmaak_f32 v13, s5, v12, 0x3ba10414
	v_fmaak_f32 v13, v12, v13, 0xbcdac9b8
	s_delay_alu instid0(VALU_DEP_1) | instskip(NEXT) | instid1(VALU_DEP_1)
	v_fmaak_f32 v13, v12, v13, 0x3de703be
	v_fmaak_f32 v13, v12, v13, 0xbec09330
	s_delay_alu instid0(VALU_DEP_1) | instskip(NEXT) | instid1(VALU_DEP_1)
	v_fmaak_f32 v12, v12, v13, 0x3e0375d0
	v_fma_f32 v12, |v4|, v12, |v4|
.LBB242_53:                             ;   in Loop: Header=BB242_41 Depth=1
	s_or_b32 exec_lo, exec_lo, s7
	v_cmp_nlt_f32_e64 s7, |v5|, 1.0
                                        ; implicit-def: $vgpr13
	s_and_saveexec_b32 s8, s7
	s_delay_alu instid0(SALU_CYCLE_1)
	s_xor_b32 s7, exec_lo, s8
	s_cbranch_execz .LBB242_55
; %bb.54:                               ;   in Loop: Header=BB242_41 Depth=1
	v_fma_f32 v13, |v5|, s4, 0xb9c68948
	s_delay_alu instid0(VALU_DEP_1) | instskip(NEXT) | instid1(VALU_DEP_1)
	v_fma_f32 v13, |v5|, v13, 0x3b7cd369
	v_fma_f32 v13, |v5|, v13, 0xbcc618b2
	s_delay_alu instid0(VALU_DEP_1) | instskip(NEXT) | instid1(VALU_DEP_1)
	v_fma_f32 v13, |v5|, v13, 0x3dda74e4
	;; [unrolled: 3-line block ×3, first 2 shown]
	v_fma_f32 v13, |v5|, v13, |v5|
	s_delay_alu instid0(VALU_DEP_1) | instskip(SKIP_1) | instid1(VALU_DEP_2)
	v_mul_f32_e32 v14, 0xbfb8aa3b, v13
	v_cmp_nlt_f32_e32 vcc_lo, 0x42ce8ed0, v13
	v_fma_f32 v15, 0xbfb8aa3b, v13, -v14
	v_rndne_f32_e32 v16, v14
	s_delay_alu instid0(VALU_DEP_1) | instskip(NEXT) | instid1(VALU_DEP_1)
	v_dual_fmac_f32 v15, 0xb2a5705f, v13 :: v_dual_sub_f32 v14, v14, v16
	v_add_f32_e32 v14, v14, v15
	v_cvt_i32_f32_e32 v15, v16
	s_delay_alu instid0(VALU_DEP_2) | instskip(SKIP_1) | instid1(TRANS32_DEP_1)
	v_exp_f32_e32 v14, v14
	v_nop
	v_ldexp_f32 v14, v14, v15
	s_delay_alu instid0(VALU_DEP_1) | instskip(SKIP_1) | instid1(VALU_DEP_2)
	v_cndmask_b32_e32 v14, 0, v14, vcc_lo
	v_cmp_ngt_f32_e32 vcc_lo, 0xc2b17218, v13
	v_cndmask_b32_e32 v13, 0x7f800000, v14, vcc_lo
	s_delay_alu instid0(VALU_DEP_1)
	v_sub_f32_e32 v13, 1.0, v13
.LBB242_55:                             ;   in Loop: Header=BB242_41 Depth=1
	s_and_not1_saveexec_b32 s7, s7
	s_cbranch_execz .LBB242_40
; %bb.56:                               ;   in Loop: Header=BB242_41 Depth=1
	v_mul_f32_e32 v13, v5, v5
	s_delay_alu instid0(VALU_DEP_1) | instskip(NEXT) | instid1(VALU_DEP_1)
	v_fmaak_f32 v14, s5, v13, 0x3ba10414
	v_fmaak_f32 v14, v13, v14, 0xbcdac9b8
	s_delay_alu instid0(VALU_DEP_1) | instskip(NEXT) | instid1(VALU_DEP_1)
	v_fmaak_f32 v14, v13, v14, 0x3de703be
	v_fmaak_f32 v14, v13, v14, 0xbec09330
	s_delay_alu instid0(VALU_DEP_1) | instskip(NEXT) | instid1(VALU_DEP_1)
	v_fmaak_f32 v13, v13, v14, 0x3e0375d0
	v_fma_f32 v13, |v5|, v13, |v5|
	s_branch .LBB242_40
.LBB242_57:
	s_endpgm
	.section	.rodata,"a",@progbits
	.p2align	6, 0x0
	.amdhsa_kernel _ZN2at6native12_GLOBAL__N_125multi_tensor_apply_kernelINS1_18TensorListMetadataILi1EEENS1_14UnaryOpFunctorIfLi1ELi1ELi0EEEJNS0_3ErfIfEEEEEvT_T0_DpT1_
		.amdhsa_group_segment_fixed_size 0
		.amdhsa_private_segment_fixed_size 0
		.amdhsa_kernarg_size 3632
		.amdhsa_user_sgpr_count 2
		.amdhsa_user_sgpr_dispatch_ptr 0
		.amdhsa_user_sgpr_queue_ptr 0
		.amdhsa_user_sgpr_kernarg_segment_ptr 1
		.amdhsa_user_sgpr_dispatch_id 0
		.amdhsa_user_sgpr_kernarg_preload_length 0
		.amdhsa_user_sgpr_kernarg_preload_offset 0
		.amdhsa_user_sgpr_private_segment_size 0
		.amdhsa_wavefront_size32 1
		.amdhsa_uses_dynamic_stack 0
		.amdhsa_enable_private_segment 0
		.amdhsa_system_sgpr_workgroup_id_x 1
		.amdhsa_system_sgpr_workgroup_id_y 0
		.amdhsa_system_sgpr_workgroup_id_z 0
		.amdhsa_system_sgpr_workgroup_info 0
		.amdhsa_system_vgpr_workitem_id 0
		.amdhsa_next_free_vgpr 31
		.amdhsa_next_free_sgpr 25
		.amdhsa_named_barrier_count 0
		.amdhsa_reserve_vcc 1
		.amdhsa_float_round_mode_32 0
		.amdhsa_float_round_mode_16_64 0
		.amdhsa_float_denorm_mode_32 3
		.amdhsa_float_denorm_mode_16_64 3
		.amdhsa_fp16_overflow 0
		.amdhsa_memory_ordered 1
		.amdhsa_forward_progress 1
		.amdhsa_inst_pref_size 28
		.amdhsa_round_robin_scheduling 0
		.amdhsa_exception_fp_ieee_invalid_op 0
		.amdhsa_exception_fp_denorm_src 0
		.amdhsa_exception_fp_ieee_div_zero 0
		.amdhsa_exception_fp_ieee_overflow 0
		.amdhsa_exception_fp_ieee_underflow 0
		.amdhsa_exception_fp_ieee_inexact 0
		.amdhsa_exception_int_div_zero 0
	.end_amdhsa_kernel
	.section	.text._ZN2at6native12_GLOBAL__N_125multi_tensor_apply_kernelINS1_18TensorListMetadataILi1EEENS1_14UnaryOpFunctorIfLi1ELi1ELi0EEEJNS0_3ErfIfEEEEEvT_T0_DpT1_,"axG",@progbits,_ZN2at6native12_GLOBAL__N_125multi_tensor_apply_kernelINS1_18TensorListMetadataILi1EEENS1_14UnaryOpFunctorIfLi1ELi1ELi0EEEJNS0_3ErfIfEEEEEvT_T0_DpT1_,comdat
.Lfunc_end242:
	.size	_ZN2at6native12_GLOBAL__N_125multi_tensor_apply_kernelINS1_18TensorListMetadataILi1EEENS1_14UnaryOpFunctorIfLi1ELi1ELi0EEEJNS0_3ErfIfEEEEEvT_T0_DpT1_, .Lfunc_end242-_ZN2at6native12_GLOBAL__N_125multi_tensor_apply_kernelINS1_18TensorListMetadataILi1EEENS1_14UnaryOpFunctorIfLi1ELi1ELi0EEEJNS0_3ErfIfEEEEEvT_T0_DpT1_
                                        ; -- End function
	.set _ZN2at6native12_GLOBAL__N_125multi_tensor_apply_kernelINS1_18TensorListMetadataILi1EEENS1_14UnaryOpFunctorIfLi1ELi1ELi0EEEJNS0_3ErfIfEEEEEvT_T0_DpT1_.num_vgpr, 31
	.set _ZN2at6native12_GLOBAL__N_125multi_tensor_apply_kernelINS1_18TensorListMetadataILi1EEENS1_14UnaryOpFunctorIfLi1ELi1ELi0EEEJNS0_3ErfIfEEEEEvT_T0_DpT1_.num_agpr, 0
	.set _ZN2at6native12_GLOBAL__N_125multi_tensor_apply_kernelINS1_18TensorListMetadataILi1EEENS1_14UnaryOpFunctorIfLi1ELi1ELi0EEEJNS0_3ErfIfEEEEEvT_T0_DpT1_.numbered_sgpr, 25
	.set _ZN2at6native12_GLOBAL__N_125multi_tensor_apply_kernelINS1_18TensorListMetadataILi1EEENS1_14UnaryOpFunctorIfLi1ELi1ELi0EEEJNS0_3ErfIfEEEEEvT_T0_DpT1_.num_named_barrier, 0
	.set _ZN2at6native12_GLOBAL__N_125multi_tensor_apply_kernelINS1_18TensorListMetadataILi1EEENS1_14UnaryOpFunctorIfLi1ELi1ELi0EEEJNS0_3ErfIfEEEEEvT_T0_DpT1_.private_seg_size, 0
	.set _ZN2at6native12_GLOBAL__N_125multi_tensor_apply_kernelINS1_18TensorListMetadataILi1EEENS1_14UnaryOpFunctorIfLi1ELi1ELi0EEEJNS0_3ErfIfEEEEEvT_T0_DpT1_.uses_vcc, 1
	.set _ZN2at6native12_GLOBAL__N_125multi_tensor_apply_kernelINS1_18TensorListMetadataILi1EEENS1_14UnaryOpFunctorIfLi1ELi1ELi0EEEJNS0_3ErfIfEEEEEvT_T0_DpT1_.uses_flat_scratch, 0
	.set _ZN2at6native12_GLOBAL__N_125multi_tensor_apply_kernelINS1_18TensorListMetadataILi1EEENS1_14UnaryOpFunctorIfLi1ELi1ELi0EEEJNS0_3ErfIfEEEEEvT_T0_DpT1_.has_dyn_sized_stack, 0
	.set _ZN2at6native12_GLOBAL__N_125multi_tensor_apply_kernelINS1_18TensorListMetadataILi1EEENS1_14UnaryOpFunctorIfLi1ELi1ELi0EEEJNS0_3ErfIfEEEEEvT_T0_DpT1_.has_recursion, 0
	.set _ZN2at6native12_GLOBAL__N_125multi_tensor_apply_kernelINS1_18TensorListMetadataILi1EEENS1_14UnaryOpFunctorIfLi1ELi1ELi0EEEJNS0_3ErfIfEEEEEvT_T0_DpT1_.has_indirect_call, 0
	.section	.AMDGPU.csdata,"",@progbits
; Kernel info:
; codeLenInByte = 3540
; TotalNumSgprs: 27
; NumVgprs: 31
; ScratchSize: 0
; MemoryBound: 0
; FloatMode: 240
; IeeeMode: 1
; LDSByteSize: 0 bytes/workgroup (compile time only)
; SGPRBlocks: 0
; VGPRBlocks: 1
; NumSGPRsForWavesPerEU: 27
; NumVGPRsForWavesPerEU: 31
; NamedBarCnt: 0
; Occupancy: 16
; WaveLimiterHint : 0
; COMPUTE_PGM_RSRC2:SCRATCH_EN: 0
; COMPUTE_PGM_RSRC2:USER_SGPR: 2
; COMPUTE_PGM_RSRC2:TRAP_HANDLER: 0
; COMPUTE_PGM_RSRC2:TGID_X_EN: 1
; COMPUTE_PGM_RSRC2:TGID_Y_EN: 0
; COMPUTE_PGM_RSRC2:TGID_Z_EN: 0
; COMPUTE_PGM_RSRC2:TIDIG_COMP_CNT: 0
	.section	.text._ZN2at6native12_GLOBAL__N_125multi_tensor_apply_kernelINS1_18TensorListMetadataILi1EEENS1_14UnaryOpFunctorIN3c104HalfELi1ELi1ELi0EEEJNS0_3ErfIfEEEEEvT_T0_DpT1_,"axG",@progbits,_ZN2at6native12_GLOBAL__N_125multi_tensor_apply_kernelINS1_18TensorListMetadataILi1EEENS1_14UnaryOpFunctorIN3c104HalfELi1ELi1ELi0EEEJNS0_3ErfIfEEEEEvT_T0_DpT1_,comdat
	.globl	_ZN2at6native12_GLOBAL__N_125multi_tensor_apply_kernelINS1_18TensorListMetadataILi1EEENS1_14UnaryOpFunctorIN3c104HalfELi1ELi1ELi0EEEJNS0_3ErfIfEEEEEvT_T0_DpT1_ ; -- Begin function _ZN2at6native12_GLOBAL__N_125multi_tensor_apply_kernelINS1_18TensorListMetadataILi1EEENS1_14UnaryOpFunctorIN3c104HalfELi1ELi1ELi0EEEJNS0_3ErfIfEEEEEvT_T0_DpT1_
	.p2align	8
	.type	_ZN2at6native12_GLOBAL__N_125multi_tensor_apply_kernelINS1_18TensorListMetadataILi1EEENS1_14UnaryOpFunctorIN3c104HalfELi1ELi1ELi0EEEJNS0_3ErfIfEEEEEvT_T0_DpT1_,@function
_ZN2at6native12_GLOBAL__N_125multi_tensor_apply_kernelINS1_18TensorListMetadataILi1EEENS1_14UnaryOpFunctorIN3c104HalfELi1ELi1ELi0EEEJNS0_3ErfIfEEEEEvT_T0_DpT1_: ; @_ZN2at6native12_GLOBAL__N_125multi_tensor_apply_kernelINS1_18TensorListMetadataILi1EEENS1_14UnaryOpFunctorIN3c104HalfELi1ELi1ELi0EEEJNS0_3ErfIfEEEEEvT_T0_DpT1_
; %bb.0:
	s_bfe_u32 s2, ttmp6, 0x4000c
	s_and_b32 s3, ttmp6, 15
	s_add_co_i32 s2, s2, 1
	s_getreg_b32 s4, hwreg(HW_REG_IB_STS2, 6, 4)
	s_mul_i32 s2, ttmp9, s2
	s_delay_alu instid0(SALU_CYCLE_1)
	s_add_co_i32 s3, s3, s2
	s_cmp_eq_u32 s4, 0
	s_cselect_b32 s2, ttmp9, s3
	s_mov_b32 s3, 0
	s_load_u8 s8, s[0:1], s2 offset:0x6e0
	s_add_nc_u64 s[4:5], s[0:1], s[2:3]
	s_mul_u64 s[6:7], s[2:3], 3
	s_delay_alu instid0(SALU_CYCLE_1)
	s_add_nc_u64 s[4:5], s[4:5], s[6:7]
	s_load_b32 s10, s[4:5], 0x820
	s_wait_kmcnt 0x0
	s_clause 0x1
	s_load_b64 s[6:7], s[0:1], s8 offset:0x0 scale_offset
	s_load_b64 s[12:13], s[0:1], s8 offset:0x370 scale_offset
	s_ashr_i32 s11, s10, 31
	s_wait_kmcnt 0x0
	s_and_b64 s[4:5], s[6:7], 7
	s_and_b32 s2, s12, 3
	s_lshl_b64 s[8:9], s[10:11], 17
	s_or_b64 s[2:3], s[4:5], s[2:3]
	s_lshl_b64 s[4:5], s[10:11], 16
	s_cmp_eq_u64 s[2:3], 0
	s_sub_nc_u64 s[10:11], s[12:13], s[4:5]
	s_cbranch_scc1 .LBB243_37
; %bb.1:
	v_cmp_lt_i64_e64 s2, s[10:11], 1
	s_and_b32 vcc_lo, exec_lo, s2
	s_cbranch_vccnz .LBB243_36
; %bb.2:
	s_load_b32 s2, s[0:1], 0xd3c
	v_min_i64 v[2:3], 0x10000, s[10:11]
	v_min_u64 v[4:5], 0x10000, s[10:11]
	v_dual_mov_b32 v1, 0 :: v_dual_lshlrev_b32 v8, 1, v0
	s_mov_b32 s3, 0
	s_add_nc_u64 s[4:5], s[6:7], s[8:9]
	s_mov_b32 s17, s3
	s_delay_alu instid0(VALU_DEP_1)
	v_mov_b32_e32 v15, v1
	s_mov_b32 s19, s3
	s_mov_b32 s13, s3
	;; [unrolled: 1-line block ×5, first 2 shown]
	s_wait_kmcnt 0x0
	s_and_b32 s2, s2, 0xffff
	s_delay_alu instid0(SALU_CYCLE_1)
	v_add_nc_u64_e32 v[6:7], s[2:3], v[0:1]
	v_mov_b32_e32 v9, v1
	s_lshl_b32 s16, s2, 1
	s_mul_i32 s18, s2, 3
	v_add_nc_u64_e32 v[12:13], s[16:17], v[0:1]
	v_add_nc_u64_e32 v[10:11], s[18:19], v[0:1]
	s_lshl_b32 s12, s2, 2
	v_lshlrev_b32_e32 v14, 1, v6
	v_add_nc_u64_e32 v[8:9], s[4:5], v[8:9]
	s_lshl_b32 s14, s2, 3
	s_mul_u64 s[16:17], s[2:3], 6
	s_mov_b64 s[18:19], 0
	v_add_nc_u64_e32 v[14:15], s[4:5], v[14:15]
	s_branch .LBB243_4
.LBB243_3:                              ;   in Loop: Header=BB243_4 Depth=1
	s_wait_xcnt 0x0
	s_or_b32 exec_lo, exec_lo, s2
	s_add_nc_u64 s[18:19], s[18:19], s[12:13]
	v_add_nc_u64_e32 v[8:9], s[14:15], v[8:9]
	v_cmp_ge_i64_e32 vcc_lo, s[18:19], v[2:3]
	v_add_nc_u64_e32 v[14:15], s[14:15], v[14:15]
	s_cbranch_vccnz .LBB243_36
.LBB243_4:                              ; =>This Inner Loop Header: Depth=1
	v_add_nc_u64_e32 v[16:17], s[18:19], v[0:1]
	v_mov_b32_e32 v21, 0
	s_delay_alu instid0(VALU_DEP_2)
	v_cmp_lt_u64_e32 vcc_lo, v[16:17], v[4:5]
	s_and_saveexec_b32 s2, vcc_lo
	s_cbranch_execz .LBB243_6
; %bb.5:                                ;   in Loop: Header=BB243_4 Depth=1
	global_load_u16 v16, v[8:9], off
	s_wait_loadcnt 0x0
	v_cvt_f32_f16_e32 v21, v16
.LBB243_6:                              ;   in Loop: Header=BB243_4 Depth=1
	s_wait_xcnt 0x0
	s_or_b32 exec_lo, exec_lo, s2
	v_add_nc_u64_e32 v[16:17], s[18:19], v[6:7]
	v_dual_mov_b32 v20, 0 :: v_dual_mov_b32 v22, 0
	s_delay_alu instid0(VALU_DEP_2)
	v_cmp_lt_u64_e64 s2, v[16:17], v[4:5]
	s_and_saveexec_b32 s3, s2
	s_cbranch_execz .LBB243_8
; %bb.7:                                ;   in Loop: Header=BB243_4 Depth=1
	global_load_u16 v16, v[14:15], off
	s_wait_loadcnt 0x0
	v_cvt_f32_f16_e32 v22, v16
.LBB243_8:                              ;   in Loop: Header=BB243_4 Depth=1
	s_wait_xcnt 0x0
	s_or_b32 exec_lo, exec_lo, s3
	v_add_nc_u64_e32 v[16:17], s[18:19], v[12:13]
	s_delay_alu instid0(VALU_DEP_1)
	v_cmp_lt_u64_e64 s3, v[16:17], v[4:5]
	v_add_nc_u64_e32 v[16:17], s[12:13], v[8:9]
	s_and_saveexec_b32 s4, s3
	s_cbranch_execz .LBB243_10
; %bb.9:                                ;   in Loop: Header=BB243_4 Depth=1
	global_load_u16 v18, v[16:17], off
	s_wait_loadcnt 0x0
	v_cvt_f32_f16_e32 v20, v18
.LBB243_10:                             ;   in Loop: Header=BB243_4 Depth=1
	s_wait_xcnt 0x0
	s_or_b32 exec_lo, exec_lo, s4
	v_add_nc_u64_e32 v[18:19], s[18:19], v[10:11]
	v_mov_b32_e32 v23, 0
	s_delay_alu instid0(VALU_DEP_2)
	v_cmp_lt_u64_e64 s4, v[18:19], v[4:5]
	v_add_nc_u64_e32 v[18:19], s[16:17], v[8:9]
	s_and_saveexec_b32 s5, s4
	s_cbranch_execz .LBB243_12
; %bb.11:                               ;   in Loop: Header=BB243_4 Depth=1
	global_load_u16 v23, v[18:19], off
	s_wait_loadcnt 0x0
	v_cvt_f32_f16_e32 v23, v23
.LBB243_12:                             ;   in Loop: Header=BB243_4 Depth=1
	s_wait_xcnt 0x0
	s_or_b32 exec_lo, exec_lo, s5
	s_delay_alu instid0(SALU_CYCLE_1)
	s_mov_b32 s22, exec_lo
                                        ; implicit-def: $vgpr24
	v_cmpx_nlt_f32_e64 |v21|, 1.0
	s_xor_b32 s22, exec_lo, s22
	s_cbranch_execz .LBB243_14
; %bb.13:                               ;   in Loop: Header=BB243_4 Depth=1
	v_fma_f32 v24, |v21|, s20, 0xb9c68948
	s_delay_alu instid0(VALU_DEP_1) | instskip(NEXT) | instid1(VALU_DEP_1)
	v_fma_f32 v24, |v21|, v24, 0x3b7cd369
	v_fma_f32 v24, |v21|, v24, 0xbcc618b2
	s_delay_alu instid0(VALU_DEP_1) | instskip(NEXT) | instid1(VALU_DEP_1)
	v_fma_f32 v24, |v21|, v24, 0x3dda74e4
	;; [unrolled: 3-line block ×3, first 2 shown]
	v_fma_f32 v24, |v21|, v24, |v21|
	s_delay_alu instid0(VALU_DEP_1) | instskip(SKIP_1) | instid1(VALU_DEP_2)
	v_mul_f32_e32 v25, 0xbfb8aa3b, v24
	v_cmp_nlt_f32_e64 s5, 0x42ce8ed0, v24
	v_fma_f32 v26, 0xbfb8aa3b, v24, -v25
	v_rndne_f32_e32 v27, v25
	s_delay_alu instid0(VALU_DEP_1) | instskip(NEXT) | instid1(VALU_DEP_1)
	v_dual_fmac_f32 v26, 0xb2a5705f, v24 :: v_dual_sub_f32 v25, v25, v27
	v_add_f32_e32 v25, v25, v26
	v_cvt_i32_f32_e32 v26, v27
	s_delay_alu instid0(VALU_DEP_2) | instskip(SKIP_1) | instid1(TRANS32_DEP_1)
	v_exp_f32_e32 v25, v25
	v_nop
	v_ldexp_f32 v25, v25, v26
	s_delay_alu instid0(VALU_DEP_1) | instskip(SKIP_1) | instid1(VALU_DEP_1)
	v_cndmask_b32_e64 v25, 0, v25, s5
	v_cmp_ngt_f32_e64 s5, 0xc2b17218, v24
	v_cndmask_b32_e64 v24, 0x7f800000, v25, s5
	s_delay_alu instid0(VALU_DEP_1)
	v_sub_f32_e32 v24, 1.0, v24
.LBB243_14:                             ;   in Loop: Header=BB243_4 Depth=1
	s_and_not1_saveexec_b32 s5, s22
	s_cbranch_execz .LBB243_16
; %bb.15:                               ;   in Loop: Header=BB243_4 Depth=1
	v_mul_f32_e32 v24, v21, v21
	s_delay_alu instid0(VALU_DEP_1) | instskip(NEXT) | instid1(VALU_DEP_1)
	v_fmaak_f32 v25, s21, v24, 0x3ba10414
	v_fmaak_f32 v25, v24, v25, 0xbcdac9b8
	s_delay_alu instid0(VALU_DEP_1) | instskip(NEXT) | instid1(VALU_DEP_1)
	v_fmaak_f32 v25, v24, v25, 0x3de703be
	v_fmaak_f32 v25, v24, v25, 0xbec09330
	s_delay_alu instid0(VALU_DEP_1) | instskip(NEXT) | instid1(VALU_DEP_1)
	v_fmaak_f32 v24, v24, v25, 0x3e0375d0
	v_fma_f32 v24, |v21|, v24, |v21|
.LBB243_16:                             ;   in Loop: Header=BB243_4 Depth=1
	s_or_b32 exec_lo, exec_lo, s5
	s_delay_alu instid0(SALU_CYCLE_1)
	s_mov_b32 s22, exec_lo
                                        ; implicit-def: $vgpr25
	v_cmpx_nlt_f32_e64 |v22|, 1.0
	s_xor_b32 s22, exec_lo, s22
	s_cbranch_execz .LBB243_18
; %bb.17:                               ;   in Loop: Header=BB243_4 Depth=1
	v_fma_f32 v25, |v22|, s20, 0xb9c68948
	s_delay_alu instid0(VALU_DEP_1) | instskip(NEXT) | instid1(VALU_DEP_1)
	v_fma_f32 v25, |v22|, v25, 0x3b7cd369
	v_fma_f32 v25, |v22|, v25, 0xbcc618b2
	s_delay_alu instid0(VALU_DEP_1) | instskip(NEXT) | instid1(VALU_DEP_1)
	v_fma_f32 v25, |v22|, v25, 0x3dda74e4
	;; [unrolled: 3-line block ×3, first 2 shown]
	v_fma_f32 v25, |v22|, v25, |v22|
	s_delay_alu instid0(VALU_DEP_1) | instskip(SKIP_1) | instid1(VALU_DEP_2)
	v_mul_f32_e32 v26, 0xbfb8aa3b, v25
	v_cmp_nlt_f32_e64 s5, 0x42ce8ed0, v25
	v_fma_f32 v27, 0xbfb8aa3b, v25, -v26
	v_rndne_f32_e32 v28, v26
	s_delay_alu instid0(VALU_DEP_1) | instskip(NEXT) | instid1(VALU_DEP_1)
	v_dual_fmac_f32 v27, 0xb2a5705f, v25 :: v_dual_sub_f32 v26, v26, v28
	v_add_f32_e32 v26, v26, v27
	v_cvt_i32_f32_e32 v27, v28
	s_delay_alu instid0(VALU_DEP_2) | instskip(SKIP_1) | instid1(TRANS32_DEP_1)
	v_exp_f32_e32 v26, v26
	v_nop
	v_ldexp_f32 v26, v26, v27
	s_delay_alu instid0(VALU_DEP_1) | instskip(SKIP_1) | instid1(VALU_DEP_1)
	v_cndmask_b32_e64 v26, 0, v26, s5
	v_cmp_ngt_f32_e64 s5, 0xc2b17218, v25
	v_cndmask_b32_e64 v25, 0x7f800000, v26, s5
	s_delay_alu instid0(VALU_DEP_1)
	v_sub_f32_e32 v25, 1.0, v25
.LBB243_18:                             ;   in Loop: Header=BB243_4 Depth=1
	s_and_not1_saveexec_b32 s5, s22
	s_cbranch_execz .LBB243_20
; %bb.19:                               ;   in Loop: Header=BB243_4 Depth=1
	v_mul_f32_e32 v25, v22, v22
	s_delay_alu instid0(VALU_DEP_1) | instskip(NEXT) | instid1(VALU_DEP_1)
	v_fmaak_f32 v26, s21, v25, 0x3ba10414
	v_fmaak_f32 v26, v25, v26, 0xbcdac9b8
	s_delay_alu instid0(VALU_DEP_1) | instskip(NEXT) | instid1(VALU_DEP_1)
	v_fmaak_f32 v26, v25, v26, 0x3de703be
	v_fmaak_f32 v26, v25, v26, 0xbec09330
	s_delay_alu instid0(VALU_DEP_1) | instskip(NEXT) | instid1(VALU_DEP_1)
	v_fmaak_f32 v25, v25, v26, 0x3e0375d0
	v_fma_f32 v25, |v22|, v25, |v22|
.LBB243_20:                             ;   in Loop: Header=BB243_4 Depth=1
	s_or_b32 exec_lo, exec_lo, s5
	s_delay_alu instid0(SALU_CYCLE_1)
	s_mov_b32 s22, exec_lo
                                        ; implicit-def: $vgpr26
	v_cmpx_nlt_f32_e64 |v20|, 1.0
	s_xor_b32 s22, exec_lo, s22
	s_cbranch_execz .LBB243_22
; %bb.21:                               ;   in Loop: Header=BB243_4 Depth=1
	v_fma_f32 v26, |v20|, s20, 0xb9c68948
	s_delay_alu instid0(VALU_DEP_1) | instskip(NEXT) | instid1(VALU_DEP_1)
	v_fma_f32 v26, |v20|, v26, 0x3b7cd369
	v_fma_f32 v26, |v20|, v26, 0xbcc618b2
	s_delay_alu instid0(VALU_DEP_1) | instskip(NEXT) | instid1(VALU_DEP_1)
	v_fma_f32 v26, |v20|, v26, 0x3dda74e4
	;; [unrolled: 3-line block ×3, first 2 shown]
	v_fma_f32 v26, |v20|, v26, |v20|
	s_delay_alu instid0(VALU_DEP_1) | instskip(SKIP_1) | instid1(VALU_DEP_2)
	v_mul_f32_e32 v27, 0xbfb8aa3b, v26
	v_cmp_nlt_f32_e64 s5, 0x42ce8ed0, v26
	v_fma_f32 v28, 0xbfb8aa3b, v26, -v27
	v_rndne_f32_e32 v29, v27
	s_delay_alu instid0(VALU_DEP_1) | instskip(NEXT) | instid1(VALU_DEP_1)
	v_dual_fmac_f32 v28, 0xb2a5705f, v26 :: v_dual_sub_f32 v27, v27, v29
	v_add_f32_e32 v27, v27, v28
	v_cvt_i32_f32_e32 v28, v29
	s_delay_alu instid0(VALU_DEP_2) | instskip(SKIP_1) | instid1(TRANS32_DEP_1)
	v_exp_f32_e32 v27, v27
	v_nop
	v_ldexp_f32 v27, v27, v28
	s_delay_alu instid0(VALU_DEP_1) | instskip(SKIP_1) | instid1(VALU_DEP_1)
	v_cndmask_b32_e64 v27, 0, v27, s5
	v_cmp_ngt_f32_e64 s5, 0xc2b17218, v26
	v_cndmask_b32_e64 v26, 0x7f800000, v27, s5
	s_delay_alu instid0(VALU_DEP_1)
	v_sub_f32_e32 v26, 1.0, v26
.LBB243_22:                             ;   in Loop: Header=BB243_4 Depth=1
	s_and_not1_saveexec_b32 s5, s22
	s_cbranch_execz .LBB243_24
; %bb.23:                               ;   in Loop: Header=BB243_4 Depth=1
	v_mul_f32_e32 v26, v20, v20
	s_delay_alu instid0(VALU_DEP_1) | instskip(NEXT) | instid1(VALU_DEP_1)
	v_fmaak_f32 v27, s21, v26, 0x3ba10414
	v_fmaak_f32 v27, v26, v27, 0xbcdac9b8
	s_delay_alu instid0(VALU_DEP_1) | instskip(NEXT) | instid1(VALU_DEP_1)
	v_fmaak_f32 v27, v26, v27, 0x3de703be
	v_fmaak_f32 v27, v26, v27, 0xbec09330
	s_delay_alu instid0(VALU_DEP_1) | instskip(NEXT) | instid1(VALU_DEP_1)
	v_fmaak_f32 v26, v26, v27, 0x3e0375d0
	v_fma_f32 v26, |v20|, v26, |v20|
.LBB243_24:                             ;   in Loop: Header=BB243_4 Depth=1
	s_or_b32 exec_lo, exec_lo, s5
	s_delay_alu instid0(SALU_CYCLE_1)
	s_mov_b32 s22, exec_lo
                                        ; implicit-def: $vgpr27
	v_cmpx_nlt_f32_e64 |v23|, 1.0
	s_xor_b32 s22, exec_lo, s22
	s_cbranch_execnz .LBB243_30
; %bb.25:                               ;   in Loop: Header=BB243_4 Depth=1
	s_and_not1_saveexec_b32 s5, s22
	s_cbranch_execnz .LBB243_31
.LBB243_26:                             ;   in Loop: Header=BB243_4 Depth=1
	s_or_b32 exec_lo, exec_lo, s5
	s_and_saveexec_b32 s5, vcc_lo
	s_delay_alu instid0(SALU_CYCLE_1)
	s_xor_b32 s5, exec_lo, s5
	s_cbranch_execnz .LBB243_32
.LBB243_27:                             ;   in Loop: Header=BB243_4 Depth=1
	s_or_b32 exec_lo, exec_lo, s5
	s_and_saveexec_b32 s5, s2
	s_cbranch_execnz .LBB243_33
.LBB243_28:                             ;   in Loop: Header=BB243_4 Depth=1
	s_or_b32 exec_lo, exec_lo, s5
	s_and_saveexec_b32 s2, s3
	s_cbranch_execnz .LBB243_34
.LBB243_29:                             ;   in Loop: Header=BB243_4 Depth=1
	s_or_b32 exec_lo, exec_lo, s2
	s_and_saveexec_b32 s2, s4
	s_cbranch_execz .LBB243_3
	s_branch .LBB243_35
.LBB243_30:                             ;   in Loop: Header=BB243_4 Depth=1
	v_fma_f32 v27, |v23|, s20, 0xb9c68948
	s_delay_alu instid0(VALU_DEP_1) | instskip(NEXT) | instid1(VALU_DEP_1)
	v_fma_f32 v27, |v23|, v27, 0x3b7cd369
	v_fma_f32 v27, |v23|, v27, 0xbcc618b2
	s_delay_alu instid0(VALU_DEP_1) | instskip(NEXT) | instid1(VALU_DEP_1)
	v_fma_f32 v27, |v23|, v27, 0x3dda74e4
	;; [unrolled: 3-line block ×3, first 2 shown]
	v_fma_f32 v27, |v23|, v27, |v23|
	s_delay_alu instid0(VALU_DEP_1) | instskip(SKIP_1) | instid1(VALU_DEP_2)
	v_mul_f32_e32 v28, 0xbfb8aa3b, v27
	v_cmp_nlt_f32_e64 s5, 0x42ce8ed0, v27
	v_fma_f32 v29, 0xbfb8aa3b, v27, -v28
	v_rndne_f32_e32 v30, v28
	s_delay_alu instid0(VALU_DEP_1) | instskip(NEXT) | instid1(VALU_DEP_1)
	v_dual_fmac_f32 v29, 0xb2a5705f, v27 :: v_dual_sub_f32 v28, v28, v30
	v_add_f32_e32 v28, v28, v29
	v_cvt_i32_f32_e32 v29, v30
	s_delay_alu instid0(VALU_DEP_2) | instskip(SKIP_1) | instid1(TRANS32_DEP_1)
	v_exp_f32_e32 v28, v28
	v_nop
	v_ldexp_f32 v28, v28, v29
	s_delay_alu instid0(VALU_DEP_1) | instskip(SKIP_1) | instid1(VALU_DEP_1)
	v_cndmask_b32_e64 v28, 0, v28, s5
	v_cmp_ngt_f32_e64 s5, 0xc2b17218, v27
	v_cndmask_b32_e64 v27, 0x7f800000, v28, s5
	s_delay_alu instid0(VALU_DEP_1)
	v_sub_f32_e32 v27, 1.0, v27
	s_and_not1_saveexec_b32 s5, s22
	s_cbranch_execz .LBB243_26
.LBB243_31:                             ;   in Loop: Header=BB243_4 Depth=1
	v_mul_f32_e32 v27, v23, v23
	s_delay_alu instid0(VALU_DEP_1) | instskip(NEXT) | instid1(VALU_DEP_1)
	v_fmaak_f32 v28, s21, v27, 0x3ba10414
	v_fmaak_f32 v28, v27, v28, 0xbcdac9b8
	s_delay_alu instid0(VALU_DEP_1) | instskip(NEXT) | instid1(VALU_DEP_1)
	v_fmaak_f32 v28, v27, v28, 0x3de703be
	v_fmaak_f32 v28, v27, v28, 0xbec09330
	s_delay_alu instid0(VALU_DEP_1) | instskip(NEXT) | instid1(VALU_DEP_1)
	v_fmaak_f32 v27, v27, v28, 0x3e0375d0
	v_fma_f32 v27, |v23|, v27, |v23|
	s_or_b32 exec_lo, exec_lo, s5
	s_and_saveexec_b32 s5, vcc_lo
	s_delay_alu instid0(SALU_CYCLE_1)
	s_xor_b32 s5, exec_lo, s5
	s_cbranch_execz .LBB243_27
.LBB243_32:                             ;   in Loop: Header=BB243_4 Depth=1
	v_cvt_f16_f32_e32 v24, v24
	v_lshrrev_b32_e32 v21, 16, v21
	s_delay_alu instid0(VALU_DEP_1)
	v_bfi_b32 v21, 0x7fff, v24, v21
	global_store_b16 v[8:9], v21, off
	s_wait_xcnt 0x0
	s_or_b32 exec_lo, exec_lo, s5
	s_and_saveexec_b32 s5, s2
	s_cbranch_execz .LBB243_28
.LBB243_33:                             ;   in Loop: Header=BB243_4 Depth=1
	v_cvt_f16_f32_e32 v21, v25
	v_lshrrev_b32_e32 v22, 16, v22
	s_delay_alu instid0(VALU_DEP_1)
	v_bfi_b32 v21, 0x7fff, v21, v22
	global_store_b16 v[14:15], v21, off
	s_wait_xcnt 0x0
	s_or_b32 exec_lo, exec_lo, s5
	s_and_saveexec_b32 s2, s3
	s_cbranch_execz .LBB243_29
.LBB243_34:                             ;   in Loop: Header=BB243_4 Depth=1
	v_cvt_f16_f32_e32 v21, v26
	v_lshrrev_b32_e32 v20, 16, v20
	s_delay_alu instid0(VALU_DEP_1)
	v_bfi_b32 v20, 0x7fff, v21, v20
	global_store_b16 v[16:17], v20, off
	s_wait_xcnt 0x0
	s_or_b32 exec_lo, exec_lo, s2
	s_and_saveexec_b32 s2, s4
	s_cbranch_execz .LBB243_3
.LBB243_35:                             ;   in Loop: Header=BB243_4 Depth=1
	v_cvt_f16_f32_e32 v16, v27
	v_lshrrev_b32_e32 v17, 16, v23
	s_delay_alu instid0(VALU_DEP_1)
	v_bfi_b32 v16, 0x7fff, v16, v17
	global_store_b16 v[18:19], v16, off
	s_branch .LBB243_3
.LBB243_36:
	s_cbranch_execz .LBB243_38
	s_branch .LBB243_57
.LBB243_37:
.LBB243_38:
	v_min_i64 v[2:3], 0x10000, s[10:11]
	v_dual_mov_b32 v5, 0 :: v_dual_lshlrev_b32 v4, 2, v0
	s_mov_b32 s2, exec_lo
	s_delay_alu instid0(VALU_DEP_1)
	v_cmpx_lt_i64_e64 v[4:5], v[2:3]
	s_cbranch_execz .LBB243_57
; %bb.39:
	s_load_b32 s2, s[0:1], 0xd3c
	v_dual_mov_b32 v1, v5 :: v_dual_lshlrev_b32 v4, 3, v0
	s_wait_xcnt 0x0
	s_add_nc_u64 s[0:1], s[6:7], s[8:9]
	s_mov_b32 s4, 0x378e98ab
	s_mov_b32 s5, 0xba1345e1
	v_add_nc_u64_e32 v[6:7], s[0:1], v[4:5]
	s_mov_b32 s1, 0
	s_delay_alu instid0(SALU_CYCLE_1) | instskip(SKIP_1) | instid1(VALU_DEP_1)
	s_mov_b32 s3, s1
	s_mov_b32 s6, s1
	v_add_nc_u64_e32 v[4:5], 4, v[6:7]
	s_wait_kmcnt 0x0
	s_and_b32 s0, s2, 0xffff
	s_delay_alu instid0(SALU_CYCLE_1)
	s_lshl_b32 s2, s0, 3
	s_branch .LBB243_41
.LBB243_40:                             ;   in Loop: Header=BB243_41 Depth=1
	s_or_b32 exec_lo, exec_lo, s7
	v_add_nc_u64_e32 v[0:1], s[0:1], v[0:1]
	v_cvt_f16_f32_e32 v12, v12
	v_dual_lshrrev_b32 v11, 16, v11 :: v_dual_lshrrev_b32 v6, 16, v6
	v_cvt_f16_f32_e32 v10, v10
	v_cvt_f16_f32_e32 v9, v9
	;; [unrolled: 1-line block ×3, first 2 shown]
	v_dual_lshrrev_b32 v7, 16, v7 :: v_dual_lshrrev_b32 v8, 16, v8
	v_bfi_b32 v11, 0x7fff, v12, v11
	v_bfi_b32 v10, 0x7fff, v10, v6
	s_delay_alu instid0(VALU_DEP_3) | instskip(NEXT) | instid1(VALU_DEP_4)
	v_bfi_b32 v12, 0x7fff, v13, v7
	v_bfi_b32 v8, 0x7fff, v9, v8
	v_lshlrev_b64_e32 v[6:7], 2, v[0:1]
	s_delay_alu instid0(VALU_DEP_3) | instskip(NEXT) | instid1(VALU_DEP_3)
	v_pack_b32_f16 v9, v11, v12
	v_pack_b32_f16 v8, v8, v10
	s_delay_alu instid0(VALU_DEP_3) | instskip(SKIP_4) | instid1(SALU_CYCLE_1)
	v_cmp_ge_i64_e32 vcc_lo, v[6:7], v[2:3]
	global_store_b64 v[4:5], v[8:9], off offset:-4
	s_wait_xcnt 0x0
	v_add_nc_u64_e32 v[4:5], s[2:3], v[4:5]
	s_or_b32 s6, vcc_lo, s6
	s_and_not1_b32 exec_lo, exec_lo, s6
	s_cbranch_execz .LBB243_57
.LBB243_41:                             ; =>This Inner Loop Header: Depth=1
	global_load_b64 v[6:7], v[4:5], off offset:-4
                                        ; implicit-def: $vgpr9
	s_wait_loadcnt 0x0
	v_cvt_f32_f16_e32 v8, v6
	s_delay_alu instid0(VALU_DEP_1) | instskip(SKIP_2) | instid1(SALU_CYCLE_1)
	v_cmp_nlt_f32_e64 s7, |v8|, 1.0
	s_wait_xcnt 0x0
	s_and_saveexec_b32 s8, s7
	s_xor_b32 s7, exec_lo, s8
	s_cbranch_execz .LBB243_43
; %bb.42:                               ;   in Loop: Header=BB243_41 Depth=1
	v_fma_f32 v9, |v8|, s4, 0xb9c68948
	s_delay_alu instid0(VALU_DEP_1) | instskip(NEXT) | instid1(VALU_DEP_1)
	v_fma_f32 v9, |v8|, v9, 0x3b7cd369
	v_fma_f32 v9, |v8|, v9, 0xbcc618b2
	s_delay_alu instid0(VALU_DEP_1) | instskip(NEXT) | instid1(VALU_DEP_1)
	v_fma_f32 v9, |v8|, v9, 0x3dda74e4
	;; [unrolled: 3-line block ×3, first 2 shown]
	v_fma_f32 v9, |v8|, v9, |v8|
	s_delay_alu instid0(VALU_DEP_1) | instskip(SKIP_1) | instid1(VALU_DEP_2)
	v_mul_f32_e32 v10, 0xbfb8aa3b, v9
	v_cmp_nlt_f32_e32 vcc_lo, 0x42ce8ed0, v9
	v_fma_f32 v11, 0xbfb8aa3b, v9, -v10
	v_rndne_f32_e32 v12, v10
	s_delay_alu instid0(VALU_DEP_1) | instskip(NEXT) | instid1(VALU_DEP_1)
	v_dual_fmac_f32 v11, 0xb2a5705f, v9 :: v_dual_sub_f32 v10, v10, v12
	v_add_f32_e32 v10, v10, v11
	v_cvt_i32_f32_e32 v11, v12
	s_delay_alu instid0(VALU_DEP_2) | instskip(SKIP_1) | instid1(TRANS32_DEP_1)
	v_exp_f32_e32 v10, v10
	v_nop
	v_ldexp_f32 v10, v10, v11
	s_delay_alu instid0(VALU_DEP_1) | instskip(SKIP_1) | instid1(VALU_DEP_2)
	v_cndmask_b32_e32 v10, 0, v10, vcc_lo
	v_cmp_ngt_f32_e32 vcc_lo, 0xc2b17218, v9
	v_cndmask_b32_e32 v9, 0x7f800000, v10, vcc_lo
	s_delay_alu instid0(VALU_DEP_1)
	v_sub_f32_e32 v9, 1.0, v9
.LBB243_43:                             ;   in Loop: Header=BB243_41 Depth=1
	s_and_not1_saveexec_b32 s7, s7
	s_cbranch_execz .LBB243_45
; %bb.44:                               ;   in Loop: Header=BB243_41 Depth=1
	v_mul_f32_e32 v9, v8, v8
	s_delay_alu instid0(VALU_DEP_1) | instskip(NEXT) | instid1(VALU_DEP_1)
	v_fmaak_f32 v10, s5, v9, 0x3ba10414
	v_fmaak_f32 v10, v9, v10, 0xbcdac9b8
	s_delay_alu instid0(VALU_DEP_1) | instskip(NEXT) | instid1(VALU_DEP_1)
	v_fmaak_f32 v10, v9, v10, 0x3de703be
	v_fmaak_f32 v10, v9, v10, 0xbec09330
	s_delay_alu instid0(VALU_DEP_1) | instskip(NEXT) | instid1(VALU_DEP_1)
	v_fmaak_f32 v9, v9, v10, 0x3e0375d0
	v_fma_f32 v9, |v8|, v9, |v8|
.LBB243_45:                             ;   in Loop: Header=BB243_41 Depth=1
	s_or_b32 exec_lo, exec_lo, s7
	v_lshrrev_b32_e32 v6, 16, v6
                                        ; implicit-def: $vgpr10
	s_delay_alu instid0(VALU_DEP_1) | instskip(NEXT) | instid1(VALU_DEP_1)
	v_cvt_f32_f16_e32 v6, v6
	v_cmp_nlt_f32_e64 s7, |v6|, 1.0
	s_and_saveexec_b32 s8, s7
	s_delay_alu instid0(SALU_CYCLE_1)
	s_xor_b32 s7, exec_lo, s8
	s_cbranch_execz .LBB243_47
; %bb.46:                               ;   in Loop: Header=BB243_41 Depth=1
	v_fma_f32 v10, |v6|, s4, 0xb9c68948
	s_delay_alu instid0(VALU_DEP_1) | instskip(NEXT) | instid1(VALU_DEP_1)
	v_fma_f32 v10, |v6|, v10, 0x3b7cd369
	v_fma_f32 v10, |v6|, v10, 0xbcc618b2
	s_delay_alu instid0(VALU_DEP_1) | instskip(NEXT) | instid1(VALU_DEP_1)
	v_fma_f32 v10, |v6|, v10, 0x3dda74e4
	;; [unrolled: 3-line block ×3, first 2 shown]
	v_fma_f32 v10, |v6|, v10, |v6|
	s_delay_alu instid0(VALU_DEP_1) | instskip(SKIP_1) | instid1(VALU_DEP_2)
	v_mul_f32_e32 v11, 0xbfb8aa3b, v10
	v_cmp_nlt_f32_e32 vcc_lo, 0x42ce8ed0, v10
	v_fma_f32 v12, 0xbfb8aa3b, v10, -v11
	v_rndne_f32_e32 v13, v11
	s_delay_alu instid0(VALU_DEP_1) | instskip(NEXT) | instid1(VALU_DEP_1)
	v_dual_fmac_f32 v12, 0xb2a5705f, v10 :: v_dual_sub_f32 v11, v11, v13
	v_add_f32_e32 v11, v11, v12
	v_cvt_i32_f32_e32 v12, v13
	s_delay_alu instid0(VALU_DEP_2) | instskip(SKIP_1) | instid1(TRANS32_DEP_1)
	v_exp_f32_e32 v11, v11
	v_nop
	v_ldexp_f32 v11, v11, v12
	s_delay_alu instid0(VALU_DEP_1) | instskip(SKIP_1) | instid1(VALU_DEP_2)
	v_cndmask_b32_e32 v11, 0, v11, vcc_lo
	v_cmp_ngt_f32_e32 vcc_lo, 0xc2b17218, v10
	v_cndmask_b32_e32 v10, 0x7f800000, v11, vcc_lo
	s_delay_alu instid0(VALU_DEP_1)
	v_sub_f32_e32 v10, 1.0, v10
.LBB243_47:                             ;   in Loop: Header=BB243_41 Depth=1
	s_and_not1_saveexec_b32 s7, s7
	s_cbranch_execz .LBB243_49
; %bb.48:                               ;   in Loop: Header=BB243_41 Depth=1
	v_mul_f32_e32 v10, v6, v6
	s_delay_alu instid0(VALU_DEP_1) | instskip(NEXT) | instid1(VALU_DEP_1)
	v_fmaak_f32 v11, s5, v10, 0x3ba10414
	v_fmaak_f32 v11, v10, v11, 0xbcdac9b8
	s_delay_alu instid0(VALU_DEP_1) | instskip(NEXT) | instid1(VALU_DEP_1)
	v_fmaak_f32 v11, v10, v11, 0x3de703be
	v_fmaak_f32 v11, v10, v11, 0xbec09330
	s_delay_alu instid0(VALU_DEP_1) | instskip(NEXT) | instid1(VALU_DEP_1)
	v_fmaak_f32 v10, v10, v11, 0x3e0375d0
	v_fma_f32 v10, |v6|, v10, |v6|
.LBB243_49:                             ;   in Loop: Header=BB243_41 Depth=1
	s_or_b32 exec_lo, exec_lo, s7
	v_cvt_f32_f16_e32 v11, v7
                                        ; implicit-def: $vgpr12
	s_delay_alu instid0(VALU_DEP_1) | instskip(SKIP_1) | instid1(SALU_CYCLE_1)
	v_cmp_nlt_f32_e64 s7, |v11|, 1.0
	s_and_saveexec_b32 s8, s7
	s_xor_b32 s7, exec_lo, s8
	s_cbranch_execz .LBB243_51
; %bb.50:                               ;   in Loop: Header=BB243_41 Depth=1
	v_fma_f32 v12, |v11|, s4, 0xb9c68948
	s_delay_alu instid0(VALU_DEP_1) | instskip(NEXT) | instid1(VALU_DEP_1)
	v_fma_f32 v12, |v11|, v12, 0x3b7cd369
	v_fma_f32 v12, |v11|, v12, 0xbcc618b2
	s_delay_alu instid0(VALU_DEP_1) | instskip(NEXT) | instid1(VALU_DEP_1)
	v_fma_f32 v12, |v11|, v12, 0x3dda74e4
	;; [unrolled: 3-line block ×3, first 2 shown]
	v_fma_f32 v12, |v11|, v12, |v11|
	s_delay_alu instid0(VALU_DEP_1) | instskip(SKIP_1) | instid1(VALU_DEP_2)
	v_mul_f32_e32 v13, 0xbfb8aa3b, v12
	v_cmp_nlt_f32_e32 vcc_lo, 0x42ce8ed0, v12
	v_fma_f32 v14, 0xbfb8aa3b, v12, -v13
	v_rndne_f32_e32 v15, v13
	s_delay_alu instid0(VALU_DEP_1) | instskip(NEXT) | instid1(VALU_DEP_1)
	v_dual_fmac_f32 v14, 0xb2a5705f, v12 :: v_dual_sub_f32 v13, v13, v15
	v_add_f32_e32 v13, v13, v14
	v_cvt_i32_f32_e32 v14, v15
	s_delay_alu instid0(VALU_DEP_2) | instskip(SKIP_1) | instid1(TRANS32_DEP_1)
	v_exp_f32_e32 v13, v13
	v_nop
	v_ldexp_f32 v13, v13, v14
	s_delay_alu instid0(VALU_DEP_1) | instskip(SKIP_1) | instid1(VALU_DEP_2)
	v_cndmask_b32_e32 v13, 0, v13, vcc_lo
	v_cmp_ngt_f32_e32 vcc_lo, 0xc2b17218, v12
	v_cndmask_b32_e32 v12, 0x7f800000, v13, vcc_lo
	s_delay_alu instid0(VALU_DEP_1)
	v_sub_f32_e32 v12, 1.0, v12
.LBB243_51:                             ;   in Loop: Header=BB243_41 Depth=1
	s_and_not1_saveexec_b32 s7, s7
	s_cbranch_execz .LBB243_53
; %bb.52:                               ;   in Loop: Header=BB243_41 Depth=1
	v_mul_f32_e32 v12, v11, v11
	s_delay_alu instid0(VALU_DEP_1) | instskip(NEXT) | instid1(VALU_DEP_1)
	v_fmaak_f32 v13, s5, v12, 0x3ba10414
	v_fmaak_f32 v13, v12, v13, 0xbcdac9b8
	s_delay_alu instid0(VALU_DEP_1) | instskip(NEXT) | instid1(VALU_DEP_1)
	v_fmaak_f32 v13, v12, v13, 0x3de703be
	v_fmaak_f32 v13, v12, v13, 0xbec09330
	s_delay_alu instid0(VALU_DEP_1) | instskip(NEXT) | instid1(VALU_DEP_1)
	v_fmaak_f32 v12, v12, v13, 0x3e0375d0
	v_fma_f32 v12, |v11|, v12, |v11|
.LBB243_53:                             ;   in Loop: Header=BB243_41 Depth=1
	s_or_b32 exec_lo, exec_lo, s7
	v_lshrrev_b32_e32 v7, 16, v7
                                        ; implicit-def: $vgpr13
	s_delay_alu instid0(VALU_DEP_1) | instskip(NEXT) | instid1(VALU_DEP_1)
	v_cvt_f32_f16_e32 v7, v7
	v_cmp_nlt_f32_e64 s7, |v7|, 1.0
	s_and_saveexec_b32 s8, s7
	s_delay_alu instid0(SALU_CYCLE_1)
	s_xor_b32 s7, exec_lo, s8
	s_cbranch_execz .LBB243_55
; %bb.54:                               ;   in Loop: Header=BB243_41 Depth=1
	v_fma_f32 v13, |v7|, s4, 0xb9c68948
	s_delay_alu instid0(VALU_DEP_1) | instskip(NEXT) | instid1(VALU_DEP_1)
	v_fma_f32 v13, |v7|, v13, 0x3b7cd369
	v_fma_f32 v13, |v7|, v13, 0xbcc618b2
	s_delay_alu instid0(VALU_DEP_1) | instskip(NEXT) | instid1(VALU_DEP_1)
	v_fma_f32 v13, |v7|, v13, 0x3dda74e4
	;; [unrolled: 3-line block ×3, first 2 shown]
	v_fma_f32 v13, |v7|, v13, |v7|
	s_delay_alu instid0(VALU_DEP_1) | instskip(SKIP_1) | instid1(VALU_DEP_2)
	v_mul_f32_e32 v14, 0xbfb8aa3b, v13
	v_cmp_nlt_f32_e32 vcc_lo, 0x42ce8ed0, v13
	v_fma_f32 v15, 0xbfb8aa3b, v13, -v14
	v_rndne_f32_e32 v16, v14
	s_delay_alu instid0(VALU_DEP_1) | instskip(NEXT) | instid1(VALU_DEP_1)
	v_dual_fmac_f32 v15, 0xb2a5705f, v13 :: v_dual_sub_f32 v14, v14, v16
	v_add_f32_e32 v14, v14, v15
	v_cvt_i32_f32_e32 v15, v16
	s_delay_alu instid0(VALU_DEP_2) | instskip(SKIP_1) | instid1(TRANS32_DEP_1)
	v_exp_f32_e32 v14, v14
	v_nop
	v_ldexp_f32 v14, v14, v15
	s_delay_alu instid0(VALU_DEP_1) | instskip(SKIP_1) | instid1(VALU_DEP_2)
	v_cndmask_b32_e32 v14, 0, v14, vcc_lo
	v_cmp_ngt_f32_e32 vcc_lo, 0xc2b17218, v13
	v_cndmask_b32_e32 v13, 0x7f800000, v14, vcc_lo
	s_delay_alu instid0(VALU_DEP_1)
	v_sub_f32_e32 v13, 1.0, v13
.LBB243_55:                             ;   in Loop: Header=BB243_41 Depth=1
	s_and_not1_saveexec_b32 s7, s7
	s_cbranch_execz .LBB243_40
; %bb.56:                               ;   in Loop: Header=BB243_41 Depth=1
	v_mul_f32_e32 v13, v7, v7
	s_delay_alu instid0(VALU_DEP_1) | instskip(NEXT) | instid1(VALU_DEP_1)
	v_fmaak_f32 v14, s5, v13, 0x3ba10414
	v_fmaak_f32 v14, v13, v14, 0xbcdac9b8
	s_delay_alu instid0(VALU_DEP_1) | instskip(NEXT) | instid1(VALU_DEP_1)
	v_fmaak_f32 v14, v13, v14, 0x3de703be
	v_fmaak_f32 v14, v13, v14, 0xbec09330
	s_delay_alu instid0(VALU_DEP_1) | instskip(NEXT) | instid1(VALU_DEP_1)
	v_fmaak_f32 v13, v13, v14, 0x3e0375d0
	v_fma_f32 v13, |v7|, v13, |v7|
	s_branch .LBB243_40
.LBB243_57:
	s_endpgm
	.section	.rodata,"a",@progbits
	.p2align	6, 0x0
	.amdhsa_kernel _ZN2at6native12_GLOBAL__N_125multi_tensor_apply_kernelINS1_18TensorListMetadataILi1EEENS1_14UnaryOpFunctorIN3c104HalfELi1ELi1ELi0EEEJNS0_3ErfIfEEEEEvT_T0_DpT1_
		.amdhsa_group_segment_fixed_size 0
		.amdhsa_private_segment_fixed_size 0
		.amdhsa_kernarg_size 3632
		.amdhsa_user_sgpr_count 2
		.amdhsa_user_sgpr_dispatch_ptr 0
		.amdhsa_user_sgpr_queue_ptr 0
		.amdhsa_user_sgpr_kernarg_segment_ptr 1
		.amdhsa_user_sgpr_dispatch_id 0
		.amdhsa_user_sgpr_kernarg_preload_length 0
		.amdhsa_user_sgpr_kernarg_preload_offset 0
		.amdhsa_user_sgpr_private_segment_size 0
		.amdhsa_wavefront_size32 1
		.amdhsa_uses_dynamic_stack 0
		.amdhsa_enable_private_segment 0
		.amdhsa_system_sgpr_workgroup_id_x 1
		.amdhsa_system_sgpr_workgroup_id_y 0
		.amdhsa_system_sgpr_workgroup_id_z 0
		.amdhsa_system_sgpr_workgroup_info 0
		.amdhsa_system_vgpr_workitem_id 0
		.amdhsa_next_free_vgpr 31
		.amdhsa_next_free_sgpr 23
		.amdhsa_named_barrier_count 0
		.amdhsa_reserve_vcc 1
		.amdhsa_float_round_mode_32 0
		.amdhsa_float_round_mode_16_64 0
		.amdhsa_float_denorm_mode_32 3
		.amdhsa_float_denorm_mode_16_64 3
		.amdhsa_fp16_overflow 0
		.amdhsa_memory_ordered 1
		.amdhsa_forward_progress 1
		.amdhsa_inst_pref_size 29
		.amdhsa_round_robin_scheduling 0
		.amdhsa_exception_fp_ieee_invalid_op 0
		.amdhsa_exception_fp_denorm_src 0
		.amdhsa_exception_fp_ieee_div_zero 0
		.amdhsa_exception_fp_ieee_overflow 0
		.amdhsa_exception_fp_ieee_underflow 0
		.amdhsa_exception_fp_ieee_inexact 0
		.amdhsa_exception_int_div_zero 0
	.end_amdhsa_kernel
	.section	.text._ZN2at6native12_GLOBAL__N_125multi_tensor_apply_kernelINS1_18TensorListMetadataILi1EEENS1_14UnaryOpFunctorIN3c104HalfELi1ELi1ELi0EEEJNS0_3ErfIfEEEEEvT_T0_DpT1_,"axG",@progbits,_ZN2at6native12_GLOBAL__N_125multi_tensor_apply_kernelINS1_18TensorListMetadataILi1EEENS1_14UnaryOpFunctorIN3c104HalfELi1ELi1ELi0EEEJNS0_3ErfIfEEEEEvT_T0_DpT1_,comdat
.Lfunc_end243:
	.size	_ZN2at6native12_GLOBAL__N_125multi_tensor_apply_kernelINS1_18TensorListMetadataILi1EEENS1_14UnaryOpFunctorIN3c104HalfELi1ELi1ELi0EEEJNS0_3ErfIfEEEEEvT_T0_DpT1_, .Lfunc_end243-_ZN2at6native12_GLOBAL__N_125multi_tensor_apply_kernelINS1_18TensorListMetadataILi1EEENS1_14UnaryOpFunctorIN3c104HalfELi1ELi1ELi0EEEJNS0_3ErfIfEEEEEvT_T0_DpT1_
                                        ; -- End function
	.set _ZN2at6native12_GLOBAL__N_125multi_tensor_apply_kernelINS1_18TensorListMetadataILi1EEENS1_14UnaryOpFunctorIN3c104HalfELi1ELi1ELi0EEEJNS0_3ErfIfEEEEEvT_T0_DpT1_.num_vgpr, 31
	.set _ZN2at6native12_GLOBAL__N_125multi_tensor_apply_kernelINS1_18TensorListMetadataILi1EEENS1_14UnaryOpFunctorIN3c104HalfELi1ELi1ELi0EEEJNS0_3ErfIfEEEEEvT_T0_DpT1_.num_agpr, 0
	.set _ZN2at6native12_GLOBAL__N_125multi_tensor_apply_kernelINS1_18TensorListMetadataILi1EEENS1_14UnaryOpFunctorIN3c104HalfELi1ELi1ELi0EEEJNS0_3ErfIfEEEEEvT_T0_DpT1_.numbered_sgpr, 23
	.set _ZN2at6native12_GLOBAL__N_125multi_tensor_apply_kernelINS1_18TensorListMetadataILi1EEENS1_14UnaryOpFunctorIN3c104HalfELi1ELi1ELi0EEEJNS0_3ErfIfEEEEEvT_T0_DpT1_.num_named_barrier, 0
	.set _ZN2at6native12_GLOBAL__N_125multi_tensor_apply_kernelINS1_18TensorListMetadataILi1EEENS1_14UnaryOpFunctorIN3c104HalfELi1ELi1ELi0EEEJNS0_3ErfIfEEEEEvT_T0_DpT1_.private_seg_size, 0
	.set _ZN2at6native12_GLOBAL__N_125multi_tensor_apply_kernelINS1_18TensorListMetadataILi1EEENS1_14UnaryOpFunctorIN3c104HalfELi1ELi1ELi0EEEJNS0_3ErfIfEEEEEvT_T0_DpT1_.uses_vcc, 1
	.set _ZN2at6native12_GLOBAL__N_125multi_tensor_apply_kernelINS1_18TensorListMetadataILi1EEENS1_14UnaryOpFunctorIN3c104HalfELi1ELi1ELi0EEEJNS0_3ErfIfEEEEEvT_T0_DpT1_.uses_flat_scratch, 0
	.set _ZN2at6native12_GLOBAL__N_125multi_tensor_apply_kernelINS1_18TensorListMetadataILi1EEENS1_14UnaryOpFunctorIN3c104HalfELi1ELi1ELi0EEEJNS0_3ErfIfEEEEEvT_T0_DpT1_.has_dyn_sized_stack, 0
	.set _ZN2at6native12_GLOBAL__N_125multi_tensor_apply_kernelINS1_18TensorListMetadataILi1EEENS1_14UnaryOpFunctorIN3c104HalfELi1ELi1ELi0EEEJNS0_3ErfIfEEEEEvT_T0_DpT1_.has_recursion, 0
	.set _ZN2at6native12_GLOBAL__N_125multi_tensor_apply_kernelINS1_18TensorListMetadataILi1EEENS1_14UnaryOpFunctorIN3c104HalfELi1ELi1ELi0EEEJNS0_3ErfIfEEEEEvT_T0_DpT1_.has_indirect_call, 0
	.section	.AMDGPU.csdata,"",@progbits
; Kernel info:
; codeLenInByte = 3708
; TotalNumSgprs: 25
; NumVgprs: 31
; ScratchSize: 0
; MemoryBound: 0
; FloatMode: 240
; IeeeMode: 1
; LDSByteSize: 0 bytes/workgroup (compile time only)
; SGPRBlocks: 0
; VGPRBlocks: 1
; NumSGPRsForWavesPerEU: 25
; NumVGPRsForWavesPerEU: 31
; NamedBarCnt: 0
; Occupancy: 16
; WaveLimiterHint : 0
; COMPUTE_PGM_RSRC2:SCRATCH_EN: 0
; COMPUTE_PGM_RSRC2:USER_SGPR: 2
; COMPUTE_PGM_RSRC2:TRAP_HANDLER: 0
; COMPUTE_PGM_RSRC2:TGID_X_EN: 1
; COMPUTE_PGM_RSRC2:TGID_Y_EN: 0
; COMPUTE_PGM_RSRC2:TGID_Z_EN: 0
; COMPUTE_PGM_RSRC2:TIDIG_COMP_CNT: 0
	.section	.text._ZN2at6native12_GLOBAL__N_125multi_tensor_apply_kernelINS1_18TensorListMetadataILi1EEENS1_14UnaryOpFunctorIN3c108BFloat16ELi1ELi1ELi0EEEJNS0_3ErfIfEEEEEvT_T0_DpT1_,"axG",@progbits,_ZN2at6native12_GLOBAL__N_125multi_tensor_apply_kernelINS1_18TensorListMetadataILi1EEENS1_14UnaryOpFunctorIN3c108BFloat16ELi1ELi1ELi0EEEJNS0_3ErfIfEEEEEvT_T0_DpT1_,comdat
	.globl	_ZN2at6native12_GLOBAL__N_125multi_tensor_apply_kernelINS1_18TensorListMetadataILi1EEENS1_14UnaryOpFunctorIN3c108BFloat16ELi1ELi1ELi0EEEJNS0_3ErfIfEEEEEvT_T0_DpT1_ ; -- Begin function _ZN2at6native12_GLOBAL__N_125multi_tensor_apply_kernelINS1_18TensorListMetadataILi1EEENS1_14UnaryOpFunctorIN3c108BFloat16ELi1ELi1ELi0EEEJNS0_3ErfIfEEEEEvT_T0_DpT1_
	.p2align	8
	.type	_ZN2at6native12_GLOBAL__N_125multi_tensor_apply_kernelINS1_18TensorListMetadataILi1EEENS1_14UnaryOpFunctorIN3c108BFloat16ELi1ELi1ELi0EEEJNS0_3ErfIfEEEEEvT_T0_DpT1_,@function
_ZN2at6native12_GLOBAL__N_125multi_tensor_apply_kernelINS1_18TensorListMetadataILi1EEENS1_14UnaryOpFunctorIN3c108BFloat16ELi1ELi1ELi0EEEJNS0_3ErfIfEEEEEvT_T0_DpT1_: ; @_ZN2at6native12_GLOBAL__N_125multi_tensor_apply_kernelINS1_18TensorListMetadataILi1EEENS1_14UnaryOpFunctorIN3c108BFloat16ELi1ELi1ELi0EEEJNS0_3ErfIfEEEEEvT_T0_DpT1_
; %bb.0:
	s_bfe_u32 s2, ttmp6, 0x4000c
	s_and_b32 s3, ttmp6, 15
	s_add_co_i32 s2, s2, 1
	s_getreg_b32 s4, hwreg(HW_REG_IB_STS2, 6, 4)
	s_mul_i32 s2, ttmp9, s2
	s_delay_alu instid0(SALU_CYCLE_1)
	s_add_co_i32 s3, s3, s2
	s_cmp_eq_u32 s4, 0
	s_cselect_b32 s2, ttmp9, s3
	s_mov_b32 s3, 0
	s_load_u8 s8, s[0:1], s2 offset:0x6e0
	s_add_nc_u64 s[4:5], s[0:1], s[2:3]
	s_mul_u64 s[6:7], s[2:3], 3
	s_delay_alu instid0(SALU_CYCLE_1)
	s_add_nc_u64 s[4:5], s[4:5], s[6:7]
	s_load_b32 s10, s[4:5], 0x820
	s_wait_kmcnt 0x0
	s_clause 0x1
	s_load_b64 s[6:7], s[0:1], s8 offset:0x0 scale_offset
	s_load_b64 s[12:13], s[0:1], s8 offset:0x370 scale_offset
	s_ashr_i32 s11, s10, 31
	s_wait_kmcnt 0x0
	s_and_b64 s[4:5], s[6:7], 7
	s_and_b32 s2, s12, 3
	s_lshl_b64 s[8:9], s[10:11], 17
	s_or_b64 s[2:3], s[4:5], s[2:3]
	s_lshl_b64 s[4:5], s[10:11], 16
	s_cmp_eq_u64 s[2:3], 0
	s_sub_nc_u64 s[10:11], s[12:13], s[4:5]
	s_cbranch_scc1 .LBB244_37
; %bb.1:
	v_cmp_lt_i64_e64 s2, s[10:11], 1
	s_and_b32 vcc_lo, exec_lo, s2
	s_cbranch_vccnz .LBB244_36
; %bb.2:
	s_load_b32 s2, s[0:1], 0xd3c
	v_min_i64 v[2:3], 0x10000, s[10:11]
	v_min_u64 v[4:5], 0x10000, s[10:11]
	v_dual_mov_b32 v1, 0 :: v_dual_lshlrev_b32 v8, 1, v0
	s_mov_b32 s3, 0
	s_add_nc_u64 s[4:5], s[6:7], s[8:9]
	s_mov_b32 s17, s3
	s_delay_alu instid0(VALU_DEP_1)
	v_mov_b32_e32 v15, v1
	s_mov_b32 s19, s3
	s_mov_b32 s13, s3
	;; [unrolled: 1-line block ×5, first 2 shown]
	s_wait_kmcnt 0x0
	s_and_b32 s2, s2, 0xffff
	s_delay_alu instid0(SALU_CYCLE_1)
	v_add_nc_u64_e32 v[6:7], s[2:3], v[0:1]
	v_mov_b32_e32 v9, v1
	s_lshl_b32 s16, s2, 1
	s_mul_i32 s18, s2, 3
	v_add_nc_u64_e32 v[12:13], s[16:17], v[0:1]
	v_add_nc_u64_e32 v[10:11], s[18:19], v[0:1]
	s_lshl_b32 s12, s2, 2
	v_lshlrev_b32_e32 v14, 1, v6
	v_add_nc_u64_e32 v[8:9], s[4:5], v[8:9]
	s_lshl_b32 s14, s2, 3
	s_mul_u64 s[16:17], s[2:3], 6
	s_mov_b64 s[18:19], 0
	v_add_nc_u64_e32 v[14:15], s[4:5], v[14:15]
	s_branch .LBB244_4
.LBB244_3:                              ;   in Loop: Header=BB244_4 Depth=1
	s_wait_xcnt 0x0
	s_or_b32 exec_lo, exec_lo, s2
	s_add_nc_u64 s[18:19], s[18:19], s[12:13]
	v_add_nc_u64_e32 v[8:9], s[14:15], v[8:9]
	v_cmp_ge_i64_e32 vcc_lo, s[18:19], v[2:3]
	v_add_nc_u64_e32 v[14:15], s[14:15], v[14:15]
	s_cbranch_vccnz .LBB244_36
.LBB244_4:                              ; =>This Inner Loop Header: Depth=1
	v_add_nc_u64_e32 v[16:17], s[18:19], v[0:1]
	v_mov_b32_e32 v21, 0
	s_delay_alu instid0(VALU_DEP_2)
	v_cmp_lt_u64_e64 s2, v[16:17], v[4:5]
	s_and_saveexec_b32 s3, s2
	s_cbranch_execz .LBB244_6
; %bb.5:                                ;   in Loop: Header=BB244_4 Depth=1
	global_load_u16 v16, v[8:9], off
	s_wait_loadcnt 0x0
	v_lshlrev_b32_e32 v21, 16, v16
.LBB244_6:                              ;   in Loop: Header=BB244_4 Depth=1
	s_wait_xcnt 0x0
	s_or_b32 exec_lo, exec_lo, s3
	v_add_nc_u64_e32 v[16:17], s[18:19], v[6:7]
	v_dual_mov_b32 v20, 0 :: v_dual_mov_b32 v22, 0
	s_delay_alu instid0(VALU_DEP_2)
	v_cmp_lt_u64_e32 vcc_lo, v[16:17], v[4:5]
	s_and_saveexec_b32 s3, vcc_lo
	s_cbranch_execz .LBB244_8
; %bb.7:                                ;   in Loop: Header=BB244_4 Depth=1
	global_load_u16 v16, v[14:15], off
	s_wait_loadcnt 0x0
	v_lshlrev_b32_e32 v22, 16, v16
.LBB244_8:                              ;   in Loop: Header=BB244_4 Depth=1
	s_wait_xcnt 0x0
	s_or_b32 exec_lo, exec_lo, s3
	v_add_nc_u64_e32 v[16:17], s[18:19], v[12:13]
	s_delay_alu instid0(VALU_DEP_1)
	v_cmp_lt_u64_e64 s3, v[16:17], v[4:5]
	v_add_nc_u64_e32 v[16:17], s[12:13], v[8:9]
	s_and_saveexec_b32 s4, s3
	s_cbranch_execz .LBB244_10
; %bb.9:                                ;   in Loop: Header=BB244_4 Depth=1
	global_load_u16 v18, v[16:17], off
	s_wait_loadcnt 0x0
	v_lshlrev_b32_e32 v20, 16, v18
.LBB244_10:                             ;   in Loop: Header=BB244_4 Depth=1
	s_wait_xcnt 0x0
	s_or_b32 exec_lo, exec_lo, s4
	v_add_nc_u64_e32 v[18:19], s[18:19], v[10:11]
	v_mov_b32_e32 v23, 0
	s_delay_alu instid0(VALU_DEP_2)
	v_cmp_lt_u64_e64 s4, v[18:19], v[4:5]
	v_add_nc_u64_e32 v[18:19], s[16:17], v[8:9]
	s_and_saveexec_b32 s5, s4
	s_cbranch_execz .LBB244_12
; %bb.11:                               ;   in Loop: Header=BB244_4 Depth=1
	global_load_u16 v23, v[18:19], off
	s_wait_loadcnt 0x0
	v_lshlrev_b32_e32 v23, 16, v23
.LBB244_12:                             ;   in Loop: Header=BB244_4 Depth=1
	s_wait_xcnt 0x0
	s_or_b32 exec_lo, exec_lo, s5
	s_delay_alu instid0(SALU_CYCLE_1)
	s_mov_b32 s22, exec_lo
                                        ; implicit-def: $vgpr24
	v_cmpx_nlt_f32_e64 |v21|, 1.0
	s_xor_b32 s22, exec_lo, s22
	s_cbranch_execz .LBB244_14
; %bb.13:                               ;   in Loop: Header=BB244_4 Depth=1
	v_fma_f32 v24, |v21|, s20, 0xb9c68948
	s_delay_alu instid0(VALU_DEP_1) | instskip(NEXT) | instid1(VALU_DEP_1)
	v_fma_f32 v24, |v21|, v24, 0x3b7cd369
	v_fma_f32 v24, |v21|, v24, 0xbcc618b2
	s_delay_alu instid0(VALU_DEP_1) | instskip(NEXT) | instid1(VALU_DEP_1)
	v_fma_f32 v24, |v21|, v24, 0x3dda74e4
	;; [unrolled: 3-line block ×3, first 2 shown]
	v_fma_f32 v24, |v21|, v24, |v21|
	s_delay_alu instid0(VALU_DEP_1) | instskip(SKIP_1) | instid1(VALU_DEP_2)
	v_mul_f32_e32 v25, 0xbfb8aa3b, v24
	v_cmp_nlt_f32_e64 s5, 0x42ce8ed0, v24
	v_fma_f32 v26, 0xbfb8aa3b, v24, -v25
	v_rndne_f32_e32 v27, v25
	s_delay_alu instid0(VALU_DEP_1) | instskip(NEXT) | instid1(VALU_DEP_1)
	v_dual_fmac_f32 v26, 0xb2a5705f, v24 :: v_dual_sub_f32 v25, v25, v27
	v_add_f32_e32 v25, v25, v26
	v_cvt_i32_f32_e32 v26, v27
	s_delay_alu instid0(VALU_DEP_2) | instskip(SKIP_1) | instid1(TRANS32_DEP_1)
	v_exp_f32_e32 v25, v25
	v_nop
	v_ldexp_f32 v25, v25, v26
	s_delay_alu instid0(VALU_DEP_1) | instskip(SKIP_1) | instid1(VALU_DEP_1)
	v_cndmask_b32_e64 v25, 0, v25, s5
	v_cmp_ngt_f32_e64 s5, 0xc2b17218, v24
	v_cndmask_b32_e64 v24, 0x7f800000, v25, s5
	s_delay_alu instid0(VALU_DEP_1)
	v_sub_f32_e32 v24, 1.0, v24
.LBB244_14:                             ;   in Loop: Header=BB244_4 Depth=1
	s_and_not1_saveexec_b32 s5, s22
	s_cbranch_execz .LBB244_16
; %bb.15:                               ;   in Loop: Header=BB244_4 Depth=1
	v_mul_f32_e32 v24, v21, v21
	s_delay_alu instid0(VALU_DEP_1) | instskip(NEXT) | instid1(VALU_DEP_1)
	v_fmaak_f32 v25, s21, v24, 0x3ba10414
	v_fmaak_f32 v25, v24, v25, 0xbcdac9b8
	s_delay_alu instid0(VALU_DEP_1) | instskip(NEXT) | instid1(VALU_DEP_1)
	v_fmaak_f32 v25, v24, v25, 0x3de703be
	v_fmaak_f32 v25, v24, v25, 0xbec09330
	s_delay_alu instid0(VALU_DEP_1) | instskip(NEXT) | instid1(VALU_DEP_1)
	v_fmaak_f32 v24, v24, v25, 0x3e0375d0
	v_fma_f32 v24, |v21|, v24, |v21|
.LBB244_16:                             ;   in Loop: Header=BB244_4 Depth=1
	s_or_b32 exec_lo, exec_lo, s5
	s_delay_alu instid0(SALU_CYCLE_1)
	s_mov_b32 s22, exec_lo
                                        ; implicit-def: $vgpr25
	v_cmpx_nlt_f32_e64 |v22|, 1.0
	s_xor_b32 s22, exec_lo, s22
	s_cbranch_execz .LBB244_18
; %bb.17:                               ;   in Loop: Header=BB244_4 Depth=1
	v_fma_f32 v25, |v22|, s20, 0xb9c68948
	s_delay_alu instid0(VALU_DEP_1) | instskip(NEXT) | instid1(VALU_DEP_1)
	v_fma_f32 v25, |v22|, v25, 0x3b7cd369
	v_fma_f32 v25, |v22|, v25, 0xbcc618b2
	s_delay_alu instid0(VALU_DEP_1) | instskip(NEXT) | instid1(VALU_DEP_1)
	v_fma_f32 v25, |v22|, v25, 0x3dda74e4
	;; [unrolled: 3-line block ×3, first 2 shown]
	v_fma_f32 v25, |v22|, v25, |v22|
	s_delay_alu instid0(VALU_DEP_1) | instskip(SKIP_1) | instid1(VALU_DEP_2)
	v_mul_f32_e32 v26, 0xbfb8aa3b, v25
	v_cmp_nlt_f32_e64 s5, 0x42ce8ed0, v25
	v_fma_f32 v27, 0xbfb8aa3b, v25, -v26
	v_rndne_f32_e32 v28, v26
	s_delay_alu instid0(VALU_DEP_1) | instskip(NEXT) | instid1(VALU_DEP_1)
	v_dual_fmac_f32 v27, 0xb2a5705f, v25 :: v_dual_sub_f32 v26, v26, v28
	v_add_f32_e32 v26, v26, v27
	v_cvt_i32_f32_e32 v27, v28
	s_delay_alu instid0(VALU_DEP_2) | instskip(SKIP_1) | instid1(TRANS32_DEP_1)
	v_exp_f32_e32 v26, v26
	v_nop
	v_ldexp_f32 v26, v26, v27
	s_delay_alu instid0(VALU_DEP_1) | instskip(SKIP_1) | instid1(VALU_DEP_1)
	v_cndmask_b32_e64 v26, 0, v26, s5
	v_cmp_ngt_f32_e64 s5, 0xc2b17218, v25
	v_cndmask_b32_e64 v25, 0x7f800000, v26, s5
	s_delay_alu instid0(VALU_DEP_1)
	v_sub_f32_e32 v25, 1.0, v25
.LBB244_18:                             ;   in Loop: Header=BB244_4 Depth=1
	s_and_not1_saveexec_b32 s5, s22
	s_cbranch_execz .LBB244_20
; %bb.19:                               ;   in Loop: Header=BB244_4 Depth=1
	v_mul_f32_e32 v25, v22, v22
	s_delay_alu instid0(VALU_DEP_1) | instskip(NEXT) | instid1(VALU_DEP_1)
	v_fmaak_f32 v26, s21, v25, 0x3ba10414
	v_fmaak_f32 v26, v25, v26, 0xbcdac9b8
	s_delay_alu instid0(VALU_DEP_1) | instskip(NEXT) | instid1(VALU_DEP_1)
	v_fmaak_f32 v26, v25, v26, 0x3de703be
	v_fmaak_f32 v26, v25, v26, 0xbec09330
	s_delay_alu instid0(VALU_DEP_1) | instskip(NEXT) | instid1(VALU_DEP_1)
	v_fmaak_f32 v25, v25, v26, 0x3e0375d0
	v_fma_f32 v25, |v22|, v25, |v22|
.LBB244_20:                             ;   in Loop: Header=BB244_4 Depth=1
	s_or_b32 exec_lo, exec_lo, s5
	s_delay_alu instid0(SALU_CYCLE_1)
	s_mov_b32 s22, exec_lo
                                        ; implicit-def: $vgpr26
	v_cmpx_nlt_f32_e64 |v20|, 1.0
	s_xor_b32 s22, exec_lo, s22
	s_cbranch_execz .LBB244_22
; %bb.21:                               ;   in Loop: Header=BB244_4 Depth=1
	v_fma_f32 v26, |v20|, s20, 0xb9c68948
	s_delay_alu instid0(VALU_DEP_1) | instskip(NEXT) | instid1(VALU_DEP_1)
	v_fma_f32 v26, |v20|, v26, 0x3b7cd369
	v_fma_f32 v26, |v20|, v26, 0xbcc618b2
	s_delay_alu instid0(VALU_DEP_1) | instskip(NEXT) | instid1(VALU_DEP_1)
	v_fma_f32 v26, |v20|, v26, 0x3dda74e4
	;; [unrolled: 3-line block ×3, first 2 shown]
	v_fma_f32 v26, |v20|, v26, |v20|
	s_delay_alu instid0(VALU_DEP_1) | instskip(SKIP_1) | instid1(VALU_DEP_2)
	v_mul_f32_e32 v27, 0xbfb8aa3b, v26
	v_cmp_nlt_f32_e64 s5, 0x42ce8ed0, v26
	v_fma_f32 v28, 0xbfb8aa3b, v26, -v27
	v_rndne_f32_e32 v29, v27
	s_delay_alu instid0(VALU_DEP_1) | instskip(NEXT) | instid1(VALU_DEP_1)
	v_dual_fmac_f32 v28, 0xb2a5705f, v26 :: v_dual_sub_f32 v27, v27, v29
	v_add_f32_e32 v27, v27, v28
	v_cvt_i32_f32_e32 v28, v29
	s_delay_alu instid0(VALU_DEP_2) | instskip(SKIP_1) | instid1(TRANS32_DEP_1)
	v_exp_f32_e32 v27, v27
	v_nop
	v_ldexp_f32 v27, v27, v28
	s_delay_alu instid0(VALU_DEP_1) | instskip(SKIP_1) | instid1(VALU_DEP_1)
	v_cndmask_b32_e64 v27, 0, v27, s5
	v_cmp_ngt_f32_e64 s5, 0xc2b17218, v26
	v_cndmask_b32_e64 v26, 0x7f800000, v27, s5
	s_delay_alu instid0(VALU_DEP_1)
	v_sub_f32_e32 v26, 1.0, v26
.LBB244_22:                             ;   in Loop: Header=BB244_4 Depth=1
	s_and_not1_saveexec_b32 s5, s22
	s_cbranch_execz .LBB244_24
; %bb.23:                               ;   in Loop: Header=BB244_4 Depth=1
	v_mul_f32_e32 v26, v20, v20
	s_delay_alu instid0(VALU_DEP_1) | instskip(NEXT) | instid1(VALU_DEP_1)
	v_fmaak_f32 v27, s21, v26, 0x3ba10414
	v_fmaak_f32 v27, v26, v27, 0xbcdac9b8
	s_delay_alu instid0(VALU_DEP_1) | instskip(NEXT) | instid1(VALU_DEP_1)
	v_fmaak_f32 v27, v26, v27, 0x3de703be
	v_fmaak_f32 v27, v26, v27, 0xbec09330
	s_delay_alu instid0(VALU_DEP_1) | instskip(NEXT) | instid1(VALU_DEP_1)
	v_fmaak_f32 v26, v26, v27, 0x3e0375d0
	v_fma_f32 v26, |v20|, v26, |v20|
.LBB244_24:                             ;   in Loop: Header=BB244_4 Depth=1
	s_or_b32 exec_lo, exec_lo, s5
	s_delay_alu instid0(SALU_CYCLE_1)
	s_mov_b32 s22, exec_lo
                                        ; implicit-def: $vgpr27
	v_cmpx_nlt_f32_e64 |v23|, 1.0
	s_xor_b32 s22, exec_lo, s22
	s_cbranch_execnz .LBB244_30
; %bb.25:                               ;   in Loop: Header=BB244_4 Depth=1
	s_and_not1_saveexec_b32 s5, s22
	s_cbranch_execnz .LBB244_31
.LBB244_26:                             ;   in Loop: Header=BB244_4 Depth=1
	s_or_b32 exec_lo, exec_lo, s5
	s_and_saveexec_b32 s5, s2
	s_delay_alu instid0(SALU_CYCLE_1)
	s_xor_b32 s5, exec_lo, s5
	s_cbranch_execnz .LBB244_32
.LBB244_27:                             ;   in Loop: Header=BB244_4 Depth=1
	s_or_b32 exec_lo, exec_lo, s5
	s_and_saveexec_b32 s2, vcc_lo
	s_cbranch_execnz .LBB244_33
.LBB244_28:                             ;   in Loop: Header=BB244_4 Depth=1
	s_or_b32 exec_lo, exec_lo, s2
	s_and_saveexec_b32 s2, s3
	s_cbranch_execnz .LBB244_34
.LBB244_29:                             ;   in Loop: Header=BB244_4 Depth=1
	s_or_b32 exec_lo, exec_lo, s2
	s_and_saveexec_b32 s2, s4
	s_cbranch_execz .LBB244_3
	s_branch .LBB244_35
.LBB244_30:                             ;   in Loop: Header=BB244_4 Depth=1
	v_fma_f32 v27, |v23|, s20, 0xb9c68948
	s_delay_alu instid0(VALU_DEP_1) | instskip(NEXT) | instid1(VALU_DEP_1)
	v_fma_f32 v27, |v23|, v27, 0x3b7cd369
	v_fma_f32 v27, |v23|, v27, 0xbcc618b2
	s_delay_alu instid0(VALU_DEP_1) | instskip(NEXT) | instid1(VALU_DEP_1)
	v_fma_f32 v27, |v23|, v27, 0x3dda74e4
	;; [unrolled: 3-line block ×3, first 2 shown]
	v_fma_f32 v27, |v23|, v27, |v23|
	s_delay_alu instid0(VALU_DEP_1) | instskip(SKIP_1) | instid1(VALU_DEP_2)
	v_mul_f32_e32 v28, 0xbfb8aa3b, v27
	v_cmp_nlt_f32_e64 s5, 0x42ce8ed0, v27
	v_fma_f32 v29, 0xbfb8aa3b, v27, -v28
	v_rndne_f32_e32 v30, v28
	s_delay_alu instid0(VALU_DEP_1) | instskip(NEXT) | instid1(VALU_DEP_1)
	v_dual_fmac_f32 v29, 0xb2a5705f, v27 :: v_dual_sub_f32 v28, v28, v30
	v_add_f32_e32 v28, v28, v29
	v_cvt_i32_f32_e32 v29, v30
	s_delay_alu instid0(VALU_DEP_2) | instskip(SKIP_1) | instid1(TRANS32_DEP_1)
	v_exp_f32_e32 v28, v28
	v_nop
	v_ldexp_f32 v28, v28, v29
	s_delay_alu instid0(VALU_DEP_1) | instskip(SKIP_1) | instid1(VALU_DEP_1)
	v_cndmask_b32_e64 v28, 0, v28, s5
	v_cmp_ngt_f32_e64 s5, 0xc2b17218, v27
	v_cndmask_b32_e64 v27, 0x7f800000, v28, s5
	s_delay_alu instid0(VALU_DEP_1)
	v_sub_f32_e32 v27, 1.0, v27
	s_and_not1_saveexec_b32 s5, s22
	s_cbranch_execz .LBB244_26
.LBB244_31:                             ;   in Loop: Header=BB244_4 Depth=1
	v_mul_f32_e32 v27, v23, v23
	s_delay_alu instid0(VALU_DEP_1) | instskip(NEXT) | instid1(VALU_DEP_1)
	v_fmaak_f32 v28, s21, v27, 0x3ba10414
	v_fmaak_f32 v28, v27, v28, 0xbcdac9b8
	s_delay_alu instid0(VALU_DEP_1) | instskip(NEXT) | instid1(VALU_DEP_1)
	v_fmaak_f32 v28, v27, v28, 0x3de703be
	v_fmaak_f32 v28, v27, v28, 0xbec09330
	s_delay_alu instid0(VALU_DEP_1) | instskip(NEXT) | instid1(VALU_DEP_1)
	v_fmaak_f32 v27, v27, v28, 0x3e0375d0
	v_fma_f32 v27, |v23|, v27, |v23|
	s_or_b32 exec_lo, exec_lo, s5
	s_and_saveexec_b32 s5, s2
	s_delay_alu instid0(SALU_CYCLE_1)
	s_xor_b32 s5, exec_lo, s5
	s_cbranch_execz .LBB244_27
.LBB244_32:                             ;   in Loop: Header=BB244_4 Depth=1
	v_bfi_b32 v21, 0x7fffffff, v24, v21
	s_delay_alu instid0(VALU_DEP_1) | instskip(SKIP_1) | instid1(VALU_DEP_2)
	v_bfe_u32 v24, v21, 16, 1
	v_cmp_o_f32_e64 s2, v21, v21
	v_add3_u32 v24, v21, v24, 0x7fff
	s_delay_alu instid0(VALU_DEP_1) | instskip(NEXT) | instid1(VALU_DEP_1)
	v_lshrrev_b32_e32 v24, 16, v24
	v_cndmask_b32_e64 v21, 0x7fc0, v24, s2
	global_store_b16 v[8:9], v21, off
	s_wait_xcnt 0x0
	s_or_b32 exec_lo, exec_lo, s5
	s_and_saveexec_b32 s2, vcc_lo
	s_cbranch_execz .LBB244_28
.LBB244_33:                             ;   in Loop: Header=BB244_4 Depth=1
	v_bfi_b32 v21, 0x7fffffff, v25, v22
	s_delay_alu instid0(VALU_DEP_1) | instskip(SKIP_1) | instid1(VALU_DEP_2)
	v_bfe_u32 v22, v21, 16, 1
	v_cmp_o_f32_e32 vcc_lo, v21, v21
	v_add3_u32 v22, v21, v22, 0x7fff
	s_delay_alu instid0(VALU_DEP_1) | instskip(NEXT) | instid1(VALU_DEP_1)
	v_lshrrev_b32_e32 v22, 16, v22
	v_cndmask_b32_e32 v21, 0x7fc0, v22, vcc_lo
	global_store_b16 v[14:15], v21, off
	s_wait_xcnt 0x0
	s_or_b32 exec_lo, exec_lo, s2
	s_and_saveexec_b32 s2, s3
	s_cbranch_execz .LBB244_29
.LBB244_34:                             ;   in Loop: Header=BB244_4 Depth=1
	v_bfi_b32 v20, 0x7fffffff, v26, v20
	s_delay_alu instid0(VALU_DEP_1) | instskip(SKIP_1) | instid1(VALU_DEP_2)
	v_bfe_u32 v21, v20, 16, 1
	v_cmp_o_f32_e32 vcc_lo, v20, v20
	v_add3_u32 v21, v20, v21, 0x7fff
	s_delay_alu instid0(VALU_DEP_1) | instskip(NEXT) | instid1(VALU_DEP_1)
	v_lshrrev_b32_e32 v21, 16, v21
	v_cndmask_b32_e32 v20, 0x7fc0, v21, vcc_lo
	global_store_b16 v[16:17], v20, off
	s_wait_xcnt 0x0
	s_or_b32 exec_lo, exec_lo, s2
	s_and_saveexec_b32 s2, s4
	s_cbranch_execz .LBB244_3
.LBB244_35:                             ;   in Loop: Header=BB244_4 Depth=1
	v_bfi_b32 v16, 0x7fffffff, v27, v23
	s_delay_alu instid0(VALU_DEP_1) | instskip(SKIP_1) | instid1(VALU_DEP_2)
	v_bfe_u32 v17, v16, 16, 1
	v_cmp_o_f32_e32 vcc_lo, v16, v16
	v_add3_u32 v17, v16, v17, 0x7fff
	s_delay_alu instid0(VALU_DEP_1) | instskip(NEXT) | instid1(VALU_DEP_1)
	v_lshrrev_b32_e32 v17, 16, v17
	v_cndmask_b32_e32 v16, 0x7fc0, v17, vcc_lo
	global_store_b16 v[18:19], v16, off
	s_branch .LBB244_3
.LBB244_36:
	s_cbranch_execz .LBB244_38
	s_branch .LBB244_57
.LBB244_37:
.LBB244_38:
	v_min_i64 v[2:3], 0x10000, s[10:11]
	v_dual_mov_b32 v5, 0 :: v_dual_lshlrev_b32 v4, 2, v0
	s_mov_b32 s2, exec_lo
	s_delay_alu instid0(VALU_DEP_1)
	v_cmpx_lt_i64_e64 v[4:5], v[2:3]
	s_cbranch_execz .LBB244_57
; %bb.39:
	s_load_b32 s0, s[0:1], 0xd3c
	v_dual_mov_b32 v1, v5 :: v_dual_lshlrev_b32 v4, 3, v0
	s_add_nc_u64 s[2:3], s[6:7], s[8:9]
	s_wait_xcnt 0x0
	s_mov_b32 s1, 0
	s_mov_b32 s4, 0x378e98ab
	v_add_nc_u64_e32 v[4:5], s[2:3], v[4:5]
	s_mov_b32 s5, 0xba1345e1
	s_mov_b32 s3, s1
	;; [unrolled: 1-line block ×3, first 2 shown]
	s_wait_kmcnt 0x0
	s_and_b32 s0, s0, 0xffff
	s_delay_alu instid0(SALU_CYCLE_1)
	s_lshl_b32 s2, s0, 3
	s_branch .LBB244_41
.LBB244_40:                             ;   in Loop: Header=BB244_41 Depth=1
	s_or_b32 exec_lo, exec_lo, s7
	v_bfi_b32 v10, 0x7fffffff, v11, v10
	v_bfi_b32 v6, 0x7fffffff, v12, v6
	;; [unrolled: 1-line block ×4, first 2 shown]
	v_add_nc_u64_e32 v[0:1], s[0:1], v[0:1]
	v_bfe_u32 v9, v10, 16, 1
	v_bfe_u32 v11, v6, 16, 1
	v_bfe_u32 v12, v8, 16, 1
	v_bfe_u32 v13, v7, 16, 1
	v_cmp_o_f32_e32 vcc_lo, v10, v10
	v_add3_u32 v9, v10, v9, 0x7fff
	v_add3_u32 v11, v6, v11, 0x7fff
	;; [unrolled: 1-line block ×4, first 2 shown]
	s_delay_alu instid0(VALU_DEP_4) | instskip(NEXT) | instid1(VALU_DEP_3)
	v_and_b32_e32 v9, 0xffff0000, v9
	v_dual_lshrrev_b32 v11, 16, v11 :: v_dual_lshrrev_b32 v12, 16, v12
	s_delay_alu instid0(VALU_DEP_3) | instskip(NEXT) | instid1(VALU_DEP_3)
	v_and_b32_e32 v13, 0xffff0000, v13
	v_cndmask_b32_e32 v9, 0x7fc00000, v9, vcc_lo
	v_cmp_o_f32_e32 vcc_lo, v8, v8
	s_delay_alu instid0(VALU_DEP_4) | instskip(SKIP_1) | instid1(VALU_DEP_2)
	v_cndmask_b32_e32 v8, 0x7fc0, v12, vcc_lo
	v_cmp_o_f32_e32 vcc_lo, v7, v7
	v_or_b32_e32 v8, v9, v8
	v_cndmask_b32_e32 v10, 0x7fc00000, v13, vcc_lo
	v_cmp_o_f32_e32 vcc_lo, v6, v6
	v_lshlrev_b64_e32 v[6:7], 2, v[0:1]
	s_delay_alu instid0(VALU_DEP_4) | instskip(SKIP_1) | instid1(VALU_DEP_3)
	v_or3_b32 v8, v8, 0, 0
	v_cndmask_b32_e32 v11, 0x7fc0, v11, vcc_lo
	v_cmp_ge_i64_e32 vcc_lo, v[6:7], v[2:3]
	s_delay_alu instid0(VALU_DEP_2)
	v_or3_b32 v9, 0, v11, v10
	s_or_b32 s6, vcc_lo, s6
	global_store_b64 v[4:5], v[8:9], off
	s_wait_xcnt 0x0
	v_add_nc_u64_e32 v[4:5], s[2:3], v[4:5]
	s_and_not1_b32 exec_lo, exec_lo, s6
	s_cbranch_execz .LBB244_57
.LBB244_41:                             ; =>This Inner Loop Header: Depth=1
	global_load_b64 v[6:7], v[4:5], off
                                        ; implicit-def: $vgpr9
	s_wait_loadcnt 0x0
	v_lshlrev_b32_e32 v8, 16, v6
	s_delay_alu instid0(VALU_DEP_1) | instskip(SKIP_2) | instid1(SALU_CYCLE_1)
	v_cmp_nlt_f32_e64 s7, |v8|, 1.0
	s_wait_xcnt 0x0
	s_and_saveexec_b32 s8, s7
	s_xor_b32 s7, exec_lo, s8
	s_cbranch_execz .LBB244_43
; %bb.42:                               ;   in Loop: Header=BB244_41 Depth=1
	v_fma_f32 v9, |v8|, s4, 0xb9c68948
	s_delay_alu instid0(VALU_DEP_1) | instskip(NEXT) | instid1(VALU_DEP_1)
	v_fma_f32 v9, |v8|, v9, 0x3b7cd369
	v_fma_f32 v9, |v8|, v9, 0xbcc618b2
	s_delay_alu instid0(VALU_DEP_1) | instskip(NEXT) | instid1(VALU_DEP_1)
	v_fma_f32 v9, |v8|, v9, 0x3dda74e4
	;; [unrolled: 3-line block ×3, first 2 shown]
	v_fma_f32 v9, |v8|, v9, |v8|
	s_delay_alu instid0(VALU_DEP_1) | instskip(SKIP_1) | instid1(VALU_DEP_2)
	v_mul_f32_e32 v10, 0xbfb8aa3b, v9
	v_cmp_nlt_f32_e32 vcc_lo, 0x42ce8ed0, v9
	v_fma_f32 v11, 0xbfb8aa3b, v9, -v10
	v_rndne_f32_e32 v12, v10
	s_delay_alu instid0(VALU_DEP_1) | instskip(NEXT) | instid1(VALU_DEP_1)
	v_dual_fmac_f32 v11, 0xb2a5705f, v9 :: v_dual_sub_f32 v10, v10, v12
	v_add_f32_e32 v10, v10, v11
	v_cvt_i32_f32_e32 v11, v12
	s_delay_alu instid0(VALU_DEP_2) | instskip(SKIP_1) | instid1(TRANS32_DEP_1)
	v_exp_f32_e32 v10, v10
	v_nop
	v_ldexp_f32 v10, v10, v11
	s_delay_alu instid0(VALU_DEP_1) | instskip(SKIP_1) | instid1(VALU_DEP_2)
	v_cndmask_b32_e32 v10, 0, v10, vcc_lo
	v_cmp_ngt_f32_e32 vcc_lo, 0xc2b17218, v9
	v_cndmask_b32_e32 v9, 0x7f800000, v10, vcc_lo
	s_delay_alu instid0(VALU_DEP_1)
	v_sub_f32_e32 v9, 1.0, v9
.LBB244_43:                             ;   in Loop: Header=BB244_41 Depth=1
	s_and_not1_saveexec_b32 s7, s7
	s_cbranch_execz .LBB244_45
; %bb.44:                               ;   in Loop: Header=BB244_41 Depth=1
	v_mul_f32_e32 v9, v8, v8
	s_delay_alu instid0(VALU_DEP_1) | instskip(NEXT) | instid1(VALU_DEP_1)
	v_fmaak_f32 v10, s5, v9, 0x3ba10414
	v_fmaak_f32 v10, v9, v10, 0xbcdac9b8
	s_delay_alu instid0(VALU_DEP_1) | instskip(NEXT) | instid1(VALU_DEP_1)
	v_fmaak_f32 v10, v9, v10, 0x3de703be
	v_fmaak_f32 v10, v9, v10, 0xbec09330
	s_delay_alu instid0(VALU_DEP_1) | instskip(NEXT) | instid1(VALU_DEP_1)
	v_fmaak_f32 v9, v9, v10, 0x3e0375d0
	v_fma_f32 v9, |v8|, v9, |v8|
.LBB244_45:                             ;   in Loop: Header=BB244_41 Depth=1
	s_or_b32 exec_lo, exec_lo, s7
	v_and_b32_e32 v10, 0xffff0000, v6
                                        ; implicit-def: $vgpr11
	s_delay_alu instid0(VALU_DEP_1) | instskip(SKIP_1) | instid1(SALU_CYCLE_1)
	v_cmp_nlt_f32_e64 s7, |v10|, 1.0
	s_and_saveexec_b32 s8, s7
	s_xor_b32 s7, exec_lo, s8
	s_cbranch_execz .LBB244_47
; %bb.46:                               ;   in Loop: Header=BB244_41 Depth=1
	v_fma_f32 v11, |v10|, s4, 0xb9c68948
	s_delay_alu instid0(VALU_DEP_1) | instskip(NEXT) | instid1(VALU_DEP_1)
	v_fma_f32 v11, |v10|, v11, 0x3b7cd369
	v_fma_f32 v11, |v10|, v11, 0xbcc618b2
	s_delay_alu instid0(VALU_DEP_1) | instskip(NEXT) | instid1(VALU_DEP_1)
	v_fma_f32 v11, |v10|, v11, 0x3dda74e4
	;; [unrolled: 3-line block ×3, first 2 shown]
	v_fma_f32 v11, |v10|, v11, |v10|
	s_delay_alu instid0(VALU_DEP_1) | instskip(SKIP_1) | instid1(VALU_DEP_2)
	v_mul_f32_e32 v12, 0xbfb8aa3b, v11
	v_cmp_nlt_f32_e32 vcc_lo, 0x42ce8ed0, v11
	v_fma_f32 v13, 0xbfb8aa3b, v11, -v12
	v_rndne_f32_e32 v14, v12
	s_delay_alu instid0(VALU_DEP_1) | instskip(NEXT) | instid1(VALU_DEP_1)
	v_dual_fmac_f32 v13, 0xb2a5705f, v11 :: v_dual_sub_f32 v12, v12, v14
	v_add_f32_e32 v12, v12, v13
	v_cvt_i32_f32_e32 v13, v14
	s_delay_alu instid0(VALU_DEP_2) | instskip(SKIP_1) | instid1(TRANS32_DEP_1)
	v_exp_f32_e32 v12, v12
	v_nop
	v_ldexp_f32 v12, v12, v13
	s_delay_alu instid0(VALU_DEP_1) | instskip(SKIP_1) | instid1(VALU_DEP_2)
	v_cndmask_b32_e32 v12, 0, v12, vcc_lo
	v_cmp_ngt_f32_e32 vcc_lo, 0xc2b17218, v11
	v_cndmask_b32_e32 v11, 0x7f800000, v12, vcc_lo
	s_delay_alu instid0(VALU_DEP_1)
	v_sub_f32_e32 v11, 1.0, v11
.LBB244_47:                             ;   in Loop: Header=BB244_41 Depth=1
	s_and_not1_saveexec_b32 s7, s7
	s_cbranch_execz .LBB244_49
; %bb.48:                               ;   in Loop: Header=BB244_41 Depth=1
	v_mul_f32_e32 v11, v10, v10
	s_delay_alu instid0(VALU_DEP_1) | instskip(NEXT) | instid1(VALU_DEP_1)
	v_fmaak_f32 v12, s5, v11, 0x3ba10414
	v_fmaak_f32 v12, v11, v12, 0xbcdac9b8
	s_delay_alu instid0(VALU_DEP_1) | instskip(NEXT) | instid1(VALU_DEP_1)
	v_fmaak_f32 v12, v11, v12, 0x3de703be
	v_fmaak_f32 v12, v11, v12, 0xbec09330
	s_delay_alu instid0(VALU_DEP_1) | instskip(NEXT) | instid1(VALU_DEP_1)
	v_fmaak_f32 v11, v11, v12, 0x3e0375d0
	v_fma_f32 v11, |v10|, v11, |v10|
.LBB244_49:                             ;   in Loop: Header=BB244_41 Depth=1
	s_or_b32 exec_lo, exec_lo, s7
	v_alignbit_b32 v6, v7, v6, 16
                                        ; implicit-def: $vgpr12
	s_delay_alu instid0(VALU_DEP_1) | instskip(NEXT) | instid1(VALU_DEP_1)
	v_and_b32_e32 v6, 0xffff0000, v6
	v_cmp_nlt_f32_e64 s7, |v6|, 1.0
	s_and_saveexec_b32 s8, s7
	s_delay_alu instid0(SALU_CYCLE_1)
	s_xor_b32 s7, exec_lo, s8
	s_cbranch_execz .LBB244_51
; %bb.50:                               ;   in Loop: Header=BB244_41 Depth=1
	v_fma_f32 v12, |v6|, s4, 0xb9c68948
	s_delay_alu instid0(VALU_DEP_1) | instskip(NEXT) | instid1(VALU_DEP_1)
	v_fma_f32 v12, |v6|, v12, 0x3b7cd369
	v_fma_f32 v12, |v6|, v12, 0xbcc618b2
	s_delay_alu instid0(VALU_DEP_1) | instskip(NEXT) | instid1(VALU_DEP_1)
	v_fma_f32 v12, |v6|, v12, 0x3dda74e4
	;; [unrolled: 3-line block ×3, first 2 shown]
	v_fma_f32 v12, |v6|, v12, |v6|
	s_delay_alu instid0(VALU_DEP_1) | instskip(SKIP_1) | instid1(VALU_DEP_2)
	v_mul_f32_e32 v13, 0xbfb8aa3b, v12
	v_cmp_nlt_f32_e32 vcc_lo, 0x42ce8ed0, v12
	v_fma_f32 v14, 0xbfb8aa3b, v12, -v13
	v_rndne_f32_e32 v15, v13
	s_delay_alu instid0(VALU_DEP_1) | instskip(NEXT) | instid1(VALU_DEP_1)
	v_dual_fmac_f32 v14, 0xb2a5705f, v12 :: v_dual_sub_f32 v13, v13, v15
	v_add_f32_e32 v13, v13, v14
	v_cvt_i32_f32_e32 v14, v15
	s_delay_alu instid0(VALU_DEP_2) | instskip(SKIP_1) | instid1(TRANS32_DEP_1)
	v_exp_f32_e32 v13, v13
	v_nop
	v_ldexp_f32 v13, v13, v14
	s_delay_alu instid0(VALU_DEP_1) | instskip(SKIP_1) | instid1(VALU_DEP_2)
	v_cndmask_b32_e32 v13, 0, v13, vcc_lo
	v_cmp_ngt_f32_e32 vcc_lo, 0xc2b17218, v12
	v_cndmask_b32_e32 v12, 0x7f800000, v13, vcc_lo
	s_delay_alu instid0(VALU_DEP_1)
	v_sub_f32_e32 v12, 1.0, v12
.LBB244_51:                             ;   in Loop: Header=BB244_41 Depth=1
	s_and_not1_saveexec_b32 s7, s7
	s_cbranch_execz .LBB244_53
; %bb.52:                               ;   in Loop: Header=BB244_41 Depth=1
	v_mul_f32_e32 v12, v6, v6
	s_delay_alu instid0(VALU_DEP_1) | instskip(NEXT) | instid1(VALU_DEP_1)
	v_fmaak_f32 v13, s5, v12, 0x3ba10414
	v_fmaak_f32 v13, v12, v13, 0xbcdac9b8
	s_delay_alu instid0(VALU_DEP_1) | instskip(NEXT) | instid1(VALU_DEP_1)
	v_fmaak_f32 v13, v12, v13, 0x3de703be
	v_fmaak_f32 v13, v12, v13, 0xbec09330
	s_delay_alu instid0(VALU_DEP_1) | instskip(NEXT) | instid1(VALU_DEP_1)
	v_fmaak_f32 v12, v12, v13, 0x3e0375d0
	v_fma_f32 v12, |v6|, v12, |v6|
.LBB244_53:                             ;   in Loop: Header=BB244_41 Depth=1
	s_or_b32 exec_lo, exec_lo, s7
	v_and_b32_e32 v7, 0xffff0000, v7
                                        ; implicit-def: $vgpr13
	s_delay_alu instid0(VALU_DEP_1) | instskip(SKIP_1) | instid1(SALU_CYCLE_1)
	v_cmp_nlt_f32_e64 s7, |v7|, 1.0
	s_and_saveexec_b32 s8, s7
	s_xor_b32 s7, exec_lo, s8
	s_cbranch_execz .LBB244_55
; %bb.54:                               ;   in Loop: Header=BB244_41 Depth=1
	v_fma_f32 v13, |v7|, s4, 0xb9c68948
	s_delay_alu instid0(VALU_DEP_1) | instskip(NEXT) | instid1(VALU_DEP_1)
	v_fma_f32 v13, |v7|, v13, 0x3b7cd369
	v_fma_f32 v13, |v7|, v13, 0xbcc618b2
	s_delay_alu instid0(VALU_DEP_1) | instskip(NEXT) | instid1(VALU_DEP_1)
	v_fma_f32 v13, |v7|, v13, 0x3dda74e4
	;; [unrolled: 3-line block ×3, first 2 shown]
	v_fma_f32 v13, |v7|, v13, |v7|
	s_delay_alu instid0(VALU_DEP_1) | instskip(SKIP_1) | instid1(VALU_DEP_2)
	v_mul_f32_e32 v14, 0xbfb8aa3b, v13
	v_cmp_nlt_f32_e32 vcc_lo, 0x42ce8ed0, v13
	v_fma_f32 v15, 0xbfb8aa3b, v13, -v14
	v_rndne_f32_e32 v16, v14
	s_delay_alu instid0(VALU_DEP_1) | instskip(NEXT) | instid1(VALU_DEP_1)
	v_dual_fmac_f32 v15, 0xb2a5705f, v13 :: v_dual_sub_f32 v14, v14, v16
	v_add_f32_e32 v14, v14, v15
	v_cvt_i32_f32_e32 v15, v16
	s_delay_alu instid0(VALU_DEP_2) | instskip(SKIP_1) | instid1(TRANS32_DEP_1)
	v_exp_f32_e32 v14, v14
	v_nop
	v_ldexp_f32 v14, v14, v15
	s_delay_alu instid0(VALU_DEP_1) | instskip(SKIP_1) | instid1(VALU_DEP_2)
	v_cndmask_b32_e32 v14, 0, v14, vcc_lo
	v_cmp_ngt_f32_e32 vcc_lo, 0xc2b17218, v13
	v_cndmask_b32_e32 v13, 0x7f800000, v14, vcc_lo
	s_delay_alu instid0(VALU_DEP_1)
	v_sub_f32_e32 v13, 1.0, v13
.LBB244_55:                             ;   in Loop: Header=BB244_41 Depth=1
	s_and_not1_saveexec_b32 s7, s7
	s_cbranch_execz .LBB244_40
; %bb.56:                               ;   in Loop: Header=BB244_41 Depth=1
	v_mul_f32_e32 v13, v7, v7
	s_delay_alu instid0(VALU_DEP_1) | instskip(NEXT) | instid1(VALU_DEP_1)
	v_fmaak_f32 v14, s5, v13, 0x3ba10414
	v_fmaak_f32 v14, v13, v14, 0xbcdac9b8
	s_delay_alu instid0(VALU_DEP_1) | instskip(NEXT) | instid1(VALU_DEP_1)
	v_fmaak_f32 v14, v13, v14, 0x3de703be
	v_fmaak_f32 v14, v13, v14, 0xbec09330
	s_delay_alu instid0(VALU_DEP_1) | instskip(NEXT) | instid1(VALU_DEP_1)
	v_fmaak_f32 v13, v13, v14, 0x3e0375d0
	v_fma_f32 v13, |v7|, v13, |v7|
	s_branch .LBB244_40
.LBB244_57:
	s_endpgm
	.section	.rodata,"a",@progbits
	.p2align	6, 0x0
	.amdhsa_kernel _ZN2at6native12_GLOBAL__N_125multi_tensor_apply_kernelINS1_18TensorListMetadataILi1EEENS1_14UnaryOpFunctorIN3c108BFloat16ELi1ELi1ELi0EEEJNS0_3ErfIfEEEEEvT_T0_DpT1_
		.amdhsa_group_segment_fixed_size 0
		.amdhsa_private_segment_fixed_size 0
		.amdhsa_kernarg_size 3632
		.amdhsa_user_sgpr_count 2
		.amdhsa_user_sgpr_dispatch_ptr 0
		.amdhsa_user_sgpr_queue_ptr 0
		.amdhsa_user_sgpr_kernarg_segment_ptr 1
		.amdhsa_user_sgpr_dispatch_id 0
		.amdhsa_user_sgpr_kernarg_preload_length 0
		.amdhsa_user_sgpr_kernarg_preload_offset 0
		.amdhsa_user_sgpr_private_segment_size 0
		.amdhsa_wavefront_size32 1
		.amdhsa_uses_dynamic_stack 0
		.amdhsa_enable_private_segment 0
		.amdhsa_system_sgpr_workgroup_id_x 1
		.amdhsa_system_sgpr_workgroup_id_y 0
		.amdhsa_system_sgpr_workgroup_id_z 0
		.amdhsa_system_sgpr_workgroup_info 0
		.amdhsa_system_vgpr_workitem_id 0
		.amdhsa_next_free_vgpr 31
		.amdhsa_next_free_sgpr 23
		.amdhsa_named_barrier_count 0
		.amdhsa_reserve_vcc 1
		.amdhsa_float_round_mode_32 0
		.amdhsa_float_round_mode_16_64 0
		.amdhsa_float_denorm_mode_32 3
		.amdhsa_float_denorm_mode_16_64 3
		.amdhsa_fp16_overflow 0
		.amdhsa_memory_ordered 1
		.amdhsa_forward_progress 1
		.amdhsa_inst_pref_size 32
		.amdhsa_round_robin_scheduling 0
		.amdhsa_exception_fp_ieee_invalid_op 0
		.amdhsa_exception_fp_denorm_src 0
		.amdhsa_exception_fp_ieee_div_zero 0
		.amdhsa_exception_fp_ieee_overflow 0
		.amdhsa_exception_fp_ieee_underflow 0
		.amdhsa_exception_fp_ieee_inexact 0
		.amdhsa_exception_int_div_zero 0
	.end_amdhsa_kernel
	.section	.text._ZN2at6native12_GLOBAL__N_125multi_tensor_apply_kernelINS1_18TensorListMetadataILi1EEENS1_14UnaryOpFunctorIN3c108BFloat16ELi1ELi1ELi0EEEJNS0_3ErfIfEEEEEvT_T0_DpT1_,"axG",@progbits,_ZN2at6native12_GLOBAL__N_125multi_tensor_apply_kernelINS1_18TensorListMetadataILi1EEENS1_14UnaryOpFunctorIN3c108BFloat16ELi1ELi1ELi0EEEJNS0_3ErfIfEEEEEvT_T0_DpT1_,comdat
.Lfunc_end244:
	.size	_ZN2at6native12_GLOBAL__N_125multi_tensor_apply_kernelINS1_18TensorListMetadataILi1EEENS1_14UnaryOpFunctorIN3c108BFloat16ELi1ELi1ELi0EEEJNS0_3ErfIfEEEEEvT_T0_DpT1_, .Lfunc_end244-_ZN2at6native12_GLOBAL__N_125multi_tensor_apply_kernelINS1_18TensorListMetadataILi1EEENS1_14UnaryOpFunctorIN3c108BFloat16ELi1ELi1ELi0EEEJNS0_3ErfIfEEEEEvT_T0_DpT1_
                                        ; -- End function
	.set _ZN2at6native12_GLOBAL__N_125multi_tensor_apply_kernelINS1_18TensorListMetadataILi1EEENS1_14UnaryOpFunctorIN3c108BFloat16ELi1ELi1ELi0EEEJNS0_3ErfIfEEEEEvT_T0_DpT1_.num_vgpr, 31
	.set _ZN2at6native12_GLOBAL__N_125multi_tensor_apply_kernelINS1_18TensorListMetadataILi1EEENS1_14UnaryOpFunctorIN3c108BFloat16ELi1ELi1ELi0EEEJNS0_3ErfIfEEEEEvT_T0_DpT1_.num_agpr, 0
	.set _ZN2at6native12_GLOBAL__N_125multi_tensor_apply_kernelINS1_18TensorListMetadataILi1EEENS1_14UnaryOpFunctorIN3c108BFloat16ELi1ELi1ELi0EEEJNS0_3ErfIfEEEEEvT_T0_DpT1_.numbered_sgpr, 23
	.set _ZN2at6native12_GLOBAL__N_125multi_tensor_apply_kernelINS1_18TensorListMetadataILi1EEENS1_14UnaryOpFunctorIN3c108BFloat16ELi1ELi1ELi0EEEJNS0_3ErfIfEEEEEvT_T0_DpT1_.num_named_barrier, 0
	.set _ZN2at6native12_GLOBAL__N_125multi_tensor_apply_kernelINS1_18TensorListMetadataILi1EEENS1_14UnaryOpFunctorIN3c108BFloat16ELi1ELi1ELi0EEEJNS0_3ErfIfEEEEEvT_T0_DpT1_.private_seg_size, 0
	.set _ZN2at6native12_GLOBAL__N_125multi_tensor_apply_kernelINS1_18TensorListMetadataILi1EEENS1_14UnaryOpFunctorIN3c108BFloat16ELi1ELi1ELi0EEEJNS0_3ErfIfEEEEEvT_T0_DpT1_.uses_vcc, 1
	.set _ZN2at6native12_GLOBAL__N_125multi_tensor_apply_kernelINS1_18TensorListMetadataILi1EEENS1_14UnaryOpFunctorIN3c108BFloat16ELi1ELi1ELi0EEEJNS0_3ErfIfEEEEEvT_T0_DpT1_.uses_flat_scratch, 0
	.set _ZN2at6native12_GLOBAL__N_125multi_tensor_apply_kernelINS1_18TensorListMetadataILi1EEENS1_14UnaryOpFunctorIN3c108BFloat16ELi1ELi1ELi0EEEJNS0_3ErfIfEEEEEvT_T0_DpT1_.has_dyn_sized_stack, 0
	.set _ZN2at6native12_GLOBAL__N_125multi_tensor_apply_kernelINS1_18TensorListMetadataILi1EEENS1_14UnaryOpFunctorIN3c108BFloat16ELi1ELi1ELi0EEEJNS0_3ErfIfEEEEEvT_T0_DpT1_.has_recursion, 0
	.set _ZN2at6native12_GLOBAL__N_125multi_tensor_apply_kernelINS1_18TensorListMetadataILi1EEENS1_14UnaryOpFunctorIN3c108BFloat16ELi1ELi1ELi0EEEJNS0_3ErfIfEEEEEvT_T0_DpT1_.has_indirect_call, 0
	.section	.AMDGPU.csdata,"",@progbits
; Kernel info:
; codeLenInByte = 3972
; TotalNumSgprs: 25
; NumVgprs: 31
; ScratchSize: 0
; MemoryBound: 0
; FloatMode: 240
; IeeeMode: 1
; LDSByteSize: 0 bytes/workgroup (compile time only)
; SGPRBlocks: 0
; VGPRBlocks: 1
; NumSGPRsForWavesPerEU: 25
; NumVGPRsForWavesPerEU: 31
; NamedBarCnt: 0
; Occupancy: 16
; WaveLimiterHint : 0
; COMPUTE_PGM_RSRC2:SCRATCH_EN: 0
; COMPUTE_PGM_RSRC2:USER_SGPR: 2
; COMPUTE_PGM_RSRC2:TRAP_HANDLER: 0
; COMPUTE_PGM_RSRC2:TGID_X_EN: 1
; COMPUTE_PGM_RSRC2:TGID_Y_EN: 0
; COMPUTE_PGM_RSRC2:TGID_Z_EN: 0
; COMPUTE_PGM_RSRC2:TIDIG_COMP_CNT: 0
	.section	.text._ZN2at6native12_GLOBAL__N_125multi_tensor_apply_kernelINS1_18TensorListMetadataILi2EEENS1_14UnaryOpFunctorIdLi2ELi1ELi1EEEJNS0_7SigmoidIdEEEEEvT_T0_DpT1_,"axG",@progbits,_ZN2at6native12_GLOBAL__N_125multi_tensor_apply_kernelINS1_18TensorListMetadataILi2EEENS1_14UnaryOpFunctorIdLi2ELi1ELi1EEEJNS0_7SigmoidIdEEEEEvT_T0_DpT1_,comdat
	.globl	_ZN2at6native12_GLOBAL__N_125multi_tensor_apply_kernelINS1_18TensorListMetadataILi2EEENS1_14UnaryOpFunctorIdLi2ELi1ELi1EEEJNS0_7SigmoidIdEEEEEvT_T0_DpT1_ ; -- Begin function _ZN2at6native12_GLOBAL__N_125multi_tensor_apply_kernelINS1_18TensorListMetadataILi2EEENS1_14UnaryOpFunctorIdLi2ELi1ELi1EEEJNS0_7SigmoidIdEEEEEvT_T0_DpT1_
	.p2align	8
	.type	_ZN2at6native12_GLOBAL__N_125multi_tensor_apply_kernelINS1_18TensorListMetadataILi2EEENS1_14UnaryOpFunctorIdLi2ELi1ELi1EEEJNS0_7SigmoidIdEEEEEvT_T0_DpT1_,@function
_ZN2at6native12_GLOBAL__N_125multi_tensor_apply_kernelINS1_18TensorListMetadataILi2EEENS1_14UnaryOpFunctorIdLi2ELi1ELi1EEEJNS0_7SigmoidIdEEEEEvT_T0_DpT1_: ; @_ZN2at6native12_GLOBAL__N_125multi_tensor_apply_kernelINS1_18TensorListMetadataILi2EEENS1_14UnaryOpFunctorIdLi2ELi1ELi1EEEJNS0_7SigmoidIdEEEEEvT_T0_DpT1_
; %bb.0:
	s_bfe_u32 s2, ttmp6, 0x4000c
	s_and_b32 s3, ttmp6, 15
	s_add_co_i32 s2, s2, 1
	s_getreg_b32 s4, hwreg(HW_REG_IB_STS2, 6, 4)
	s_mul_i32 s2, ttmp9, s2
	s_delay_alu instid0(SALU_CYCLE_1)
	s_add_co_i32 s3, s3, s2
	s_cmp_eq_u32 s4, 0
	s_cselect_b32 s2, ttmp9, s3
	s_mov_b32 s3, 0
	s_load_u8 s12, s[0:1], s2 offset:0x600
	s_add_nc_u64 s[4:5], s[0:1], s[2:3]
	s_mul_u64 s[6:7], s[2:3], 3
	s_delay_alu instid0(SALU_CYCLE_1)
	s_add_nc_u64 s[4:5], s[4:5], s[6:7]
	s_load_b32 s6, s[4:5], 0x740
	s_wait_kmcnt 0x0
	s_clause 0x3
	s_load_b64 s[14:15], s[0:1], s12 offset:0x0 scale_offset
	s_load_b64 s[16:17], s[0:1], s12 offset:0x200 scale_offset
	;; [unrolled: 1-line block ×3, first 2 shown]
	s_load_b64 s[10:11], s[0:1], 0xc50
	s_mov_b32 s5, s3
	s_ashr_i32 s7, s6, 31
	s_wait_xcnt 0x0
	s_lshl_b64 s[12:13], s[6:7], 19
	s_wait_kmcnt 0x0
	s_and_b64 s[20:21], s[16:17], 31
	s_add_nc_u64 s[18:19], s[14:15], s[12:13]
	s_and_b32 s4, s8, 3
	s_and_b32 s2, s18, 31
	s_or_b64 s[4:5], s[20:21], s[4:5]
	s_lshl_b64 s[6:7], s[6:7], 16
	s_or_b64 s[2:3], s[4:5], s[2:3]
	s_sub_nc_u64 s[18:19], s[8:9], s[6:7]
	s_cmp_eq_u64 s[2:3], 0
	s_mov_b32 s2, -1
	s_cbranch_scc0 .LBB245_5
; %bb.1:
	v_min_i64 v[2:3], 0x10000, s[18:19]
	v_dual_mov_b32 v7, 0 :: v_dual_lshlrev_b32 v6, 2, v0
	s_mov_b32 s9, exec_lo
	s_delay_alu instid0(VALU_DEP_1)
	v_cmpx_lt_i64_e64 v[6:7], v[2:3]
	s_cbranch_execz .LBB245_4
; %bb.2:
	s_load_b32 s2, s[0:1], 0xc64
	v_dual_mov_b32 v1, v7 :: v_dual_lshlrev_b32 v6, 5, v0
	v_mov_b64_e32 v[4:5], 0x3e928af3fca7ab0c
	s_mov_b32 s21, 0
	s_mov_b64 s[22:23], 0xbfe62e42fefa39ef
	s_delay_alu instid0(VALU_DEP_2)
	v_mov_b64_e32 v[8:9], v[0:1]
	v_add_nc_u64_e32 v[6:7], s[12:13], v[6:7]
	s_mov_b32 s25, s21
	s_mov_b32 s26, s21
                                        ; implicit-def: $vgpr10_vgpr11
                                        ; implicit-def: $vgpr10_vgpr11
	;; [unrolled: 1-line block ×8, first 2 shown]
	s_wait_kmcnt 0x0
	s_and_b32 s20, s2, 0xffff
	s_delay_alu instid0(SALU_CYCLE_1)
	s_lshl_b32 s24, s20, 5
.LBB245_3:                              ; =>This Inner Loop Header: Depth=1
	s_delay_alu instid0(VALU_DEP_1)
	v_add_nc_u64_e32 v[18:19], s[14:15], v[6:7]
	v_add_nc_u64_e32 v[8:9], s[20:21], v[8:9]
	s_clause 0x1
	global_load_b128 v[10:13], v[18:19], off
	global_load_b128 v[14:17], v[18:19], off offset:16
	s_wait_loadcnt 0x1
	s_wait_xcnt 0x0
	v_mul_f64_e32 v[18:19], 0xbff71547652b82fe, v[10:11]
	v_mul_f64_e32 v[20:21], 0xbff71547652b82fe, v[12:13]
	s_wait_loadcnt 0x0
	v_mul_f64_e32 v[22:23], 0xbff71547652b82fe, v[14:15]
	v_mul_f64_e32 v[24:25], 0xbff71547652b82fe, v[16:17]
	v_cmp_ngt_f64_e32 vcc_lo, 0xc0900000, v[12:13]
	v_cmp_ngt_f64_e64 s4, 0xc0900000, v[10:11]
	v_cmp_ngt_f64_e64 s2, 0xc0900000, v[14:15]
	v_cmp_nlt_f64_e64 s5, 0x4090cc00, v[10:11]
	v_cmp_ngt_f64_e64 s3, 0xc0900000, v[16:17]
	v_cmp_nlt_f64_e64 s6, 0x4090cc00, v[12:13]
	v_cmp_nlt_f64_e64 s7, 0x4090cc00, v[14:15]
	;; [unrolled: 1-line block ×3, first 2 shown]
	v_rndne_f64_e32 v[18:19], v[18:19]
	v_rndne_f64_e32 v[20:21], v[20:21]
	;; [unrolled: 1-line block ×4, first 2 shown]
	s_delay_alu instid0(VALU_DEP_4) | instskip(NEXT) | instid1(VALU_DEP_4)
	v_fma_f64 v[26:27], v[18:19], s[22:23], -v[10:11]
	v_fma_f64 v[28:29], v[20:21], s[22:23], -v[12:13]
	s_delay_alu instid0(VALU_DEP_4) | instskip(NEXT) | instid1(VALU_DEP_4)
	v_fma_f64 v[30:31], v[22:23], s[22:23], -v[14:15]
	v_fma_f64 v[32:33], v[24:25], s[22:23], -v[16:17]
	v_cvt_i32_f64_e32 v1, v[18:19]
	v_cvt_i32_f64_e32 v42, v[20:21]
	;; [unrolled: 1-line block ×4, first 2 shown]
	v_fmac_f64_e32 v[26:27], 0xbc7abc9e3b39803f, v[18:19]
	v_fmac_f64_e32 v[28:29], 0xbc7abc9e3b39803f, v[20:21]
	;; [unrolled: 1-line block ×4, first 2 shown]
	s_delay_alu instid0(VALU_DEP_4) | instskip(NEXT) | instid1(VALU_DEP_4)
	v_fmamk_f64 v[34:35], v[26:27], 0x3e5ade156a5dcb37, v[4:5]
	v_fmamk_f64 v[36:37], v[28:29], 0x3e5ade156a5dcb37, v[4:5]
	s_delay_alu instid0(VALU_DEP_4) | instskip(NEXT) | instid1(VALU_DEP_4)
	v_fmamk_f64 v[38:39], v[30:31], 0x3e5ade156a5dcb37, v[4:5]
	v_fmamk_f64 v[40:41], v[32:33], 0x3e5ade156a5dcb37, v[4:5]
	s_delay_alu instid0(VALU_DEP_4) | instskip(NEXT) | instid1(VALU_DEP_4)
	v_fmaak_f64 v[34:35], v[26:27], v[34:35], 0x3ec71dee623fde64
	v_fmaak_f64 v[36:37], v[28:29], v[36:37], 0x3ec71dee623fde64
	s_delay_alu instid0(VALU_DEP_4) | instskip(NEXT) | instid1(VALU_DEP_4)
	v_fmaak_f64 v[38:39], v[30:31], v[38:39], 0x3ec71dee623fde64
	v_fmaak_f64 v[40:41], v[32:33], v[40:41], 0x3ec71dee623fde64
	;; [unrolled: 3-line block ×16, first 2 shown]
	s_delay_alu instid0(VALU_DEP_4) | instskip(NEXT) | instid1(VALU_DEP_4)
	v_fma_f64 v[34:35], v[26:27], v[34:35], 1.0
	v_fma_f64 v[36:37], v[28:29], v[36:37], 1.0
	s_delay_alu instid0(VALU_DEP_4) | instskip(NEXT) | instid1(VALU_DEP_4)
	v_fma_f64 v[38:39], v[30:31], v[38:39], 1.0
	v_fma_f64 v[40:41], v[32:33], v[40:41], 1.0
	s_delay_alu instid0(VALU_DEP_4) | instskip(NEXT) | instid1(VALU_DEP_4)
	v_fma_f64 v[18:19], v[26:27], v[34:35], 1.0
	v_fma_f64 v[20:21], v[28:29], v[36:37], 1.0
	s_delay_alu instid0(VALU_DEP_4) | instskip(NEXT) | instid1(VALU_DEP_4)
	v_fma_f64 v[22:23], v[30:31], v[38:39], 1.0
	v_fma_f64 v[24:25], v[32:33], v[40:41], 1.0
	s_delay_alu instid0(VALU_DEP_4) | instskip(NEXT) | instid1(VALU_DEP_4)
	v_ldexp_f64 v[18:19], v[18:19], v1
	v_ldexp_f64 v[20:21], v[20:21], v42
	s_delay_alu instid0(VALU_DEP_4) | instskip(NEXT) | instid1(VALU_DEP_4)
	v_ldexp_f64 v[22:23], v[22:23], v43
	v_ldexp_f64 v[24:25], v[24:25], v44
	s_delay_alu instid0(VALU_DEP_4) | instskip(NEXT) | instid1(VALU_DEP_4)
	v_cndmask_b32_e64 v1, 0x7ff00000, v19, s4
	v_cndmask_b32_e32 v10, 0x7ff00000, v21, vcc_lo
	s_delay_alu instid0(VALU_DEP_4) | instskip(SKIP_1) | instid1(VALU_DEP_4)
	v_cndmask_b32_e64 v12, 0x7ff00000, v23, s2
	s_and_b32 s4, s5, s4
	v_cndmask_b32_e64 v14, 0x7ff00000, v25, s3
	s_delay_alu instid0(VALU_DEP_3) | instskip(SKIP_2) | instid1(VALU_DEP_3)
	v_dual_cndmask_b32 v11, 0, v1, s5 :: v_dual_cndmask_b32 v13, 0, v10, s6
	s_and_b32 vcc_lo, s6, vcc_lo
	v_dual_cndmask_b32 v10, 0, v18, s4 :: v_dual_cndmask_b32 v15, 0, v12, s7
	v_dual_cndmask_b32 v17, 0, v14, s8 :: v_dual_cndmask_b32 v12, 0, v20, vcc_lo
	s_and_b32 vcc_lo, s7, s2
	s_delay_alu instid0(VALU_DEP_2) | instskip(SKIP_3) | instid1(VALU_DEP_2)
	v_add_f64_e32 v[10:11], s[10:11], v[10:11]
	v_cndmask_b32_e32 v14, 0, v22, vcc_lo
	s_and_b32 vcc_lo, s8, s3
	v_add_f64_e32 v[12:13], s[10:11], v[12:13]
	v_dual_add_f64 v[14:15], s[10:11], v[14:15] :: v_dual_cndmask_b32 v16, 0, v24, vcc_lo
	s_delay_alu instid0(VALU_DEP_1)
	v_add_f64_e32 v[16:17], s[10:11], v[16:17]
	v_div_scale_f64 v[18:19], null, v[10:11], v[10:11], s[10:11]
	v_div_scale_f64 v[42:43], vcc_lo, s[10:11], v[10:11], s[10:11]
	v_div_scale_f64 v[20:21], null, v[12:13], v[12:13], s[10:11]
	v_div_scale_f64 v[22:23], null, v[14:15], v[14:15], s[10:11]
	v_div_scale_f64 v[44:45], s2, s[10:11], v[12:13], s[10:11]
	v_div_scale_f64 v[24:25], null, v[16:17], v[16:17], s[10:11]
	v_div_scale_f64 v[46:47], s3, s[10:11], v[14:15], s[10:11]
	v_rcp_f64_e32 v[26:27], v[18:19]
	v_rcp_f64_e32 v[28:29], v[20:21]
	s_delay_alu instid0(VALU_DEP_4) | instskip(NEXT) | instid1(VALU_DEP_2)
	v_rcp_f64_e32 v[30:31], v[22:23]
	v_rcp_f64_e32 v[32:33], v[24:25]
	v_fma_f64 v[34:35], -v[18:19], v[26:27], 1.0
	s_delay_alu instid0(TRANS32_DEP_3) | instskip(NEXT) | instid1(TRANS32_DEP_2)
	v_fma_f64 v[36:37], -v[20:21], v[28:29], 1.0
	v_fma_f64 v[38:39], -v[22:23], v[30:31], 1.0
	s_delay_alu instid0(TRANS32_DEP_1) | instskip(NEXT) | instid1(VALU_DEP_4)
	v_fma_f64 v[40:41], -v[24:25], v[32:33], 1.0
	v_fmac_f64_e32 v[26:27], v[26:27], v[34:35]
	s_delay_alu instid0(VALU_DEP_4) | instskip(NEXT) | instid1(VALU_DEP_4)
	v_fmac_f64_e32 v[28:29], v[28:29], v[36:37]
	v_fmac_f64_e32 v[30:31], v[30:31], v[38:39]
	s_delay_alu instid0(VALU_DEP_4) | instskip(NEXT) | instid1(VALU_DEP_4)
	v_fmac_f64_e32 v[32:33], v[32:33], v[40:41]
	v_fma_f64 v[34:35], -v[18:19], v[26:27], 1.0
	s_delay_alu instid0(VALU_DEP_4) | instskip(NEXT) | instid1(VALU_DEP_4)
	v_fma_f64 v[36:37], -v[20:21], v[28:29], 1.0
	v_fma_f64 v[38:39], -v[22:23], v[30:31], 1.0
	s_delay_alu instid0(VALU_DEP_4) | instskip(NEXT) | instid1(VALU_DEP_4)
	v_fma_f64 v[40:41], -v[24:25], v[32:33], 1.0
	v_fmac_f64_e32 v[26:27], v[26:27], v[34:35]
	v_div_scale_f64 v[34:35], s4, s[10:11], v[16:17], s[10:11]
	v_fmac_f64_e32 v[28:29], v[28:29], v[36:37]
	v_fmac_f64_e32 v[30:31], v[30:31], v[38:39]
	;; [unrolled: 1-line block ×3, first 2 shown]
	v_mul_f64_e32 v[36:37], v[42:43], v[26:27]
	s_delay_alu instid0(VALU_DEP_4) | instskip(NEXT) | instid1(VALU_DEP_4)
	v_mul_f64_e32 v[38:39], v[44:45], v[28:29]
	v_mul_f64_e32 v[40:41], v[46:47], v[30:31]
	s_delay_alu instid0(VALU_DEP_4) | instskip(NEXT) | instid1(VALU_DEP_4)
	v_mul_f64_e32 v[48:49], v[34:35], v[32:33]
	v_fma_f64 v[18:19], -v[18:19], v[36:37], v[42:43]
	s_delay_alu instid0(VALU_DEP_4) | instskip(NEXT) | instid1(VALU_DEP_4)
	v_fma_f64 v[20:21], -v[20:21], v[38:39], v[44:45]
	v_fma_f64 v[22:23], -v[22:23], v[40:41], v[46:47]
	s_delay_alu instid0(VALU_DEP_4) | instskip(NEXT) | instid1(VALU_DEP_4)
	v_fma_f64 v[24:25], -v[24:25], v[48:49], v[34:35]
	v_div_fmas_f64 v[18:19], v[18:19], v[26:27], v[36:37]
	s_mov_b32 vcc_lo, s2
	s_delay_alu instid0(VALU_DEP_4) | instskip(SKIP_1) | instid1(VALU_DEP_4)
	v_div_fmas_f64 v[20:21], v[20:21], v[28:29], v[38:39]
	s_mov_b32 vcc_lo, s3
	v_div_fmas_f64 v[22:23], v[22:23], v[30:31], v[40:41]
	s_mov_b32 vcc_lo, s4
	s_delay_alu instid0(VALU_DEP_4) | instskip(NEXT) | instid1(VALU_DEP_4)
	v_div_fmas_f64 v[24:25], v[24:25], v[32:33], v[48:49]
	v_div_fixup_f64 v[10:11], v[18:19], v[10:11], s[10:11]
	v_lshlrev_b64_e32 v[18:19], 2, v[8:9]
	v_div_fixup_f64 v[12:13], v[20:21], v[12:13], s[10:11]
	v_div_fixup_f64 v[14:15], v[22:23], v[14:15], s[10:11]
	s_delay_alu instid0(VALU_DEP_3)
	v_cmp_ge_i64_e32 vcc_lo, v[18:19], v[2:3]
	v_add_nc_u64_e32 v[18:19], s[16:17], v[6:7]
	v_div_fixup_f64 v[16:17], v[24:25], v[16:17], s[10:11]
	v_add_nc_u64_e32 v[6:7], s[24:25], v[6:7]
	s_clause 0x1
	global_store_b128 v[18:19], v[10:13], off
	global_store_b128 v[18:19], v[14:17], off offset:16
	s_or_b32 s26, vcc_lo, s26
	s_wait_xcnt 0x0
	s_and_not1_b32 exec_lo, exec_lo, s26
	s_cbranch_execnz .LBB245_3
.LBB245_4:
	s_or_b32 exec_lo, exec_lo, s9
	s_mov_b32 s2, 0
.LBB245_5:
	s_delay_alu instid0(SALU_CYCLE_1)
	s_and_not1_b32 vcc_lo, exec_lo, s2
	s_cbranch_vccnz .LBB245_25
; %bb.6:
	v_cmp_lt_i64_e64 s2, s[18:19], 1
	s_and_b32 vcc_lo, exec_lo, s2
	s_cbranch_vccnz .LBB245_25
; %bb.7:
	s_load_b32 s0, s[0:1], 0xc64
	v_min_i64 v[2:3], 0x10000, s[18:19]
	v_min_u64 v[4:5], 0x10000, s[18:19]
	v_dual_mov_b32 v1, 0 :: v_dual_lshlrev_b32 v10, 3, v0
	s_mov_b32 s9, 0
	v_mov_b64_e32 v[28:29], 0x3e928af3fca7ab0c
	s_mov_b32 s7, s9
	s_delay_alu instid0(VALU_DEP_2)
	v_dual_mov_b32 v11, v1 :: v_dual_mov_b32 v27, v1
	s_wait_xcnt 0x0
	s_mov_b32 s1, s9
	s_mov_b32 s3, s9
	s_mov_b64 s[4:5], 0xbfe62e42fefa39ef
	v_add_nc_u64_e32 v[6:7], s[14:15], v[10:11]
                                        ; implicit-def: $vgpr30_vgpr31
                                        ; implicit-def: $vgpr30_vgpr31
	;; [unrolled: 1-line block ×8, first 2 shown]
	s_wait_kmcnt 0x0
	s_and_b32 s8, s0, 0xffff
	s_delay_alu instid0(SALU_CYCLE_1)
	v_add_nc_u64_e32 v[8:9], s[8:9], v[0:1]
	v_mad_nc_u64_u32 v[22:23], s8, 24, v[10:11]
	s_lshl_b32 s6, s8, 4
	s_mul_i32 s2, s8, 3
	v_add_nc_u64_e32 v[18:19], s[6:7], v[10:11]
	s_lshl_b32 s0, s8, 1
	v_add_nc_u64_e32 v[10:11], s[16:17], v[10:11]
	v_lshlrev_b32_e32 v26, 3, v8
	v_add_nc_u64_e32 v[12:13], s[2:3], v[0:1]
	v_add_nc_u64_e32 v[14:15], s[0:1], v[0:1]
	s_lshl_b32 s6, s8, 2
	v_add_nc_u64_e32 v[16:17], s[14:15], v[18:19]
	v_add_nc_u64_e32 v[18:19], s[16:17], v[18:19]
	;; [unrolled: 1-line block ×6, first 2 shown]
	s_lshl_b32 s8, s8, 5
	s_mov_b64 s[14:15], 0
	s_branch .LBB245_9
.LBB245_8:                              ;   in Loop: Header=BB245_9 Depth=1
	s_wait_xcnt 0x0
	s_or_b32 exec_lo, exec_lo, s1
	s_add_nc_u64 s[14:15], s[14:15], s[6:7]
	v_add_nc_u64_e32 v[6:7], s[8:9], v[6:7]
	v_cmp_ge_i64_e32 vcc_lo, s[14:15], v[2:3]
	v_add_nc_u64_e32 v[10:11], s[8:9], v[10:11]
	v_add_nc_u64_e32 v[20:21], s[8:9], v[20:21]
	;; [unrolled: 1-line block ×7, first 2 shown]
	s_cbranch_vccnz .LBB245_25
.LBB245_9:                              ; =>This Inner Loop Header: Depth=1
	s_wait_loadcnt 0x0
	v_add_nc_u64_e32 v[30:31], s[14:15], v[0:1]
	v_mov_b64_e32 v[34:35], 0
	v_mov_b64_e32 v[36:37], 0
	s_delay_alu instid0(VALU_DEP_3)
	v_cmp_lt_u64_e32 vcc_lo, v[30:31], v[4:5]
	s_and_saveexec_b32 s0, vcc_lo
	s_cbranch_execz .LBB245_11
; %bb.10:                               ;   in Loop: Header=BB245_9 Depth=1
	v_add_nc_u64_e32 v[30:31], s[12:13], v[6:7]
	global_load_b64 v[36:37], v[30:31], off
.LBB245_11:                             ;   in Loop: Header=BB245_9 Depth=1
	s_wait_xcnt 0x0
	s_or_b32 exec_lo, exec_lo, s0
	v_add_nc_u64_e32 v[30:31], s[14:15], v[8:9]
	s_delay_alu instid0(VALU_DEP_1)
	v_cmp_lt_u64_e64 s2, v[30:31], v[4:5]
	s_and_saveexec_b32 s0, s2
	s_cbranch_execz .LBB245_13
; %bb.12:                               ;   in Loop: Header=BB245_9 Depth=1
	v_add_nc_u64_e32 v[30:31], s[12:13], v[24:25]
	global_load_b64 v[34:35], v[30:31], off
.LBB245_13:                             ;   in Loop: Header=BB245_9 Depth=1
	s_wait_xcnt 0x0
	s_or_b32 exec_lo, exec_lo, s0
	v_add_nc_u64_e32 v[32:33], s[14:15], v[14:15]
	v_mov_b64_e32 v[30:31], 0
	s_delay_alu instid0(VALU_DEP_2)
	v_cmp_lt_u64_e64 s1, v[32:33], v[4:5]
	v_mov_b64_e32 v[32:33], 0
	s_and_saveexec_b32 s0, s1
	s_cbranch_execz .LBB245_15
; %bb.14:                               ;   in Loop: Header=BB245_9 Depth=1
	v_add_nc_u64_e32 v[32:33], s[12:13], v[16:17]
	global_load_b64 v[32:33], v[32:33], off
.LBB245_15:                             ;   in Loop: Header=BB245_9 Depth=1
	s_wait_xcnt 0x0
	s_or_b32 exec_lo, exec_lo, s0
	v_add_nc_u64_e32 v[38:39], s[14:15], v[12:13]
	s_delay_alu instid0(VALU_DEP_1)
	v_cmp_lt_u64_e64 s0, v[38:39], v[4:5]
	s_and_saveexec_b32 s3, s0
	s_cbranch_execnz .LBB245_20
; %bb.16:                               ;   in Loop: Header=BB245_9 Depth=1
	s_or_b32 exec_lo, exec_lo, s3
	s_and_saveexec_b32 s16, vcc_lo
	s_cbranch_execnz .LBB245_21
.LBB245_17:                             ;   in Loop: Header=BB245_9 Depth=1
	s_or_b32 exec_lo, exec_lo, s16
	s_and_saveexec_b32 s3, s2
	s_cbranch_execnz .LBB245_22
.LBB245_18:                             ;   in Loop: Header=BB245_9 Depth=1
	s_or_b32 exec_lo, exec_lo, s3
	s_and_saveexec_b32 s2, s1
	s_cbranch_execnz .LBB245_23
.LBB245_19:                             ;   in Loop: Header=BB245_9 Depth=1
	s_or_b32 exec_lo, exec_lo, s2
	s_and_saveexec_b32 s1, s0
	s_cbranch_execz .LBB245_8
	s_branch .LBB245_24
.LBB245_20:                             ;   in Loop: Header=BB245_9 Depth=1
	v_add_nc_u64_e32 v[30:31], s[12:13], v[20:21]
	global_load_b64 v[30:31], v[30:31], off
	s_wait_xcnt 0x0
	s_or_b32 exec_lo, exec_lo, s3
	s_and_saveexec_b32 s16, vcc_lo
	s_cbranch_execz .LBB245_17
.LBB245_21:                             ;   in Loop: Header=BB245_9 Depth=1
	s_wait_loadcnt 0x0
	v_mul_f64_e32 v[38:39], 0xbff71547652b82fe, v[36:37]
	v_cmp_ngt_f64_e32 vcc_lo, 0xc0900000, v[36:37]
	v_cmp_nlt_f64_e64 s3, 0x4090cc00, v[36:37]
	s_delay_alu instid0(VALU_DEP_3) | instskip(NEXT) | instid1(VALU_DEP_1)
	v_rndne_f64_e32 v[38:39], v[38:39]
	v_fma_f64 v[40:41], v[38:39], s[4:5], -v[36:37]
	v_cvt_i32_f64_e32 v44, v[38:39]
	s_delay_alu instid0(VALU_DEP_2) | instskip(NEXT) | instid1(VALU_DEP_1)
	v_fmac_f64_e32 v[40:41], 0xbc7abc9e3b39803f, v[38:39]
	v_fmamk_f64 v[42:43], v[40:41], 0x3e5ade156a5dcb37, v[28:29]
	s_delay_alu instid0(VALU_DEP_1) | instskip(NEXT) | instid1(VALU_DEP_1)
	v_fmaak_f64 v[42:43], v[40:41], v[42:43], 0x3ec71dee623fde64
	v_fmaak_f64 v[42:43], v[40:41], v[42:43], 0x3efa01997c89e6b0
	s_delay_alu instid0(VALU_DEP_1) | instskip(NEXT) | instid1(VALU_DEP_1)
	v_fmaak_f64 v[42:43], v[40:41], v[42:43], 0x3f2a01a014761f6e
	v_fmaak_f64 v[42:43], v[40:41], v[42:43], 0x3f56c16c1852b7b0
	;; [unrolled: 3-line block ×4, first 2 shown]
	s_delay_alu instid0(VALU_DEP_1) | instskip(NEXT) | instid1(VALU_DEP_1)
	v_fma_f64 v[42:43], v[40:41], v[42:43], 1.0
	v_fma_f64 v[38:39], v[40:41], v[42:43], 1.0
	s_delay_alu instid0(VALU_DEP_1) | instskip(NEXT) | instid1(VALU_DEP_1)
	v_ldexp_f64 v[38:39], v[38:39], v44
	v_cndmask_b32_e32 v39, 0x7ff00000, v39, vcc_lo
	s_and_b32 vcc_lo, s3, vcc_lo
	s_delay_alu instid0(VALU_DEP_1) | instid1(SALU_CYCLE_1)
	v_dual_cndmask_b32 v36, 0, v38, vcc_lo :: v_dual_cndmask_b32 v37, 0, v39, s3
	s_delay_alu instid0(VALU_DEP_1) | instskip(NEXT) | instid1(VALU_DEP_1)
	v_add_f64_e32 v[36:37], s[10:11], v[36:37]
	v_div_scale_f64 v[38:39], null, v[36:37], v[36:37], s[10:11]
	s_delay_alu instid0(VALU_DEP_1) | instskip(SKIP_1) | instid1(TRANS32_DEP_1)
	v_rcp_f64_e32 v[40:41], v[38:39]
	v_nop
	v_fma_f64 v[42:43], -v[38:39], v[40:41], 1.0
	s_delay_alu instid0(VALU_DEP_1) | instskip(NEXT) | instid1(VALU_DEP_1)
	v_fmac_f64_e32 v[40:41], v[40:41], v[42:43]
	v_fma_f64 v[42:43], -v[38:39], v[40:41], 1.0
	s_delay_alu instid0(VALU_DEP_1) | instskip(SKIP_1) | instid1(VALU_DEP_1)
	v_fmac_f64_e32 v[40:41], v[40:41], v[42:43]
	v_div_scale_f64 v[42:43], vcc_lo, s[10:11], v[36:37], s[10:11]
	v_mul_f64_e32 v[44:45], v[42:43], v[40:41]
	s_delay_alu instid0(VALU_DEP_1) | instskip(NEXT) | instid1(VALU_DEP_1)
	v_fma_f64 v[38:39], -v[38:39], v[44:45], v[42:43]
	v_div_fmas_f64 v[38:39], v[38:39], v[40:41], v[44:45]
	s_delay_alu instid0(VALU_DEP_1)
	v_div_fixup_f64 v[36:37], v[38:39], v[36:37], s[10:11]
	v_add_nc_u64_e32 v[38:39], s[12:13], v[10:11]
	global_store_b64 v[38:39], v[36:37], off
	s_wait_xcnt 0x0
	s_or_b32 exec_lo, exec_lo, s16
	s_and_saveexec_b32 s3, s2
	s_cbranch_execz .LBB245_18
.LBB245_22:                             ;   in Loop: Header=BB245_9 Depth=1
	s_wait_loadcnt 0x0
	v_mul_f64_e32 v[36:37], 0xbff71547652b82fe, v[34:35]
	v_cmp_ngt_f64_e32 vcc_lo, 0xc0900000, v[34:35]
	v_cmp_nlt_f64_e64 s2, 0x4090cc00, v[34:35]
	s_delay_alu instid0(VALU_DEP_3) | instskip(NEXT) | instid1(VALU_DEP_1)
	v_rndne_f64_e32 v[36:37], v[36:37]
	v_fma_f64 v[38:39], v[36:37], s[4:5], -v[34:35]
	v_cvt_i32_f64_e32 v42, v[36:37]
	s_delay_alu instid0(VALU_DEP_2) | instskip(NEXT) | instid1(VALU_DEP_1)
	v_fmac_f64_e32 v[38:39], 0xbc7abc9e3b39803f, v[36:37]
	v_fmamk_f64 v[40:41], v[38:39], 0x3e5ade156a5dcb37, v[28:29]
	s_delay_alu instid0(VALU_DEP_1) | instskip(NEXT) | instid1(VALU_DEP_1)
	v_fmaak_f64 v[40:41], v[38:39], v[40:41], 0x3ec71dee623fde64
	v_fmaak_f64 v[40:41], v[38:39], v[40:41], 0x3efa01997c89e6b0
	s_delay_alu instid0(VALU_DEP_1) | instskip(NEXT) | instid1(VALU_DEP_1)
	v_fmaak_f64 v[40:41], v[38:39], v[40:41], 0x3f2a01a014761f6e
	v_fmaak_f64 v[40:41], v[38:39], v[40:41], 0x3f56c16c1852b7b0
	;; [unrolled: 3-line block ×4, first 2 shown]
	s_delay_alu instid0(VALU_DEP_1) | instskip(NEXT) | instid1(VALU_DEP_1)
	v_fma_f64 v[40:41], v[38:39], v[40:41], 1.0
	v_fma_f64 v[36:37], v[38:39], v[40:41], 1.0
	s_delay_alu instid0(VALU_DEP_1) | instskip(NEXT) | instid1(VALU_DEP_1)
	v_ldexp_f64 v[36:37], v[36:37], v42
	v_cndmask_b32_e32 v37, 0x7ff00000, v37, vcc_lo
	s_and_b32 vcc_lo, s2, vcc_lo
	s_delay_alu instid0(VALU_DEP_1) | instid1(SALU_CYCLE_1)
	v_dual_cndmask_b32 v34, 0, v36, vcc_lo :: v_dual_cndmask_b32 v35, 0, v37, s2
	s_delay_alu instid0(VALU_DEP_1) | instskip(NEXT) | instid1(VALU_DEP_1)
	v_add_f64_e32 v[34:35], s[10:11], v[34:35]
	v_div_scale_f64 v[36:37], null, v[34:35], v[34:35], s[10:11]
	s_delay_alu instid0(VALU_DEP_1) | instskip(SKIP_1) | instid1(TRANS32_DEP_1)
	v_rcp_f64_e32 v[38:39], v[36:37]
	v_nop
	v_fma_f64 v[40:41], -v[36:37], v[38:39], 1.0
	s_delay_alu instid0(VALU_DEP_1) | instskip(NEXT) | instid1(VALU_DEP_1)
	v_fmac_f64_e32 v[38:39], v[38:39], v[40:41]
	v_fma_f64 v[40:41], -v[36:37], v[38:39], 1.0
	s_delay_alu instid0(VALU_DEP_1) | instskip(SKIP_1) | instid1(VALU_DEP_1)
	v_fmac_f64_e32 v[38:39], v[38:39], v[40:41]
	v_div_scale_f64 v[40:41], vcc_lo, s[10:11], v[34:35], s[10:11]
	v_mul_f64_e32 v[42:43], v[40:41], v[38:39]
	s_delay_alu instid0(VALU_DEP_1) | instskip(NEXT) | instid1(VALU_DEP_1)
	v_fma_f64 v[36:37], -v[36:37], v[42:43], v[40:41]
	v_div_fmas_f64 v[36:37], v[36:37], v[38:39], v[42:43]
	s_delay_alu instid0(VALU_DEP_1)
	v_div_fixup_f64 v[34:35], v[36:37], v[34:35], s[10:11]
	v_add_nc_u64_e32 v[36:37], s[12:13], v[26:27]
	global_store_b64 v[36:37], v[34:35], off
	s_wait_xcnt 0x0
	s_or_b32 exec_lo, exec_lo, s3
	s_and_saveexec_b32 s2, s1
	s_cbranch_execz .LBB245_19
.LBB245_23:                             ;   in Loop: Header=BB245_9 Depth=1
	s_wait_loadcnt 0x0
	v_mul_f64_e32 v[34:35], 0xbff71547652b82fe, v[32:33]
	v_cmp_ngt_f64_e32 vcc_lo, 0xc0900000, v[32:33]
	v_cmp_nlt_f64_e64 s1, 0x4090cc00, v[32:33]
	s_delay_alu instid0(VALU_DEP_3) | instskip(NEXT) | instid1(VALU_DEP_1)
	v_rndne_f64_e32 v[34:35], v[34:35]
	v_fma_f64 v[36:37], v[34:35], s[4:5], -v[32:33]
	v_cvt_i32_f64_e32 v40, v[34:35]
	s_delay_alu instid0(VALU_DEP_2) | instskip(NEXT) | instid1(VALU_DEP_1)
	v_fmac_f64_e32 v[36:37], 0xbc7abc9e3b39803f, v[34:35]
	v_fmamk_f64 v[38:39], v[36:37], 0x3e5ade156a5dcb37, v[28:29]
	s_delay_alu instid0(VALU_DEP_1) | instskip(NEXT) | instid1(VALU_DEP_1)
	v_fmaak_f64 v[38:39], v[36:37], v[38:39], 0x3ec71dee623fde64
	v_fmaak_f64 v[38:39], v[36:37], v[38:39], 0x3efa01997c89e6b0
	s_delay_alu instid0(VALU_DEP_1) | instskip(NEXT) | instid1(VALU_DEP_1)
	v_fmaak_f64 v[38:39], v[36:37], v[38:39], 0x3f2a01a014761f6e
	v_fmaak_f64 v[38:39], v[36:37], v[38:39], 0x3f56c16c1852b7b0
	;; [unrolled: 3-line block ×4, first 2 shown]
	s_delay_alu instid0(VALU_DEP_1) | instskip(NEXT) | instid1(VALU_DEP_1)
	v_fma_f64 v[38:39], v[36:37], v[38:39], 1.0
	v_fma_f64 v[34:35], v[36:37], v[38:39], 1.0
	s_delay_alu instid0(VALU_DEP_1) | instskip(NEXT) | instid1(VALU_DEP_1)
	v_ldexp_f64 v[34:35], v[34:35], v40
	v_cndmask_b32_e32 v35, 0x7ff00000, v35, vcc_lo
	s_and_b32 vcc_lo, s1, vcc_lo
	s_delay_alu instid0(VALU_DEP_1) | instid1(SALU_CYCLE_1)
	v_dual_cndmask_b32 v32, 0, v34, vcc_lo :: v_dual_cndmask_b32 v33, 0, v35, s1
	s_delay_alu instid0(VALU_DEP_1) | instskip(NEXT) | instid1(VALU_DEP_1)
	v_add_f64_e32 v[32:33], s[10:11], v[32:33]
	v_div_scale_f64 v[34:35], null, v[32:33], v[32:33], s[10:11]
	s_delay_alu instid0(VALU_DEP_1) | instskip(SKIP_1) | instid1(TRANS32_DEP_1)
	v_rcp_f64_e32 v[36:37], v[34:35]
	v_nop
	v_fma_f64 v[38:39], -v[34:35], v[36:37], 1.0
	s_delay_alu instid0(VALU_DEP_1) | instskip(NEXT) | instid1(VALU_DEP_1)
	v_fmac_f64_e32 v[36:37], v[36:37], v[38:39]
	v_fma_f64 v[38:39], -v[34:35], v[36:37], 1.0
	s_delay_alu instid0(VALU_DEP_1) | instskip(SKIP_1) | instid1(VALU_DEP_1)
	v_fmac_f64_e32 v[36:37], v[36:37], v[38:39]
	v_div_scale_f64 v[38:39], vcc_lo, s[10:11], v[32:33], s[10:11]
	v_mul_f64_e32 v[40:41], v[38:39], v[36:37]
	s_delay_alu instid0(VALU_DEP_1) | instskip(NEXT) | instid1(VALU_DEP_1)
	v_fma_f64 v[34:35], -v[34:35], v[40:41], v[38:39]
	v_div_fmas_f64 v[34:35], v[34:35], v[36:37], v[40:41]
	s_delay_alu instid0(VALU_DEP_1)
	v_div_fixup_f64 v[32:33], v[34:35], v[32:33], s[10:11]
	v_add_nc_u64_e32 v[34:35], s[12:13], v[18:19]
	global_store_b64 v[34:35], v[32:33], off
	s_wait_xcnt 0x0
	s_or_b32 exec_lo, exec_lo, s2
	s_and_saveexec_b32 s1, s0
	s_cbranch_execz .LBB245_8
.LBB245_24:                             ;   in Loop: Header=BB245_9 Depth=1
	s_wait_loadcnt 0x0
	v_mul_f64_e32 v[32:33], 0xbff71547652b82fe, v[30:31]
	v_cmp_ngt_f64_e32 vcc_lo, 0xc0900000, v[30:31]
	v_cmp_nlt_f64_e64 s0, 0x4090cc00, v[30:31]
	s_delay_alu instid0(VALU_DEP_3) | instskip(NEXT) | instid1(VALU_DEP_1)
	v_rndne_f64_e32 v[32:33], v[32:33]
	v_fma_f64 v[34:35], v[32:33], s[4:5], -v[30:31]
	v_cvt_i32_f64_e32 v38, v[32:33]
	s_delay_alu instid0(VALU_DEP_2) | instskip(NEXT) | instid1(VALU_DEP_1)
	v_fmac_f64_e32 v[34:35], 0xbc7abc9e3b39803f, v[32:33]
	v_fmamk_f64 v[36:37], v[34:35], 0x3e5ade156a5dcb37, v[28:29]
	s_delay_alu instid0(VALU_DEP_1) | instskip(NEXT) | instid1(VALU_DEP_1)
	v_fmaak_f64 v[36:37], v[34:35], v[36:37], 0x3ec71dee623fde64
	v_fmaak_f64 v[36:37], v[34:35], v[36:37], 0x3efa01997c89e6b0
	s_delay_alu instid0(VALU_DEP_1) | instskip(NEXT) | instid1(VALU_DEP_1)
	v_fmaak_f64 v[36:37], v[34:35], v[36:37], 0x3f2a01a014761f6e
	v_fmaak_f64 v[36:37], v[34:35], v[36:37], 0x3f56c16c1852b7b0
	;; [unrolled: 3-line block ×4, first 2 shown]
	s_delay_alu instid0(VALU_DEP_1) | instskip(NEXT) | instid1(VALU_DEP_1)
	v_fma_f64 v[36:37], v[34:35], v[36:37], 1.0
	v_fma_f64 v[32:33], v[34:35], v[36:37], 1.0
	s_delay_alu instid0(VALU_DEP_1) | instskip(NEXT) | instid1(VALU_DEP_1)
	v_ldexp_f64 v[32:33], v[32:33], v38
	v_cndmask_b32_e32 v33, 0x7ff00000, v33, vcc_lo
	s_and_b32 vcc_lo, s0, vcc_lo
	s_delay_alu instid0(VALU_DEP_1) | instid1(SALU_CYCLE_1)
	v_dual_cndmask_b32 v30, 0, v32, vcc_lo :: v_dual_cndmask_b32 v31, 0, v33, s0
	s_delay_alu instid0(VALU_DEP_1) | instskip(NEXT) | instid1(VALU_DEP_1)
	v_add_f64_e32 v[30:31], s[10:11], v[30:31]
	v_div_scale_f64 v[32:33], null, v[30:31], v[30:31], s[10:11]
	s_delay_alu instid0(VALU_DEP_1) | instskip(SKIP_1) | instid1(TRANS32_DEP_1)
	v_rcp_f64_e32 v[34:35], v[32:33]
	v_nop
	v_fma_f64 v[36:37], -v[32:33], v[34:35], 1.0
	s_delay_alu instid0(VALU_DEP_1) | instskip(NEXT) | instid1(VALU_DEP_1)
	v_fmac_f64_e32 v[34:35], v[34:35], v[36:37]
	v_fma_f64 v[36:37], -v[32:33], v[34:35], 1.0
	s_delay_alu instid0(VALU_DEP_1) | instskip(SKIP_1) | instid1(VALU_DEP_1)
	v_fmac_f64_e32 v[34:35], v[34:35], v[36:37]
	v_div_scale_f64 v[36:37], vcc_lo, s[10:11], v[30:31], s[10:11]
	v_mul_f64_e32 v[38:39], v[36:37], v[34:35]
	s_delay_alu instid0(VALU_DEP_1) | instskip(NEXT) | instid1(VALU_DEP_1)
	v_fma_f64 v[32:33], -v[32:33], v[38:39], v[36:37]
	v_div_fmas_f64 v[32:33], v[32:33], v[34:35], v[38:39]
	s_delay_alu instid0(VALU_DEP_1)
	v_div_fixup_f64 v[30:31], v[32:33], v[30:31], s[10:11]
	v_add_nc_u64_e32 v[32:33], s[12:13], v[22:23]
	global_store_b64 v[32:33], v[30:31], off
	s_branch .LBB245_8
.LBB245_25:
	s_endpgm
	.section	.rodata,"a",@progbits
	.p2align	6, 0x0
	.amdhsa_kernel _ZN2at6native12_GLOBAL__N_125multi_tensor_apply_kernelINS1_18TensorListMetadataILi2EEENS1_14UnaryOpFunctorIdLi2ELi1ELi1EEEJNS0_7SigmoidIdEEEEEvT_T0_DpT1_
		.amdhsa_group_segment_fixed_size 0
		.amdhsa_private_segment_fixed_size 0
		.amdhsa_kernarg_size 3416
		.amdhsa_user_sgpr_count 2
		.amdhsa_user_sgpr_dispatch_ptr 0
		.amdhsa_user_sgpr_queue_ptr 0
		.amdhsa_user_sgpr_kernarg_segment_ptr 1
		.amdhsa_user_sgpr_dispatch_id 0
		.amdhsa_user_sgpr_kernarg_preload_length 0
		.amdhsa_user_sgpr_kernarg_preload_offset 0
		.amdhsa_user_sgpr_private_segment_size 0
		.amdhsa_wavefront_size32 1
		.amdhsa_uses_dynamic_stack 0
		.amdhsa_enable_private_segment 0
		.amdhsa_system_sgpr_workgroup_id_x 1
		.amdhsa_system_sgpr_workgroup_id_y 0
		.amdhsa_system_sgpr_workgroup_id_z 0
		.amdhsa_system_sgpr_workgroup_info 0
		.amdhsa_system_vgpr_workitem_id 0
		.amdhsa_next_free_vgpr 50
		.amdhsa_next_free_sgpr 27
		.amdhsa_named_barrier_count 0
		.amdhsa_reserve_vcc 1
		.amdhsa_float_round_mode_32 0
		.amdhsa_float_round_mode_16_64 0
		.amdhsa_float_denorm_mode_32 3
		.amdhsa_float_denorm_mode_16_64 3
		.amdhsa_fp16_overflow 0
		.amdhsa_memory_ordered 1
		.amdhsa_forward_progress 1
		.amdhsa_inst_pref_size 31
		.amdhsa_round_robin_scheduling 0
		.amdhsa_exception_fp_ieee_invalid_op 0
		.amdhsa_exception_fp_denorm_src 0
		.amdhsa_exception_fp_ieee_div_zero 0
		.amdhsa_exception_fp_ieee_overflow 0
		.amdhsa_exception_fp_ieee_underflow 0
		.amdhsa_exception_fp_ieee_inexact 0
		.amdhsa_exception_int_div_zero 0
	.end_amdhsa_kernel
	.section	.text._ZN2at6native12_GLOBAL__N_125multi_tensor_apply_kernelINS1_18TensorListMetadataILi2EEENS1_14UnaryOpFunctorIdLi2ELi1ELi1EEEJNS0_7SigmoidIdEEEEEvT_T0_DpT1_,"axG",@progbits,_ZN2at6native12_GLOBAL__N_125multi_tensor_apply_kernelINS1_18TensorListMetadataILi2EEENS1_14UnaryOpFunctorIdLi2ELi1ELi1EEEJNS0_7SigmoidIdEEEEEvT_T0_DpT1_,comdat
.Lfunc_end245:
	.size	_ZN2at6native12_GLOBAL__N_125multi_tensor_apply_kernelINS1_18TensorListMetadataILi2EEENS1_14UnaryOpFunctorIdLi2ELi1ELi1EEEJNS0_7SigmoidIdEEEEEvT_T0_DpT1_, .Lfunc_end245-_ZN2at6native12_GLOBAL__N_125multi_tensor_apply_kernelINS1_18TensorListMetadataILi2EEENS1_14UnaryOpFunctorIdLi2ELi1ELi1EEEJNS0_7SigmoidIdEEEEEvT_T0_DpT1_
                                        ; -- End function
	.set _ZN2at6native12_GLOBAL__N_125multi_tensor_apply_kernelINS1_18TensorListMetadataILi2EEENS1_14UnaryOpFunctorIdLi2ELi1ELi1EEEJNS0_7SigmoidIdEEEEEvT_T0_DpT1_.num_vgpr, 50
	.set _ZN2at6native12_GLOBAL__N_125multi_tensor_apply_kernelINS1_18TensorListMetadataILi2EEENS1_14UnaryOpFunctorIdLi2ELi1ELi1EEEJNS0_7SigmoidIdEEEEEvT_T0_DpT1_.num_agpr, 0
	.set _ZN2at6native12_GLOBAL__N_125multi_tensor_apply_kernelINS1_18TensorListMetadataILi2EEENS1_14UnaryOpFunctorIdLi2ELi1ELi1EEEJNS0_7SigmoidIdEEEEEvT_T0_DpT1_.numbered_sgpr, 27
	.set _ZN2at6native12_GLOBAL__N_125multi_tensor_apply_kernelINS1_18TensorListMetadataILi2EEENS1_14UnaryOpFunctorIdLi2ELi1ELi1EEEJNS0_7SigmoidIdEEEEEvT_T0_DpT1_.num_named_barrier, 0
	.set _ZN2at6native12_GLOBAL__N_125multi_tensor_apply_kernelINS1_18TensorListMetadataILi2EEENS1_14UnaryOpFunctorIdLi2ELi1ELi1EEEJNS0_7SigmoidIdEEEEEvT_T0_DpT1_.private_seg_size, 0
	.set _ZN2at6native12_GLOBAL__N_125multi_tensor_apply_kernelINS1_18TensorListMetadataILi2EEENS1_14UnaryOpFunctorIdLi2ELi1ELi1EEEJNS0_7SigmoidIdEEEEEvT_T0_DpT1_.uses_vcc, 1
	.set _ZN2at6native12_GLOBAL__N_125multi_tensor_apply_kernelINS1_18TensorListMetadataILi2EEENS1_14UnaryOpFunctorIdLi2ELi1ELi1EEEJNS0_7SigmoidIdEEEEEvT_T0_DpT1_.uses_flat_scratch, 0
	.set _ZN2at6native12_GLOBAL__N_125multi_tensor_apply_kernelINS1_18TensorListMetadataILi2EEENS1_14UnaryOpFunctorIdLi2ELi1ELi1EEEJNS0_7SigmoidIdEEEEEvT_T0_DpT1_.has_dyn_sized_stack, 0
	.set _ZN2at6native12_GLOBAL__N_125multi_tensor_apply_kernelINS1_18TensorListMetadataILi2EEENS1_14UnaryOpFunctorIdLi2ELi1ELi1EEEJNS0_7SigmoidIdEEEEEvT_T0_DpT1_.has_recursion, 0
	.set _ZN2at6native12_GLOBAL__N_125multi_tensor_apply_kernelINS1_18TensorListMetadataILi2EEENS1_14UnaryOpFunctorIdLi2ELi1ELi1EEEJNS0_7SigmoidIdEEEEEvT_T0_DpT1_.has_indirect_call, 0
	.section	.AMDGPU.csdata,"",@progbits
; Kernel info:
; codeLenInByte = 3920
; TotalNumSgprs: 29
; NumVgprs: 50
; ScratchSize: 0
; MemoryBound: 0
; FloatMode: 240
; IeeeMode: 1
; LDSByteSize: 0 bytes/workgroup (compile time only)
; SGPRBlocks: 0
; VGPRBlocks: 3
; NumSGPRsForWavesPerEU: 29
; NumVGPRsForWavesPerEU: 50
; NamedBarCnt: 0
; Occupancy: 16
; WaveLimiterHint : 0
; COMPUTE_PGM_RSRC2:SCRATCH_EN: 0
; COMPUTE_PGM_RSRC2:USER_SGPR: 2
; COMPUTE_PGM_RSRC2:TRAP_HANDLER: 0
; COMPUTE_PGM_RSRC2:TGID_X_EN: 1
; COMPUTE_PGM_RSRC2:TGID_Y_EN: 0
; COMPUTE_PGM_RSRC2:TGID_Z_EN: 0
; COMPUTE_PGM_RSRC2:TIDIG_COMP_CNT: 0
	.section	.text._ZN2at6native12_GLOBAL__N_125multi_tensor_apply_kernelINS1_18TensorListMetadataILi2EEENS1_14UnaryOpFunctorIfLi2ELi1ELi1EEEJNS0_7SigmoidIfEEEEEvT_T0_DpT1_,"axG",@progbits,_ZN2at6native12_GLOBAL__N_125multi_tensor_apply_kernelINS1_18TensorListMetadataILi2EEENS1_14UnaryOpFunctorIfLi2ELi1ELi1EEEJNS0_7SigmoidIfEEEEEvT_T0_DpT1_,comdat
	.globl	_ZN2at6native12_GLOBAL__N_125multi_tensor_apply_kernelINS1_18TensorListMetadataILi2EEENS1_14UnaryOpFunctorIfLi2ELi1ELi1EEEJNS0_7SigmoidIfEEEEEvT_T0_DpT1_ ; -- Begin function _ZN2at6native12_GLOBAL__N_125multi_tensor_apply_kernelINS1_18TensorListMetadataILi2EEENS1_14UnaryOpFunctorIfLi2ELi1ELi1EEEJNS0_7SigmoidIfEEEEEvT_T0_DpT1_
	.p2align	8
	.type	_ZN2at6native12_GLOBAL__N_125multi_tensor_apply_kernelINS1_18TensorListMetadataILi2EEENS1_14UnaryOpFunctorIfLi2ELi1ELi1EEEJNS0_7SigmoidIfEEEEEvT_T0_DpT1_,@function
_ZN2at6native12_GLOBAL__N_125multi_tensor_apply_kernelINS1_18TensorListMetadataILi2EEENS1_14UnaryOpFunctorIfLi2ELi1ELi1EEEJNS0_7SigmoidIfEEEEEvT_T0_DpT1_: ; @_ZN2at6native12_GLOBAL__N_125multi_tensor_apply_kernelINS1_18TensorListMetadataILi2EEENS1_14UnaryOpFunctorIfLi2ELi1ELi1EEEJNS0_7SigmoidIfEEEEEvT_T0_DpT1_
; %bb.0:
	s_bfe_u32 s2, ttmp6, 0x4000c
	s_and_b32 s3, ttmp6, 15
	s_add_co_i32 s2, s2, 1
	s_getreg_b32 s4, hwreg(HW_REG_IB_STS2, 6, 4)
	s_mul_i32 s2, ttmp9, s2
	s_delay_alu instid0(SALU_CYCLE_1)
	s_add_co_i32 s3, s3, s2
	s_cmp_eq_u32 s4, 0
	s_cselect_b32 s2, ttmp9, s3
	s_mov_b32 s3, 0
	s_load_u8 s8, s[0:1], s2 offset:0x600
	s_add_nc_u64 s[4:5], s[0:1], s[2:3]
	s_mul_u64 s[6:7], s[2:3], 3
	s_delay_alu instid0(SALU_CYCLE_1)
	s_add_nc_u64 s[4:5], s[4:5], s[6:7]
	s_load_b32 s14, s[4:5], 0x740
	s_wait_kmcnt 0x0
	s_clause 0x3
	s_load_b64 s[10:11], s[0:1], s8 offset:0x0 scale_offset
	s_load_b64 s[12:13], s[0:1], s8 offset:0x200 scale_offset
	;; [unrolled: 1-line block ×3, first 2 shown]
	s_load_b32 s6, s[0:1], 0xc4c
	s_mov_b32 s5, s3
	s_ashr_i32 s15, s14, 31
	s_wait_xcnt 0x0
	s_lshl_b64 s[8:9], s[14:15], 18
	s_wait_kmcnt 0x0
	s_and_b64 s[20:21], s[12:13], 15
	s_add_nc_u64 s[18:19], s[10:11], s[8:9]
	s_and_b32 s4, s16, 3
	s_and_b32 s2, s18, 15
	s_or_b64 s[4:5], s[20:21], s[4:5]
	s_lshl_b64 s[14:15], s[14:15], 16
	s_or_b64 s[2:3], s[4:5], s[2:3]
	s_sub_nc_u64 s[14:15], s[16:17], s[14:15]
	s_cmp_eq_u64 s[2:3], 0
	s_mov_b32 s2, -1
	s_cbranch_scc0 .LBB246_5
; %bb.1:
	v_min_i64 v[2:3], 0x10000, s[14:15]
	v_dual_mov_b32 v7, 0 :: v_dual_lshlrev_b32 v6, 2, v0
	s_mov_b32 s5, exec_lo
	s_delay_alu instid0(VALU_DEP_1)
	v_cmpx_lt_i64_e64 v[6:7], v[2:3]
	s_cbranch_execz .LBB246_4
; %bb.2:
	s_load_b32 s2, s[0:1], 0xc5c
	v_dual_mov_b32 v1, v7 :: v_dual_lshlrev_b32 v6, 4, v0
	s_mov_b32 s7, s6
	s_mov_b32 s17, 0
	v_mov_b64_e32 v[4:5], s[6:7]
	s_delay_alu instid0(VALU_DEP_2)
	v_add_nc_u64_e32 v[6:7], s[8:9], v[6:7]
	v_mov_b64_e32 v[8:9], v[0:1]
	s_mov_b32 s19, s17
	s_mov_b32 s20, s17
	s_wait_kmcnt 0x0
	s_and_b32 s16, s2, 0xffff
	s_delay_alu instid0(SALU_CYCLE_1)
	s_lshl_b32 s18, s16, 4
.LBB246_3:                              ; =>This Inner Loop Header: Depth=1
	v_add_nc_u64_e32 v[10:11], s[10:11], v[6:7]
	v_add_nc_u64_e32 v[8:9], s[16:17], v[8:9]
	;; [unrolled: 1-line block ×4, first 2 shown]
	global_load_b128 v[10:13], v[10:11], off
	v_lshlrev_b64_e32 v[16:17], 2, v[8:9]
	s_wait_loadcnt 0x0
	v_dual_mul_f32 v1, 0xbfb8aa3b, v10 :: v_dual_mul_f32 v18, 0xbfb8aa3b, v11
	v_dual_mul_f32 v19, 0xbfb8aa3b, v12 :: v_dual_mul_f32 v20, 0xbfb8aa3b, v13
	v_cmp_nlt_f32_e32 vcc_lo, 0x42ce8ed0, v11
	s_delay_alu instid0(VALU_DEP_3)
	v_fma_f32 v21, 0xbfb8aa3b, v10, -v1
	v_rndne_f32_e32 v22, v1
	v_fma_f32 v23, 0xbfb8aa3b, v11, -v18
	v_rndne_f32_e32 v24, v18
	;; [unrolled: 2-line block ×3, first 2 shown]
	v_rndne_f32_e32 v28, v20
	s_delay_alu instid0(VALU_DEP_4)
	v_dual_fmac_f32 v21, 0xb2a5705f, v10 :: v_dual_sub_f32 v18, v18, v24
	v_sub_f32_e32 v1, v1, v22
	v_fmac_f32_e32 v23, 0xb2a5705f, v11
	v_fma_f32 v27, 0xbfb8aa3b, v13, -v20
	v_fmac_f32_e32 v25, 0xb2a5705f, v12
	v_dual_sub_f32 v20, v20, v28 :: v_dual_sub_f32 v19, v19, v26
	s_delay_alu instid0(VALU_DEP_4) | instskip(SKIP_2) | instid1(VALU_DEP_4)
	v_dual_add_f32 v1, v1, v21 :: v_dual_add_f32 v18, v18, v23
	v_cvt_i32_f32_e32 v22, v22
	v_cvt_i32_f32_e32 v24, v24
	v_add_f32_e32 v19, v19, v25
	s_delay_alu instid0(VALU_DEP_4)
	v_exp_f32_e32 v1, v1
	v_exp_f32_e32 v18, v18
	v_cvt_i32_f32_e32 v26, v26
	v_cmp_nlt_f32_e64 s4, 0x42ce8ed0, v10
	v_exp_f32_e32 v19, v19
	v_cmp_nlt_f32_e64 s2, 0x42ce8ed0, v12
	v_cvt_i32_f32_e32 v28, v28
	v_ldexp_f32 v1, v1, v22
	v_ldexp_f32 v18, v18, v24
	v_cmp_nlt_f32_e64 s3, 0x42ce8ed0, v13
	s_delay_alu instid0(TRANS32_DEP_1) | instskip(NEXT) | instid1(VALU_DEP_3)
	v_ldexp_f32 v19, v19, v26
	v_dual_cndmask_b32 v1, 0, v1, s4 :: v_dual_cndmask_b32 v18, 0, v18, vcc_lo
	v_cmp_ngt_f32_e32 vcc_lo, 0xc2b17218, v11
	v_cmp_ngt_f32_e64 s4, 0xc2b17218, v10
	s_delay_alu instid0(VALU_DEP_4) | instskip(SKIP_4) | instid1(VALU_DEP_3)
	v_cndmask_b32_e64 v19, 0, v19, s2
	v_cmp_ngt_f32_e64 s2, 0xc2b17218, v12
	s_wait_xcnt 0x0
	v_cndmask_b32_e32 v11, 0x7f800000, v18, vcc_lo
	v_cndmask_b32_e64 v10, 0x7f800000, v1, s4
	v_cndmask_b32_e64 v12, 0x7f800000, v19, s2
	s_delay_alu instid0(VALU_DEP_2) | instskip(NEXT) | instid1(VALU_DEP_1)
	v_pk_add_f32 v[10:11], v[4:5], v[10:11]
	v_div_scale_f32 v19, null, v10, v10, s6
	s_delay_alu instid0(VALU_DEP_2) | instskip(SKIP_1) | instid1(VALU_DEP_3)
	v_div_scale_f32 v1, null, v11, v11, s7
	v_div_scale_f32 v18, vcc_lo, s7, v11, s7
	v_rcp_f32_e32 v26, v19
	s_delay_alu instid0(VALU_DEP_2) | instskip(NEXT) | instid1(TRANS32_DEP_2)
	v_rcp_f32_e32 v25, v1
	v_fma_f32 v30, -v19, v26, 1.0
	v_fmac_f32_e32 v27, 0xb2a5705f, v13
	s_delay_alu instid0(TRANS32_DEP_1) | instskip(NEXT) | instid1(VALU_DEP_2)
	v_fma_f32 v29, -v1, v25, 1.0
	v_dual_fmac_f32 v26, v30, v26 :: v_dual_add_f32 v20, v20, v27
	s_delay_alu instid0(VALU_DEP_2) | instskip(NEXT) | instid1(VALU_DEP_2)
	v_fmac_f32_e32 v25, v29, v25
	v_exp_f32_e32 v20, v20
	s_delay_alu instid0(VALU_DEP_1) | instskip(NEXT) | instid1(VALU_DEP_1)
	v_mul_f32_e32 v29, v18, v25
	v_fma_f32 v33, -v1, v29, v18
	s_delay_alu instid0(TRANS32_DEP_1) | instskip(NEXT) | instid1(VALU_DEP_1)
	v_ldexp_f32 v20, v20, v28
	v_dual_fmac_f32 v29, v33, v25 :: v_dual_cndmask_b32 v20, 0, v20, s3
	v_cmp_ngt_f32_e64 s3, 0xc2b17218, v13
	s_delay_alu instid0(VALU_DEP_2) | instskip(NEXT) | instid1(VALU_DEP_2)
	v_fma_f32 v1, -v1, v29, v18
	v_cndmask_b32_e64 v13, 0x7f800000, v20, s3
	v_div_scale_f32 v20, s2, s6, v10, s6
	s_delay_alu instid0(VALU_DEP_3) | instskip(SKIP_1) | instid1(VALU_DEP_3)
	v_div_fmas_f32 v1, v1, v25, v29
	s_mov_b32 vcc_lo, s2
	v_pk_add_f32 v[12:13], v[4:5], v[12:13]
	s_delay_alu instid0(VALU_DEP_2) | instskip(NEXT) | instid1(VALU_DEP_2)
	v_div_fixup_f32 v11, v1, v11, s7
	v_div_scale_f32 v21, null, v13, v13, s7
	s_delay_alu instid0(VALU_DEP_3) | instskip(SKIP_1) | instid1(VALU_DEP_3)
	v_div_scale_f32 v23, null, v12, v12, s6
	v_div_scale_f32 v22, s3, s7, v13, s7
	v_rcp_f32_e32 v27, v21
	s_delay_alu instid0(VALU_DEP_2) | instskip(SKIP_1) | instid1(TRANS32_DEP_2)
	v_rcp_f32_e32 v28, v23
	v_div_scale_f32 v24, s4, s6, v12, s6
	v_fma_f32 v31, -v21, v27, 1.0
	s_delay_alu instid0(TRANS32_DEP_1) | instskip(NEXT) | instid1(VALU_DEP_1)
	v_fma_f32 v32, -v23, v28, 1.0
	v_dual_fmac_f32 v27, v31, v27 :: v_dual_fmac_f32 v28, v32, v28
	s_delay_alu instid0(VALU_DEP_1) | instskip(NEXT) | instid1(VALU_DEP_1)
	v_dual_mul_f32 v30, v20, v26 :: v_dual_mul_f32 v31, v22, v27
	v_dual_mul_f32 v32, v24, v28 :: v_dual_fma_f32 v34, -v19, v30, v20
	s_delay_alu instid0(VALU_DEP_1) | instskip(NEXT) | instid1(VALU_DEP_1)
	v_dual_fma_f32 v35, -v21, v31, v22 :: v_dual_fma_f32 v36, -v23, v32, v24
	v_dual_fmac_f32 v30, v34, v26 :: v_dual_fmac_f32 v31, v35, v27
	s_delay_alu instid0(VALU_DEP_2) | instskip(NEXT) | instid1(VALU_DEP_2)
	v_fmac_f32_e32 v32, v36, v28
	v_dual_fma_f32 v18, -v19, v30, v20 :: v_dual_fma_f32 v19, -v21, v31, v22
	s_delay_alu instid0(VALU_DEP_2) | instskip(NEXT) | instid1(VALU_DEP_2)
	v_fma_f32 v20, -v23, v32, v24
	v_div_fmas_f32 v18, v18, v26, v30
	s_mov_b32 vcc_lo, s3
	s_delay_alu instid0(VALU_DEP_3) | instskip(SKIP_1) | instid1(VALU_DEP_2)
	v_div_fmas_f32 v19, v19, v27, v31
	s_mov_b32 vcc_lo, s4
	v_div_fixup_f32 v10, v18, v10, s6
	v_div_fmas_f32 v20, v20, v28, v32
	v_cmp_ge_i64_e32 vcc_lo, v[16:17], v[2:3]
	v_div_fixup_f32 v13, v19, v13, s7
	s_delay_alu instid0(VALU_DEP_3)
	v_div_fixup_f32 v12, v20, v12, s6
	s_or_b32 s20, vcc_lo, s20
	global_store_b128 v[14:15], v[10:13], off
	s_wait_xcnt 0x0
	s_and_not1_b32 exec_lo, exec_lo, s20
	s_cbranch_execnz .LBB246_3
.LBB246_4:
	s_or_b32 exec_lo, exec_lo, s5
	s_mov_b32 s2, 0
.LBB246_5:
	s_delay_alu instid0(SALU_CYCLE_1)
	s_and_not1_b32 vcc_lo, exec_lo, s2
	s_cbranch_vccnz .LBB246_25
; %bb.6:
	v_cmp_lt_i64_e64 s2, s[14:15], 1
	s_and_b32 vcc_lo, exec_lo, s2
	s_cbranch_vccnz .LBB246_25
; %bb.7:
	s_load_b32 s0, s[0:1], 0xc5c
	v_min_i64 v[2:3], 0x10000, s[14:15]
	v_min_u64 v[4:5], 0x10000, s[14:15]
	v_dual_mov_b32 v1, 0 :: v_dual_lshlrev_b32 v10, 2, v0
	s_wait_xcnt 0x0
	s_mov_b32 s1, 0
	s_delay_alu instid0(SALU_CYCLE_1) | instskip(NEXT) | instid1(VALU_DEP_1)
	s_mov_b32 s15, s1
	v_dual_mov_b32 v11, v1 :: v_dual_mov_b32 v27, v1
	s_mov_b32 s3, s1
	s_mov_b32 s5, s1
	s_delay_alu instid0(VALU_DEP_1) | instskip(SKIP_2) | instid1(SALU_CYCLE_1)
	v_add_nc_u64_e32 v[6:7], s[10:11], v[10:11]
	s_wait_kmcnt 0x0
	s_and_b32 s0, s0, 0xffff
	v_add_nc_u64_e32 v[8:9], s[0:1], v[0:1]
	v_mad_nc_u64_u32 v[22:23], s0, 12, v[10:11]
	s_lshl_b32 s14, s0, 3
	s_mul_i32 s4, s0, 3
	v_add_nc_u64_e32 v[18:19], s[14:15], v[10:11]
	s_lshl_b32 s2, s0, 1
	v_add_nc_u64_e32 v[10:11], s[12:13], v[10:11]
	v_lshlrev_b32_e32 v26, 2, v8
	v_add_nc_u64_e32 v[12:13], s[4:5], v[0:1]
	v_add_nc_u64_e32 v[14:15], s[2:3], v[0:1]
	s_lshl_b32 s4, s0, 2
	v_add_nc_u64_e32 v[16:17], s[10:11], v[18:19]
	v_add_nc_u64_e32 v[18:19], s[12:13], v[18:19]
	;; [unrolled: 1-line block ×6, first 2 shown]
	s_lshl_b32 s10, s0, 4
	s_mov_b32 s11, s1
	s_mov_b64 s[12:13], 0
	s_branch .LBB246_9
.LBB246_8:                              ;   in Loop: Header=BB246_9 Depth=1
	s_wait_xcnt 0x0
	s_or_b32 exec_lo, exec_lo, s1
	s_add_nc_u64 s[12:13], s[12:13], s[4:5]
	v_add_nc_u64_e32 v[6:7], s[10:11], v[6:7]
	v_cmp_ge_i64_e32 vcc_lo, s[12:13], v[2:3]
	v_add_nc_u64_e32 v[10:11], s[10:11], v[10:11]
	v_add_nc_u64_e32 v[20:21], s[10:11], v[20:21]
	;; [unrolled: 1-line block ×7, first 2 shown]
	s_cbranch_vccnz .LBB246_25
.LBB246_9:                              ; =>This Inner Loop Header: Depth=1
	s_wait_loadcnt 0x0
	v_add_nc_u64_e32 v[28:29], s[12:13], v[0:1]
	v_mov_b32_e32 v31, 0
	s_delay_alu instid0(VALU_DEP_2)
	v_cmp_lt_u64_e32 vcc_lo, v[28:29], v[4:5]
	s_and_saveexec_b32 s0, vcc_lo
	s_cbranch_execz .LBB246_11
; %bb.10:                               ;   in Loop: Header=BB246_9 Depth=1
	v_add_nc_u64_e32 v[28:29], s[8:9], v[6:7]
	global_load_b32 v31, v[28:29], off
.LBB246_11:                             ;   in Loop: Header=BB246_9 Depth=1
	s_wait_xcnt 0x0
	s_or_b32 exec_lo, exec_lo, s0
	v_add_nc_u64_e32 v[28:29], s[12:13], v[8:9]
	v_mov_b32_e32 v30, 0
	s_delay_alu instid0(VALU_DEP_2)
	v_cmp_lt_u64_e64 s2, v[28:29], v[4:5]
	v_mov_b32_e32 v29, 0
	s_and_saveexec_b32 s0, s2
	s_cbranch_execz .LBB246_13
; %bb.12:                               ;   in Loop: Header=BB246_9 Depth=1
	v_add_nc_u64_e32 v[32:33], s[8:9], v[24:25]
	global_load_b32 v30, v[32:33], off
.LBB246_13:                             ;   in Loop: Header=BB246_9 Depth=1
	s_wait_xcnt 0x0
	s_or_b32 exec_lo, exec_lo, s0
	v_add_nc_u64_e32 v[32:33], s[12:13], v[14:15]
	s_delay_alu instid0(VALU_DEP_1)
	v_cmp_lt_u64_e64 s1, v[32:33], v[4:5]
	s_and_saveexec_b32 s0, s1
	s_cbranch_execz .LBB246_15
; %bb.14:                               ;   in Loop: Header=BB246_9 Depth=1
	v_add_nc_u64_e32 v[28:29], s[8:9], v[16:17]
	global_load_b32 v29, v[28:29], off
.LBB246_15:                             ;   in Loop: Header=BB246_9 Depth=1
	s_wait_xcnt 0x0
	s_or_b32 exec_lo, exec_lo, s0
	v_add_nc_u64_e32 v[32:33], s[12:13], v[12:13]
	v_mov_b32_e32 v28, 0
	s_delay_alu instid0(VALU_DEP_2)
	v_cmp_lt_u64_e64 s0, v[32:33], v[4:5]
	s_and_saveexec_b32 s3, s0
	s_cbranch_execnz .LBB246_20
; %bb.16:                               ;   in Loop: Header=BB246_9 Depth=1
	s_or_b32 exec_lo, exec_lo, s3
	s_and_saveexec_b32 s3, vcc_lo
	s_cbranch_execnz .LBB246_21
.LBB246_17:                             ;   in Loop: Header=BB246_9 Depth=1
	s_or_b32 exec_lo, exec_lo, s3
	s_and_saveexec_b32 s3, s2
	s_cbranch_execnz .LBB246_22
.LBB246_18:                             ;   in Loop: Header=BB246_9 Depth=1
	s_or_b32 exec_lo, exec_lo, s3
	s_and_saveexec_b32 s2, s1
	s_cbranch_execnz .LBB246_23
.LBB246_19:                             ;   in Loop: Header=BB246_9 Depth=1
	s_or_b32 exec_lo, exec_lo, s2
	s_and_saveexec_b32 s1, s0
	s_cbranch_execz .LBB246_8
	s_branch .LBB246_24
.LBB246_20:                             ;   in Loop: Header=BB246_9 Depth=1
	v_add_nc_u64_e32 v[32:33], s[8:9], v[20:21]
	global_load_b32 v28, v[32:33], off
	s_wait_xcnt 0x0
	s_or_b32 exec_lo, exec_lo, s3
	s_and_saveexec_b32 s3, vcc_lo
	s_cbranch_execz .LBB246_17
.LBB246_21:                             ;   in Loop: Header=BB246_9 Depth=1
	s_wait_loadcnt 0x0
	v_mul_f32_e32 v32, 0xbfb8aa3b, v31
	v_cmp_nlt_f32_e32 vcc_lo, 0x42ce8ed0, v31
	s_delay_alu instid0(VALU_DEP_2) | instskip(SKIP_1) | instid1(VALU_DEP_2)
	v_rndne_f32_e32 v33, v32
	v_fma_f32 v34, 0xbfb8aa3b, v31, -v32
	v_sub_f32_e32 v32, v32, v33
	s_delay_alu instid0(VALU_DEP_2) | instskip(SKIP_1) | instid1(VALU_DEP_2)
	v_fmac_f32_e32 v34, 0xb2a5705f, v31
	v_cvt_i32_f32_e32 v33, v33
	v_add_f32_e32 v32, v32, v34
	s_delay_alu instid0(VALU_DEP_1) | instskip(SKIP_1) | instid1(TRANS32_DEP_1)
	v_exp_f32_e32 v32, v32
	v_nop
	v_ldexp_f32 v32, v32, v33
	s_delay_alu instid0(VALU_DEP_1) | instskip(SKIP_1) | instid1(VALU_DEP_2)
	v_cndmask_b32_e32 v32, 0, v32, vcc_lo
	v_cmp_ngt_f32_e32 vcc_lo, 0xc2b17218, v31
	v_cndmask_b32_e32 v31, 0x7f800000, v32, vcc_lo
	s_delay_alu instid0(VALU_DEP_1) | instskip(NEXT) | instid1(VALU_DEP_1)
	v_add_f32_e32 v31, s6, v31
	v_div_scale_f32 v32, null, v31, v31, s6
	s_delay_alu instid0(VALU_DEP_1) | instskip(SKIP_1) | instid1(TRANS32_DEP_1)
	v_rcp_f32_e32 v33, v32
	v_nop
	v_fma_f32 v34, -v32, v33, 1.0
	s_delay_alu instid0(VALU_DEP_1) | instskip(SKIP_1) | instid1(VALU_DEP_1)
	v_fmac_f32_e32 v33, v34, v33
	v_div_scale_f32 v34, vcc_lo, s6, v31, s6
	v_mul_f32_e32 v35, v34, v33
	s_delay_alu instid0(VALU_DEP_1) | instskip(NEXT) | instid1(VALU_DEP_1)
	v_fma_f32 v36, -v32, v35, v34
	v_fmac_f32_e32 v35, v36, v33
	s_delay_alu instid0(VALU_DEP_1) | instskip(NEXT) | instid1(VALU_DEP_1)
	v_fma_f32 v32, -v32, v35, v34
	v_div_fmas_f32 v34, v32, v33, v35
	v_add_nc_u64_e32 v[32:33], s[8:9], v[10:11]
	s_delay_alu instid0(VALU_DEP_2)
	v_div_fixup_f32 v31, v34, v31, s6
	global_store_b32 v[32:33], v31, off
	s_wait_xcnt 0x0
	s_or_b32 exec_lo, exec_lo, s3
	s_and_saveexec_b32 s3, s2
	s_cbranch_execz .LBB246_18
.LBB246_22:                             ;   in Loop: Header=BB246_9 Depth=1
	s_wait_loadcnt 0x0
	v_mul_f32_e32 v31, 0xbfb8aa3b, v30
	v_cmp_nlt_f32_e32 vcc_lo, 0x42ce8ed0, v30
	s_delay_alu instid0(VALU_DEP_2) | instskip(SKIP_1) | instid1(VALU_DEP_2)
	v_rndne_f32_e32 v32, v31
	v_fma_f32 v33, 0xbfb8aa3b, v30, -v31
	v_sub_f32_e32 v31, v31, v32
	s_delay_alu instid0(VALU_DEP_2) | instskip(SKIP_1) | instid1(VALU_DEP_2)
	v_fmac_f32_e32 v33, 0xb2a5705f, v30
	v_cvt_i32_f32_e32 v32, v32
	v_add_f32_e32 v31, v31, v33
	s_delay_alu instid0(VALU_DEP_1) | instskip(SKIP_1) | instid1(TRANS32_DEP_1)
	v_exp_f32_e32 v31, v31
	v_nop
	v_ldexp_f32 v31, v31, v32
	s_delay_alu instid0(VALU_DEP_1) | instskip(SKIP_1) | instid1(VALU_DEP_2)
	v_cndmask_b32_e32 v31, 0, v31, vcc_lo
	v_cmp_ngt_f32_e32 vcc_lo, 0xc2b17218, v30
	v_cndmask_b32_e32 v30, 0x7f800000, v31, vcc_lo
	s_delay_alu instid0(VALU_DEP_1) | instskip(NEXT) | instid1(VALU_DEP_1)
	v_add_f32_e32 v32, s6, v30
	v_div_scale_f32 v30, null, v32, v32, s6
	s_delay_alu instid0(VALU_DEP_1) | instskip(SKIP_1) | instid1(TRANS32_DEP_1)
	v_rcp_f32_e32 v31, v30
	v_nop
	v_fma_f32 v33, -v30, v31, 1.0
	s_delay_alu instid0(VALU_DEP_1) | instskip(SKIP_1) | instid1(VALU_DEP_1)
	v_fmac_f32_e32 v31, v33, v31
	v_div_scale_f32 v33, vcc_lo, s6, v32, s6
	v_mul_f32_e32 v34, v33, v31
	s_delay_alu instid0(VALU_DEP_1) | instskip(NEXT) | instid1(VALU_DEP_1)
	v_fma_f32 v35, -v30, v34, v33
	v_fmac_f32_e32 v34, v35, v31
	s_delay_alu instid0(VALU_DEP_1) | instskip(NEXT) | instid1(VALU_DEP_1)
	v_fma_f32 v30, -v30, v34, v33
	v_div_fmas_f32 v33, v30, v31, v34
	v_add_nc_u64_e32 v[30:31], s[8:9], v[26:27]
	s_delay_alu instid0(VALU_DEP_2)
	v_div_fixup_f32 v32, v33, v32, s6
	global_store_b32 v[30:31], v32, off
	s_wait_xcnt 0x0
	s_or_b32 exec_lo, exec_lo, s3
	s_and_saveexec_b32 s2, s1
	s_cbranch_execz .LBB246_19
.LBB246_23:                             ;   in Loop: Header=BB246_9 Depth=1
	s_wait_loadcnt 0x0
	v_mul_f32_e32 v30, 0xbfb8aa3b, v29
	v_cmp_nlt_f32_e32 vcc_lo, 0x42ce8ed0, v29
	s_delay_alu instid0(VALU_DEP_2) | instskip(SKIP_1) | instid1(VALU_DEP_2)
	v_rndne_f32_e32 v31, v30
	v_fma_f32 v32, 0xbfb8aa3b, v29, -v30
	v_sub_f32_e32 v30, v30, v31
	s_delay_alu instid0(VALU_DEP_2) | instskip(SKIP_1) | instid1(VALU_DEP_2)
	v_fmac_f32_e32 v32, 0xb2a5705f, v29
	v_cvt_i32_f32_e32 v31, v31
	v_add_f32_e32 v30, v30, v32
	s_delay_alu instid0(VALU_DEP_1) | instskip(SKIP_1) | instid1(TRANS32_DEP_1)
	v_exp_f32_e32 v30, v30
	v_nop
	v_ldexp_f32 v30, v30, v31
	s_delay_alu instid0(VALU_DEP_1) | instskip(SKIP_1) | instid1(VALU_DEP_2)
	v_cndmask_b32_e32 v30, 0, v30, vcc_lo
	v_cmp_ngt_f32_e32 vcc_lo, 0xc2b17218, v29
	v_cndmask_b32_e32 v29, 0x7f800000, v30, vcc_lo
	s_delay_alu instid0(VALU_DEP_1) | instskip(NEXT) | instid1(VALU_DEP_1)
	v_add_f32_e32 v29, s6, v29
	v_div_scale_f32 v30, null, v29, v29, s6
	s_delay_alu instid0(VALU_DEP_1) | instskip(SKIP_1) | instid1(TRANS32_DEP_1)
	v_rcp_f32_e32 v31, v30
	v_nop
	v_fma_f32 v32, -v30, v31, 1.0
	s_delay_alu instid0(VALU_DEP_1) | instskip(SKIP_1) | instid1(VALU_DEP_1)
	v_fmac_f32_e32 v31, v32, v31
	v_div_scale_f32 v32, vcc_lo, s6, v29, s6
	v_mul_f32_e32 v33, v32, v31
	s_delay_alu instid0(VALU_DEP_1) | instskip(NEXT) | instid1(VALU_DEP_1)
	v_fma_f32 v34, -v30, v33, v32
	v_fmac_f32_e32 v33, v34, v31
	s_delay_alu instid0(VALU_DEP_1) | instskip(NEXT) | instid1(VALU_DEP_1)
	v_fma_f32 v30, -v30, v33, v32
	v_div_fmas_f32 v32, v30, v31, v33
	v_add_nc_u64_e32 v[30:31], s[8:9], v[18:19]
	s_delay_alu instid0(VALU_DEP_2)
	v_div_fixup_f32 v29, v32, v29, s6
	global_store_b32 v[30:31], v29, off
	s_wait_xcnt 0x0
	s_or_b32 exec_lo, exec_lo, s2
	s_and_saveexec_b32 s1, s0
	s_cbranch_execz .LBB246_8
.LBB246_24:                             ;   in Loop: Header=BB246_9 Depth=1
	s_wait_loadcnt 0x0
	v_mul_f32_e32 v29, 0xbfb8aa3b, v28
	v_cmp_nlt_f32_e32 vcc_lo, 0x42ce8ed0, v28
	s_delay_alu instid0(VALU_DEP_2) | instskip(SKIP_1) | instid1(VALU_DEP_2)
	v_rndne_f32_e32 v30, v29
	v_fma_f32 v31, 0xbfb8aa3b, v28, -v29
	v_sub_f32_e32 v29, v29, v30
	s_delay_alu instid0(VALU_DEP_2) | instskip(SKIP_1) | instid1(VALU_DEP_2)
	v_fmac_f32_e32 v31, 0xb2a5705f, v28
	v_cvt_i32_f32_e32 v30, v30
	v_add_f32_e32 v29, v29, v31
	s_delay_alu instid0(VALU_DEP_1) | instskip(SKIP_1) | instid1(TRANS32_DEP_1)
	v_exp_f32_e32 v29, v29
	v_nop
	v_ldexp_f32 v29, v29, v30
	s_delay_alu instid0(VALU_DEP_1) | instskip(SKIP_1) | instid1(VALU_DEP_2)
	v_cndmask_b32_e32 v29, 0, v29, vcc_lo
	v_cmp_ngt_f32_e32 vcc_lo, 0xc2b17218, v28
	v_cndmask_b32_e32 v28, 0x7f800000, v29, vcc_lo
	s_delay_alu instid0(VALU_DEP_1) | instskip(NEXT) | instid1(VALU_DEP_1)
	v_add_f32_e32 v30, s6, v28
	v_div_scale_f32 v28, null, v30, v30, s6
	s_delay_alu instid0(VALU_DEP_1) | instskip(SKIP_1) | instid1(TRANS32_DEP_1)
	v_rcp_f32_e32 v29, v28
	v_nop
	v_fma_f32 v31, -v28, v29, 1.0
	s_delay_alu instid0(VALU_DEP_1) | instskip(SKIP_1) | instid1(VALU_DEP_1)
	v_fmac_f32_e32 v29, v31, v29
	v_div_scale_f32 v31, vcc_lo, s6, v30, s6
	v_mul_f32_e32 v32, v31, v29
	s_delay_alu instid0(VALU_DEP_1) | instskip(NEXT) | instid1(VALU_DEP_1)
	v_fma_f32 v33, -v28, v32, v31
	v_fmac_f32_e32 v32, v33, v29
	s_delay_alu instid0(VALU_DEP_1) | instskip(NEXT) | instid1(VALU_DEP_1)
	v_fma_f32 v28, -v28, v32, v31
	v_div_fmas_f32 v31, v28, v29, v32
	v_add_nc_u64_e32 v[28:29], s[8:9], v[22:23]
	s_delay_alu instid0(VALU_DEP_2)
	v_div_fixup_f32 v30, v31, v30, s6
	global_store_b32 v[28:29], v30, off
	s_branch .LBB246_8
.LBB246_25:
	s_endpgm
	.section	.rodata,"a",@progbits
	.p2align	6, 0x0
	.amdhsa_kernel _ZN2at6native12_GLOBAL__N_125multi_tensor_apply_kernelINS1_18TensorListMetadataILi2EEENS1_14UnaryOpFunctorIfLi2ELi1ELi1EEEJNS0_7SigmoidIfEEEEEvT_T0_DpT1_
		.amdhsa_group_segment_fixed_size 0
		.amdhsa_private_segment_fixed_size 0
		.amdhsa_kernarg_size 3408
		.amdhsa_user_sgpr_count 2
		.amdhsa_user_sgpr_dispatch_ptr 0
		.amdhsa_user_sgpr_queue_ptr 0
		.amdhsa_user_sgpr_kernarg_segment_ptr 1
		.amdhsa_user_sgpr_dispatch_id 0
		.amdhsa_user_sgpr_kernarg_preload_length 0
		.amdhsa_user_sgpr_kernarg_preload_offset 0
		.amdhsa_user_sgpr_private_segment_size 0
		.amdhsa_wavefront_size32 1
		.amdhsa_uses_dynamic_stack 0
		.amdhsa_enable_private_segment 0
		.amdhsa_system_sgpr_workgroup_id_x 1
		.amdhsa_system_sgpr_workgroup_id_y 0
		.amdhsa_system_sgpr_workgroup_id_z 0
		.amdhsa_system_sgpr_workgroup_info 0
		.amdhsa_system_vgpr_workitem_id 0
		.amdhsa_next_free_vgpr 37
		.amdhsa_next_free_sgpr 22
		.amdhsa_named_barrier_count 0
		.amdhsa_reserve_vcc 1
		.amdhsa_float_round_mode_32 0
		.amdhsa_float_round_mode_16_64 0
		.amdhsa_float_denorm_mode_32 3
		.amdhsa_float_denorm_mode_16_64 3
		.amdhsa_fp16_overflow 0
		.amdhsa_memory_ordered 1
		.amdhsa_forward_progress 1
		.amdhsa_inst_pref_size 21
		.amdhsa_round_robin_scheduling 0
		.amdhsa_exception_fp_ieee_invalid_op 0
		.amdhsa_exception_fp_denorm_src 0
		.amdhsa_exception_fp_ieee_div_zero 0
		.amdhsa_exception_fp_ieee_overflow 0
		.amdhsa_exception_fp_ieee_underflow 0
		.amdhsa_exception_fp_ieee_inexact 0
		.amdhsa_exception_int_div_zero 0
	.end_amdhsa_kernel
	.section	.text._ZN2at6native12_GLOBAL__N_125multi_tensor_apply_kernelINS1_18TensorListMetadataILi2EEENS1_14UnaryOpFunctorIfLi2ELi1ELi1EEEJNS0_7SigmoidIfEEEEEvT_T0_DpT1_,"axG",@progbits,_ZN2at6native12_GLOBAL__N_125multi_tensor_apply_kernelINS1_18TensorListMetadataILi2EEENS1_14UnaryOpFunctorIfLi2ELi1ELi1EEEJNS0_7SigmoidIfEEEEEvT_T0_DpT1_,comdat
.Lfunc_end246:
	.size	_ZN2at6native12_GLOBAL__N_125multi_tensor_apply_kernelINS1_18TensorListMetadataILi2EEENS1_14UnaryOpFunctorIfLi2ELi1ELi1EEEJNS0_7SigmoidIfEEEEEvT_T0_DpT1_, .Lfunc_end246-_ZN2at6native12_GLOBAL__N_125multi_tensor_apply_kernelINS1_18TensorListMetadataILi2EEENS1_14UnaryOpFunctorIfLi2ELi1ELi1EEEJNS0_7SigmoidIfEEEEEvT_T0_DpT1_
                                        ; -- End function
	.set _ZN2at6native12_GLOBAL__N_125multi_tensor_apply_kernelINS1_18TensorListMetadataILi2EEENS1_14UnaryOpFunctorIfLi2ELi1ELi1EEEJNS0_7SigmoidIfEEEEEvT_T0_DpT1_.num_vgpr, 37
	.set _ZN2at6native12_GLOBAL__N_125multi_tensor_apply_kernelINS1_18TensorListMetadataILi2EEENS1_14UnaryOpFunctorIfLi2ELi1ELi1EEEJNS0_7SigmoidIfEEEEEvT_T0_DpT1_.num_agpr, 0
	.set _ZN2at6native12_GLOBAL__N_125multi_tensor_apply_kernelINS1_18TensorListMetadataILi2EEENS1_14UnaryOpFunctorIfLi2ELi1ELi1EEEJNS0_7SigmoidIfEEEEEvT_T0_DpT1_.numbered_sgpr, 22
	.set _ZN2at6native12_GLOBAL__N_125multi_tensor_apply_kernelINS1_18TensorListMetadataILi2EEENS1_14UnaryOpFunctorIfLi2ELi1ELi1EEEJNS0_7SigmoidIfEEEEEvT_T0_DpT1_.num_named_barrier, 0
	.set _ZN2at6native12_GLOBAL__N_125multi_tensor_apply_kernelINS1_18TensorListMetadataILi2EEENS1_14UnaryOpFunctorIfLi2ELi1ELi1EEEJNS0_7SigmoidIfEEEEEvT_T0_DpT1_.private_seg_size, 0
	.set _ZN2at6native12_GLOBAL__N_125multi_tensor_apply_kernelINS1_18TensorListMetadataILi2EEENS1_14UnaryOpFunctorIfLi2ELi1ELi1EEEJNS0_7SigmoidIfEEEEEvT_T0_DpT1_.uses_vcc, 1
	.set _ZN2at6native12_GLOBAL__N_125multi_tensor_apply_kernelINS1_18TensorListMetadataILi2EEENS1_14UnaryOpFunctorIfLi2ELi1ELi1EEEJNS0_7SigmoidIfEEEEEvT_T0_DpT1_.uses_flat_scratch, 0
	.set _ZN2at6native12_GLOBAL__N_125multi_tensor_apply_kernelINS1_18TensorListMetadataILi2EEENS1_14UnaryOpFunctorIfLi2ELi1ELi1EEEJNS0_7SigmoidIfEEEEEvT_T0_DpT1_.has_dyn_sized_stack, 0
	.set _ZN2at6native12_GLOBAL__N_125multi_tensor_apply_kernelINS1_18TensorListMetadataILi2EEENS1_14UnaryOpFunctorIfLi2ELi1ELi1EEEJNS0_7SigmoidIfEEEEEvT_T0_DpT1_.has_recursion, 0
	.set _ZN2at6native12_GLOBAL__N_125multi_tensor_apply_kernelINS1_18TensorListMetadataILi2EEENS1_14UnaryOpFunctorIfLi2ELi1ELi1EEEJNS0_7SigmoidIfEEEEEvT_T0_DpT1_.has_indirect_call, 0
	.section	.AMDGPU.csdata,"",@progbits
; Kernel info:
; codeLenInByte = 2656
; TotalNumSgprs: 24
; NumVgprs: 37
; ScratchSize: 0
; MemoryBound: 0
; FloatMode: 240
; IeeeMode: 1
; LDSByteSize: 0 bytes/workgroup (compile time only)
; SGPRBlocks: 0
; VGPRBlocks: 2
; NumSGPRsForWavesPerEU: 24
; NumVGPRsForWavesPerEU: 37
; NamedBarCnt: 0
; Occupancy: 16
; WaveLimiterHint : 0
; COMPUTE_PGM_RSRC2:SCRATCH_EN: 0
; COMPUTE_PGM_RSRC2:USER_SGPR: 2
; COMPUTE_PGM_RSRC2:TRAP_HANDLER: 0
; COMPUTE_PGM_RSRC2:TGID_X_EN: 1
; COMPUTE_PGM_RSRC2:TGID_Y_EN: 0
; COMPUTE_PGM_RSRC2:TGID_Z_EN: 0
; COMPUTE_PGM_RSRC2:TIDIG_COMP_CNT: 0
	.section	.text._ZN2at6native12_GLOBAL__N_125multi_tensor_apply_kernelINS1_18TensorListMetadataILi2EEENS1_14UnaryOpFunctorIN3c107complexIdEELi2ELi1ELi1EEEJNS0_7SigmoidIS8_EEEEEvT_T0_DpT1_,"axG",@progbits,_ZN2at6native12_GLOBAL__N_125multi_tensor_apply_kernelINS1_18TensorListMetadataILi2EEENS1_14UnaryOpFunctorIN3c107complexIdEELi2ELi1ELi1EEEJNS0_7SigmoidIS8_EEEEEvT_T0_DpT1_,comdat
	.globl	_ZN2at6native12_GLOBAL__N_125multi_tensor_apply_kernelINS1_18TensorListMetadataILi2EEENS1_14UnaryOpFunctorIN3c107complexIdEELi2ELi1ELi1EEEJNS0_7SigmoidIS8_EEEEEvT_T0_DpT1_ ; -- Begin function _ZN2at6native12_GLOBAL__N_125multi_tensor_apply_kernelINS1_18TensorListMetadataILi2EEENS1_14UnaryOpFunctorIN3c107complexIdEELi2ELi1ELi1EEEJNS0_7SigmoidIS8_EEEEEvT_T0_DpT1_
	.p2align	8
	.type	_ZN2at6native12_GLOBAL__N_125multi_tensor_apply_kernelINS1_18TensorListMetadataILi2EEENS1_14UnaryOpFunctorIN3c107complexIdEELi2ELi1ELi1EEEJNS0_7SigmoidIS8_EEEEEvT_T0_DpT1_,@function
_ZN2at6native12_GLOBAL__N_125multi_tensor_apply_kernelINS1_18TensorListMetadataILi2EEENS1_14UnaryOpFunctorIN3c107complexIdEELi2ELi1ELi1EEEJNS0_7SigmoidIS8_EEEEEvT_T0_DpT1_: ; @_ZN2at6native12_GLOBAL__N_125multi_tensor_apply_kernelINS1_18TensorListMetadataILi2EEENS1_14UnaryOpFunctorIN3c107complexIdEELi2ELi1ELi1EEEJNS0_7SigmoidIS8_EEEEEvT_T0_DpT1_
; %bb.0:
	s_bfe_u32 s2, ttmp6, 0x4000c
	s_and_b32 s3, ttmp6, 15
	s_add_co_i32 s2, s2, 1
	s_getreg_b32 s4, hwreg(HW_REG_IB_STS2, 6, 4)
	s_mul_i32 s2, ttmp9, s2
	s_delay_alu instid0(SALU_CYCLE_1) | instskip(SKIP_3) | instid1(SALU_CYCLE_1)
	s_add_co_i32 s2, s3, s2
	s_cmp_eq_u32 s4, 0
	s_mov_b32 s3, 0
	s_cselect_b32 s2, ttmp9, s2
	s_add_nc_u64 s[4:5], s[0:1], s[2:3]
	s_mul_u64 s[6:7], s[2:3], 3
	s_delay_alu instid0(SALU_CYCLE_1)
	s_add_nc_u64 s[4:5], s[4:5], s[6:7]
	s_clause 0x1
	s_load_b32 s6, s[4:5], 0x740
	s_load_u8 s7, s[0:1], s2 offset:0x600
	s_wait_kmcnt 0x0
	s_clause 0x3
	s_load_b64 s[4:5], s[0:1], s7 offset:0x0 scale_offset
	s_load_b64 s[14:15], s[0:1], s7 offset:0x200 scale_offset
	;; [unrolled: 1-line block ×3, first 2 shown]
	s_load_b128 s[8:11], s[0:1], 0xc50
	s_wait_xcnt 0x0
	s_ashr_i32 s7, s6, 31
	s_delay_alu instid0(SALU_CYCLE_1)
	s_lshl_b64 s[18:19], s[6:7], 20
	s_lshl_b64 s[6:7], s[6:7], 16
	s_wait_kmcnt 0x0
	s_add_nc_u64 s[12:13], s[4:5], s[18:19]
	s_add_nc_u64 s[14:15], s[14:15], s[18:19]
	s_and_b32 s4, s16, 3
	s_and_b64 s[18:19], s[14:15], 63
	s_mov_b32 s5, s3
	s_and_b32 s2, s12, 63
	s_or_b64 s[4:5], s[18:19], s[4:5]
	s_sub_nc_u64 s[6:7], s[16:17], s[6:7]
	s_or_b64 s[2:3], s[4:5], s[2:3]
	s_delay_alu instid0(SALU_CYCLE_1)
	s_cmp_eq_u64 s[2:3], 0
	s_mov_b32 s2, -1
	s_cbranch_scc0 .LBB247_213
; %bb.1:
	v_min_i64 v[18:19], 0x10000, s[6:7]
	v_dual_mov_b32 v20, 0 :: v_dual_lshlrev_b32 v2, 2, v0
	s_mov_b32 s33, exec_lo
	s_delay_alu instid0(VALU_DEP_1) | instskip(NEXT) | instid1(VALU_DEP_1)
	v_mov_b32_e32 v3, v20
	v_cmpx_lt_i64_e64 v[2:3], v[18:19]
	s_cbranch_execz .LBB247_212
; %bb.2:
	s_load_b32 s2, s[0:1], 0xc6c
	v_dual_mov_b32 v1, v20 :: v_dual_lshlrev_b32 v22, 6, v0
	v_mov_b64_e32 v[24:25], 0x3e928af3fca7ab0c
	v_mov_b64_e32 v[26:27], 0x3e21eeb69037ab78
	;; [unrolled: 1-line block ×3, first 2 shown]
	s_delay_alu instid0(VALU_DEP_4)
	v_mov_b64_e32 v[30:31], v[0:1]
	v_mov_b32_e32 v23, v20
	s_mov_b32 s17, 0
	s_mov_b64 s[18:19], 0x3ff921fb54442d18
	s_mov_b64 s[20:21], 0x3fe45f306dc9c883
	s_mov_b64 s[22:23], 0xbff921fb54442d18
	s_mov_b64 s[24:25], 0xbfe62e42fefa39ef
	s_mov_b64 s[26:27], 0xc0937be319ba0da4
	s_mov_b32 s36, 0xfffff
	s_mov_b32 s29, s17
	;; [unrolled: 1-line block ×3, first 2 shown]
	s_mov_b64 s[30:31], s[12:13]
	s_mov_b64 s[34:35], s[14:15]
                                        ; implicit-def: $vgpr2_vgpr3
                                        ; implicit-def: $vgpr2_vgpr3
                                        ; implicit-def: $vgpr2_vgpr3
                                        ; implicit-def: $vgpr2_vgpr3
                                        ; implicit-def: $vgpr2_vgpr3
                                        ; implicit-def: $vgpr2_vgpr3
                                        ; implicit-def: $vgpr2_vgpr3
                                        ; implicit-def: $vgpr2_vgpr3
                                        ; implicit-def: $vgpr2_vgpr3
                                        ; implicit-def: $vgpr2_vgpr3
                                        ; implicit-def: $vgpr2_vgpr3
                                        ; implicit-def: $vgpr2_vgpr3
                                        ; implicit-def: $vgpr2_vgpr3
                                        ; implicit-def: $vgpr2_vgpr3
                                        ; implicit-def: $vgpr2_vgpr3
	s_wait_kmcnt 0x0
	s_and_b32 s16, s2, 0xffff
	s_delay_alu instid0(SALU_CYCLE_1)
	s_lshl_b32 s28, s16, 6
	s_branch .LBB247_4
.LBB247_3:                              ;   in Loop: Header=BB247_4 Depth=1
	s_or_b32 exec_lo, exec_lo, s2
	v_add_nc_u64_e32 v[30:31], s[16:17], v[30:31]
	v_add_nc_u64_e32 v[34:35], s[34:35], v[22:23]
	s_add_nc_u64 s[34:35], s[34:35], s[28:29]
	s_add_nc_u64 s[30:31], s[30:31], s[28:29]
	s_clause 0x1
	global_store_b128 v[34:35], v[6:9], off
	global_store_b128 v[34:35], v[14:17], off offset:16
	v_lshlrev_b64_e32 v[32:33], 2, v[30:31]
	s_clause 0x1
	global_store_b128 v[34:35], v[10:13], off offset:32
	global_store_b128 v[34:35], v[2:5], off offset:48
	v_cmp_ge_i64_e32 vcc_lo, v[32:33], v[18:19]
	s_or_b32 s37, vcc_lo, s37
	s_wait_xcnt 0x0
	s_and_not1_b32 exec_lo, exec_lo, s37
	s_cbranch_execz .LBB247_212
.LBB247_4:                              ; =>This Inner Loop Header: Depth=1
	v_add_nc_u64_e32 v[32:33], s[30:31], v[22:23]
                                        ; implicit-def: $vgpr34_vgpr35
	s_mov_b32 s2, exec_lo
	s_clause 0x3
	global_load_b128 v[6:9], v[32:33], off
	global_load_b128 v[14:17], v[32:33], off offset:16
	global_load_b128 v[2:5], v[32:33], off offset:48
	;; [unrolled: 1-line block ×3, first 2 shown]
	s_wait_loadcnt 0x3
	s_wait_xcnt 0x0
	v_xor_b32_e32 v33, 0x80000000, v9
	v_mov_b32_e32 v32, v8
	s_delay_alu instid0(VALU_DEP_2) | instskip(NEXT) | instid1(VALU_DEP_1)
	v_and_b32_e32 v21, 0x7fffffff, v33
	v_or_b32_e32 v1, v21, v8
	s_delay_alu instid0(VALU_DEP_1)
	v_cmpx_ne_u32_e32 0, v1
	s_xor_b32 s38, exec_lo, s2
	s_cbranch_execz .LBB247_46
; %bb.5:                                ;   in Loop: Header=BB247_4 Depth=1
	v_xor_b32_e32 v37, 0x80000000, v7
                                        ; implicit-def: $vgpr34_vgpr35
	s_mov_b32 s2, exec_lo
	v_mov_b32_e32 v36, v6
	s_delay_alu instid0(VALU_DEP_2) | instskip(NEXT) | instid1(VALU_DEP_1)
	v_and_b32_e32 v1, 0x7fffffff, v37
	v_or_b32_e32 v32, v1, v6
	s_delay_alu instid0(VALU_DEP_1)
	v_cmpx_ne_u32_e32 0, v32
	s_xor_b32 s39, exec_lo, s2
	s_cbranch_execz .LBB247_35
; %bb.6:                                ;   in Loop: Header=BB247_4 Depth=1
                                        ; implicit-def: $vgpr34_vgpr35
	s_mov_b32 s2, exec_lo
	v_cmpx_gt_u32_e32 0x7ff00000, v21
	s_xor_b32 s40, exec_lo, s2
	s_cbranch_execz .LBB247_28
; %bb.7:                                ;   in Loop: Header=BB247_4 Depth=1
	v_add_nc_u32_e32 v1, 0xbf79d1be, v37
                                        ; implicit-def: $vgpr34_vgpr35
	s_mov_b32 s2, exec_lo
	s_delay_alu instid0(VALU_DEP_1)
	v_cmpx_lt_u32_e32 0x108aa2, v1
	s_xor_b32 s41, exec_lo, s2
	s_cbranch_execz .LBB247_17
; %bb.8:                                ;   in Loop: Header=BB247_4 Depth=1
	v_cmp_ngt_f64_e64 s2, 0x41d00000, |v[8:9]|
                                        ; implicit-def: $vgpr1
                                        ; implicit-def: $vgpr34_vgpr35
                                        ; implicit-def: $vgpr36_vgpr37
	s_and_saveexec_b32 s3, s2
	s_delay_alu instid0(SALU_CYCLE_1)
	s_xor_b32 s3, exec_lo, s3
	s_cbranch_execz .LBB247_10
; %bb.9:                                ;   in Loop: Header=BB247_4 Depth=1
	v_ldexp_f64 v[34:35], |v[8:9]|, 0xffffff80
	v_cmp_le_f64_e64 vcc_lo, 0x7b000000, |v[8:9]|
	v_trig_preop_f64 v[36:37], |v[8:9]|, 0
	v_and_b32_e32 v1, 0x7fffffff, v9
	v_trig_preop_f64 v[38:39], |v[8:9]|, 1
	v_trig_preop_f64 v[48:49], |v[8:9]|, 2
	s_delay_alu instid0(VALU_DEP_3) | instskip(NEXT) | instid1(VALU_DEP_1)
	v_dual_cndmask_b32 v35, v1, v35 :: v_dual_cndmask_b32 v34, v8, v34
	v_mul_f64_e32 v[40:41], v[36:37], v[34:35]
	s_delay_alu instid0(VALU_DEP_4) | instskip(NEXT) | instid1(VALU_DEP_4)
	v_mul_f64_e32 v[42:43], v[38:39], v[34:35]
	v_mul_f64_e32 v[54:55], v[48:49], v[34:35]
	s_delay_alu instid0(VALU_DEP_3) | instskip(NEXT) | instid1(VALU_DEP_3)
	v_fma_f64 v[36:37], v[36:37], v[34:35], -v[40:41]
	v_fma_f64 v[38:39], v[38:39], v[34:35], -v[42:43]
	s_delay_alu instid0(VALU_DEP_3) | instskip(NEXT) | instid1(VALU_DEP_3)
	v_fma_f64 v[34:35], v[48:49], v[34:35], -v[54:55]
	v_add_f64_e32 v[44:45], v[42:43], v[36:37]
	s_delay_alu instid0(VALU_DEP_1) | instskip(SKIP_1) | instid1(VALU_DEP_2)
	v_add_f64_e64 v[46:47], v[44:45], -v[42:43]
	v_add_f64_e32 v[52:53], v[40:41], v[44:45]
	v_add_f64_e64 v[50:51], v[44:45], -v[46:47]
	v_add_f64_e64 v[36:37], v[36:37], -v[46:47]
	s_delay_alu instid0(VALU_DEP_3) | instskip(NEXT) | instid1(VALU_DEP_3)
	v_ldexp_f64 v[46:47], v[52:53], -2
	v_add_f64_e64 v[42:43], v[42:43], -v[50:51]
	v_add_f64_e32 v[50:51], v[54:55], v[38:39]
	s_delay_alu instid0(VALU_DEP_3) | instskip(NEXT) | instid1(VALU_DEP_3)
	v_cmp_neq_f64_e64 vcc_lo, 0x7ff00000, |v[46:47]|
	v_add_f64_e32 v[36:37], v[36:37], v[42:43]
	v_fract_f64_e32 v[42:43], v[46:47]
	s_delay_alu instid0(VALU_DEP_1) | instskip(NEXT) | instid1(VALU_DEP_1)
	v_ldexp_f64 v[42:43], v[42:43], 2
	v_dual_add_f64 v[40:41], v[52:53], -v[40:41] :: v_dual_cndmask_b32 v42, 0, v42, vcc_lo
	s_delay_alu instid0(VALU_DEP_1) | instskip(SKIP_1) | instid1(VALU_DEP_1)
	v_dual_add_f64 v[40:41], v[44:45], -v[40:41] :: v_dual_cndmask_b32 v43, 0, v43, vcc_lo
	v_add_f64_e32 v[44:45], v[50:51], v[36:37]
	v_add_f64_e32 v[46:47], v[40:41], v[44:45]
	v_add_f64_e64 v[56:57], v[44:45], -v[50:51]
	s_delay_alu instid0(VALU_DEP_2) | instskip(NEXT) | instid1(VALU_DEP_2)
	v_add_f64_e32 v[52:53], v[46:47], v[42:43]
	v_add_f64_e64 v[62:63], v[44:45], -v[56:57]
	v_add_f64_e64 v[36:37], v[36:37], -v[56:57]
	;; [unrolled: 1-line block ×3, first 2 shown]
	s_delay_alu instid0(VALU_DEP_4) | instskip(SKIP_1) | instid1(VALU_DEP_3)
	v_cmp_gt_f64_e32 vcc_lo, 0, v[52:53]
	v_add_f64_e64 v[52:53], v[50:51], -v[54:55]
	v_add_f64_e64 v[40:41], v[44:45], -v[40:41]
	v_cndmask_b32_e64 v21, 0, 0x40100000, vcc_lo
	s_delay_alu instid0(VALU_DEP_3) | instskip(SKIP_2) | instid1(VALU_DEP_4)
	v_add_f64_e64 v[60:61], v[50:51], -v[52:53]
	v_add_f64_e64 v[38:39], v[38:39], -v[52:53]
	;; [unrolled: 1-line block ×3, first 2 shown]
	v_add_f64_e32 v[42:43], v[42:43], v[20:21]
	s_delay_alu instid0(VALU_DEP_4) | instskip(NEXT) | instid1(VALU_DEP_3)
	v_add_f64_e64 v[52:53], v[54:55], -v[60:61]
	v_add_f64_e32 v[36:37], v[36:37], v[50:51]
	s_delay_alu instid0(VALU_DEP_3) | instskip(NEXT) | instid1(VALU_DEP_3)
	v_add_f64_e32 v[58:59], v[46:47], v[42:43]
	v_add_f64_e32 v[38:39], v[38:39], v[52:53]
	s_delay_alu instid0(VALU_DEP_2) | instskip(NEXT) | instid1(VALU_DEP_2)
	v_cvt_i32_f64_e32 v1, v[58:59]
	v_add_f64_e32 v[36:37], v[38:39], v[36:37]
	s_delay_alu instid0(VALU_DEP_2) | instskip(NEXT) | instid1(VALU_DEP_2)
	v_cvt_f64_i32_e32 v[56:57], v1
	v_add_f64_e32 v[34:35], v[34:35], v[36:37]
	s_delay_alu instid0(VALU_DEP_2) | instskip(NEXT) | instid1(VALU_DEP_2)
	v_add_f64_e64 v[42:43], v[42:43], -v[56:57]
	v_add_f64_e32 v[34:35], v[40:41], v[34:35]
	s_delay_alu instid0(VALU_DEP_2) | instskip(NEXT) | instid1(VALU_DEP_1)
	v_add_f64_e32 v[38:39], v[46:47], v[42:43]
	v_add_f64_e64 v[36:37], v[38:39], -v[42:43]
	v_cmp_le_f64_e32 vcc_lo, 0.5, v[38:39]
	s_delay_alu instid0(VALU_DEP_2) | instskip(SKIP_2) | instid1(VALU_DEP_3)
	v_add_f64_e64 v[36:37], v[46:47], -v[36:37]
	v_cndmask_b32_e64 v21, 0, 0x3ff00000, vcc_lo
	v_add_co_ci_u32_e64 v1, null, 0, v1, vcc_lo
	v_add_f64_e32 v[34:35], v[34:35], v[36:37]
	s_delay_alu instid0(VALU_DEP_3) | instskip(NEXT) | instid1(VALU_DEP_1)
	v_add_f64_e64 v[36:37], v[38:39], -v[20:21]
	v_add_f64_e32 v[38:39], v[36:37], v[34:35]
	s_delay_alu instid0(VALU_DEP_1) | instskip(SKIP_1) | instid1(VALU_DEP_2)
	v_mul_f64_e32 v[40:41], 0x3ff921fb54442d18, v[38:39]
	v_add_f64_e64 v[36:37], v[38:39], -v[36:37]
	v_fma_f64 v[42:43], v[38:39], s[18:19], -v[40:41]
	s_delay_alu instid0(VALU_DEP_2) | instskip(NEXT) | instid1(VALU_DEP_2)
	v_add_f64_e64 v[34:35], v[34:35], -v[36:37]
	v_fmac_f64_e32 v[42:43], 0x3c91a62633145c07, v[38:39]
	s_delay_alu instid0(VALU_DEP_1) | instskip(NEXT) | instid1(VALU_DEP_1)
	v_fmac_f64_e32 v[42:43], 0x3ff921fb54442d18, v[34:35]
	v_add_f64_e32 v[34:35], v[40:41], v[42:43]
	s_delay_alu instid0(VALU_DEP_1) | instskip(NEXT) | instid1(VALU_DEP_1)
	v_add_f64_e64 v[36:37], v[34:35], -v[40:41]
	v_add_f64_e64 v[36:37], v[42:43], -v[36:37]
	s_and_not1_saveexec_b32 s3, s3
	s_cbranch_execz .LBB247_12
	s_branch .LBB247_11
.LBB247_10:                             ;   in Loop: Header=BB247_4 Depth=1
	s_and_not1_saveexec_b32 s3, s3
	s_cbranch_execz .LBB247_12
.LBB247_11:                             ;   in Loop: Header=BB247_4 Depth=1
	v_mul_f64_e64 v[34:35], |v[8:9]|, s[20:21]
	s_delay_alu instid0(VALU_DEP_1) | instskip(NEXT) | instid1(VALU_DEP_1)
	v_rndne_f64_e32 v[38:39], v[34:35]
	v_fma_f64 v[34:35], v[38:39], s[22:23], |v[8:9]|
	v_mul_f64_e32 v[36:37], 0xbc91a62633145c00, v[38:39]
	v_cvt_i32_f64_e32 v1, v[38:39]
	s_delay_alu instid0(VALU_DEP_3) | instskip(NEXT) | instid1(VALU_DEP_3)
	v_fmamk_f64 v[44:45], v[38:39], 0xbc91a62633145c00, v[34:35]
	v_add_f64_e32 v[40:41], v[34:35], v[36:37]
	s_delay_alu instid0(VALU_DEP_1) | instskip(NEXT) | instid1(VALU_DEP_3)
	v_add_f64_e64 v[42:43], v[34:35], -v[40:41]
	v_add_f64_e64 v[34:35], v[40:41], -v[44:45]
	s_delay_alu instid0(VALU_DEP_2) | instskip(SKIP_1) | instid1(VALU_DEP_2)
	v_add_f64_e32 v[40:41], v[42:43], v[36:37]
	v_fmamk_f64 v[36:37], v[38:39], 0x3c91a62633145c00, v[36:37]
	v_add_f64_e32 v[34:35], v[34:35], v[40:41]
	s_delay_alu instid0(VALU_DEP_1) | instskip(NEXT) | instid1(VALU_DEP_1)
	v_add_f64_e64 v[36:37], v[34:35], -v[36:37]
	v_fmac_f64_e32 v[36:37], 0xb97b839a252049c0, v[38:39]
	s_delay_alu instid0(VALU_DEP_1) | instskip(NEXT) | instid1(VALU_DEP_1)
	v_add_f64_e32 v[34:35], v[44:45], v[36:37]
	v_add_f64_e64 v[40:41], v[34:35], -v[44:45]
	s_delay_alu instid0(VALU_DEP_1)
	v_add_f64_e64 v[36:37], v[36:37], -v[40:41]
.LBB247_12:                             ;   in Loop: Header=BB247_4 Depth=1
	s_or_b32 exec_lo, exec_lo, s3
                                        ; implicit-def: $vgpr32
                                        ; implicit-def: $vgpr38_vgpr39
                                        ; implicit-def: $vgpr40_vgpr41
	s_and_saveexec_b32 s3, s2
	s_delay_alu instid0(SALU_CYCLE_1)
	s_xor_b32 s2, exec_lo, s3
	s_cbranch_execz .LBB247_14
; %bb.13:                               ;   in Loop: Header=BB247_4 Depth=1
	v_ldexp_f64 v[38:39], |v[8:9]|, 0xffffff80
	v_cmp_le_f64_e64 vcc_lo, 0x7b000000, |v[8:9]|
	v_trig_preop_f64 v[40:41], |v[8:9]|, 0
	v_and_b32_e32 v21, 0x7fffffff, v9
	v_trig_preop_f64 v[42:43], |v[8:9]|, 1
	v_trig_preop_f64 v[52:53], |v[8:9]|, 2
	s_delay_alu instid0(VALU_DEP_3) | instskip(NEXT) | instid1(VALU_DEP_1)
	v_dual_cndmask_b32 v39, v21, v39 :: v_dual_cndmask_b32 v38, v8, v38
	v_mul_f64_e32 v[44:45], v[40:41], v[38:39]
	s_delay_alu instid0(VALU_DEP_4) | instskip(NEXT) | instid1(VALU_DEP_4)
	v_mul_f64_e32 v[46:47], v[42:43], v[38:39]
	v_mul_f64_e32 v[58:59], v[52:53], v[38:39]
	s_delay_alu instid0(VALU_DEP_3) | instskip(NEXT) | instid1(VALU_DEP_3)
	v_fma_f64 v[40:41], v[40:41], v[38:39], -v[44:45]
	v_fma_f64 v[42:43], v[42:43], v[38:39], -v[46:47]
	s_delay_alu instid0(VALU_DEP_3) | instskip(NEXT) | instid1(VALU_DEP_3)
	v_fma_f64 v[38:39], v[52:53], v[38:39], -v[58:59]
	v_add_f64_e32 v[48:49], v[46:47], v[40:41]
	s_delay_alu instid0(VALU_DEP_1) | instskip(SKIP_1) | instid1(VALU_DEP_2)
	v_add_f64_e64 v[50:51], v[48:49], -v[46:47]
	v_add_f64_e32 v[56:57], v[44:45], v[48:49]
	v_add_f64_e64 v[54:55], v[48:49], -v[50:51]
	v_add_f64_e64 v[40:41], v[40:41], -v[50:51]
	s_delay_alu instid0(VALU_DEP_3) | instskip(NEXT) | instid1(VALU_DEP_3)
	v_ldexp_f64 v[50:51], v[56:57], -2
	v_add_f64_e64 v[46:47], v[46:47], -v[54:55]
	v_add_f64_e32 v[54:55], v[58:59], v[42:43]
	s_delay_alu instid0(VALU_DEP_3) | instskip(NEXT) | instid1(VALU_DEP_3)
	v_cmp_neq_f64_e64 vcc_lo, 0x7ff00000, |v[50:51]|
	v_add_f64_e32 v[40:41], v[40:41], v[46:47]
	v_fract_f64_e32 v[46:47], v[50:51]
	s_delay_alu instid0(VALU_DEP_1) | instskip(NEXT) | instid1(VALU_DEP_1)
	v_ldexp_f64 v[46:47], v[46:47], 2
	v_dual_add_f64 v[44:45], v[56:57], -v[44:45] :: v_dual_cndmask_b32 v46, 0, v46, vcc_lo
	s_delay_alu instid0(VALU_DEP_1) | instskip(SKIP_1) | instid1(VALU_DEP_1)
	v_dual_add_f64 v[44:45], v[48:49], -v[44:45] :: v_dual_cndmask_b32 v47, 0, v47, vcc_lo
	v_add_f64_e32 v[48:49], v[54:55], v[40:41]
	v_add_f64_e32 v[50:51], v[44:45], v[48:49]
	v_add_f64_e64 v[60:61], v[48:49], -v[54:55]
	s_delay_alu instid0(VALU_DEP_2) | instskip(NEXT) | instid1(VALU_DEP_2)
	v_add_f64_e32 v[56:57], v[50:51], v[46:47]
	v_add_f64_e64 v[66:67], v[48:49], -v[60:61]
	v_add_f64_e64 v[40:41], v[40:41], -v[60:61]
	;; [unrolled: 1-line block ×3, first 2 shown]
	s_delay_alu instid0(VALU_DEP_4) | instskip(SKIP_1) | instid1(VALU_DEP_3)
	v_cmp_gt_f64_e32 vcc_lo, 0, v[56:57]
	v_add_f64_e64 v[56:57], v[54:55], -v[58:59]
	v_add_f64_e64 v[44:45], v[48:49], -v[44:45]
	v_cndmask_b32_e64 v21, 0, 0x40100000, vcc_lo
	s_delay_alu instid0(VALU_DEP_3) | instskip(SKIP_2) | instid1(VALU_DEP_4)
	v_add_f64_e64 v[64:65], v[54:55], -v[56:57]
	v_add_f64_e64 v[42:43], v[42:43], -v[56:57]
	;; [unrolled: 1-line block ×3, first 2 shown]
	v_add_f64_e32 v[46:47], v[46:47], v[20:21]
	s_delay_alu instid0(VALU_DEP_4) | instskip(NEXT) | instid1(VALU_DEP_3)
	v_add_f64_e64 v[56:57], v[58:59], -v[64:65]
	v_add_f64_e32 v[40:41], v[40:41], v[54:55]
	s_delay_alu instid0(VALU_DEP_3) | instskip(NEXT) | instid1(VALU_DEP_3)
	v_add_f64_e32 v[62:63], v[50:51], v[46:47]
	v_add_f64_e32 v[42:43], v[42:43], v[56:57]
	s_delay_alu instid0(VALU_DEP_2) | instskip(NEXT) | instid1(VALU_DEP_2)
	v_cvt_i32_f64_e32 v21, v[62:63]
	v_add_f64_e32 v[40:41], v[42:43], v[40:41]
	s_delay_alu instid0(VALU_DEP_2) | instskip(NEXT) | instid1(VALU_DEP_2)
	v_cvt_f64_i32_e32 v[60:61], v21
	v_add_f64_e32 v[38:39], v[38:39], v[40:41]
	s_delay_alu instid0(VALU_DEP_2) | instskip(NEXT) | instid1(VALU_DEP_2)
	v_add_f64_e64 v[46:47], v[46:47], -v[60:61]
	v_add_f64_e32 v[38:39], v[44:45], v[38:39]
	s_delay_alu instid0(VALU_DEP_2) | instskip(NEXT) | instid1(VALU_DEP_1)
	v_add_f64_e32 v[42:43], v[50:51], v[46:47]
	v_add_f64_e64 v[40:41], v[42:43], -v[46:47]
	v_cmp_le_f64_e32 vcc_lo, 0.5, v[42:43]
	s_delay_alu instid0(VALU_DEP_2) | instskip(SKIP_2) | instid1(VALU_DEP_3)
	v_add_f64_e64 v[40:41], v[50:51], -v[40:41]
	v_add_co_ci_u32_e64 v32, null, 0, v21, vcc_lo
	v_cndmask_b32_e64 v21, 0, 0x3ff00000, vcc_lo
	v_add_f64_e32 v[38:39], v[38:39], v[40:41]
	s_delay_alu instid0(VALU_DEP_2) | instskip(NEXT) | instid1(VALU_DEP_1)
	v_add_f64_e64 v[40:41], v[42:43], -v[20:21]
	v_add_f64_e32 v[42:43], v[40:41], v[38:39]
	s_delay_alu instid0(VALU_DEP_1) | instskip(SKIP_1) | instid1(VALU_DEP_2)
	v_mul_f64_e32 v[44:45], 0x3ff921fb54442d18, v[42:43]
	v_add_f64_e64 v[40:41], v[42:43], -v[40:41]
	v_fma_f64 v[46:47], v[42:43], s[18:19], -v[44:45]
	s_delay_alu instid0(VALU_DEP_2) | instskip(NEXT) | instid1(VALU_DEP_2)
	v_add_f64_e64 v[38:39], v[38:39], -v[40:41]
	v_fmac_f64_e32 v[46:47], 0x3c91a62633145c07, v[42:43]
	s_delay_alu instid0(VALU_DEP_1) | instskip(NEXT) | instid1(VALU_DEP_1)
	v_fmac_f64_e32 v[46:47], 0x3ff921fb54442d18, v[38:39]
	v_add_f64_e32 v[38:39], v[44:45], v[46:47]
	s_delay_alu instid0(VALU_DEP_1) | instskip(NEXT) | instid1(VALU_DEP_1)
	v_add_f64_e64 v[40:41], v[38:39], -v[44:45]
	v_add_f64_e64 v[40:41], v[46:47], -v[40:41]
	s_and_not1_saveexec_b32 s2, s2
	s_cbranch_execnz .LBB247_15
	s_branch .LBB247_16
.LBB247_14:                             ;   in Loop: Header=BB247_4 Depth=1
	s_and_not1_saveexec_b32 s2, s2
	s_cbranch_execz .LBB247_16
.LBB247_15:                             ;   in Loop: Header=BB247_4 Depth=1
	v_mul_f64_e64 v[38:39], |v[8:9]|, s[20:21]
	s_delay_alu instid0(VALU_DEP_1) | instskip(NEXT) | instid1(VALU_DEP_1)
	v_rndne_f64_e32 v[42:43], v[38:39]
	v_fma_f64 v[38:39], v[42:43], s[22:23], |v[8:9]|
	v_mul_f64_e32 v[40:41], 0xbc91a62633145c00, v[42:43]
	v_cvt_i32_f64_e32 v32, v[42:43]
	s_delay_alu instid0(VALU_DEP_3) | instskip(NEXT) | instid1(VALU_DEP_3)
	v_fmamk_f64 v[48:49], v[42:43], 0xbc91a62633145c00, v[38:39]
	v_add_f64_e32 v[44:45], v[38:39], v[40:41]
	s_delay_alu instid0(VALU_DEP_1) | instskip(NEXT) | instid1(VALU_DEP_3)
	v_add_f64_e64 v[46:47], v[38:39], -v[44:45]
	v_add_f64_e64 v[38:39], v[44:45], -v[48:49]
	s_delay_alu instid0(VALU_DEP_2) | instskip(SKIP_1) | instid1(VALU_DEP_2)
	v_add_f64_e32 v[44:45], v[46:47], v[40:41]
	v_fmamk_f64 v[40:41], v[42:43], 0x3c91a62633145c00, v[40:41]
	v_add_f64_e32 v[38:39], v[38:39], v[44:45]
	s_delay_alu instid0(VALU_DEP_1) | instskip(NEXT) | instid1(VALU_DEP_1)
	v_add_f64_e64 v[40:41], v[38:39], -v[40:41]
	v_fmac_f64_e32 v[40:41], 0xb97b839a252049c0, v[42:43]
	s_delay_alu instid0(VALU_DEP_1) | instskip(NEXT) | instid1(VALU_DEP_1)
	v_add_f64_e32 v[38:39], v[48:49], v[40:41]
	v_add_f64_e64 v[44:45], v[38:39], -v[48:49]
	s_delay_alu instid0(VALU_DEP_1)
	v_add_f64_e64 v[40:41], v[40:41], -v[44:45]
.LBB247_16:                             ;   in Loop: Header=BB247_4 Depth=1
	s_or_b32 exec_lo, exec_lo, s2
	v_mul_f64_e32 v[42:43], 0xbff71547652b82fe, v[6:7]
	v_mul_f64_e32 v[44:45], v[34:35], v[34:35]
	;; [unrolled: 1-line block ×3, first 2 shown]
	v_cmp_ngt_f64_e64 s3, 0xc0900000, v[6:7]
	v_cmp_nlt_f64_e64 s4, 0x4090cc00, v[6:7]
	v_mul_f64_e32 v[68:69], 0.5, v[40:41]
	v_cmp_class_f64_e64 s2, v[8:9], 0x1f8
	v_lshlrev_b32_e32 v8, 30, v32
	v_rndne_f64_e32 v[42:43], v[42:43]
	s_delay_alu instid0(VALU_DEP_1) | instskip(SKIP_4) | instid1(VALU_DEP_4)
	v_fma_f64 v[50:51], v[42:43], s[24:25], -v[6:7]
	v_and_b32_e32 v6, 1, v32
	v_cvt_i32_f64_e32 v21, v[42:43]
	v_mul_f64_e64 v[70:71], v[38:39], -v[46:47]
	v_fmamk_f64 v[74:75], v[46:47], 0x3de5e0b2f9a43bb8, v[28:29]
	v_cmp_eq_u32_e64 s5, 0, v6
	v_mul_f64_e32 v[48:49], 0.5, v[44:45]
	v_mul_f64_e32 v[58:59], 0.5, v[36:37]
	v_fmac_f64_e32 v[50:51], 0xbc7abc9e3b39803f, v[42:43]
	s_delay_alu instid0(VALU_DEP_3) | instskip(NEXT) | instid1(VALU_DEP_2)
	v_add_f64_e64 v[54:55], -v[48:49], 1.0
	v_fmamk_f64 v[66:67], v[50:51], 0x3e5ade156a5dcb37, v[24:25]
	s_delay_alu instid0(VALU_DEP_2) | instskip(NEXT) | instid1(VALU_DEP_2)
	v_add_f64_e64 v[62:63], -v[54:55], 1.0
	v_fmaak_f64 v[66:67], v[50:51], v[66:67], 0x3ec71dee623fde64
	s_delay_alu instid0(VALU_DEP_1) | instskip(NEXT) | instid1(VALU_DEP_1)
	v_fmaak_f64 v[66:67], v[50:51], v[66:67], 0x3efa01997c89e6b0
	v_fmaak_f64 v[66:67], v[50:51], v[66:67], 0x3f2a01a014761f6e
	s_delay_alu instid0(VALU_DEP_4) | instskip(NEXT) | instid1(VALU_DEP_2)
	v_add_f64_e64 v[48:49], v[62:63], -v[48:49]
	v_fmaak_f64 v[62:63], v[50:51], v[66:67], 0x3f56c16c1852b7b0
	s_delay_alu instid0(VALU_DEP_1) | instskip(NEXT) | instid1(VALU_DEP_1)
	v_fmaak_f64 v[62:63], v[50:51], v[62:63], 0x3f81111111122322
	v_fmaak_f64 v[62:63], v[50:51], v[62:63], 0x3fa55555555502a1
	s_delay_alu instid0(VALU_DEP_1) | instskip(NEXT) | instid1(VALU_DEP_1)
	v_fmaak_f64 v[62:63], v[50:51], v[62:63], 0x3fc5555555555511
	v_fmaak_f64 v[62:63], v[50:51], v[62:63], 0x3fe000000000000b
	s_delay_alu instid0(VALU_DEP_1) | instskip(NEXT) | instid1(VALU_DEP_1)
	v_fma_f64 v[62:63], v[50:51], v[62:63], 1.0
	v_fma_f64 v[42:43], v[50:51], v[62:63], 1.0
	s_delay_alu instid0(VALU_DEP_1)
	v_ldexp_f64 v[42:43], v[42:43], v21
	v_and_b32_e32 v21, 1, v1
	v_mul_f64_e64 v[60:61], v[34:35], -v[44:45]
	v_fmamk_f64 v[64:65], v[44:45], 0x3de5e0b2f9a43bb8, v[28:29]
	v_mul_f64_e32 v[66:67], v[44:45], v[44:45]
	v_lshlrev_b32_e32 v1, 30, v1
	v_cmp_eq_u32_e32 vcc_lo, 0, v21
	s_delay_alu instid0(VALU_DEP_4) | instskip(NEXT) | instid1(VALU_DEP_1)
	v_fmaak_f64 v[64:65], v[44:45], v[64:65], 0x3ec71de3796cde01
	v_fmaak_f64 v[64:65], v[44:45], v[64:65], 0xbf2a01a019e83e5c
	s_delay_alu instid0(VALU_DEP_1) | instskip(SKIP_1) | instid1(VALU_DEP_2)
	v_fmaak_f64 v[64:65], v[44:45], v[64:65], 0x3f81111111110bb3
	v_cndmask_b32_e64 v9, 0x7ff00000, v43, s3
	v_fmac_f64_e32 v[58:59], v[60:61], v[64:65]
	v_fmaak_f64 v[64:65], v[46:47], v[74:75], 0x3ec71de3796cde01
	s_delay_alu instid0(VALU_DEP_1) | instskip(NEXT) | instid1(VALU_DEP_1)
	v_fmaak_f64 v[64:65], v[46:47], v[64:65], 0xbf2a01a019e83e5c
	v_fmaak_f64 v[64:65], v[46:47], v[64:65], 0x3f81111111110bb3
	s_delay_alu instid0(VALU_DEP_1) | instskip(SKIP_3) | instid1(VALU_DEP_3)
	v_fmac_f64_e32 v[68:69], v[70:71], v[64:65]
	v_fmamk_f64 v[64:65], v[44:45], 0xbda907db46cc5e42, v[26:27]
	v_fma_f64 v[58:59], v[44:45], v[58:59], -v[36:37]
	v_fma_f64 v[36:37], v[34:35], -v[36:37], v[48:49]
	v_fmaak_f64 v[48:49], v[44:45], v[64:65], 0xbe927e4fa17f65f6
	v_mul_f64_e32 v[64:65], v[46:47], v[46:47]
	s_delay_alu instid0(VALU_DEP_2) | instskip(NEXT) | instid1(VALU_DEP_1)
	v_fmaak_f64 v[48:49], v[44:45], v[48:49], 0x3efa01a019f4ec90
	v_fmaak_f64 v[48:49], v[44:45], v[48:49], 0xbf56c16c16c16967
	s_delay_alu instid0(VALU_DEP_1) | instskip(SKIP_2) | instid1(VALU_DEP_3)
	v_fmaak_f64 v[44:45], v[44:45], v[48:49], 0x3fa5555555555555
	v_fma_f64 v[48:49], v[46:47], v[68:69], -v[40:41]
	v_fmac_f64_e32 v[58:59], 0xbfc5555555555555, v[60:61]
	v_fmac_f64_e32 v[36:37], v[66:67], v[44:45]
	s_delay_alu instid0(VALU_DEP_3) | instskip(NEXT) | instid1(VALU_DEP_3)
	v_fmac_f64_e32 v[48:49], 0xbfc5555555555555, v[70:71]
	v_add_f64_e64 v[34:35], v[34:35], -v[58:59]
	s_delay_alu instid0(VALU_DEP_3) | instskip(SKIP_1) | instid1(VALU_DEP_3)
	v_add_f64_e32 v[36:37], v[54:55], v[36:37]
	v_mul_f64_e32 v[52:53], 0.5, v[46:47]
	v_xor_b32_e32 v7, 0x80000000, v35
	s_delay_alu instid0(VALU_DEP_3) | instskip(NEXT) | instid1(VALU_DEP_3)
	v_cndmask_b32_e32 v21, v34, v36, vcc_lo
	v_add_f64_e64 v[56:57], -v[52:53], 1.0
	s_delay_alu instid0(VALU_DEP_3) | instskip(SKIP_3) | instid1(VALU_DEP_4)
	v_cndmask_b32_e32 v6, v7, v37, vcc_lo
	v_xor_b32_e32 v7, v8, v33
	s_and_b32 vcc_lo, s4, s3
	v_cndmask_b32_e64 v33, 0, v9, s4
	v_add_f64_e64 v[72:73], -v[56:57], 1.0
	s_delay_alu instid0(VALU_DEP_1) | instskip(SKIP_1) | instid1(VALU_DEP_2)
	v_add_f64_e64 v[52:53], v[72:73], -v[52:53]
	v_fmamk_f64 v[72:73], v[46:47], 0xbda907db46cc5e42, v[26:27]
	v_fma_f64 v[40:41], v[38:39], -v[40:41], v[52:53]
	s_delay_alu instid0(VALU_DEP_2) | instskip(SKIP_1) | instid1(VALU_DEP_2)
	v_fmaak_f64 v[52:53], v[46:47], v[72:73], 0xbe927e4fa17f65f6
	v_add_f64_e64 v[38:39], v[38:39], -v[48:49]
	v_fmaak_f64 v[44:45], v[46:47], v[52:53], 0x3efa01a019f4ec90
	s_delay_alu instid0(VALU_DEP_1) | instskip(NEXT) | instid1(VALU_DEP_1)
	v_fmaak_f64 v[44:45], v[46:47], v[44:45], 0xbf56c16c16c16967
	v_fmaak_f64 v[44:45], v[46:47], v[44:45], 0x3fa5555555555555
	s_delay_alu instid0(VALU_DEP_1) | instskip(NEXT) | instid1(VALU_DEP_1)
	v_fmac_f64_e32 v[40:41], v[64:65], v[44:45]
	v_add_f64_e32 v[40:41], v[56:57], v[40:41]
	s_delay_alu instid0(VALU_DEP_1) | instskip(NEXT) | instid1(VALU_DEP_1)
	v_dual_cndmask_b32 v8, v40, v38, s5 :: v_dual_cndmask_b32 v32, v41, v39, s5
	v_cndmask_b32_e64 v8, 0, v8, s2
	v_bitop3_b32 v1, v6, v1, 0x80000000 bitop3:0x78
	v_cndmask_b32_e64 v6, 0, v21, s2
	s_delay_alu instid0(VALU_DEP_4) | instskip(SKIP_1) | instid1(VALU_DEP_4)
	v_bitop3_b32 v21, v32, v7, 0x80000000 bitop3:0x78
	v_cndmask_b32_e32 v32, 0, v42, vcc_lo
	v_cndmask_b32_e64 v7, 0x7ff80000, v1, s2
	s_delay_alu instid0(VALU_DEP_3) | instskip(NEXT) | instid1(VALU_DEP_2)
	v_cndmask_b32_e64 v9, 0x7ff80000, v21, s2
	v_mul_f64_e32 v[34:35], v[32:33], v[6:7]
	s_delay_alu instid0(VALU_DEP_2)
	v_mul_f64_e32 v[32:33], v[32:33], v[8:9]
                                        ; implicit-def: $vgpr8_vgpr9
.LBB247_17:                             ;   in Loop: Header=BB247_4 Depth=1
	s_and_not1_saveexec_b32 s41, s41
	s_cbranch_execz .LBB247_20
; %bb.18:                               ;   in Loop: Header=BB247_4 Depth=1
	v_cmp_ngt_f64_e64 s2, 0x41d00000, |v[8:9]|
                                        ; implicit-def: $vgpr1
                                        ; implicit-def: $vgpr34_vgpr35
                                        ; implicit-def: $vgpr36_vgpr37
	s_and_saveexec_b32 s3, s2
	s_delay_alu instid0(SALU_CYCLE_1)
	s_xor_b32 s3, exec_lo, s3
	s_cbranch_execz .LBB247_21
; %bb.19:                               ;   in Loop: Header=BB247_4 Depth=1
	v_ldexp_f64 v[34:35], |v[8:9]|, 0xffffff80
	v_cmp_le_f64_e64 vcc_lo, 0x7b000000, |v[8:9]|
	v_trig_preop_f64 v[36:37], |v[8:9]|, 0
	v_and_b32_e32 v1, 0x7fffffff, v9
	v_trig_preop_f64 v[38:39], |v[8:9]|, 1
	v_trig_preop_f64 v[48:49], |v[8:9]|, 2
	s_delay_alu instid0(VALU_DEP_3) | instskip(NEXT) | instid1(VALU_DEP_1)
	v_dual_cndmask_b32 v35, v1, v35 :: v_dual_cndmask_b32 v34, v8, v34
	v_mul_f64_e32 v[40:41], v[36:37], v[34:35]
	s_delay_alu instid0(VALU_DEP_4) | instskip(NEXT) | instid1(VALU_DEP_4)
	v_mul_f64_e32 v[42:43], v[38:39], v[34:35]
	v_mul_f64_e32 v[54:55], v[48:49], v[34:35]
	s_delay_alu instid0(VALU_DEP_3) | instskip(NEXT) | instid1(VALU_DEP_3)
	v_fma_f64 v[36:37], v[36:37], v[34:35], -v[40:41]
	v_fma_f64 v[38:39], v[38:39], v[34:35], -v[42:43]
	s_delay_alu instid0(VALU_DEP_3) | instskip(NEXT) | instid1(VALU_DEP_3)
	v_fma_f64 v[34:35], v[48:49], v[34:35], -v[54:55]
	v_add_f64_e32 v[44:45], v[42:43], v[36:37]
	s_delay_alu instid0(VALU_DEP_1) | instskip(SKIP_1) | instid1(VALU_DEP_2)
	v_add_f64_e64 v[46:47], v[44:45], -v[42:43]
	v_add_f64_e32 v[52:53], v[40:41], v[44:45]
	v_add_f64_e64 v[50:51], v[44:45], -v[46:47]
	v_add_f64_e64 v[36:37], v[36:37], -v[46:47]
	s_delay_alu instid0(VALU_DEP_3) | instskip(NEXT) | instid1(VALU_DEP_3)
	v_ldexp_f64 v[46:47], v[52:53], -2
	v_add_f64_e64 v[42:43], v[42:43], -v[50:51]
	v_add_f64_e32 v[50:51], v[54:55], v[38:39]
	s_delay_alu instid0(VALU_DEP_3) | instskip(NEXT) | instid1(VALU_DEP_3)
	v_cmp_neq_f64_e64 vcc_lo, 0x7ff00000, |v[46:47]|
	v_add_f64_e32 v[36:37], v[36:37], v[42:43]
	v_fract_f64_e32 v[42:43], v[46:47]
	s_delay_alu instid0(VALU_DEP_1) | instskip(NEXT) | instid1(VALU_DEP_1)
	v_ldexp_f64 v[42:43], v[42:43], 2
	v_dual_add_f64 v[40:41], v[52:53], -v[40:41] :: v_dual_cndmask_b32 v42, 0, v42, vcc_lo
	s_delay_alu instid0(VALU_DEP_1) | instskip(SKIP_1) | instid1(VALU_DEP_1)
	v_dual_add_f64 v[40:41], v[44:45], -v[40:41] :: v_dual_cndmask_b32 v43, 0, v43, vcc_lo
	v_add_f64_e32 v[44:45], v[50:51], v[36:37]
	v_add_f64_e32 v[46:47], v[40:41], v[44:45]
	v_add_f64_e64 v[56:57], v[44:45], -v[50:51]
	s_delay_alu instid0(VALU_DEP_2) | instskip(NEXT) | instid1(VALU_DEP_2)
	v_add_f64_e32 v[52:53], v[46:47], v[42:43]
	v_add_f64_e64 v[62:63], v[44:45], -v[56:57]
	v_add_f64_e64 v[36:37], v[36:37], -v[56:57]
	;; [unrolled: 1-line block ×3, first 2 shown]
	s_delay_alu instid0(VALU_DEP_4) | instskip(SKIP_1) | instid1(VALU_DEP_3)
	v_cmp_gt_f64_e32 vcc_lo, 0, v[52:53]
	v_add_f64_e64 v[52:53], v[50:51], -v[54:55]
	v_add_f64_e64 v[40:41], v[44:45], -v[40:41]
	v_cndmask_b32_e64 v21, 0, 0x40100000, vcc_lo
	s_delay_alu instid0(VALU_DEP_3) | instskip(SKIP_2) | instid1(VALU_DEP_4)
	v_add_f64_e64 v[60:61], v[50:51], -v[52:53]
	v_add_f64_e64 v[38:39], v[38:39], -v[52:53]
	;; [unrolled: 1-line block ×3, first 2 shown]
	v_add_f64_e32 v[42:43], v[42:43], v[20:21]
	s_delay_alu instid0(VALU_DEP_4) | instskip(NEXT) | instid1(VALU_DEP_3)
	v_add_f64_e64 v[52:53], v[54:55], -v[60:61]
	v_add_f64_e32 v[36:37], v[36:37], v[50:51]
	s_delay_alu instid0(VALU_DEP_3) | instskip(NEXT) | instid1(VALU_DEP_3)
	v_add_f64_e32 v[58:59], v[46:47], v[42:43]
	v_add_f64_e32 v[38:39], v[38:39], v[52:53]
	s_delay_alu instid0(VALU_DEP_2) | instskip(NEXT) | instid1(VALU_DEP_2)
	v_cvt_i32_f64_e32 v1, v[58:59]
	v_add_f64_e32 v[36:37], v[38:39], v[36:37]
	s_delay_alu instid0(VALU_DEP_2) | instskip(NEXT) | instid1(VALU_DEP_2)
	v_cvt_f64_i32_e32 v[56:57], v1
	v_add_f64_e32 v[34:35], v[34:35], v[36:37]
	s_delay_alu instid0(VALU_DEP_2) | instskip(NEXT) | instid1(VALU_DEP_2)
	v_add_f64_e64 v[42:43], v[42:43], -v[56:57]
	v_add_f64_e32 v[34:35], v[40:41], v[34:35]
	s_delay_alu instid0(VALU_DEP_2) | instskip(NEXT) | instid1(VALU_DEP_1)
	v_add_f64_e32 v[38:39], v[46:47], v[42:43]
	v_add_f64_e64 v[36:37], v[38:39], -v[42:43]
	v_cmp_le_f64_e32 vcc_lo, 0.5, v[38:39]
	s_delay_alu instid0(VALU_DEP_2) | instskip(SKIP_2) | instid1(VALU_DEP_3)
	v_add_f64_e64 v[36:37], v[46:47], -v[36:37]
	v_cndmask_b32_e64 v21, 0, 0x3ff00000, vcc_lo
	v_add_co_ci_u32_e64 v1, null, 0, v1, vcc_lo
	v_add_f64_e32 v[34:35], v[34:35], v[36:37]
	s_delay_alu instid0(VALU_DEP_3) | instskip(NEXT) | instid1(VALU_DEP_1)
	v_add_f64_e64 v[36:37], v[38:39], -v[20:21]
	v_add_f64_e32 v[38:39], v[36:37], v[34:35]
	s_delay_alu instid0(VALU_DEP_1) | instskip(SKIP_1) | instid1(VALU_DEP_2)
	v_mul_f64_e32 v[40:41], 0x3ff921fb54442d18, v[38:39]
	v_add_f64_e64 v[36:37], v[38:39], -v[36:37]
	v_fma_f64 v[42:43], v[38:39], s[18:19], -v[40:41]
	s_delay_alu instid0(VALU_DEP_2) | instskip(NEXT) | instid1(VALU_DEP_2)
	v_add_f64_e64 v[34:35], v[34:35], -v[36:37]
	v_fmac_f64_e32 v[42:43], 0x3c91a62633145c07, v[38:39]
	s_delay_alu instid0(VALU_DEP_1) | instskip(NEXT) | instid1(VALU_DEP_1)
	v_fmac_f64_e32 v[42:43], 0x3ff921fb54442d18, v[34:35]
	v_add_f64_e32 v[34:35], v[40:41], v[42:43]
	s_delay_alu instid0(VALU_DEP_1) | instskip(NEXT) | instid1(VALU_DEP_1)
	v_add_f64_e64 v[36:37], v[34:35], -v[40:41]
	v_add_f64_e64 v[36:37], v[42:43], -v[36:37]
	s_and_not1_saveexec_b32 s3, s3
	s_cbranch_execz .LBB247_23
	s_branch .LBB247_22
.LBB247_20:                             ;   in Loop: Header=BB247_4 Depth=1
	s_or_b32 exec_lo, exec_lo, s41
                                        ; implicit-def: $vgpr36_vgpr37
                                        ; implicit-def: $vgpr6_vgpr7
                                        ; implicit-def: $vgpr1
	s_and_not1_saveexec_b32 s3, s40
	s_cbranch_execnz .LBB247_29
	s_branch .LBB247_34
.LBB247_21:                             ;   in Loop: Header=BB247_4 Depth=1
	s_and_not1_saveexec_b32 s3, s3
	s_cbranch_execz .LBB247_23
.LBB247_22:                             ;   in Loop: Header=BB247_4 Depth=1
	v_mul_f64_e64 v[34:35], |v[8:9]|, s[20:21]
	s_delay_alu instid0(VALU_DEP_1) | instskip(NEXT) | instid1(VALU_DEP_1)
	v_rndne_f64_e32 v[38:39], v[34:35]
	v_fma_f64 v[34:35], v[38:39], s[22:23], |v[8:9]|
	v_mul_f64_e32 v[36:37], 0xbc91a62633145c00, v[38:39]
	v_cvt_i32_f64_e32 v1, v[38:39]
	s_delay_alu instid0(VALU_DEP_3) | instskip(NEXT) | instid1(VALU_DEP_3)
	v_fmamk_f64 v[44:45], v[38:39], 0xbc91a62633145c00, v[34:35]
	v_add_f64_e32 v[40:41], v[34:35], v[36:37]
	s_delay_alu instid0(VALU_DEP_1) | instskip(NEXT) | instid1(VALU_DEP_3)
	v_add_f64_e64 v[42:43], v[34:35], -v[40:41]
	v_add_f64_e64 v[34:35], v[40:41], -v[44:45]
	s_delay_alu instid0(VALU_DEP_2) | instskip(SKIP_1) | instid1(VALU_DEP_2)
	v_add_f64_e32 v[40:41], v[42:43], v[36:37]
	v_fmamk_f64 v[36:37], v[38:39], 0x3c91a62633145c00, v[36:37]
	v_add_f64_e32 v[34:35], v[34:35], v[40:41]
	s_delay_alu instid0(VALU_DEP_1) | instskip(NEXT) | instid1(VALU_DEP_1)
	v_add_f64_e64 v[36:37], v[34:35], -v[36:37]
	v_fmac_f64_e32 v[36:37], 0xb97b839a252049c0, v[38:39]
	s_delay_alu instid0(VALU_DEP_1) | instskip(NEXT) | instid1(VALU_DEP_1)
	v_add_f64_e32 v[34:35], v[44:45], v[36:37]
	v_add_f64_e64 v[40:41], v[34:35], -v[44:45]
	s_delay_alu instid0(VALU_DEP_1)
	v_add_f64_e64 v[36:37], v[36:37], -v[40:41]
.LBB247_23:                             ;   in Loop: Header=BB247_4 Depth=1
	s_or_b32 exec_lo, exec_lo, s3
                                        ; implicit-def: $vgpr32
                                        ; implicit-def: $vgpr38_vgpr39
                                        ; implicit-def: $vgpr40_vgpr41
	s_and_saveexec_b32 s3, s2
	s_delay_alu instid0(SALU_CYCLE_1)
	s_xor_b32 s2, exec_lo, s3
	s_cbranch_execz .LBB247_25
; %bb.24:                               ;   in Loop: Header=BB247_4 Depth=1
	v_ldexp_f64 v[38:39], |v[8:9]|, 0xffffff80
	v_cmp_le_f64_e64 vcc_lo, 0x7b000000, |v[8:9]|
	v_trig_preop_f64 v[40:41], |v[8:9]|, 0
	v_and_b32_e32 v21, 0x7fffffff, v9
	v_trig_preop_f64 v[42:43], |v[8:9]|, 1
	v_trig_preop_f64 v[52:53], |v[8:9]|, 2
	s_delay_alu instid0(VALU_DEP_3) | instskip(NEXT) | instid1(VALU_DEP_1)
	v_dual_cndmask_b32 v39, v21, v39 :: v_dual_cndmask_b32 v38, v8, v38
	v_mul_f64_e32 v[44:45], v[40:41], v[38:39]
	s_delay_alu instid0(VALU_DEP_4) | instskip(NEXT) | instid1(VALU_DEP_4)
	v_mul_f64_e32 v[46:47], v[42:43], v[38:39]
	v_mul_f64_e32 v[58:59], v[52:53], v[38:39]
	s_delay_alu instid0(VALU_DEP_3) | instskip(NEXT) | instid1(VALU_DEP_3)
	v_fma_f64 v[40:41], v[40:41], v[38:39], -v[44:45]
	v_fma_f64 v[42:43], v[42:43], v[38:39], -v[46:47]
	s_delay_alu instid0(VALU_DEP_3) | instskip(NEXT) | instid1(VALU_DEP_3)
	v_fma_f64 v[38:39], v[52:53], v[38:39], -v[58:59]
	v_add_f64_e32 v[48:49], v[46:47], v[40:41]
	s_delay_alu instid0(VALU_DEP_1) | instskip(SKIP_1) | instid1(VALU_DEP_2)
	v_add_f64_e64 v[50:51], v[48:49], -v[46:47]
	v_add_f64_e32 v[56:57], v[44:45], v[48:49]
	v_add_f64_e64 v[54:55], v[48:49], -v[50:51]
	v_add_f64_e64 v[40:41], v[40:41], -v[50:51]
	s_delay_alu instid0(VALU_DEP_3) | instskip(NEXT) | instid1(VALU_DEP_3)
	v_ldexp_f64 v[50:51], v[56:57], -2
	v_add_f64_e64 v[46:47], v[46:47], -v[54:55]
	v_add_f64_e32 v[54:55], v[58:59], v[42:43]
	s_delay_alu instid0(VALU_DEP_3) | instskip(NEXT) | instid1(VALU_DEP_3)
	v_cmp_neq_f64_e64 vcc_lo, 0x7ff00000, |v[50:51]|
	v_add_f64_e32 v[40:41], v[40:41], v[46:47]
	v_fract_f64_e32 v[46:47], v[50:51]
	s_delay_alu instid0(VALU_DEP_1) | instskip(NEXT) | instid1(VALU_DEP_1)
	v_ldexp_f64 v[46:47], v[46:47], 2
	v_dual_add_f64 v[44:45], v[56:57], -v[44:45] :: v_dual_cndmask_b32 v46, 0, v46, vcc_lo
	s_delay_alu instid0(VALU_DEP_1) | instskip(SKIP_1) | instid1(VALU_DEP_1)
	v_dual_add_f64 v[44:45], v[48:49], -v[44:45] :: v_dual_cndmask_b32 v47, 0, v47, vcc_lo
	v_add_f64_e32 v[48:49], v[54:55], v[40:41]
	v_add_f64_e32 v[50:51], v[44:45], v[48:49]
	v_add_f64_e64 v[60:61], v[48:49], -v[54:55]
	s_delay_alu instid0(VALU_DEP_2) | instskip(NEXT) | instid1(VALU_DEP_2)
	v_add_f64_e32 v[56:57], v[50:51], v[46:47]
	v_add_f64_e64 v[66:67], v[48:49], -v[60:61]
	v_add_f64_e64 v[40:41], v[40:41], -v[60:61]
	;; [unrolled: 1-line block ×3, first 2 shown]
	s_delay_alu instid0(VALU_DEP_4) | instskip(SKIP_1) | instid1(VALU_DEP_3)
	v_cmp_gt_f64_e32 vcc_lo, 0, v[56:57]
	v_add_f64_e64 v[56:57], v[54:55], -v[58:59]
	v_add_f64_e64 v[44:45], v[48:49], -v[44:45]
	v_cndmask_b32_e64 v21, 0, 0x40100000, vcc_lo
	s_delay_alu instid0(VALU_DEP_3) | instskip(SKIP_2) | instid1(VALU_DEP_4)
	v_add_f64_e64 v[64:65], v[54:55], -v[56:57]
	v_add_f64_e64 v[42:43], v[42:43], -v[56:57]
	;; [unrolled: 1-line block ×3, first 2 shown]
	v_add_f64_e32 v[46:47], v[46:47], v[20:21]
	s_delay_alu instid0(VALU_DEP_4) | instskip(NEXT) | instid1(VALU_DEP_3)
	v_add_f64_e64 v[56:57], v[58:59], -v[64:65]
	v_add_f64_e32 v[40:41], v[40:41], v[54:55]
	s_delay_alu instid0(VALU_DEP_3) | instskip(NEXT) | instid1(VALU_DEP_3)
	v_add_f64_e32 v[62:63], v[50:51], v[46:47]
	v_add_f64_e32 v[42:43], v[42:43], v[56:57]
	s_delay_alu instid0(VALU_DEP_2) | instskip(NEXT) | instid1(VALU_DEP_2)
	v_cvt_i32_f64_e32 v21, v[62:63]
	v_add_f64_e32 v[40:41], v[42:43], v[40:41]
	s_delay_alu instid0(VALU_DEP_2) | instskip(NEXT) | instid1(VALU_DEP_2)
	v_cvt_f64_i32_e32 v[60:61], v21
	v_add_f64_e32 v[38:39], v[38:39], v[40:41]
	s_delay_alu instid0(VALU_DEP_2) | instskip(NEXT) | instid1(VALU_DEP_2)
	v_add_f64_e64 v[46:47], v[46:47], -v[60:61]
	v_add_f64_e32 v[38:39], v[44:45], v[38:39]
	s_delay_alu instid0(VALU_DEP_2) | instskip(NEXT) | instid1(VALU_DEP_1)
	v_add_f64_e32 v[42:43], v[50:51], v[46:47]
	v_add_f64_e64 v[40:41], v[42:43], -v[46:47]
	v_cmp_le_f64_e32 vcc_lo, 0.5, v[42:43]
	s_delay_alu instid0(VALU_DEP_2) | instskip(SKIP_2) | instid1(VALU_DEP_3)
	v_add_f64_e64 v[40:41], v[50:51], -v[40:41]
	v_add_co_ci_u32_e64 v32, null, 0, v21, vcc_lo
	v_cndmask_b32_e64 v21, 0, 0x3ff00000, vcc_lo
	v_add_f64_e32 v[38:39], v[38:39], v[40:41]
	s_delay_alu instid0(VALU_DEP_2) | instskip(NEXT) | instid1(VALU_DEP_1)
	v_add_f64_e64 v[40:41], v[42:43], -v[20:21]
	v_add_f64_e32 v[42:43], v[40:41], v[38:39]
	s_delay_alu instid0(VALU_DEP_1) | instskip(SKIP_1) | instid1(VALU_DEP_2)
	v_mul_f64_e32 v[44:45], 0x3ff921fb54442d18, v[42:43]
	v_add_f64_e64 v[40:41], v[42:43], -v[40:41]
	v_fma_f64 v[46:47], v[42:43], s[18:19], -v[44:45]
	s_delay_alu instid0(VALU_DEP_2) | instskip(NEXT) | instid1(VALU_DEP_2)
	v_add_f64_e64 v[38:39], v[38:39], -v[40:41]
	v_fmac_f64_e32 v[46:47], 0x3c91a62633145c07, v[42:43]
	s_delay_alu instid0(VALU_DEP_1) | instskip(NEXT) | instid1(VALU_DEP_1)
	v_fmac_f64_e32 v[46:47], 0x3ff921fb54442d18, v[38:39]
	v_add_f64_e32 v[38:39], v[44:45], v[46:47]
	s_delay_alu instid0(VALU_DEP_1) | instskip(NEXT) | instid1(VALU_DEP_1)
	v_add_f64_e64 v[40:41], v[38:39], -v[44:45]
	v_add_f64_e64 v[40:41], v[46:47], -v[40:41]
	s_and_not1_saveexec_b32 s2, s2
	s_cbranch_execnz .LBB247_26
	s_branch .LBB247_27
.LBB247_25:                             ;   in Loop: Header=BB247_4 Depth=1
	s_and_not1_saveexec_b32 s2, s2
	s_cbranch_execz .LBB247_27
.LBB247_26:                             ;   in Loop: Header=BB247_4 Depth=1
	v_mul_f64_e64 v[38:39], |v[8:9]|, s[20:21]
	s_delay_alu instid0(VALU_DEP_1) | instskip(NEXT) | instid1(VALU_DEP_1)
	v_rndne_f64_e32 v[42:43], v[38:39]
	v_fma_f64 v[38:39], v[42:43], s[22:23], |v[8:9]|
	v_mul_f64_e32 v[40:41], 0xbc91a62633145c00, v[42:43]
	v_cvt_i32_f64_e32 v32, v[42:43]
	s_delay_alu instid0(VALU_DEP_3) | instskip(NEXT) | instid1(VALU_DEP_3)
	v_fmamk_f64 v[48:49], v[42:43], 0xbc91a62633145c00, v[38:39]
	v_add_f64_e32 v[44:45], v[38:39], v[40:41]
	s_delay_alu instid0(VALU_DEP_1) | instskip(NEXT) | instid1(VALU_DEP_3)
	v_add_f64_e64 v[46:47], v[38:39], -v[44:45]
	v_add_f64_e64 v[38:39], v[44:45], -v[48:49]
	s_delay_alu instid0(VALU_DEP_2) | instskip(SKIP_1) | instid1(VALU_DEP_2)
	v_add_f64_e32 v[44:45], v[46:47], v[40:41]
	v_fmamk_f64 v[40:41], v[42:43], 0x3c91a62633145c00, v[40:41]
	v_add_f64_e32 v[38:39], v[38:39], v[44:45]
	s_delay_alu instid0(VALU_DEP_1) | instskip(NEXT) | instid1(VALU_DEP_1)
	v_add_f64_e64 v[40:41], v[38:39], -v[40:41]
	v_fmac_f64_e32 v[40:41], 0xb97b839a252049c0, v[42:43]
	s_delay_alu instid0(VALU_DEP_1) | instskip(NEXT) | instid1(VALU_DEP_1)
	v_add_f64_e32 v[38:39], v[48:49], v[40:41]
	v_add_f64_e64 v[44:45], v[38:39], -v[48:49]
	s_delay_alu instid0(VALU_DEP_1)
	v_add_f64_e64 v[40:41], v[40:41], -v[44:45]
.LBB247_27:                             ;   in Loop: Header=BB247_4 Depth=1
	s_or_b32 exec_lo, exec_lo, s2
	v_add_f64_e64 v[6:7], -v[6:7], s[26:27]
	v_mul_f64_e32 v[44:45], v[34:35], v[34:35]
	v_mul_f64_e32 v[46:47], v[38:39], v[38:39]
	s_delay_alu instid0(VALU_DEP_4)
	v_mul_f64_e32 v[68:69], 0.5, v[40:41]
	v_cmp_class_f64_e64 s2, v[8:9], 0x1f8
	v_lshlrev_b32_e32 v9, 30, v32
	v_mul_f64_e32 v[42:43], 0x3ff71547652b82fe, v[6:7]
	v_cmp_nlt_f64_e64 s3, 0x40900000, v[6:7]
	v_cmp_ngt_f64_e64 s4, 0xc090cc00, v[6:7]
	s_delay_alu instid0(VALU_DEP_3) | instskip(NEXT) | instid1(VALU_DEP_1)
	v_rndne_f64_e32 v[42:43], v[42:43]
	v_fmamk_f64 v[52:53], v[42:43], 0xbfe62e42fefa39ef, v[6:7]
	v_and_b32_e32 v6, 1, v32
	v_cvt_i32_f64_e32 v21, v[42:43]
	v_mul_f64_e64 v[70:71], v[38:39], -v[46:47]
	v_fmamk_f64 v[74:75], v[46:47], 0x3de5e0b2f9a43bb8, v[28:29]
	s_delay_alu instid0(VALU_DEP_4) | instskip(SKIP_3) | instid1(VALU_DEP_3)
	v_cmp_eq_u32_e64 s5, 0, v6
	v_mul_f64_e32 v[48:49], 0.5, v[44:45]
	v_fmac_f64_e32 v[52:53], 0xbc7abc9e3b39803f, v[42:43]
	v_mul_f64_e32 v[58:59], 0.5, v[36:37]
	v_add_f64_e64 v[54:55], -v[48:49], 1.0
	s_delay_alu instid0(VALU_DEP_3) | instskip(NEXT) | instid1(VALU_DEP_1)
	v_fmamk_f64 v[66:67], v[52:53], 0x3e5ade156a5dcb37, v[24:25]
	v_fmaak_f64 v[66:67], v[52:53], v[66:67], 0x3ec71dee623fde64
	s_delay_alu instid0(VALU_DEP_1) | instskip(NEXT) | instid1(VALU_DEP_1)
	v_fmaak_f64 v[66:67], v[52:53], v[66:67], 0x3efa01997c89e6b0
	v_fmaak_f64 v[66:67], v[52:53], v[66:67], 0x3f2a01a014761f6e
	v_add_f64_e64 v[62:63], -v[54:55], 1.0
	s_delay_alu instid0(VALU_DEP_1) | instskip(NEXT) | instid1(VALU_DEP_3)
	v_add_f64_e64 v[48:49], v[62:63], -v[48:49]
	v_fmaak_f64 v[62:63], v[52:53], v[66:67], 0x3f56c16c1852b7b0
	s_delay_alu instid0(VALU_DEP_1) | instskip(NEXT) | instid1(VALU_DEP_1)
	v_fmaak_f64 v[62:63], v[52:53], v[62:63], 0x3f81111111122322
	v_fmaak_f64 v[62:63], v[52:53], v[62:63], 0x3fa55555555502a1
	s_delay_alu instid0(VALU_DEP_1) | instskip(NEXT) | instid1(VALU_DEP_1)
	v_fmaak_f64 v[62:63], v[52:53], v[62:63], 0x3fc5555555555511
	v_fmaak_f64 v[62:63], v[52:53], v[62:63], 0x3fe000000000000b
	s_delay_alu instid0(VALU_DEP_1) | instskip(NEXT) | instid1(VALU_DEP_1)
	v_fma_f64 v[62:63], v[52:53], v[62:63], 1.0
	v_fma_f64 v[42:43], v[52:53], v[62:63], 1.0
	s_delay_alu instid0(VALU_DEP_1)
	v_ldexp_f64 v[42:43], v[42:43], v21
	v_and_b32_e32 v21, 1, v1
	v_mul_f64_e64 v[60:61], v[34:35], -v[44:45]
	v_fmamk_f64 v[64:65], v[44:45], 0x3de5e0b2f9a43bb8, v[28:29]
	v_mul_f64_e32 v[66:67], v[44:45], v[44:45]
	v_lshlrev_b32_e32 v1, 30, v1
	v_cmp_eq_u32_e32 vcc_lo, 0, v21
	s_delay_alu instid0(VALU_DEP_4) | instskip(NEXT) | instid1(VALU_DEP_1)
	v_fmaak_f64 v[64:65], v[44:45], v[64:65], 0x3ec71de3796cde01
	v_fmaak_f64 v[64:65], v[44:45], v[64:65], 0xbf2a01a019e83e5c
	s_delay_alu instid0(VALU_DEP_1) | instskip(SKIP_1) | instid1(VALU_DEP_2)
	v_fmaak_f64 v[64:65], v[44:45], v[64:65], 0x3f81111111110bb3
	v_cndmask_b32_e64 v8, 0x7ff00000, v43, s3
	v_fmac_f64_e32 v[58:59], v[60:61], v[64:65]
	v_fmaak_f64 v[64:65], v[46:47], v[74:75], 0x3ec71de3796cde01
	s_delay_alu instid0(VALU_DEP_1) | instskip(NEXT) | instid1(VALU_DEP_1)
	v_fmaak_f64 v[64:65], v[46:47], v[64:65], 0xbf2a01a019e83e5c
	v_fmaak_f64 v[64:65], v[46:47], v[64:65], 0x3f81111111110bb3
	s_delay_alu instid0(VALU_DEP_1) | instskip(SKIP_3) | instid1(VALU_DEP_3)
	v_fmac_f64_e32 v[68:69], v[70:71], v[64:65]
	v_fmamk_f64 v[64:65], v[44:45], 0xbda907db46cc5e42, v[26:27]
	v_fma_f64 v[58:59], v[44:45], v[58:59], -v[36:37]
	v_fma_f64 v[36:37], v[34:35], -v[36:37], v[48:49]
	v_fmaak_f64 v[48:49], v[44:45], v[64:65], 0xbe927e4fa17f65f6
	v_mul_f64_e32 v[64:65], v[46:47], v[46:47]
	s_delay_alu instid0(VALU_DEP_2) | instskip(NEXT) | instid1(VALU_DEP_1)
	v_fmaak_f64 v[48:49], v[44:45], v[48:49], 0x3efa01a019f4ec90
	v_fmaak_f64 v[48:49], v[44:45], v[48:49], 0xbf56c16c16c16967
	s_delay_alu instid0(VALU_DEP_1) | instskip(SKIP_2) | instid1(VALU_DEP_3)
	v_fmaak_f64 v[44:45], v[44:45], v[48:49], 0x3fa5555555555555
	v_fma_f64 v[48:49], v[46:47], v[68:69], -v[40:41]
	v_fmac_f64_e32 v[58:59], 0xbfc5555555555555, v[60:61]
	v_fmac_f64_e32 v[36:37], v[66:67], v[44:45]
	s_delay_alu instid0(VALU_DEP_3) | instskip(NEXT) | instid1(VALU_DEP_3)
	v_fmac_f64_e32 v[48:49], 0xbfc5555555555555, v[70:71]
	v_add_f64_e64 v[34:35], v[34:35], -v[58:59]
	s_delay_alu instid0(VALU_DEP_3) | instskip(SKIP_1) | instid1(VALU_DEP_3)
	v_add_f64_e32 v[36:37], v[54:55], v[36:37]
	v_mul_f64_e32 v[50:51], 0.5, v[46:47]
	v_xor_b32_e32 v7, 0x80000000, v35
	s_delay_alu instid0(VALU_DEP_3) | instskip(NEXT) | instid1(VALU_DEP_3)
	v_cndmask_b32_e32 v21, v34, v36, vcc_lo
	v_add_f64_e64 v[56:57], -v[50:51], 1.0
	s_delay_alu instid0(VALU_DEP_3) | instskip(SKIP_2) | instid1(VALU_DEP_2)
	v_cndmask_b32_e32 v6, v7, v37, vcc_lo
	v_xor_b32_e32 v7, v9, v33
	s_and_b32 vcc_lo, s4, s3
	v_bitop3_b32 v1, v6, v1, 0x80000000 bitop3:0x78
	v_cndmask_b32_e64 v6, 0, v21, s2
	v_add_f64_e64 v[72:73], -v[56:57], 1.0
	s_delay_alu instid0(VALU_DEP_1) | instskip(SKIP_1) | instid1(VALU_DEP_2)
	v_add_f64_e64 v[50:51], v[72:73], -v[50:51]
	v_fmamk_f64 v[72:73], v[46:47], 0xbda907db46cc5e42, v[26:27]
	v_fma_f64 v[40:41], v[38:39], -v[40:41], v[50:51]
	s_delay_alu instid0(VALU_DEP_2) | instskip(SKIP_1) | instid1(VALU_DEP_2)
	v_fmaak_f64 v[50:51], v[46:47], v[72:73], 0xbe927e4fa17f65f6
	v_add_f64_e64 v[38:39], v[38:39], -v[48:49]
	v_fmaak_f64 v[44:45], v[46:47], v[50:51], 0x3efa01a019f4ec90
	s_delay_alu instid0(VALU_DEP_1) | instskip(NEXT) | instid1(VALU_DEP_1)
	v_fmaak_f64 v[44:45], v[46:47], v[44:45], 0xbf56c16c16c16967
	v_fmaak_f64 v[44:45], v[46:47], v[44:45], 0x3fa5555555555555
	s_delay_alu instid0(VALU_DEP_1) | instskip(NEXT) | instid1(VALU_DEP_1)
	v_fmac_f64_e32 v[40:41], v[64:65], v[44:45]
	v_add_f64_e32 v[40:41], v[56:57], v[40:41]
	s_delay_alu instid0(VALU_DEP_1) | instskip(SKIP_1) | instid1(VALU_DEP_2)
	v_dual_cndmask_b32 v32, v41, v39, s5 :: v_dual_cndmask_b32 v9, v40, v38, s5
	v_cndmask_b32_e64 v34, 0, v8, s4
	v_bitop3_b32 v21, v32, v7, 0x80000000 bitop3:0x78
	v_cndmask_b32_e64 v7, 0x7ff80000, v1, s2
	s_delay_alu instid0(VALU_DEP_4) | instskip(NEXT) | instid1(VALU_DEP_4)
	v_cndmask_b32_e64 v8, 0, v9, s2
	v_and_or_b32 v33, v34, s36, 0x7fe00000
	v_cndmask_b32_e32 v32, 0, v42, vcc_lo
	v_cndmask_b32_e64 v9, 0x7ff80000, v21, s2
	v_lshrrev_b32_e32 v1, 20, v34
	s_delay_alu instid0(VALU_DEP_3) | instskip(NEXT) | instid1(VALU_DEP_3)
	v_mul_f64_e32 v[6:7], v[32:33], v[6:7]
	v_mul_f64_e32 v[8:9], v[32:33], v[8:9]
	s_delay_alu instid0(VALU_DEP_3) | instskip(NEXT) | instid1(VALU_DEP_1)
	v_add_nc_u32_e32 v1, 0xffffff09, v1
	v_lshrrev_b16 v21, 15, v1
	s_delay_alu instid0(VALU_DEP_1) | instskip(NEXT) | instid1(VALU_DEP_1)
	v_add_nc_u16 v21, v1, v21
	v_ashrrev_i16 v21, 1, v21
	s_delay_alu instid0(VALU_DEP_1) | instskip(NEXT) | instid1(VALU_DEP_1)
	v_bfe_i32 v32, v21, 0, 16
	v_lshl_add_u32 v21, v32, 20, 0x3ff00000
	v_dual_mov_b32 v32, v20 :: v_dual_sub_nc_u32 v1, v1, v32
	s_delay_alu instid0(VALU_DEP_2) | instskip(SKIP_1) | instid1(VALU_DEP_3)
	v_mul_f64_e32 v[6:7], v[6:7], v[20:21]
	v_mul_f64_e32 v[8:9], v[8:9], v[20:21]
	v_lshl_add_u32 v33, v1, 20, 0x3ff00000
	s_delay_alu instid0(VALU_DEP_1) | instskip(NEXT) | instid1(VALU_DEP_3)
	v_mul_f64_e32 v[34:35], v[6:7], v[32:33]
	v_mul_f64_e32 v[32:33], v[8:9], v[32:33]
	s_or_b32 exec_lo, exec_lo, s41
                                        ; implicit-def: $vgpr36_vgpr37
                                        ; implicit-def: $vgpr6_vgpr7
                                        ; implicit-def: $vgpr1
.LBB247_28:                             ;   in Loop: Header=BB247_4 Depth=1
	s_and_not1_saveexec_b32 s3, s40
	s_cbranch_execz .LBB247_34
.LBB247_29:                             ;   in Loop: Header=BB247_4 Depth=1
	v_add_f64_e64 v[32:33], v[8:9], -v[8:9]
	v_cmp_ne_u32_e32 vcc_lo, 0, v6
	v_cmp_ne_u32_e64 s2, 0x7ff00000, v1
	s_or_b32 s2, vcc_lo, s2
	s_delay_alu instid0(SALU_CYCLE_1) | instskip(NEXT) | instid1(SALU_CYCLE_1)
	s_and_saveexec_b32 s4, s2
	s_xor_b32 s2, exec_lo, s4
; %bb.30:                               ;   in Loop: Header=BB247_4 Depth=1
                                        ; implicit-def: $vgpr36_vgpr37
                                        ; implicit-def: $vgpr6_vgpr7
; %bb.31:                               ;   in Loop: Header=BB247_4 Depth=1
	s_delay_alu instid0(SALU_CYCLE_1)
	s_or_saveexec_b32 s2, s2
	v_mov_b64_e32 v[34:35], v[32:33]
	s_xor_b32 exec_lo, exec_lo, s2
; %bb.32:                               ;   in Loop: Header=BB247_4 Depth=1
	v_cmp_lt_i64_e32 vcc_lo, -1, v[36:37]
	v_dual_cndmask_b32 v35, 0, v37 :: v_dual_cndmask_b32 v34, 0, v6
	v_dual_cndmask_b32 v33, 0, v33 :: v_dual_cndmask_b32 v32, 0, v32
; %bb.33:                               ;   in Loop: Header=BB247_4 Depth=1
	s_or_b32 exec_lo, exec_lo, s2
.LBB247_34:                             ;   in Loop: Header=BB247_4 Depth=1
	s_delay_alu instid0(SALU_CYCLE_1)
	s_or_b32 exec_lo, exec_lo, s3
                                        ; implicit-def: $vgpr8_vgpr9
.LBB247_35:                             ;   in Loop: Header=BB247_4 Depth=1
	s_and_not1_saveexec_b32 s4, s39
	s_cbranch_execz .LBB247_45
; %bb.36:                               ;   in Loop: Header=BB247_4 Depth=1
	v_cmp_ngt_f64_e64 s2, 0x41d00000, |v[8:9]|
	v_trig_preop_f64 v[40:41], |v[8:9]|, 0
	v_trig_preop_f64 v[38:39], |v[8:9]|, 1
	v_ldexp_f64 v[42:43], |v[8:9]|, 0xffffff80
	v_trig_preop_f64 v[36:37], |v[8:9]|, 2
	v_and_b32_e32 v32, 0x7fffffff, v9
                                        ; implicit-def: $vgpr1
                                        ; implicit-def: $vgpr6_vgpr7
                                        ; implicit-def: $vgpr34_vgpr35
	s_and_saveexec_b32 s3, s2
	s_delay_alu instid0(SALU_CYCLE_1)
	s_xor_b32 s3, exec_lo, s3
	s_cbranch_execz .LBB247_38
; %bb.37:                               ;   in Loop: Header=BB247_4 Depth=1
	v_cmp_le_f64_e64 vcc_lo, 0x7b000000, |v[8:9]|
	s_delay_alu instid0(VALU_DEP_4) | instskip(SKIP_1) | instid1(VALU_DEP_1)
	v_cndmask_b32_e32 v7, v32, v43, vcc_lo
	v_cndmask_b32_e32 v6, v8, v42, vcc_lo
	v_mul_f64_e32 v[34:35], v[40:41], v[6:7]
	v_mul_f64_e32 v[44:45], v[38:39], v[6:7]
	s_delay_alu instid0(VALU_DEP_2) | instskip(NEXT) | instid1(VALU_DEP_1)
	v_fma_f64 v[46:47], v[40:41], v[6:7], -v[34:35]
	v_add_f64_e32 v[48:49], v[44:45], v[46:47]
	s_delay_alu instid0(VALU_DEP_1) | instskip(SKIP_2) | instid1(VALU_DEP_3)
	v_add_f64_e64 v[50:51], v[48:49], -v[44:45]
	v_add_f64_e32 v[54:55], v[34:35], v[48:49]
	v_fma_f64 v[58:59], v[38:39], v[6:7], -v[44:45]
	v_add_f64_e64 v[52:53], v[48:49], -v[50:51]
	v_add_f64_e64 v[46:47], v[46:47], -v[50:51]
	s_delay_alu instid0(VALU_DEP_4) | instskip(SKIP_1) | instid1(VALU_DEP_2)
	v_ldexp_f64 v[50:51], v[54:55], -2
	v_add_f64_e64 v[34:35], v[54:55], -v[34:35]
	v_cmp_neq_f64_e64 vcc_lo, 0x7ff00000, |v[50:51]|
	v_add_f64_e64 v[44:45], v[44:45], -v[52:53]
	s_delay_alu instid0(VALU_DEP_3) | instskip(NEXT) | instid1(VALU_DEP_2)
	v_add_f64_e64 v[34:35], v[48:49], -v[34:35]
	v_add_f64_e32 v[44:45], v[46:47], v[44:45]
	v_mul_f64_e32 v[56:57], v[36:37], v[6:7]
	v_fract_f64_e32 v[46:47], v[50:51]
	s_delay_alu instid0(VALU_DEP_2) | instskip(NEXT) | instid1(VALU_DEP_2)
	v_add_f64_e32 v[52:53], v[56:57], v[58:59]
	v_ldexp_f64 v[46:47], v[46:47], 2
	v_fma_f64 v[6:7], v[36:37], v[6:7], -v[56:57]
	s_delay_alu instid0(VALU_DEP_2) | instskip(NEXT) | instid1(VALU_DEP_1)
	v_dual_add_f64 v[48:49], v[52:53], v[44:45] :: v_dual_cndmask_b32 v47, 0, v47, vcc_lo
	v_dual_add_f64 v[50:51], v[34:35], v[48:49] :: v_dual_cndmask_b32 v46, 0, v46, vcc_lo
	v_add_f64_e64 v[60:61], v[48:49], -v[52:53]
	s_delay_alu instid0(VALU_DEP_2) | instskip(NEXT) | instid1(VALU_DEP_2)
	v_add_f64_e32 v[54:55], v[50:51], v[46:47]
	v_add_f64_e64 v[66:67], v[48:49], -v[60:61]
	v_add_f64_e64 v[44:45], v[44:45], -v[60:61]
	;; [unrolled: 1-line block ×3, first 2 shown]
	s_delay_alu instid0(VALU_DEP_4) | instskip(SKIP_1) | instid1(VALU_DEP_3)
	v_cmp_gt_f64_e32 vcc_lo, 0, v[54:55]
	v_add_f64_e64 v[54:55], v[52:53], -v[56:57]
	v_add_f64_e64 v[34:35], v[48:49], -v[34:35]
	v_cndmask_b32_e64 v21, 0, 0x40100000, vcc_lo
	s_delay_alu instid0(VALU_DEP_3) | instskip(SKIP_2) | instid1(VALU_DEP_4)
	v_add_f64_e64 v[64:65], v[52:53], -v[54:55]
	v_add_f64_e64 v[54:55], v[58:59], -v[54:55]
	;; [unrolled: 1-line block ×3, first 2 shown]
	v_add_f64_e32 v[46:47], v[46:47], v[20:21]
	s_delay_alu instid0(VALU_DEP_4) | instskip(NEXT) | instid1(VALU_DEP_3)
	v_add_f64_e64 v[58:59], v[56:57], -v[64:65]
	v_add_f64_e32 v[44:45], v[44:45], v[52:53]
	s_delay_alu instid0(VALU_DEP_3) | instskip(NEXT) | instid1(VALU_DEP_3)
	v_add_f64_e32 v[62:63], v[50:51], v[46:47]
	v_add_f64_e32 v[54:55], v[54:55], v[58:59]
	s_delay_alu instid0(VALU_DEP_2) | instskip(NEXT) | instid1(VALU_DEP_2)
	v_cvt_i32_f64_e32 v1, v[62:63]
	v_add_f64_e32 v[44:45], v[54:55], v[44:45]
	s_delay_alu instid0(VALU_DEP_2) | instskip(NEXT) | instid1(VALU_DEP_2)
	v_cvt_f64_i32_e32 v[60:61], v1
	v_add_f64_e32 v[6:7], v[6:7], v[44:45]
	s_delay_alu instid0(VALU_DEP_2) | instskip(NEXT) | instid1(VALU_DEP_2)
	v_add_f64_e64 v[46:47], v[46:47], -v[60:61]
	v_add_f64_e32 v[6:7], v[34:35], v[6:7]
	s_delay_alu instid0(VALU_DEP_2) | instskip(NEXT) | instid1(VALU_DEP_1)
	v_add_f64_e32 v[52:53], v[50:51], v[46:47]
	v_add_f64_e64 v[44:45], v[52:53], -v[46:47]
	v_cmp_le_f64_e32 vcc_lo, 0.5, v[52:53]
	s_delay_alu instid0(VALU_DEP_2) | instskip(SKIP_2) | instid1(VALU_DEP_3)
	v_add_f64_e64 v[34:35], v[50:51], -v[44:45]
	v_cndmask_b32_e64 v21, 0, 0x3ff00000, vcc_lo
	v_add_co_ci_u32_e64 v1, null, 0, v1, vcc_lo
	v_add_f64_e32 v[6:7], v[6:7], v[34:35]
	s_delay_alu instid0(VALU_DEP_3) | instskip(NEXT) | instid1(VALU_DEP_1)
	v_add_f64_e64 v[34:35], v[52:53], -v[20:21]
	v_add_f64_e32 v[44:45], v[34:35], v[6:7]
	s_delay_alu instid0(VALU_DEP_1) | instskip(SKIP_1) | instid1(VALU_DEP_2)
	v_mul_f64_e32 v[46:47], 0x3ff921fb54442d18, v[44:45]
	v_add_f64_e64 v[34:35], v[44:45], -v[34:35]
	v_fma_f64 v[48:49], v[44:45], s[18:19], -v[46:47]
	s_delay_alu instid0(VALU_DEP_2) | instskip(NEXT) | instid1(VALU_DEP_2)
	v_add_f64_e64 v[6:7], v[6:7], -v[34:35]
	v_fmac_f64_e32 v[48:49], 0x3c91a62633145c07, v[44:45]
	s_delay_alu instid0(VALU_DEP_1) | instskip(NEXT) | instid1(VALU_DEP_1)
	v_fmac_f64_e32 v[48:49], 0x3ff921fb54442d18, v[6:7]
	v_add_f64_e32 v[6:7], v[46:47], v[48:49]
	s_delay_alu instid0(VALU_DEP_1) | instskip(NEXT) | instid1(VALU_DEP_1)
	v_add_f64_e64 v[34:35], v[6:7], -v[46:47]
	v_add_f64_e64 v[34:35], v[48:49], -v[34:35]
.LBB247_38:                             ;   in Loop: Header=BB247_4 Depth=1
	s_or_saveexec_b32 s3, s3
	v_mul_f64_e64 v[44:45], |v[8:9]|, s[20:21]
	s_delay_alu instid0(VALU_DEP_1)
	v_rndne_f64_e32 v[48:49], v[44:45]
	s_xor_b32 exec_lo, exec_lo, s3
	s_cbranch_execz .LBB247_40
; %bb.39:                               ;   in Loop: Header=BB247_4 Depth=1
	s_delay_alu instid0(VALU_DEP_1) | instskip(SKIP_2) | instid1(VALU_DEP_3)
	v_fma_f64 v[6:7], v[48:49], s[22:23], |v[8:9]|
	v_mul_f64_e32 v[34:35], 0xbc91a62633145c00, v[48:49]
	v_cvt_i32_f64_e32 v1, v[48:49]
	v_fmamk_f64 v[50:51], v[48:49], 0xbc91a62633145c00, v[6:7]
	s_delay_alu instid0(VALU_DEP_3) | instskip(NEXT) | instid1(VALU_DEP_1)
	v_add_f64_e32 v[44:45], v[6:7], v[34:35]
	v_add_f64_e64 v[46:47], v[6:7], -v[44:45]
	s_delay_alu instid0(VALU_DEP_3) | instskip(NEXT) | instid1(VALU_DEP_2)
	v_add_f64_e64 v[6:7], v[44:45], -v[50:51]
	v_add_f64_e32 v[44:45], v[46:47], v[34:35]
	v_fmamk_f64 v[34:35], v[48:49], 0x3c91a62633145c00, v[34:35]
	s_delay_alu instid0(VALU_DEP_2) | instskip(NEXT) | instid1(VALU_DEP_1)
	v_add_f64_e32 v[6:7], v[6:7], v[44:45]
	v_add_f64_e64 v[34:35], v[6:7], -v[34:35]
	s_delay_alu instid0(VALU_DEP_1) | instskip(NEXT) | instid1(VALU_DEP_1)
	v_fmac_f64_e32 v[34:35], 0xb97b839a252049c0, v[48:49]
	v_add_f64_e32 v[6:7], v[50:51], v[34:35]
	s_delay_alu instid0(VALU_DEP_1) | instskip(NEXT) | instid1(VALU_DEP_1)
	v_add_f64_e64 v[44:45], v[6:7], -v[50:51]
	v_add_f64_e64 v[34:35], v[34:35], -v[44:45]
.LBB247_40:                             ;   in Loop: Header=BB247_4 Depth=1
	s_or_b32 exec_lo, exec_lo, s3
                                        ; implicit-def: $vgpr50
                                        ; implicit-def: $vgpr44_vgpr45
                                        ; implicit-def: $vgpr46_vgpr47
	s_and_saveexec_b32 s3, s2
	s_delay_alu instid0(SALU_CYCLE_1)
	s_xor_b32 s2, exec_lo, s3
	s_cbranch_execz .LBB247_42
; %bb.41:                               ;   in Loop: Header=BB247_4 Depth=1
	v_cmp_le_f64_e64 vcc_lo, 0x7b000000, |v[8:9]|
	v_cndmask_b32_e32 v43, v32, v43, vcc_lo
	v_cndmask_b32_e32 v42, v8, v42, vcc_lo
	s_delay_alu instid0(VALU_DEP_1) | instskip(SKIP_1) | instid1(VALU_DEP_2)
	v_mul_f64_e32 v[44:45], v[40:41], v[42:43]
	v_mul_f64_e32 v[46:47], v[38:39], v[42:43]
	v_fma_f64 v[40:41], v[40:41], v[42:43], -v[44:45]
	s_delay_alu instid0(VALU_DEP_1) | instskip(SKIP_1) | instid1(VALU_DEP_2)
	v_add_f64_e32 v[48:49], v[46:47], v[40:41]
	v_fma_f64 v[38:39], v[38:39], v[42:43], -v[46:47]
	v_add_f64_e64 v[50:51], v[48:49], -v[46:47]
	v_add_f64_e32 v[54:55], v[44:45], v[48:49]
	s_delay_alu instid0(VALU_DEP_2) | instskip(SKIP_1) | instid1(VALU_DEP_3)
	v_add_f64_e64 v[52:53], v[48:49], -v[50:51]
	v_add_f64_e64 v[40:41], v[40:41], -v[50:51]
	v_ldexp_f64 v[50:51], v[54:55], -2
	s_delay_alu instid0(VALU_DEP_3) | instskip(SKIP_1) | instid1(VALU_DEP_3)
	v_add_f64_e64 v[46:47], v[46:47], -v[52:53]
	v_mul_f64_e32 v[56:57], v[36:37], v[42:43]
	v_cmp_neq_f64_e64 vcc_lo, 0x7ff00000, |v[50:51]|
	s_delay_alu instid0(VALU_DEP_3) | instskip(SKIP_1) | instid1(VALU_DEP_4)
	v_add_f64_e32 v[40:41], v[40:41], v[46:47]
	v_fract_f64_e32 v[46:47], v[50:51]
	v_add_f64_e32 v[52:53], v[56:57], v[38:39]
	v_fma_f64 v[36:37], v[36:37], v[42:43], -v[56:57]
	s_delay_alu instid0(VALU_DEP_3) | instskip(NEXT) | instid1(VALU_DEP_1)
	v_ldexp_f64 v[46:47], v[46:47], 2
	v_dual_add_f64 v[44:45], v[54:55], -v[44:45] :: v_dual_cndmask_b32 v47, 0, v47, vcc_lo
	s_delay_alu instid0(VALU_DEP_1) | instskip(SKIP_1) | instid1(VALU_DEP_1)
	v_dual_add_f64 v[44:45], v[48:49], -v[44:45] :: v_dual_cndmask_b32 v46, 0, v46, vcc_lo
	v_add_f64_e32 v[48:49], v[52:53], v[40:41]
	v_add_f64_e32 v[50:51], v[44:45], v[48:49]
	v_add_f64_e64 v[58:59], v[48:49], -v[52:53]
	s_delay_alu instid0(VALU_DEP_2) | instskip(NEXT) | instid1(VALU_DEP_2)
	v_add_f64_e32 v[54:55], v[50:51], v[46:47]
	v_add_f64_e64 v[64:65], v[48:49], -v[58:59]
	v_add_f64_e64 v[40:41], v[40:41], -v[58:59]
	;; [unrolled: 1-line block ×3, first 2 shown]
	s_delay_alu instid0(VALU_DEP_4) | instskip(SKIP_1) | instid1(VALU_DEP_3)
	v_cmp_gt_f64_e32 vcc_lo, 0, v[54:55]
	v_add_f64_e64 v[54:55], v[52:53], -v[56:57]
	v_add_f64_e64 v[42:43], v[48:49], -v[42:43]
                                        ; implicit-def: $vgpr48_vgpr49
	v_cndmask_b32_e64 v21, 0, 0x40100000, vcc_lo
	s_delay_alu instid0(VALU_DEP_3) | instskip(SKIP_2) | instid1(VALU_DEP_4)
	v_add_f64_e64 v[62:63], v[52:53], -v[54:55]
	v_add_f64_e64 v[38:39], v[38:39], -v[54:55]
	;; [unrolled: 1-line block ×3, first 2 shown]
	v_add_f64_e32 v[46:47], v[46:47], v[20:21]
	s_delay_alu instid0(VALU_DEP_4) | instskip(NEXT) | instid1(VALU_DEP_3)
	v_add_f64_e64 v[54:55], v[56:57], -v[62:63]
	v_add_f64_e32 v[40:41], v[40:41], v[52:53]
	s_delay_alu instid0(VALU_DEP_3) | instskip(NEXT) | instid1(VALU_DEP_3)
	v_add_f64_e32 v[60:61], v[50:51], v[46:47]
	v_add_f64_e32 v[38:39], v[38:39], v[54:55]
	s_delay_alu instid0(VALU_DEP_2) | instskip(NEXT) | instid1(VALU_DEP_2)
	v_cvt_i32_f64_e32 v21, v[60:61]
	v_add_f64_e32 v[38:39], v[38:39], v[40:41]
	s_delay_alu instid0(VALU_DEP_2) | instskip(NEXT) | instid1(VALU_DEP_2)
	v_cvt_f64_i32_e32 v[58:59], v21
	v_add_f64_e32 v[36:37], v[36:37], v[38:39]
	s_delay_alu instid0(VALU_DEP_2) | instskip(NEXT) | instid1(VALU_DEP_2)
	v_add_f64_e64 v[46:47], v[46:47], -v[58:59]
	v_add_f64_e32 v[36:37], v[42:43], v[36:37]
	s_delay_alu instid0(VALU_DEP_2) | instskip(NEXT) | instid1(VALU_DEP_1)
	v_add_f64_e32 v[40:41], v[50:51], v[46:47]
	v_add_f64_e64 v[38:39], v[40:41], -v[46:47]
	v_cmp_le_f64_e32 vcc_lo, 0.5, v[40:41]
	s_delay_alu instid0(VALU_DEP_2) | instskip(SKIP_2) | instid1(VALU_DEP_3)
	v_add_f64_e64 v[38:39], v[50:51], -v[38:39]
	v_add_co_ci_u32_e64 v50, null, 0, v21, vcc_lo
	v_cndmask_b32_e64 v21, 0, 0x3ff00000, vcc_lo
	v_add_f64_e32 v[36:37], v[36:37], v[38:39]
	s_delay_alu instid0(VALU_DEP_2) | instskip(NEXT) | instid1(VALU_DEP_1)
	v_add_f64_e64 v[38:39], v[40:41], -v[20:21]
	v_add_f64_e32 v[40:41], v[38:39], v[36:37]
	s_delay_alu instid0(VALU_DEP_1) | instskip(SKIP_1) | instid1(VALU_DEP_2)
	v_mul_f64_e32 v[42:43], 0x3ff921fb54442d18, v[40:41]
	v_add_f64_e64 v[38:39], v[40:41], -v[38:39]
	v_fma_f64 v[46:47], v[40:41], s[18:19], -v[42:43]
	s_delay_alu instid0(VALU_DEP_2) | instskip(NEXT) | instid1(VALU_DEP_2)
	v_add_f64_e64 v[36:37], v[36:37], -v[38:39]
	v_fmac_f64_e32 v[46:47], 0x3c91a62633145c07, v[40:41]
	s_delay_alu instid0(VALU_DEP_1) | instskip(NEXT) | instid1(VALU_DEP_1)
	v_fmac_f64_e32 v[46:47], 0x3ff921fb54442d18, v[36:37]
	v_add_f64_e32 v[44:45], v[42:43], v[46:47]
	s_delay_alu instid0(VALU_DEP_1) | instskip(NEXT) | instid1(VALU_DEP_1)
	v_add_f64_e64 v[36:37], v[44:45], -v[42:43]
	v_add_f64_e64 v[46:47], v[46:47], -v[36:37]
	s_and_not1_saveexec_b32 s2, s2
	s_cbranch_execnz .LBB247_43
	s_branch .LBB247_44
.LBB247_42:                             ;   in Loop: Header=BB247_4 Depth=1
	s_and_not1_saveexec_b32 s2, s2
	s_cbranch_execz .LBB247_44
.LBB247_43:                             ;   in Loop: Header=BB247_4 Depth=1
	s_delay_alu instid0(VALU_DEP_1) | instskip(SKIP_2) | instid1(VALU_DEP_2)
	v_fma_f64 v[36:37], v[48:49], s[22:23], |v[8:9]|
	v_mul_f64_e32 v[38:39], 0xbc91a62633145c00, v[48:49]
	v_cvt_i32_f64_e32 v50, v[48:49]
	v_add_f64_e32 v[40:41], v[36:37], v[38:39]
	s_delay_alu instid0(VALU_DEP_1) | instskip(SKIP_1) | instid1(VALU_DEP_1)
	v_add_f64_e64 v[42:43], v[36:37], -v[40:41]
	v_fmamk_f64 v[36:37], v[48:49], 0xbc91a62633145c00, v[36:37]
	v_add_f64_e64 v[40:41], v[40:41], -v[36:37]
	s_delay_alu instid0(VALU_DEP_3) | instskip(SKIP_1) | instid1(VALU_DEP_2)
	v_add_f64_e32 v[42:43], v[42:43], v[38:39]
	v_fmamk_f64 v[38:39], v[48:49], 0x3c91a62633145c00, v[38:39]
	v_add_f64_e32 v[40:41], v[40:41], v[42:43]
	s_delay_alu instid0(VALU_DEP_1) | instskip(NEXT) | instid1(VALU_DEP_1)
	v_add_f64_e64 v[38:39], v[40:41], -v[38:39]
	v_fmac_f64_e32 v[38:39], 0xb97b839a252049c0, v[48:49]
	s_delay_alu instid0(VALU_DEP_1) | instskip(NEXT) | instid1(VALU_DEP_1)
	v_add_f64_e32 v[44:45], v[36:37], v[38:39]
	v_add_f64_e64 v[36:37], v[44:45], -v[36:37]
	s_delay_alu instid0(VALU_DEP_1)
	v_add_f64_e64 v[46:47], v[38:39], -v[36:37]
.LBB247_44:                             ;   in Loop: Header=BB247_4 Depth=1
	s_or_b32 exec_lo, exec_lo, s2
	v_dual_mul_f64 v[36:37], v[6:7], v[6:7] :: v_dual_bitop2_b32 v21, 1, v1 bitop3:0x40
	v_cmp_class_f64_e64 s2, v[8:9], 0x1f8
	v_lshlrev_b32_e32 v9, 30, v50
	s_delay_alu instid0(VALU_DEP_4) | instskip(SKIP_3) | instid1(VALU_DEP_3)
	v_mul_f64_e32 v[54:55], 0.5, v[34:35]
	v_and_b32_e32 v8, 1, v50
	v_cmp_eq_u32_e32 vcc_lo, 0, v21
	v_lshlrev_b32_e32 v1, 30, v1
	v_cmp_eq_u32_e64 s3, 0, v8
	v_dual_mul_f64 v[62:63], 0.5, v[46:47] :: v_dual_bitop2_b32 v8, v9, v33 bitop3:0x14
	v_mul_f64_e32 v[40:41], 0.5, v[36:37]
	v_mul_f64_e64 v[56:57], v[6:7], -v[36:37]
	v_fmamk_f64 v[60:61], v[36:37], 0x3de5e0b2f9a43bb8, v[28:29]
	s_delay_alu instid0(VALU_DEP_1) | instskip(NEXT) | instid1(VALU_DEP_1)
	v_fmaak_f64 v[60:61], v[36:37], v[60:61], 0x3ec71de3796cde01
	v_fmaak_f64 v[60:61], v[36:37], v[60:61], 0xbf2a01a019e83e5c
	s_delay_alu instid0(VALU_DEP_1) | instskip(SKIP_1) | instid1(VALU_DEP_2)
	v_fmaak_f64 v[60:61], v[36:37], v[60:61], 0x3f81111111110bb3
	v_add_f64_e64 v[48:49], -v[40:41], 1.0
	v_fmac_f64_e32 v[54:55], v[56:57], v[60:61]
	s_delay_alu instid0(VALU_DEP_2) | instskip(NEXT) | instid1(VALU_DEP_2)
	v_add_f64_e64 v[58:59], -v[48:49], 1.0
	v_fma_f64 v[54:55], v[36:37], v[54:55], -v[34:35]
	s_delay_alu instid0(VALU_DEP_2) | instskip(NEXT) | instid1(VALU_DEP_2)
	v_add_f64_e64 v[40:41], v[58:59], -v[40:41]
	v_fmac_f64_e32 v[54:55], 0xbfc5555555555555, v[56:57]
	s_delay_alu instid0(VALU_DEP_2) | instskip(NEXT) | instid1(VALU_DEP_2)
	v_fma_f64 v[34:35], v[6:7], -v[34:35], v[40:41]
	v_add_f64_e64 v[6:7], v[6:7], -v[54:55]
	v_mul_f64_e32 v[38:39], v[44:45], v[44:45]
	s_delay_alu instid0(VALU_DEP_2) | instskip(NEXT) | instid1(VALU_DEP_2)
	v_xor_b32_e32 v7, 0x80000000, v7
	v_mul_f64_e64 v[64:65], v[44:45], -v[38:39]
	v_fmamk_f64 v[68:69], v[38:39], 0x3de5e0b2f9a43bb8, v[28:29]
	v_mul_f64_e32 v[60:61], v[36:37], v[36:37]
	s_delay_alu instid0(VALU_DEP_2) | instskip(NEXT) | instid1(VALU_DEP_1)
	v_fmaak_f64 v[58:59], v[38:39], v[68:69], 0x3ec71de3796cde01
	v_fmaak_f64 v[58:59], v[38:39], v[58:59], 0xbf2a01a019e83e5c
	s_delay_alu instid0(VALU_DEP_1) | instskip(NEXT) | instid1(VALU_DEP_1)
	v_fmaak_f64 v[58:59], v[38:39], v[58:59], 0x3f81111111110bb3
	v_fmac_f64_e32 v[62:63], v[64:65], v[58:59]
	v_fmamk_f64 v[58:59], v[36:37], 0xbda907db46cc5e42, v[26:27]
	s_delay_alu instid0(VALU_DEP_1) | instskip(NEXT) | instid1(VALU_DEP_1)
	v_fmaak_f64 v[40:41], v[36:37], v[58:59], 0xbe927e4fa17f65f6
	v_fmaak_f64 v[40:41], v[36:37], v[40:41], 0x3efa01a019f4ec90
	s_delay_alu instid0(VALU_DEP_1) | instskip(NEXT) | instid1(VALU_DEP_1)
	v_fmaak_f64 v[40:41], v[36:37], v[40:41], 0xbf56c16c16c16967
	v_fmaak_f64 v[36:37], v[36:37], v[40:41], 0x3fa5555555555555
	s_delay_alu instid0(VALU_DEP_1) | instskip(NEXT) | instid1(VALU_DEP_1)
	v_fmac_f64_e32 v[34:35], v[60:61], v[36:37]
	v_add_f64_e32 v[34:35], v[48:49], v[34:35]
	s_delay_alu instid0(VALU_DEP_1) | instskip(SKIP_3) | instid1(VALU_DEP_4)
	v_cndmask_b32_e32 v6, v6, v34, vcc_lo
	v_mul_f64_e32 v[42:43], 0.5, v[38:39]
	v_fmamk_f64 v[58:59], v[38:39], 0xbda907db46cc5e42, v[26:27]
	v_fma_f64 v[62:63], v[38:39], v[62:63], -v[46:47]
	v_dual_cndmask_b32 v7, v7, v35, vcc_lo :: v_dual_cndmask_b32 v34, 0, v6, s2
	s_delay_alu instid0(VALU_DEP_3) | instskip(NEXT) | instid1(VALU_DEP_2)
	v_fmaak_f64 v[40:41], v[38:39], v[58:59], 0xbe927e4fa17f65f6
	v_bitop3_b32 v1, v7, v1, 0x80000000 bitop3:0x78
	s_delay_alu instid0(VALU_DEP_1) | instskip(NEXT) | instid1(VALU_DEP_3)
	v_cndmask_b32_e64 v35, 0x7ff80000, v1, s2
	v_fmaak_f64 v[36:37], v[38:39], v[40:41], 0x3efa01a019f4ec90
	s_delay_alu instid0(VALU_DEP_1) | instskip(NEXT) | instid1(VALU_DEP_1)
	v_fmaak_f64 v[36:37], v[38:39], v[36:37], 0xbf56c16c16c16967
	v_fmaak_f64 v[36:37], v[38:39], v[36:37], 0x3fa5555555555555
	v_add_f64_e64 v[52:53], -v[42:43], 1.0
	v_fmac_f64_e32 v[62:63], 0xbfc5555555555555, v[64:65]
	s_delay_alu instid0(VALU_DEP_2) | instskip(NEXT) | instid1(VALU_DEP_1)
	v_add_f64_e64 v[66:67], -v[52:53], 1.0
	v_add_f64_e64 v[42:43], v[66:67], -v[42:43]
	v_mul_f64_e32 v[66:67], v[38:39], v[38:39]
	s_delay_alu instid0(VALU_DEP_2) | instskip(NEXT) | instid1(VALU_DEP_1)
	v_fma_f64 v[42:43], v[44:45], -v[46:47], v[42:43]
	v_fmac_f64_e32 v[42:43], v[66:67], v[36:37]
	v_add_f64_e64 v[36:37], v[44:45], -v[62:63]
	s_delay_alu instid0(VALU_DEP_2) | instskip(NEXT) | instid1(VALU_DEP_1)
	v_add_f64_e32 v[38:39], v[52:53], v[42:43]
	v_dual_cndmask_b32 v21, v39, v37, s3 :: v_dual_cndmask_b32 v9, v38, v36, s3
	s_delay_alu instid0(VALU_DEP_1) | instskip(NEXT) | instid1(VALU_DEP_2)
	v_bitop3_b32 v7, v21, v8, 0x80000000 bitop3:0x78
	v_cndmask_b32_e64 v32, 0, v9, s2
	s_delay_alu instid0(VALU_DEP_2)
	v_cndmask_b32_e64 v33, 0x7ff80000, v7, s2
.LBB247_45:                             ;   in Loop: Header=BB247_4 Depth=1
	s_or_b32 exec_lo, exec_lo, s4
                                        ; implicit-def: $vgpr6_vgpr7
.LBB247_46:                             ;   in Loop: Header=BB247_4 Depth=1
	s_and_not1_saveexec_b32 s3, s38
	s_cbranch_execz .LBB247_48
; %bb.47:                               ;   in Loop: Header=BB247_4 Depth=1
	v_mul_f64_e32 v[8:9], 0xbff71547652b82fe, v[6:7]
	v_cmp_ngt_f64_e32 vcc_lo, 0xc0900000, v[6:7]
	v_cmp_nlt_f64_e64 s2, 0x4090cc00, v[6:7]
	s_delay_alu instid0(VALU_DEP_3) | instskip(NEXT) | instid1(VALU_DEP_1)
	v_rndne_f64_e32 v[8:9], v[8:9]
	v_fma_f64 v[34:35], v[8:9], s[24:25], -v[6:7]
	v_cvt_i32_f64_e32 v1, v[8:9]
	s_delay_alu instid0(VALU_DEP_2) | instskip(NEXT) | instid1(VALU_DEP_1)
	v_fmac_f64_e32 v[34:35], 0xbc7abc9e3b39803f, v[8:9]
	v_fmamk_f64 v[36:37], v[34:35], 0x3e5ade156a5dcb37, v[24:25]
	s_delay_alu instid0(VALU_DEP_1) | instskip(NEXT) | instid1(VALU_DEP_1)
	v_fmaak_f64 v[36:37], v[34:35], v[36:37], 0x3ec71dee623fde64
	v_fmaak_f64 v[36:37], v[34:35], v[36:37], 0x3efa01997c89e6b0
	s_delay_alu instid0(VALU_DEP_1) | instskip(NEXT) | instid1(VALU_DEP_1)
	v_fmaak_f64 v[36:37], v[34:35], v[36:37], 0x3f2a01a014761f6e
	v_fmaak_f64 v[36:37], v[34:35], v[36:37], 0x3f56c16c1852b7b0
	;; [unrolled: 3-line block ×4, first 2 shown]
	s_delay_alu instid0(VALU_DEP_1) | instskip(NEXT) | instid1(VALU_DEP_1)
	v_fma_f64 v[36:37], v[34:35], v[36:37], 1.0
	v_fma_f64 v[8:9], v[34:35], v[36:37], 1.0
	s_delay_alu instid0(VALU_DEP_1) | instskip(NEXT) | instid1(VALU_DEP_1)
	v_ldexp_f64 v[8:9], v[8:9], v1
	v_cndmask_b32_e32 v1, 0x7ff00000, v9, vcc_lo
	s_and_b32 vcc_lo, s2, vcc_lo
	s_delay_alu instid0(VALU_DEP_1) | instid1(SALU_CYCLE_1)
	v_dual_cndmask_b32 v34, 0, v8, vcc_lo :: v_dual_cndmask_b32 v35, 0, v1, s2
.LBB247_48:                             ;   in Loop: Header=BB247_4 Depth=1
	s_or_b32 exec_lo, exec_lo, s3
	s_delay_alu instid0(VALU_DEP_1) | instskip(NEXT) | instid1(VALU_DEP_2)
	v_add_f64_e32 v[32:33], s[10:11], v[32:33]
	v_add_f64_e32 v[34:35], s[8:9], v[34:35]
	s_mov_b32 s2, exec_lo
	s_delay_alu instid0(VALU_DEP_2) | instskip(NEXT) | instid1(VALU_DEP_2)
	v_mov_b32_e32 v38, v32
	v_cmp_gt_f64_e32 vcc_lo, 0, v[34:35]
	v_xor_b32_e32 v1, 0x80000000, v35
	v_mov_b32_e32 v36, v34
	v_xor_b32_e32 v6, 0x80000000, v33
	s_delay_alu instid0(VALU_DEP_3) | instskip(SKIP_1) | instid1(VALU_DEP_3)
	v_cndmask_b32_e32 v37, v35, v1, vcc_lo
	v_cmp_gt_f64_e32 vcc_lo, 0, v[32:33]
	v_cndmask_b32_e32 v39, v33, v6, vcc_lo
                                        ; implicit-def: $vgpr8_vgpr9
	s_delay_alu instid0(VALU_DEP_1)
	v_cmpx_ge_f64_e32 v[36:37], v[38:39]
	s_xor_b32 s3, exec_lo, s2
	s_cbranch_execz .LBB247_54
; %bb.49:                               ;   in Loop: Header=BB247_4 Depth=1
	v_cmp_neq_f64_e32 vcc_lo, 0, v[34:35]
	v_cmp_neq_f64_e64 s2, 0, v[32:33]
                                        ; implicit-def: $vgpr8_vgpr9
	s_or_b32 s2, vcc_lo, s2
	s_delay_alu instid0(SALU_CYCLE_1) | instskip(NEXT) | instid1(SALU_CYCLE_1)
	s_and_saveexec_b32 s4, s2
	s_xor_b32 s2, exec_lo, s4
	s_cbranch_execz .LBB247_51
; %bb.50:                               ;   in Loop: Header=BB247_4 Depth=1
	v_div_scale_f64 v[6:7], null, v[34:35], v[34:35], v[32:33]
	v_div_scale_f64 v[38:39], vcc_lo, v[32:33], v[34:35], v[32:33]
	s_delay_alu instid0(VALU_DEP_2) | instskip(SKIP_1) | instid1(TRANS32_DEP_1)
	v_rcp_f64_e32 v[8:9], v[6:7]
	v_nop
	v_fma_f64 v[36:37], -v[6:7], v[8:9], 1.0
	s_delay_alu instid0(VALU_DEP_1) | instskip(NEXT) | instid1(VALU_DEP_1)
	v_fmac_f64_e32 v[8:9], v[8:9], v[36:37]
	v_fma_f64 v[36:37], -v[6:7], v[8:9], 1.0
	s_delay_alu instid0(VALU_DEP_1) | instskip(NEXT) | instid1(VALU_DEP_1)
	v_fmac_f64_e32 v[8:9], v[8:9], v[36:37]
	v_mul_f64_e32 v[36:37], v[38:39], v[8:9]
	s_delay_alu instid0(VALU_DEP_1) | instskip(NEXT) | instid1(VALU_DEP_1)
	v_fma_f64 v[6:7], -v[6:7], v[36:37], v[38:39]
	v_div_fmas_f64 v[6:7], v[6:7], v[8:9], v[36:37]
	s_delay_alu instid0(VALU_DEP_1) | instskip(NEXT) | instid1(VALU_DEP_1)
	v_div_fixup_f64 v[6:7], v[6:7], v[34:35], v[32:33]
	v_fmac_f64_e32 v[34:35], v[32:33], v[6:7]
	s_delay_alu instid0(VALU_DEP_1) | instskip(SKIP_1) | instid1(VALU_DEP_2)
	v_div_scale_f64 v[8:9], null, v[34:35], v[34:35], 1.0
	v_div_scale_f64 v[38:39], vcc_lo, 1.0, v[34:35], 1.0
	v_rcp_f64_e32 v[32:33], v[8:9]
	v_nop
	s_delay_alu instid0(TRANS32_DEP_1) | instskip(NEXT) | instid1(VALU_DEP_1)
	v_fma_f64 v[36:37], -v[8:9], v[32:33], 1.0
	v_fmac_f64_e32 v[32:33], v[32:33], v[36:37]
	s_delay_alu instid0(VALU_DEP_1) | instskip(NEXT) | instid1(VALU_DEP_1)
	v_fma_f64 v[36:37], -v[8:9], v[32:33], 1.0
	v_fmac_f64_e32 v[32:33], v[32:33], v[36:37]
	s_delay_alu instid0(VALU_DEP_1) | instskip(NEXT) | instid1(VALU_DEP_1)
	v_mul_f64_e32 v[36:37], v[38:39], v[32:33]
	v_fma_f64 v[8:9], -v[8:9], v[36:37], v[38:39]
                                        ; implicit-def: $vgpr38_vgpr39
	s_delay_alu instid0(VALU_DEP_1) | instskip(SKIP_1) | instid1(VALU_DEP_2)
	v_div_fmas_f64 v[8:9], v[8:9], v[32:33], v[36:37]
	v_fma_f64 v[32:33], s[10:11], v[6:7], s[8:9]
                                        ; implicit-def: $vgpr36_vgpr37
	v_div_fixup_f64 v[8:9], v[8:9], v[34:35], 1.0
	v_fma_f64 v[34:35], -s[8:9], v[6:7], s[10:11]
	s_delay_alu instid0(VALU_DEP_2) | instskip(NEXT) | instid1(VALU_DEP_2)
	v_mul_f64_e32 v[6:7], v[32:33], v[8:9]
	v_mul_f64_e32 v[8:9], v[34:35], v[8:9]
.LBB247_51:                             ;   in Loop: Header=BB247_4 Depth=1
	s_and_not1_saveexec_b32 s4, s2
	s_cbranch_execz .LBB247_53
; %bb.52:                               ;   in Loop: Header=BB247_4 Depth=1
	v_div_scale_f64 v[6:7], null, v[36:37], v[36:37], s[8:9]
	v_div_scale_f64 v[8:9], null, v[38:39], v[38:39], s[10:11]
	v_div_scale_f64 v[44:45], vcc_lo, s[8:9], v[36:37], s[8:9]
	s_delay_alu instid0(VALU_DEP_3) | instskip(NEXT) | instid1(VALU_DEP_2)
	v_rcp_f64_e32 v[32:33], v[6:7]
	v_rcp_f64_e32 v[34:35], v[8:9]
	s_delay_alu instid0(TRANS32_DEP_2) | instskip(NEXT) | instid1(TRANS32_DEP_1)
	v_fma_f64 v[40:41], -v[6:7], v[32:33], 1.0
	v_fma_f64 v[42:43], -v[8:9], v[34:35], 1.0
	s_delay_alu instid0(VALU_DEP_2) | instskip(NEXT) | instid1(VALU_DEP_2)
	v_fmac_f64_e32 v[32:33], v[32:33], v[40:41]
	v_fmac_f64_e32 v[34:35], v[34:35], v[42:43]
	s_delay_alu instid0(VALU_DEP_2) | instskip(NEXT) | instid1(VALU_DEP_2)
	v_fma_f64 v[40:41], -v[6:7], v[32:33], 1.0
	v_fma_f64 v[42:43], -v[8:9], v[34:35], 1.0
	s_delay_alu instid0(VALU_DEP_2) | instskip(SKIP_1) | instid1(VALU_DEP_3)
	v_fmac_f64_e32 v[32:33], v[32:33], v[40:41]
	v_div_scale_f64 v[40:41], s2, s[10:11], v[38:39], s[10:11]
	v_fmac_f64_e32 v[34:35], v[34:35], v[42:43]
	s_delay_alu instid0(VALU_DEP_3) | instskip(NEXT) | instid1(VALU_DEP_2)
	v_mul_f64_e32 v[42:43], v[44:45], v[32:33]
	v_mul_f64_e32 v[46:47], v[40:41], v[34:35]
	s_delay_alu instid0(VALU_DEP_2) | instskip(NEXT) | instid1(VALU_DEP_2)
	v_fma_f64 v[6:7], -v[6:7], v[42:43], v[44:45]
	v_fma_f64 v[8:9], -v[8:9], v[46:47], v[40:41]
	s_delay_alu instid0(VALU_DEP_2) | instskip(SKIP_1) | instid1(VALU_DEP_2)
	v_div_fmas_f64 v[6:7], v[6:7], v[32:33], v[42:43]
	s_mov_b32 vcc_lo, s2
	v_div_fmas_f64 v[8:9], v[8:9], v[34:35], v[46:47]
	s_delay_alu instid0(VALU_DEP_2) | instskip(NEXT) | instid1(VALU_DEP_2)
	v_div_fixup_f64 v[6:7], v[6:7], v[36:37], s[8:9]
	v_div_fixup_f64 v[8:9], v[8:9], v[38:39], s[10:11]
.LBB247_53:                             ;   in Loop: Header=BB247_4 Depth=1
	s_or_b32 exec_lo, exec_lo, s4
                                        ; implicit-def: $vgpr32_vgpr33
                                        ; implicit-def: $vgpr34_vgpr35
.LBB247_54:                             ;   in Loop: Header=BB247_4 Depth=1
	s_and_not1_saveexec_b32 s2, s3
	s_cbranch_execz .LBB247_56
; %bb.55:                               ;   in Loop: Header=BB247_4 Depth=1
	v_div_scale_f64 v[6:7], null, v[32:33], v[32:33], v[34:35]
	v_div_scale_f64 v[38:39], vcc_lo, v[34:35], v[32:33], v[34:35]
	s_delay_alu instid0(VALU_DEP_2) | instskip(SKIP_1) | instid1(TRANS32_DEP_1)
	v_rcp_f64_e32 v[8:9], v[6:7]
	v_nop
	v_fma_f64 v[36:37], -v[6:7], v[8:9], 1.0
	s_delay_alu instid0(VALU_DEP_1) | instskip(NEXT) | instid1(VALU_DEP_1)
	v_fmac_f64_e32 v[8:9], v[8:9], v[36:37]
	v_fma_f64 v[36:37], -v[6:7], v[8:9], 1.0
	s_delay_alu instid0(VALU_DEP_1) | instskip(NEXT) | instid1(VALU_DEP_1)
	v_fmac_f64_e32 v[8:9], v[8:9], v[36:37]
	v_mul_f64_e32 v[36:37], v[38:39], v[8:9]
	s_delay_alu instid0(VALU_DEP_1) | instskip(NEXT) | instid1(VALU_DEP_1)
	v_fma_f64 v[6:7], -v[6:7], v[36:37], v[38:39]
	v_div_fmas_f64 v[6:7], v[6:7], v[8:9], v[36:37]
	s_delay_alu instid0(VALU_DEP_1) | instskip(NEXT) | instid1(VALU_DEP_1)
	v_div_fixup_f64 v[6:7], v[6:7], v[32:33], v[34:35]
	v_fmac_f64_e32 v[32:33], v[34:35], v[6:7]
	s_delay_alu instid0(VALU_DEP_1) | instskip(SKIP_1) | instid1(VALU_DEP_2)
	v_div_scale_f64 v[8:9], null, v[32:33], v[32:33], 1.0
	v_div_scale_f64 v[38:39], vcc_lo, 1.0, v[32:33], 1.0
	v_rcp_f64_e32 v[34:35], v[8:9]
	v_nop
	s_delay_alu instid0(TRANS32_DEP_1) | instskip(NEXT) | instid1(VALU_DEP_1)
	v_fma_f64 v[36:37], -v[8:9], v[34:35], 1.0
	v_fmac_f64_e32 v[34:35], v[34:35], v[36:37]
	s_delay_alu instid0(VALU_DEP_1) | instskip(NEXT) | instid1(VALU_DEP_1)
	v_fma_f64 v[36:37], -v[8:9], v[34:35], 1.0
	v_fmac_f64_e32 v[34:35], v[34:35], v[36:37]
	s_delay_alu instid0(VALU_DEP_1) | instskip(NEXT) | instid1(VALU_DEP_1)
	v_mul_f64_e32 v[36:37], v[38:39], v[34:35]
	v_fma_f64 v[8:9], -v[8:9], v[36:37], v[38:39]
	s_delay_alu instid0(VALU_DEP_1) | instskip(SKIP_1) | instid1(VALU_DEP_2)
	v_div_fmas_f64 v[8:9], v[8:9], v[34:35], v[36:37]
	v_fma_f64 v[34:35], s[8:9], v[6:7], s[10:11]
	v_div_fixup_f64 v[8:9], v[8:9], v[32:33], 1.0
	v_fma_f64 v[32:33], s[10:11], v[6:7], -s[8:9]
	s_delay_alu instid0(VALU_DEP_2) | instskip(NEXT) | instid1(VALU_DEP_2)
	v_mul_f64_e32 v[6:7], v[34:35], v[8:9]
	v_mul_f64_e32 v[8:9], v[32:33], v[8:9]
.LBB247_56:                             ;   in Loop: Header=BB247_4 Depth=1
	s_or_b32 exec_lo, exec_lo, s2
	s_wait_loadcnt 0x2
	v_xor_b32_e32 v33, 0x80000000, v17
                                        ; implicit-def: $vgpr34_vgpr35
	s_mov_b32 s2, exec_lo
	v_mov_b32_e32 v32, v16
	s_delay_alu instid0(VALU_DEP_2) | instskip(NEXT) | instid1(VALU_DEP_1)
	v_and_b32_e32 v21, 0x7fffffff, v33
	v_or_b32_e32 v1, v21, v16
	s_delay_alu instid0(VALU_DEP_1)
	v_cmpx_ne_u32_e32 0, v1
	s_xor_b32 s38, exec_lo, s2
	s_cbranch_execz .LBB247_98
; %bb.57:                               ;   in Loop: Header=BB247_4 Depth=1
	v_xor_b32_e32 v37, 0x80000000, v15
                                        ; implicit-def: $vgpr34_vgpr35
	s_mov_b32 s2, exec_lo
	v_mov_b32_e32 v36, v14
	s_delay_alu instid0(VALU_DEP_2) | instskip(NEXT) | instid1(VALU_DEP_1)
	v_and_b32_e32 v1, 0x7fffffff, v37
	v_or_b32_e32 v32, v1, v14
	s_delay_alu instid0(VALU_DEP_1)
	v_cmpx_ne_u32_e32 0, v32
	s_xor_b32 s39, exec_lo, s2
	s_cbranch_execz .LBB247_87
; %bb.58:                               ;   in Loop: Header=BB247_4 Depth=1
                                        ; implicit-def: $vgpr34_vgpr35
	s_mov_b32 s2, exec_lo
	v_cmpx_gt_u32_e32 0x7ff00000, v21
	s_xor_b32 s40, exec_lo, s2
	s_cbranch_execz .LBB247_80
; %bb.59:                               ;   in Loop: Header=BB247_4 Depth=1
	v_add_nc_u32_e32 v1, 0xbf79d1be, v37
                                        ; implicit-def: $vgpr34_vgpr35
	s_mov_b32 s2, exec_lo
	s_delay_alu instid0(VALU_DEP_1)
	v_cmpx_lt_u32_e32 0x108aa2, v1
	s_xor_b32 s41, exec_lo, s2
	s_cbranch_execz .LBB247_69
; %bb.60:                               ;   in Loop: Header=BB247_4 Depth=1
	v_cmp_ngt_f64_e64 s2, 0x41d00000, |v[16:17]|
                                        ; implicit-def: $vgpr1
                                        ; implicit-def: $vgpr34_vgpr35
                                        ; implicit-def: $vgpr36_vgpr37
	s_and_saveexec_b32 s3, s2
	s_delay_alu instid0(SALU_CYCLE_1)
	s_xor_b32 s3, exec_lo, s3
	s_cbranch_execz .LBB247_62
; %bb.61:                               ;   in Loop: Header=BB247_4 Depth=1
	v_ldexp_f64 v[34:35], |v[16:17]|, 0xffffff80
	v_cmp_le_f64_e64 vcc_lo, 0x7b000000, |v[16:17]|
	v_trig_preop_f64 v[36:37], |v[16:17]|, 0
	v_and_b32_e32 v1, 0x7fffffff, v17
	v_trig_preop_f64 v[38:39], |v[16:17]|, 1
	v_trig_preop_f64 v[48:49], |v[16:17]|, 2
	s_delay_alu instid0(VALU_DEP_3) | instskip(NEXT) | instid1(VALU_DEP_1)
	v_dual_cndmask_b32 v35, v1, v35 :: v_dual_cndmask_b32 v34, v16, v34
	v_mul_f64_e32 v[40:41], v[36:37], v[34:35]
	s_delay_alu instid0(VALU_DEP_4) | instskip(NEXT) | instid1(VALU_DEP_4)
	v_mul_f64_e32 v[42:43], v[38:39], v[34:35]
	v_mul_f64_e32 v[54:55], v[48:49], v[34:35]
	s_delay_alu instid0(VALU_DEP_3) | instskip(NEXT) | instid1(VALU_DEP_3)
	v_fma_f64 v[36:37], v[36:37], v[34:35], -v[40:41]
	v_fma_f64 v[38:39], v[38:39], v[34:35], -v[42:43]
	s_delay_alu instid0(VALU_DEP_3) | instskip(NEXT) | instid1(VALU_DEP_3)
	v_fma_f64 v[34:35], v[48:49], v[34:35], -v[54:55]
	v_add_f64_e32 v[44:45], v[42:43], v[36:37]
	s_delay_alu instid0(VALU_DEP_1) | instskip(SKIP_1) | instid1(VALU_DEP_2)
	v_add_f64_e64 v[46:47], v[44:45], -v[42:43]
	v_add_f64_e32 v[52:53], v[40:41], v[44:45]
	v_add_f64_e64 v[50:51], v[44:45], -v[46:47]
	v_add_f64_e64 v[36:37], v[36:37], -v[46:47]
	s_delay_alu instid0(VALU_DEP_3) | instskip(NEXT) | instid1(VALU_DEP_3)
	v_ldexp_f64 v[46:47], v[52:53], -2
	v_add_f64_e64 v[42:43], v[42:43], -v[50:51]
	v_add_f64_e32 v[50:51], v[54:55], v[38:39]
	s_delay_alu instid0(VALU_DEP_3) | instskip(NEXT) | instid1(VALU_DEP_3)
	v_cmp_neq_f64_e64 vcc_lo, 0x7ff00000, |v[46:47]|
	v_add_f64_e32 v[36:37], v[36:37], v[42:43]
	v_fract_f64_e32 v[42:43], v[46:47]
	s_delay_alu instid0(VALU_DEP_1) | instskip(NEXT) | instid1(VALU_DEP_1)
	v_ldexp_f64 v[42:43], v[42:43], 2
	v_dual_add_f64 v[40:41], v[52:53], -v[40:41] :: v_dual_cndmask_b32 v42, 0, v42, vcc_lo
	s_delay_alu instid0(VALU_DEP_1) | instskip(SKIP_1) | instid1(VALU_DEP_1)
	v_dual_add_f64 v[40:41], v[44:45], -v[40:41] :: v_dual_cndmask_b32 v43, 0, v43, vcc_lo
	v_add_f64_e32 v[44:45], v[50:51], v[36:37]
	v_add_f64_e32 v[46:47], v[40:41], v[44:45]
	v_add_f64_e64 v[56:57], v[44:45], -v[50:51]
	s_delay_alu instid0(VALU_DEP_2) | instskip(NEXT) | instid1(VALU_DEP_2)
	v_add_f64_e32 v[52:53], v[46:47], v[42:43]
	v_add_f64_e64 v[62:63], v[44:45], -v[56:57]
	v_add_f64_e64 v[36:37], v[36:37], -v[56:57]
	v_add_f64_e64 v[40:41], v[46:47], -v[40:41]
	s_delay_alu instid0(VALU_DEP_4) | instskip(SKIP_1) | instid1(VALU_DEP_3)
	v_cmp_gt_f64_e32 vcc_lo, 0, v[52:53]
	v_add_f64_e64 v[52:53], v[50:51], -v[54:55]
	v_add_f64_e64 v[40:41], v[44:45], -v[40:41]
	v_cndmask_b32_e64 v21, 0, 0x40100000, vcc_lo
	s_delay_alu instid0(VALU_DEP_3) | instskip(SKIP_2) | instid1(VALU_DEP_4)
	v_add_f64_e64 v[60:61], v[50:51], -v[52:53]
	v_add_f64_e64 v[38:39], v[38:39], -v[52:53]
	;; [unrolled: 1-line block ×3, first 2 shown]
	v_add_f64_e32 v[42:43], v[42:43], v[20:21]
	s_delay_alu instid0(VALU_DEP_4) | instskip(NEXT) | instid1(VALU_DEP_3)
	v_add_f64_e64 v[52:53], v[54:55], -v[60:61]
	v_add_f64_e32 v[36:37], v[36:37], v[50:51]
	s_delay_alu instid0(VALU_DEP_3) | instskip(NEXT) | instid1(VALU_DEP_3)
	v_add_f64_e32 v[58:59], v[46:47], v[42:43]
	v_add_f64_e32 v[38:39], v[38:39], v[52:53]
	s_delay_alu instid0(VALU_DEP_2) | instskip(NEXT) | instid1(VALU_DEP_2)
	v_cvt_i32_f64_e32 v1, v[58:59]
	v_add_f64_e32 v[36:37], v[38:39], v[36:37]
	s_delay_alu instid0(VALU_DEP_2) | instskip(NEXT) | instid1(VALU_DEP_2)
	v_cvt_f64_i32_e32 v[56:57], v1
	v_add_f64_e32 v[34:35], v[34:35], v[36:37]
	s_delay_alu instid0(VALU_DEP_2) | instskip(NEXT) | instid1(VALU_DEP_2)
	v_add_f64_e64 v[42:43], v[42:43], -v[56:57]
	v_add_f64_e32 v[34:35], v[40:41], v[34:35]
	s_delay_alu instid0(VALU_DEP_2) | instskip(NEXT) | instid1(VALU_DEP_1)
	v_add_f64_e32 v[38:39], v[46:47], v[42:43]
	v_add_f64_e64 v[36:37], v[38:39], -v[42:43]
	v_cmp_le_f64_e32 vcc_lo, 0.5, v[38:39]
	s_delay_alu instid0(VALU_DEP_2) | instskip(SKIP_2) | instid1(VALU_DEP_3)
	v_add_f64_e64 v[36:37], v[46:47], -v[36:37]
	v_cndmask_b32_e64 v21, 0, 0x3ff00000, vcc_lo
	v_add_co_ci_u32_e64 v1, null, 0, v1, vcc_lo
	v_add_f64_e32 v[34:35], v[34:35], v[36:37]
	s_delay_alu instid0(VALU_DEP_3) | instskip(NEXT) | instid1(VALU_DEP_1)
	v_add_f64_e64 v[36:37], v[38:39], -v[20:21]
	v_add_f64_e32 v[38:39], v[36:37], v[34:35]
	s_delay_alu instid0(VALU_DEP_1) | instskip(SKIP_1) | instid1(VALU_DEP_2)
	v_mul_f64_e32 v[40:41], 0x3ff921fb54442d18, v[38:39]
	v_add_f64_e64 v[36:37], v[38:39], -v[36:37]
	v_fma_f64 v[42:43], v[38:39], s[18:19], -v[40:41]
	s_delay_alu instid0(VALU_DEP_2) | instskip(NEXT) | instid1(VALU_DEP_2)
	v_add_f64_e64 v[34:35], v[34:35], -v[36:37]
	v_fmac_f64_e32 v[42:43], 0x3c91a62633145c07, v[38:39]
	s_delay_alu instid0(VALU_DEP_1) | instskip(NEXT) | instid1(VALU_DEP_1)
	v_fmac_f64_e32 v[42:43], 0x3ff921fb54442d18, v[34:35]
	v_add_f64_e32 v[34:35], v[40:41], v[42:43]
	s_delay_alu instid0(VALU_DEP_1) | instskip(NEXT) | instid1(VALU_DEP_1)
	v_add_f64_e64 v[36:37], v[34:35], -v[40:41]
	v_add_f64_e64 v[36:37], v[42:43], -v[36:37]
	s_and_not1_saveexec_b32 s3, s3
	s_cbranch_execz .LBB247_64
	s_branch .LBB247_63
.LBB247_62:                             ;   in Loop: Header=BB247_4 Depth=1
	s_and_not1_saveexec_b32 s3, s3
	s_cbranch_execz .LBB247_64
.LBB247_63:                             ;   in Loop: Header=BB247_4 Depth=1
	v_mul_f64_e64 v[34:35], |v[16:17]|, s[20:21]
	s_delay_alu instid0(VALU_DEP_1) | instskip(NEXT) | instid1(VALU_DEP_1)
	v_rndne_f64_e32 v[38:39], v[34:35]
	v_fma_f64 v[34:35], v[38:39], s[22:23], |v[16:17]|
	v_mul_f64_e32 v[36:37], 0xbc91a62633145c00, v[38:39]
	v_cvt_i32_f64_e32 v1, v[38:39]
	s_delay_alu instid0(VALU_DEP_3) | instskip(NEXT) | instid1(VALU_DEP_3)
	v_fmamk_f64 v[44:45], v[38:39], 0xbc91a62633145c00, v[34:35]
	v_add_f64_e32 v[40:41], v[34:35], v[36:37]
	s_delay_alu instid0(VALU_DEP_1) | instskip(NEXT) | instid1(VALU_DEP_3)
	v_add_f64_e64 v[42:43], v[34:35], -v[40:41]
	v_add_f64_e64 v[34:35], v[40:41], -v[44:45]
	s_delay_alu instid0(VALU_DEP_2) | instskip(SKIP_1) | instid1(VALU_DEP_2)
	v_add_f64_e32 v[40:41], v[42:43], v[36:37]
	v_fmamk_f64 v[36:37], v[38:39], 0x3c91a62633145c00, v[36:37]
	v_add_f64_e32 v[34:35], v[34:35], v[40:41]
	s_delay_alu instid0(VALU_DEP_1) | instskip(NEXT) | instid1(VALU_DEP_1)
	v_add_f64_e64 v[36:37], v[34:35], -v[36:37]
	v_fmac_f64_e32 v[36:37], 0xb97b839a252049c0, v[38:39]
	s_delay_alu instid0(VALU_DEP_1) | instskip(NEXT) | instid1(VALU_DEP_1)
	v_add_f64_e32 v[34:35], v[44:45], v[36:37]
	v_add_f64_e64 v[40:41], v[34:35], -v[44:45]
	s_delay_alu instid0(VALU_DEP_1)
	v_add_f64_e64 v[36:37], v[36:37], -v[40:41]
.LBB247_64:                             ;   in Loop: Header=BB247_4 Depth=1
	s_or_b32 exec_lo, exec_lo, s3
                                        ; implicit-def: $vgpr32
                                        ; implicit-def: $vgpr38_vgpr39
                                        ; implicit-def: $vgpr40_vgpr41
	s_and_saveexec_b32 s3, s2
	s_delay_alu instid0(SALU_CYCLE_1)
	s_xor_b32 s2, exec_lo, s3
	s_cbranch_execz .LBB247_66
; %bb.65:                               ;   in Loop: Header=BB247_4 Depth=1
	v_ldexp_f64 v[38:39], |v[16:17]|, 0xffffff80
	v_cmp_le_f64_e64 vcc_lo, 0x7b000000, |v[16:17]|
	v_trig_preop_f64 v[40:41], |v[16:17]|, 0
	v_and_b32_e32 v21, 0x7fffffff, v17
	v_trig_preop_f64 v[42:43], |v[16:17]|, 1
	v_trig_preop_f64 v[52:53], |v[16:17]|, 2
	s_delay_alu instid0(VALU_DEP_3) | instskip(NEXT) | instid1(VALU_DEP_1)
	v_dual_cndmask_b32 v39, v21, v39 :: v_dual_cndmask_b32 v38, v16, v38
	v_mul_f64_e32 v[44:45], v[40:41], v[38:39]
	s_delay_alu instid0(VALU_DEP_4) | instskip(NEXT) | instid1(VALU_DEP_4)
	v_mul_f64_e32 v[46:47], v[42:43], v[38:39]
	v_mul_f64_e32 v[58:59], v[52:53], v[38:39]
	s_delay_alu instid0(VALU_DEP_3) | instskip(NEXT) | instid1(VALU_DEP_3)
	v_fma_f64 v[40:41], v[40:41], v[38:39], -v[44:45]
	v_fma_f64 v[42:43], v[42:43], v[38:39], -v[46:47]
	s_delay_alu instid0(VALU_DEP_3) | instskip(NEXT) | instid1(VALU_DEP_3)
	v_fma_f64 v[38:39], v[52:53], v[38:39], -v[58:59]
	v_add_f64_e32 v[48:49], v[46:47], v[40:41]
	s_delay_alu instid0(VALU_DEP_1) | instskip(SKIP_1) | instid1(VALU_DEP_2)
	v_add_f64_e64 v[50:51], v[48:49], -v[46:47]
	v_add_f64_e32 v[56:57], v[44:45], v[48:49]
	v_add_f64_e64 v[54:55], v[48:49], -v[50:51]
	v_add_f64_e64 v[40:41], v[40:41], -v[50:51]
	s_delay_alu instid0(VALU_DEP_3) | instskip(NEXT) | instid1(VALU_DEP_3)
	v_ldexp_f64 v[50:51], v[56:57], -2
	v_add_f64_e64 v[46:47], v[46:47], -v[54:55]
	v_add_f64_e32 v[54:55], v[58:59], v[42:43]
	s_delay_alu instid0(VALU_DEP_3) | instskip(NEXT) | instid1(VALU_DEP_3)
	v_cmp_neq_f64_e64 vcc_lo, 0x7ff00000, |v[50:51]|
	v_add_f64_e32 v[40:41], v[40:41], v[46:47]
	v_fract_f64_e32 v[46:47], v[50:51]
	s_delay_alu instid0(VALU_DEP_1) | instskip(NEXT) | instid1(VALU_DEP_1)
	v_ldexp_f64 v[46:47], v[46:47], 2
	v_dual_add_f64 v[44:45], v[56:57], -v[44:45] :: v_dual_cndmask_b32 v46, 0, v46, vcc_lo
	s_delay_alu instid0(VALU_DEP_1) | instskip(SKIP_1) | instid1(VALU_DEP_1)
	v_dual_add_f64 v[44:45], v[48:49], -v[44:45] :: v_dual_cndmask_b32 v47, 0, v47, vcc_lo
	v_add_f64_e32 v[48:49], v[54:55], v[40:41]
	v_add_f64_e32 v[50:51], v[44:45], v[48:49]
	v_add_f64_e64 v[60:61], v[48:49], -v[54:55]
	s_delay_alu instid0(VALU_DEP_2) | instskip(NEXT) | instid1(VALU_DEP_2)
	v_add_f64_e32 v[56:57], v[50:51], v[46:47]
	v_add_f64_e64 v[66:67], v[48:49], -v[60:61]
	v_add_f64_e64 v[40:41], v[40:41], -v[60:61]
	v_add_f64_e64 v[44:45], v[50:51], -v[44:45]
	s_delay_alu instid0(VALU_DEP_4) | instskip(SKIP_1) | instid1(VALU_DEP_3)
	v_cmp_gt_f64_e32 vcc_lo, 0, v[56:57]
	v_add_f64_e64 v[56:57], v[54:55], -v[58:59]
	v_add_f64_e64 v[44:45], v[48:49], -v[44:45]
	v_cndmask_b32_e64 v21, 0, 0x40100000, vcc_lo
	s_delay_alu instid0(VALU_DEP_3) | instskip(SKIP_2) | instid1(VALU_DEP_4)
	v_add_f64_e64 v[64:65], v[54:55], -v[56:57]
	v_add_f64_e64 v[42:43], v[42:43], -v[56:57]
	;; [unrolled: 1-line block ×3, first 2 shown]
	v_add_f64_e32 v[46:47], v[46:47], v[20:21]
	s_delay_alu instid0(VALU_DEP_4) | instskip(NEXT) | instid1(VALU_DEP_3)
	v_add_f64_e64 v[56:57], v[58:59], -v[64:65]
	v_add_f64_e32 v[40:41], v[40:41], v[54:55]
	s_delay_alu instid0(VALU_DEP_3) | instskip(NEXT) | instid1(VALU_DEP_3)
	v_add_f64_e32 v[62:63], v[50:51], v[46:47]
	v_add_f64_e32 v[42:43], v[42:43], v[56:57]
	s_delay_alu instid0(VALU_DEP_2) | instskip(NEXT) | instid1(VALU_DEP_2)
	v_cvt_i32_f64_e32 v21, v[62:63]
	v_add_f64_e32 v[40:41], v[42:43], v[40:41]
	s_delay_alu instid0(VALU_DEP_2) | instskip(NEXT) | instid1(VALU_DEP_2)
	v_cvt_f64_i32_e32 v[60:61], v21
	v_add_f64_e32 v[38:39], v[38:39], v[40:41]
	s_delay_alu instid0(VALU_DEP_2) | instskip(NEXT) | instid1(VALU_DEP_2)
	v_add_f64_e64 v[46:47], v[46:47], -v[60:61]
	v_add_f64_e32 v[38:39], v[44:45], v[38:39]
	s_delay_alu instid0(VALU_DEP_2) | instskip(NEXT) | instid1(VALU_DEP_1)
	v_add_f64_e32 v[42:43], v[50:51], v[46:47]
	v_add_f64_e64 v[40:41], v[42:43], -v[46:47]
	v_cmp_le_f64_e32 vcc_lo, 0.5, v[42:43]
	s_delay_alu instid0(VALU_DEP_2) | instskip(SKIP_2) | instid1(VALU_DEP_3)
	v_add_f64_e64 v[40:41], v[50:51], -v[40:41]
	v_add_co_ci_u32_e64 v32, null, 0, v21, vcc_lo
	v_cndmask_b32_e64 v21, 0, 0x3ff00000, vcc_lo
	v_add_f64_e32 v[38:39], v[38:39], v[40:41]
	s_delay_alu instid0(VALU_DEP_2) | instskip(NEXT) | instid1(VALU_DEP_1)
	v_add_f64_e64 v[40:41], v[42:43], -v[20:21]
	v_add_f64_e32 v[42:43], v[40:41], v[38:39]
	s_delay_alu instid0(VALU_DEP_1) | instskip(SKIP_1) | instid1(VALU_DEP_2)
	v_mul_f64_e32 v[44:45], 0x3ff921fb54442d18, v[42:43]
	v_add_f64_e64 v[40:41], v[42:43], -v[40:41]
	v_fma_f64 v[46:47], v[42:43], s[18:19], -v[44:45]
	s_delay_alu instid0(VALU_DEP_2) | instskip(NEXT) | instid1(VALU_DEP_2)
	v_add_f64_e64 v[38:39], v[38:39], -v[40:41]
	v_fmac_f64_e32 v[46:47], 0x3c91a62633145c07, v[42:43]
	s_delay_alu instid0(VALU_DEP_1) | instskip(NEXT) | instid1(VALU_DEP_1)
	v_fmac_f64_e32 v[46:47], 0x3ff921fb54442d18, v[38:39]
	v_add_f64_e32 v[38:39], v[44:45], v[46:47]
	s_delay_alu instid0(VALU_DEP_1) | instskip(NEXT) | instid1(VALU_DEP_1)
	v_add_f64_e64 v[40:41], v[38:39], -v[44:45]
	v_add_f64_e64 v[40:41], v[46:47], -v[40:41]
	s_and_not1_saveexec_b32 s2, s2
	s_cbranch_execnz .LBB247_67
	s_branch .LBB247_68
.LBB247_66:                             ;   in Loop: Header=BB247_4 Depth=1
	s_and_not1_saveexec_b32 s2, s2
	s_cbranch_execz .LBB247_68
.LBB247_67:                             ;   in Loop: Header=BB247_4 Depth=1
	v_mul_f64_e64 v[38:39], |v[16:17]|, s[20:21]
	s_delay_alu instid0(VALU_DEP_1) | instskip(NEXT) | instid1(VALU_DEP_1)
	v_rndne_f64_e32 v[42:43], v[38:39]
	v_fma_f64 v[38:39], v[42:43], s[22:23], |v[16:17]|
	v_mul_f64_e32 v[40:41], 0xbc91a62633145c00, v[42:43]
	v_cvt_i32_f64_e32 v32, v[42:43]
	s_delay_alu instid0(VALU_DEP_3) | instskip(NEXT) | instid1(VALU_DEP_3)
	v_fmamk_f64 v[48:49], v[42:43], 0xbc91a62633145c00, v[38:39]
	v_add_f64_e32 v[44:45], v[38:39], v[40:41]
	s_delay_alu instid0(VALU_DEP_1) | instskip(NEXT) | instid1(VALU_DEP_3)
	v_add_f64_e64 v[46:47], v[38:39], -v[44:45]
	v_add_f64_e64 v[38:39], v[44:45], -v[48:49]
	s_delay_alu instid0(VALU_DEP_2) | instskip(SKIP_1) | instid1(VALU_DEP_2)
	v_add_f64_e32 v[44:45], v[46:47], v[40:41]
	v_fmamk_f64 v[40:41], v[42:43], 0x3c91a62633145c00, v[40:41]
	v_add_f64_e32 v[38:39], v[38:39], v[44:45]
	s_delay_alu instid0(VALU_DEP_1) | instskip(NEXT) | instid1(VALU_DEP_1)
	v_add_f64_e64 v[40:41], v[38:39], -v[40:41]
	v_fmac_f64_e32 v[40:41], 0xb97b839a252049c0, v[42:43]
	s_delay_alu instid0(VALU_DEP_1) | instskip(NEXT) | instid1(VALU_DEP_1)
	v_add_f64_e32 v[38:39], v[48:49], v[40:41]
	v_add_f64_e64 v[44:45], v[38:39], -v[48:49]
	s_delay_alu instid0(VALU_DEP_1)
	v_add_f64_e64 v[40:41], v[40:41], -v[44:45]
.LBB247_68:                             ;   in Loop: Header=BB247_4 Depth=1
	s_or_b32 exec_lo, exec_lo, s2
	v_mul_f64_e32 v[42:43], 0xbff71547652b82fe, v[14:15]
	v_mul_f64_e32 v[44:45], v[34:35], v[34:35]
	;; [unrolled: 1-line block ×3, first 2 shown]
	v_cmp_ngt_f64_e64 s3, 0xc0900000, v[14:15]
	v_cmp_nlt_f64_e64 s4, 0x4090cc00, v[14:15]
	v_mul_f64_e32 v[68:69], 0.5, v[40:41]
	v_cmp_class_f64_e64 s2, v[16:17], 0x1f8
	v_lshlrev_b32_e32 v16, 30, v32
	v_rndne_f64_e32 v[42:43], v[42:43]
	s_delay_alu instid0(VALU_DEP_1) | instskip(SKIP_4) | instid1(VALU_DEP_4)
	v_fma_f64 v[50:51], v[42:43], s[24:25], -v[14:15]
	v_and_b32_e32 v14, 1, v32
	v_cvt_i32_f64_e32 v21, v[42:43]
	v_mul_f64_e64 v[70:71], v[38:39], -v[46:47]
	v_fmamk_f64 v[74:75], v[46:47], 0x3de5e0b2f9a43bb8, v[28:29]
	v_cmp_eq_u32_e64 s5, 0, v14
	v_mul_f64_e32 v[48:49], 0.5, v[44:45]
	v_mul_f64_e32 v[58:59], 0.5, v[36:37]
	v_fmac_f64_e32 v[50:51], 0xbc7abc9e3b39803f, v[42:43]
	s_delay_alu instid0(VALU_DEP_3) | instskip(NEXT) | instid1(VALU_DEP_2)
	v_add_f64_e64 v[54:55], -v[48:49], 1.0
	v_fmamk_f64 v[66:67], v[50:51], 0x3e5ade156a5dcb37, v[24:25]
	s_delay_alu instid0(VALU_DEP_2) | instskip(NEXT) | instid1(VALU_DEP_2)
	v_add_f64_e64 v[62:63], -v[54:55], 1.0
	v_fmaak_f64 v[66:67], v[50:51], v[66:67], 0x3ec71dee623fde64
	s_delay_alu instid0(VALU_DEP_1) | instskip(NEXT) | instid1(VALU_DEP_1)
	v_fmaak_f64 v[66:67], v[50:51], v[66:67], 0x3efa01997c89e6b0
	v_fmaak_f64 v[66:67], v[50:51], v[66:67], 0x3f2a01a014761f6e
	s_delay_alu instid0(VALU_DEP_4) | instskip(NEXT) | instid1(VALU_DEP_2)
	v_add_f64_e64 v[48:49], v[62:63], -v[48:49]
	v_fmaak_f64 v[62:63], v[50:51], v[66:67], 0x3f56c16c1852b7b0
	s_delay_alu instid0(VALU_DEP_1) | instskip(NEXT) | instid1(VALU_DEP_1)
	v_fmaak_f64 v[62:63], v[50:51], v[62:63], 0x3f81111111122322
	v_fmaak_f64 v[62:63], v[50:51], v[62:63], 0x3fa55555555502a1
	s_delay_alu instid0(VALU_DEP_1) | instskip(NEXT) | instid1(VALU_DEP_1)
	v_fmaak_f64 v[62:63], v[50:51], v[62:63], 0x3fc5555555555511
	v_fmaak_f64 v[62:63], v[50:51], v[62:63], 0x3fe000000000000b
	s_delay_alu instid0(VALU_DEP_1) | instskip(NEXT) | instid1(VALU_DEP_1)
	v_fma_f64 v[62:63], v[50:51], v[62:63], 1.0
	v_fma_f64 v[42:43], v[50:51], v[62:63], 1.0
	s_delay_alu instid0(VALU_DEP_1)
	v_ldexp_f64 v[42:43], v[42:43], v21
	v_and_b32_e32 v21, 1, v1
	v_mul_f64_e64 v[60:61], v[34:35], -v[44:45]
	v_fmamk_f64 v[64:65], v[44:45], 0x3de5e0b2f9a43bb8, v[28:29]
	v_mul_f64_e32 v[66:67], v[44:45], v[44:45]
	v_lshlrev_b32_e32 v1, 30, v1
	v_cmp_eq_u32_e32 vcc_lo, 0, v21
	s_delay_alu instid0(VALU_DEP_4) | instskip(NEXT) | instid1(VALU_DEP_1)
	v_fmaak_f64 v[64:65], v[44:45], v[64:65], 0x3ec71de3796cde01
	v_fmaak_f64 v[64:65], v[44:45], v[64:65], 0xbf2a01a019e83e5c
	s_delay_alu instid0(VALU_DEP_1) | instskip(SKIP_1) | instid1(VALU_DEP_2)
	v_fmaak_f64 v[64:65], v[44:45], v[64:65], 0x3f81111111110bb3
	v_cndmask_b32_e64 v17, 0x7ff00000, v43, s3
	v_fmac_f64_e32 v[58:59], v[60:61], v[64:65]
	v_fmaak_f64 v[64:65], v[46:47], v[74:75], 0x3ec71de3796cde01
	s_delay_alu instid0(VALU_DEP_1) | instskip(NEXT) | instid1(VALU_DEP_1)
	v_fmaak_f64 v[64:65], v[46:47], v[64:65], 0xbf2a01a019e83e5c
	v_fmaak_f64 v[64:65], v[46:47], v[64:65], 0x3f81111111110bb3
	s_delay_alu instid0(VALU_DEP_1) | instskip(SKIP_3) | instid1(VALU_DEP_3)
	v_fmac_f64_e32 v[68:69], v[70:71], v[64:65]
	v_fmamk_f64 v[64:65], v[44:45], 0xbda907db46cc5e42, v[26:27]
	v_fma_f64 v[58:59], v[44:45], v[58:59], -v[36:37]
	v_fma_f64 v[36:37], v[34:35], -v[36:37], v[48:49]
	v_fmaak_f64 v[48:49], v[44:45], v[64:65], 0xbe927e4fa17f65f6
	v_mul_f64_e32 v[64:65], v[46:47], v[46:47]
	s_delay_alu instid0(VALU_DEP_2) | instskip(NEXT) | instid1(VALU_DEP_1)
	v_fmaak_f64 v[48:49], v[44:45], v[48:49], 0x3efa01a019f4ec90
	v_fmaak_f64 v[48:49], v[44:45], v[48:49], 0xbf56c16c16c16967
	s_delay_alu instid0(VALU_DEP_1) | instskip(SKIP_2) | instid1(VALU_DEP_3)
	v_fmaak_f64 v[44:45], v[44:45], v[48:49], 0x3fa5555555555555
	v_fma_f64 v[48:49], v[46:47], v[68:69], -v[40:41]
	v_fmac_f64_e32 v[58:59], 0xbfc5555555555555, v[60:61]
	v_fmac_f64_e32 v[36:37], v[66:67], v[44:45]
	s_delay_alu instid0(VALU_DEP_3) | instskip(NEXT) | instid1(VALU_DEP_3)
	v_fmac_f64_e32 v[48:49], 0xbfc5555555555555, v[70:71]
	v_add_f64_e64 v[34:35], v[34:35], -v[58:59]
	s_delay_alu instid0(VALU_DEP_3) | instskip(SKIP_1) | instid1(VALU_DEP_3)
	v_add_f64_e32 v[36:37], v[54:55], v[36:37]
	v_mul_f64_e32 v[52:53], 0.5, v[46:47]
	v_xor_b32_e32 v15, 0x80000000, v35
	s_delay_alu instid0(VALU_DEP_3) | instskip(NEXT) | instid1(VALU_DEP_3)
	v_cndmask_b32_e32 v21, v34, v36, vcc_lo
	v_add_f64_e64 v[56:57], -v[52:53], 1.0
	s_delay_alu instid0(VALU_DEP_3) | instskip(SKIP_3) | instid1(VALU_DEP_4)
	v_cndmask_b32_e32 v14, v15, v37, vcc_lo
	v_xor_b32_e32 v15, v16, v33
	s_and_b32 vcc_lo, s4, s3
	v_cndmask_b32_e64 v33, 0, v17, s4
	v_add_f64_e64 v[72:73], -v[56:57], 1.0
	s_delay_alu instid0(VALU_DEP_1) | instskip(SKIP_1) | instid1(VALU_DEP_2)
	v_add_f64_e64 v[52:53], v[72:73], -v[52:53]
	v_fmamk_f64 v[72:73], v[46:47], 0xbda907db46cc5e42, v[26:27]
	v_fma_f64 v[40:41], v[38:39], -v[40:41], v[52:53]
	s_delay_alu instid0(VALU_DEP_2) | instskip(SKIP_1) | instid1(VALU_DEP_2)
	v_fmaak_f64 v[52:53], v[46:47], v[72:73], 0xbe927e4fa17f65f6
	v_add_f64_e64 v[38:39], v[38:39], -v[48:49]
	v_fmaak_f64 v[44:45], v[46:47], v[52:53], 0x3efa01a019f4ec90
	s_delay_alu instid0(VALU_DEP_1) | instskip(NEXT) | instid1(VALU_DEP_1)
	v_fmaak_f64 v[44:45], v[46:47], v[44:45], 0xbf56c16c16c16967
	v_fmaak_f64 v[44:45], v[46:47], v[44:45], 0x3fa5555555555555
	s_delay_alu instid0(VALU_DEP_1) | instskip(NEXT) | instid1(VALU_DEP_1)
	v_fmac_f64_e32 v[40:41], v[64:65], v[44:45]
	v_add_f64_e32 v[40:41], v[56:57], v[40:41]
	s_delay_alu instid0(VALU_DEP_1) | instskip(NEXT) | instid1(VALU_DEP_1)
	v_dual_cndmask_b32 v16, v40, v38, s5 :: v_dual_cndmask_b32 v32, v41, v39, s5
	v_cndmask_b32_e64 v16, 0, v16, s2
	v_bitop3_b32 v1, v14, v1, 0x80000000 bitop3:0x78
	v_cndmask_b32_e64 v14, 0, v21, s2
	s_delay_alu instid0(VALU_DEP_4) | instskip(SKIP_1) | instid1(VALU_DEP_4)
	v_bitop3_b32 v21, v32, v15, 0x80000000 bitop3:0x78
	v_cndmask_b32_e32 v32, 0, v42, vcc_lo
	v_cndmask_b32_e64 v15, 0x7ff80000, v1, s2
	s_delay_alu instid0(VALU_DEP_3) | instskip(NEXT) | instid1(VALU_DEP_2)
	v_cndmask_b32_e64 v17, 0x7ff80000, v21, s2
	v_mul_f64_e32 v[34:35], v[32:33], v[14:15]
	s_delay_alu instid0(VALU_DEP_2)
	v_mul_f64_e32 v[32:33], v[32:33], v[16:17]
                                        ; implicit-def: $vgpr16_vgpr17
.LBB247_69:                             ;   in Loop: Header=BB247_4 Depth=1
	s_and_not1_saveexec_b32 s41, s41
	s_cbranch_execz .LBB247_79
; %bb.70:                               ;   in Loop: Header=BB247_4 Depth=1
	v_cmp_ngt_f64_e64 s2, 0x41d00000, |v[16:17]|
                                        ; implicit-def: $vgpr1
                                        ; implicit-def: $vgpr34_vgpr35
                                        ; implicit-def: $vgpr36_vgpr37
	s_and_saveexec_b32 s3, s2
	s_delay_alu instid0(SALU_CYCLE_1)
	s_xor_b32 s3, exec_lo, s3
	s_cbranch_execz .LBB247_72
; %bb.71:                               ;   in Loop: Header=BB247_4 Depth=1
	v_ldexp_f64 v[34:35], |v[16:17]|, 0xffffff80
	v_cmp_le_f64_e64 vcc_lo, 0x7b000000, |v[16:17]|
	v_trig_preop_f64 v[36:37], |v[16:17]|, 0
	v_and_b32_e32 v1, 0x7fffffff, v17
	v_trig_preop_f64 v[38:39], |v[16:17]|, 1
	v_trig_preop_f64 v[48:49], |v[16:17]|, 2
	s_delay_alu instid0(VALU_DEP_3) | instskip(NEXT) | instid1(VALU_DEP_1)
	v_dual_cndmask_b32 v35, v1, v35 :: v_dual_cndmask_b32 v34, v16, v34
	v_mul_f64_e32 v[40:41], v[36:37], v[34:35]
	s_delay_alu instid0(VALU_DEP_4) | instskip(NEXT) | instid1(VALU_DEP_4)
	v_mul_f64_e32 v[42:43], v[38:39], v[34:35]
	v_mul_f64_e32 v[54:55], v[48:49], v[34:35]
	s_delay_alu instid0(VALU_DEP_3) | instskip(NEXT) | instid1(VALU_DEP_3)
	v_fma_f64 v[36:37], v[36:37], v[34:35], -v[40:41]
	v_fma_f64 v[38:39], v[38:39], v[34:35], -v[42:43]
	s_delay_alu instid0(VALU_DEP_3) | instskip(NEXT) | instid1(VALU_DEP_3)
	v_fma_f64 v[34:35], v[48:49], v[34:35], -v[54:55]
	v_add_f64_e32 v[44:45], v[42:43], v[36:37]
	s_delay_alu instid0(VALU_DEP_1) | instskip(SKIP_1) | instid1(VALU_DEP_2)
	v_add_f64_e64 v[46:47], v[44:45], -v[42:43]
	v_add_f64_e32 v[52:53], v[40:41], v[44:45]
	v_add_f64_e64 v[50:51], v[44:45], -v[46:47]
	v_add_f64_e64 v[36:37], v[36:37], -v[46:47]
	s_delay_alu instid0(VALU_DEP_3) | instskip(NEXT) | instid1(VALU_DEP_3)
	v_ldexp_f64 v[46:47], v[52:53], -2
	v_add_f64_e64 v[42:43], v[42:43], -v[50:51]
	v_add_f64_e32 v[50:51], v[54:55], v[38:39]
	s_delay_alu instid0(VALU_DEP_3) | instskip(NEXT) | instid1(VALU_DEP_3)
	v_cmp_neq_f64_e64 vcc_lo, 0x7ff00000, |v[46:47]|
	v_add_f64_e32 v[36:37], v[36:37], v[42:43]
	v_fract_f64_e32 v[42:43], v[46:47]
	s_delay_alu instid0(VALU_DEP_1) | instskip(NEXT) | instid1(VALU_DEP_1)
	v_ldexp_f64 v[42:43], v[42:43], 2
	v_dual_add_f64 v[40:41], v[52:53], -v[40:41] :: v_dual_cndmask_b32 v42, 0, v42, vcc_lo
	s_delay_alu instid0(VALU_DEP_1) | instskip(SKIP_1) | instid1(VALU_DEP_1)
	v_dual_add_f64 v[40:41], v[44:45], -v[40:41] :: v_dual_cndmask_b32 v43, 0, v43, vcc_lo
	v_add_f64_e32 v[44:45], v[50:51], v[36:37]
	v_add_f64_e32 v[46:47], v[40:41], v[44:45]
	v_add_f64_e64 v[56:57], v[44:45], -v[50:51]
	s_delay_alu instid0(VALU_DEP_2) | instskip(NEXT) | instid1(VALU_DEP_2)
	v_add_f64_e32 v[52:53], v[46:47], v[42:43]
	v_add_f64_e64 v[62:63], v[44:45], -v[56:57]
	v_add_f64_e64 v[36:37], v[36:37], -v[56:57]
	;; [unrolled: 1-line block ×3, first 2 shown]
	s_delay_alu instid0(VALU_DEP_4) | instskip(SKIP_1) | instid1(VALU_DEP_3)
	v_cmp_gt_f64_e32 vcc_lo, 0, v[52:53]
	v_add_f64_e64 v[52:53], v[50:51], -v[54:55]
	v_add_f64_e64 v[40:41], v[44:45], -v[40:41]
	v_cndmask_b32_e64 v21, 0, 0x40100000, vcc_lo
	s_delay_alu instid0(VALU_DEP_3) | instskip(SKIP_2) | instid1(VALU_DEP_4)
	v_add_f64_e64 v[60:61], v[50:51], -v[52:53]
	v_add_f64_e64 v[38:39], v[38:39], -v[52:53]
	v_add_f64_e64 v[50:51], v[50:51], -v[62:63]
	v_add_f64_e32 v[42:43], v[42:43], v[20:21]
	s_delay_alu instid0(VALU_DEP_4) | instskip(NEXT) | instid1(VALU_DEP_3)
	v_add_f64_e64 v[52:53], v[54:55], -v[60:61]
	v_add_f64_e32 v[36:37], v[36:37], v[50:51]
	s_delay_alu instid0(VALU_DEP_3) | instskip(NEXT) | instid1(VALU_DEP_3)
	v_add_f64_e32 v[58:59], v[46:47], v[42:43]
	v_add_f64_e32 v[38:39], v[38:39], v[52:53]
	s_delay_alu instid0(VALU_DEP_2) | instskip(NEXT) | instid1(VALU_DEP_2)
	v_cvt_i32_f64_e32 v1, v[58:59]
	v_add_f64_e32 v[36:37], v[38:39], v[36:37]
	s_delay_alu instid0(VALU_DEP_2) | instskip(NEXT) | instid1(VALU_DEP_2)
	v_cvt_f64_i32_e32 v[56:57], v1
	v_add_f64_e32 v[34:35], v[34:35], v[36:37]
	s_delay_alu instid0(VALU_DEP_2) | instskip(NEXT) | instid1(VALU_DEP_2)
	v_add_f64_e64 v[42:43], v[42:43], -v[56:57]
	v_add_f64_e32 v[34:35], v[40:41], v[34:35]
	s_delay_alu instid0(VALU_DEP_2) | instskip(NEXT) | instid1(VALU_DEP_1)
	v_add_f64_e32 v[38:39], v[46:47], v[42:43]
	v_add_f64_e64 v[36:37], v[38:39], -v[42:43]
	v_cmp_le_f64_e32 vcc_lo, 0.5, v[38:39]
	s_delay_alu instid0(VALU_DEP_2) | instskip(SKIP_2) | instid1(VALU_DEP_3)
	v_add_f64_e64 v[36:37], v[46:47], -v[36:37]
	v_cndmask_b32_e64 v21, 0, 0x3ff00000, vcc_lo
	v_add_co_ci_u32_e64 v1, null, 0, v1, vcc_lo
	v_add_f64_e32 v[34:35], v[34:35], v[36:37]
	s_delay_alu instid0(VALU_DEP_3) | instskip(NEXT) | instid1(VALU_DEP_1)
	v_add_f64_e64 v[36:37], v[38:39], -v[20:21]
	v_add_f64_e32 v[38:39], v[36:37], v[34:35]
	s_delay_alu instid0(VALU_DEP_1) | instskip(SKIP_1) | instid1(VALU_DEP_2)
	v_mul_f64_e32 v[40:41], 0x3ff921fb54442d18, v[38:39]
	v_add_f64_e64 v[36:37], v[38:39], -v[36:37]
	v_fma_f64 v[42:43], v[38:39], s[18:19], -v[40:41]
	s_delay_alu instid0(VALU_DEP_2) | instskip(NEXT) | instid1(VALU_DEP_2)
	v_add_f64_e64 v[34:35], v[34:35], -v[36:37]
	v_fmac_f64_e32 v[42:43], 0x3c91a62633145c07, v[38:39]
	s_delay_alu instid0(VALU_DEP_1) | instskip(NEXT) | instid1(VALU_DEP_1)
	v_fmac_f64_e32 v[42:43], 0x3ff921fb54442d18, v[34:35]
	v_add_f64_e32 v[34:35], v[40:41], v[42:43]
	s_delay_alu instid0(VALU_DEP_1) | instskip(NEXT) | instid1(VALU_DEP_1)
	v_add_f64_e64 v[36:37], v[34:35], -v[40:41]
	v_add_f64_e64 v[36:37], v[42:43], -v[36:37]
	s_and_not1_saveexec_b32 s3, s3
	s_cbranch_execz .LBB247_74
	s_branch .LBB247_73
.LBB247_72:                             ;   in Loop: Header=BB247_4 Depth=1
	s_and_not1_saveexec_b32 s3, s3
	s_cbranch_execz .LBB247_74
.LBB247_73:                             ;   in Loop: Header=BB247_4 Depth=1
	v_mul_f64_e64 v[34:35], |v[16:17]|, s[20:21]
	s_delay_alu instid0(VALU_DEP_1) | instskip(NEXT) | instid1(VALU_DEP_1)
	v_rndne_f64_e32 v[38:39], v[34:35]
	v_fma_f64 v[34:35], v[38:39], s[22:23], |v[16:17]|
	v_mul_f64_e32 v[36:37], 0xbc91a62633145c00, v[38:39]
	v_cvt_i32_f64_e32 v1, v[38:39]
	s_delay_alu instid0(VALU_DEP_3) | instskip(NEXT) | instid1(VALU_DEP_3)
	v_fmamk_f64 v[44:45], v[38:39], 0xbc91a62633145c00, v[34:35]
	v_add_f64_e32 v[40:41], v[34:35], v[36:37]
	s_delay_alu instid0(VALU_DEP_1) | instskip(NEXT) | instid1(VALU_DEP_3)
	v_add_f64_e64 v[42:43], v[34:35], -v[40:41]
	v_add_f64_e64 v[34:35], v[40:41], -v[44:45]
	s_delay_alu instid0(VALU_DEP_2) | instskip(SKIP_1) | instid1(VALU_DEP_2)
	v_add_f64_e32 v[40:41], v[42:43], v[36:37]
	v_fmamk_f64 v[36:37], v[38:39], 0x3c91a62633145c00, v[36:37]
	v_add_f64_e32 v[34:35], v[34:35], v[40:41]
	s_delay_alu instid0(VALU_DEP_1) | instskip(NEXT) | instid1(VALU_DEP_1)
	v_add_f64_e64 v[36:37], v[34:35], -v[36:37]
	v_fmac_f64_e32 v[36:37], 0xb97b839a252049c0, v[38:39]
	s_delay_alu instid0(VALU_DEP_1) | instskip(NEXT) | instid1(VALU_DEP_1)
	v_add_f64_e32 v[34:35], v[44:45], v[36:37]
	v_add_f64_e64 v[40:41], v[34:35], -v[44:45]
	s_delay_alu instid0(VALU_DEP_1)
	v_add_f64_e64 v[36:37], v[36:37], -v[40:41]
.LBB247_74:                             ;   in Loop: Header=BB247_4 Depth=1
	s_or_b32 exec_lo, exec_lo, s3
                                        ; implicit-def: $vgpr32
                                        ; implicit-def: $vgpr38_vgpr39
                                        ; implicit-def: $vgpr40_vgpr41
	s_and_saveexec_b32 s3, s2
	s_delay_alu instid0(SALU_CYCLE_1)
	s_xor_b32 s2, exec_lo, s3
	s_cbranch_execz .LBB247_76
; %bb.75:                               ;   in Loop: Header=BB247_4 Depth=1
	v_ldexp_f64 v[38:39], |v[16:17]|, 0xffffff80
	v_cmp_le_f64_e64 vcc_lo, 0x7b000000, |v[16:17]|
	v_trig_preop_f64 v[40:41], |v[16:17]|, 0
	v_and_b32_e32 v21, 0x7fffffff, v17
	v_trig_preop_f64 v[42:43], |v[16:17]|, 1
	v_trig_preop_f64 v[52:53], |v[16:17]|, 2
	s_delay_alu instid0(VALU_DEP_3) | instskip(NEXT) | instid1(VALU_DEP_1)
	v_dual_cndmask_b32 v39, v21, v39 :: v_dual_cndmask_b32 v38, v16, v38
	v_mul_f64_e32 v[44:45], v[40:41], v[38:39]
	s_delay_alu instid0(VALU_DEP_4) | instskip(NEXT) | instid1(VALU_DEP_4)
	v_mul_f64_e32 v[46:47], v[42:43], v[38:39]
	v_mul_f64_e32 v[58:59], v[52:53], v[38:39]
	s_delay_alu instid0(VALU_DEP_3) | instskip(NEXT) | instid1(VALU_DEP_3)
	v_fma_f64 v[40:41], v[40:41], v[38:39], -v[44:45]
	v_fma_f64 v[42:43], v[42:43], v[38:39], -v[46:47]
	s_delay_alu instid0(VALU_DEP_3) | instskip(NEXT) | instid1(VALU_DEP_3)
	v_fma_f64 v[38:39], v[52:53], v[38:39], -v[58:59]
	v_add_f64_e32 v[48:49], v[46:47], v[40:41]
	s_delay_alu instid0(VALU_DEP_1) | instskip(SKIP_1) | instid1(VALU_DEP_2)
	v_add_f64_e64 v[50:51], v[48:49], -v[46:47]
	v_add_f64_e32 v[56:57], v[44:45], v[48:49]
	v_add_f64_e64 v[54:55], v[48:49], -v[50:51]
	v_add_f64_e64 v[40:41], v[40:41], -v[50:51]
	s_delay_alu instid0(VALU_DEP_3) | instskip(NEXT) | instid1(VALU_DEP_3)
	v_ldexp_f64 v[50:51], v[56:57], -2
	v_add_f64_e64 v[46:47], v[46:47], -v[54:55]
	v_add_f64_e32 v[54:55], v[58:59], v[42:43]
	s_delay_alu instid0(VALU_DEP_3) | instskip(NEXT) | instid1(VALU_DEP_3)
	v_cmp_neq_f64_e64 vcc_lo, 0x7ff00000, |v[50:51]|
	v_add_f64_e32 v[40:41], v[40:41], v[46:47]
	v_fract_f64_e32 v[46:47], v[50:51]
	s_delay_alu instid0(VALU_DEP_1) | instskip(NEXT) | instid1(VALU_DEP_1)
	v_ldexp_f64 v[46:47], v[46:47], 2
	v_dual_add_f64 v[44:45], v[56:57], -v[44:45] :: v_dual_cndmask_b32 v46, 0, v46, vcc_lo
	s_delay_alu instid0(VALU_DEP_1) | instskip(SKIP_1) | instid1(VALU_DEP_1)
	v_dual_add_f64 v[44:45], v[48:49], -v[44:45] :: v_dual_cndmask_b32 v47, 0, v47, vcc_lo
	v_add_f64_e32 v[48:49], v[54:55], v[40:41]
	v_add_f64_e32 v[50:51], v[44:45], v[48:49]
	v_add_f64_e64 v[60:61], v[48:49], -v[54:55]
	s_delay_alu instid0(VALU_DEP_2) | instskip(NEXT) | instid1(VALU_DEP_2)
	v_add_f64_e32 v[56:57], v[50:51], v[46:47]
	v_add_f64_e64 v[66:67], v[48:49], -v[60:61]
	v_add_f64_e64 v[40:41], v[40:41], -v[60:61]
	;; [unrolled: 1-line block ×3, first 2 shown]
	s_delay_alu instid0(VALU_DEP_4) | instskip(SKIP_1) | instid1(VALU_DEP_3)
	v_cmp_gt_f64_e32 vcc_lo, 0, v[56:57]
	v_add_f64_e64 v[56:57], v[54:55], -v[58:59]
	v_add_f64_e64 v[44:45], v[48:49], -v[44:45]
	v_cndmask_b32_e64 v21, 0, 0x40100000, vcc_lo
	s_delay_alu instid0(VALU_DEP_3) | instskip(SKIP_2) | instid1(VALU_DEP_4)
	v_add_f64_e64 v[64:65], v[54:55], -v[56:57]
	v_add_f64_e64 v[42:43], v[42:43], -v[56:57]
	;; [unrolled: 1-line block ×3, first 2 shown]
	v_add_f64_e32 v[46:47], v[46:47], v[20:21]
	s_delay_alu instid0(VALU_DEP_4) | instskip(NEXT) | instid1(VALU_DEP_3)
	v_add_f64_e64 v[56:57], v[58:59], -v[64:65]
	v_add_f64_e32 v[40:41], v[40:41], v[54:55]
	s_delay_alu instid0(VALU_DEP_3) | instskip(NEXT) | instid1(VALU_DEP_3)
	v_add_f64_e32 v[62:63], v[50:51], v[46:47]
	v_add_f64_e32 v[42:43], v[42:43], v[56:57]
	s_delay_alu instid0(VALU_DEP_2) | instskip(NEXT) | instid1(VALU_DEP_2)
	v_cvt_i32_f64_e32 v21, v[62:63]
	v_add_f64_e32 v[40:41], v[42:43], v[40:41]
	s_delay_alu instid0(VALU_DEP_2) | instskip(NEXT) | instid1(VALU_DEP_2)
	v_cvt_f64_i32_e32 v[60:61], v21
	v_add_f64_e32 v[38:39], v[38:39], v[40:41]
	s_delay_alu instid0(VALU_DEP_2) | instskip(NEXT) | instid1(VALU_DEP_2)
	v_add_f64_e64 v[46:47], v[46:47], -v[60:61]
	v_add_f64_e32 v[38:39], v[44:45], v[38:39]
	s_delay_alu instid0(VALU_DEP_2) | instskip(NEXT) | instid1(VALU_DEP_1)
	v_add_f64_e32 v[42:43], v[50:51], v[46:47]
	v_add_f64_e64 v[40:41], v[42:43], -v[46:47]
	v_cmp_le_f64_e32 vcc_lo, 0.5, v[42:43]
	s_delay_alu instid0(VALU_DEP_2) | instskip(SKIP_2) | instid1(VALU_DEP_3)
	v_add_f64_e64 v[40:41], v[50:51], -v[40:41]
	v_add_co_ci_u32_e64 v32, null, 0, v21, vcc_lo
	v_cndmask_b32_e64 v21, 0, 0x3ff00000, vcc_lo
	v_add_f64_e32 v[38:39], v[38:39], v[40:41]
	s_delay_alu instid0(VALU_DEP_2) | instskip(NEXT) | instid1(VALU_DEP_1)
	v_add_f64_e64 v[40:41], v[42:43], -v[20:21]
	v_add_f64_e32 v[42:43], v[40:41], v[38:39]
	s_delay_alu instid0(VALU_DEP_1) | instskip(SKIP_1) | instid1(VALU_DEP_2)
	v_mul_f64_e32 v[44:45], 0x3ff921fb54442d18, v[42:43]
	v_add_f64_e64 v[40:41], v[42:43], -v[40:41]
	v_fma_f64 v[46:47], v[42:43], s[18:19], -v[44:45]
	s_delay_alu instid0(VALU_DEP_2) | instskip(NEXT) | instid1(VALU_DEP_2)
	v_add_f64_e64 v[38:39], v[38:39], -v[40:41]
	v_fmac_f64_e32 v[46:47], 0x3c91a62633145c07, v[42:43]
	s_delay_alu instid0(VALU_DEP_1) | instskip(NEXT) | instid1(VALU_DEP_1)
	v_fmac_f64_e32 v[46:47], 0x3ff921fb54442d18, v[38:39]
	v_add_f64_e32 v[38:39], v[44:45], v[46:47]
	s_delay_alu instid0(VALU_DEP_1) | instskip(NEXT) | instid1(VALU_DEP_1)
	v_add_f64_e64 v[40:41], v[38:39], -v[44:45]
	v_add_f64_e64 v[40:41], v[46:47], -v[40:41]
	s_and_not1_saveexec_b32 s2, s2
	s_cbranch_execnz .LBB247_77
	s_branch .LBB247_78
.LBB247_76:                             ;   in Loop: Header=BB247_4 Depth=1
	s_and_not1_saveexec_b32 s2, s2
	s_cbranch_execz .LBB247_78
.LBB247_77:                             ;   in Loop: Header=BB247_4 Depth=1
	v_mul_f64_e64 v[38:39], |v[16:17]|, s[20:21]
	s_delay_alu instid0(VALU_DEP_1) | instskip(NEXT) | instid1(VALU_DEP_1)
	v_rndne_f64_e32 v[42:43], v[38:39]
	v_fma_f64 v[38:39], v[42:43], s[22:23], |v[16:17]|
	v_mul_f64_e32 v[40:41], 0xbc91a62633145c00, v[42:43]
	v_cvt_i32_f64_e32 v32, v[42:43]
	s_delay_alu instid0(VALU_DEP_3) | instskip(NEXT) | instid1(VALU_DEP_3)
	v_fmamk_f64 v[48:49], v[42:43], 0xbc91a62633145c00, v[38:39]
	v_add_f64_e32 v[44:45], v[38:39], v[40:41]
	s_delay_alu instid0(VALU_DEP_1) | instskip(NEXT) | instid1(VALU_DEP_3)
	v_add_f64_e64 v[46:47], v[38:39], -v[44:45]
	v_add_f64_e64 v[38:39], v[44:45], -v[48:49]
	s_delay_alu instid0(VALU_DEP_2) | instskip(SKIP_1) | instid1(VALU_DEP_2)
	v_add_f64_e32 v[44:45], v[46:47], v[40:41]
	v_fmamk_f64 v[40:41], v[42:43], 0x3c91a62633145c00, v[40:41]
	v_add_f64_e32 v[38:39], v[38:39], v[44:45]
	s_delay_alu instid0(VALU_DEP_1) | instskip(NEXT) | instid1(VALU_DEP_1)
	v_add_f64_e64 v[40:41], v[38:39], -v[40:41]
	v_fmac_f64_e32 v[40:41], 0xb97b839a252049c0, v[42:43]
	s_delay_alu instid0(VALU_DEP_1) | instskip(NEXT) | instid1(VALU_DEP_1)
	v_add_f64_e32 v[38:39], v[48:49], v[40:41]
	v_add_f64_e64 v[44:45], v[38:39], -v[48:49]
	s_delay_alu instid0(VALU_DEP_1)
	v_add_f64_e64 v[40:41], v[40:41], -v[44:45]
.LBB247_78:                             ;   in Loop: Header=BB247_4 Depth=1
	s_or_b32 exec_lo, exec_lo, s2
	v_add_f64_e64 v[14:15], -v[14:15], s[26:27]
	v_mul_f64_e32 v[44:45], v[34:35], v[34:35]
	v_mul_f64_e32 v[46:47], v[38:39], v[38:39]
	s_delay_alu instid0(VALU_DEP_4)
	v_mul_f64_e32 v[68:69], 0.5, v[40:41]
	v_cmp_class_f64_e64 s2, v[16:17], 0x1f8
	v_lshlrev_b32_e32 v17, 30, v32
	v_mul_f64_e32 v[42:43], 0x3ff71547652b82fe, v[14:15]
	v_cmp_nlt_f64_e64 s3, 0x40900000, v[14:15]
	v_cmp_ngt_f64_e64 s4, 0xc090cc00, v[14:15]
	s_delay_alu instid0(VALU_DEP_3) | instskip(NEXT) | instid1(VALU_DEP_1)
	v_rndne_f64_e32 v[42:43], v[42:43]
	v_fmamk_f64 v[52:53], v[42:43], 0xbfe62e42fefa39ef, v[14:15]
	v_and_b32_e32 v14, 1, v32
	v_cvt_i32_f64_e32 v21, v[42:43]
	v_mul_f64_e64 v[70:71], v[38:39], -v[46:47]
	v_fmamk_f64 v[74:75], v[46:47], 0x3de5e0b2f9a43bb8, v[28:29]
	s_delay_alu instid0(VALU_DEP_4) | instskip(SKIP_3) | instid1(VALU_DEP_3)
	v_cmp_eq_u32_e64 s5, 0, v14
	v_mul_f64_e32 v[48:49], 0.5, v[44:45]
	v_fmac_f64_e32 v[52:53], 0xbc7abc9e3b39803f, v[42:43]
	v_mul_f64_e32 v[58:59], 0.5, v[36:37]
	v_add_f64_e64 v[54:55], -v[48:49], 1.0
	s_delay_alu instid0(VALU_DEP_3) | instskip(NEXT) | instid1(VALU_DEP_1)
	v_fmamk_f64 v[66:67], v[52:53], 0x3e5ade156a5dcb37, v[24:25]
	v_fmaak_f64 v[66:67], v[52:53], v[66:67], 0x3ec71dee623fde64
	s_delay_alu instid0(VALU_DEP_1) | instskip(NEXT) | instid1(VALU_DEP_1)
	v_fmaak_f64 v[66:67], v[52:53], v[66:67], 0x3efa01997c89e6b0
	v_fmaak_f64 v[66:67], v[52:53], v[66:67], 0x3f2a01a014761f6e
	v_add_f64_e64 v[62:63], -v[54:55], 1.0
	s_delay_alu instid0(VALU_DEP_1) | instskip(NEXT) | instid1(VALU_DEP_3)
	v_add_f64_e64 v[48:49], v[62:63], -v[48:49]
	v_fmaak_f64 v[62:63], v[52:53], v[66:67], 0x3f56c16c1852b7b0
	s_delay_alu instid0(VALU_DEP_1) | instskip(NEXT) | instid1(VALU_DEP_1)
	v_fmaak_f64 v[62:63], v[52:53], v[62:63], 0x3f81111111122322
	v_fmaak_f64 v[62:63], v[52:53], v[62:63], 0x3fa55555555502a1
	s_delay_alu instid0(VALU_DEP_1) | instskip(NEXT) | instid1(VALU_DEP_1)
	v_fmaak_f64 v[62:63], v[52:53], v[62:63], 0x3fc5555555555511
	v_fmaak_f64 v[62:63], v[52:53], v[62:63], 0x3fe000000000000b
	s_delay_alu instid0(VALU_DEP_1) | instskip(NEXT) | instid1(VALU_DEP_1)
	v_fma_f64 v[62:63], v[52:53], v[62:63], 1.0
	v_fma_f64 v[42:43], v[52:53], v[62:63], 1.0
	s_delay_alu instid0(VALU_DEP_1)
	v_ldexp_f64 v[42:43], v[42:43], v21
	v_and_b32_e32 v21, 1, v1
	v_mul_f64_e64 v[60:61], v[34:35], -v[44:45]
	v_fmamk_f64 v[64:65], v[44:45], 0x3de5e0b2f9a43bb8, v[28:29]
	v_mul_f64_e32 v[66:67], v[44:45], v[44:45]
	v_lshlrev_b32_e32 v1, 30, v1
	v_cmp_eq_u32_e32 vcc_lo, 0, v21
	s_delay_alu instid0(VALU_DEP_4) | instskip(NEXT) | instid1(VALU_DEP_1)
	v_fmaak_f64 v[64:65], v[44:45], v[64:65], 0x3ec71de3796cde01
	v_fmaak_f64 v[64:65], v[44:45], v[64:65], 0xbf2a01a019e83e5c
	s_delay_alu instid0(VALU_DEP_1) | instskip(SKIP_1) | instid1(VALU_DEP_2)
	v_fmaak_f64 v[64:65], v[44:45], v[64:65], 0x3f81111111110bb3
	v_cndmask_b32_e64 v16, 0x7ff00000, v43, s3
	v_fmac_f64_e32 v[58:59], v[60:61], v[64:65]
	v_fmaak_f64 v[64:65], v[46:47], v[74:75], 0x3ec71de3796cde01
	s_delay_alu instid0(VALU_DEP_1) | instskip(NEXT) | instid1(VALU_DEP_1)
	v_fmaak_f64 v[64:65], v[46:47], v[64:65], 0xbf2a01a019e83e5c
	v_fmaak_f64 v[64:65], v[46:47], v[64:65], 0x3f81111111110bb3
	s_delay_alu instid0(VALU_DEP_1) | instskip(SKIP_3) | instid1(VALU_DEP_3)
	v_fmac_f64_e32 v[68:69], v[70:71], v[64:65]
	v_fmamk_f64 v[64:65], v[44:45], 0xbda907db46cc5e42, v[26:27]
	v_fma_f64 v[58:59], v[44:45], v[58:59], -v[36:37]
	v_fma_f64 v[36:37], v[34:35], -v[36:37], v[48:49]
	v_fmaak_f64 v[48:49], v[44:45], v[64:65], 0xbe927e4fa17f65f6
	v_mul_f64_e32 v[64:65], v[46:47], v[46:47]
	s_delay_alu instid0(VALU_DEP_2) | instskip(NEXT) | instid1(VALU_DEP_1)
	v_fmaak_f64 v[48:49], v[44:45], v[48:49], 0x3efa01a019f4ec90
	v_fmaak_f64 v[48:49], v[44:45], v[48:49], 0xbf56c16c16c16967
	s_delay_alu instid0(VALU_DEP_1) | instskip(SKIP_2) | instid1(VALU_DEP_3)
	v_fmaak_f64 v[44:45], v[44:45], v[48:49], 0x3fa5555555555555
	v_fma_f64 v[48:49], v[46:47], v[68:69], -v[40:41]
	v_fmac_f64_e32 v[58:59], 0xbfc5555555555555, v[60:61]
	v_fmac_f64_e32 v[36:37], v[66:67], v[44:45]
	s_delay_alu instid0(VALU_DEP_3) | instskip(NEXT) | instid1(VALU_DEP_3)
	v_fmac_f64_e32 v[48:49], 0xbfc5555555555555, v[70:71]
	v_add_f64_e64 v[34:35], v[34:35], -v[58:59]
	s_delay_alu instid0(VALU_DEP_3) | instskip(SKIP_1) | instid1(VALU_DEP_3)
	v_add_f64_e32 v[36:37], v[54:55], v[36:37]
	v_mul_f64_e32 v[50:51], 0.5, v[46:47]
	v_xor_b32_e32 v15, 0x80000000, v35
	s_delay_alu instid0(VALU_DEP_3) | instskip(NEXT) | instid1(VALU_DEP_3)
	v_cndmask_b32_e32 v21, v34, v36, vcc_lo
	v_add_f64_e64 v[56:57], -v[50:51], 1.0
	s_delay_alu instid0(VALU_DEP_3) | instskip(SKIP_2) | instid1(VALU_DEP_2)
	v_cndmask_b32_e32 v14, v15, v37, vcc_lo
	v_xor_b32_e32 v15, v17, v33
	s_and_b32 vcc_lo, s4, s3
	v_bitop3_b32 v1, v14, v1, 0x80000000 bitop3:0x78
	v_cndmask_b32_e64 v14, 0, v21, s2
	v_add_f64_e64 v[72:73], -v[56:57], 1.0
	s_delay_alu instid0(VALU_DEP_1) | instskip(SKIP_1) | instid1(VALU_DEP_2)
	v_add_f64_e64 v[50:51], v[72:73], -v[50:51]
	v_fmamk_f64 v[72:73], v[46:47], 0xbda907db46cc5e42, v[26:27]
	v_fma_f64 v[40:41], v[38:39], -v[40:41], v[50:51]
	s_delay_alu instid0(VALU_DEP_2) | instskip(SKIP_1) | instid1(VALU_DEP_2)
	v_fmaak_f64 v[50:51], v[46:47], v[72:73], 0xbe927e4fa17f65f6
	v_add_f64_e64 v[38:39], v[38:39], -v[48:49]
	v_fmaak_f64 v[44:45], v[46:47], v[50:51], 0x3efa01a019f4ec90
	s_delay_alu instid0(VALU_DEP_1) | instskip(NEXT) | instid1(VALU_DEP_1)
	v_fmaak_f64 v[44:45], v[46:47], v[44:45], 0xbf56c16c16c16967
	v_fmaak_f64 v[44:45], v[46:47], v[44:45], 0x3fa5555555555555
	s_delay_alu instid0(VALU_DEP_1) | instskip(NEXT) | instid1(VALU_DEP_1)
	v_fmac_f64_e32 v[40:41], v[64:65], v[44:45]
	v_add_f64_e32 v[40:41], v[56:57], v[40:41]
	s_delay_alu instid0(VALU_DEP_1) | instskip(SKIP_1) | instid1(VALU_DEP_2)
	v_dual_cndmask_b32 v32, v41, v39, s5 :: v_dual_cndmask_b32 v17, v40, v38, s5
	v_cndmask_b32_e64 v34, 0, v16, s4
	v_bitop3_b32 v21, v32, v15, 0x80000000 bitop3:0x78
	v_cndmask_b32_e64 v15, 0x7ff80000, v1, s2
	s_delay_alu instid0(VALU_DEP_4) | instskip(NEXT) | instid1(VALU_DEP_4)
	v_cndmask_b32_e64 v16, 0, v17, s2
	v_and_or_b32 v33, v34, s36, 0x7fe00000
	v_cndmask_b32_e32 v32, 0, v42, vcc_lo
	v_cndmask_b32_e64 v17, 0x7ff80000, v21, s2
	v_lshrrev_b32_e32 v1, 20, v34
	s_delay_alu instid0(VALU_DEP_3) | instskip(NEXT) | instid1(VALU_DEP_3)
	v_mul_f64_e32 v[14:15], v[32:33], v[14:15]
	v_mul_f64_e32 v[16:17], v[32:33], v[16:17]
	s_delay_alu instid0(VALU_DEP_3) | instskip(NEXT) | instid1(VALU_DEP_1)
	v_add_nc_u32_e32 v1, 0xffffff09, v1
	v_lshrrev_b16 v21, 15, v1
	s_delay_alu instid0(VALU_DEP_1) | instskip(NEXT) | instid1(VALU_DEP_1)
	v_add_nc_u16 v21, v1, v21
	v_ashrrev_i16 v21, 1, v21
	s_delay_alu instid0(VALU_DEP_1) | instskip(NEXT) | instid1(VALU_DEP_1)
	v_bfe_i32 v32, v21, 0, 16
	v_lshl_add_u32 v21, v32, 20, 0x3ff00000
	v_dual_mov_b32 v32, v20 :: v_dual_sub_nc_u32 v1, v1, v32
	s_delay_alu instid0(VALU_DEP_2) | instskip(SKIP_1) | instid1(VALU_DEP_3)
	v_mul_f64_e32 v[14:15], v[14:15], v[20:21]
	v_mul_f64_e32 v[16:17], v[16:17], v[20:21]
	v_lshl_add_u32 v33, v1, 20, 0x3ff00000
	s_delay_alu instid0(VALU_DEP_1) | instskip(NEXT) | instid1(VALU_DEP_3)
	v_mul_f64_e32 v[34:35], v[14:15], v[32:33]
	v_mul_f64_e32 v[32:33], v[16:17], v[32:33]
.LBB247_79:                             ;   in Loop: Header=BB247_4 Depth=1
	s_or_b32 exec_lo, exec_lo, s41
                                        ; implicit-def: $vgpr36_vgpr37
                                        ; implicit-def: $vgpr14_vgpr15
                                        ; implicit-def: $vgpr1
.LBB247_80:                             ;   in Loop: Header=BB247_4 Depth=1
	s_and_not1_saveexec_b32 s3, s40
	s_cbranch_execz .LBB247_86
; %bb.81:                               ;   in Loop: Header=BB247_4 Depth=1
	v_add_f64_e64 v[32:33], v[16:17], -v[16:17]
	v_cmp_ne_u32_e32 vcc_lo, 0, v14
	v_cmp_ne_u32_e64 s2, 0x7ff00000, v1
	s_or_b32 s2, vcc_lo, s2
	s_delay_alu instid0(SALU_CYCLE_1) | instskip(NEXT) | instid1(SALU_CYCLE_1)
	s_and_saveexec_b32 s4, s2
	s_xor_b32 s2, exec_lo, s4
; %bb.82:                               ;   in Loop: Header=BB247_4 Depth=1
                                        ; implicit-def: $vgpr36_vgpr37
                                        ; implicit-def: $vgpr14_vgpr15
; %bb.83:                               ;   in Loop: Header=BB247_4 Depth=1
	s_delay_alu instid0(SALU_CYCLE_1)
	s_or_saveexec_b32 s2, s2
	v_mov_b64_e32 v[34:35], v[32:33]
	s_xor_b32 exec_lo, exec_lo, s2
; %bb.84:                               ;   in Loop: Header=BB247_4 Depth=1
	v_cmp_lt_i64_e32 vcc_lo, -1, v[36:37]
	v_dual_cndmask_b32 v35, 0, v37 :: v_dual_cndmask_b32 v34, 0, v14
	v_dual_cndmask_b32 v33, 0, v33 :: v_dual_cndmask_b32 v32, 0, v32
; %bb.85:                               ;   in Loop: Header=BB247_4 Depth=1
	s_or_b32 exec_lo, exec_lo, s2
.LBB247_86:                             ;   in Loop: Header=BB247_4 Depth=1
	s_delay_alu instid0(SALU_CYCLE_1)
	s_or_b32 exec_lo, exec_lo, s3
                                        ; implicit-def: $vgpr16_vgpr17
.LBB247_87:                             ;   in Loop: Header=BB247_4 Depth=1
	s_and_not1_saveexec_b32 s4, s39
	s_cbranch_execz .LBB247_97
; %bb.88:                               ;   in Loop: Header=BB247_4 Depth=1
	v_cmp_ngt_f64_e64 s2, 0x41d00000, |v[16:17]|
	v_trig_preop_f64 v[40:41], |v[16:17]|, 0
	v_trig_preop_f64 v[38:39], |v[16:17]|, 1
	v_ldexp_f64 v[42:43], |v[16:17]|, 0xffffff80
	v_trig_preop_f64 v[36:37], |v[16:17]|, 2
	v_and_b32_e32 v32, 0x7fffffff, v17
                                        ; implicit-def: $vgpr1
                                        ; implicit-def: $vgpr14_vgpr15
                                        ; implicit-def: $vgpr34_vgpr35
	s_and_saveexec_b32 s3, s2
	s_delay_alu instid0(SALU_CYCLE_1)
	s_xor_b32 s3, exec_lo, s3
	s_cbranch_execz .LBB247_90
; %bb.89:                               ;   in Loop: Header=BB247_4 Depth=1
	v_cmp_le_f64_e64 vcc_lo, 0x7b000000, |v[16:17]|
	s_delay_alu instid0(VALU_DEP_4) | instskip(SKIP_1) | instid1(VALU_DEP_1)
	v_cndmask_b32_e32 v15, v32, v43, vcc_lo
	v_cndmask_b32_e32 v14, v16, v42, vcc_lo
	v_mul_f64_e32 v[34:35], v[40:41], v[14:15]
	v_mul_f64_e32 v[44:45], v[38:39], v[14:15]
	s_delay_alu instid0(VALU_DEP_2) | instskip(NEXT) | instid1(VALU_DEP_1)
	v_fma_f64 v[46:47], v[40:41], v[14:15], -v[34:35]
	v_add_f64_e32 v[48:49], v[44:45], v[46:47]
	s_delay_alu instid0(VALU_DEP_1) | instskip(SKIP_2) | instid1(VALU_DEP_3)
	v_add_f64_e64 v[50:51], v[48:49], -v[44:45]
	v_add_f64_e32 v[54:55], v[34:35], v[48:49]
	v_fma_f64 v[58:59], v[38:39], v[14:15], -v[44:45]
	v_add_f64_e64 v[52:53], v[48:49], -v[50:51]
	v_add_f64_e64 v[46:47], v[46:47], -v[50:51]
	s_delay_alu instid0(VALU_DEP_4) | instskip(SKIP_1) | instid1(VALU_DEP_2)
	v_ldexp_f64 v[50:51], v[54:55], -2
	v_add_f64_e64 v[34:35], v[54:55], -v[34:35]
	v_cmp_neq_f64_e64 vcc_lo, 0x7ff00000, |v[50:51]|
	v_add_f64_e64 v[44:45], v[44:45], -v[52:53]
	s_delay_alu instid0(VALU_DEP_3) | instskip(NEXT) | instid1(VALU_DEP_2)
	v_add_f64_e64 v[34:35], v[48:49], -v[34:35]
	v_add_f64_e32 v[44:45], v[46:47], v[44:45]
	v_mul_f64_e32 v[56:57], v[36:37], v[14:15]
	v_fract_f64_e32 v[46:47], v[50:51]
	s_delay_alu instid0(VALU_DEP_2) | instskip(NEXT) | instid1(VALU_DEP_2)
	v_add_f64_e32 v[52:53], v[56:57], v[58:59]
	v_ldexp_f64 v[46:47], v[46:47], 2
	v_fma_f64 v[14:15], v[36:37], v[14:15], -v[56:57]
	s_delay_alu instid0(VALU_DEP_2) | instskip(NEXT) | instid1(VALU_DEP_1)
	v_dual_add_f64 v[48:49], v[52:53], v[44:45] :: v_dual_cndmask_b32 v47, 0, v47, vcc_lo
	v_dual_add_f64 v[50:51], v[34:35], v[48:49] :: v_dual_cndmask_b32 v46, 0, v46, vcc_lo
	v_add_f64_e64 v[60:61], v[48:49], -v[52:53]
	s_delay_alu instid0(VALU_DEP_2) | instskip(NEXT) | instid1(VALU_DEP_2)
	v_add_f64_e32 v[54:55], v[50:51], v[46:47]
	v_add_f64_e64 v[66:67], v[48:49], -v[60:61]
	v_add_f64_e64 v[44:45], v[44:45], -v[60:61]
	;; [unrolled: 1-line block ×3, first 2 shown]
	s_delay_alu instid0(VALU_DEP_4) | instskip(SKIP_1) | instid1(VALU_DEP_3)
	v_cmp_gt_f64_e32 vcc_lo, 0, v[54:55]
	v_add_f64_e64 v[54:55], v[52:53], -v[56:57]
	v_add_f64_e64 v[34:35], v[48:49], -v[34:35]
	v_cndmask_b32_e64 v21, 0, 0x40100000, vcc_lo
	s_delay_alu instid0(VALU_DEP_3) | instskip(SKIP_2) | instid1(VALU_DEP_4)
	v_add_f64_e64 v[64:65], v[52:53], -v[54:55]
	v_add_f64_e64 v[54:55], v[58:59], -v[54:55]
	;; [unrolled: 1-line block ×3, first 2 shown]
	v_add_f64_e32 v[46:47], v[46:47], v[20:21]
	s_delay_alu instid0(VALU_DEP_4) | instskip(NEXT) | instid1(VALU_DEP_3)
	v_add_f64_e64 v[58:59], v[56:57], -v[64:65]
	v_add_f64_e32 v[44:45], v[44:45], v[52:53]
	s_delay_alu instid0(VALU_DEP_3) | instskip(NEXT) | instid1(VALU_DEP_3)
	v_add_f64_e32 v[62:63], v[50:51], v[46:47]
	v_add_f64_e32 v[54:55], v[54:55], v[58:59]
	s_delay_alu instid0(VALU_DEP_2) | instskip(NEXT) | instid1(VALU_DEP_2)
	v_cvt_i32_f64_e32 v1, v[62:63]
	v_add_f64_e32 v[44:45], v[54:55], v[44:45]
	s_delay_alu instid0(VALU_DEP_2) | instskip(NEXT) | instid1(VALU_DEP_2)
	v_cvt_f64_i32_e32 v[60:61], v1
	v_add_f64_e32 v[14:15], v[14:15], v[44:45]
	s_delay_alu instid0(VALU_DEP_2) | instskip(NEXT) | instid1(VALU_DEP_2)
	v_add_f64_e64 v[46:47], v[46:47], -v[60:61]
	v_add_f64_e32 v[14:15], v[34:35], v[14:15]
	s_delay_alu instid0(VALU_DEP_2) | instskip(NEXT) | instid1(VALU_DEP_1)
	v_add_f64_e32 v[52:53], v[50:51], v[46:47]
	v_add_f64_e64 v[44:45], v[52:53], -v[46:47]
	v_cmp_le_f64_e32 vcc_lo, 0.5, v[52:53]
	s_delay_alu instid0(VALU_DEP_2) | instskip(SKIP_2) | instid1(VALU_DEP_3)
	v_add_f64_e64 v[34:35], v[50:51], -v[44:45]
	v_cndmask_b32_e64 v21, 0, 0x3ff00000, vcc_lo
	v_add_co_ci_u32_e64 v1, null, 0, v1, vcc_lo
	v_add_f64_e32 v[14:15], v[14:15], v[34:35]
	s_delay_alu instid0(VALU_DEP_3) | instskip(NEXT) | instid1(VALU_DEP_1)
	v_add_f64_e64 v[34:35], v[52:53], -v[20:21]
	v_add_f64_e32 v[44:45], v[34:35], v[14:15]
	s_delay_alu instid0(VALU_DEP_1) | instskip(SKIP_1) | instid1(VALU_DEP_2)
	v_mul_f64_e32 v[46:47], 0x3ff921fb54442d18, v[44:45]
	v_add_f64_e64 v[34:35], v[44:45], -v[34:35]
	v_fma_f64 v[48:49], v[44:45], s[18:19], -v[46:47]
	s_delay_alu instid0(VALU_DEP_2) | instskip(NEXT) | instid1(VALU_DEP_2)
	v_add_f64_e64 v[14:15], v[14:15], -v[34:35]
	v_fmac_f64_e32 v[48:49], 0x3c91a62633145c07, v[44:45]
	s_delay_alu instid0(VALU_DEP_1) | instskip(NEXT) | instid1(VALU_DEP_1)
	v_fmac_f64_e32 v[48:49], 0x3ff921fb54442d18, v[14:15]
	v_add_f64_e32 v[14:15], v[46:47], v[48:49]
	s_delay_alu instid0(VALU_DEP_1) | instskip(NEXT) | instid1(VALU_DEP_1)
	v_add_f64_e64 v[34:35], v[14:15], -v[46:47]
	v_add_f64_e64 v[34:35], v[48:49], -v[34:35]
.LBB247_90:                             ;   in Loop: Header=BB247_4 Depth=1
	s_or_saveexec_b32 s3, s3
	v_mul_f64_e64 v[44:45], |v[16:17]|, s[20:21]
	s_delay_alu instid0(VALU_DEP_1)
	v_rndne_f64_e32 v[48:49], v[44:45]
	s_xor_b32 exec_lo, exec_lo, s3
	s_cbranch_execz .LBB247_92
; %bb.91:                               ;   in Loop: Header=BB247_4 Depth=1
	s_delay_alu instid0(VALU_DEP_1) | instskip(SKIP_2) | instid1(VALU_DEP_3)
	v_fma_f64 v[14:15], v[48:49], s[22:23], |v[16:17]|
	v_mul_f64_e32 v[34:35], 0xbc91a62633145c00, v[48:49]
	v_cvt_i32_f64_e32 v1, v[48:49]
	v_fmamk_f64 v[50:51], v[48:49], 0xbc91a62633145c00, v[14:15]
	s_delay_alu instid0(VALU_DEP_3) | instskip(NEXT) | instid1(VALU_DEP_1)
	v_add_f64_e32 v[44:45], v[14:15], v[34:35]
	v_add_f64_e64 v[46:47], v[14:15], -v[44:45]
	s_delay_alu instid0(VALU_DEP_3) | instskip(NEXT) | instid1(VALU_DEP_2)
	v_add_f64_e64 v[14:15], v[44:45], -v[50:51]
	v_add_f64_e32 v[44:45], v[46:47], v[34:35]
	v_fmamk_f64 v[34:35], v[48:49], 0x3c91a62633145c00, v[34:35]
	s_delay_alu instid0(VALU_DEP_2) | instskip(NEXT) | instid1(VALU_DEP_1)
	v_add_f64_e32 v[14:15], v[14:15], v[44:45]
	v_add_f64_e64 v[34:35], v[14:15], -v[34:35]
	s_delay_alu instid0(VALU_DEP_1) | instskip(NEXT) | instid1(VALU_DEP_1)
	v_fmac_f64_e32 v[34:35], 0xb97b839a252049c0, v[48:49]
	v_add_f64_e32 v[14:15], v[50:51], v[34:35]
	s_delay_alu instid0(VALU_DEP_1) | instskip(NEXT) | instid1(VALU_DEP_1)
	v_add_f64_e64 v[44:45], v[14:15], -v[50:51]
	v_add_f64_e64 v[34:35], v[34:35], -v[44:45]
.LBB247_92:                             ;   in Loop: Header=BB247_4 Depth=1
	s_or_b32 exec_lo, exec_lo, s3
                                        ; implicit-def: $vgpr50
                                        ; implicit-def: $vgpr44_vgpr45
                                        ; implicit-def: $vgpr46_vgpr47
	s_and_saveexec_b32 s3, s2
	s_delay_alu instid0(SALU_CYCLE_1)
	s_xor_b32 s2, exec_lo, s3
	s_cbranch_execz .LBB247_94
; %bb.93:                               ;   in Loop: Header=BB247_4 Depth=1
	v_cmp_le_f64_e64 vcc_lo, 0x7b000000, |v[16:17]|
	v_cndmask_b32_e32 v43, v32, v43, vcc_lo
	v_cndmask_b32_e32 v42, v16, v42, vcc_lo
	s_delay_alu instid0(VALU_DEP_1) | instskip(SKIP_1) | instid1(VALU_DEP_2)
	v_mul_f64_e32 v[44:45], v[40:41], v[42:43]
	v_mul_f64_e32 v[46:47], v[38:39], v[42:43]
	v_fma_f64 v[40:41], v[40:41], v[42:43], -v[44:45]
	s_delay_alu instid0(VALU_DEP_1) | instskip(SKIP_1) | instid1(VALU_DEP_2)
	v_add_f64_e32 v[48:49], v[46:47], v[40:41]
	v_fma_f64 v[38:39], v[38:39], v[42:43], -v[46:47]
	v_add_f64_e64 v[50:51], v[48:49], -v[46:47]
	v_add_f64_e32 v[54:55], v[44:45], v[48:49]
	s_delay_alu instid0(VALU_DEP_2) | instskip(SKIP_1) | instid1(VALU_DEP_3)
	v_add_f64_e64 v[52:53], v[48:49], -v[50:51]
	v_add_f64_e64 v[40:41], v[40:41], -v[50:51]
	v_ldexp_f64 v[50:51], v[54:55], -2
	s_delay_alu instid0(VALU_DEP_3) | instskip(SKIP_1) | instid1(VALU_DEP_3)
	v_add_f64_e64 v[46:47], v[46:47], -v[52:53]
	v_mul_f64_e32 v[56:57], v[36:37], v[42:43]
	v_cmp_neq_f64_e64 vcc_lo, 0x7ff00000, |v[50:51]|
	s_delay_alu instid0(VALU_DEP_3) | instskip(SKIP_1) | instid1(VALU_DEP_4)
	v_add_f64_e32 v[40:41], v[40:41], v[46:47]
	v_fract_f64_e32 v[46:47], v[50:51]
	v_add_f64_e32 v[52:53], v[56:57], v[38:39]
	v_fma_f64 v[36:37], v[36:37], v[42:43], -v[56:57]
	s_delay_alu instid0(VALU_DEP_3) | instskip(NEXT) | instid1(VALU_DEP_1)
	v_ldexp_f64 v[46:47], v[46:47], 2
	v_dual_add_f64 v[44:45], v[54:55], -v[44:45] :: v_dual_cndmask_b32 v47, 0, v47, vcc_lo
	s_delay_alu instid0(VALU_DEP_1) | instskip(SKIP_1) | instid1(VALU_DEP_1)
	v_dual_add_f64 v[44:45], v[48:49], -v[44:45] :: v_dual_cndmask_b32 v46, 0, v46, vcc_lo
	v_add_f64_e32 v[48:49], v[52:53], v[40:41]
	v_add_f64_e32 v[50:51], v[44:45], v[48:49]
	v_add_f64_e64 v[58:59], v[48:49], -v[52:53]
	s_delay_alu instid0(VALU_DEP_2) | instskip(NEXT) | instid1(VALU_DEP_2)
	v_add_f64_e32 v[54:55], v[50:51], v[46:47]
	v_add_f64_e64 v[64:65], v[48:49], -v[58:59]
	v_add_f64_e64 v[40:41], v[40:41], -v[58:59]
	;; [unrolled: 1-line block ×3, first 2 shown]
	s_delay_alu instid0(VALU_DEP_4) | instskip(SKIP_1) | instid1(VALU_DEP_3)
	v_cmp_gt_f64_e32 vcc_lo, 0, v[54:55]
	v_add_f64_e64 v[54:55], v[52:53], -v[56:57]
	v_add_f64_e64 v[42:43], v[48:49], -v[42:43]
                                        ; implicit-def: $vgpr48_vgpr49
	v_cndmask_b32_e64 v21, 0, 0x40100000, vcc_lo
	s_delay_alu instid0(VALU_DEP_3) | instskip(SKIP_2) | instid1(VALU_DEP_4)
	v_add_f64_e64 v[62:63], v[52:53], -v[54:55]
	v_add_f64_e64 v[38:39], v[38:39], -v[54:55]
	;; [unrolled: 1-line block ×3, first 2 shown]
	v_add_f64_e32 v[46:47], v[46:47], v[20:21]
	s_delay_alu instid0(VALU_DEP_4) | instskip(NEXT) | instid1(VALU_DEP_3)
	v_add_f64_e64 v[54:55], v[56:57], -v[62:63]
	v_add_f64_e32 v[40:41], v[40:41], v[52:53]
	s_delay_alu instid0(VALU_DEP_3) | instskip(NEXT) | instid1(VALU_DEP_3)
	v_add_f64_e32 v[60:61], v[50:51], v[46:47]
	v_add_f64_e32 v[38:39], v[38:39], v[54:55]
	s_delay_alu instid0(VALU_DEP_2) | instskip(NEXT) | instid1(VALU_DEP_2)
	v_cvt_i32_f64_e32 v21, v[60:61]
	v_add_f64_e32 v[38:39], v[38:39], v[40:41]
	s_delay_alu instid0(VALU_DEP_2) | instskip(NEXT) | instid1(VALU_DEP_2)
	v_cvt_f64_i32_e32 v[58:59], v21
	v_add_f64_e32 v[36:37], v[36:37], v[38:39]
	s_delay_alu instid0(VALU_DEP_2) | instskip(NEXT) | instid1(VALU_DEP_2)
	v_add_f64_e64 v[46:47], v[46:47], -v[58:59]
	v_add_f64_e32 v[36:37], v[42:43], v[36:37]
	s_delay_alu instid0(VALU_DEP_2) | instskip(NEXT) | instid1(VALU_DEP_1)
	v_add_f64_e32 v[40:41], v[50:51], v[46:47]
	v_add_f64_e64 v[38:39], v[40:41], -v[46:47]
	v_cmp_le_f64_e32 vcc_lo, 0.5, v[40:41]
	s_delay_alu instid0(VALU_DEP_2) | instskip(SKIP_2) | instid1(VALU_DEP_3)
	v_add_f64_e64 v[38:39], v[50:51], -v[38:39]
	v_add_co_ci_u32_e64 v50, null, 0, v21, vcc_lo
	v_cndmask_b32_e64 v21, 0, 0x3ff00000, vcc_lo
	v_add_f64_e32 v[36:37], v[36:37], v[38:39]
	s_delay_alu instid0(VALU_DEP_2) | instskip(NEXT) | instid1(VALU_DEP_1)
	v_add_f64_e64 v[38:39], v[40:41], -v[20:21]
	v_add_f64_e32 v[40:41], v[38:39], v[36:37]
	s_delay_alu instid0(VALU_DEP_1) | instskip(SKIP_1) | instid1(VALU_DEP_2)
	v_mul_f64_e32 v[42:43], 0x3ff921fb54442d18, v[40:41]
	v_add_f64_e64 v[38:39], v[40:41], -v[38:39]
	v_fma_f64 v[46:47], v[40:41], s[18:19], -v[42:43]
	s_delay_alu instid0(VALU_DEP_2) | instskip(NEXT) | instid1(VALU_DEP_2)
	v_add_f64_e64 v[36:37], v[36:37], -v[38:39]
	v_fmac_f64_e32 v[46:47], 0x3c91a62633145c07, v[40:41]
	s_delay_alu instid0(VALU_DEP_1) | instskip(NEXT) | instid1(VALU_DEP_1)
	v_fmac_f64_e32 v[46:47], 0x3ff921fb54442d18, v[36:37]
	v_add_f64_e32 v[44:45], v[42:43], v[46:47]
	s_delay_alu instid0(VALU_DEP_1) | instskip(NEXT) | instid1(VALU_DEP_1)
	v_add_f64_e64 v[36:37], v[44:45], -v[42:43]
	v_add_f64_e64 v[46:47], v[46:47], -v[36:37]
	s_and_not1_saveexec_b32 s2, s2
	s_cbranch_execnz .LBB247_95
	s_branch .LBB247_96
.LBB247_94:                             ;   in Loop: Header=BB247_4 Depth=1
	s_and_not1_saveexec_b32 s2, s2
	s_cbranch_execz .LBB247_96
.LBB247_95:                             ;   in Loop: Header=BB247_4 Depth=1
	s_delay_alu instid0(VALU_DEP_1) | instskip(SKIP_2) | instid1(VALU_DEP_2)
	v_fma_f64 v[36:37], v[48:49], s[22:23], |v[16:17]|
	v_mul_f64_e32 v[38:39], 0xbc91a62633145c00, v[48:49]
	v_cvt_i32_f64_e32 v50, v[48:49]
	v_add_f64_e32 v[40:41], v[36:37], v[38:39]
	s_delay_alu instid0(VALU_DEP_1) | instskip(SKIP_1) | instid1(VALU_DEP_1)
	v_add_f64_e64 v[42:43], v[36:37], -v[40:41]
	v_fmamk_f64 v[36:37], v[48:49], 0xbc91a62633145c00, v[36:37]
	v_add_f64_e64 v[40:41], v[40:41], -v[36:37]
	s_delay_alu instid0(VALU_DEP_3) | instskip(SKIP_1) | instid1(VALU_DEP_2)
	v_add_f64_e32 v[42:43], v[42:43], v[38:39]
	v_fmamk_f64 v[38:39], v[48:49], 0x3c91a62633145c00, v[38:39]
	v_add_f64_e32 v[40:41], v[40:41], v[42:43]
	s_delay_alu instid0(VALU_DEP_1) | instskip(NEXT) | instid1(VALU_DEP_1)
	v_add_f64_e64 v[38:39], v[40:41], -v[38:39]
	v_fmac_f64_e32 v[38:39], 0xb97b839a252049c0, v[48:49]
	s_delay_alu instid0(VALU_DEP_1) | instskip(NEXT) | instid1(VALU_DEP_1)
	v_add_f64_e32 v[44:45], v[36:37], v[38:39]
	v_add_f64_e64 v[36:37], v[44:45], -v[36:37]
	s_delay_alu instid0(VALU_DEP_1)
	v_add_f64_e64 v[46:47], v[38:39], -v[36:37]
.LBB247_96:                             ;   in Loop: Header=BB247_4 Depth=1
	s_or_b32 exec_lo, exec_lo, s2
	v_dual_mul_f64 v[36:37], v[14:15], v[14:15] :: v_dual_bitop2_b32 v21, 1, v1 bitop3:0x40
	v_cmp_class_f64_e64 s2, v[16:17], 0x1f8
	v_lshlrev_b32_e32 v17, 30, v50
	s_delay_alu instid0(VALU_DEP_4) | instskip(SKIP_3) | instid1(VALU_DEP_3)
	v_mul_f64_e32 v[54:55], 0.5, v[34:35]
	v_and_b32_e32 v16, 1, v50
	v_cmp_eq_u32_e32 vcc_lo, 0, v21
	v_lshlrev_b32_e32 v1, 30, v1
	v_cmp_eq_u32_e64 s3, 0, v16
	v_dual_mul_f64 v[62:63], 0.5, v[46:47] :: v_dual_bitop2_b32 v16, v17, v33 bitop3:0x14
	v_mul_f64_e32 v[40:41], 0.5, v[36:37]
	v_mul_f64_e64 v[56:57], v[14:15], -v[36:37]
	v_fmamk_f64 v[60:61], v[36:37], 0x3de5e0b2f9a43bb8, v[28:29]
	s_delay_alu instid0(VALU_DEP_1) | instskip(NEXT) | instid1(VALU_DEP_1)
	v_fmaak_f64 v[60:61], v[36:37], v[60:61], 0x3ec71de3796cde01
	v_fmaak_f64 v[60:61], v[36:37], v[60:61], 0xbf2a01a019e83e5c
	s_delay_alu instid0(VALU_DEP_1) | instskip(SKIP_1) | instid1(VALU_DEP_2)
	v_fmaak_f64 v[60:61], v[36:37], v[60:61], 0x3f81111111110bb3
	v_add_f64_e64 v[48:49], -v[40:41], 1.0
	v_fmac_f64_e32 v[54:55], v[56:57], v[60:61]
	s_delay_alu instid0(VALU_DEP_2) | instskip(NEXT) | instid1(VALU_DEP_2)
	v_add_f64_e64 v[58:59], -v[48:49], 1.0
	v_fma_f64 v[54:55], v[36:37], v[54:55], -v[34:35]
	s_delay_alu instid0(VALU_DEP_2) | instskip(NEXT) | instid1(VALU_DEP_2)
	v_add_f64_e64 v[40:41], v[58:59], -v[40:41]
	v_fmac_f64_e32 v[54:55], 0xbfc5555555555555, v[56:57]
	s_delay_alu instid0(VALU_DEP_2) | instskip(NEXT) | instid1(VALU_DEP_2)
	v_fma_f64 v[34:35], v[14:15], -v[34:35], v[40:41]
	v_add_f64_e64 v[14:15], v[14:15], -v[54:55]
	v_mul_f64_e32 v[38:39], v[44:45], v[44:45]
	s_delay_alu instid0(VALU_DEP_2) | instskip(NEXT) | instid1(VALU_DEP_2)
	v_xor_b32_e32 v15, 0x80000000, v15
	v_mul_f64_e64 v[64:65], v[44:45], -v[38:39]
	v_fmamk_f64 v[68:69], v[38:39], 0x3de5e0b2f9a43bb8, v[28:29]
	v_mul_f64_e32 v[60:61], v[36:37], v[36:37]
	s_delay_alu instid0(VALU_DEP_2) | instskip(NEXT) | instid1(VALU_DEP_1)
	v_fmaak_f64 v[58:59], v[38:39], v[68:69], 0x3ec71de3796cde01
	v_fmaak_f64 v[58:59], v[38:39], v[58:59], 0xbf2a01a019e83e5c
	s_delay_alu instid0(VALU_DEP_1) | instskip(NEXT) | instid1(VALU_DEP_1)
	v_fmaak_f64 v[58:59], v[38:39], v[58:59], 0x3f81111111110bb3
	v_fmac_f64_e32 v[62:63], v[64:65], v[58:59]
	v_fmamk_f64 v[58:59], v[36:37], 0xbda907db46cc5e42, v[26:27]
	s_delay_alu instid0(VALU_DEP_1) | instskip(NEXT) | instid1(VALU_DEP_1)
	v_fmaak_f64 v[40:41], v[36:37], v[58:59], 0xbe927e4fa17f65f6
	v_fmaak_f64 v[40:41], v[36:37], v[40:41], 0x3efa01a019f4ec90
	s_delay_alu instid0(VALU_DEP_1) | instskip(NEXT) | instid1(VALU_DEP_1)
	v_fmaak_f64 v[40:41], v[36:37], v[40:41], 0xbf56c16c16c16967
	v_fmaak_f64 v[36:37], v[36:37], v[40:41], 0x3fa5555555555555
	s_delay_alu instid0(VALU_DEP_1) | instskip(NEXT) | instid1(VALU_DEP_1)
	v_fmac_f64_e32 v[34:35], v[60:61], v[36:37]
	v_add_f64_e32 v[34:35], v[48:49], v[34:35]
	s_delay_alu instid0(VALU_DEP_1) | instskip(SKIP_3) | instid1(VALU_DEP_4)
	v_cndmask_b32_e32 v14, v14, v34, vcc_lo
	v_mul_f64_e32 v[42:43], 0.5, v[38:39]
	v_fmamk_f64 v[58:59], v[38:39], 0xbda907db46cc5e42, v[26:27]
	v_fma_f64 v[62:63], v[38:39], v[62:63], -v[46:47]
	v_dual_cndmask_b32 v15, v15, v35, vcc_lo :: v_dual_cndmask_b32 v34, 0, v14, s2
	s_delay_alu instid0(VALU_DEP_3) | instskip(NEXT) | instid1(VALU_DEP_2)
	v_fmaak_f64 v[40:41], v[38:39], v[58:59], 0xbe927e4fa17f65f6
	v_bitop3_b32 v1, v15, v1, 0x80000000 bitop3:0x78
	s_delay_alu instid0(VALU_DEP_1) | instskip(NEXT) | instid1(VALU_DEP_3)
	v_cndmask_b32_e64 v35, 0x7ff80000, v1, s2
	v_fmaak_f64 v[36:37], v[38:39], v[40:41], 0x3efa01a019f4ec90
	s_delay_alu instid0(VALU_DEP_1) | instskip(NEXT) | instid1(VALU_DEP_1)
	v_fmaak_f64 v[36:37], v[38:39], v[36:37], 0xbf56c16c16c16967
	v_fmaak_f64 v[36:37], v[38:39], v[36:37], 0x3fa5555555555555
	v_add_f64_e64 v[52:53], -v[42:43], 1.0
	v_fmac_f64_e32 v[62:63], 0xbfc5555555555555, v[64:65]
	s_delay_alu instid0(VALU_DEP_2) | instskip(NEXT) | instid1(VALU_DEP_1)
	v_add_f64_e64 v[66:67], -v[52:53], 1.0
	v_add_f64_e64 v[42:43], v[66:67], -v[42:43]
	v_mul_f64_e32 v[66:67], v[38:39], v[38:39]
	s_delay_alu instid0(VALU_DEP_2) | instskip(NEXT) | instid1(VALU_DEP_1)
	v_fma_f64 v[42:43], v[44:45], -v[46:47], v[42:43]
	v_fmac_f64_e32 v[42:43], v[66:67], v[36:37]
	v_add_f64_e64 v[36:37], v[44:45], -v[62:63]
	s_delay_alu instid0(VALU_DEP_2) | instskip(NEXT) | instid1(VALU_DEP_1)
	v_add_f64_e32 v[38:39], v[52:53], v[42:43]
	v_dual_cndmask_b32 v21, v39, v37, s3 :: v_dual_cndmask_b32 v17, v38, v36, s3
	s_delay_alu instid0(VALU_DEP_1) | instskip(NEXT) | instid1(VALU_DEP_2)
	v_bitop3_b32 v15, v21, v16, 0x80000000 bitop3:0x78
	v_cndmask_b32_e64 v32, 0, v17, s2
	s_delay_alu instid0(VALU_DEP_2)
	v_cndmask_b32_e64 v33, 0x7ff80000, v15, s2
.LBB247_97:                             ;   in Loop: Header=BB247_4 Depth=1
	s_or_b32 exec_lo, exec_lo, s4
                                        ; implicit-def: $vgpr14_vgpr15
.LBB247_98:                             ;   in Loop: Header=BB247_4 Depth=1
	s_and_not1_saveexec_b32 s3, s38
	s_cbranch_execz .LBB247_100
; %bb.99:                               ;   in Loop: Header=BB247_4 Depth=1
	v_mul_f64_e32 v[16:17], 0xbff71547652b82fe, v[14:15]
	v_cmp_ngt_f64_e32 vcc_lo, 0xc0900000, v[14:15]
	v_cmp_nlt_f64_e64 s2, 0x4090cc00, v[14:15]
	s_delay_alu instid0(VALU_DEP_3) | instskip(NEXT) | instid1(VALU_DEP_1)
	v_rndne_f64_e32 v[16:17], v[16:17]
	v_fma_f64 v[34:35], v[16:17], s[24:25], -v[14:15]
	v_cvt_i32_f64_e32 v1, v[16:17]
	s_delay_alu instid0(VALU_DEP_2) | instskip(NEXT) | instid1(VALU_DEP_1)
	v_fmac_f64_e32 v[34:35], 0xbc7abc9e3b39803f, v[16:17]
	v_fmamk_f64 v[36:37], v[34:35], 0x3e5ade156a5dcb37, v[24:25]
	s_delay_alu instid0(VALU_DEP_1) | instskip(NEXT) | instid1(VALU_DEP_1)
	v_fmaak_f64 v[36:37], v[34:35], v[36:37], 0x3ec71dee623fde64
	v_fmaak_f64 v[36:37], v[34:35], v[36:37], 0x3efa01997c89e6b0
	s_delay_alu instid0(VALU_DEP_1) | instskip(NEXT) | instid1(VALU_DEP_1)
	v_fmaak_f64 v[36:37], v[34:35], v[36:37], 0x3f2a01a014761f6e
	v_fmaak_f64 v[36:37], v[34:35], v[36:37], 0x3f56c16c1852b7b0
	;; [unrolled: 3-line block ×4, first 2 shown]
	s_delay_alu instid0(VALU_DEP_1) | instskip(NEXT) | instid1(VALU_DEP_1)
	v_fma_f64 v[36:37], v[34:35], v[36:37], 1.0
	v_fma_f64 v[16:17], v[34:35], v[36:37], 1.0
	s_delay_alu instid0(VALU_DEP_1) | instskip(NEXT) | instid1(VALU_DEP_1)
	v_ldexp_f64 v[16:17], v[16:17], v1
	v_cndmask_b32_e32 v1, 0x7ff00000, v17, vcc_lo
	s_and_b32 vcc_lo, s2, vcc_lo
	s_delay_alu instid0(VALU_DEP_1) | instid1(SALU_CYCLE_1)
	v_dual_cndmask_b32 v34, 0, v16, vcc_lo :: v_dual_cndmask_b32 v35, 0, v1, s2
.LBB247_100:                            ;   in Loop: Header=BB247_4 Depth=1
	s_or_b32 exec_lo, exec_lo, s3
	s_delay_alu instid0(VALU_DEP_1) | instskip(NEXT) | instid1(VALU_DEP_2)
	v_add_f64_e32 v[32:33], s[10:11], v[32:33]
	v_add_f64_e32 v[34:35], s[8:9], v[34:35]
	s_mov_b32 s2, exec_lo
	s_delay_alu instid0(VALU_DEP_2) | instskip(NEXT) | instid1(VALU_DEP_2)
	v_mov_b32_e32 v38, v32
	v_cmp_gt_f64_e32 vcc_lo, 0, v[34:35]
	v_xor_b32_e32 v1, 0x80000000, v35
	v_mov_b32_e32 v36, v34
	v_xor_b32_e32 v14, 0x80000000, v33
	s_delay_alu instid0(VALU_DEP_3) | instskip(SKIP_1) | instid1(VALU_DEP_3)
	v_cndmask_b32_e32 v37, v35, v1, vcc_lo
	v_cmp_gt_f64_e32 vcc_lo, 0, v[32:33]
	v_cndmask_b32_e32 v39, v33, v14, vcc_lo
                                        ; implicit-def: $vgpr16_vgpr17
	s_delay_alu instid0(VALU_DEP_1)
	v_cmpx_ge_f64_e32 v[36:37], v[38:39]
	s_xor_b32 s3, exec_lo, s2
	s_cbranch_execz .LBB247_106
; %bb.101:                              ;   in Loop: Header=BB247_4 Depth=1
	v_cmp_neq_f64_e32 vcc_lo, 0, v[34:35]
	v_cmp_neq_f64_e64 s2, 0, v[32:33]
                                        ; implicit-def: $vgpr16_vgpr17
	s_or_b32 s2, vcc_lo, s2
	s_delay_alu instid0(SALU_CYCLE_1) | instskip(NEXT) | instid1(SALU_CYCLE_1)
	s_and_saveexec_b32 s4, s2
	s_xor_b32 s2, exec_lo, s4
	s_cbranch_execz .LBB247_103
; %bb.102:                              ;   in Loop: Header=BB247_4 Depth=1
	v_div_scale_f64 v[14:15], null, v[34:35], v[34:35], v[32:33]
	v_div_scale_f64 v[38:39], vcc_lo, v[32:33], v[34:35], v[32:33]
	s_delay_alu instid0(VALU_DEP_2) | instskip(SKIP_1) | instid1(TRANS32_DEP_1)
	v_rcp_f64_e32 v[16:17], v[14:15]
	v_nop
	v_fma_f64 v[36:37], -v[14:15], v[16:17], 1.0
	s_delay_alu instid0(VALU_DEP_1) | instskip(NEXT) | instid1(VALU_DEP_1)
	v_fmac_f64_e32 v[16:17], v[16:17], v[36:37]
	v_fma_f64 v[36:37], -v[14:15], v[16:17], 1.0
	s_delay_alu instid0(VALU_DEP_1) | instskip(NEXT) | instid1(VALU_DEP_1)
	v_fmac_f64_e32 v[16:17], v[16:17], v[36:37]
	v_mul_f64_e32 v[36:37], v[38:39], v[16:17]
	s_delay_alu instid0(VALU_DEP_1) | instskip(NEXT) | instid1(VALU_DEP_1)
	v_fma_f64 v[14:15], -v[14:15], v[36:37], v[38:39]
	v_div_fmas_f64 v[14:15], v[14:15], v[16:17], v[36:37]
	s_delay_alu instid0(VALU_DEP_1) | instskip(NEXT) | instid1(VALU_DEP_1)
	v_div_fixup_f64 v[14:15], v[14:15], v[34:35], v[32:33]
	v_fmac_f64_e32 v[34:35], v[32:33], v[14:15]
	s_delay_alu instid0(VALU_DEP_1) | instskip(SKIP_1) | instid1(VALU_DEP_2)
	v_div_scale_f64 v[16:17], null, v[34:35], v[34:35], 1.0
	v_div_scale_f64 v[38:39], vcc_lo, 1.0, v[34:35], 1.0
	v_rcp_f64_e32 v[32:33], v[16:17]
	v_nop
	s_delay_alu instid0(TRANS32_DEP_1) | instskip(NEXT) | instid1(VALU_DEP_1)
	v_fma_f64 v[36:37], -v[16:17], v[32:33], 1.0
	v_fmac_f64_e32 v[32:33], v[32:33], v[36:37]
	s_delay_alu instid0(VALU_DEP_1) | instskip(NEXT) | instid1(VALU_DEP_1)
	v_fma_f64 v[36:37], -v[16:17], v[32:33], 1.0
	v_fmac_f64_e32 v[32:33], v[32:33], v[36:37]
	s_delay_alu instid0(VALU_DEP_1) | instskip(NEXT) | instid1(VALU_DEP_1)
	v_mul_f64_e32 v[36:37], v[38:39], v[32:33]
	v_fma_f64 v[16:17], -v[16:17], v[36:37], v[38:39]
                                        ; implicit-def: $vgpr38_vgpr39
	s_delay_alu instid0(VALU_DEP_1) | instskip(SKIP_1) | instid1(VALU_DEP_2)
	v_div_fmas_f64 v[16:17], v[16:17], v[32:33], v[36:37]
	v_fma_f64 v[32:33], s[10:11], v[14:15], s[8:9]
                                        ; implicit-def: $vgpr36_vgpr37
	v_div_fixup_f64 v[16:17], v[16:17], v[34:35], 1.0
	v_fma_f64 v[34:35], -s[8:9], v[14:15], s[10:11]
	s_delay_alu instid0(VALU_DEP_2) | instskip(NEXT) | instid1(VALU_DEP_2)
	v_mul_f64_e32 v[14:15], v[32:33], v[16:17]
	v_mul_f64_e32 v[16:17], v[34:35], v[16:17]
.LBB247_103:                            ;   in Loop: Header=BB247_4 Depth=1
	s_and_not1_saveexec_b32 s4, s2
	s_cbranch_execz .LBB247_105
; %bb.104:                              ;   in Loop: Header=BB247_4 Depth=1
	v_div_scale_f64 v[14:15], null, v[36:37], v[36:37], s[8:9]
	v_div_scale_f64 v[16:17], null, v[38:39], v[38:39], s[10:11]
	v_div_scale_f64 v[44:45], vcc_lo, s[8:9], v[36:37], s[8:9]
	s_delay_alu instid0(VALU_DEP_3) | instskip(NEXT) | instid1(VALU_DEP_2)
	v_rcp_f64_e32 v[32:33], v[14:15]
	v_rcp_f64_e32 v[34:35], v[16:17]
	s_delay_alu instid0(TRANS32_DEP_2) | instskip(NEXT) | instid1(TRANS32_DEP_1)
	v_fma_f64 v[40:41], -v[14:15], v[32:33], 1.0
	v_fma_f64 v[42:43], -v[16:17], v[34:35], 1.0
	s_delay_alu instid0(VALU_DEP_2) | instskip(NEXT) | instid1(VALU_DEP_2)
	v_fmac_f64_e32 v[32:33], v[32:33], v[40:41]
	v_fmac_f64_e32 v[34:35], v[34:35], v[42:43]
	s_delay_alu instid0(VALU_DEP_2) | instskip(NEXT) | instid1(VALU_DEP_2)
	v_fma_f64 v[40:41], -v[14:15], v[32:33], 1.0
	v_fma_f64 v[42:43], -v[16:17], v[34:35], 1.0
	s_delay_alu instid0(VALU_DEP_2) | instskip(SKIP_1) | instid1(VALU_DEP_3)
	v_fmac_f64_e32 v[32:33], v[32:33], v[40:41]
	v_div_scale_f64 v[40:41], s2, s[10:11], v[38:39], s[10:11]
	v_fmac_f64_e32 v[34:35], v[34:35], v[42:43]
	s_delay_alu instid0(VALU_DEP_3) | instskip(NEXT) | instid1(VALU_DEP_2)
	v_mul_f64_e32 v[42:43], v[44:45], v[32:33]
	v_mul_f64_e32 v[46:47], v[40:41], v[34:35]
	s_delay_alu instid0(VALU_DEP_2) | instskip(NEXT) | instid1(VALU_DEP_2)
	v_fma_f64 v[14:15], -v[14:15], v[42:43], v[44:45]
	v_fma_f64 v[16:17], -v[16:17], v[46:47], v[40:41]
	s_delay_alu instid0(VALU_DEP_2) | instskip(SKIP_1) | instid1(VALU_DEP_2)
	v_div_fmas_f64 v[14:15], v[14:15], v[32:33], v[42:43]
	s_mov_b32 vcc_lo, s2
	v_div_fmas_f64 v[16:17], v[16:17], v[34:35], v[46:47]
	s_delay_alu instid0(VALU_DEP_2) | instskip(NEXT) | instid1(VALU_DEP_2)
	v_div_fixup_f64 v[14:15], v[14:15], v[36:37], s[8:9]
	v_div_fixup_f64 v[16:17], v[16:17], v[38:39], s[10:11]
.LBB247_105:                            ;   in Loop: Header=BB247_4 Depth=1
	s_or_b32 exec_lo, exec_lo, s4
                                        ; implicit-def: $vgpr32_vgpr33
                                        ; implicit-def: $vgpr34_vgpr35
.LBB247_106:                            ;   in Loop: Header=BB247_4 Depth=1
	s_and_not1_saveexec_b32 s2, s3
	s_cbranch_execz .LBB247_108
; %bb.107:                              ;   in Loop: Header=BB247_4 Depth=1
	v_div_scale_f64 v[14:15], null, v[32:33], v[32:33], v[34:35]
	v_div_scale_f64 v[38:39], vcc_lo, v[34:35], v[32:33], v[34:35]
	s_delay_alu instid0(VALU_DEP_2) | instskip(SKIP_1) | instid1(TRANS32_DEP_1)
	v_rcp_f64_e32 v[16:17], v[14:15]
	v_nop
	v_fma_f64 v[36:37], -v[14:15], v[16:17], 1.0
	s_delay_alu instid0(VALU_DEP_1) | instskip(NEXT) | instid1(VALU_DEP_1)
	v_fmac_f64_e32 v[16:17], v[16:17], v[36:37]
	v_fma_f64 v[36:37], -v[14:15], v[16:17], 1.0
	s_delay_alu instid0(VALU_DEP_1) | instskip(NEXT) | instid1(VALU_DEP_1)
	v_fmac_f64_e32 v[16:17], v[16:17], v[36:37]
	v_mul_f64_e32 v[36:37], v[38:39], v[16:17]
	s_delay_alu instid0(VALU_DEP_1) | instskip(NEXT) | instid1(VALU_DEP_1)
	v_fma_f64 v[14:15], -v[14:15], v[36:37], v[38:39]
	v_div_fmas_f64 v[14:15], v[14:15], v[16:17], v[36:37]
	s_delay_alu instid0(VALU_DEP_1) | instskip(NEXT) | instid1(VALU_DEP_1)
	v_div_fixup_f64 v[14:15], v[14:15], v[32:33], v[34:35]
	v_fmac_f64_e32 v[32:33], v[34:35], v[14:15]
	s_delay_alu instid0(VALU_DEP_1) | instskip(SKIP_1) | instid1(VALU_DEP_2)
	v_div_scale_f64 v[16:17], null, v[32:33], v[32:33], 1.0
	v_div_scale_f64 v[38:39], vcc_lo, 1.0, v[32:33], 1.0
	v_rcp_f64_e32 v[34:35], v[16:17]
	v_nop
	s_delay_alu instid0(TRANS32_DEP_1) | instskip(NEXT) | instid1(VALU_DEP_1)
	v_fma_f64 v[36:37], -v[16:17], v[34:35], 1.0
	v_fmac_f64_e32 v[34:35], v[34:35], v[36:37]
	s_delay_alu instid0(VALU_DEP_1) | instskip(NEXT) | instid1(VALU_DEP_1)
	v_fma_f64 v[36:37], -v[16:17], v[34:35], 1.0
	v_fmac_f64_e32 v[34:35], v[34:35], v[36:37]
	s_delay_alu instid0(VALU_DEP_1) | instskip(NEXT) | instid1(VALU_DEP_1)
	v_mul_f64_e32 v[36:37], v[38:39], v[34:35]
	v_fma_f64 v[16:17], -v[16:17], v[36:37], v[38:39]
	s_delay_alu instid0(VALU_DEP_1) | instskip(SKIP_1) | instid1(VALU_DEP_2)
	v_div_fmas_f64 v[16:17], v[16:17], v[34:35], v[36:37]
	v_fma_f64 v[34:35], s[8:9], v[14:15], s[10:11]
	v_div_fixup_f64 v[16:17], v[16:17], v[32:33], 1.0
	v_fma_f64 v[32:33], s[10:11], v[14:15], -s[8:9]
	s_delay_alu instid0(VALU_DEP_2) | instskip(NEXT) | instid1(VALU_DEP_2)
	v_mul_f64_e32 v[14:15], v[34:35], v[16:17]
	v_mul_f64_e32 v[16:17], v[32:33], v[16:17]
.LBB247_108:                            ;   in Loop: Header=BB247_4 Depth=1
	s_or_b32 exec_lo, exec_lo, s2
	s_wait_loadcnt 0x0
	v_xor_b32_e32 v33, 0x80000000, v13
                                        ; implicit-def: $vgpr34_vgpr35
	s_mov_b32 s2, exec_lo
	v_mov_b32_e32 v32, v12
	s_delay_alu instid0(VALU_DEP_2) | instskip(NEXT) | instid1(VALU_DEP_1)
	v_and_b32_e32 v21, 0x7fffffff, v33
	v_or_b32_e32 v1, v21, v12
	s_delay_alu instid0(VALU_DEP_1)
	v_cmpx_ne_u32_e32 0, v1
	s_xor_b32 s38, exec_lo, s2
	s_cbranch_execz .LBB247_150
; %bb.109:                              ;   in Loop: Header=BB247_4 Depth=1
	v_xor_b32_e32 v37, 0x80000000, v11
                                        ; implicit-def: $vgpr34_vgpr35
	s_mov_b32 s2, exec_lo
	v_mov_b32_e32 v36, v10
	s_delay_alu instid0(VALU_DEP_2) | instskip(NEXT) | instid1(VALU_DEP_1)
	v_and_b32_e32 v1, 0x7fffffff, v37
	v_or_b32_e32 v32, v1, v10
	s_delay_alu instid0(VALU_DEP_1)
	v_cmpx_ne_u32_e32 0, v32
	s_xor_b32 s39, exec_lo, s2
	s_cbranch_execz .LBB247_139
; %bb.110:                              ;   in Loop: Header=BB247_4 Depth=1
                                        ; implicit-def: $vgpr34_vgpr35
	s_mov_b32 s2, exec_lo
	v_cmpx_gt_u32_e32 0x7ff00000, v21
	s_xor_b32 s40, exec_lo, s2
	s_cbranch_execz .LBB247_132
; %bb.111:                              ;   in Loop: Header=BB247_4 Depth=1
	v_add_nc_u32_e32 v1, 0xbf79d1be, v37
                                        ; implicit-def: $vgpr34_vgpr35
	s_mov_b32 s2, exec_lo
	s_delay_alu instid0(VALU_DEP_1)
	v_cmpx_lt_u32_e32 0x108aa2, v1
	s_xor_b32 s41, exec_lo, s2
	s_cbranch_execz .LBB247_121
; %bb.112:                              ;   in Loop: Header=BB247_4 Depth=1
	v_cmp_ngt_f64_e64 s2, 0x41d00000, |v[12:13]|
                                        ; implicit-def: $vgpr1
                                        ; implicit-def: $vgpr34_vgpr35
                                        ; implicit-def: $vgpr36_vgpr37
	s_and_saveexec_b32 s3, s2
	s_delay_alu instid0(SALU_CYCLE_1)
	s_xor_b32 s3, exec_lo, s3
	s_cbranch_execz .LBB247_114
; %bb.113:                              ;   in Loop: Header=BB247_4 Depth=1
	v_ldexp_f64 v[34:35], |v[12:13]|, 0xffffff80
	v_cmp_le_f64_e64 vcc_lo, 0x7b000000, |v[12:13]|
	v_trig_preop_f64 v[36:37], |v[12:13]|, 0
	v_and_b32_e32 v1, 0x7fffffff, v13
	v_trig_preop_f64 v[38:39], |v[12:13]|, 1
	v_trig_preop_f64 v[48:49], |v[12:13]|, 2
	s_delay_alu instid0(VALU_DEP_3) | instskip(NEXT) | instid1(VALU_DEP_1)
	v_dual_cndmask_b32 v35, v1, v35 :: v_dual_cndmask_b32 v34, v12, v34
	v_mul_f64_e32 v[40:41], v[36:37], v[34:35]
	s_delay_alu instid0(VALU_DEP_4) | instskip(NEXT) | instid1(VALU_DEP_4)
	v_mul_f64_e32 v[42:43], v[38:39], v[34:35]
	v_mul_f64_e32 v[54:55], v[48:49], v[34:35]
	s_delay_alu instid0(VALU_DEP_3) | instskip(NEXT) | instid1(VALU_DEP_3)
	v_fma_f64 v[36:37], v[36:37], v[34:35], -v[40:41]
	v_fma_f64 v[38:39], v[38:39], v[34:35], -v[42:43]
	s_delay_alu instid0(VALU_DEP_3) | instskip(NEXT) | instid1(VALU_DEP_3)
	v_fma_f64 v[34:35], v[48:49], v[34:35], -v[54:55]
	v_add_f64_e32 v[44:45], v[42:43], v[36:37]
	s_delay_alu instid0(VALU_DEP_1) | instskip(SKIP_1) | instid1(VALU_DEP_2)
	v_add_f64_e64 v[46:47], v[44:45], -v[42:43]
	v_add_f64_e32 v[52:53], v[40:41], v[44:45]
	v_add_f64_e64 v[50:51], v[44:45], -v[46:47]
	v_add_f64_e64 v[36:37], v[36:37], -v[46:47]
	s_delay_alu instid0(VALU_DEP_3) | instskip(NEXT) | instid1(VALU_DEP_3)
	v_ldexp_f64 v[46:47], v[52:53], -2
	v_add_f64_e64 v[42:43], v[42:43], -v[50:51]
	v_add_f64_e32 v[50:51], v[54:55], v[38:39]
	s_delay_alu instid0(VALU_DEP_3) | instskip(NEXT) | instid1(VALU_DEP_3)
	v_cmp_neq_f64_e64 vcc_lo, 0x7ff00000, |v[46:47]|
	v_add_f64_e32 v[36:37], v[36:37], v[42:43]
	v_fract_f64_e32 v[42:43], v[46:47]
	s_delay_alu instid0(VALU_DEP_1) | instskip(NEXT) | instid1(VALU_DEP_1)
	v_ldexp_f64 v[42:43], v[42:43], 2
	v_dual_add_f64 v[40:41], v[52:53], -v[40:41] :: v_dual_cndmask_b32 v42, 0, v42, vcc_lo
	s_delay_alu instid0(VALU_DEP_1) | instskip(SKIP_1) | instid1(VALU_DEP_1)
	v_dual_add_f64 v[40:41], v[44:45], -v[40:41] :: v_dual_cndmask_b32 v43, 0, v43, vcc_lo
	v_add_f64_e32 v[44:45], v[50:51], v[36:37]
	v_add_f64_e32 v[46:47], v[40:41], v[44:45]
	v_add_f64_e64 v[56:57], v[44:45], -v[50:51]
	s_delay_alu instid0(VALU_DEP_2) | instskip(NEXT) | instid1(VALU_DEP_2)
	v_add_f64_e32 v[52:53], v[46:47], v[42:43]
	v_add_f64_e64 v[62:63], v[44:45], -v[56:57]
	v_add_f64_e64 v[36:37], v[36:37], -v[56:57]
	;; [unrolled: 1-line block ×3, first 2 shown]
	s_delay_alu instid0(VALU_DEP_4) | instskip(SKIP_1) | instid1(VALU_DEP_3)
	v_cmp_gt_f64_e32 vcc_lo, 0, v[52:53]
	v_add_f64_e64 v[52:53], v[50:51], -v[54:55]
	v_add_f64_e64 v[40:41], v[44:45], -v[40:41]
	v_cndmask_b32_e64 v21, 0, 0x40100000, vcc_lo
	s_delay_alu instid0(VALU_DEP_3) | instskip(SKIP_2) | instid1(VALU_DEP_4)
	v_add_f64_e64 v[60:61], v[50:51], -v[52:53]
	v_add_f64_e64 v[38:39], v[38:39], -v[52:53]
	;; [unrolled: 1-line block ×3, first 2 shown]
	v_add_f64_e32 v[42:43], v[42:43], v[20:21]
	s_delay_alu instid0(VALU_DEP_4) | instskip(NEXT) | instid1(VALU_DEP_3)
	v_add_f64_e64 v[52:53], v[54:55], -v[60:61]
	v_add_f64_e32 v[36:37], v[36:37], v[50:51]
	s_delay_alu instid0(VALU_DEP_3) | instskip(NEXT) | instid1(VALU_DEP_3)
	v_add_f64_e32 v[58:59], v[46:47], v[42:43]
	v_add_f64_e32 v[38:39], v[38:39], v[52:53]
	s_delay_alu instid0(VALU_DEP_2) | instskip(NEXT) | instid1(VALU_DEP_2)
	v_cvt_i32_f64_e32 v1, v[58:59]
	v_add_f64_e32 v[36:37], v[38:39], v[36:37]
	s_delay_alu instid0(VALU_DEP_2) | instskip(NEXT) | instid1(VALU_DEP_2)
	v_cvt_f64_i32_e32 v[56:57], v1
	v_add_f64_e32 v[34:35], v[34:35], v[36:37]
	s_delay_alu instid0(VALU_DEP_2) | instskip(NEXT) | instid1(VALU_DEP_2)
	v_add_f64_e64 v[42:43], v[42:43], -v[56:57]
	v_add_f64_e32 v[34:35], v[40:41], v[34:35]
	s_delay_alu instid0(VALU_DEP_2) | instskip(NEXT) | instid1(VALU_DEP_1)
	v_add_f64_e32 v[38:39], v[46:47], v[42:43]
	v_add_f64_e64 v[36:37], v[38:39], -v[42:43]
	v_cmp_le_f64_e32 vcc_lo, 0.5, v[38:39]
	s_delay_alu instid0(VALU_DEP_2) | instskip(SKIP_2) | instid1(VALU_DEP_3)
	v_add_f64_e64 v[36:37], v[46:47], -v[36:37]
	v_cndmask_b32_e64 v21, 0, 0x3ff00000, vcc_lo
	v_add_co_ci_u32_e64 v1, null, 0, v1, vcc_lo
	v_add_f64_e32 v[34:35], v[34:35], v[36:37]
	s_delay_alu instid0(VALU_DEP_3) | instskip(NEXT) | instid1(VALU_DEP_1)
	v_add_f64_e64 v[36:37], v[38:39], -v[20:21]
	v_add_f64_e32 v[38:39], v[36:37], v[34:35]
	s_delay_alu instid0(VALU_DEP_1) | instskip(SKIP_1) | instid1(VALU_DEP_2)
	v_mul_f64_e32 v[40:41], 0x3ff921fb54442d18, v[38:39]
	v_add_f64_e64 v[36:37], v[38:39], -v[36:37]
	v_fma_f64 v[42:43], v[38:39], s[18:19], -v[40:41]
	s_delay_alu instid0(VALU_DEP_2) | instskip(NEXT) | instid1(VALU_DEP_2)
	v_add_f64_e64 v[34:35], v[34:35], -v[36:37]
	v_fmac_f64_e32 v[42:43], 0x3c91a62633145c07, v[38:39]
	s_delay_alu instid0(VALU_DEP_1) | instskip(NEXT) | instid1(VALU_DEP_1)
	v_fmac_f64_e32 v[42:43], 0x3ff921fb54442d18, v[34:35]
	v_add_f64_e32 v[34:35], v[40:41], v[42:43]
	s_delay_alu instid0(VALU_DEP_1) | instskip(NEXT) | instid1(VALU_DEP_1)
	v_add_f64_e64 v[36:37], v[34:35], -v[40:41]
	v_add_f64_e64 v[36:37], v[42:43], -v[36:37]
	s_and_not1_saveexec_b32 s3, s3
	s_cbranch_execz .LBB247_116
	s_branch .LBB247_115
.LBB247_114:                            ;   in Loop: Header=BB247_4 Depth=1
	s_and_not1_saveexec_b32 s3, s3
	s_cbranch_execz .LBB247_116
.LBB247_115:                            ;   in Loop: Header=BB247_4 Depth=1
	v_mul_f64_e64 v[34:35], |v[12:13]|, s[20:21]
	s_delay_alu instid0(VALU_DEP_1) | instskip(NEXT) | instid1(VALU_DEP_1)
	v_rndne_f64_e32 v[38:39], v[34:35]
	v_fma_f64 v[34:35], v[38:39], s[22:23], |v[12:13]|
	v_mul_f64_e32 v[36:37], 0xbc91a62633145c00, v[38:39]
	v_cvt_i32_f64_e32 v1, v[38:39]
	s_delay_alu instid0(VALU_DEP_3) | instskip(NEXT) | instid1(VALU_DEP_3)
	v_fmamk_f64 v[44:45], v[38:39], 0xbc91a62633145c00, v[34:35]
	v_add_f64_e32 v[40:41], v[34:35], v[36:37]
	s_delay_alu instid0(VALU_DEP_1) | instskip(NEXT) | instid1(VALU_DEP_3)
	v_add_f64_e64 v[42:43], v[34:35], -v[40:41]
	v_add_f64_e64 v[34:35], v[40:41], -v[44:45]
	s_delay_alu instid0(VALU_DEP_2) | instskip(SKIP_1) | instid1(VALU_DEP_2)
	v_add_f64_e32 v[40:41], v[42:43], v[36:37]
	v_fmamk_f64 v[36:37], v[38:39], 0x3c91a62633145c00, v[36:37]
	v_add_f64_e32 v[34:35], v[34:35], v[40:41]
	s_delay_alu instid0(VALU_DEP_1) | instskip(NEXT) | instid1(VALU_DEP_1)
	v_add_f64_e64 v[36:37], v[34:35], -v[36:37]
	v_fmac_f64_e32 v[36:37], 0xb97b839a252049c0, v[38:39]
	s_delay_alu instid0(VALU_DEP_1) | instskip(NEXT) | instid1(VALU_DEP_1)
	v_add_f64_e32 v[34:35], v[44:45], v[36:37]
	v_add_f64_e64 v[40:41], v[34:35], -v[44:45]
	s_delay_alu instid0(VALU_DEP_1)
	v_add_f64_e64 v[36:37], v[36:37], -v[40:41]
.LBB247_116:                            ;   in Loop: Header=BB247_4 Depth=1
	s_or_b32 exec_lo, exec_lo, s3
                                        ; implicit-def: $vgpr32
                                        ; implicit-def: $vgpr38_vgpr39
                                        ; implicit-def: $vgpr40_vgpr41
	s_and_saveexec_b32 s3, s2
	s_delay_alu instid0(SALU_CYCLE_1)
	s_xor_b32 s2, exec_lo, s3
	s_cbranch_execz .LBB247_118
; %bb.117:                              ;   in Loop: Header=BB247_4 Depth=1
	v_ldexp_f64 v[38:39], |v[12:13]|, 0xffffff80
	v_cmp_le_f64_e64 vcc_lo, 0x7b000000, |v[12:13]|
	v_trig_preop_f64 v[40:41], |v[12:13]|, 0
	v_and_b32_e32 v21, 0x7fffffff, v13
	v_trig_preop_f64 v[42:43], |v[12:13]|, 1
	v_trig_preop_f64 v[52:53], |v[12:13]|, 2
	s_delay_alu instid0(VALU_DEP_3) | instskip(NEXT) | instid1(VALU_DEP_1)
	v_dual_cndmask_b32 v39, v21, v39 :: v_dual_cndmask_b32 v38, v12, v38
	v_mul_f64_e32 v[44:45], v[40:41], v[38:39]
	s_delay_alu instid0(VALU_DEP_4) | instskip(NEXT) | instid1(VALU_DEP_4)
	v_mul_f64_e32 v[46:47], v[42:43], v[38:39]
	v_mul_f64_e32 v[58:59], v[52:53], v[38:39]
	s_delay_alu instid0(VALU_DEP_3) | instskip(NEXT) | instid1(VALU_DEP_3)
	v_fma_f64 v[40:41], v[40:41], v[38:39], -v[44:45]
	v_fma_f64 v[42:43], v[42:43], v[38:39], -v[46:47]
	s_delay_alu instid0(VALU_DEP_3) | instskip(NEXT) | instid1(VALU_DEP_3)
	v_fma_f64 v[38:39], v[52:53], v[38:39], -v[58:59]
	v_add_f64_e32 v[48:49], v[46:47], v[40:41]
	s_delay_alu instid0(VALU_DEP_1) | instskip(SKIP_1) | instid1(VALU_DEP_2)
	v_add_f64_e64 v[50:51], v[48:49], -v[46:47]
	v_add_f64_e32 v[56:57], v[44:45], v[48:49]
	v_add_f64_e64 v[54:55], v[48:49], -v[50:51]
	v_add_f64_e64 v[40:41], v[40:41], -v[50:51]
	s_delay_alu instid0(VALU_DEP_3) | instskip(NEXT) | instid1(VALU_DEP_3)
	v_ldexp_f64 v[50:51], v[56:57], -2
	v_add_f64_e64 v[46:47], v[46:47], -v[54:55]
	v_add_f64_e32 v[54:55], v[58:59], v[42:43]
	s_delay_alu instid0(VALU_DEP_3) | instskip(NEXT) | instid1(VALU_DEP_3)
	v_cmp_neq_f64_e64 vcc_lo, 0x7ff00000, |v[50:51]|
	v_add_f64_e32 v[40:41], v[40:41], v[46:47]
	v_fract_f64_e32 v[46:47], v[50:51]
	s_delay_alu instid0(VALU_DEP_1) | instskip(NEXT) | instid1(VALU_DEP_1)
	v_ldexp_f64 v[46:47], v[46:47], 2
	v_dual_add_f64 v[44:45], v[56:57], -v[44:45] :: v_dual_cndmask_b32 v46, 0, v46, vcc_lo
	s_delay_alu instid0(VALU_DEP_1) | instskip(SKIP_1) | instid1(VALU_DEP_1)
	v_dual_add_f64 v[44:45], v[48:49], -v[44:45] :: v_dual_cndmask_b32 v47, 0, v47, vcc_lo
	v_add_f64_e32 v[48:49], v[54:55], v[40:41]
	v_add_f64_e32 v[50:51], v[44:45], v[48:49]
	v_add_f64_e64 v[60:61], v[48:49], -v[54:55]
	s_delay_alu instid0(VALU_DEP_2) | instskip(NEXT) | instid1(VALU_DEP_2)
	v_add_f64_e32 v[56:57], v[50:51], v[46:47]
	v_add_f64_e64 v[66:67], v[48:49], -v[60:61]
	v_add_f64_e64 v[40:41], v[40:41], -v[60:61]
	v_add_f64_e64 v[44:45], v[50:51], -v[44:45]
	s_delay_alu instid0(VALU_DEP_4) | instskip(SKIP_1) | instid1(VALU_DEP_3)
	v_cmp_gt_f64_e32 vcc_lo, 0, v[56:57]
	v_add_f64_e64 v[56:57], v[54:55], -v[58:59]
	v_add_f64_e64 v[44:45], v[48:49], -v[44:45]
	v_cndmask_b32_e64 v21, 0, 0x40100000, vcc_lo
	s_delay_alu instid0(VALU_DEP_3) | instskip(SKIP_2) | instid1(VALU_DEP_4)
	v_add_f64_e64 v[64:65], v[54:55], -v[56:57]
	v_add_f64_e64 v[42:43], v[42:43], -v[56:57]
	;; [unrolled: 1-line block ×3, first 2 shown]
	v_add_f64_e32 v[46:47], v[46:47], v[20:21]
	s_delay_alu instid0(VALU_DEP_4) | instskip(NEXT) | instid1(VALU_DEP_3)
	v_add_f64_e64 v[56:57], v[58:59], -v[64:65]
	v_add_f64_e32 v[40:41], v[40:41], v[54:55]
	s_delay_alu instid0(VALU_DEP_3) | instskip(NEXT) | instid1(VALU_DEP_3)
	v_add_f64_e32 v[62:63], v[50:51], v[46:47]
	v_add_f64_e32 v[42:43], v[42:43], v[56:57]
	s_delay_alu instid0(VALU_DEP_2) | instskip(NEXT) | instid1(VALU_DEP_2)
	v_cvt_i32_f64_e32 v21, v[62:63]
	v_add_f64_e32 v[40:41], v[42:43], v[40:41]
	s_delay_alu instid0(VALU_DEP_2) | instskip(NEXT) | instid1(VALU_DEP_2)
	v_cvt_f64_i32_e32 v[60:61], v21
	v_add_f64_e32 v[38:39], v[38:39], v[40:41]
	s_delay_alu instid0(VALU_DEP_2) | instskip(NEXT) | instid1(VALU_DEP_2)
	v_add_f64_e64 v[46:47], v[46:47], -v[60:61]
	v_add_f64_e32 v[38:39], v[44:45], v[38:39]
	s_delay_alu instid0(VALU_DEP_2) | instskip(NEXT) | instid1(VALU_DEP_1)
	v_add_f64_e32 v[42:43], v[50:51], v[46:47]
	v_add_f64_e64 v[40:41], v[42:43], -v[46:47]
	v_cmp_le_f64_e32 vcc_lo, 0.5, v[42:43]
	s_delay_alu instid0(VALU_DEP_2) | instskip(SKIP_2) | instid1(VALU_DEP_3)
	v_add_f64_e64 v[40:41], v[50:51], -v[40:41]
	v_add_co_ci_u32_e64 v32, null, 0, v21, vcc_lo
	v_cndmask_b32_e64 v21, 0, 0x3ff00000, vcc_lo
	v_add_f64_e32 v[38:39], v[38:39], v[40:41]
	s_delay_alu instid0(VALU_DEP_2) | instskip(NEXT) | instid1(VALU_DEP_1)
	v_add_f64_e64 v[40:41], v[42:43], -v[20:21]
	v_add_f64_e32 v[42:43], v[40:41], v[38:39]
	s_delay_alu instid0(VALU_DEP_1) | instskip(SKIP_1) | instid1(VALU_DEP_2)
	v_mul_f64_e32 v[44:45], 0x3ff921fb54442d18, v[42:43]
	v_add_f64_e64 v[40:41], v[42:43], -v[40:41]
	v_fma_f64 v[46:47], v[42:43], s[18:19], -v[44:45]
	s_delay_alu instid0(VALU_DEP_2) | instskip(NEXT) | instid1(VALU_DEP_2)
	v_add_f64_e64 v[38:39], v[38:39], -v[40:41]
	v_fmac_f64_e32 v[46:47], 0x3c91a62633145c07, v[42:43]
	s_delay_alu instid0(VALU_DEP_1) | instskip(NEXT) | instid1(VALU_DEP_1)
	v_fmac_f64_e32 v[46:47], 0x3ff921fb54442d18, v[38:39]
	v_add_f64_e32 v[38:39], v[44:45], v[46:47]
	s_delay_alu instid0(VALU_DEP_1) | instskip(NEXT) | instid1(VALU_DEP_1)
	v_add_f64_e64 v[40:41], v[38:39], -v[44:45]
	v_add_f64_e64 v[40:41], v[46:47], -v[40:41]
	s_and_not1_saveexec_b32 s2, s2
	s_cbranch_execnz .LBB247_119
	s_branch .LBB247_120
.LBB247_118:                            ;   in Loop: Header=BB247_4 Depth=1
	s_and_not1_saveexec_b32 s2, s2
	s_cbranch_execz .LBB247_120
.LBB247_119:                            ;   in Loop: Header=BB247_4 Depth=1
	v_mul_f64_e64 v[38:39], |v[12:13]|, s[20:21]
	s_delay_alu instid0(VALU_DEP_1) | instskip(NEXT) | instid1(VALU_DEP_1)
	v_rndne_f64_e32 v[42:43], v[38:39]
	v_fma_f64 v[38:39], v[42:43], s[22:23], |v[12:13]|
	v_mul_f64_e32 v[40:41], 0xbc91a62633145c00, v[42:43]
	v_cvt_i32_f64_e32 v32, v[42:43]
	s_delay_alu instid0(VALU_DEP_3) | instskip(NEXT) | instid1(VALU_DEP_3)
	v_fmamk_f64 v[48:49], v[42:43], 0xbc91a62633145c00, v[38:39]
	v_add_f64_e32 v[44:45], v[38:39], v[40:41]
	s_delay_alu instid0(VALU_DEP_1) | instskip(NEXT) | instid1(VALU_DEP_3)
	v_add_f64_e64 v[46:47], v[38:39], -v[44:45]
	v_add_f64_e64 v[38:39], v[44:45], -v[48:49]
	s_delay_alu instid0(VALU_DEP_2) | instskip(SKIP_1) | instid1(VALU_DEP_2)
	v_add_f64_e32 v[44:45], v[46:47], v[40:41]
	v_fmamk_f64 v[40:41], v[42:43], 0x3c91a62633145c00, v[40:41]
	v_add_f64_e32 v[38:39], v[38:39], v[44:45]
	s_delay_alu instid0(VALU_DEP_1) | instskip(NEXT) | instid1(VALU_DEP_1)
	v_add_f64_e64 v[40:41], v[38:39], -v[40:41]
	v_fmac_f64_e32 v[40:41], 0xb97b839a252049c0, v[42:43]
	s_delay_alu instid0(VALU_DEP_1) | instskip(NEXT) | instid1(VALU_DEP_1)
	v_add_f64_e32 v[38:39], v[48:49], v[40:41]
	v_add_f64_e64 v[44:45], v[38:39], -v[48:49]
	s_delay_alu instid0(VALU_DEP_1)
	v_add_f64_e64 v[40:41], v[40:41], -v[44:45]
.LBB247_120:                            ;   in Loop: Header=BB247_4 Depth=1
	s_or_b32 exec_lo, exec_lo, s2
	v_mul_f64_e32 v[42:43], 0xbff71547652b82fe, v[10:11]
	v_mul_f64_e32 v[44:45], v[34:35], v[34:35]
	;; [unrolled: 1-line block ×3, first 2 shown]
	v_cmp_ngt_f64_e64 s3, 0xc0900000, v[10:11]
	v_cmp_nlt_f64_e64 s4, 0x4090cc00, v[10:11]
	v_mul_f64_e32 v[68:69], 0.5, v[40:41]
	v_cmp_class_f64_e64 s2, v[12:13], 0x1f8
	v_lshlrev_b32_e32 v12, 30, v32
	v_rndne_f64_e32 v[42:43], v[42:43]
	s_delay_alu instid0(VALU_DEP_1) | instskip(SKIP_4) | instid1(VALU_DEP_4)
	v_fma_f64 v[50:51], v[42:43], s[24:25], -v[10:11]
	v_and_b32_e32 v10, 1, v32
	v_cvt_i32_f64_e32 v21, v[42:43]
	v_mul_f64_e64 v[70:71], v[38:39], -v[46:47]
	v_fmamk_f64 v[74:75], v[46:47], 0x3de5e0b2f9a43bb8, v[28:29]
	v_cmp_eq_u32_e64 s5, 0, v10
	v_mul_f64_e32 v[48:49], 0.5, v[44:45]
	v_mul_f64_e32 v[58:59], 0.5, v[36:37]
	v_fmac_f64_e32 v[50:51], 0xbc7abc9e3b39803f, v[42:43]
	s_delay_alu instid0(VALU_DEP_3) | instskip(NEXT) | instid1(VALU_DEP_2)
	v_add_f64_e64 v[54:55], -v[48:49], 1.0
	v_fmamk_f64 v[66:67], v[50:51], 0x3e5ade156a5dcb37, v[24:25]
	s_delay_alu instid0(VALU_DEP_2) | instskip(NEXT) | instid1(VALU_DEP_2)
	v_add_f64_e64 v[62:63], -v[54:55], 1.0
	v_fmaak_f64 v[66:67], v[50:51], v[66:67], 0x3ec71dee623fde64
	s_delay_alu instid0(VALU_DEP_1) | instskip(NEXT) | instid1(VALU_DEP_1)
	v_fmaak_f64 v[66:67], v[50:51], v[66:67], 0x3efa01997c89e6b0
	v_fmaak_f64 v[66:67], v[50:51], v[66:67], 0x3f2a01a014761f6e
	s_delay_alu instid0(VALU_DEP_4) | instskip(NEXT) | instid1(VALU_DEP_2)
	v_add_f64_e64 v[48:49], v[62:63], -v[48:49]
	v_fmaak_f64 v[62:63], v[50:51], v[66:67], 0x3f56c16c1852b7b0
	s_delay_alu instid0(VALU_DEP_1) | instskip(NEXT) | instid1(VALU_DEP_1)
	v_fmaak_f64 v[62:63], v[50:51], v[62:63], 0x3f81111111122322
	v_fmaak_f64 v[62:63], v[50:51], v[62:63], 0x3fa55555555502a1
	s_delay_alu instid0(VALU_DEP_1) | instskip(NEXT) | instid1(VALU_DEP_1)
	v_fmaak_f64 v[62:63], v[50:51], v[62:63], 0x3fc5555555555511
	v_fmaak_f64 v[62:63], v[50:51], v[62:63], 0x3fe000000000000b
	s_delay_alu instid0(VALU_DEP_1) | instskip(NEXT) | instid1(VALU_DEP_1)
	v_fma_f64 v[62:63], v[50:51], v[62:63], 1.0
	v_fma_f64 v[42:43], v[50:51], v[62:63], 1.0
	s_delay_alu instid0(VALU_DEP_1)
	v_ldexp_f64 v[42:43], v[42:43], v21
	v_and_b32_e32 v21, 1, v1
	v_mul_f64_e64 v[60:61], v[34:35], -v[44:45]
	v_fmamk_f64 v[64:65], v[44:45], 0x3de5e0b2f9a43bb8, v[28:29]
	v_mul_f64_e32 v[66:67], v[44:45], v[44:45]
	v_lshlrev_b32_e32 v1, 30, v1
	v_cmp_eq_u32_e32 vcc_lo, 0, v21
	s_delay_alu instid0(VALU_DEP_4) | instskip(NEXT) | instid1(VALU_DEP_1)
	v_fmaak_f64 v[64:65], v[44:45], v[64:65], 0x3ec71de3796cde01
	v_fmaak_f64 v[64:65], v[44:45], v[64:65], 0xbf2a01a019e83e5c
	s_delay_alu instid0(VALU_DEP_1) | instskip(SKIP_1) | instid1(VALU_DEP_2)
	v_fmaak_f64 v[64:65], v[44:45], v[64:65], 0x3f81111111110bb3
	v_cndmask_b32_e64 v13, 0x7ff00000, v43, s3
	v_fmac_f64_e32 v[58:59], v[60:61], v[64:65]
	v_fmaak_f64 v[64:65], v[46:47], v[74:75], 0x3ec71de3796cde01
	s_delay_alu instid0(VALU_DEP_1) | instskip(NEXT) | instid1(VALU_DEP_1)
	v_fmaak_f64 v[64:65], v[46:47], v[64:65], 0xbf2a01a019e83e5c
	v_fmaak_f64 v[64:65], v[46:47], v[64:65], 0x3f81111111110bb3
	s_delay_alu instid0(VALU_DEP_1) | instskip(SKIP_3) | instid1(VALU_DEP_3)
	v_fmac_f64_e32 v[68:69], v[70:71], v[64:65]
	v_fmamk_f64 v[64:65], v[44:45], 0xbda907db46cc5e42, v[26:27]
	v_fma_f64 v[58:59], v[44:45], v[58:59], -v[36:37]
	v_fma_f64 v[36:37], v[34:35], -v[36:37], v[48:49]
	v_fmaak_f64 v[48:49], v[44:45], v[64:65], 0xbe927e4fa17f65f6
	v_mul_f64_e32 v[64:65], v[46:47], v[46:47]
	s_delay_alu instid0(VALU_DEP_2) | instskip(NEXT) | instid1(VALU_DEP_1)
	v_fmaak_f64 v[48:49], v[44:45], v[48:49], 0x3efa01a019f4ec90
	v_fmaak_f64 v[48:49], v[44:45], v[48:49], 0xbf56c16c16c16967
	s_delay_alu instid0(VALU_DEP_1) | instskip(SKIP_2) | instid1(VALU_DEP_3)
	v_fmaak_f64 v[44:45], v[44:45], v[48:49], 0x3fa5555555555555
	v_fma_f64 v[48:49], v[46:47], v[68:69], -v[40:41]
	v_fmac_f64_e32 v[58:59], 0xbfc5555555555555, v[60:61]
	v_fmac_f64_e32 v[36:37], v[66:67], v[44:45]
	s_delay_alu instid0(VALU_DEP_3) | instskip(NEXT) | instid1(VALU_DEP_3)
	v_fmac_f64_e32 v[48:49], 0xbfc5555555555555, v[70:71]
	v_add_f64_e64 v[34:35], v[34:35], -v[58:59]
	s_delay_alu instid0(VALU_DEP_3) | instskip(SKIP_1) | instid1(VALU_DEP_3)
	v_add_f64_e32 v[36:37], v[54:55], v[36:37]
	v_mul_f64_e32 v[52:53], 0.5, v[46:47]
	v_xor_b32_e32 v11, 0x80000000, v35
	s_delay_alu instid0(VALU_DEP_3) | instskip(NEXT) | instid1(VALU_DEP_3)
	v_cndmask_b32_e32 v21, v34, v36, vcc_lo
	v_add_f64_e64 v[56:57], -v[52:53], 1.0
	s_delay_alu instid0(VALU_DEP_3) | instskip(SKIP_3) | instid1(VALU_DEP_4)
	v_cndmask_b32_e32 v10, v11, v37, vcc_lo
	v_xor_b32_e32 v11, v12, v33
	s_and_b32 vcc_lo, s4, s3
	v_cndmask_b32_e64 v33, 0, v13, s4
	v_add_f64_e64 v[72:73], -v[56:57], 1.0
	s_delay_alu instid0(VALU_DEP_1) | instskip(SKIP_1) | instid1(VALU_DEP_2)
	v_add_f64_e64 v[52:53], v[72:73], -v[52:53]
	v_fmamk_f64 v[72:73], v[46:47], 0xbda907db46cc5e42, v[26:27]
	v_fma_f64 v[40:41], v[38:39], -v[40:41], v[52:53]
	s_delay_alu instid0(VALU_DEP_2) | instskip(SKIP_1) | instid1(VALU_DEP_2)
	v_fmaak_f64 v[52:53], v[46:47], v[72:73], 0xbe927e4fa17f65f6
	v_add_f64_e64 v[38:39], v[38:39], -v[48:49]
	v_fmaak_f64 v[44:45], v[46:47], v[52:53], 0x3efa01a019f4ec90
	s_delay_alu instid0(VALU_DEP_1) | instskip(NEXT) | instid1(VALU_DEP_1)
	v_fmaak_f64 v[44:45], v[46:47], v[44:45], 0xbf56c16c16c16967
	v_fmaak_f64 v[44:45], v[46:47], v[44:45], 0x3fa5555555555555
	s_delay_alu instid0(VALU_DEP_1) | instskip(NEXT) | instid1(VALU_DEP_1)
	v_fmac_f64_e32 v[40:41], v[64:65], v[44:45]
	v_add_f64_e32 v[40:41], v[56:57], v[40:41]
	s_delay_alu instid0(VALU_DEP_1) | instskip(NEXT) | instid1(VALU_DEP_1)
	v_dual_cndmask_b32 v12, v40, v38, s5 :: v_dual_cndmask_b32 v32, v41, v39, s5
	v_cndmask_b32_e64 v12, 0, v12, s2
	v_bitop3_b32 v1, v10, v1, 0x80000000 bitop3:0x78
	v_cndmask_b32_e64 v10, 0, v21, s2
	s_delay_alu instid0(VALU_DEP_4) | instskip(SKIP_1) | instid1(VALU_DEP_4)
	v_bitop3_b32 v21, v32, v11, 0x80000000 bitop3:0x78
	v_cndmask_b32_e32 v32, 0, v42, vcc_lo
	v_cndmask_b32_e64 v11, 0x7ff80000, v1, s2
	s_delay_alu instid0(VALU_DEP_3) | instskip(NEXT) | instid1(VALU_DEP_2)
	v_cndmask_b32_e64 v13, 0x7ff80000, v21, s2
	v_mul_f64_e32 v[34:35], v[32:33], v[10:11]
	s_delay_alu instid0(VALU_DEP_2)
	v_mul_f64_e32 v[32:33], v[32:33], v[12:13]
                                        ; implicit-def: $vgpr12_vgpr13
.LBB247_121:                            ;   in Loop: Header=BB247_4 Depth=1
	s_and_not1_saveexec_b32 s41, s41
	s_cbranch_execz .LBB247_131
; %bb.122:                              ;   in Loop: Header=BB247_4 Depth=1
	v_cmp_ngt_f64_e64 s2, 0x41d00000, |v[12:13]|
                                        ; implicit-def: $vgpr1
                                        ; implicit-def: $vgpr34_vgpr35
                                        ; implicit-def: $vgpr36_vgpr37
	s_and_saveexec_b32 s3, s2
	s_delay_alu instid0(SALU_CYCLE_1)
	s_xor_b32 s3, exec_lo, s3
	s_cbranch_execz .LBB247_124
; %bb.123:                              ;   in Loop: Header=BB247_4 Depth=1
	v_ldexp_f64 v[34:35], |v[12:13]|, 0xffffff80
	v_cmp_le_f64_e64 vcc_lo, 0x7b000000, |v[12:13]|
	v_trig_preop_f64 v[36:37], |v[12:13]|, 0
	v_and_b32_e32 v1, 0x7fffffff, v13
	v_trig_preop_f64 v[38:39], |v[12:13]|, 1
	v_trig_preop_f64 v[48:49], |v[12:13]|, 2
	s_delay_alu instid0(VALU_DEP_3) | instskip(NEXT) | instid1(VALU_DEP_1)
	v_dual_cndmask_b32 v35, v1, v35 :: v_dual_cndmask_b32 v34, v12, v34
	v_mul_f64_e32 v[40:41], v[36:37], v[34:35]
	s_delay_alu instid0(VALU_DEP_4) | instskip(NEXT) | instid1(VALU_DEP_4)
	v_mul_f64_e32 v[42:43], v[38:39], v[34:35]
	v_mul_f64_e32 v[54:55], v[48:49], v[34:35]
	s_delay_alu instid0(VALU_DEP_3) | instskip(NEXT) | instid1(VALU_DEP_3)
	v_fma_f64 v[36:37], v[36:37], v[34:35], -v[40:41]
	v_fma_f64 v[38:39], v[38:39], v[34:35], -v[42:43]
	s_delay_alu instid0(VALU_DEP_3) | instskip(NEXT) | instid1(VALU_DEP_3)
	v_fma_f64 v[34:35], v[48:49], v[34:35], -v[54:55]
	v_add_f64_e32 v[44:45], v[42:43], v[36:37]
	s_delay_alu instid0(VALU_DEP_1) | instskip(SKIP_1) | instid1(VALU_DEP_2)
	v_add_f64_e64 v[46:47], v[44:45], -v[42:43]
	v_add_f64_e32 v[52:53], v[40:41], v[44:45]
	v_add_f64_e64 v[50:51], v[44:45], -v[46:47]
	v_add_f64_e64 v[36:37], v[36:37], -v[46:47]
	s_delay_alu instid0(VALU_DEP_3) | instskip(NEXT) | instid1(VALU_DEP_3)
	v_ldexp_f64 v[46:47], v[52:53], -2
	v_add_f64_e64 v[42:43], v[42:43], -v[50:51]
	v_add_f64_e32 v[50:51], v[54:55], v[38:39]
	s_delay_alu instid0(VALU_DEP_3) | instskip(NEXT) | instid1(VALU_DEP_3)
	v_cmp_neq_f64_e64 vcc_lo, 0x7ff00000, |v[46:47]|
	v_add_f64_e32 v[36:37], v[36:37], v[42:43]
	v_fract_f64_e32 v[42:43], v[46:47]
	s_delay_alu instid0(VALU_DEP_1) | instskip(NEXT) | instid1(VALU_DEP_1)
	v_ldexp_f64 v[42:43], v[42:43], 2
	v_dual_add_f64 v[40:41], v[52:53], -v[40:41] :: v_dual_cndmask_b32 v42, 0, v42, vcc_lo
	s_delay_alu instid0(VALU_DEP_1) | instskip(SKIP_1) | instid1(VALU_DEP_1)
	v_dual_add_f64 v[40:41], v[44:45], -v[40:41] :: v_dual_cndmask_b32 v43, 0, v43, vcc_lo
	v_add_f64_e32 v[44:45], v[50:51], v[36:37]
	v_add_f64_e32 v[46:47], v[40:41], v[44:45]
	v_add_f64_e64 v[56:57], v[44:45], -v[50:51]
	s_delay_alu instid0(VALU_DEP_2) | instskip(NEXT) | instid1(VALU_DEP_2)
	v_add_f64_e32 v[52:53], v[46:47], v[42:43]
	v_add_f64_e64 v[62:63], v[44:45], -v[56:57]
	v_add_f64_e64 v[36:37], v[36:37], -v[56:57]
	;; [unrolled: 1-line block ×3, first 2 shown]
	s_delay_alu instid0(VALU_DEP_4) | instskip(SKIP_1) | instid1(VALU_DEP_3)
	v_cmp_gt_f64_e32 vcc_lo, 0, v[52:53]
	v_add_f64_e64 v[52:53], v[50:51], -v[54:55]
	v_add_f64_e64 v[40:41], v[44:45], -v[40:41]
	v_cndmask_b32_e64 v21, 0, 0x40100000, vcc_lo
	s_delay_alu instid0(VALU_DEP_3) | instskip(SKIP_2) | instid1(VALU_DEP_4)
	v_add_f64_e64 v[60:61], v[50:51], -v[52:53]
	v_add_f64_e64 v[38:39], v[38:39], -v[52:53]
	v_add_f64_e64 v[50:51], v[50:51], -v[62:63]
	v_add_f64_e32 v[42:43], v[42:43], v[20:21]
	s_delay_alu instid0(VALU_DEP_4) | instskip(NEXT) | instid1(VALU_DEP_3)
	v_add_f64_e64 v[52:53], v[54:55], -v[60:61]
	v_add_f64_e32 v[36:37], v[36:37], v[50:51]
	s_delay_alu instid0(VALU_DEP_3) | instskip(NEXT) | instid1(VALU_DEP_3)
	v_add_f64_e32 v[58:59], v[46:47], v[42:43]
	v_add_f64_e32 v[38:39], v[38:39], v[52:53]
	s_delay_alu instid0(VALU_DEP_2) | instskip(NEXT) | instid1(VALU_DEP_2)
	v_cvt_i32_f64_e32 v1, v[58:59]
	v_add_f64_e32 v[36:37], v[38:39], v[36:37]
	s_delay_alu instid0(VALU_DEP_2) | instskip(NEXT) | instid1(VALU_DEP_2)
	v_cvt_f64_i32_e32 v[56:57], v1
	v_add_f64_e32 v[34:35], v[34:35], v[36:37]
	s_delay_alu instid0(VALU_DEP_2) | instskip(NEXT) | instid1(VALU_DEP_2)
	v_add_f64_e64 v[42:43], v[42:43], -v[56:57]
	v_add_f64_e32 v[34:35], v[40:41], v[34:35]
	s_delay_alu instid0(VALU_DEP_2) | instskip(NEXT) | instid1(VALU_DEP_1)
	v_add_f64_e32 v[38:39], v[46:47], v[42:43]
	v_add_f64_e64 v[36:37], v[38:39], -v[42:43]
	v_cmp_le_f64_e32 vcc_lo, 0.5, v[38:39]
	s_delay_alu instid0(VALU_DEP_2) | instskip(SKIP_2) | instid1(VALU_DEP_3)
	v_add_f64_e64 v[36:37], v[46:47], -v[36:37]
	v_cndmask_b32_e64 v21, 0, 0x3ff00000, vcc_lo
	v_add_co_ci_u32_e64 v1, null, 0, v1, vcc_lo
	v_add_f64_e32 v[34:35], v[34:35], v[36:37]
	s_delay_alu instid0(VALU_DEP_3) | instskip(NEXT) | instid1(VALU_DEP_1)
	v_add_f64_e64 v[36:37], v[38:39], -v[20:21]
	v_add_f64_e32 v[38:39], v[36:37], v[34:35]
	s_delay_alu instid0(VALU_DEP_1) | instskip(SKIP_1) | instid1(VALU_DEP_2)
	v_mul_f64_e32 v[40:41], 0x3ff921fb54442d18, v[38:39]
	v_add_f64_e64 v[36:37], v[38:39], -v[36:37]
	v_fma_f64 v[42:43], v[38:39], s[18:19], -v[40:41]
	s_delay_alu instid0(VALU_DEP_2) | instskip(NEXT) | instid1(VALU_DEP_2)
	v_add_f64_e64 v[34:35], v[34:35], -v[36:37]
	v_fmac_f64_e32 v[42:43], 0x3c91a62633145c07, v[38:39]
	s_delay_alu instid0(VALU_DEP_1) | instskip(NEXT) | instid1(VALU_DEP_1)
	v_fmac_f64_e32 v[42:43], 0x3ff921fb54442d18, v[34:35]
	v_add_f64_e32 v[34:35], v[40:41], v[42:43]
	s_delay_alu instid0(VALU_DEP_1) | instskip(NEXT) | instid1(VALU_DEP_1)
	v_add_f64_e64 v[36:37], v[34:35], -v[40:41]
	v_add_f64_e64 v[36:37], v[42:43], -v[36:37]
	s_and_not1_saveexec_b32 s3, s3
	s_cbranch_execz .LBB247_126
	s_branch .LBB247_125
.LBB247_124:                            ;   in Loop: Header=BB247_4 Depth=1
	s_and_not1_saveexec_b32 s3, s3
	s_cbranch_execz .LBB247_126
.LBB247_125:                            ;   in Loop: Header=BB247_4 Depth=1
	v_mul_f64_e64 v[34:35], |v[12:13]|, s[20:21]
	s_delay_alu instid0(VALU_DEP_1) | instskip(NEXT) | instid1(VALU_DEP_1)
	v_rndne_f64_e32 v[38:39], v[34:35]
	v_fma_f64 v[34:35], v[38:39], s[22:23], |v[12:13]|
	v_mul_f64_e32 v[36:37], 0xbc91a62633145c00, v[38:39]
	v_cvt_i32_f64_e32 v1, v[38:39]
	s_delay_alu instid0(VALU_DEP_3) | instskip(NEXT) | instid1(VALU_DEP_3)
	v_fmamk_f64 v[44:45], v[38:39], 0xbc91a62633145c00, v[34:35]
	v_add_f64_e32 v[40:41], v[34:35], v[36:37]
	s_delay_alu instid0(VALU_DEP_1) | instskip(NEXT) | instid1(VALU_DEP_3)
	v_add_f64_e64 v[42:43], v[34:35], -v[40:41]
	v_add_f64_e64 v[34:35], v[40:41], -v[44:45]
	s_delay_alu instid0(VALU_DEP_2) | instskip(SKIP_1) | instid1(VALU_DEP_2)
	v_add_f64_e32 v[40:41], v[42:43], v[36:37]
	v_fmamk_f64 v[36:37], v[38:39], 0x3c91a62633145c00, v[36:37]
	v_add_f64_e32 v[34:35], v[34:35], v[40:41]
	s_delay_alu instid0(VALU_DEP_1) | instskip(NEXT) | instid1(VALU_DEP_1)
	v_add_f64_e64 v[36:37], v[34:35], -v[36:37]
	v_fmac_f64_e32 v[36:37], 0xb97b839a252049c0, v[38:39]
	s_delay_alu instid0(VALU_DEP_1) | instskip(NEXT) | instid1(VALU_DEP_1)
	v_add_f64_e32 v[34:35], v[44:45], v[36:37]
	v_add_f64_e64 v[40:41], v[34:35], -v[44:45]
	s_delay_alu instid0(VALU_DEP_1)
	v_add_f64_e64 v[36:37], v[36:37], -v[40:41]
.LBB247_126:                            ;   in Loop: Header=BB247_4 Depth=1
	s_or_b32 exec_lo, exec_lo, s3
                                        ; implicit-def: $vgpr32
                                        ; implicit-def: $vgpr38_vgpr39
                                        ; implicit-def: $vgpr40_vgpr41
	s_and_saveexec_b32 s3, s2
	s_delay_alu instid0(SALU_CYCLE_1)
	s_xor_b32 s2, exec_lo, s3
	s_cbranch_execz .LBB247_128
; %bb.127:                              ;   in Loop: Header=BB247_4 Depth=1
	v_ldexp_f64 v[38:39], |v[12:13]|, 0xffffff80
	v_cmp_le_f64_e64 vcc_lo, 0x7b000000, |v[12:13]|
	v_trig_preop_f64 v[40:41], |v[12:13]|, 0
	v_and_b32_e32 v21, 0x7fffffff, v13
	v_trig_preop_f64 v[42:43], |v[12:13]|, 1
	v_trig_preop_f64 v[52:53], |v[12:13]|, 2
	s_delay_alu instid0(VALU_DEP_3) | instskip(NEXT) | instid1(VALU_DEP_1)
	v_dual_cndmask_b32 v39, v21, v39 :: v_dual_cndmask_b32 v38, v12, v38
	v_mul_f64_e32 v[44:45], v[40:41], v[38:39]
	s_delay_alu instid0(VALU_DEP_4) | instskip(NEXT) | instid1(VALU_DEP_4)
	v_mul_f64_e32 v[46:47], v[42:43], v[38:39]
	v_mul_f64_e32 v[58:59], v[52:53], v[38:39]
	s_delay_alu instid0(VALU_DEP_3) | instskip(NEXT) | instid1(VALU_DEP_3)
	v_fma_f64 v[40:41], v[40:41], v[38:39], -v[44:45]
	v_fma_f64 v[42:43], v[42:43], v[38:39], -v[46:47]
	s_delay_alu instid0(VALU_DEP_3) | instskip(NEXT) | instid1(VALU_DEP_3)
	v_fma_f64 v[38:39], v[52:53], v[38:39], -v[58:59]
	v_add_f64_e32 v[48:49], v[46:47], v[40:41]
	s_delay_alu instid0(VALU_DEP_1) | instskip(SKIP_1) | instid1(VALU_DEP_2)
	v_add_f64_e64 v[50:51], v[48:49], -v[46:47]
	v_add_f64_e32 v[56:57], v[44:45], v[48:49]
	v_add_f64_e64 v[54:55], v[48:49], -v[50:51]
	v_add_f64_e64 v[40:41], v[40:41], -v[50:51]
	s_delay_alu instid0(VALU_DEP_3) | instskip(NEXT) | instid1(VALU_DEP_3)
	v_ldexp_f64 v[50:51], v[56:57], -2
	v_add_f64_e64 v[46:47], v[46:47], -v[54:55]
	v_add_f64_e32 v[54:55], v[58:59], v[42:43]
	s_delay_alu instid0(VALU_DEP_3) | instskip(NEXT) | instid1(VALU_DEP_3)
	v_cmp_neq_f64_e64 vcc_lo, 0x7ff00000, |v[50:51]|
	v_add_f64_e32 v[40:41], v[40:41], v[46:47]
	v_fract_f64_e32 v[46:47], v[50:51]
	s_delay_alu instid0(VALU_DEP_1) | instskip(NEXT) | instid1(VALU_DEP_1)
	v_ldexp_f64 v[46:47], v[46:47], 2
	v_dual_add_f64 v[44:45], v[56:57], -v[44:45] :: v_dual_cndmask_b32 v46, 0, v46, vcc_lo
	s_delay_alu instid0(VALU_DEP_1) | instskip(SKIP_1) | instid1(VALU_DEP_1)
	v_dual_add_f64 v[44:45], v[48:49], -v[44:45] :: v_dual_cndmask_b32 v47, 0, v47, vcc_lo
	v_add_f64_e32 v[48:49], v[54:55], v[40:41]
	v_add_f64_e32 v[50:51], v[44:45], v[48:49]
	v_add_f64_e64 v[60:61], v[48:49], -v[54:55]
	s_delay_alu instid0(VALU_DEP_2) | instskip(NEXT) | instid1(VALU_DEP_2)
	v_add_f64_e32 v[56:57], v[50:51], v[46:47]
	v_add_f64_e64 v[66:67], v[48:49], -v[60:61]
	v_add_f64_e64 v[40:41], v[40:41], -v[60:61]
	;; [unrolled: 1-line block ×3, first 2 shown]
	s_delay_alu instid0(VALU_DEP_4) | instskip(SKIP_1) | instid1(VALU_DEP_3)
	v_cmp_gt_f64_e32 vcc_lo, 0, v[56:57]
	v_add_f64_e64 v[56:57], v[54:55], -v[58:59]
	v_add_f64_e64 v[44:45], v[48:49], -v[44:45]
	v_cndmask_b32_e64 v21, 0, 0x40100000, vcc_lo
	s_delay_alu instid0(VALU_DEP_3) | instskip(SKIP_2) | instid1(VALU_DEP_4)
	v_add_f64_e64 v[64:65], v[54:55], -v[56:57]
	v_add_f64_e64 v[42:43], v[42:43], -v[56:57]
	;; [unrolled: 1-line block ×3, first 2 shown]
	v_add_f64_e32 v[46:47], v[46:47], v[20:21]
	s_delay_alu instid0(VALU_DEP_4) | instskip(NEXT) | instid1(VALU_DEP_3)
	v_add_f64_e64 v[56:57], v[58:59], -v[64:65]
	v_add_f64_e32 v[40:41], v[40:41], v[54:55]
	s_delay_alu instid0(VALU_DEP_3) | instskip(NEXT) | instid1(VALU_DEP_3)
	v_add_f64_e32 v[62:63], v[50:51], v[46:47]
	v_add_f64_e32 v[42:43], v[42:43], v[56:57]
	s_delay_alu instid0(VALU_DEP_2) | instskip(NEXT) | instid1(VALU_DEP_2)
	v_cvt_i32_f64_e32 v21, v[62:63]
	v_add_f64_e32 v[40:41], v[42:43], v[40:41]
	s_delay_alu instid0(VALU_DEP_2) | instskip(NEXT) | instid1(VALU_DEP_2)
	v_cvt_f64_i32_e32 v[60:61], v21
	v_add_f64_e32 v[38:39], v[38:39], v[40:41]
	s_delay_alu instid0(VALU_DEP_2) | instskip(NEXT) | instid1(VALU_DEP_2)
	v_add_f64_e64 v[46:47], v[46:47], -v[60:61]
	v_add_f64_e32 v[38:39], v[44:45], v[38:39]
	s_delay_alu instid0(VALU_DEP_2) | instskip(NEXT) | instid1(VALU_DEP_1)
	v_add_f64_e32 v[42:43], v[50:51], v[46:47]
	v_add_f64_e64 v[40:41], v[42:43], -v[46:47]
	v_cmp_le_f64_e32 vcc_lo, 0.5, v[42:43]
	s_delay_alu instid0(VALU_DEP_2) | instskip(SKIP_2) | instid1(VALU_DEP_3)
	v_add_f64_e64 v[40:41], v[50:51], -v[40:41]
	v_add_co_ci_u32_e64 v32, null, 0, v21, vcc_lo
	v_cndmask_b32_e64 v21, 0, 0x3ff00000, vcc_lo
	v_add_f64_e32 v[38:39], v[38:39], v[40:41]
	s_delay_alu instid0(VALU_DEP_2) | instskip(NEXT) | instid1(VALU_DEP_1)
	v_add_f64_e64 v[40:41], v[42:43], -v[20:21]
	v_add_f64_e32 v[42:43], v[40:41], v[38:39]
	s_delay_alu instid0(VALU_DEP_1) | instskip(SKIP_1) | instid1(VALU_DEP_2)
	v_mul_f64_e32 v[44:45], 0x3ff921fb54442d18, v[42:43]
	v_add_f64_e64 v[40:41], v[42:43], -v[40:41]
	v_fma_f64 v[46:47], v[42:43], s[18:19], -v[44:45]
	s_delay_alu instid0(VALU_DEP_2) | instskip(NEXT) | instid1(VALU_DEP_2)
	v_add_f64_e64 v[38:39], v[38:39], -v[40:41]
	v_fmac_f64_e32 v[46:47], 0x3c91a62633145c07, v[42:43]
	s_delay_alu instid0(VALU_DEP_1) | instskip(NEXT) | instid1(VALU_DEP_1)
	v_fmac_f64_e32 v[46:47], 0x3ff921fb54442d18, v[38:39]
	v_add_f64_e32 v[38:39], v[44:45], v[46:47]
	s_delay_alu instid0(VALU_DEP_1) | instskip(NEXT) | instid1(VALU_DEP_1)
	v_add_f64_e64 v[40:41], v[38:39], -v[44:45]
	v_add_f64_e64 v[40:41], v[46:47], -v[40:41]
	s_and_not1_saveexec_b32 s2, s2
	s_cbranch_execnz .LBB247_129
	s_branch .LBB247_130
.LBB247_128:                            ;   in Loop: Header=BB247_4 Depth=1
	s_and_not1_saveexec_b32 s2, s2
	s_cbranch_execz .LBB247_130
.LBB247_129:                            ;   in Loop: Header=BB247_4 Depth=1
	v_mul_f64_e64 v[38:39], |v[12:13]|, s[20:21]
	s_delay_alu instid0(VALU_DEP_1) | instskip(NEXT) | instid1(VALU_DEP_1)
	v_rndne_f64_e32 v[42:43], v[38:39]
	v_fma_f64 v[38:39], v[42:43], s[22:23], |v[12:13]|
	v_mul_f64_e32 v[40:41], 0xbc91a62633145c00, v[42:43]
	v_cvt_i32_f64_e32 v32, v[42:43]
	s_delay_alu instid0(VALU_DEP_3) | instskip(NEXT) | instid1(VALU_DEP_3)
	v_fmamk_f64 v[48:49], v[42:43], 0xbc91a62633145c00, v[38:39]
	v_add_f64_e32 v[44:45], v[38:39], v[40:41]
	s_delay_alu instid0(VALU_DEP_1) | instskip(NEXT) | instid1(VALU_DEP_3)
	v_add_f64_e64 v[46:47], v[38:39], -v[44:45]
	v_add_f64_e64 v[38:39], v[44:45], -v[48:49]
	s_delay_alu instid0(VALU_DEP_2) | instskip(SKIP_1) | instid1(VALU_DEP_2)
	v_add_f64_e32 v[44:45], v[46:47], v[40:41]
	v_fmamk_f64 v[40:41], v[42:43], 0x3c91a62633145c00, v[40:41]
	v_add_f64_e32 v[38:39], v[38:39], v[44:45]
	s_delay_alu instid0(VALU_DEP_1) | instskip(NEXT) | instid1(VALU_DEP_1)
	v_add_f64_e64 v[40:41], v[38:39], -v[40:41]
	v_fmac_f64_e32 v[40:41], 0xb97b839a252049c0, v[42:43]
	s_delay_alu instid0(VALU_DEP_1) | instskip(NEXT) | instid1(VALU_DEP_1)
	v_add_f64_e32 v[38:39], v[48:49], v[40:41]
	v_add_f64_e64 v[44:45], v[38:39], -v[48:49]
	s_delay_alu instid0(VALU_DEP_1)
	v_add_f64_e64 v[40:41], v[40:41], -v[44:45]
.LBB247_130:                            ;   in Loop: Header=BB247_4 Depth=1
	s_or_b32 exec_lo, exec_lo, s2
	v_add_f64_e64 v[10:11], -v[10:11], s[26:27]
	v_mul_f64_e32 v[44:45], v[34:35], v[34:35]
	v_mul_f64_e32 v[46:47], v[38:39], v[38:39]
	s_delay_alu instid0(VALU_DEP_4)
	v_mul_f64_e32 v[68:69], 0.5, v[40:41]
	v_cmp_class_f64_e64 s2, v[12:13], 0x1f8
	v_lshlrev_b32_e32 v13, 30, v32
	v_mul_f64_e32 v[42:43], 0x3ff71547652b82fe, v[10:11]
	v_cmp_nlt_f64_e64 s3, 0x40900000, v[10:11]
	v_cmp_ngt_f64_e64 s4, 0xc090cc00, v[10:11]
	s_delay_alu instid0(VALU_DEP_3) | instskip(NEXT) | instid1(VALU_DEP_1)
	v_rndne_f64_e32 v[42:43], v[42:43]
	v_fmamk_f64 v[52:53], v[42:43], 0xbfe62e42fefa39ef, v[10:11]
	v_and_b32_e32 v10, 1, v32
	v_cvt_i32_f64_e32 v21, v[42:43]
	v_mul_f64_e64 v[70:71], v[38:39], -v[46:47]
	v_fmamk_f64 v[74:75], v[46:47], 0x3de5e0b2f9a43bb8, v[28:29]
	s_delay_alu instid0(VALU_DEP_4) | instskip(SKIP_3) | instid1(VALU_DEP_3)
	v_cmp_eq_u32_e64 s5, 0, v10
	v_mul_f64_e32 v[48:49], 0.5, v[44:45]
	v_fmac_f64_e32 v[52:53], 0xbc7abc9e3b39803f, v[42:43]
	v_mul_f64_e32 v[58:59], 0.5, v[36:37]
	v_add_f64_e64 v[54:55], -v[48:49], 1.0
	s_delay_alu instid0(VALU_DEP_3) | instskip(NEXT) | instid1(VALU_DEP_1)
	v_fmamk_f64 v[66:67], v[52:53], 0x3e5ade156a5dcb37, v[24:25]
	v_fmaak_f64 v[66:67], v[52:53], v[66:67], 0x3ec71dee623fde64
	s_delay_alu instid0(VALU_DEP_1) | instskip(NEXT) | instid1(VALU_DEP_1)
	v_fmaak_f64 v[66:67], v[52:53], v[66:67], 0x3efa01997c89e6b0
	v_fmaak_f64 v[66:67], v[52:53], v[66:67], 0x3f2a01a014761f6e
	v_add_f64_e64 v[62:63], -v[54:55], 1.0
	s_delay_alu instid0(VALU_DEP_1) | instskip(NEXT) | instid1(VALU_DEP_3)
	v_add_f64_e64 v[48:49], v[62:63], -v[48:49]
	v_fmaak_f64 v[62:63], v[52:53], v[66:67], 0x3f56c16c1852b7b0
	s_delay_alu instid0(VALU_DEP_1) | instskip(NEXT) | instid1(VALU_DEP_1)
	v_fmaak_f64 v[62:63], v[52:53], v[62:63], 0x3f81111111122322
	v_fmaak_f64 v[62:63], v[52:53], v[62:63], 0x3fa55555555502a1
	s_delay_alu instid0(VALU_DEP_1) | instskip(NEXT) | instid1(VALU_DEP_1)
	v_fmaak_f64 v[62:63], v[52:53], v[62:63], 0x3fc5555555555511
	v_fmaak_f64 v[62:63], v[52:53], v[62:63], 0x3fe000000000000b
	s_delay_alu instid0(VALU_DEP_1) | instskip(NEXT) | instid1(VALU_DEP_1)
	v_fma_f64 v[62:63], v[52:53], v[62:63], 1.0
	v_fma_f64 v[42:43], v[52:53], v[62:63], 1.0
	s_delay_alu instid0(VALU_DEP_1)
	v_ldexp_f64 v[42:43], v[42:43], v21
	v_and_b32_e32 v21, 1, v1
	v_mul_f64_e64 v[60:61], v[34:35], -v[44:45]
	v_fmamk_f64 v[64:65], v[44:45], 0x3de5e0b2f9a43bb8, v[28:29]
	v_mul_f64_e32 v[66:67], v[44:45], v[44:45]
	v_lshlrev_b32_e32 v1, 30, v1
	v_cmp_eq_u32_e32 vcc_lo, 0, v21
	s_delay_alu instid0(VALU_DEP_4) | instskip(NEXT) | instid1(VALU_DEP_1)
	v_fmaak_f64 v[64:65], v[44:45], v[64:65], 0x3ec71de3796cde01
	v_fmaak_f64 v[64:65], v[44:45], v[64:65], 0xbf2a01a019e83e5c
	s_delay_alu instid0(VALU_DEP_1) | instskip(SKIP_1) | instid1(VALU_DEP_2)
	v_fmaak_f64 v[64:65], v[44:45], v[64:65], 0x3f81111111110bb3
	v_cndmask_b32_e64 v12, 0x7ff00000, v43, s3
	v_fmac_f64_e32 v[58:59], v[60:61], v[64:65]
	v_fmaak_f64 v[64:65], v[46:47], v[74:75], 0x3ec71de3796cde01
	s_delay_alu instid0(VALU_DEP_1) | instskip(NEXT) | instid1(VALU_DEP_1)
	v_fmaak_f64 v[64:65], v[46:47], v[64:65], 0xbf2a01a019e83e5c
	v_fmaak_f64 v[64:65], v[46:47], v[64:65], 0x3f81111111110bb3
	s_delay_alu instid0(VALU_DEP_1) | instskip(SKIP_3) | instid1(VALU_DEP_3)
	v_fmac_f64_e32 v[68:69], v[70:71], v[64:65]
	v_fmamk_f64 v[64:65], v[44:45], 0xbda907db46cc5e42, v[26:27]
	v_fma_f64 v[58:59], v[44:45], v[58:59], -v[36:37]
	v_fma_f64 v[36:37], v[34:35], -v[36:37], v[48:49]
	v_fmaak_f64 v[48:49], v[44:45], v[64:65], 0xbe927e4fa17f65f6
	v_mul_f64_e32 v[64:65], v[46:47], v[46:47]
	s_delay_alu instid0(VALU_DEP_2) | instskip(NEXT) | instid1(VALU_DEP_1)
	v_fmaak_f64 v[48:49], v[44:45], v[48:49], 0x3efa01a019f4ec90
	v_fmaak_f64 v[48:49], v[44:45], v[48:49], 0xbf56c16c16c16967
	s_delay_alu instid0(VALU_DEP_1) | instskip(SKIP_2) | instid1(VALU_DEP_3)
	v_fmaak_f64 v[44:45], v[44:45], v[48:49], 0x3fa5555555555555
	v_fma_f64 v[48:49], v[46:47], v[68:69], -v[40:41]
	v_fmac_f64_e32 v[58:59], 0xbfc5555555555555, v[60:61]
	v_fmac_f64_e32 v[36:37], v[66:67], v[44:45]
	s_delay_alu instid0(VALU_DEP_3) | instskip(NEXT) | instid1(VALU_DEP_3)
	v_fmac_f64_e32 v[48:49], 0xbfc5555555555555, v[70:71]
	v_add_f64_e64 v[34:35], v[34:35], -v[58:59]
	s_delay_alu instid0(VALU_DEP_3) | instskip(SKIP_1) | instid1(VALU_DEP_3)
	v_add_f64_e32 v[36:37], v[54:55], v[36:37]
	v_mul_f64_e32 v[50:51], 0.5, v[46:47]
	v_xor_b32_e32 v11, 0x80000000, v35
	s_delay_alu instid0(VALU_DEP_3) | instskip(NEXT) | instid1(VALU_DEP_3)
	v_cndmask_b32_e32 v21, v34, v36, vcc_lo
	v_add_f64_e64 v[56:57], -v[50:51], 1.0
	s_delay_alu instid0(VALU_DEP_3) | instskip(SKIP_2) | instid1(VALU_DEP_2)
	v_cndmask_b32_e32 v10, v11, v37, vcc_lo
	v_xor_b32_e32 v11, v13, v33
	s_and_b32 vcc_lo, s4, s3
	v_bitop3_b32 v1, v10, v1, 0x80000000 bitop3:0x78
	v_cndmask_b32_e64 v10, 0, v21, s2
	v_add_f64_e64 v[72:73], -v[56:57], 1.0
	s_delay_alu instid0(VALU_DEP_1) | instskip(SKIP_1) | instid1(VALU_DEP_2)
	v_add_f64_e64 v[50:51], v[72:73], -v[50:51]
	v_fmamk_f64 v[72:73], v[46:47], 0xbda907db46cc5e42, v[26:27]
	v_fma_f64 v[40:41], v[38:39], -v[40:41], v[50:51]
	s_delay_alu instid0(VALU_DEP_2) | instskip(SKIP_1) | instid1(VALU_DEP_2)
	v_fmaak_f64 v[50:51], v[46:47], v[72:73], 0xbe927e4fa17f65f6
	v_add_f64_e64 v[38:39], v[38:39], -v[48:49]
	v_fmaak_f64 v[44:45], v[46:47], v[50:51], 0x3efa01a019f4ec90
	s_delay_alu instid0(VALU_DEP_1) | instskip(NEXT) | instid1(VALU_DEP_1)
	v_fmaak_f64 v[44:45], v[46:47], v[44:45], 0xbf56c16c16c16967
	v_fmaak_f64 v[44:45], v[46:47], v[44:45], 0x3fa5555555555555
	s_delay_alu instid0(VALU_DEP_1) | instskip(NEXT) | instid1(VALU_DEP_1)
	v_fmac_f64_e32 v[40:41], v[64:65], v[44:45]
	v_add_f64_e32 v[40:41], v[56:57], v[40:41]
	s_delay_alu instid0(VALU_DEP_1) | instskip(SKIP_1) | instid1(VALU_DEP_2)
	v_dual_cndmask_b32 v32, v41, v39, s5 :: v_dual_cndmask_b32 v13, v40, v38, s5
	v_cndmask_b32_e64 v34, 0, v12, s4
	v_bitop3_b32 v21, v32, v11, 0x80000000 bitop3:0x78
	v_cndmask_b32_e64 v11, 0x7ff80000, v1, s2
	s_delay_alu instid0(VALU_DEP_4) | instskip(NEXT) | instid1(VALU_DEP_4)
	v_cndmask_b32_e64 v12, 0, v13, s2
	v_and_or_b32 v33, v34, s36, 0x7fe00000
	v_cndmask_b32_e32 v32, 0, v42, vcc_lo
	v_cndmask_b32_e64 v13, 0x7ff80000, v21, s2
	v_lshrrev_b32_e32 v1, 20, v34
	s_delay_alu instid0(VALU_DEP_3) | instskip(NEXT) | instid1(VALU_DEP_3)
	v_mul_f64_e32 v[10:11], v[32:33], v[10:11]
	v_mul_f64_e32 v[12:13], v[32:33], v[12:13]
	s_delay_alu instid0(VALU_DEP_3) | instskip(NEXT) | instid1(VALU_DEP_1)
	v_add_nc_u32_e32 v1, 0xffffff09, v1
	v_lshrrev_b16 v21, 15, v1
	s_delay_alu instid0(VALU_DEP_1) | instskip(NEXT) | instid1(VALU_DEP_1)
	v_add_nc_u16 v21, v1, v21
	v_ashrrev_i16 v21, 1, v21
	s_delay_alu instid0(VALU_DEP_1) | instskip(NEXT) | instid1(VALU_DEP_1)
	v_bfe_i32 v32, v21, 0, 16
	v_lshl_add_u32 v21, v32, 20, 0x3ff00000
	v_dual_mov_b32 v32, v20 :: v_dual_sub_nc_u32 v1, v1, v32
	s_delay_alu instid0(VALU_DEP_2) | instskip(SKIP_1) | instid1(VALU_DEP_3)
	v_mul_f64_e32 v[10:11], v[10:11], v[20:21]
	v_mul_f64_e32 v[12:13], v[12:13], v[20:21]
	v_lshl_add_u32 v33, v1, 20, 0x3ff00000
	s_delay_alu instid0(VALU_DEP_1) | instskip(NEXT) | instid1(VALU_DEP_3)
	v_mul_f64_e32 v[34:35], v[10:11], v[32:33]
	v_mul_f64_e32 v[32:33], v[12:13], v[32:33]
.LBB247_131:                            ;   in Loop: Header=BB247_4 Depth=1
	s_or_b32 exec_lo, exec_lo, s41
                                        ; implicit-def: $vgpr36_vgpr37
                                        ; implicit-def: $vgpr10_vgpr11
                                        ; implicit-def: $vgpr1
.LBB247_132:                            ;   in Loop: Header=BB247_4 Depth=1
	s_and_not1_saveexec_b32 s3, s40
	s_cbranch_execz .LBB247_138
; %bb.133:                              ;   in Loop: Header=BB247_4 Depth=1
	v_add_f64_e64 v[32:33], v[12:13], -v[12:13]
	v_cmp_ne_u32_e32 vcc_lo, 0, v10
	v_cmp_ne_u32_e64 s2, 0x7ff00000, v1
	s_or_b32 s2, vcc_lo, s2
	s_delay_alu instid0(SALU_CYCLE_1) | instskip(NEXT) | instid1(SALU_CYCLE_1)
	s_and_saveexec_b32 s4, s2
	s_xor_b32 s2, exec_lo, s4
; %bb.134:                              ;   in Loop: Header=BB247_4 Depth=1
                                        ; implicit-def: $vgpr36_vgpr37
                                        ; implicit-def: $vgpr10_vgpr11
; %bb.135:                              ;   in Loop: Header=BB247_4 Depth=1
	s_delay_alu instid0(SALU_CYCLE_1)
	s_or_saveexec_b32 s2, s2
	v_mov_b64_e32 v[34:35], v[32:33]
	s_xor_b32 exec_lo, exec_lo, s2
; %bb.136:                              ;   in Loop: Header=BB247_4 Depth=1
	v_cmp_lt_i64_e32 vcc_lo, -1, v[36:37]
	v_dual_cndmask_b32 v35, 0, v37 :: v_dual_cndmask_b32 v34, 0, v10
	v_dual_cndmask_b32 v33, 0, v33 :: v_dual_cndmask_b32 v32, 0, v32
; %bb.137:                              ;   in Loop: Header=BB247_4 Depth=1
	s_or_b32 exec_lo, exec_lo, s2
.LBB247_138:                            ;   in Loop: Header=BB247_4 Depth=1
	s_delay_alu instid0(SALU_CYCLE_1)
	s_or_b32 exec_lo, exec_lo, s3
                                        ; implicit-def: $vgpr12_vgpr13
.LBB247_139:                            ;   in Loop: Header=BB247_4 Depth=1
	s_and_not1_saveexec_b32 s4, s39
	s_cbranch_execz .LBB247_149
; %bb.140:                              ;   in Loop: Header=BB247_4 Depth=1
	v_cmp_ngt_f64_e64 s2, 0x41d00000, |v[12:13]|
	v_trig_preop_f64 v[40:41], |v[12:13]|, 0
	v_trig_preop_f64 v[38:39], |v[12:13]|, 1
	v_ldexp_f64 v[42:43], |v[12:13]|, 0xffffff80
	v_trig_preop_f64 v[36:37], |v[12:13]|, 2
	v_and_b32_e32 v32, 0x7fffffff, v13
                                        ; implicit-def: $vgpr1
                                        ; implicit-def: $vgpr10_vgpr11
                                        ; implicit-def: $vgpr34_vgpr35
	s_and_saveexec_b32 s3, s2
	s_delay_alu instid0(SALU_CYCLE_1)
	s_xor_b32 s3, exec_lo, s3
	s_cbranch_execz .LBB247_142
; %bb.141:                              ;   in Loop: Header=BB247_4 Depth=1
	v_cmp_le_f64_e64 vcc_lo, 0x7b000000, |v[12:13]|
	s_delay_alu instid0(VALU_DEP_4) | instskip(SKIP_1) | instid1(VALU_DEP_1)
	v_cndmask_b32_e32 v11, v32, v43, vcc_lo
	v_cndmask_b32_e32 v10, v12, v42, vcc_lo
	v_mul_f64_e32 v[34:35], v[40:41], v[10:11]
	v_mul_f64_e32 v[44:45], v[38:39], v[10:11]
	s_delay_alu instid0(VALU_DEP_2) | instskip(NEXT) | instid1(VALU_DEP_1)
	v_fma_f64 v[46:47], v[40:41], v[10:11], -v[34:35]
	v_add_f64_e32 v[48:49], v[44:45], v[46:47]
	s_delay_alu instid0(VALU_DEP_1) | instskip(SKIP_2) | instid1(VALU_DEP_3)
	v_add_f64_e64 v[50:51], v[48:49], -v[44:45]
	v_add_f64_e32 v[54:55], v[34:35], v[48:49]
	v_fma_f64 v[58:59], v[38:39], v[10:11], -v[44:45]
	v_add_f64_e64 v[52:53], v[48:49], -v[50:51]
	v_add_f64_e64 v[46:47], v[46:47], -v[50:51]
	s_delay_alu instid0(VALU_DEP_4) | instskip(SKIP_1) | instid1(VALU_DEP_2)
	v_ldexp_f64 v[50:51], v[54:55], -2
	v_add_f64_e64 v[34:35], v[54:55], -v[34:35]
	v_cmp_neq_f64_e64 vcc_lo, 0x7ff00000, |v[50:51]|
	v_add_f64_e64 v[44:45], v[44:45], -v[52:53]
	s_delay_alu instid0(VALU_DEP_3) | instskip(NEXT) | instid1(VALU_DEP_2)
	v_add_f64_e64 v[34:35], v[48:49], -v[34:35]
	v_add_f64_e32 v[44:45], v[46:47], v[44:45]
	v_mul_f64_e32 v[56:57], v[36:37], v[10:11]
	v_fract_f64_e32 v[46:47], v[50:51]
	s_delay_alu instid0(VALU_DEP_2) | instskip(NEXT) | instid1(VALU_DEP_2)
	v_add_f64_e32 v[52:53], v[56:57], v[58:59]
	v_ldexp_f64 v[46:47], v[46:47], 2
	v_fma_f64 v[10:11], v[36:37], v[10:11], -v[56:57]
	s_delay_alu instid0(VALU_DEP_2) | instskip(NEXT) | instid1(VALU_DEP_1)
	v_dual_add_f64 v[48:49], v[52:53], v[44:45] :: v_dual_cndmask_b32 v47, 0, v47, vcc_lo
	v_dual_add_f64 v[50:51], v[34:35], v[48:49] :: v_dual_cndmask_b32 v46, 0, v46, vcc_lo
	v_add_f64_e64 v[60:61], v[48:49], -v[52:53]
	s_delay_alu instid0(VALU_DEP_2) | instskip(NEXT) | instid1(VALU_DEP_2)
	v_add_f64_e32 v[54:55], v[50:51], v[46:47]
	v_add_f64_e64 v[66:67], v[48:49], -v[60:61]
	v_add_f64_e64 v[44:45], v[44:45], -v[60:61]
	;; [unrolled: 1-line block ×3, first 2 shown]
	s_delay_alu instid0(VALU_DEP_4) | instskip(SKIP_1) | instid1(VALU_DEP_3)
	v_cmp_gt_f64_e32 vcc_lo, 0, v[54:55]
	v_add_f64_e64 v[54:55], v[52:53], -v[56:57]
	v_add_f64_e64 v[34:35], v[48:49], -v[34:35]
	v_cndmask_b32_e64 v21, 0, 0x40100000, vcc_lo
	s_delay_alu instid0(VALU_DEP_3) | instskip(SKIP_2) | instid1(VALU_DEP_4)
	v_add_f64_e64 v[64:65], v[52:53], -v[54:55]
	v_add_f64_e64 v[54:55], v[58:59], -v[54:55]
	;; [unrolled: 1-line block ×3, first 2 shown]
	v_add_f64_e32 v[46:47], v[46:47], v[20:21]
	s_delay_alu instid0(VALU_DEP_4) | instskip(NEXT) | instid1(VALU_DEP_3)
	v_add_f64_e64 v[58:59], v[56:57], -v[64:65]
	v_add_f64_e32 v[44:45], v[44:45], v[52:53]
	s_delay_alu instid0(VALU_DEP_3) | instskip(NEXT) | instid1(VALU_DEP_3)
	v_add_f64_e32 v[62:63], v[50:51], v[46:47]
	v_add_f64_e32 v[54:55], v[54:55], v[58:59]
	s_delay_alu instid0(VALU_DEP_2) | instskip(NEXT) | instid1(VALU_DEP_2)
	v_cvt_i32_f64_e32 v1, v[62:63]
	v_add_f64_e32 v[44:45], v[54:55], v[44:45]
	s_delay_alu instid0(VALU_DEP_2) | instskip(NEXT) | instid1(VALU_DEP_2)
	v_cvt_f64_i32_e32 v[60:61], v1
	v_add_f64_e32 v[10:11], v[10:11], v[44:45]
	s_delay_alu instid0(VALU_DEP_2) | instskip(NEXT) | instid1(VALU_DEP_2)
	v_add_f64_e64 v[46:47], v[46:47], -v[60:61]
	v_add_f64_e32 v[10:11], v[34:35], v[10:11]
	s_delay_alu instid0(VALU_DEP_2) | instskip(NEXT) | instid1(VALU_DEP_1)
	v_add_f64_e32 v[52:53], v[50:51], v[46:47]
	v_add_f64_e64 v[44:45], v[52:53], -v[46:47]
	v_cmp_le_f64_e32 vcc_lo, 0.5, v[52:53]
	s_delay_alu instid0(VALU_DEP_2) | instskip(SKIP_2) | instid1(VALU_DEP_3)
	v_add_f64_e64 v[34:35], v[50:51], -v[44:45]
	v_cndmask_b32_e64 v21, 0, 0x3ff00000, vcc_lo
	v_add_co_ci_u32_e64 v1, null, 0, v1, vcc_lo
	v_add_f64_e32 v[10:11], v[10:11], v[34:35]
	s_delay_alu instid0(VALU_DEP_3) | instskip(NEXT) | instid1(VALU_DEP_1)
	v_add_f64_e64 v[34:35], v[52:53], -v[20:21]
	v_add_f64_e32 v[44:45], v[34:35], v[10:11]
	s_delay_alu instid0(VALU_DEP_1) | instskip(SKIP_1) | instid1(VALU_DEP_2)
	v_mul_f64_e32 v[46:47], 0x3ff921fb54442d18, v[44:45]
	v_add_f64_e64 v[34:35], v[44:45], -v[34:35]
	v_fma_f64 v[48:49], v[44:45], s[18:19], -v[46:47]
	s_delay_alu instid0(VALU_DEP_2) | instskip(NEXT) | instid1(VALU_DEP_2)
	v_add_f64_e64 v[10:11], v[10:11], -v[34:35]
	v_fmac_f64_e32 v[48:49], 0x3c91a62633145c07, v[44:45]
	s_delay_alu instid0(VALU_DEP_1) | instskip(NEXT) | instid1(VALU_DEP_1)
	v_fmac_f64_e32 v[48:49], 0x3ff921fb54442d18, v[10:11]
	v_add_f64_e32 v[10:11], v[46:47], v[48:49]
	s_delay_alu instid0(VALU_DEP_1) | instskip(NEXT) | instid1(VALU_DEP_1)
	v_add_f64_e64 v[34:35], v[10:11], -v[46:47]
	v_add_f64_e64 v[34:35], v[48:49], -v[34:35]
.LBB247_142:                            ;   in Loop: Header=BB247_4 Depth=1
	s_or_saveexec_b32 s3, s3
	v_mul_f64_e64 v[44:45], |v[12:13]|, s[20:21]
	s_delay_alu instid0(VALU_DEP_1)
	v_rndne_f64_e32 v[48:49], v[44:45]
	s_xor_b32 exec_lo, exec_lo, s3
	s_cbranch_execz .LBB247_144
; %bb.143:                              ;   in Loop: Header=BB247_4 Depth=1
	s_delay_alu instid0(VALU_DEP_1) | instskip(SKIP_2) | instid1(VALU_DEP_3)
	v_fma_f64 v[10:11], v[48:49], s[22:23], |v[12:13]|
	v_mul_f64_e32 v[34:35], 0xbc91a62633145c00, v[48:49]
	v_cvt_i32_f64_e32 v1, v[48:49]
	v_fmamk_f64 v[50:51], v[48:49], 0xbc91a62633145c00, v[10:11]
	s_delay_alu instid0(VALU_DEP_3) | instskip(NEXT) | instid1(VALU_DEP_1)
	v_add_f64_e32 v[44:45], v[10:11], v[34:35]
	v_add_f64_e64 v[46:47], v[10:11], -v[44:45]
	s_delay_alu instid0(VALU_DEP_3) | instskip(NEXT) | instid1(VALU_DEP_2)
	v_add_f64_e64 v[10:11], v[44:45], -v[50:51]
	v_add_f64_e32 v[44:45], v[46:47], v[34:35]
	v_fmamk_f64 v[34:35], v[48:49], 0x3c91a62633145c00, v[34:35]
	s_delay_alu instid0(VALU_DEP_2) | instskip(NEXT) | instid1(VALU_DEP_1)
	v_add_f64_e32 v[10:11], v[10:11], v[44:45]
	v_add_f64_e64 v[34:35], v[10:11], -v[34:35]
	s_delay_alu instid0(VALU_DEP_1) | instskip(NEXT) | instid1(VALU_DEP_1)
	v_fmac_f64_e32 v[34:35], 0xb97b839a252049c0, v[48:49]
	v_add_f64_e32 v[10:11], v[50:51], v[34:35]
	s_delay_alu instid0(VALU_DEP_1) | instskip(NEXT) | instid1(VALU_DEP_1)
	v_add_f64_e64 v[44:45], v[10:11], -v[50:51]
	v_add_f64_e64 v[34:35], v[34:35], -v[44:45]
.LBB247_144:                            ;   in Loop: Header=BB247_4 Depth=1
	s_or_b32 exec_lo, exec_lo, s3
                                        ; implicit-def: $vgpr50
                                        ; implicit-def: $vgpr44_vgpr45
                                        ; implicit-def: $vgpr46_vgpr47
	s_and_saveexec_b32 s3, s2
	s_delay_alu instid0(SALU_CYCLE_1)
	s_xor_b32 s2, exec_lo, s3
	s_cbranch_execz .LBB247_146
; %bb.145:                              ;   in Loop: Header=BB247_4 Depth=1
	v_cmp_le_f64_e64 vcc_lo, 0x7b000000, |v[12:13]|
	v_cndmask_b32_e32 v43, v32, v43, vcc_lo
	v_cndmask_b32_e32 v42, v12, v42, vcc_lo
	s_delay_alu instid0(VALU_DEP_1) | instskip(SKIP_1) | instid1(VALU_DEP_2)
	v_mul_f64_e32 v[44:45], v[40:41], v[42:43]
	v_mul_f64_e32 v[46:47], v[38:39], v[42:43]
	v_fma_f64 v[40:41], v[40:41], v[42:43], -v[44:45]
	s_delay_alu instid0(VALU_DEP_1) | instskip(SKIP_1) | instid1(VALU_DEP_2)
	v_add_f64_e32 v[48:49], v[46:47], v[40:41]
	v_fma_f64 v[38:39], v[38:39], v[42:43], -v[46:47]
	v_add_f64_e64 v[50:51], v[48:49], -v[46:47]
	v_add_f64_e32 v[54:55], v[44:45], v[48:49]
	s_delay_alu instid0(VALU_DEP_2) | instskip(SKIP_1) | instid1(VALU_DEP_3)
	v_add_f64_e64 v[52:53], v[48:49], -v[50:51]
	v_add_f64_e64 v[40:41], v[40:41], -v[50:51]
	v_ldexp_f64 v[50:51], v[54:55], -2
	s_delay_alu instid0(VALU_DEP_3) | instskip(SKIP_1) | instid1(VALU_DEP_3)
	v_add_f64_e64 v[46:47], v[46:47], -v[52:53]
	v_mul_f64_e32 v[56:57], v[36:37], v[42:43]
	v_cmp_neq_f64_e64 vcc_lo, 0x7ff00000, |v[50:51]|
	s_delay_alu instid0(VALU_DEP_3) | instskip(SKIP_1) | instid1(VALU_DEP_4)
	v_add_f64_e32 v[40:41], v[40:41], v[46:47]
	v_fract_f64_e32 v[46:47], v[50:51]
	v_add_f64_e32 v[52:53], v[56:57], v[38:39]
	v_fma_f64 v[36:37], v[36:37], v[42:43], -v[56:57]
	s_delay_alu instid0(VALU_DEP_3) | instskip(NEXT) | instid1(VALU_DEP_1)
	v_ldexp_f64 v[46:47], v[46:47], 2
	v_dual_add_f64 v[44:45], v[54:55], -v[44:45] :: v_dual_cndmask_b32 v47, 0, v47, vcc_lo
	s_delay_alu instid0(VALU_DEP_1) | instskip(SKIP_1) | instid1(VALU_DEP_1)
	v_dual_add_f64 v[44:45], v[48:49], -v[44:45] :: v_dual_cndmask_b32 v46, 0, v46, vcc_lo
	v_add_f64_e32 v[48:49], v[52:53], v[40:41]
	v_add_f64_e32 v[50:51], v[44:45], v[48:49]
	v_add_f64_e64 v[58:59], v[48:49], -v[52:53]
	s_delay_alu instid0(VALU_DEP_2) | instskip(NEXT) | instid1(VALU_DEP_2)
	v_add_f64_e32 v[54:55], v[50:51], v[46:47]
	v_add_f64_e64 v[64:65], v[48:49], -v[58:59]
	v_add_f64_e64 v[40:41], v[40:41], -v[58:59]
	;; [unrolled: 1-line block ×3, first 2 shown]
	s_delay_alu instid0(VALU_DEP_4) | instskip(SKIP_1) | instid1(VALU_DEP_3)
	v_cmp_gt_f64_e32 vcc_lo, 0, v[54:55]
	v_add_f64_e64 v[54:55], v[52:53], -v[56:57]
	v_add_f64_e64 v[42:43], v[48:49], -v[42:43]
                                        ; implicit-def: $vgpr48_vgpr49
	v_cndmask_b32_e64 v21, 0, 0x40100000, vcc_lo
	s_delay_alu instid0(VALU_DEP_3) | instskip(SKIP_2) | instid1(VALU_DEP_4)
	v_add_f64_e64 v[62:63], v[52:53], -v[54:55]
	v_add_f64_e64 v[38:39], v[38:39], -v[54:55]
	;; [unrolled: 1-line block ×3, first 2 shown]
	v_add_f64_e32 v[46:47], v[46:47], v[20:21]
	s_delay_alu instid0(VALU_DEP_4) | instskip(NEXT) | instid1(VALU_DEP_3)
	v_add_f64_e64 v[54:55], v[56:57], -v[62:63]
	v_add_f64_e32 v[40:41], v[40:41], v[52:53]
	s_delay_alu instid0(VALU_DEP_3) | instskip(NEXT) | instid1(VALU_DEP_3)
	v_add_f64_e32 v[60:61], v[50:51], v[46:47]
	v_add_f64_e32 v[38:39], v[38:39], v[54:55]
	s_delay_alu instid0(VALU_DEP_2) | instskip(NEXT) | instid1(VALU_DEP_2)
	v_cvt_i32_f64_e32 v21, v[60:61]
	v_add_f64_e32 v[38:39], v[38:39], v[40:41]
	s_delay_alu instid0(VALU_DEP_2) | instskip(NEXT) | instid1(VALU_DEP_2)
	v_cvt_f64_i32_e32 v[58:59], v21
	v_add_f64_e32 v[36:37], v[36:37], v[38:39]
	s_delay_alu instid0(VALU_DEP_2) | instskip(NEXT) | instid1(VALU_DEP_2)
	v_add_f64_e64 v[46:47], v[46:47], -v[58:59]
	v_add_f64_e32 v[36:37], v[42:43], v[36:37]
	s_delay_alu instid0(VALU_DEP_2) | instskip(NEXT) | instid1(VALU_DEP_1)
	v_add_f64_e32 v[40:41], v[50:51], v[46:47]
	v_add_f64_e64 v[38:39], v[40:41], -v[46:47]
	v_cmp_le_f64_e32 vcc_lo, 0.5, v[40:41]
	s_delay_alu instid0(VALU_DEP_2) | instskip(SKIP_2) | instid1(VALU_DEP_3)
	v_add_f64_e64 v[38:39], v[50:51], -v[38:39]
	v_add_co_ci_u32_e64 v50, null, 0, v21, vcc_lo
	v_cndmask_b32_e64 v21, 0, 0x3ff00000, vcc_lo
	v_add_f64_e32 v[36:37], v[36:37], v[38:39]
	s_delay_alu instid0(VALU_DEP_2) | instskip(NEXT) | instid1(VALU_DEP_1)
	v_add_f64_e64 v[38:39], v[40:41], -v[20:21]
	v_add_f64_e32 v[40:41], v[38:39], v[36:37]
	s_delay_alu instid0(VALU_DEP_1) | instskip(SKIP_1) | instid1(VALU_DEP_2)
	v_mul_f64_e32 v[42:43], 0x3ff921fb54442d18, v[40:41]
	v_add_f64_e64 v[38:39], v[40:41], -v[38:39]
	v_fma_f64 v[46:47], v[40:41], s[18:19], -v[42:43]
	s_delay_alu instid0(VALU_DEP_2) | instskip(NEXT) | instid1(VALU_DEP_2)
	v_add_f64_e64 v[36:37], v[36:37], -v[38:39]
	v_fmac_f64_e32 v[46:47], 0x3c91a62633145c07, v[40:41]
	s_delay_alu instid0(VALU_DEP_1) | instskip(NEXT) | instid1(VALU_DEP_1)
	v_fmac_f64_e32 v[46:47], 0x3ff921fb54442d18, v[36:37]
	v_add_f64_e32 v[44:45], v[42:43], v[46:47]
	s_delay_alu instid0(VALU_DEP_1) | instskip(NEXT) | instid1(VALU_DEP_1)
	v_add_f64_e64 v[36:37], v[44:45], -v[42:43]
	v_add_f64_e64 v[46:47], v[46:47], -v[36:37]
	s_and_not1_saveexec_b32 s2, s2
	s_cbranch_execnz .LBB247_147
	s_branch .LBB247_148
.LBB247_146:                            ;   in Loop: Header=BB247_4 Depth=1
	s_and_not1_saveexec_b32 s2, s2
	s_cbranch_execz .LBB247_148
.LBB247_147:                            ;   in Loop: Header=BB247_4 Depth=1
	s_delay_alu instid0(VALU_DEP_1) | instskip(SKIP_2) | instid1(VALU_DEP_2)
	v_fma_f64 v[36:37], v[48:49], s[22:23], |v[12:13]|
	v_mul_f64_e32 v[38:39], 0xbc91a62633145c00, v[48:49]
	v_cvt_i32_f64_e32 v50, v[48:49]
	v_add_f64_e32 v[40:41], v[36:37], v[38:39]
	s_delay_alu instid0(VALU_DEP_1) | instskip(SKIP_1) | instid1(VALU_DEP_1)
	v_add_f64_e64 v[42:43], v[36:37], -v[40:41]
	v_fmamk_f64 v[36:37], v[48:49], 0xbc91a62633145c00, v[36:37]
	v_add_f64_e64 v[40:41], v[40:41], -v[36:37]
	s_delay_alu instid0(VALU_DEP_3) | instskip(SKIP_1) | instid1(VALU_DEP_2)
	v_add_f64_e32 v[42:43], v[42:43], v[38:39]
	v_fmamk_f64 v[38:39], v[48:49], 0x3c91a62633145c00, v[38:39]
	v_add_f64_e32 v[40:41], v[40:41], v[42:43]
	s_delay_alu instid0(VALU_DEP_1) | instskip(NEXT) | instid1(VALU_DEP_1)
	v_add_f64_e64 v[38:39], v[40:41], -v[38:39]
	v_fmac_f64_e32 v[38:39], 0xb97b839a252049c0, v[48:49]
	s_delay_alu instid0(VALU_DEP_1) | instskip(NEXT) | instid1(VALU_DEP_1)
	v_add_f64_e32 v[44:45], v[36:37], v[38:39]
	v_add_f64_e64 v[36:37], v[44:45], -v[36:37]
	s_delay_alu instid0(VALU_DEP_1)
	v_add_f64_e64 v[46:47], v[38:39], -v[36:37]
.LBB247_148:                            ;   in Loop: Header=BB247_4 Depth=1
	s_or_b32 exec_lo, exec_lo, s2
	v_dual_mul_f64 v[36:37], v[10:11], v[10:11] :: v_dual_bitop2_b32 v21, 1, v1 bitop3:0x40
	v_cmp_class_f64_e64 s2, v[12:13], 0x1f8
	v_lshlrev_b32_e32 v13, 30, v50
	s_delay_alu instid0(VALU_DEP_4) | instskip(SKIP_3) | instid1(VALU_DEP_3)
	v_mul_f64_e32 v[54:55], 0.5, v[34:35]
	v_and_b32_e32 v12, 1, v50
	v_cmp_eq_u32_e32 vcc_lo, 0, v21
	v_lshlrev_b32_e32 v1, 30, v1
	v_cmp_eq_u32_e64 s3, 0, v12
	v_dual_mul_f64 v[62:63], 0.5, v[46:47] :: v_dual_bitop2_b32 v12, v13, v33 bitop3:0x14
	v_mul_f64_e32 v[40:41], 0.5, v[36:37]
	v_mul_f64_e64 v[56:57], v[10:11], -v[36:37]
	v_fmamk_f64 v[60:61], v[36:37], 0x3de5e0b2f9a43bb8, v[28:29]
	s_delay_alu instid0(VALU_DEP_1) | instskip(NEXT) | instid1(VALU_DEP_1)
	v_fmaak_f64 v[60:61], v[36:37], v[60:61], 0x3ec71de3796cde01
	v_fmaak_f64 v[60:61], v[36:37], v[60:61], 0xbf2a01a019e83e5c
	s_delay_alu instid0(VALU_DEP_1) | instskip(SKIP_1) | instid1(VALU_DEP_2)
	v_fmaak_f64 v[60:61], v[36:37], v[60:61], 0x3f81111111110bb3
	v_add_f64_e64 v[48:49], -v[40:41], 1.0
	v_fmac_f64_e32 v[54:55], v[56:57], v[60:61]
	s_delay_alu instid0(VALU_DEP_2) | instskip(NEXT) | instid1(VALU_DEP_2)
	v_add_f64_e64 v[58:59], -v[48:49], 1.0
	v_fma_f64 v[54:55], v[36:37], v[54:55], -v[34:35]
	s_delay_alu instid0(VALU_DEP_2) | instskip(NEXT) | instid1(VALU_DEP_2)
	v_add_f64_e64 v[40:41], v[58:59], -v[40:41]
	v_fmac_f64_e32 v[54:55], 0xbfc5555555555555, v[56:57]
	s_delay_alu instid0(VALU_DEP_2) | instskip(NEXT) | instid1(VALU_DEP_2)
	v_fma_f64 v[34:35], v[10:11], -v[34:35], v[40:41]
	v_add_f64_e64 v[10:11], v[10:11], -v[54:55]
	v_mul_f64_e32 v[38:39], v[44:45], v[44:45]
	s_delay_alu instid0(VALU_DEP_2) | instskip(NEXT) | instid1(VALU_DEP_2)
	v_xor_b32_e32 v11, 0x80000000, v11
	v_mul_f64_e64 v[64:65], v[44:45], -v[38:39]
	v_fmamk_f64 v[68:69], v[38:39], 0x3de5e0b2f9a43bb8, v[28:29]
	v_mul_f64_e32 v[60:61], v[36:37], v[36:37]
	s_delay_alu instid0(VALU_DEP_2) | instskip(NEXT) | instid1(VALU_DEP_1)
	v_fmaak_f64 v[58:59], v[38:39], v[68:69], 0x3ec71de3796cde01
	v_fmaak_f64 v[58:59], v[38:39], v[58:59], 0xbf2a01a019e83e5c
	s_delay_alu instid0(VALU_DEP_1) | instskip(NEXT) | instid1(VALU_DEP_1)
	v_fmaak_f64 v[58:59], v[38:39], v[58:59], 0x3f81111111110bb3
	v_fmac_f64_e32 v[62:63], v[64:65], v[58:59]
	v_fmamk_f64 v[58:59], v[36:37], 0xbda907db46cc5e42, v[26:27]
	s_delay_alu instid0(VALU_DEP_1) | instskip(NEXT) | instid1(VALU_DEP_1)
	v_fmaak_f64 v[40:41], v[36:37], v[58:59], 0xbe927e4fa17f65f6
	v_fmaak_f64 v[40:41], v[36:37], v[40:41], 0x3efa01a019f4ec90
	s_delay_alu instid0(VALU_DEP_1) | instskip(NEXT) | instid1(VALU_DEP_1)
	v_fmaak_f64 v[40:41], v[36:37], v[40:41], 0xbf56c16c16c16967
	v_fmaak_f64 v[36:37], v[36:37], v[40:41], 0x3fa5555555555555
	s_delay_alu instid0(VALU_DEP_1) | instskip(NEXT) | instid1(VALU_DEP_1)
	v_fmac_f64_e32 v[34:35], v[60:61], v[36:37]
	v_add_f64_e32 v[34:35], v[48:49], v[34:35]
	s_delay_alu instid0(VALU_DEP_1) | instskip(SKIP_3) | instid1(VALU_DEP_4)
	v_cndmask_b32_e32 v10, v10, v34, vcc_lo
	v_mul_f64_e32 v[42:43], 0.5, v[38:39]
	v_fmamk_f64 v[58:59], v[38:39], 0xbda907db46cc5e42, v[26:27]
	v_fma_f64 v[62:63], v[38:39], v[62:63], -v[46:47]
	v_dual_cndmask_b32 v11, v11, v35, vcc_lo :: v_dual_cndmask_b32 v34, 0, v10, s2
	s_delay_alu instid0(VALU_DEP_3) | instskip(NEXT) | instid1(VALU_DEP_2)
	v_fmaak_f64 v[40:41], v[38:39], v[58:59], 0xbe927e4fa17f65f6
	v_bitop3_b32 v1, v11, v1, 0x80000000 bitop3:0x78
	s_delay_alu instid0(VALU_DEP_1) | instskip(NEXT) | instid1(VALU_DEP_3)
	v_cndmask_b32_e64 v35, 0x7ff80000, v1, s2
	v_fmaak_f64 v[36:37], v[38:39], v[40:41], 0x3efa01a019f4ec90
	s_delay_alu instid0(VALU_DEP_1) | instskip(NEXT) | instid1(VALU_DEP_1)
	v_fmaak_f64 v[36:37], v[38:39], v[36:37], 0xbf56c16c16c16967
	v_fmaak_f64 v[36:37], v[38:39], v[36:37], 0x3fa5555555555555
	v_add_f64_e64 v[52:53], -v[42:43], 1.0
	v_fmac_f64_e32 v[62:63], 0xbfc5555555555555, v[64:65]
	s_delay_alu instid0(VALU_DEP_2) | instskip(NEXT) | instid1(VALU_DEP_1)
	v_add_f64_e64 v[66:67], -v[52:53], 1.0
	v_add_f64_e64 v[42:43], v[66:67], -v[42:43]
	v_mul_f64_e32 v[66:67], v[38:39], v[38:39]
	s_delay_alu instid0(VALU_DEP_2) | instskip(NEXT) | instid1(VALU_DEP_1)
	v_fma_f64 v[42:43], v[44:45], -v[46:47], v[42:43]
	v_fmac_f64_e32 v[42:43], v[66:67], v[36:37]
	v_add_f64_e64 v[36:37], v[44:45], -v[62:63]
	s_delay_alu instid0(VALU_DEP_2) | instskip(NEXT) | instid1(VALU_DEP_1)
	v_add_f64_e32 v[38:39], v[52:53], v[42:43]
	v_dual_cndmask_b32 v21, v39, v37, s3 :: v_dual_cndmask_b32 v13, v38, v36, s3
	s_delay_alu instid0(VALU_DEP_1) | instskip(NEXT) | instid1(VALU_DEP_2)
	v_bitop3_b32 v11, v21, v12, 0x80000000 bitop3:0x78
	v_cndmask_b32_e64 v32, 0, v13, s2
	s_delay_alu instid0(VALU_DEP_2)
	v_cndmask_b32_e64 v33, 0x7ff80000, v11, s2
.LBB247_149:                            ;   in Loop: Header=BB247_4 Depth=1
	s_or_b32 exec_lo, exec_lo, s4
                                        ; implicit-def: $vgpr10_vgpr11
.LBB247_150:                            ;   in Loop: Header=BB247_4 Depth=1
	s_and_not1_saveexec_b32 s3, s38
	s_cbranch_execz .LBB247_152
; %bb.151:                              ;   in Loop: Header=BB247_4 Depth=1
	v_mul_f64_e32 v[12:13], 0xbff71547652b82fe, v[10:11]
	v_cmp_ngt_f64_e32 vcc_lo, 0xc0900000, v[10:11]
	v_cmp_nlt_f64_e64 s2, 0x4090cc00, v[10:11]
	s_delay_alu instid0(VALU_DEP_3) | instskip(NEXT) | instid1(VALU_DEP_1)
	v_rndne_f64_e32 v[12:13], v[12:13]
	v_fma_f64 v[34:35], v[12:13], s[24:25], -v[10:11]
	v_cvt_i32_f64_e32 v1, v[12:13]
	s_delay_alu instid0(VALU_DEP_2) | instskip(NEXT) | instid1(VALU_DEP_1)
	v_fmac_f64_e32 v[34:35], 0xbc7abc9e3b39803f, v[12:13]
	v_fmamk_f64 v[36:37], v[34:35], 0x3e5ade156a5dcb37, v[24:25]
	s_delay_alu instid0(VALU_DEP_1) | instskip(NEXT) | instid1(VALU_DEP_1)
	v_fmaak_f64 v[36:37], v[34:35], v[36:37], 0x3ec71dee623fde64
	v_fmaak_f64 v[36:37], v[34:35], v[36:37], 0x3efa01997c89e6b0
	s_delay_alu instid0(VALU_DEP_1) | instskip(NEXT) | instid1(VALU_DEP_1)
	v_fmaak_f64 v[36:37], v[34:35], v[36:37], 0x3f2a01a014761f6e
	v_fmaak_f64 v[36:37], v[34:35], v[36:37], 0x3f56c16c1852b7b0
	;; [unrolled: 3-line block ×4, first 2 shown]
	s_delay_alu instid0(VALU_DEP_1) | instskip(NEXT) | instid1(VALU_DEP_1)
	v_fma_f64 v[36:37], v[34:35], v[36:37], 1.0
	v_fma_f64 v[12:13], v[34:35], v[36:37], 1.0
	s_delay_alu instid0(VALU_DEP_1) | instskip(NEXT) | instid1(VALU_DEP_1)
	v_ldexp_f64 v[12:13], v[12:13], v1
	v_cndmask_b32_e32 v1, 0x7ff00000, v13, vcc_lo
	s_and_b32 vcc_lo, s2, vcc_lo
	s_delay_alu instid0(VALU_DEP_1) | instid1(SALU_CYCLE_1)
	v_dual_cndmask_b32 v34, 0, v12, vcc_lo :: v_dual_cndmask_b32 v35, 0, v1, s2
.LBB247_152:                            ;   in Loop: Header=BB247_4 Depth=1
	s_or_b32 exec_lo, exec_lo, s3
	s_delay_alu instid0(VALU_DEP_1) | instskip(NEXT) | instid1(VALU_DEP_2)
	v_add_f64_e32 v[32:33], s[10:11], v[32:33]
	v_add_f64_e32 v[34:35], s[8:9], v[34:35]
	s_mov_b32 s2, exec_lo
	s_delay_alu instid0(VALU_DEP_2) | instskip(NEXT) | instid1(VALU_DEP_2)
	v_mov_b32_e32 v38, v32
	v_cmp_gt_f64_e32 vcc_lo, 0, v[34:35]
	v_xor_b32_e32 v1, 0x80000000, v35
	v_mov_b32_e32 v36, v34
	v_xor_b32_e32 v10, 0x80000000, v33
	s_delay_alu instid0(VALU_DEP_3) | instskip(SKIP_1) | instid1(VALU_DEP_3)
	v_cndmask_b32_e32 v37, v35, v1, vcc_lo
	v_cmp_gt_f64_e32 vcc_lo, 0, v[32:33]
	v_cndmask_b32_e32 v39, v33, v10, vcc_lo
                                        ; implicit-def: $vgpr12_vgpr13
	s_delay_alu instid0(VALU_DEP_1)
	v_cmpx_ge_f64_e32 v[36:37], v[38:39]
	s_xor_b32 s3, exec_lo, s2
	s_cbranch_execz .LBB247_158
; %bb.153:                              ;   in Loop: Header=BB247_4 Depth=1
	v_cmp_neq_f64_e32 vcc_lo, 0, v[34:35]
	v_cmp_neq_f64_e64 s2, 0, v[32:33]
                                        ; implicit-def: $vgpr12_vgpr13
	s_or_b32 s2, vcc_lo, s2
	s_delay_alu instid0(SALU_CYCLE_1) | instskip(NEXT) | instid1(SALU_CYCLE_1)
	s_and_saveexec_b32 s4, s2
	s_xor_b32 s2, exec_lo, s4
	s_cbranch_execz .LBB247_155
; %bb.154:                              ;   in Loop: Header=BB247_4 Depth=1
	v_div_scale_f64 v[10:11], null, v[34:35], v[34:35], v[32:33]
	v_div_scale_f64 v[38:39], vcc_lo, v[32:33], v[34:35], v[32:33]
	s_delay_alu instid0(VALU_DEP_2) | instskip(SKIP_1) | instid1(TRANS32_DEP_1)
	v_rcp_f64_e32 v[12:13], v[10:11]
	v_nop
	v_fma_f64 v[36:37], -v[10:11], v[12:13], 1.0
	s_delay_alu instid0(VALU_DEP_1) | instskip(NEXT) | instid1(VALU_DEP_1)
	v_fmac_f64_e32 v[12:13], v[12:13], v[36:37]
	v_fma_f64 v[36:37], -v[10:11], v[12:13], 1.0
	s_delay_alu instid0(VALU_DEP_1) | instskip(NEXT) | instid1(VALU_DEP_1)
	v_fmac_f64_e32 v[12:13], v[12:13], v[36:37]
	v_mul_f64_e32 v[36:37], v[38:39], v[12:13]
	s_delay_alu instid0(VALU_DEP_1) | instskip(NEXT) | instid1(VALU_DEP_1)
	v_fma_f64 v[10:11], -v[10:11], v[36:37], v[38:39]
	v_div_fmas_f64 v[10:11], v[10:11], v[12:13], v[36:37]
	s_delay_alu instid0(VALU_DEP_1) | instskip(NEXT) | instid1(VALU_DEP_1)
	v_div_fixup_f64 v[10:11], v[10:11], v[34:35], v[32:33]
	v_fmac_f64_e32 v[34:35], v[32:33], v[10:11]
	s_delay_alu instid0(VALU_DEP_1) | instskip(SKIP_1) | instid1(VALU_DEP_2)
	v_div_scale_f64 v[12:13], null, v[34:35], v[34:35], 1.0
	v_div_scale_f64 v[38:39], vcc_lo, 1.0, v[34:35], 1.0
	v_rcp_f64_e32 v[32:33], v[12:13]
	v_nop
	s_delay_alu instid0(TRANS32_DEP_1) | instskip(NEXT) | instid1(VALU_DEP_1)
	v_fma_f64 v[36:37], -v[12:13], v[32:33], 1.0
	v_fmac_f64_e32 v[32:33], v[32:33], v[36:37]
	s_delay_alu instid0(VALU_DEP_1) | instskip(NEXT) | instid1(VALU_DEP_1)
	v_fma_f64 v[36:37], -v[12:13], v[32:33], 1.0
	v_fmac_f64_e32 v[32:33], v[32:33], v[36:37]
	s_delay_alu instid0(VALU_DEP_1) | instskip(NEXT) | instid1(VALU_DEP_1)
	v_mul_f64_e32 v[36:37], v[38:39], v[32:33]
	v_fma_f64 v[12:13], -v[12:13], v[36:37], v[38:39]
                                        ; implicit-def: $vgpr38_vgpr39
	s_delay_alu instid0(VALU_DEP_1) | instskip(SKIP_1) | instid1(VALU_DEP_2)
	v_div_fmas_f64 v[12:13], v[12:13], v[32:33], v[36:37]
	v_fma_f64 v[32:33], s[10:11], v[10:11], s[8:9]
                                        ; implicit-def: $vgpr36_vgpr37
	v_div_fixup_f64 v[12:13], v[12:13], v[34:35], 1.0
	v_fma_f64 v[34:35], -s[8:9], v[10:11], s[10:11]
	s_delay_alu instid0(VALU_DEP_2) | instskip(NEXT) | instid1(VALU_DEP_2)
	v_mul_f64_e32 v[10:11], v[32:33], v[12:13]
	v_mul_f64_e32 v[12:13], v[34:35], v[12:13]
.LBB247_155:                            ;   in Loop: Header=BB247_4 Depth=1
	s_and_not1_saveexec_b32 s4, s2
	s_cbranch_execz .LBB247_157
; %bb.156:                              ;   in Loop: Header=BB247_4 Depth=1
	v_div_scale_f64 v[10:11], null, v[36:37], v[36:37], s[8:9]
	v_div_scale_f64 v[12:13], null, v[38:39], v[38:39], s[10:11]
	v_div_scale_f64 v[44:45], vcc_lo, s[8:9], v[36:37], s[8:9]
	s_delay_alu instid0(VALU_DEP_3) | instskip(NEXT) | instid1(VALU_DEP_2)
	v_rcp_f64_e32 v[32:33], v[10:11]
	v_rcp_f64_e32 v[34:35], v[12:13]
	s_delay_alu instid0(TRANS32_DEP_2) | instskip(NEXT) | instid1(TRANS32_DEP_1)
	v_fma_f64 v[40:41], -v[10:11], v[32:33], 1.0
	v_fma_f64 v[42:43], -v[12:13], v[34:35], 1.0
	s_delay_alu instid0(VALU_DEP_2) | instskip(NEXT) | instid1(VALU_DEP_2)
	v_fmac_f64_e32 v[32:33], v[32:33], v[40:41]
	v_fmac_f64_e32 v[34:35], v[34:35], v[42:43]
	s_delay_alu instid0(VALU_DEP_2) | instskip(NEXT) | instid1(VALU_DEP_2)
	v_fma_f64 v[40:41], -v[10:11], v[32:33], 1.0
	v_fma_f64 v[42:43], -v[12:13], v[34:35], 1.0
	s_delay_alu instid0(VALU_DEP_2) | instskip(SKIP_1) | instid1(VALU_DEP_3)
	v_fmac_f64_e32 v[32:33], v[32:33], v[40:41]
	v_div_scale_f64 v[40:41], s2, s[10:11], v[38:39], s[10:11]
	v_fmac_f64_e32 v[34:35], v[34:35], v[42:43]
	s_delay_alu instid0(VALU_DEP_3) | instskip(NEXT) | instid1(VALU_DEP_2)
	v_mul_f64_e32 v[42:43], v[44:45], v[32:33]
	v_mul_f64_e32 v[46:47], v[40:41], v[34:35]
	s_delay_alu instid0(VALU_DEP_2) | instskip(NEXT) | instid1(VALU_DEP_2)
	v_fma_f64 v[10:11], -v[10:11], v[42:43], v[44:45]
	v_fma_f64 v[12:13], -v[12:13], v[46:47], v[40:41]
	s_delay_alu instid0(VALU_DEP_2) | instskip(SKIP_1) | instid1(VALU_DEP_2)
	v_div_fmas_f64 v[10:11], v[10:11], v[32:33], v[42:43]
	s_mov_b32 vcc_lo, s2
	v_div_fmas_f64 v[12:13], v[12:13], v[34:35], v[46:47]
	s_delay_alu instid0(VALU_DEP_2) | instskip(NEXT) | instid1(VALU_DEP_2)
	v_div_fixup_f64 v[10:11], v[10:11], v[36:37], s[8:9]
	v_div_fixup_f64 v[12:13], v[12:13], v[38:39], s[10:11]
.LBB247_157:                            ;   in Loop: Header=BB247_4 Depth=1
	s_or_b32 exec_lo, exec_lo, s4
                                        ; implicit-def: $vgpr32_vgpr33
                                        ; implicit-def: $vgpr34_vgpr35
.LBB247_158:                            ;   in Loop: Header=BB247_4 Depth=1
	s_and_not1_saveexec_b32 s2, s3
	s_cbranch_execz .LBB247_160
; %bb.159:                              ;   in Loop: Header=BB247_4 Depth=1
	v_div_scale_f64 v[10:11], null, v[32:33], v[32:33], v[34:35]
	v_div_scale_f64 v[38:39], vcc_lo, v[34:35], v[32:33], v[34:35]
	s_delay_alu instid0(VALU_DEP_2) | instskip(SKIP_1) | instid1(TRANS32_DEP_1)
	v_rcp_f64_e32 v[12:13], v[10:11]
	v_nop
	v_fma_f64 v[36:37], -v[10:11], v[12:13], 1.0
	s_delay_alu instid0(VALU_DEP_1) | instskip(NEXT) | instid1(VALU_DEP_1)
	v_fmac_f64_e32 v[12:13], v[12:13], v[36:37]
	v_fma_f64 v[36:37], -v[10:11], v[12:13], 1.0
	s_delay_alu instid0(VALU_DEP_1) | instskip(NEXT) | instid1(VALU_DEP_1)
	v_fmac_f64_e32 v[12:13], v[12:13], v[36:37]
	v_mul_f64_e32 v[36:37], v[38:39], v[12:13]
	s_delay_alu instid0(VALU_DEP_1) | instskip(NEXT) | instid1(VALU_DEP_1)
	v_fma_f64 v[10:11], -v[10:11], v[36:37], v[38:39]
	v_div_fmas_f64 v[10:11], v[10:11], v[12:13], v[36:37]
	s_delay_alu instid0(VALU_DEP_1) | instskip(NEXT) | instid1(VALU_DEP_1)
	v_div_fixup_f64 v[10:11], v[10:11], v[32:33], v[34:35]
	v_fmac_f64_e32 v[32:33], v[34:35], v[10:11]
	s_delay_alu instid0(VALU_DEP_1) | instskip(SKIP_1) | instid1(VALU_DEP_2)
	v_div_scale_f64 v[12:13], null, v[32:33], v[32:33], 1.0
	v_div_scale_f64 v[38:39], vcc_lo, 1.0, v[32:33], 1.0
	v_rcp_f64_e32 v[34:35], v[12:13]
	v_nop
	s_delay_alu instid0(TRANS32_DEP_1) | instskip(NEXT) | instid1(VALU_DEP_1)
	v_fma_f64 v[36:37], -v[12:13], v[34:35], 1.0
	v_fmac_f64_e32 v[34:35], v[34:35], v[36:37]
	s_delay_alu instid0(VALU_DEP_1) | instskip(NEXT) | instid1(VALU_DEP_1)
	v_fma_f64 v[36:37], -v[12:13], v[34:35], 1.0
	v_fmac_f64_e32 v[34:35], v[34:35], v[36:37]
	s_delay_alu instid0(VALU_DEP_1) | instskip(NEXT) | instid1(VALU_DEP_1)
	v_mul_f64_e32 v[36:37], v[38:39], v[34:35]
	v_fma_f64 v[12:13], -v[12:13], v[36:37], v[38:39]
	s_delay_alu instid0(VALU_DEP_1) | instskip(SKIP_1) | instid1(VALU_DEP_2)
	v_div_fmas_f64 v[12:13], v[12:13], v[34:35], v[36:37]
	v_fma_f64 v[34:35], s[8:9], v[10:11], s[10:11]
	v_div_fixup_f64 v[12:13], v[12:13], v[32:33], 1.0
	v_fma_f64 v[32:33], s[10:11], v[10:11], -s[8:9]
	s_delay_alu instid0(VALU_DEP_2) | instskip(NEXT) | instid1(VALU_DEP_2)
	v_mul_f64_e32 v[10:11], v[34:35], v[12:13]
	v_mul_f64_e32 v[12:13], v[32:33], v[12:13]
.LBB247_160:                            ;   in Loop: Header=BB247_4 Depth=1
	s_or_b32 exec_lo, exec_lo, s2
	v_xor_b32_e32 v33, 0x80000000, v5
                                        ; implicit-def: $vgpr34_vgpr35
	s_mov_b32 s2, exec_lo
	v_mov_b32_e32 v32, v4
	s_delay_alu instid0(VALU_DEP_2) | instskip(NEXT) | instid1(VALU_DEP_1)
	v_and_b32_e32 v21, 0x7fffffff, v33
	v_or_b32_e32 v1, v21, v4
	s_delay_alu instid0(VALU_DEP_1)
	v_cmpx_ne_u32_e32 0, v1
	s_xor_b32 s38, exec_lo, s2
	s_cbranch_execz .LBB247_202
; %bb.161:                              ;   in Loop: Header=BB247_4 Depth=1
	v_xor_b32_e32 v37, 0x80000000, v3
                                        ; implicit-def: $vgpr34_vgpr35
	s_mov_b32 s2, exec_lo
	v_mov_b32_e32 v36, v2
	s_delay_alu instid0(VALU_DEP_2) | instskip(NEXT) | instid1(VALU_DEP_1)
	v_and_b32_e32 v1, 0x7fffffff, v37
	v_or_b32_e32 v32, v1, v2
	s_delay_alu instid0(VALU_DEP_1)
	v_cmpx_ne_u32_e32 0, v32
	s_xor_b32 s39, exec_lo, s2
	s_cbranch_execz .LBB247_191
; %bb.162:                              ;   in Loop: Header=BB247_4 Depth=1
                                        ; implicit-def: $vgpr34_vgpr35
	s_mov_b32 s2, exec_lo
	v_cmpx_gt_u32_e32 0x7ff00000, v21
	s_xor_b32 s40, exec_lo, s2
	s_cbranch_execz .LBB247_184
; %bb.163:                              ;   in Loop: Header=BB247_4 Depth=1
	v_add_nc_u32_e32 v1, 0xbf79d1be, v37
                                        ; implicit-def: $vgpr34_vgpr35
	s_mov_b32 s2, exec_lo
	s_delay_alu instid0(VALU_DEP_1)
	v_cmpx_lt_u32_e32 0x108aa2, v1
	s_xor_b32 s41, exec_lo, s2
	s_cbranch_execz .LBB247_173
; %bb.164:                              ;   in Loop: Header=BB247_4 Depth=1
	v_cmp_ngt_f64_e64 s2, 0x41d00000, |v[4:5]|
                                        ; implicit-def: $vgpr1
                                        ; implicit-def: $vgpr34_vgpr35
                                        ; implicit-def: $vgpr36_vgpr37
	s_and_saveexec_b32 s3, s2
	s_delay_alu instid0(SALU_CYCLE_1)
	s_xor_b32 s3, exec_lo, s3
	s_cbranch_execz .LBB247_166
; %bb.165:                              ;   in Loop: Header=BB247_4 Depth=1
	v_ldexp_f64 v[34:35], |v[4:5]|, 0xffffff80
	v_cmp_le_f64_e64 vcc_lo, 0x7b000000, |v[4:5]|
	v_trig_preop_f64 v[36:37], |v[4:5]|, 0
	v_and_b32_e32 v1, 0x7fffffff, v5
	v_trig_preop_f64 v[38:39], |v[4:5]|, 1
	v_trig_preop_f64 v[48:49], |v[4:5]|, 2
	s_delay_alu instid0(VALU_DEP_3) | instskip(NEXT) | instid1(VALU_DEP_1)
	v_dual_cndmask_b32 v35, v1, v35 :: v_dual_cndmask_b32 v34, v4, v34
	v_mul_f64_e32 v[40:41], v[36:37], v[34:35]
	s_delay_alu instid0(VALU_DEP_4) | instskip(NEXT) | instid1(VALU_DEP_4)
	v_mul_f64_e32 v[42:43], v[38:39], v[34:35]
	v_mul_f64_e32 v[54:55], v[48:49], v[34:35]
	s_delay_alu instid0(VALU_DEP_3) | instskip(NEXT) | instid1(VALU_DEP_3)
	v_fma_f64 v[36:37], v[36:37], v[34:35], -v[40:41]
	v_fma_f64 v[38:39], v[38:39], v[34:35], -v[42:43]
	s_delay_alu instid0(VALU_DEP_3) | instskip(NEXT) | instid1(VALU_DEP_3)
	v_fma_f64 v[34:35], v[48:49], v[34:35], -v[54:55]
	v_add_f64_e32 v[44:45], v[42:43], v[36:37]
	s_delay_alu instid0(VALU_DEP_1) | instskip(SKIP_1) | instid1(VALU_DEP_2)
	v_add_f64_e64 v[46:47], v[44:45], -v[42:43]
	v_add_f64_e32 v[52:53], v[40:41], v[44:45]
	v_add_f64_e64 v[50:51], v[44:45], -v[46:47]
	v_add_f64_e64 v[36:37], v[36:37], -v[46:47]
	s_delay_alu instid0(VALU_DEP_3) | instskip(NEXT) | instid1(VALU_DEP_3)
	v_ldexp_f64 v[46:47], v[52:53], -2
	v_add_f64_e64 v[42:43], v[42:43], -v[50:51]
	v_add_f64_e32 v[50:51], v[54:55], v[38:39]
	s_delay_alu instid0(VALU_DEP_3) | instskip(NEXT) | instid1(VALU_DEP_3)
	v_cmp_neq_f64_e64 vcc_lo, 0x7ff00000, |v[46:47]|
	v_add_f64_e32 v[36:37], v[36:37], v[42:43]
	v_fract_f64_e32 v[42:43], v[46:47]
	s_delay_alu instid0(VALU_DEP_1) | instskip(NEXT) | instid1(VALU_DEP_1)
	v_ldexp_f64 v[42:43], v[42:43], 2
	v_dual_add_f64 v[40:41], v[52:53], -v[40:41] :: v_dual_cndmask_b32 v42, 0, v42, vcc_lo
	s_delay_alu instid0(VALU_DEP_1) | instskip(SKIP_1) | instid1(VALU_DEP_1)
	v_dual_add_f64 v[40:41], v[44:45], -v[40:41] :: v_dual_cndmask_b32 v43, 0, v43, vcc_lo
	v_add_f64_e32 v[44:45], v[50:51], v[36:37]
	v_add_f64_e32 v[46:47], v[40:41], v[44:45]
	v_add_f64_e64 v[56:57], v[44:45], -v[50:51]
	s_delay_alu instid0(VALU_DEP_2) | instskip(NEXT) | instid1(VALU_DEP_2)
	v_add_f64_e32 v[52:53], v[46:47], v[42:43]
	v_add_f64_e64 v[62:63], v[44:45], -v[56:57]
	v_add_f64_e64 v[36:37], v[36:37], -v[56:57]
	;; [unrolled: 1-line block ×3, first 2 shown]
	s_delay_alu instid0(VALU_DEP_4) | instskip(SKIP_1) | instid1(VALU_DEP_3)
	v_cmp_gt_f64_e32 vcc_lo, 0, v[52:53]
	v_add_f64_e64 v[52:53], v[50:51], -v[54:55]
	v_add_f64_e64 v[40:41], v[44:45], -v[40:41]
	v_cndmask_b32_e64 v21, 0, 0x40100000, vcc_lo
	s_delay_alu instid0(VALU_DEP_3) | instskip(SKIP_2) | instid1(VALU_DEP_4)
	v_add_f64_e64 v[60:61], v[50:51], -v[52:53]
	v_add_f64_e64 v[38:39], v[38:39], -v[52:53]
	;; [unrolled: 1-line block ×3, first 2 shown]
	v_add_f64_e32 v[42:43], v[42:43], v[20:21]
	s_delay_alu instid0(VALU_DEP_4) | instskip(NEXT) | instid1(VALU_DEP_3)
	v_add_f64_e64 v[52:53], v[54:55], -v[60:61]
	v_add_f64_e32 v[36:37], v[36:37], v[50:51]
	s_delay_alu instid0(VALU_DEP_3) | instskip(NEXT) | instid1(VALU_DEP_3)
	v_add_f64_e32 v[58:59], v[46:47], v[42:43]
	v_add_f64_e32 v[38:39], v[38:39], v[52:53]
	s_delay_alu instid0(VALU_DEP_2) | instskip(NEXT) | instid1(VALU_DEP_2)
	v_cvt_i32_f64_e32 v1, v[58:59]
	v_add_f64_e32 v[36:37], v[38:39], v[36:37]
	s_delay_alu instid0(VALU_DEP_2) | instskip(NEXT) | instid1(VALU_DEP_2)
	v_cvt_f64_i32_e32 v[56:57], v1
	v_add_f64_e32 v[34:35], v[34:35], v[36:37]
	s_delay_alu instid0(VALU_DEP_2) | instskip(NEXT) | instid1(VALU_DEP_2)
	v_add_f64_e64 v[42:43], v[42:43], -v[56:57]
	v_add_f64_e32 v[34:35], v[40:41], v[34:35]
	s_delay_alu instid0(VALU_DEP_2) | instskip(NEXT) | instid1(VALU_DEP_1)
	v_add_f64_e32 v[38:39], v[46:47], v[42:43]
	v_add_f64_e64 v[36:37], v[38:39], -v[42:43]
	v_cmp_le_f64_e32 vcc_lo, 0.5, v[38:39]
	s_delay_alu instid0(VALU_DEP_2) | instskip(SKIP_2) | instid1(VALU_DEP_3)
	v_add_f64_e64 v[36:37], v[46:47], -v[36:37]
	v_cndmask_b32_e64 v21, 0, 0x3ff00000, vcc_lo
	v_add_co_ci_u32_e64 v1, null, 0, v1, vcc_lo
	v_add_f64_e32 v[34:35], v[34:35], v[36:37]
	s_delay_alu instid0(VALU_DEP_3) | instskip(NEXT) | instid1(VALU_DEP_1)
	v_add_f64_e64 v[36:37], v[38:39], -v[20:21]
	v_add_f64_e32 v[38:39], v[36:37], v[34:35]
	s_delay_alu instid0(VALU_DEP_1) | instskip(SKIP_1) | instid1(VALU_DEP_2)
	v_mul_f64_e32 v[40:41], 0x3ff921fb54442d18, v[38:39]
	v_add_f64_e64 v[36:37], v[38:39], -v[36:37]
	v_fma_f64 v[42:43], v[38:39], s[18:19], -v[40:41]
	s_delay_alu instid0(VALU_DEP_2) | instskip(NEXT) | instid1(VALU_DEP_2)
	v_add_f64_e64 v[34:35], v[34:35], -v[36:37]
	v_fmac_f64_e32 v[42:43], 0x3c91a62633145c07, v[38:39]
	s_delay_alu instid0(VALU_DEP_1) | instskip(NEXT) | instid1(VALU_DEP_1)
	v_fmac_f64_e32 v[42:43], 0x3ff921fb54442d18, v[34:35]
	v_add_f64_e32 v[34:35], v[40:41], v[42:43]
	s_delay_alu instid0(VALU_DEP_1) | instskip(NEXT) | instid1(VALU_DEP_1)
	v_add_f64_e64 v[36:37], v[34:35], -v[40:41]
	v_add_f64_e64 v[36:37], v[42:43], -v[36:37]
	s_and_not1_saveexec_b32 s3, s3
	s_cbranch_execz .LBB247_168
	s_branch .LBB247_167
.LBB247_166:                            ;   in Loop: Header=BB247_4 Depth=1
	s_and_not1_saveexec_b32 s3, s3
	s_cbranch_execz .LBB247_168
.LBB247_167:                            ;   in Loop: Header=BB247_4 Depth=1
	v_mul_f64_e64 v[34:35], |v[4:5]|, s[20:21]
	s_delay_alu instid0(VALU_DEP_1) | instskip(NEXT) | instid1(VALU_DEP_1)
	v_rndne_f64_e32 v[38:39], v[34:35]
	v_fma_f64 v[34:35], v[38:39], s[22:23], |v[4:5]|
	v_mul_f64_e32 v[36:37], 0xbc91a62633145c00, v[38:39]
	v_cvt_i32_f64_e32 v1, v[38:39]
	s_delay_alu instid0(VALU_DEP_3) | instskip(NEXT) | instid1(VALU_DEP_3)
	v_fmamk_f64 v[44:45], v[38:39], 0xbc91a62633145c00, v[34:35]
	v_add_f64_e32 v[40:41], v[34:35], v[36:37]
	s_delay_alu instid0(VALU_DEP_1) | instskip(NEXT) | instid1(VALU_DEP_3)
	v_add_f64_e64 v[42:43], v[34:35], -v[40:41]
	v_add_f64_e64 v[34:35], v[40:41], -v[44:45]
	s_delay_alu instid0(VALU_DEP_2) | instskip(SKIP_1) | instid1(VALU_DEP_2)
	v_add_f64_e32 v[40:41], v[42:43], v[36:37]
	v_fmamk_f64 v[36:37], v[38:39], 0x3c91a62633145c00, v[36:37]
	v_add_f64_e32 v[34:35], v[34:35], v[40:41]
	s_delay_alu instid0(VALU_DEP_1) | instskip(NEXT) | instid1(VALU_DEP_1)
	v_add_f64_e64 v[36:37], v[34:35], -v[36:37]
	v_fmac_f64_e32 v[36:37], 0xb97b839a252049c0, v[38:39]
	s_delay_alu instid0(VALU_DEP_1) | instskip(NEXT) | instid1(VALU_DEP_1)
	v_add_f64_e32 v[34:35], v[44:45], v[36:37]
	v_add_f64_e64 v[40:41], v[34:35], -v[44:45]
	s_delay_alu instid0(VALU_DEP_1)
	v_add_f64_e64 v[36:37], v[36:37], -v[40:41]
.LBB247_168:                            ;   in Loop: Header=BB247_4 Depth=1
	s_or_b32 exec_lo, exec_lo, s3
                                        ; implicit-def: $vgpr32
                                        ; implicit-def: $vgpr38_vgpr39
                                        ; implicit-def: $vgpr40_vgpr41
	s_and_saveexec_b32 s3, s2
	s_delay_alu instid0(SALU_CYCLE_1)
	s_xor_b32 s2, exec_lo, s3
	s_cbranch_execz .LBB247_170
; %bb.169:                              ;   in Loop: Header=BB247_4 Depth=1
	v_ldexp_f64 v[38:39], |v[4:5]|, 0xffffff80
	v_cmp_le_f64_e64 vcc_lo, 0x7b000000, |v[4:5]|
	v_trig_preop_f64 v[40:41], |v[4:5]|, 0
	v_and_b32_e32 v21, 0x7fffffff, v5
	v_trig_preop_f64 v[42:43], |v[4:5]|, 1
	v_trig_preop_f64 v[52:53], |v[4:5]|, 2
	s_delay_alu instid0(VALU_DEP_3) | instskip(NEXT) | instid1(VALU_DEP_1)
	v_dual_cndmask_b32 v39, v21, v39 :: v_dual_cndmask_b32 v38, v4, v38
	v_mul_f64_e32 v[44:45], v[40:41], v[38:39]
	s_delay_alu instid0(VALU_DEP_4) | instskip(NEXT) | instid1(VALU_DEP_4)
	v_mul_f64_e32 v[46:47], v[42:43], v[38:39]
	v_mul_f64_e32 v[58:59], v[52:53], v[38:39]
	s_delay_alu instid0(VALU_DEP_3) | instskip(NEXT) | instid1(VALU_DEP_3)
	v_fma_f64 v[40:41], v[40:41], v[38:39], -v[44:45]
	v_fma_f64 v[42:43], v[42:43], v[38:39], -v[46:47]
	s_delay_alu instid0(VALU_DEP_3) | instskip(NEXT) | instid1(VALU_DEP_3)
	v_fma_f64 v[38:39], v[52:53], v[38:39], -v[58:59]
	v_add_f64_e32 v[48:49], v[46:47], v[40:41]
	s_delay_alu instid0(VALU_DEP_1) | instskip(SKIP_1) | instid1(VALU_DEP_2)
	v_add_f64_e64 v[50:51], v[48:49], -v[46:47]
	v_add_f64_e32 v[56:57], v[44:45], v[48:49]
	v_add_f64_e64 v[54:55], v[48:49], -v[50:51]
	v_add_f64_e64 v[40:41], v[40:41], -v[50:51]
	s_delay_alu instid0(VALU_DEP_3) | instskip(NEXT) | instid1(VALU_DEP_3)
	v_ldexp_f64 v[50:51], v[56:57], -2
	v_add_f64_e64 v[46:47], v[46:47], -v[54:55]
	v_add_f64_e32 v[54:55], v[58:59], v[42:43]
	s_delay_alu instid0(VALU_DEP_3) | instskip(NEXT) | instid1(VALU_DEP_3)
	v_cmp_neq_f64_e64 vcc_lo, 0x7ff00000, |v[50:51]|
	v_add_f64_e32 v[40:41], v[40:41], v[46:47]
	v_fract_f64_e32 v[46:47], v[50:51]
	s_delay_alu instid0(VALU_DEP_1) | instskip(NEXT) | instid1(VALU_DEP_1)
	v_ldexp_f64 v[46:47], v[46:47], 2
	v_dual_add_f64 v[44:45], v[56:57], -v[44:45] :: v_dual_cndmask_b32 v46, 0, v46, vcc_lo
	s_delay_alu instid0(VALU_DEP_1) | instskip(SKIP_1) | instid1(VALU_DEP_1)
	v_dual_add_f64 v[44:45], v[48:49], -v[44:45] :: v_dual_cndmask_b32 v47, 0, v47, vcc_lo
	v_add_f64_e32 v[48:49], v[54:55], v[40:41]
	v_add_f64_e32 v[50:51], v[44:45], v[48:49]
	v_add_f64_e64 v[60:61], v[48:49], -v[54:55]
	s_delay_alu instid0(VALU_DEP_2) | instskip(NEXT) | instid1(VALU_DEP_2)
	v_add_f64_e32 v[56:57], v[50:51], v[46:47]
	v_add_f64_e64 v[66:67], v[48:49], -v[60:61]
	v_add_f64_e64 v[40:41], v[40:41], -v[60:61]
	;; [unrolled: 1-line block ×3, first 2 shown]
	s_delay_alu instid0(VALU_DEP_4) | instskip(SKIP_1) | instid1(VALU_DEP_3)
	v_cmp_gt_f64_e32 vcc_lo, 0, v[56:57]
	v_add_f64_e64 v[56:57], v[54:55], -v[58:59]
	v_add_f64_e64 v[44:45], v[48:49], -v[44:45]
	v_cndmask_b32_e64 v21, 0, 0x40100000, vcc_lo
	s_delay_alu instid0(VALU_DEP_3) | instskip(SKIP_2) | instid1(VALU_DEP_4)
	v_add_f64_e64 v[64:65], v[54:55], -v[56:57]
	v_add_f64_e64 v[42:43], v[42:43], -v[56:57]
	;; [unrolled: 1-line block ×3, first 2 shown]
	v_add_f64_e32 v[46:47], v[46:47], v[20:21]
	s_delay_alu instid0(VALU_DEP_4) | instskip(NEXT) | instid1(VALU_DEP_3)
	v_add_f64_e64 v[56:57], v[58:59], -v[64:65]
	v_add_f64_e32 v[40:41], v[40:41], v[54:55]
	s_delay_alu instid0(VALU_DEP_3) | instskip(NEXT) | instid1(VALU_DEP_3)
	v_add_f64_e32 v[62:63], v[50:51], v[46:47]
	v_add_f64_e32 v[42:43], v[42:43], v[56:57]
	s_delay_alu instid0(VALU_DEP_2) | instskip(NEXT) | instid1(VALU_DEP_2)
	v_cvt_i32_f64_e32 v21, v[62:63]
	v_add_f64_e32 v[40:41], v[42:43], v[40:41]
	s_delay_alu instid0(VALU_DEP_2) | instskip(NEXT) | instid1(VALU_DEP_2)
	v_cvt_f64_i32_e32 v[60:61], v21
	v_add_f64_e32 v[38:39], v[38:39], v[40:41]
	s_delay_alu instid0(VALU_DEP_2) | instskip(NEXT) | instid1(VALU_DEP_2)
	v_add_f64_e64 v[46:47], v[46:47], -v[60:61]
	v_add_f64_e32 v[38:39], v[44:45], v[38:39]
	s_delay_alu instid0(VALU_DEP_2) | instskip(NEXT) | instid1(VALU_DEP_1)
	v_add_f64_e32 v[42:43], v[50:51], v[46:47]
	v_add_f64_e64 v[40:41], v[42:43], -v[46:47]
	v_cmp_le_f64_e32 vcc_lo, 0.5, v[42:43]
	s_delay_alu instid0(VALU_DEP_2) | instskip(SKIP_2) | instid1(VALU_DEP_3)
	v_add_f64_e64 v[40:41], v[50:51], -v[40:41]
	v_add_co_ci_u32_e64 v32, null, 0, v21, vcc_lo
	v_cndmask_b32_e64 v21, 0, 0x3ff00000, vcc_lo
	v_add_f64_e32 v[38:39], v[38:39], v[40:41]
	s_delay_alu instid0(VALU_DEP_2) | instskip(NEXT) | instid1(VALU_DEP_1)
	v_add_f64_e64 v[40:41], v[42:43], -v[20:21]
	v_add_f64_e32 v[42:43], v[40:41], v[38:39]
	s_delay_alu instid0(VALU_DEP_1) | instskip(SKIP_1) | instid1(VALU_DEP_2)
	v_mul_f64_e32 v[44:45], 0x3ff921fb54442d18, v[42:43]
	v_add_f64_e64 v[40:41], v[42:43], -v[40:41]
	v_fma_f64 v[46:47], v[42:43], s[18:19], -v[44:45]
	s_delay_alu instid0(VALU_DEP_2) | instskip(NEXT) | instid1(VALU_DEP_2)
	v_add_f64_e64 v[38:39], v[38:39], -v[40:41]
	v_fmac_f64_e32 v[46:47], 0x3c91a62633145c07, v[42:43]
	s_delay_alu instid0(VALU_DEP_1) | instskip(NEXT) | instid1(VALU_DEP_1)
	v_fmac_f64_e32 v[46:47], 0x3ff921fb54442d18, v[38:39]
	v_add_f64_e32 v[38:39], v[44:45], v[46:47]
	s_delay_alu instid0(VALU_DEP_1) | instskip(NEXT) | instid1(VALU_DEP_1)
	v_add_f64_e64 v[40:41], v[38:39], -v[44:45]
	v_add_f64_e64 v[40:41], v[46:47], -v[40:41]
	s_and_not1_saveexec_b32 s2, s2
	s_cbranch_execnz .LBB247_171
	s_branch .LBB247_172
.LBB247_170:                            ;   in Loop: Header=BB247_4 Depth=1
	s_and_not1_saveexec_b32 s2, s2
	s_cbranch_execz .LBB247_172
.LBB247_171:                            ;   in Loop: Header=BB247_4 Depth=1
	v_mul_f64_e64 v[38:39], |v[4:5]|, s[20:21]
	s_delay_alu instid0(VALU_DEP_1) | instskip(NEXT) | instid1(VALU_DEP_1)
	v_rndne_f64_e32 v[42:43], v[38:39]
	v_fma_f64 v[38:39], v[42:43], s[22:23], |v[4:5]|
	v_mul_f64_e32 v[40:41], 0xbc91a62633145c00, v[42:43]
	v_cvt_i32_f64_e32 v32, v[42:43]
	s_delay_alu instid0(VALU_DEP_3) | instskip(NEXT) | instid1(VALU_DEP_3)
	v_fmamk_f64 v[48:49], v[42:43], 0xbc91a62633145c00, v[38:39]
	v_add_f64_e32 v[44:45], v[38:39], v[40:41]
	s_delay_alu instid0(VALU_DEP_1) | instskip(NEXT) | instid1(VALU_DEP_3)
	v_add_f64_e64 v[46:47], v[38:39], -v[44:45]
	v_add_f64_e64 v[38:39], v[44:45], -v[48:49]
	s_delay_alu instid0(VALU_DEP_2) | instskip(SKIP_1) | instid1(VALU_DEP_2)
	v_add_f64_e32 v[44:45], v[46:47], v[40:41]
	v_fmamk_f64 v[40:41], v[42:43], 0x3c91a62633145c00, v[40:41]
	v_add_f64_e32 v[38:39], v[38:39], v[44:45]
	s_delay_alu instid0(VALU_DEP_1) | instskip(NEXT) | instid1(VALU_DEP_1)
	v_add_f64_e64 v[40:41], v[38:39], -v[40:41]
	v_fmac_f64_e32 v[40:41], 0xb97b839a252049c0, v[42:43]
	s_delay_alu instid0(VALU_DEP_1) | instskip(NEXT) | instid1(VALU_DEP_1)
	v_add_f64_e32 v[38:39], v[48:49], v[40:41]
	v_add_f64_e64 v[44:45], v[38:39], -v[48:49]
	s_delay_alu instid0(VALU_DEP_1)
	v_add_f64_e64 v[40:41], v[40:41], -v[44:45]
.LBB247_172:                            ;   in Loop: Header=BB247_4 Depth=1
	s_or_b32 exec_lo, exec_lo, s2
	v_mul_f64_e32 v[42:43], 0xbff71547652b82fe, v[2:3]
	v_mul_f64_e32 v[44:45], v[34:35], v[34:35]
	;; [unrolled: 1-line block ×3, first 2 shown]
	v_cmp_ngt_f64_e64 s3, 0xc0900000, v[2:3]
	v_cmp_nlt_f64_e64 s4, 0x4090cc00, v[2:3]
	v_mul_f64_e32 v[68:69], 0.5, v[40:41]
	v_cmp_class_f64_e64 s2, v[4:5], 0x1f8
	v_lshlrev_b32_e32 v4, 30, v32
	v_rndne_f64_e32 v[42:43], v[42:43]
	s_delay_alu instid0(VALU_DEP_1) | instskip(SKIP_4) | instid1(VALU_DEP_4)
	v_fma_f64 v[50:51], v[42:43], s[24:25], -v[2:3]
	v_and_b32_e32 v2, 1, v32
	v_cvt_i32_f64_e32 v21, v[42:43]
	v_mul_f64_e64 v[70:71], v[38:39], -v[46:47]
	v_fmamk_f64 v[74:75], v[46:47], 0x3de5e0b2f9a43bb8, v[28:29]
	v_cmp_eq_u32_e64 s5, 0, v2
	v_mul_f64_e32 v[48:49], 0.5, v[44:45]
	v_mul_f64_e32 v[58:59], 0.5, v[36:37]
	v_fmac_f64_e32 v[50:51], 0xbc7abc9e3b39803f, v[42:43]
	s_delay_alu instid0(VALU_DEP_3) | instskip(NEXT) | instid1(VALU_DEP_2)
	v_add_f64_e64 v[54:55], -v[48:49], 1.0
	v_fmamk_f64 v[66:67], v[50:51], 0x3e5ade156a5dcb37, v[24:25]
	s_delay_alu instid0(VALU_DEP_2) | instskip(NEXT) | instid1(VALU_DEP_2)
	v_add_f64_e64 v[62:63], -v[54:55], 1.0
	v_fmaak_f64 v[66:67], v[50:51], v[66:67], 0x3ec71dee623fde64
	s_delay_alu instid0(VALU_DEP_1) | instskip(NEXT) | instid1(VALU_DEP_1)
	v_fmaak_f64 v[66:67], v[50:51], v[66:67], 0x3efa01997c89e6b0
	v_fmaak_f64 v[66:67], v[50:51], v[66:67], 0x3f2a01a014761f6e
	s_delay_alu instid0(VALU_DEP_4) | instskip(NEXT) | instid1(VALU_DEP_2)
	v_add_f64_e64 v[48:49], v[62:63], -v[48:49]
	v_fmaak_f64 v[62:63], v[50:51], v[66:67], 0x3f56c16c1852b7b0
	s_delay_alu instid0(VALU_DEP_1) | instskip(NEXT) | instid1(VALU_DEP_1)
	v_fmaak_f64 v[62:63], v[50:51], v[62:63], 0x3f81111111122322
	v_fmaak_f64 v[62:63], v[50:51], v[62:63], 0x3fa55555555502a1
	s_delay_alu instid0(VALU_DEP_1) | instskip(NEXT) | instid1(VALU_DEP_1)
	v_fmaak_f64 v[62:63], v[50:51], v[62:63], 0x3fc5555555555511
	v_fmaak_f64 v[62:63], v[50:51], v[62:63], 0x3fe000000000000b
	s_delay_alu instid0(VALU_DEP_1) | instskip(NEXT) | instid1(VALU_DEP_1)
	v_fma_f64 v[62:63], v[50:51], v[62:63], 1.0
	v_fma_f64 v[42:43], v[50:51], v[62:63], 1.0
	s_delay_alu instid0(VALU_DEP_1)
	v_ldexp_f64 v[42:43], v[42:43], v21
	v_and_b32_e32 v21, 1, v1
	v_mul_f64_e64 v[60:61], v[34:35], -v[44:45]
	v_fmamk_f64 v[64:65], v[44:45], 0x3de5e0b2f9a43bb8, v[28:29]
	v_mul_f64_e32 v[66:67], v[44:45], v[44:45]
	v_lshlrev_b32_e32 v1, 30, v1
	v_cmp_eq_u32_e32 vcc_lo, 0, v21
	s_delay_alu instid0(VALU_DEP_4) | instskip(NEXT) | instid1(VALU_DEP_1)
	v_fmaak_f64 v[64:65], v[44:45], v[64:65], 0x3ec71de3796cde01
	v_fmaak_f64 v[64:65], v[44:45], v[64:65], 0xbf2a01a019e83e5c
	s_delay_alu instid0(VALU_DEP_1) | instskip(SKIP_1) | instid1(VALU_DEP_2)
	v_fmaak_f64 v[64:65], v[44:45], v[64:65], 0x3f81111111110bb3
	v_cndmask_b32_e64 v5, 0x7ff00000, v43, s3
	v_fmac_f64_e32 v[58:59], v[60:61], v[64:65]
	v_fmaak_f64 v[64:65], v[46:47], v[74:75], 0x3ec71de3796cde01
	s_delay_alu instid0(VALU_DEP_1) | instskip(NEXT) | instid1(VALU_DEP_1)
	v_fmaak_f64 v[64:65], v[46:47], v[64:65], 0xbf2a01a019e83e5c
	v_fmaak_f64 v[64:65], v[46:47], v[64:65], 0x3f81111111110bb3
	s_delay_alu instid0(VALU_DEP_1) | instskip(SKIP_3) | instid1(VALU_DEP_3)
	v_fmac_f64_e32 v[68:69], v[70:71], v[64:65]
	v_fmamk_f64 v[64:65], v[44:45], 0xbda907db46cc5e42, v[26:27]
	v_fma_f64 v[58:59], v[44:45], v[58:59], -v[36:37]
	v_fma_f64 v[36:37], v[34:35], -v[36:37], v[48:49]
	v_fmaak_f64 v[48:49], v[44:45], v[64:65], 0xbe927e4fa17f65f6
	v_mul_f64_e32 v[64:65], v[46:47], v[46:47]
	s_delay_alu instid0(VALU_DEP_2) | instskip(NEXT) | instid1(VALU_DEP_1)
	v_fmaak_f64 v[48:49], v[44:45], v[48:49], 0x3efa01a019f4ec90
	v_fmaak_f64 v[48:49], v[44:45], v[48:49], 0xbf56c16c16c16967
	s_delay_alu instid0(VALU_DEP_1) | instskip(SKIP_2) | instid1(VALU_DEP_3)
	v_fmaak_f64 v[44:45], v[44:45], v[48:49], 0x3fa5555555555555
	v_fma_f64 v[48:49], v[46:47], v[68:69], -v[40:41]
	v_fmac_f64_e32 v[58:59], 0xbfc5555555555555, v[60:61]
	v_fmac_f64_e32 v[36:37], v[66:67], v[44:45]
	s_delay_alu instid0(VALU_DEP_3) | instskip(NEXT) | instid1(VALU_DEP_3)
	v_fmac_f64_e32 v[48:49], 0xbfc5555555555555, v[70:71]
	v_add_f64_e64 v[34:35], v[34:35], -v[58:59]
	s_delay_alu instid0(VALU_DEP_3) | instskip(SKIP_1) | instid1(VALU_DEP_3)
	v_add_f64_e32 v[36:37], v[54:55], v[36:37]
	v_mul_f64_e32 v[52:53], 0.5, v[46:47]
	v_xor_b32_e32 v3, 0x80000000, v35
	s_delay_alu instid0(VALU_DEP_3) | instskip(NEXT) | instid1(VALU_DEP_3)
	v_cndmask_b32_e32 v21, v34, v36, vcc_lo
	v_add_f64_e64 v[56:57], -v[52:53], 1.0
	s_delay_alu instid0(VALU_DEP_3) | instskip(SKIP_3) | instid1(VALU_DEP_4)
	v_cndmask_b32_e32 v2, v3, v37, vcc_lo
	v_xor_b32_e32 v3, v4, v33
	s_and_b32 vcc_lo, s4, s3
	v_cndmask_b32_e64 v33, 0, v5, s4
	v_add_f64_e64 v[72:73], -v[56:57], 1.0
	s_delay_alu instid0(VALU_DEP_1) | instskip(SKIP_1) | instid1(VALU_DEP_2)
	v_add_f64_e64 v[52:53], v[72:73], -v[52:53]
	v_fmamk_f64 v[72:73], v[46:47], 0xbda907db46cc5e42, v[26:27]
	v_fma_f64 v[40:41], v[38:39], -v[40:41], v[52:53]
	s_delay_alu instid0(VALU_DEP_2) | instskip(SKIP_1) | instid1(VALU_DEP_2)
	v_fmaak_f64 v[52:53], v[46:47], v[72:73], 0xbe927e4fa17f65f6
	v_add_f64_e64 v[38:39], v[38:39], -v[48:49]
	v_fmaak_f64 v[44:45], v[46:47], v[52:53], 0x3efa01a019f4ec90
	s_delay_alu instid0(VALU_DEP_1) | instskip(NEXT) | instid1(VALU_DEP_1)
	v_fmaak_f64 v[44:45], v[46:47], v[44:45], 0xbf56c16c16c16967
	v_fmaak_f64 v[44:45], v[46:47], v[44:45], 0x3fa5555555555555
	s_delay_alu instid0(VALU_DEP_1) | instskip(NEXT) | instid1(VALU_DEP_1)
	v_fmac_f64_e32 v[40:41], v[64:65], v[44:45]
	v_add_f64_e32 v[40:41], v[56:57], v[40:41]
	s_delay_alu instid0(VALU_DEP_1) | instskip(NEXT) | instid1(VALU_DEP_1)
	v_dual_cndmask_b32 v4, v40, v38, s5 :: v_dual_cndmask_b32 v32, v41, v39, s5
	v_cndmask_b32_e64 v4, 0, v4, s2
	v_bitop3_b32 v1, v2, v1, 0x80000000 bitop3:0x78
	v_cndmask_b32_e64 v2, 0, v21, s2
	s_delay_alu instid0(VALU_DEP_4) | instskip(SKIP_1) | instid1(VALU_DEP_4)
	v_bitop3_b32 v21, v32, v3, 0x80000000 bitop3:0x78
	v_cndmask_b32_e32 v32, 0, v42, vcc_lo
	v_cndmask_b32_e64 v3, 0x7ff80000, v1, s2
	s_delay_alu instid0(VALU_DEP_3) | instskip(NEXT) | instid1(VALU_DEP_2)
	v_cndmask_b32_e64 v5, 0x7ff80000, v21, s2
	v_mul_f64_e32 v[34:35], v[32:33], v[2:3]
	s_delay_alu instid0(VALU_DEP_2)
	v_mul_f64_e32 v[32:33], v[32:33], v[4:5]
                                        ; implicit-def: $vgpr4_vgpr5
.LBB247_173:                            ;   in Loop: Header=BB247_4 Depth=1
	s_and_not1_saveexec_b32 s41, s41
	s_cbranch_execz .LBB247_183
; %bb.174:                              ;   in Loop: Header=BB247_4 Depth=1
	v_cmp_ngt_f64_e64 s2, 0x41d00000, |v[4:5]|
                                        ; implicit-def: $vgpr1
                                        ; implicit-def: $vgpr34_vgpr35
                                        ; implicit-def: $vgpr36_vgpr37
	s_and_saveexec_b32 s3, s2
	s_delay_alu instid0(SALU_CYCLE_1)
	s_xor_b32 s3, exec_lo, s3
	s_cbranch_execz .LBB247_176
; %bb.175:                              ;   in Loop: Header=BB247_4 Depth=1
	v_ldexp_f64 v[34:35], |v[4:5]|, 0xffffff80
	v_cmp_le_f64_e64 vcc_lo, 0x7b000000, |v[4:5]|
	v_trig_preop_f64 v[36:37], |v[4:5]|, 0
	v_and_b32_e32 v1, 0x7fffffff, v5
	v_trig_preop_f64 v[38:39], |v[4:5]|, 1
	v_trig_preop_f64 v[48:49], |v[4:5]|, 2
	s_delay_alu instid0(VALU_DEP_3) | instskip(NEXT) | instid1(VALU_DEP_1)
	v_dual_cndmask_b32 v35, v1, v35 :: v_dual_cndmask_b32 v34, v4, v34
	v_mul_f64_e32 v[40:41], v[36:37], v[34:35]
	s_delay_alu instid0(VALU_DEP_4) | instskip(NEXT) | instid1(VALU_DEP_4)
	v_mul_f64_e32 v[42:43], v[38:39], v[34:35]
	v_mul_f64_e32 v[54:55], v[48:49], v[34:35]
	s_delay_alu instid0(VALU_DEP_3) | instskip(NEXT) | instid1(VALU_DEP_3)
	v_fma_f64 v[36:37], v[36:37], v[34:35], -v[40:41]
	v_fma_f64 v[38:39], v[38:39], v[34:35], -v[42:43]
	s_delay_alu instid0(VALU_DEP_3) | instskip(NEXT) | instid1(VALU_DEP_3)
	v_fma_f64 v[34:35], v[48:49], v[34:35], -v[54:55]
	v_add_f64_e32 v[44:45], v[42:43], v[36:37]
	s_delay_alu instid0(VALU_DEP_1) | instskip(SKIP_1) | instid1(VALU_DEP_2)
	v_add_f64_e64 v[46:47], v[44:45], -v[42:43]
	v_add_f64_e32 v[52:53], v[40:41], v[44:45]
	v_add_f64_e64 v[50:51], v[44:45], -v[46:47]
	v_add_f64_e64 v[36:37], v[36:37], -v[46:47]
	s_delay_alu instid0(VALU_DEP_3) | instskip(NEXT) | instid1(VALU_DEP_3)
	v_ldexp_f64 v[46:47], v[52:53], -2
	v_add_f64_e64 v[42:43], v[42:43], -v[50:51]
	v_add_f64_e32 v[50:51], v[54:55], v[38:39]
	s_delay_alu instid0(VALU_DEP_3) | instskip(NEXT) | instid1(VALU_DEP_3)
	v_cmp_neq_f64_e64 vcc_lo, 0x7ff00000, |v[46:47]|
	v_add_f64_e32 v[36:37], v[36:37], v[42:43]
	v_fract_f64_e32 v[42:43], v[46:47]
	s_delay_alu instid0(VALU_DEP_1) | instskip(NEXT) | instid1(VALU_DEP_1)
	v_ldexp_f64 v[42:43], v[42:43], 2
	v_dual_add_f64 v[40:41], v[52:53], -v[40:41] :: v_dual_cndmask_b32 v42, 0, v42, vcc_lo
	s_delay_alu instid0(VALU_DEP_1) | instskip(SKIP_1) | instid1(VALU_DEP_1)
	v_dual_add_f64 v[40:41], v[44:45], -v[40:41] :: v_dual_cndmask_b32 v43, 0, v43, vcc_lo
	v_add_f64_e32 v[44:45], v[50:51], v[36:37]
	v_add_f64_e32 v[46:47], v[40:41], v[44:45]
	v_add_f64_e64 v[56:57], v[44:45], -v[50:51]
	s_delay_alu instid0(VALU_DEP_2) | instskip(NEXT) | instid1(VALU_DEP_2)
	v_add_f64_e32 v[52:53], v[46:47], v[42:43]
	v_add_f64_e64 v[62:63], v[44:45], -v[56:57]
	v_add_f64_e64 v[36:37], v[36:37], -v[56:57]
	;; [unrolled: 1-line block ×3, first 2 shown]
	s_delay_alu instid0(VALU_DEP_4) | instskip(SKIP_1) | instid1(VALU_DEP_3)
	v_cmp_gt_f64_e32 vcc_lo, 0, v[52:53]
	v_add_f64_e64 v[52:53], v[50:51], -v[54:55]
	v_add_f64_e64 v[40:41], v[44:45], -v[40:41]
	v_cndmask_b32_e64 v21, 0, 0x40100000, vcc_lo
	s_delay_alu instid0(VALU_DEP_3) | instskip(SKIP_2) | instid1(VALU_DEP_4)
	v_add_f64_e64 v[60:61], v[50:51], -v[52:53]
	v_add_f64_e64 v[38:39], v[38:39], -v[52:53]
	v_add_f64_e64 v[50:51], v[50:51], -v[62:63]
	v_add_f64_e32 v[42:43], v[42:43], v[20:21]
	s_delay_alu instid0(VALU_DEP_4) | instskip(NEXT) | instid1(VALU_DEP_3)
	v_add_f64_e64 v[52:53], v[54:55], -v[60:61]
	v_add_f64_e32 v[36:37], v[36:37], v[50:51]
	s_delay_alu instid0(VALU_DEP_3) | instskip(NEXT) | instid1(VALU_DEP_3)
	v_add_f64_e32 v[58:59], v[46:47], v[42:43]
	v_add_f64_e32 v[38:39], v[38:39], v[52:53]
	s_delay_alu instid0(VALU_DEP_2) | instskip(NEXT) | instid1(VALU_DEP_2)
	v_cvt_i32_f64_e32 v1, v[58:59]
	v_add_f64_e32 v[36:37], v[38:39], v[36:37]
	s_delay_alu instid0(VALU_DEP_2) | instskip(NEXT) | instid1(VALU_DEP_2)
	v_cvt_f64_i32_e32 v[56:57], v1
	v_add_f64_e32 v[34:35], v[34:35], v[36:37]
	s_delay_alu instid0(VALU_DEP_2) | instskip(NEXT) | instid1(VALU_DEP_2)
	v_add_f64_e64 v[42:43], v[42:43], -v[56:57]
	v_add_f64_e32 v[34:35], v[40:41], v[34:35]
	s_delay_alu instid0(VALU_DEP_2) | instskip(NEXT) | instid1(VALU_DEP_1)
	v_add_f64_e32 v[38:39], v[46:47], v[42:43]
	v_add_f64_e64 v[36:37], v[38:39], -v[42:43]
	v_cmp_le_f64_e32 vcc_lo, 0.5, v[38:39]
	s_delay_alu instid0(VALU_DEP_2) | instskip(SKIP_2) | instid1(VALU_DEP_3)
	v_add_f64_e64 v[36:37], v[46:47], -v[36:37]
	v_cndmask_b32_e64 v21, 0, 0x3ff00000, vcc_lo
	v_add_co_ci_u32_e64 v1, null, 0, v1, vcc_lo
	v_add_f64_e32 v[34:35], v[34:35], v[36:37]
	s_delay_alu instid0(VALU_DEP_3) | instskip(NEXT) | instid1(VALU_DEP_1)
	v_add_f64_e64 v[36:37], v[38:39], -v[20:21]
	v_add_f64_e32 v[38:39], v[36:37], v[34:35]
	s_delay_alu instid0(VALU_DEP_1) | instskip(SKIP_1) | instid1(VALU_DEP_2)
	v_mul_f64_e32 v[40:41], 0x3ff921fb54442d18, v[38:39]
	v_add_f64_e64 v[36:37], v[38:39], -v[36:37]
	v_fma_f64 v[42:43], v[38:39], s[18:19], -v[40:41]
	s_delay_alu instid0(VALU_DEP_2) | instskip(NEXT) | instid1(VALU_DEP_2)
	v_add_f64_e64 v[34:35], v[34:35], -v[36:37]
	v_fmac_f64_e32 v[42:43], 0x3c91a62633145c07, v[38:39]
	s_delay_alu instid0(VALU_DEP_1) | instskip(NEXT) | instid1(VALU_DEP_1)
	v_fmac_f64_e32 v[42:43], 0x3ff921fb54442d18, v[34:35]
	v_add_f64_e32 v[34:35], v[40:41], v[42:43]
	s_delay_alu instid0(VALU_DEP_1) | instskip(NEXT) | instid1(VALU_DEP_1)
	v_add_f64_e64 v[36:37], v[34:35], -v[40:41]
	v_add_f64_e64 v[36:37], v[42:43], -v[36:37]
	s_and_not1_saveexec_b32 s3, s3
	s_cbranch_execz .LBB247_178
	s_branch .LBB247_177
.LBB247_176:                            ;   in Loop: Header=BB247_4 Depth=1
	s_and_not1_saveexec_b32 s3, s3
	s_cbranch_execz .LBB247_178
.LBB247_177:                            ;   in Loop: Header=BB247_4 Depth=1
	v_mul_f64_e64 v[34:35], |v[4:5]|, s[20:21]
	s_delay_alu instid0(VALU_DEP_1) | instskip(NEXT) | instid1(VALU_DEP_1)
	v_rndne_f64_e32 v[38:39], v[34:35]
	v_fma_f64 v[34:35], v[38:39], s[22:23], |v[4:5]|
	v_mul_f64_e32 v[36:37], 0xbc91a62633145c00, v[38:39]
	v_cvt_i32_f64_e32 v1, v[38:39]
	s_delay_alu instid0(VALU_DEP_3) | instskip(NEXT) | instid1(VALU_DEP_3)
	v_fmamk_f64 v[44:45], v[38:39], 0xbc91a62633145c00, v[34:35]
	v_add_f64_e32 v[40:41], v[34:35], v[36:37]
	s_delay_alu instid0(VALU_DEP_1) | instskip(NEXT) | instid1(VALU_DEP_3)
	v_add_f64_e64 v[42:43], v[34:35], -v[40:41]
	v_add_f64_e64 v[34:35], v[40:41], -v[44:45]
	s_delay_alu instid0(VALU_DEP_2) | instskip(SKIP_1) | instid1(VALU_DEP_2)
	v_add_f64_e32 v[40:41], v[42:43], v[36:37]
	v_fmamk_f64 v[36:37], v[38:39], 0x3c91a62633145c00, v[36:37]
	v_add_f64_e32 v[34:35], v[34:35], v[40:41]
	s_delay_alu instid0(VALU_DEP_1) | instskip(NEXT) | instid1(VALU_DEP_1)
	v_add_f64_e64 v[36:37], v[34:35], -v[36:37]
	v_fmac_f64_e32 v[36:37], 0xb97b839a252049c0, v[38:39]
	s_delay_alu instid0(VALU_DEP_1) | instskip(NEXT) | instid1(VALU_DEP_1)
	v_add_f64_e32 v[34:35], v[44:45], v[36:37]
	v_add_f64_e64 v[40:41], v[34:35], -v[44:45]
	s_delay_alu instid0(VALU_DEP_1)
	v_add_f64_e64 v[36:37], v[36:37], -v[40:41]
.LBB247_178:                            ;   in Loop: Header=BB247_4 Depth=1
	s_or_b32 exec_lo, exec_lo, s3
                                        ; implicit-def: $vgpr32
                                        ; implicit-def: $vgpr38_vgpr39
                                        ; implicit-def: $vgpr40_vgpr41
	s_and_saveexec_b32 s3, s2
	s_delay_alu instid0(SALU_CYCLE_1)
	s_xor_b32 s2, exec_lo, s3
	s_cbranch_execz .LBB247_180
; %bb.179:                              ;   in Loop: Header=BB247_4 Depth=1
	v_ldexp_f64 v[38:39], |v[4:5]|, 0xffffff80
	v_cmp_le_f64_e64 vcc_lo, 0x7b000000, |v[4:5]|
	v_trig_preop_f64 v[40:41], |v[4:5]|, 0
	v_and_b32_e32 v21, 0x7fffffff, v5
	v_trig_preop_f64 v[42:43], |v[4:5]|, 1
	v_trig_preop_f64 v[52:53], |v[4:5]|, 2
	s_delay_alu instid0(VALU_DEP_3) | instskip(NEXT) | instid1(VALU_DEP_1)
	v_dual_cndmask_b32 v39, v21, v39 :: v_dual_cndmask_b32 v38, v4, v38
	v_mul_f64_e32 v[44:45], v[40:41], v[38:39]
	s_delay_alu instid0(VALU_DEP_4) | instskip(NEXT) | instid1(VALU_DEP_4)
	v_mul_f64_e32 v[46:47], v[42:43], v[38:39]
	v_mul_f64_e32 v[58:59], v[52:53], v[38:39]
	s_delay_alu instid0(VALU_DEP_3) | instskip(NEXT) | instid1(VALU_DEP_3)
	v_fma_f64 v[40:41], v[40:41], v[38:39], -v[44:45]
	v_fma_f64 v[42:43], v[42:43], v[38:39], -v[46:47]
	s_delay_alu instid0(VALU_DEP_3) | instskip(NEXT) | instid1(VALU_DEP_3)
	v_fma_f64 v[38:39], v[52:53], v[38:39], -v[58:59]
	v_add_f64_e32 v[48:49], v[46:47], v[40:41]
	s_delay_alu instid0(VALU_DEP_1) | instskip(SKIP_1) | instid1(VALU_DEP_2)
	v_add_f64_e64 v[50:51], v[48:49], -v[46:47]
	v_add_f64_e32 v[56:57], v[44:45], v[48:49]
	v_add_f64_e64 v[54:55], v[48:49], -v[50:51]
	v_add_f64_e64 v[40:41], v[40:41], -v[50:51]
	s_delay_alu instid0(VALU_DEP_3) | instskip(NEXT) | instid1(VALU_DEP_3)
	v_ldexp_f64 v[50:51], v[56:57], -2
	v_add_f64_e64 v[46:47], v[46:47], -v[54:55]
	v_add_f64_e32 v[54:55], v[58:59], v[42:43]
	s_delay_alu instid0(VALU_DEP_3) | instskip(NEXT) | instid1(VALU_DEP_3)
	v_cmp_neq_f64_e64 vcc_lo, 0x7ff00000, |v[50:51]|
	v_add_f64_e32 v[40:41], v[40:41], v[46:47]
	v_fract_f64_e32 v[46:47], v[50:51]
	s_delay_alu instid0(VALU_DEP_1) | instskip(NEXT) | instid1(VALU_DEP_1)
	v_ldexp_f64 v[46:47], v[46:47], 2
	v_dual_add_f64 v[44:45], v[56:57], -v[44:45] :: v_dual_cndmask_b32 v46, 0, v46, vcc_lo
	s_delay_alu instid0(VALU_DEP_1) | instskip(SKIP_1) | instid1(VALU_DEP_1)
	v_dual_add_f64 v[44:45], v[48:49], -v[44:45] :: v_dual_cndmask_b32 v47, 0, v47, vcc_lo
	v_add_f64_e32 v[48:49], v[54:55], v[40:41]
	v_add_f64_e32 v[50:51], v[44:45], v[48:49]
	v_add_f64_e64 v[60:61], v[48:49], -v[54:55]
	s_delay_alu instid0(VALU_DEP_2) | instskip(NEXT) | instid1(VALU_DEP_2)
	v_add_f64_e32 v[56:57], v[50:51], v[46:47]
	v_add_f64_e64 v[66:67], v[48:49], -v[60:61]
	v_add_f64_e64 v[40:41], v[40:41], -v[60:61]
	;; [unrolled: 1-line block ×3, first 2 shown]
	s_delay_alu instid0(VALU_DEP_4) | instskip(SKIP_1) | instid1(VALU_DEP_3)
	v_cmp_gt_f64_e32 vcc_lo, 0, v[56:57]
	v_add_f64_e64 v[56:57], v[54:55], -v[58:59]
	v_add_f64_e64 v[44:45], v[48:49], -v[44:45]
	v_cndmask_b32_e64 v21, 0, 0x40100000, vcc_lo
	s_delay_alu instid0(VALU_DEP_3) | instskip(SKIP_2) | instid1(VALU_DEP_4)
	v_add_f64_e64 v[64:65], v[54:55], -v[56:57]
	v_add_f64_e64 v[42:43], v[42:43], -v[56:57]
	;; [unrolled: 1-line block ×3, first 2 shown]
	v_add_f64_e32 v[46:47], v[46:47], v[20:21]
	s_delay_alu instid0(VALU_DEP_4) | instskip(NEXT) | instid1(VALU_DEP_3)
	v_add_f64_e64 v[56:57], v[58:59], -v[64:65]
	v_add_f64_e32 v[40:41], v[40:41], v[54:55]
	s_delay_alu instid0(VALU_DEP_3) | instskip(NEXT) | instid1(VALU_DEP_3)
	v_add_f64_e32 v[62:63], v[50:51], v[46:47]
	v_add_f64_e32 v[42:43], v[42:43], v[56:57]
	s_delay_alu instid0(VALU_DEP_2) | instskip(NEXT) | instid1(VALU_DEP_2)
	v_cvt_i32_f64_e32 v21, v[62:63]
	v_add_f64_e32 v[40:41], v[42:43], v[40:41]
	s_delay_alu instid0(VALU_DEP_2) | instskip(NEXT) | instid1(VALU_DEP_2)
	v_cvt_f64_i32_e32 v[60:61], v21
	v_add_f64_e32 v[38:39], v[38:39], v[40:41]
	s_delay_alu instid0(VALU_DEP_2) | instskip(NEXT) | instid1(VALU_DEP_2)
	v_add_f64_e64 v[46:47], v[46:47], -v[60:61]
	v_add_f64_e32 v[38:39], v[44:45], v[38:39]
	s_delay_alu instid0(VALU_DEP_2) | instskip(NEXT) | instid1(VALU_DEP_1)
	v_add_f64_e32 v[42:43], v[50:51], v[46:47]
	v_add_f64_e64 v[40:41], v[42:43], -v[46:47]
	v_cmp_le_f64_e32 vcc_lo, 0.5, v[42:43]
	s_delay_alu instid0(VALU_DEP_2) | instskip(SKIP_2) | instid1(VALU_DEP_3)
	v_add_f64_e64 v[40:41], v[50:51], -v[40:41]
	v_add_co_ci_u32_e64 v32, null, 0, v21, vcc_lo
	v_cndmask_b32_e64 v21, 0, 0x3ff00000, vcc_lo
	v_add_f64_e32 v[38:39], v[38:39], v[40:41]
	s_delay_alu instid0(VALU_DEP_2) | instskip(NEXT) | instid1(VALU_DEP_1)
	v_add_f64_e64 v[40:41], v[42:43], -v[20:21]
	v_add_f64_e32 v[42:43], v[40:41], v[38:39]
	s_delay_alu instid0(VALU_DEP_1) | instskip(SKIP_1) | instid1(VALU_DEP_2)
	v_mul_f64_e32 v[44:45], 0x3ff921fb54442d18, v[42:43]
	v_add_f64_e64 v[40:41], v[42:43], -v[40:41]
	v_fma_f64 v[46:47], v[42:43], s[18:19], -v[44:45]
	s_delay_alu instid0(VALU_DEP_2) | instskip(NEXT) | instid1(VALU_DEP_2)
	v_add_f64_e64 v[38:39], v[38:39], -v[40:41]
	v_fmac_f64_e32 v[46:47], 0x3c91a62633145c07, v[42:43]
	s_delay_alu instid0(VALU_DEP_1) | instskip(NEXT) | instid1(VALU_DEP_1)
	v_fmac_f64_e32 v[46:47], 0x3ff921fb54442d18, v[38:39]
	v_add_f64_e32 v[38:39], v[44:45], v[46:47]
	s_delay_alu instid0(VALU_DEP_1) | instskip(NEXT) | instid1(VALU_DEP_1)
	v_add_f64_e64 v[40:41], v[38:39], -v[44:45]
	v_add_f64_e64 v[40:41], v[46:47], -v[40:41]
	s_and_not1_saveexec_b32 s2, s2
	s_cbranch_execnz .LBB247_181
	s_branch .LBB247_182
.LBB247_180:                            ;   in Loop: Header=BB247_4 Depth=1
	s_and_not1_saveexec_b32 s2, s2
	s_cbranch_execz .LBB247_182
.LBB247_181:                            ;   in Loop: Header=BB247_4 Depth=1
	v_mul_f64_e64 v[38:39], |v[4:5]|, s[20:21]
	s_delay_alu instid0(VALU_DEP_1) | instskip(NEXT) | instid1(VALU_DEP_1)
	v_rndne_f64_e32 v[42:43], v[38:39]
	v_fma_f64 v[38:39], v[42:43], s[22:23], |v[4:5]|
	v_mul_f64_e32 v[40:41], 0xbc91a62633145c00, v[42:43]
	v_cvt_i32_f64_e32 v32, v[42:43]
	s_delay_alu instid0(VALU_DEP_3) | instskip(NEXT) | instid1(VALU_DEP_3)
	v_fmamk_f64 v[48:49], v[42:43], 0xbc91a62633145c00, v[38:39]
	v_add_f64_e32 v[44:45], v[38:39], v[40:41]
	s_delay_alu instid0(VALU_DEP_1) | instskip(NEXT) | instid1(VALU_DEP_3)
	v_add_f64_e64 v[46:47], v[38:39], -v[44:45]
	v_add_f64_e64 v[38:39], v[44:45], -v[48:49]
	s_delay_alu instid0(VALU_DEP_2) | instskip(SKIP_1) | instid1(VALU_DEP_2)
	v_add_f64_e32 v[44:45], v[46:47], v[40:41]
	v_fmamk_f64 v[40:41], v[42:43], 0x3c91a62633145c00, v[40:41]
	v_add_f64_e32 v[38:39], v[38:39], v[44:45]
	s_delay_alu instid0(VALU_DEP_1) | instskip(NEXT) | instid1(VALU_DEP_1)
	v_add_f64_e64 v[40:41], v[38:39], -v[40:41]
	v_fmac_f64_e32 v[40:41], 0xb97b839a252049c0, v[42:43]
	s_delay_alu instid0(VALU_DEP_1) | instskip(NEXT) | instid1(VALU_DEP_1)
	v_add_f64_e32 v[38:39], v[48:49], v[40:41]
	v_add_f64_e64 v[44:45], v[38:39], -v[48:49]
	s_delay_alu instid0(VALU_DEP_1)
	v_add_f64_e64 v[40:41], v[40:41], -v[44:45]
.LBB247_182:                            ;   in Loop: Header=BB247_4 Depth=1
	s_or_b32 exec_lo, exec_lo, s2
	v_add_f64_e64 v[2:3], -v[2:3], s[26:27]
	v_mul_f64_e32 v[44:45], v[34:35], v[34:35]
	v_mul_f64_e32 v[46:47], v[38:39], v[38:39]
	s_delay_alu instid0(VALU_DEP_4)
	v_mul_f64_e32 v[68:69], 0.5, v[40:41]
	v_cmp_class_f64_e64 s2, v[4:5], 0x1f8
	v_lshlrev_b32_e32 v5, 30, v32
	v_mul_f64_e32 v[42:43], 0x3ff71547652b82fe, v[2:3]
	v_cmp_nlt_f64_e64 s3, 0x40900000, v[2:3]
	v_cmp_ngt_f64_e64 s4, 0xc090cc00, v[2:3]
	s_delay_alu instid0(VALU_DEP_3) | instskip(NEXT) | instid1(VALU_DEP_1)
	v_rndne_f64_e32 v[42:43], v[42:43]
	v_fmamk_f64 v[52:53], v[42:43], 0xbfe62e42fefa39ef, v[2:3]
	v_and_b32_e32 v2, 1, v32
	v_cvt_i32_f64_e32 v21, v[42:43]
	v_mul_f64_e64 v[70:71], v[38:39], -v[46:47]
	v_fmamk_f64 v[74:75], v[46:47], 0x3de5e0b2f9a43bb8, v[28:29]
	s_delay_alu instid0(VALU_DEP_4) | instskip(SKIP_3) | instid1(VALU_DEP_3)
	v_cmp_eq_u32_e64 s5, 0, v2
	v_mul_f64_e32 v[48:49], 0.5, v[44:45]
	v_fmac_f64_e32 v[52:53], 0xbc7abc9e3b39803f, v[42:43]
	v_mul_f64_e32 v[58:59], 0.5, v[36:37]
	v_add_f64_e64 v[54:55], -v[48:49], 1.0
	s_delay_alu instid0(VALU_DEP_3) | instskip(NEXT) | instid1(VALU_DEP_1)
	v_fmamk_f64 v[66:67], v[52:53], 0x3e5ade156a5dcb37, v[24:25]
	v_fmaak_f64 v[66:67], v[52:53], v[66:67], 0x3ec71dee623fde64
	s_delay_alu instid0(VALU_DEP_1) | instskip(NEXT) | instid1(VALU_DEP_1)
	v_fmaak_f64 v[66:67], v[52:53], v[66:67], 0x3efa01997c89e6b0
	v_fmaak_f64 v[66:67], v[52:53], v[66:67], 0x3f2a01a014761f6e
	v_add_f64_e64 v[62:63], -v[54:55], 1.0
	s_delay_alu instid0(VALU_DEP_1) | instskip(NEXT) | instid1(VALU_DEP_3)
	v_add_f64_e64 v[48:49], v[62:63], -v[48:49]
	v_fmaak_f64 v[62:63], v[52:53], v[66:67], 0x3f56c16c1852b7b0
	s_delay_alu instid0(VALU_DEP_1) | instskip(NEXT) | instid1(VALU_DEP_1)
	v_fmaak_f64 v[62:63], v[52:53], v[62:63], 0x3f81111111122322
	v_fmaak_f64 v[62:63], v[52:53], v[62:63], 0x3fa55555555502a1
	s_delay_alu instid0(VALU_DEP_1) | instskip(NEXT) | instid1(VALU_DEP_1)
	v_fmaak_f64 v[62:63], v[52:53], v[62:63], 0x3fc5555555555511
	v_fmaak_f64 v[62:63], v[52:53], v[62:63], 0x3fe000000000000b
	s_delay_alu instid0(VALU_DEP_1) | instskip(NEXT) | instid1(VALU_DEP_1)
	v_fma_f64 v[62:63], v[52:53], v[62:63], 1.0
	v_fma_f64 v[42:43], v[52:53], v[62:63], 1.0
	s_delay_alu instid0(VALU_DEP_1)
	v_ldexp_f64 v[42:43], v[42:43], v21
	v_and_b32_e32 v21, 1, v1
	v_mul_f64_e64 v[60:61], v[34:35], -v[44:45]
	v_fmamk_f64 v[64:65], v[44:45], 0x3de5e0b2f9a43bb8, v[28:29]
	v_mul_f64_e32 v[66:67], v[44:45], v[44:45]
	v_lshlrev_b32_e32 v1, 30, v1
	v_cmp_eq_u32_e32 vcc_lo, 0, v21
	s_delay_alu instid0(VALU_DEP_4) | instskip(NEXT) | instid1(VALU_DEP_1)
	v_fmaak_f64 v[64:65], v[44:45], v[64:65], 0x3ec71de3796cde01
	v_fmaak_f64 v[64:65], v[44:45], v[64:65], 0xbf2a01a019e83e5c
	s_delay_alu instid0(VALU_DEP_1) | instskip(SKIP_1) | instid1(VALU_DEP_2)
	v_fmaak_f64 v[64:65], v[44:45], v[64:65], 0x3f81111111110bb3
	v_cndmask_b32_e64 v4, 0x7ff00000, v43, s3
	v_fmac_f64_e32 v[58:59], v[60:61], v[64:65]
	v_fmaak_f64 v[64:65], v[46:47], v[74:75], 0x3ec71de3796cde01
	s_delay_alu instid0(VALU_DEP_1) | instskip(NEXT) | instid1(VALU_DEP_1)
	v_fmaak_f64 v[64:65], v[46:47], v[64:65], 0xbf2a01a019e83e5c
	v_fmaak_f64 v[64:65], v[46:47], v[64:65], 0x3f81111111110bb3
	s_delay_alu instid0(VALU_DEP_1) | instskip(SKIP_3) | instid1(VALU_DEP_3)
	v_fmac_f64_e32 v[68:69], v[70:71], v[64:65]
	v_fmamk_f64 v[64:65], v[44:45], 0xbda907db46cc5e42, v[26:27]
	v_fma_f64 v[58:59], v[44:45], v[58:59], -v[36:37]
	v_fma_f64 v[36:37], v[34:35], -v[36:37], v[48:49]
	v_fmaak_f64 v[48:49], v[44:45], v[64:65], 0xbe927e4fa17f65f6
	v_mul_f64_e32 v[64:65], v[46:47], v[46:47]
	s_delay_alu instid0(VALU_DEP_2) | instskip(NEXT) | instid1(VALU_DEP_1)
	v_fmaak_f64 v[48:49], v[44:45], v[48:49], 0x3efa01a019f4ec90
	v_fmaak_f64 v[48:49], v[44:45], v[48:49], 0xbf56c16c16c16967
	s_delay_alu instid0(VALU_DEP_1) | instskip(SKIP_2) | instid1(VALU_DEP_3)
	v_fmaak_f64 v[44:45], v[44:45], v[48:49], 0x3fa5555555555555
	v_fma_f64 v[48:49], v[46:47], v[68:69], -v[40:41]
	v_fmac_f64_e32 v[58:59], 0xbfc5555555555555, v[60:61]
	v_fmac_f64_e32 v[36:37], v[66:67], v[44:45]
	s_delay_alu instid0(VALU_DEP_3) | instskip(NEXT) | instid1(VALU_DEP_3)
	v_fmac_f64_e32 v[48:49], 0xbfc5555555555555, v[70:71]
	v_add_f64_e64 v[34:35], v[34:35], -v[58:59]
	s_delay_alu instid0(VALU_DEP_3) | instskip(SKIP_1) | instid1(VALU_DEP_3)
	v_add_f64_e32 v[36:37], v[54:55], v[36:37]
	v_mul_f64_e32 v[50:51], 0.5, v[46:47]
	v_xor_b32_e32 v3, 0x80000000, v35
	s_delay_alu instid0(VALU_DEP_3) | instskip(NEXT) | instid1(VALU_DEP_3)
	v_cndmask_b32_e32 v21, v34, v36, vcc_lo
	v_add_f64_e64 v[56:57], -v[50:51], 1.0
	s_delay_alu instid0(VALU_DEP_3) | instskip(SKIP_2) | instid1(VALU_DEP_2)
	v_cndmask_b32_e32 v2, v3, v37, vcc_lo
	v_xor_b32_e32 v3, v5, v33
	s_and_b32 vcc_lo, s4, s3
	v_bitop3_b32 v1, v2, v1, 0x80000000 bitop3:0x78
	v_cndmask_b32_e64 v2, 0, v21, s2
	v_add_f64_e64 v[72:73], -v[56:57], 1.0
	s_delay_alu instid0(VALU_DEP_1) | instskip(SKIP_1) | instid1(VALU_DEP_2)
	v_add_f64_e64 v[50:51], v[72:73], -v[50:51]
	v_fmamk_f64 v[72:73], v[46:47], 0xbda907db46cc5e42, v[26:27]
	v_fma_f64 v[40:41], v[38:39], -v[40:41], v[50:51]
	s_delay_alu instid0(VALU_DEP_2) | instskip(SKIP_1) | instid1(VALU_DEP_2)
	v_fmaak_f64 v[50:51], v[46:47], v[72:73], 0xbe927e4fa17f65f6
	v_add_f64_e64 v[38:39], v[38:39], -v[48:49]
	v_fmaak_f64 v[44:45], v[46:47], v[50:51], 0x3efa01a019f4ec90
	s_delay_alu instid0(VALU_DEP_1) | instskip(NEXT) | instid1(VALU_DEP_1)
	v_fmaak_f64 v[44:45], v[46:47], v[44:45], 0xbf56c16c16c16967
	v_fmaak_f64 v[44:45], v[46:47], v[44:45], 0x3fa5555555555555
	s_delay_alu instid0(VALU_DEP_1) | instskip(NEXT) | instid1(VALU_DEP_1)
	v_fmac_f64_e32 v[40:41], v[64:65], v[44:45]
	v_add_f64_e32 v[40:41], v[56:57], v[40:41]
	s_delay_alu instid0(VALU_DEP_1) | instskip(SKIP_1) | instid1(VALU_DEP_2)
	v_dual_cndmask_b32 v32, v41, v39, s5 :: v_dual_cndmask_b32 v5, v40, v38, s5
	v_cndmask_b32_e64 v34, 0, v4, s4
	v_bitop3_b32 v21, v32, v3, 0x80000000 bitop3:0x78
	v_cndmask_b32_e64 v3, 0x7ff80000, v1, s2
	s_delay_alu instid0(VALU_DEP_4) | instskip(NEXT) | instid1(VALU_DEP_4)
	v_cndmask_b32_e64 v4, 0, v5, s2
	v_and_or_b32 v33, v34, s36, 0x7fe00000
	v_cndmask_b32_e32 v32, 0, v42, vcc_lo
	v_cndmask_b32_e64 v5, 0x7ff80000, v21, s2
	v_lshrrev_b32_e32 v1, 20, v34
	s_delay_alu instid0(VALU_DEP_3) | instskip(NEXT) | instid1(VALU_DEP_3)
	v_mul_f64_e32 v[2:3], v[32:33], v[2:3]
	v_mul_f64_e32 v[4:5], v[32:33], v[4:5]
	s_delay_alu instid0(VALU_DEP_3) | instskip(NEXT) | instid1(VALU_DEP_1)
	v_add_nc_u32_e32 v1, 0xffffff09, v1
	v_lshrrev_b16 v21, 15, v1
	s_delay_alu instid0(VALU_DEP_1) | instskip(NEXT) | instid1(VALU_DEP_1)
	v_add_nc_u16 v21, v1, v21
	v_ashrrev_i16 v21, 1, v21
	s_delay_alu instid0(VALU_DEP_1) | instskip(NEXT) | instid1(VALU_DEP_1)
	v_bfe_i32 v32, v21, 0, 16
	v_lshl_add_u32 v21, v32, 20, 0x3ff00000
	v_dual_mov_b32 v32, v20 :: v_dual_sub_nc_u32 v1, v1, v32
	s_delay_alu instid0(VALU_DEP_2) | instskip(SKIP_1) | instid1(VALU_DEP_3)
	v_mul_f64_e32 v[2:3], v[2:3], v[20:21]
	v_mul_f64_e32 v[4:5], v[4:5], v[20:21]
	v_lshl_add_u32 v33, v1, 20, 0x3ff00000
	s_delay_alu instid0(VALU_DEP_1) | instskip(NEXT) | instid1(VALU_DEP_3)
	v_mul_f64_e32 v[34:35], v[2:3], v[32:33]
	v_mul_f64_e32 v[32:33], v[4:5], v[32:33]
.LBB247_183:                            ;   in Loop: Header=BB247_4 Depth=1
	s_or_b32 exec_lo, exec_lo, s41
                                        ; implicit-def: $vgpr36_vgpr37
                                        ; implicit-def: $vgpr2_vgpr3
                                        ; implicit-def: $vgpr1
.LBB247_184:                            ;   in Loop: Header=BB247_4 Depth=1
	s_and_not1_saveexec_b32 s3, s40
	s_cbranch_execz .LBB247_190
; %bb.185:                              ;   in Loop: Header=BB247_4 Depth=1
	v_add_f64_e64 v[32:33], v[4:5], -v[4:5]
	v_cmp_ne_u32_e32 vcc_lo, 0, v2
	v_cmp_ne_u32_e64 s2, 0x7ff00000, v1
	s_or_b32 s2, vcc_lo, s2
	s_delay_alu instid0(SALU_CYCLE_1) | instskip(NEXT) | instid1(SALU_CYCLE_1)
	s_and_saveexec_b32 s4, s2
	s_xor_b32 s2, exec_lo, s4
; %bb.186:                              ;   in Loop: Header=BB247_4 Depth=1
                                        ; implicit-def: $vgpr36_vgpr37
                                        ; implicit-def: $vgpr2_vgpr3
; %bb.187:                              ;   in Loop: Header=BB247_4 Depth=1
	s_delay_alu instid0(SALU_CYCLE_1)
	s_or_saveexec_b32 s2, s2
	v_mov_b64_e32 v[34:35], v[32:33]
	s_xor_b32 exec_lo, exec_lo, s2
; %bb.188:                              ;   in Loop: Header=BB247_4 Depth=1
	v_cmp_lt_i64_e32 vcc_lo, -1, v[36:37]
	v_dual_cndmask_b32 v35, 0, v37 :: v_dual_cndmask_b32 v34, 0, v2
	v_dual_cndmask_b32 v33, 0, v33 :: v_dual_cndmask_b32 v32, 0, v32
; %bb.189:                              ;   in Loop: Header=BB247_4 Depth=1
	s_or_b32 exec_lo, exec_lo, s2
.LBB247_190:                            ;   in Loop: Header=BB247_4 Depth=1
	s_delay_alu instid0(SALU_CYCLE_1)
	s_or_b32 exec_lo, exec_lo, s3
                                        ; implicit-def: $vgpr4_vgpr5
.LBB247_191:                            ;   in Loop: Header=BB247_4 Depth=1
	s_and_not1_saveexec_b32 s4, s39
	s_cbranch_execz .LBB247_201
; %bb.192:                              ;   in Loop: Header=BB247_4 Depth=1
	v_cmp_ngt_f64_e64 s2, 0x41d00000, |v[4:5]|
	v_trig_preop_f64 v[40:41], |v[4:5]|, 0
	v_trig_preop_f64 v[38:39], |v[4:5]|, 1
	v_ldexp_f64 v[42:43], |v[4:5]|, 0xffffff80
	v_trig_preop_f64 v[36:37], |v[4:5]|, 2
	v_and_b32_e32 v32, 0x7fffffff, v5
                                        ; implicit-def: $vgpr1
                                        ; implicit-def: $vgpr2_vgpr3
                                        ; implicit-def: $vgpr34_vgpr35
	s_and_saveexec_b32 s3, s2
	s_delay_alu instid0(SALU_CYCLE_1)
	s_xor_b32 s3, exec_lo, s3
	s_cbranch_execz .LBB247_194
; %bb.193:                              ;   in Loop: Header=BB247_4 Depth=1
	v_cmp_le_f64_e64 vcc_lo, 0x7b000000, |v[4:5]|
	s_delay_alu instid0(VALU_DEP_4) | instskip(SKIP_1) | instid1(VALU_DEP_1)
	v_cndmask_b32_e32 v3, v32, v43, vcc_lo
	v_cndmask_b32_e32 v2, v4, v42, vcc_lo
	v_mul_f64_e32 v[34:35], v[40:41], v[2:3]
	v_mul_f64_e32 v[44:45], v[38:39], v[2:3]
	s_delay_alu instid0(VALU_DEP_2) | instskip(NEXT) | instid1(VALU_DEP_1)
	v_fma_f64 v[46:47], v[40:41], v[2:3], -v[34:35]
	v_add_f64_e32 v[48:49], v[44:45], v[46:47]
	s_delay_alu instid0(VALU_DEP_1) | instskip(SKIP_2) | instid1(VALU_DEP_3)
	v_add_f64_e64 v[50:51], v[48:49], -v[44:45]
	v_add_f64_e32 v[54:55], v[34:35], v[48:49]
	v_fma_f64 v[58:59], v[38:39], v[2:3], -v[44:45]
	v_add_f64_e64 v[52:53], v[48:49], -v[50:51]
	v_add_f64_e64 v[46:47], v[46:47], -v[50:51]
	s_delay_alu instid0(VALU_DEP_4) | instskip(SKIP_1) | instid1(VALU_DEP_2)
	v_ldexp_f64 v[50:51], v[54:55], -2
	v_add_f64_e64 v[34:35], v[54:55], -v[34:35]
	v_cmp_neq_f64_e64 vcc_lo, 0x7ff00000, |v[50:51]|
	v_add_f64_e64 v[44:45], v[44:45], -v[52:53]
	s_delay_alu instid0(VALU_DEP_3) | instskip(NEXT) | instid1(VALU_DEP_2)
	v_add_f64_e64 v[34:35], v[48:49], -v[34:35]
	v_add_f64_e32 v[44:45], v[46:47], v[44:45]
	v_mul_f64_e32 v[56:57], v[36:37], v[2:3]
	v_fract_f64_e32 v[46:47], v[50:51]
	s_delay_alu instid0(VALU_DEP_2) | instskip(NEXT) | instid1(VALU_DEP_2)
	v_add_f64_e32 v[52:53], v[56:57], v[58:59]
	v_ldexp_f64 v[46:47], v[46:47], 2
	v_fma_f64 v[2:3], v[36:37], v[2:3], -v[56:57]
	s_delay_alu instid0(VALU_DEP_2) | instskip(NEXT) | instid1(VALU_DEP_1)
	v_dual_add_f64 v[48:49], v[52:53], v[44:45] :: v_dual_cndmask_b32 v47, 0, v47, vcc_lo
	v_dual_add_f64 v[50:51], v[34:35], v[48:49] :: v_dual_cndmask_b32 v46, 0, v46, vcc_lo
	v_add_f64_e64 v[60:61], v[48:49], -v[52:53]
	s_delay_alu instid0(VALU_DEP_2) | instskip(NEXT) | instid1(VALU_DEP_2)
	v_add_f64_e32 v[54:55], v[50:51], v[46:47]
	v_add_f64_e64 v[66:67], v[48:49], -v[60:61]
	v_add_f64_e64 v[44:45], v[44:45], -v[60:61]
	v_add_f64_e64 v[34:35], v[50:51], -v[34:35]
	s_delay_alu instid0(VALU_DEP_4) | instskip(SKIP_1) | instid1(VALU_DEP_3)
	v_cmp_gt_f64_e32 vcc_lo, 0, v[54:55]
	v_add_f64_e64 v[54:55], v[52:53], -v[56:57]
	v_add_f64_e64 v[34:35], v[48:49], -v[34:35]
	v_cndmask_b32_e64 v21, 0, 0x40100000, vcc_lo
	s_delay_alu instid0(VALU_DEP_3) | instskip(SKIP_2) | instid1(VALU_DEP_4)
	v_add_f64_e64 v[64:65], v[52:53], -v[54:55]
	v_add_f64_e64 v[54:55], v[58:59], -v[54:55]
	;; [unrolled: 1-line block ×3, first 2 shown]
	v_add_f64_e32 v[46:47], v[46:47], v[20:21]
	s_delay_alu instid0(VALU_DEP_4) | instskip(NEXT) | instid1(VALU_DEP_3)
	v_add_f64_e64 v[58:59], v[56:57], -v[64:65]
	v_add_f64_e32 v[44:45], v[44:45], v[52:53]
	s_delay_alu instid0(VALU_DEP_3) | instskip(NEXT) | instid1(VALU_DEP_3)
	v_add_f64_e32 v[62:63], v[50:51], v[46:47]
	v_add_f64_e32 v[54:55], v[54:55], v[58:59]
	s_delay_alu instid0(VALU_DEP_2) | instskip(NEXT) | instid1(VALU_DEP_2)
	v_cvt_i32_f64_e32 v1, v[62:63]
	v_add_f64_e32 v[44:45], v[54:55], v[44:45]
	s_delay_alu instid0(VALU_DEP_2) | instskip(NEXT) | instid1(VALU_DEP_2)
	v_cvt_f64_i32_e32 v[60:61], v1
	v_add_f64_e32 v[2:3], v[2:3], v[44:45]
	s_delay_alu instid0(VALU_DEP_2) | instskip(NEXT) | instid1(VALU_DEP_2)
	v_add_f64_e64 v[46:47], v[46:47], -v[60:61]
	v_add_f64_e32 v[2:3], v[34:35], v[2:3]
	s_delay_alu instid0(VALU_DEP_2) | instskip(NEXT) | instid1(VALU_DEP_1)
	v_add_f64_e32 v[52:53], v[50:51], v[46:47]
	v_add_f64_e64 v[44:45], v[52:53], -v[46:47]
	v_cmp_le_f64_e32 vcc_lo, 0.5, v[52:53]
	s_delay_alu instid0(VALU_DEP_2) | instskip(SKIP_2) | instid1(VALU_DEP_3)
	v_add_f64_e64 v[34:35], v[50:51], -v[44:45]
	v_cndmask_b32_e64 v21, 0, 0x3ff00000, vcc_lo
	v_add_co_ci_u32_e64 v1, null, 0, v1, vcc_lo
	v_add_f64_e32 v[2:3], v[2:3], v[34:35]
	s_delay_alu instid0(VALU_DEP_3) | instskip(NEXT) | instid1(VALU_DEP_1)
	v_add_f64_e64 v[34:35], v[52:53], -v[20:21]
	v_add_f64_e32 v[44:45], v[34:35], v[2:3]
	s_delay_alu instid0(VALU_DEP_1) | instskip(SKIP_1) | instid1(VALU_DEP_2)
	v_mul_f64_e32 v[46:47], 0x3ff921fb54442d18, v[44:45]
	v_add_f64_e64 v[34:35], v[44:45], -v[34:35]
	v_fma_f64 v[48:49], v[44:45], s[18:19], -v[46:47]
	s_delay_alu instid0(VALU_DEP_2) | instskip(NEXT) | instid1(VALU_DEP_2)
	v_add_f64_e64 v[2:3], v[2:3], -v[34:35]
	v_fmac_f64_e32 v[48:49], 0x3c91a62633145c07, v[44:45]
	s_delay_alu instid0(VALU_DEP_1) | instskip(NEXT) | instid1(VALU_DEP_1)
	v_fmac_f64_e32 v[48:49], 0x3ff921fb54442d18, v[2:3]
	v_add_f64_e32 v[2:3], v[46:47], v[48:49]
	s_delay_alu instid0(VALU_DEP_1) | instskip(NEXT) | instid1(VALU_DEP_1)
	v_add_f64_e64 v[34:35], v[2:3], -v[46:47]
	v_add_f64_e64 v[34:35], v[48:49], -v[34:35]
.LBB247_194:                            ;   in Loop: Header=BB247_4 Depth=1
	s_or_saveexec_b32 s3, s3
	v_mul_f64_e64 v[44:45], |v[4:5]|, s[20:21]
	s_delay_alu instid0(VALU_DEP_1)
	v_rndne_f64_e32 v[48:49], v[44:45]
	s_xor_b32 exec_lo, exec_lo, s3
	s_cbranch_execz .LBB247_196
; %bb.195:                              ;   in Loop: Header=BB247_4 Depth=1
	s_delay_alu instid0(VALU_DEP_1) | instskip(SKIP_2) | instid1(VALU_DEP_3)
	v_fma_f64 v[2:3], v[48:49], s[22:23], |v[4:5]|
	v_mul_f64_e32 v[34:35], 0xbc91a62633145c00, v[48:49]
	v_cvt_i32_f64_e32 v1, v[48:49]
	v_fmamk_f64 v[50:51], v[48:49], 0xbc91a62633145c00, v[2:3]
	s_delay_alu instid0(VALU_DEP_3) | instskip(NEXT) | instid1(VALU_DEP_1)
	v_add_f64_e32 v[44:45], v[2:3], v[34:35]
	v_add_f64_e64 v[46:47], v[2:3], -v[44:45]
	s_delay_alu instid0(VALU_DEP_3) | instskip(NEXT) | instid1(VALU_DEP_2)
	v_add_f64_e64 v[2:3], v[44:45], -v[50:51]
	v_add_f64_e32 v[44:45], v[46:47], v[34:35]
	v_fmamk_f64 v[34:35], v[48:49], 0x3c91a62633145c00, v[34:35]
	s_delay_alu instid0(VALU_DEP_2) | instskip(NEXT) | instid1(VALU_DEP_1)
	v_add_f64_e32 v[2:3], v[2:3], v[44:45]
	v_add_f64_e64 v[34:35], v[2:3], -v[34:35]
	s_delay_alu instid0(VALU_DEP_1) | instskip(NEXT) | instid1(VALU_DEP_1)
	v_fmac_f64_e32 v[34:35], 0xb97b839a252049c0, v[48:49]
	v_add_f64_e32 v[2:3], v[50:51], v[34:35]
	s_delay_alu instid0(VALU_DEP_1) | instskip(NEXT) | instid1(VALU_DEP_1)
	v_add_f64_e64 v[44:45], v[2:3], -v[50:51]
	v_add_f64_e64 v[34:35], v[34:35], -v[44:45]
.LBB247_196:                            ;   in Loop: Header=BB247_4 Depth=1
	s_or_b32 exec_lo, exec_lo, s3
                                        ; implicit-def: $vgpr50
                                        ; implicit-def: $vgpr44_vgpr45
                                        ; implicit-def: $vgpr46_vgpr47
	s_and_saveexec_b32 s3, s2
	s_delay_alu instid0(SALU_CYCLE_1)
	s_xor_b32 s2, exec_lo, s3
	s_cbranch_execz .LBB247_198
; %bb.197:                              ;   in Loop: Header=BB247_4 Depth=1
	v_cmp_le_f64_e64 vcc_lo, 0x7b000000, |v[4:5]|
	v_cndmask_b32_e32 v43, v32, v43, vcc_lo
	v_cndmask_b32_e32 v42, v4, v42, vcc_lo
	s_delay_alu instid0(VALU_DEP_1) | instskip(SKIP_1) | instid1(VALU_DEP_2)
	v_mul_f64_e32 v[44:45], v[40:41], v[42:43]
	v_mul_f64_e32 v[46:47], v[38:39], v[42:43]
	v_fma_f64 v[40:41], v[40:41], v[42:43], -v[44:45]
	s_delay_alu instid0(VALU_DEP_1) | instskip(SKIP_1) | instid1(VALU_DEP_2)
	v_add_f64_e32 v[48:49], v[46:47], v[40:41]
	v_fma_f64 v[38:39], v[38:39], v[42:43], -v[46:47]
	v_add_f64_e64 v[50:51], v[48:49], -v[46:47]
	v_add_f64_e32 v[54:55], v[44:45], v[48:49]
	s_delay_alu instid0(VALU_DEP_2) | instskip(SKIP_1) | instid1(VALU_DEP_3)
	v_add_f64_e64 v[52:53], v[48:49], -v[50:51]
	v_add_f64_e64 v[40:41], v[40:41], -v[50:51]
	v_ldexp_f64 v[50:51], v[54:55], -2
	s_delay_alu instid0(VALU_DEP_3) | instskip(SKIP_1) | instid1(VALU_DEP_3)
	v_add_f64_e64 v[46:47], v[46:47], -v[52:53]
	v_mul_f64_e32 v[56:57], v[36:37], v[42:43]
	v_cmp_neq_f64_e64 vcc_lo, 0x7ff00000, |v[50:51]|
	s_delay_alu instid0(VALU_DEP_3) | instskip(SKIP_1) | instid1(VALU_DEP_4)
	v_add_f64_e32 v[40:41], v[40:41], v[46:47]
	v_fract_f64_e32 v[46:47], v[50:51]
	v_add_f64_e32 v[52:53], v[56:57], v[38:39]
	v_fma_f64 v[36:37], v[36:37], v[42:43], -v[56:57]
	s_delay_alu instid0(VALU_DEP_3) | instskip(NEXT) | instid1(VALU_DEP_1)
	v_ldexp_f64 v[46:47], v[46:47], 2
	v_dual_add_f64 v[44:45], v[54:55], -v[44:45] :: v_dual_cndmask_b32 v47, 0, v47, vcc_lo
	s_delay_alu instid0(VALU_DEP_1) | instskip(SKIP_1) | instid1(VALU_DEP_1)
	v_dual_add_f64 v[44:45], v[48:49], -v[44:45] :: v_dual_cndmask_b32 v46, 0, v46, vcc_lo
	v_add_f64_e32 v[48:49], v[52:53], v[40:41]
	v_add_f64_e32 v[50:51], v[44:45], v[48:49]
	v_add_f64_e64 v[58:59], v[48:49], -v[52:53]
	s_delay_alu instid0(VALU_DEP_2) | instskip(NEXT) | instid1(VALU_DEP_2)
	v_add_f64_e32 v[54:55], v[50:51], v[46:47]
	v_add_f64_e64 v[64:65], v[48:49], -v[58:59]
	v_add_f64_e64 v[40:41], v[40:41], -v[58:59]
	;; [unrolled: 1-line block ×3, first 2 shown]
	s_delay_alu instid0(VALU_DEP_4) | instskip(SKIP_1) | instid1(VALU_DEP_3)
	v_cmp_gt_f64_e32 vcc_lo, 0, v[54:55]
	v_add_f64_e64 v[54:55], v[52:53], -v[56:57]
	v_add_f64_e64 v[42:43], v[48:49], -v[42:43]
                                        ; implicit-def: $vgpr48_vgpr49
	v_cndmask_b32_e64 v21, 0, 0x40100000, vcc_lo
	s_delay_alu instid0(VALU_DEP_3) | instskip(SKIP_2) | instid1(VALU_DEP_4)
	v_add_f64_e64 v[62:63], v[52:53], -v[54:55]
	v_add_f64_e64 v[38:39], v[38:39], -v[54:55]
	;; [unrolled: 1-line block ×3, first 2 shown]
	v_add_f64_e32 v[46:47], v[46:47], v[20:21]
	s_delay_alu instid0(VALU_DEP_4) | instskip(NEXT) | instid1(VALU_DEP_3)
	v_add_f64_e64 v[54:55], v[56:57], -v[62:63]
	v_add_f64_e32 v[40:41], v[40:41], v[52:53]
	s_delay_alu instid0(VALU_DEP_3) | instskip(NEXT) | instid1(VALU_DEP_3)
	v_add_f64_e32 v[60:61], v[50:51], v[46:47]
	v_add_f64_e32 v[38:39], v[38:39], v[54:55]
	s_delay_alu instid0(VALU_DEP_2) | instskip(NEXT) | instid1(VALU_DEP_2)
	v_cvt_i32_f64_e32 v21, v[60:61]
	v_add_f64_e32 v[38:39], v[38:39], v[40:41]
	s_delay_alu instid0(VALU_DEP_2) | instskip(NEXT) | instid1(VALU_DEP_2)
	v_cvt_f64_i32_e32 v[58:59], v21
	v_add_f64_e32 v[36:37], v[36:37], v[38:39]
	s_delay_alu instid0(VALU_DEP_2) | instskip(NEXT) | instid1(VALU_DEP_2)
	v_add_f64_e64 v[46:47], v[46:47], -v[58:59]
	v_add_f64_e32 v[36:37], v[42:43], v[36:37]
	s_delay_alu instid0(VALU_DEP_2) | instskip(NEXT) | instid1(VALU_DEP_1)
	v_add_f64_e32 v[40:41], v[50:51], v[46:47]
	v_add_f64_e64 v[38:39], v[40:41], -v[46:47]
	v_cmp_le_f64_e32 vcc_lo, 0.5, v[40:41]
	s_delay_alu instid0(VALU_DEP_2) | instskip(SKIP_2) | instid1(VALU_DEP_3)
	v_add_f64_e64 v[38:39], v[50:51], -v[38:39]
	v_add_co_ci_u32_e64 v50, null, 0, v21, vcc_lo
	v_cndmask_b32_e64 v21, 0, 0x3ff00000, vcc_lo
	v_add_f64_e32 v[36:37], v[36:37], v[38:39]
	s_delay_alu instid0(VALU_DEP_2) | instskip(NEXT) | instid1(VALU_DEP_1)
	v_add_f64_e64 v[38:39], v[40:41], -v[20:21]
	v_add_f64_e32 v[40:41], v[38:39], v[36:37]
	s_delay_alu instid0(VALU_DEP_1) | instskip(SKIP_1) | instid1(VALU_DEP_2)
	v_mul_f64_e32 v[42:43], 0x3ff921fb54442d18, v[40:41]
	v_add_f64_e64 v[38:39], v[40:41], -v[38:39]
	v_fma_f64 v[46:47], v[40:41], s[18:19], -v[42:43]
	s_delay_alu instid0(VALU_DEP_2) | instskip(NEXT) | instid1(VALU_DEP_2)
	v_add_f64_e64 v[36:37], v[36:37], -v[38:39]
	v_fmac_f64_e32 v[46:47], 0x3c91a62633145c07, v[40:41]
	s_delay_alu instid0(VALU_DEP_1) | instskip(NEXT) | instid1(VALU_DEP_1)
	v_fmac_f64_e32 v[46:47], 0x3ff921fb54442d18, v[36:37]
	v_add_f64_e32 v[44:45], v[42:43], v[46:47]
	s_delay_alu instid0(VALU_DEP_1) | instskip(NEXT) | instid1(VALU_DEP_1)
	v_add_f64_e64 v[36:37], v[44:45], -v[42:43]
	v_add_f64_e64 v[46:47], v[46:47], -v[36:37]
	s_and_not1_saveexec_b32 s2, s2
	s_cbranch_execnz .LBB247_199
	s_branch .LBB247_200
.LBB247_198:                            ;   in Loop: Header=BB247_4 Depth=1
	s_and_not1_saveexec_b32 s2, s2
	s_cbranch_execz .LBB247_200
.LBB247_199:                            ;   in Loop: Header=BB247_4 Depth=1
	s_delay_alu instid0(VALU_DEP_1) | instskip(SKIP_2) | instid1(VALU_DEP_2)
	v_fma_f64 v[36:37], v[48:49], s[22:23], |v[4:5]|
	v_mul_f64_e32 v[38:39], 0xbc91a62633145c00, v[48:49]
	v_cvt_i32_f64_e32 v50, v[48:49]
	v_add_f64_e32 v[40:41], v[36:37], v[38:39]
	s_delay_alu instid0(VALU_DEP_1) | instskip(SKIP_1) | instid1(VALU_DEP_1)
	v_add_f64_e64 v[42:43], v[36:37], -v[40:41]
	v_fmamk_f64 v[36:37], v[48:49], 0xbc91a62633145c00, v[36:37]
	v_add_f64_e64 v[40:41], v[40:41], -v[36:37]
	s_delay_alu instid0(VALU_DEP_3) | instskip(SKIP_1) | instid1(VALU_DEP_2)
	v_add_f64_e32 v[42:43], v[42:43], v[38:39]
	v_fmamk_f64 v[38:39], v[48:49], 0x3c91a62633145c00, v[38:39]
	v_add_f64_e32 v[40:41], v[40:41], v[42:43]
	s_delay_alu instid0(VALU_DEP_1) | instskip(NEXT) | instid1(VALU_DEP_1)
	v_add_f64_e64 v[38:39], v[40:41], -v[38:39]
	v_fmac_f64_e32 v[38:39], 0xb97b839a252049c0, v[48:49]
	s_delay_alu instid0(VALU_DEP_1) | instskip(NEXT) | instid1(VALU_DEP_1)
	v_add_f64_e32 v[44:45], v[36:37], v[38:39]
	v_add_f64_e64 v[36:37], v[44:45], -v[36:37]
	s_delay_alu instid0(VALU_DEP_1)
	v_add_f64_e64 v[46:47], v[38:39], -v[36:37]
.LBB247_200:                            ;   in Loop: Header=BB247_4 Depth=1
	s_or_b32 exec_lo, exec_lo, s2
	v_dual_mul_f64 v[36:37], v[2:3], v[2:3] :: v_dual_bitop2_b32 v21, 1, v1 bitop3:0x40
	v_cmp_class_f64_e64 s2, v[4:5], 0x1f8
	v_lshlrev_b32_e32 v5, 30, v50
	s_delay_alu instid0(VALU_DEP_4) | instskip(SKIP_3) | instid1(VALU_DEP_3)
	v_mul_f64_e32 v[54:55], 0.5, v[34:35]
	v_and_b32_e32 v4, 1, v50
	v_cmp_eq_u32_e32 vcc_lo, 0, v21
	v_lshlrev_b32_e32 v1, 30, v1
	v_cmp_eq_u32_e64 s3, 0, v4
	v_dual_mul_f64 v[62:63], 0.5, v[46:47] :: v_dual_bitop2_b32 v4, v5, v33 bitop3:0x14
	v_mul_f64_e32 v[40:41], 0.5, v[36:37]
	v_mul_f64_e64 v[56:57], v[2:3], -v[36:37]
	v_fmamk_f64 v[60:61], v[36:37], 0x3de5e0b2f9a43bb8, v[28:29]
	s_delay_alu instid0(VALU_DEP_1) | instskip(NEXT) | instid1(VALU_DEP_1)
	v_fmaak_f64 v[60:61], v[36:37], v[60:61], 0x3ec71de3796cde01
	v_fmaak_f64 v[60:61], v[36:37], v[60:61], 0xbf2a01a019e83e5c
	s_delay_alu instid0(VALU_DEP_1) | instskip(SKIP_1) | instid1(VALU_DEP_2)
	v_fmaak_f64 v[60:61], v[36:37], v[60:61], 0x3f81111111110bb3
	v_add_f64_e64 v[48:49], -v[40:41], 1.0
	v_fmac_f64_e32 v[54:55], v[56:57], v[60:61]
	s_delay_alu instid0(VALU_DEP_2) | instskip(NEXT) | instid1(VALU_DEP_2)
	v_add_f64_e64 v[58:59], -v[48:49], 1.0
	v_fma_f64 v[54:55], v[36:37], v[54:55], -v[34:35]
	s_delay_alu instid0(VALU_DEP_2) | instskip(NEXT) | instid1(VALU_DEP_2)
	v_add_f64_e64 v[40:41], v[58:59], -v[40:41]
	v_fmac_f64_e32 v[54:55], 0xbfc5555555555555, v[56:57]
	s_delay_alu instid0(VALU_DEP_2) | instskip(NEXT) | instid1(VALU_DEP_2)
	v_fma_f64 v[34:35], v[2:3], -v[34:35], v[40:41]
	v_add_f64_e64 v[2:3], v[2:3], -v[54:55]
	v_mul_f64_e32 v[38:39], v[44:45], v[44:45]
	s_delay_alu instid0(VALU_DEP_2) | instskip(NEXT) | instid1(VALU_DEP_2)
	v_xor_b32_e32 v3, 0x80000000, v3
	v_mul_f64_e64 v[64:65], v[44:45], -v[38:39]
	v_fmamk_f64 v[68:69], v[38:39], 0x3de5e0b2f9a43bb8, v[28:29]
	v_mul_f64_e32 v[60:61], v[36:37], v[36:37]
	s_delay_alu instid0(VALU_DEP_2) | instskip(NEXT) | instid1(VALU_DEP_1)
	v_fmaak_f64 v[58:59], v[38:39], v[68:69], 0x3ec71de3796cde01
	v_fmaak_f64 v[58:59], v[38:39], v[58:59], 0xbf2a01a019e83e5c
	s_delay_alu instid0(VALU_DEP_1) | instskip(NEXT) | instid1(VALU_DEP_1)
	v_fmaak_f64 v[58:59], v[38:39], v[58:59], 0x3f81111111110bb3
	v_fmac_f64_e32 v[62:63], v[64:65], v[58:59]
	v_fmamk_f64 v[58:59], v[36:37], 0xbda907db46cc5e42, v[26:27]
	s_delay_alu instid0(VALU_DEP_1) | instskip(NEXT) | instid1(VALU_DEP_1)
	v_fmaak_f64 v[40:41], v[36:37], v[58:59], 0xbe927e4fa17f65f6
	v_fmaak_f64 v[40:41], v[36:37], v[40:41], 0x3efa01a019f4ec90
	s_delay_alu instid0(VALU_DEP_1) | instskip(NEXT) | instid1(VALU_DEP_1)
	v_fmaak_f64 v[40:41], v[36:37], v[40:41], 0xbf56c16c16c16967
	v_fmaak_f64 v[36:37], v[36:37], v[40:41], 0x3fa5555555555555
	s_delay_alu instid0(VALU_DEP_1) | instskip(NEXT) | instid1(VALU_DEP_1)
	v_fmac_f64_e32 v[34:35], v[60:61], v[36:37]
	v_add_f64_e32 v[34:35], v[48:49], v[34:35]
	s_delay_alu instid0(VALU_DEP_1) | instskip(SKIP_3) | instid1(VALU_DEP_4)
	v_cndmask_b32_e32 v2, v2, v34, vcc_lo
	v_mul_f64_e32 v[42:43], 0.5, v[38:39]
	v_fmamk_f64 v[58:59], v[38:39], 0xbda907db46cc5e42, v[26:27]
	v_fma_f64 v[62:63], v[38:39], v[62:63], -v[46:47]
	v_dual_cndmask_b32 v3, v3, v35, vcc_lo :: v_dual_cndmask_b32 v34, 0, v2, s2
	s_delay_alu instid0(VALU_DEP_3) | instskip(NEXT) | instid1(VALU_DEP_2)
	v_fmaak_f64 v[40:41], v[38:39], v[58:59], 0xbe927e4fa17f65f6
	v_bitop3_b32 v1, v3, v1, 0x80000000 bitop3:0x78
	s_delay_alu instid0(VALU_DEP_1) | instskip(NEXT) | instid1(VALU_DEP_3)
	v_cndmask_b32_e64 v35, 0x7ff80000, v1, s2
	v_fmaak_f64 v[36:37], v[38:39], v[40:41], 0x3efa01a019f4ec90
	s_delay_alu instid0(VALU_DEP_1) | instskip(NEXT) | instid1(VALU_DEP_1)
	v_fmaak_f64 v[36:37], v[38:39], v[36:37], 0xbf56c16c16c16967
	v_fmaak_f64 v[36:37], v[38:39], v[36:37], 0x3fa5555555555555
	v_add_f64_e64 v[52:53], -v[42:43], 1.0
	v_fmac_f64_e32 v[62:63], 0xbfc5555555555555, v[64:65]
	s_delay_alu instid0(VALU_DEP_2) | instskip(NEXT) | instid1(VALU_DEP_1)
	v_add_f64_e64 v[66:67], -v[52:53], 1.0
	v_add_f64_e64 v[42:43], v[66:67], -v[42:43]
	v_mul_f64_e32 v[66:67], v[38:39], v[38:39]
	s_delay_alu instid0(VALU_DEP_2) | instskip(NEXT) | instid1(VALU_DEP_1)
	v_fma_f64 v[42:43], v[44:45], -v[46:47], v[42:43]
	v_fmac_f64_e32 v[42:43], v[66:67], v[36:37]
	v_add_f64_e64 v[36:37], v[44:45], -v[62:63]
	s_delay_alu instid0(VALU_DEP_2) | instskip(NEXT) | instid1(VALU_DEP_1)
	v_add_f64_e32 v[38:39], v[52:53], v[42:43]
	v_dual_cndmask_b32 v21, v39, v37, s3 :: v_dual_cndmask_b32 v5, v38, v36, s3
	s_delay_alu instid0(VALU_DEP_1) | instskip(NEXT) | instid1(VALU_DEP_2)
	v_bitop3_b32 v3, v21, v4, 0x80000000 bitop3:0x78
	v_cndmask_b32_e64 v32, 0, v5, s2
	s_delay_alu instid0(VALU_DEP_2)
	v_cndmask_b32_e64 v33, 0x7ff80000, v3, s2
.LBB247_201:                            ;   in Loop: Header=BB247_4 Depth=1
	s_or_b32 exec_lo, exec_lo, s4
                                        ; implicit-def: $vgpr2_vgpr3
.LBB247_202:                            ;   in Loop: Header=BB247_4 Depth=1
	s_and_not1_saveexec_b32 s3, s38
	s_cbranch_execz .LBB247_204
; %bb.203:                              ;   in Loop: Header=BB247_4 Depth=1
	v_mul_f64_e32 v[4:5], 0xbff71547652b82fe, v[2:3]
	v_cmp_ngt_f64_e32 vcc_lo, 0xc0900000, v[2:3]
	v_cmp_nlt_f64_e64 s2, 0x4090cc00, v[2:3]
	s_delay_alu instid0(VALU_DEP_3) | instskip(NEXT) | instid1(VALU_DEP_1)
	v_rndne_f64_e32 v[4:5], v[4:5]
	v_fma_f64 v[34:35], v[4:5], s[24:25], -v[2:3]
	v_cvt_i32_f64_e32 v1, v[4:5]
	s_delay_alu instid0(VALU_DEP_2) | instskip(NEXT) | instid1(VALU_DEP_1)
	v_fmac_f64_e32 v[34:35], 0xbc7abc9e3b39803f, v[4:5]
	v_fmamk_f64 v[36:37], v[34:35], 0x3e5ade156a5dcb37, v[24:25]
	s_delay_alu instid0(VALU_DEP_1) | instskip(NEXT) | instid1(VALU_DEP_1)
	v_fmaak_f64 v[36:37], v[34:35], v[36:37], 0x3ec71dee623fde64
	v_fmaak_f64 v[36:37], v[34:35], v[36:37], 0x3efa01997c89e6b0
	s_delay_alu instid0(VALU_DEP_1) | instskip(NEXT) | instid1(VALU_DEP_1)
	v_fmaak_f64 v[36:37], v[34:35], v[36:37], 0x3f2a01a014761f6e
	v_fmaak_f64 v[36:37], v[34:35], v[36:37], 0x3f56c16c1852b7b0
	s_delay_alu instid0(VALU_DEP_1) | instskip(NEXT) | instid1(VALU_DEP_1)
	v_fmaak_f64 v[36:37], v[34:35], v[36:37], 0x3f81111111122322
	v_fmaak_f64 v[36:37], v[34:35], v[36:37], 0x3fa55555555502a1
	s_delay_alu instid0(VALU_DEP_1) | instskip(NEXT) | instid1(VALU_DEP_1)
	v_fmaak_f64 v[36:37], v[34:35], v[36:37], 0x3fc5555555555511
	v_fmaak_f64 v[36:37], v[34:35], v[36:37], 0x3fe000000000000b
	s_delay_alu instid0(VALU_DEP_1) | instskip(NEXT) | instid1(VALU_DEP_1)
	v_fma_f64 v[36:37], v[34:35], v[36:37], 1.0
	v_fma_f64 v[4:5], v[34:35], v[36:37], 1.0
	s_delay_alu instid0(VALU_DEP_1) | instskip(NEXT) | instid1(VALU_DEP_1)
	v_ldexp_f64 v[4:5], v[4:5], v1
	v_cndmask_b32_e32 v1, 0x7ff00000, v5, vcc_lo
	s_and_b32 vcc_lo, s2, vcc_lo
	s_delay_alu instid0(VALU_DEP_1) | instid1(SALU_CYCLE_1)
	v_dual_cndmask_b32 v34, 0, v4, vcc_lo :: v_dual_cndmask_b32 v35, 0, v1, s2
.LBB247_204:                            ;   in Loop: Header=BB247_4 Depth=1
	s_or_b32 exec_lo, exec_lo, s3
	s_delay_alu instid0(VALU_DEP_1) | instskip(NEXT) | instid1(VALU_DEP_2)
	v_add_f64_e32 v[32:33], s[10:11], v[32:33]
	v_add_f64_e32 v[34:35], s[8:9], v[34:35]
	s_mov_b32 s2, exec_lo
	s_delay_alu instid0(VALU_DEP_2) | instskip(NEXT) | instid1(VALU_DEP_2)
	v_mov_b32_e32 v38, v32
	v_cmp_gt_f64_e32 vcc_lo, 0, v[34:35]
	v_xor_b32_e32 v1, 0x80000000, v35
	v_mov_b32_e32 v36, v34
	v_xor_b32_e32 v2, 0x80000000, v33
	s_delay_alu instid0(VALU_DEP_3) | instskip(SKIP_1) | instid1(VALU_DEP_3)
	v_cndmask_b32_e32 v37, v35, v1, vcc_lo
	v_cmp_gt_f64_e32 vcc_lo, 0, v[32:33]
	v_cndmask_b32_e32 v39, v33, v2, vcc_lo
                                        ; implicit-def: $vgpr4_vgpr5
	s_delay_alu instid0(VALU_DEP_1)
	v_cmpx_ge_f64_e32 v[36:37], v[38:39]
	s_xor_b32 s3, exec_lo, s2
	s_cbranch_execz .LBB247_210
; %bb.205:                              ;   in Loop: Header=BB247_4 Depth=1
	v_cmp_neq_f64_e32 vcc_lo, 0, v[34:35]
	v_cmp_neq_f64_e64 s2, 0, v[32:33]
                                        ; implicit-def: $vgpr4_vgpr5
	s_or_b32 s2, vcc_lo, s2
	s_delay_alu instid0(SALU_CYCLE_1) | instskip(NEXT) | instid1(SALU_CYCLE_1)
	s_and_saveexec_b32 s4, s2
	s_xor_b32 s2, exec_lo, s4
	s_cbranch_execz .LBB247_207
; %bb.206:                              ;   in Loop: Header=BB247_4 Depth=1
	v_div_scale_f64 v[2:3], null, v[34:35], v[34:35], v[32:33]
	v_div_scale_f64 v[38:39], vcc_lo, v[32:33], v[34:35], v[32:33]
	s_delay_alu instid0(VALU_DEP_2) | instskip(SKIP_1) | instid1(TRANS32_DEP_1)
	v_rcp_f64_e32 v[4:5], v[2:3]
	v_nop
	v_fma_f64 v[36:37], -v[2:3], v[4:5], 1.0
	s_delay_alu instid0(VALU_DEP_1) | instskip(NEXT) | instid1(VALU_DEP_1)
	v_fmac_f64_e32 v[4:5], v[4:5], v[36:37]
	v_fma_f64 v[36:37], -v[2:3], v[4:5], 1.0
	s_delay_alu instid0(VALU_DEP_1) | instskip(NEXT) | instid1(VALU_DEP_1)
	v_fmac_f64_e32 v[4:5], v[4:5], v[36:37]
	v_mul_f64_e32 v[36:37], v[38:39], v[4:5]
	s_delay_alu instid0(VALU_DEP_1) | instskip(NEXT) | instid1(VALU_DEP_1)
	v_fma_f64 v[2:3], -v[2:3], v[36:37], v[38:39]
	v_div_fmas_f64 v[2:3], v[2:3], v[4:5], v[36:37]
	s_delay_alu instid0(VALU_DEP_1) | instskip(NEXT) | instid1(VALU_DEP_1)
	v_div_fixup_f64 v[2:3], v[2:3], v[34:35], v[32:33]
	v_fmac_f64_e32 v[34:35], v[32:33], v[2:3]
	s_delay_alu instid0(VALU_DEP_1) | instskip(SKIP_1) | instid1(VALU_DEP_2)
	v_div_scale_f64 v[4:5], null, v[34:35], v[34:35], 1.0
	v_div_scale_f64 v[38:39], vcc_lo, 1.0, v[34:35], 1.0
	v_rcp_f64_e32 v[32:33], v[4:5]
	v_nop
	s_delay_alu instid0(TRANS32_DEP_1) | instskip(NEXT) | instid1(VALU_DEP_1)
	v_fma_f64 v[36:37], -v[4:5], v[32:33], 1.0
	v_fmac_f64_e32 v[32:33], v[32:33], v[36:37]
	s_delay_alu instid0(VALU_DEP_1) | instskip(NEXT) | instid1(VALU_DEP_1)
	v_fma_f64 v[36:37], -v[4:5], v[32:33], 1.0
	v_fmac_f64_e32 v[32:33], v[32:33], v[36:37]
	s_delay_alu instid0(VALU_DEP_1) | instskip(NEXT) | instid1(VALU_DEP_1)
	v_mul_f64_e32 v[36:37], v[38:39], v[32:33]
	v_fma_f64 v[4:5], -v[4:5], v[36:37], v[38:39]
                                        ; implicit-def: $vgpr38_vgpr39
	s_delay_alu instid0(VALU_DEP_1) | instskip(SKIP_1) | instid1(VALU_DEP_2)
	v_div_fmas_f64 v[4:5], v[4:5], v[32:33], v[36:37]
	v_fma_f64 v[32:33], s[10:11], v[2:3], s[8:9]
                                        ; implicit-def: $vgpr36_vgpr37
	v_div_fixup_f64 v[4:5], v[4:5], v[34:35], 1.0
	v_fma_f64 v[34:35], -s[8:9], v[2:3], s[10:11]
	s_delay_alu instid0(VALU_DEP_2) | instskip(NEXT) | instid1(VALU_DEP_2)
	v_mul_f64_e32 v[2:3], v[32:33], v[4:5]
	v_mul_f64_e32 v[4:5], v[34:35], v[4:5]
.LBB247_207:                            ;   in Loop: Header=BB247_4 Depth=1
	s_and_not1_saveexec_b32 s4, s2
	s_cbranch_execz .LBB247_209
; %bb.208:                              ;   in Loop: Header=BB247_4 Depth=1
	v_div_scale_f64 v[2:3], null, v[36:37], v[36:37], s[8:9]
	v_div_scale_f64 v[4:5], null, v[38:39], v[38:39], s[10:11]
	v_div_scale_f64 v[44:45], vcc_lo, s[8:9], v[36:37], s[8:9]
	s_delay_alu instid0(VALU_DEP_3) | instskip(NEXT) | instid1(VALU_DEP_2)
	v_rcp_f64_e32 v[32:33], v[2:3]
	v_rcp_f64_e32 v[34:35], v[4:5]
	s_delay_alu instid0(TRANS32_DEP_2) | instskip(NEXT) | instid1(TRANS32_DEP_1)
	v_fma_f64 v[40:41], -v[2:3], v[32:33], 1.0
	v_fma_f64 v[42:43], -v[4:5], v[34:35], 1.0
	s_delay_alu instid0(VALU_DEP_2) | instskip(NEXT) | instid1(VALU_DEP_2)
	v_fmac_f64_e32 v[32:33], v[32:33], v[40:41]
	v_fmac_f64_e32 v[34:35], v[34:35], v[42:43]
	s_delay_alu instid0(VALU_DEP_2) | instskip(NEXT) | instid1(VALU_DEP_2)
	v_fma_f64 v[40:41], -v[2:3], v[32:33], 1.0
	v_fma_f64 v[42:43], -v[4:5], v[34:35], 1.0
	s_delay_alu instid0(VALU_DEP_2) | instskip(SKIP_1) | instid1(VALU_DEP_3)
	v_fmac_f64_e32 v[32:33], v[32:33], v[40:41]
	v_div_scale_f64 v[40:41], s2, s[10:11], v[38:39], s[10:11]
	v_fmac_f64_e32 v[34:35], v[34:35], v[42:43]
	s_delay_alu instid0(VALU_DEP_3) | instskip(NEXT) | instid1(VALU_DEP_2)
	v_mul_f64_e32 v[42:43], v[44:45], v[32:33]
	v_mul_f64_e32 v[46:47], v[40:41], v[34:35]
	s_delay_alu instid0(VALU_DEP_2) | instskip(NEXT) | instid1(VALU_DEP_2)
	v_fma_f64 v[2:3], -v[2:3], v[42:43], v[44:45]
	v_fma_f64 v[4:5], -v[4:5], v[46:47], v[40:41]
	s_delay_alu instid0(VALU_DEP_2) | instskip(SKIP_1) | instid1(VALU_DEP_2)
	v_div_fmas_f64 v[2:3], v[2:3], v[32:33], v[42:43]
	s_mov_b32 vcc_lo, s2
	v_div_fmas_f64 v[4:5], v[4:5], v[34:35], v[46:47]
	s_delay_alu instid0(VALU_DEP_2) | instskip(NEXT) | instid1(VALU_DEP_2)
	v_div_fixup_f64 v[2:3], v[2:3], v[36:37], s[8:9]
	v_div_fixup_f64 v[4:5], v[4:5], v[38:39], s[10:11]
.LBB247_209:                            ;   in Loop: Header=BB247_4 Depth=1
	s_or_b32 exec_lo, exec_lo, s4
                                        ; implicit-def: $vgpr32_vgpr33
                                        ; implicit-def: $vgpr34_vgpr35
.LBB247_210:                            ;   in Loop: Header=BB247_4 Depth=1
	s_and_not1_saveexec_b32 s2, s3
	s_cbranch_execz .LBB247_3
; %bb.211:                              ;   in Loop: Header=BB247_4 Depth=1
	v_div_scale_f64 v[2:3], null, v[32:33], v[32:33], v[34:35]
	v_div_scale_f64 v[38:39], vcc_lo, v[34:35], v[32:33], v[34:35]
	s_delay_alu instid0(VALU_DEP_2) | instskip(SKIP_1) | instid1(TRANS32_DEP_1)
	v_rcp_f64_e32 v[4:5], v[2:3]
	v_nop
	v_fma_f64 v[36:37], -v[2:3], v[4:5], 1.0
	s_delay_alu instid0(VALU_DEP_1) | instskip(NEXT) | instid1(VALU_DEP_1)
	v_fmac_f64_e32 v[4:5], v[4:5], v[36:37]
	v_fma_f64 v[36:37], -v[2:3], v[4:5], 1.0
	s_delay_alu instid0(VALU_DEP_1) | instskip(NEXT) | instid1(VALU_DEP_1)
	v_fmac_f64_e32 v[4:5], v[4:5], v[36:37]
	v_mul_f64_e32 v[36:37], v[38:39], v[4:5]
	s_delay_alu instid0(VALU_DEP_1) | instskip(NEXT) | instid1(VALU_DEP_1)
	v_fma_f64 v[2:3], -v[2:3], v[36:37], v[38:39]
	v_div_fmas_f64 v[2:3], v[2:3], v[4:5], v[36:37]
	s_delay_alu instid0(VALU_DEP_1) | instskip(NEXT) | instid1(VALU_DEP_1)
	v_div_fixup_f64 v[2:3], v[2:3], v[32:33], v[34:35]
	v_fmac_f64_e32 v[32:33], v[34:35], v[2:3]
	s_delay_alu instid0(VALU_DEP_1) | instskip(SKIP_1) | instid1(VALU_DEP_2)
	v_div_scale_f64 v[4:5], null, v[32:33], v[32:33], 1.0
	v_div_scale_f64 v[38:39], vcc_lo, 1.0, v[32:33], 1.0
	v_rcp_f64_e32 v[34:35], v[4:5]
	v_nop
	s_delay_alu instid0(TRANS32_DEP_1) | instskip(NEXT) | instid1(VALU_DEP_1)
	v_fma_f64 v[36:37], -v[4:5], v[34:35], 1.0
	v_fmac_f64_e32 v[34:35], v[34:35], v[36:37]
	s_delay_alu instid0(VALU_DEP_1) | instskip(NEXT) | instid1(VALU_DEP_1)
	v_fma_f64 v[36:37], -v[4:5], v[34:35], 1.0
	v_fmac_f64_e32 v[34:35], v[34:35], v[36:37]
	s_delay_alu instid0(VALU_DEP_1) | instskip(NEXT) | instid1(VALU_DEP_1)
	v_mul_f64_e32 v[36:37], v[38:39], v[34:35]
	v_fma_f64 v[4:5], -v[4:5], v[36:37], v[38:39]
	s_delay_alu instid0(VALU_DEP_1) | instskip(SKIP_1) | instid1(VALU_DEP_2)
	v_div_fmas_f64 v[4:5], v[4:5], v[34:35], v[36:37]
	v_fma_f64 v[34:35], s[8:9], v[2:3], s[10:11]
	v_div_fixup_f64 v[4:5], v[4:5], v[32:33], 1.0
	v_fma_f64 v[32:33], s[10:11], v[2:3], -s[8:9]
	s_delay_alu instid0(VALU_DEP_2) | instskip(NEXT) | instid1(VALU_DEP_2)
	v_mul_f64_e32 v[2:3], v[34:35], v[4:5]
	v_mul_f64_e32 v[4:5], v[32:33], v[4:5]
	s_branch .LBB247_3
.LBB247_212:
	s_or_b32 exec_lo, exec_lo, s33
	s_mov_b32 s2, 0
.LBB247_213:
	s_delay_alu instid0(SALU_CYCLE_1)
	s_and_not1_b32 vcc_lo, exec_lo, s2
	s_cbranch_vccnz .LBB247_441
; %bb.214:
	v_cmp_lt_i64_e64 s2, s[6:7], 1
	s_and_b32 vcc_lo, exec_lo, s2
	s_cbranch_vccnz .LBB247_441
; %bb.215:
	v_min_i64 v[18:19], 0x10000, s[6:7]
	v_min_u64 v[20:21], 0x10000, s[6:7]
	s_load_b32 s0, s[0:1], 0xc6c
	v_mov_b32_e32 v22, 0
	v_mov_b64_e32 v[24:25], 0x3e928af3fca7ab0c
	v_mov_b64_e32 v[26:27], 0x3e21eeb69037ab78
	;; [unrolled: 1-line block ×3, first 2 shown]
	s_mov_b32 s17, 0
	v_mov_b32_e32 v1, v22
	s_mov_b64 s[18:19], 0x3ff921fb54442d18
	s_mov_b64 s[20:21], 0x3fe45f306dc9c883
	;; [unrolled: 1-line block ×4, first 2 shown]
	s_mov_b32 s27, s17
	s_mov_b64 s[30:31], 0xc0937be319ba0da4
	s_mov_b32 s29, s17
	s_mov_b32 s35, s17
	s_mov_b64 s[36:37], 0
	s_mov_b32 s33, 0xfffff
                                        ; implicit-def: $vgpr2_vgpr3
                                        ; implicit-def: $vgpr2_vgpr3
                                        ; implicit-def: $vgpr2_vgpr3
                                        ; implicit-def: $vgpr2_vgpr3
                                        ; implicit-def: $vgpr2_vgpr3
                                        ; implicit-def: $vgpr2_vgpr3
                                        ; implicit-def: $vgpr2_vgpr3
                                        ; implicit-def: $vgpr2_vgpr3
                                        ; implicit-def: $vgpr2_vgpr3
                                        ; implicit-def: $vgpr2_vgpr3
                                        ; implicit-def: $vgpr2_vgpr3
                                        ; implicit-def: $vgpr2_vgpr3
                                        ; implicit-def: $vgpr2_vgpr3
                                        ; implicit-def: $vgpr2_vgpr3
                                        ; implicit-def: $vgpr2_vgpr3
	s_wait_kmcnt 0x0
	s_and_b32 s16, s0, 0xffff
	s_delay_alu instid0(SALU_CYCLE_1)
	s_lshl_b32 s26, s16, 1
	s_mul_i32 s28, s16, 3
	s_lshl_b32 s34, s16, 2
	s_branch .LBB247_217
.LBB247_216:                            ;   in Loop: Header=BB247_217 Depth=1
	s_wait_xcnt 0x0
	s_or_b32 exec_lo, exec_lo, s0
	s_add_nc_u64 s[36:37], s[36:37], s[34:35]
	s_delay_alu instid0(SALU_CYCLE_1)
	v_cmp_ge_i64_e32 vcc_lo, s[36:37], v[18:19]
	s_cbranch_vccnz .LBB247_441
.LBB247_217:                            ; =>This Inner Loop Header: Depth=1
	v_add_nc_u64_e32 v[30:31], s[36:37], v[0:1]
	v_mov_b64_e32 v[16:17], 0
	v_mov_b64_e32 v[8:9], 0
	;; [unrolled: 1-line block ×3, first 2 shown]
	s_delay_alu instid0(VALU_DEP_4)
	v_cmp_lt_u64_e64 s0, v[30:31], v[20:21]
	s_and_saveexec_b32 s1, s0
	s_cbranch_execz .LBB247_219
; %bb.218:                              ;   in Loop: Header=BB247_217 Depth=1
	v_lshl_add_u64 v[2:3], v[30:31], 4, s[12:13]
	global_load_b128 v[6:9], v[2:3], off
.LBB247_219:                            ;   in Loop: Header=BB247_217 Depth=1
	s_wait_xcnt 0x0
	s_or_b32 exec_lo, exec_lo, s1
	v_add_nc_u64_e32 v[32:33], s[16:17], v[30:31]
	v_mov_b64_e32 v[14:15], 0
	s_delay_alu instid0(VALU_DEP_2)
	v_cmp_lt_u64_e64 s1, v[32:33], v[20:21]
	s_and_saveexec_b32 s2, s1
	s_cbranch_execz .LBB247_221
; %bb.220:                              ;   in Loop: Header=BB247_217 Depth=1
	v_lshl_add_u64 v[2:3], v[32:33], 4, s[12:13]
	global_load_b128 v[14:17], v[2:3], off
.LBB247_221:                            ;   in Loop: Header=BB247_217 Depth=1
	s_wait_xcnt 0x0
	s_or_b32 exec_lo, exec_lo, s2
	v_add_nc_u64_e32 v[34:35], s[26:27], v[30:31]
	v_mov_b64_e32 v[4:5], 0
	v_mov_b64_e32 v[12:13], 0
	;; [unrolled: 1-line block ×3, first 2 shown]
	s_delay_alu instid0(VALU_DEP_4)
	v_cmp_lt_u64_e64 s2, v[34:35], v[20:21]
	s_and_saveexec_b32 s3, s2
	s_cbranch_execz .LBB247_223
; %bb.222:                              ;   in Loop: Header=BB247_217 Depth=1
	v_lshl_add_u64 v[2:3], v[34:35], 4, s[12:13]
	global_load_b128 v[10:13], v[2:3], off
.LBB247_223:                            ;   in Loop: Header=BB247_217 Depth=1
	s_wait_xcnt 0x0
	s_or_b32 exec_lo, exec_lo, s3
	v_add_nc_u64_e32 v[36:37], s[28:29], v[30:31]
	v_mov_b64_e32 v[2:3], 0
	s_delay_alu instid0(VALU_DEP_2)
	v_cmp_lt_u64_e64 s3, v[36:37], v[20:21]
	s_and_saveexec_b32 s4, s3
	s_cbranch_execz .LBB247_225
; %bb.224:                              ;   in Loop: Header=BB247_217 Depth=1
	v_lshl_add_u64 v[2:3], v[36:37], 4, s[12:13]
	global_load_b128 v[2:5], v[2:3], off
.LBB247_225:                            ;   in Loop: Header=BB247_217 Depth=1
	s_wait_xcnt 0x0
	s_or_b32 exec_lo, exec_lo, s4
	s_wait_loadcnt 0x0
	v_xor_b32_e32 v39, 0x80000000, v9
	v_mov_b32_e32 v38, v8
                                        ; implicit-def: $vgpr40_vgpr41
	s_mov_b32 s4, exec_lo
	s_delay_alu instid0(VALU_DEP_2) | instskip(NEXT) | instid1(VALU_DEP_1)
	v_and_b32_e32 v44, 0x7fffffff, v39
	v_or_b32_e32 v23, v44, v8
	s_delay_alu instid0(VALU_DEP_1)
	v_cmpx_ne_u32_e32 0, v23
	s_xor_b32 s38, exec_lo, s4
	s_cbranch_execz .LBB247_266
; %bb.226:                              ;   in Loop: Header=BB247_217 Depth=1
	v_xor_b32_e32 v43, 0x80000000, v7
                                        ; implicit-def: $vgpr40_vgpr41
	s_mov_b32 s4, exec_lo
	v_mov_b32_e32 v42, v6
	s_delay_alu instid0(VALU_DEP_2) | instskip(NEXT) | instid1(VALU_DEP_1)
	v_and_b32_e32 v23, 0x7fffffff, v43
	v_or_b32_e32 v38, v23, v6
	s_delay_alu instid0(VALU_DEP_1)
	v_cmpx_ne_u32_e32 0, v38
	s_xor_b32 s39, exec_lo, s4
	s_cbranch_execz .LBB247_255
; %bb.227:                              ;   in Loop: Header=BB247_217 Depth=1
                                        ; implicit-def: $vgpr40_vgpr41
	s_mov_b32 s4, exec_lo
	v_cmpx_gt_u32_e32 0x7ff00000, v44
	s_xor_b32 s40, exec_lo, s4
	s_cbranch_execz .LBB247_248
; %bb.228:                              ;   in Loop: Header=BB247_217 Depth=1
	v_add_nc_u32_e32 v23, 0xbf79d1be, v43
                                        ; implicit-def: $vgpr40_vgpr41
	s_mov_b32 s4, exec_lo
	s_delay_alu instid0(VALU_DEP_1)
	v_cmpx_lt_u32_e32 0x108aa2, v23
	s_xor_b32 s41, exec_lo, s4
	s_cbranch_execz .LBB247_238
; %bb.229:                              ;   in Loop: Header=BB247_217 Depth=1
	v_cmp_ngt_f64_e64 s4, 0x41d00000, |v[8:9]|
                                        ; implicit-def: $vgpr38
                                        ; implicit-def: $vgpr40_vgpr41
                                        ; implicit-def: $vgpr42_vgpr43
	s_and_saveexec_b32 s5, s4
	s_delay_alu instid0(SALU_CYCLE_1)
	s_xor_b32 s5, exec_lo, s5
	s_cbranch_execz .LBB247_231
; %bb.230:                              ;   in Loop: Header=BB247_217 Depth=1
	v_ldexp_f64 v[40:41], |v[8:9]|, 0xffffff80
	v_cmp_le_f64_e64 vcc_lo, 0x7b000000, |v[8:9]|
	v_trig_preop_f64 v[42:43], |v[8:9]|, 0
	v_and_b32_e32 v23, 0x7fffffff, v9
	v_trig_preop_f64 v[44:45], |v[8:9]|, 1
	v_trig_preop_f64 v[54:55], |v[8:9]|, 2
	s_delay_alu instid0(VALU_DEP_3) | instskip(NEXT) | instid1(VALU_DEP_1)
	v_dual_cndmask_b32 v41, v23, v41 :: v_dual_cndmask_b32 v40, v8, v40
	v_mul_f64_e32 v[46:47], v[42:43], v[40:41]
	s_delay_alu instid0(VALU_DEP_4) | instskip(NEXT) | instid1(VALU_DEP_4)
	v_mul_f64_e32 v[48:49], v[44:45], v[40:41]
	v_mul_f64_e32 v[60:61], v[54:55], v[40:41]
	s_delay_alu instid0(VALU_DEP_3) | instskip(NEXT) | instid1(VALU_DEP_3)
	v_fma_f64 v[42:43], v[42:43], v[40:41], -v[46:47]
	v_fma_f64 v[44:45], v[44:45], v[40:41], -v[48:49]
	s_delay_alu instid0(VALU_DEP_3) | instskip(NEXT) | instid1(VALU_DEP_3)
	v_fma_f64 v[40:41], v[54:55], v[40:41], -v[60:61]
	v_add_f64_e32 v[50:51], v[48:49], v[42:43]
	s_delay_alu instid0(VALU_DEP_1) | instskip(SKIP_1) | instid1(VALU_DEP_2)
	v_add_f64_e64 v[52:53], v[50:51], -v[48:49]
	v_add_f64_e32 v[58:59], v[46:47], v[50:51]
	v_add_f64_e64 v[56:57], v[50:51], -v[52:53]
	v_add_f64_e64 v[42:43], v[42:43], -v[52:53]
	s_delay_alu instid0(VALU_DEP_3) | instskip(NEXT) | instid1(VALU_DEP_3)
	v_ldexp_f64 v[52:53], v[58:59], -2
	v_add_f64_e64 v[48:49], v[48:49], -v[56:57]
	v_add_f64_e32 v[56:57], v[60:61], v[44:45]
	s_delay_alu instid0(VALU_DEP_3) | instskip(NEXT) | instid1(VALU_DEP_3)
	v_cmp_neq_f64_e64 vcc_lo, 0x7ff00000, |v[52:53]|
	v_add_f64_e32 v[42:43], v[42:43], v[48:49]
	v_fract_f64_e32 v[48:49], v[52:53]
	s_delay_alu instid0(VALU_DEP_1) | instskip(NEXT) | instid1(VALU_DEP_1)
	v_ldexp_f64 v[48:49], v[48:49], 2
	v_dual_add_f64 v[46:47], v[58:59], -v[46:47] :: v_dual_cndmask_b32 v48, 0, v48, vcc_lo
	s_delay_alu instid0(VALU_DEP_1) | instskip(SKIP_1) | instid1(VALU_DEP_1)
	v_dual_add_f64 v[46:47], v[50:51], -v[46:47] :: v_dual_cndmask_b32 v49, 0, v49, vcc_lo
	v_add_f64_e32 v[50:51], v[56:57], v[42:43]
	v_add_f64_e32 v[52:53], v[46:47], v[50:51]
	v_add_f64_e64 v[62:63], v[50:51], -v[56:57]
	s_delay_alu instid0(VALU_DEP_2) | instskip(NEXT) | instid1(VALU_DEP_2)
	v_add_f64_e32 v[58:59], v[52:53], v[48:49]
	v_add_f64_e64 v[68:69], v[50:51], -v[62:63]
	v_add_f64_e64 v[42:43], v[42:43], -v[62:63]
	;; [unrolled: 1-line block ×3, first 2 shown]
	s_delay_alu instid0(VALU_DEP_4) | instskip(SKIP_1) | instid1(VALU_DEP_3)
	v_cmp_gt_f64_e32 vcc_lo, 0, v[58:59]
	v_add_f64_e64 v[58:59], v[56:57], -v[60:61]
	v_add_f64_e64 v[46:47], v[50:51], -v[46:47]
	v_cndmask_b32_e64 v23, 0, 0x40100000, vcc_lo
	s_delay_alu instid0(VALU_DEP_3) | instskip(SKIP_2) | instid1(VALU_DEP_4)
	v_add_f64_e64 v[66:67], v[56:57], -v[58:59]
	v_add_f64_e64 v[44:45], v[44:45], -v[58:59]
	;; [unrolled: 1-line block ×3, first 2 shown]
	v_add_f64_e32 v[48:49], v[48:49], v[22:23]
	s_delay_alu instid0(VALU_DEP_4) | instskip(NEXT) | instid1(VALU_DEP_3)
	v_add_f64_e64 v[58:59], v[60:61], -v[66:67]
	v_add_f64_e32 v[42:43], v[42:43], v[56:57]
	s_delay_alu instid0(VALU_DEP_3) | instskip(NEXT) | instid1(VALU_DEP_3)
	v_add_f64_e32 v[64:65], v[52:53], v[48:49]
	v_add_f64_e32 v[44:45], v[44:45], v[58:59]
	s_delay_alu instid0(VALU_DEP_2) | instskip(NEXT) | instid1(VALU_DEP_2)
	v_cvt_i32_f64_e32 v23, v[64:65]
	v_add_f64_e32 v[42:43], v[44:45], v[42:43]
	s_delay_alu instid0(VALU_DEP_2) | instskip(NEXT) | instid1(VALU_DEP_2)
	v_cvt_f64_i32_e32 v[62:63], v23
	v_add_f64_e32 v[40:41], v[40:41], v[42:43]
	s_delay_alu instid0(VALU_DEP_2) | instskip(NEXT) | instid1(VALU_DEP_2)
	v_add_f64_e64 v[48:49], v[48:49], -v[62:63]
	v_add_f64_e32 v[40:41], v[46:47], v[40:41]
	s_delay_alu instid0(VALU_DEP_2) | instskip(NEXT) | instid1(VALU_DEP_1)
	v_add_f64_e32 v[44:45], v[52:53], v[48:49]
	v_add_f64_e64 v[42:43], v[44:45], -v[48:49]
	v_cmp_le_f64_e32 vcc_lo, 0.5, v[44:45]
	s_delay_alu instid0(VALU_DEP_2) | instskip(SKIP_2) | instid1(VALU_DEP_3)
	v_add_f64_e64 v[42:43], v[52:53], -v[42:43]
	v_add_co_ci_u32_e64 v38, null, 0, v23, vcc_lo
	v_cndmask_b32_e64 v23, 0, 0x3ff00000, vcc_lo
	v_add_f64_e32 v[40:41], v[40:41], v[42:43]
	s_delay_alu instid0(VALU_DEP_2) | instskip(NEXT) | instid1(VALU_DEP_1)
	v_add_f64_e64 v[42:43], v[44:45], -v[22:23]
	v_add_f64_e32 v[44:45], v[42:43], v[40:41]
	s_delay_alu instid0(VALU_DEP_1) | instskip(SKIP_1) | instid1(VALU_DEP_2)
	v_mul_f64_e32 v[46:47], 0x3ff921fb54442d18, v[44:45]
	v_add_f64_e64 v[42:43], v[44:45], -v[42:43]
	v_fma_f64 v[48:49], v[44:45], s[18:19], -v[46:47]
	s_delay_alu instid0(VALU_DEP_2) | instskip(NEXT) | instid1(VALU_DEP_2)
	v_add_f64_e64 v[40:41], v[40:41], -v[42:43]
	v_fmac_f64_e32 v[48:49], 0x3c91a62633145c07, v[44:45]
	s_delay_alu instid0(VALU_DEP_1) | instskip(NEXT) | instid1(VALU_DEP_1)
	v_fmac_f64_e32 v[48:49], 0x3ff921fb54442d18, v[40:41]
	v_add_f64_e32 v[40:41], v[46:47], v[48:49]
	s_delay_alu instid0(VALU_DEP_1) | instskip(NEXT) | instid1(VALU_DEP_1)
	v_add_f64_e64 v[42:43], v[40:41], -v[46:47]
	v_add_f64_e64 v[42:43], v[48:49], -v[42:43]
	s_and_not1_saveexec_b32 s5, s5
	s_cbranch_execz .LBB247_233
	s_branch .LBB247_232
.LBB247_231:                            ;   in Loop: Header=BB247_217 Depth=1
	s_and_not1_saveexec_b32 s5, s5
	s_cbranch_execz .LBB247_233
.LBB247_232:                            ;   in Loop: Header=BB247_217 Depth=1
	v_mul_f64_e64 v[40:41], |v[8:9]|, s[20:21]
	s_delay_alu instid0(VALU_DEP_1) | instskip(NEXT) | instid1(VALU_DEP_1)
	v_rndne_f64_e32 v[44:45], v[40:41]
	v_fma_f64 v[40:41], v[44:45], s[22:23], |v[8:9]|
	v_mul_f64_e32 v[42:43], 0xbc91a62633145c00, v[44:45]
	v_cvt_i32_f64_e32 v38, v[44:45]
	s_delay_alu instid0(VALU_DEP_3) | instskip(NEXT) | instid1(VALU_DEP_3)
	v_fmamk_f64 v[50:51], v[44:45], 0xbc91a62633145c00, v[40:41]
	v_add_f64_e32 v[46:47], v[40:41], v[42:43]
	s_delay_alu instid0(VALU_DEP_1) | instskip(NEXT) | instid1(VALU_DEP_3)
	v_add_f64_e64 v[48:49], v[40:41], -v[46:47]
	v_add_f64_e64 v[40:41], v[46:47], -v[50:51]
	s_delay_alu instid0(VALU_DEP_2) | instskip(SKIP_1) | instid1(VALU_DEP_2)
	v_add_f64_e32 v[46:47], v[48:49], v[42:43]
	v_fmamk_f64 v[42:43], v[44:45], 0x3c91a62633145c00, v[42:43]
	v_add_f64_e32 v[40:41], v[40:41], v[46:47]
	s_delay_alu instid0(VALU_DEP_1) | instskip(NEXT) | instid1(VALU_DEP_1)
	v_add_f64_e64 v[42:43], v[40:41], -v[42:43]
	v_fmac_f64_e32 v[42:43], 0xb97b839a252049c0, v[44:45]
	s_delay_alu instid0(VALU_DEP_1) | instskip(NEXT) | instid1(VALU_DEP_1)
	v_add_f64_e32 v[40:41], v[50:51], v[42:43]
	v_add_f64_e64 v[46:47], v[40:41], -v[50:51]
	s_delay_alu instid0(VALU_DEP_1)
	v_add_f64_e64 v[42:43], v[42:43], -v[46:47]
.LBB247_233:                            ;   in Loop: Header=BB247_217 Depth=1
	s_or_b32 exec_lo, exec_lo, s5
                                        ; implicit-def: $vgpr48
                                        ; implicit-def: $vgpr44_vgpr45
                                        ; implicit-def: $vgpr46_vgpr47
	s_and_saveexec_b32 s5, s4
	s_delay_alu instid0(SALU_CYCLE_1)
	s_xor_b32 s4, exec_lo, s5
	s_cbranch_execz .LBB247_235
; %bb.234:                              ;   in Loop: Header=BB247_217 Depth=1
	v_ldexp_f64 v[44:45], |v[8:9]|, 0xffffff80
	v_cmp_le_f64_e64 vcc_lo, 0x7b000000, |v[8:9]|
	v_trig_preop_f64 v[46:47], |v[8:9]|, 0
	v_and_b32_e32 v23, 0x7fffffff, v9
	v_trig_preop_f64 v[48:49], |v[8:9]|, 1
	v_trig_preop_f64 v[58:59], |v[8:9]|, 2
	s_delay_alu instid0(VALU_DEP_3) | instskip(NEXT) | instid1(VALU_DEP_1)
	v_dual_cndmask_b32 v45, v23, v45 :: v_dual_cndmask_b32 v44, v8, v44
	v_mul_f64_e32 v[50:51], v[46:47], v[44:45]
	s_delay_alu instid0(VALU_DEP_4) | instskip(NEXT) | instid1(VALU_DEP_4)
	v_mul_f64_e32 v[52:53], v[48:49], v[44:45]
	v_mul_f64_e32 v[64:65], v[58:59], v[44:45]
	s_delay_alu instid0(VALU_DEP_3) | instskip(NEXT) | instid1(VALU_DEP_3)
	v_fma_f64 v[46:47], v[46:47], v[44:45], -v[50:51]
	v_fma_f64 v[48:49], v[48:49], v[44:45], -v[52:53]
	s_delay_alu instid0(VALU_DEP_3) | instskip(NEXT) | instid1(VALU_DEP_3)
	v_fma_f64 v[44:45], v[58:59], v[44:45], -v[64:65]
	v_add_f64_e32 v[54:55], v[52:53], v[46:47]
	s_delay_alu instid0(VALU_DEP_1) | instskip(SKIP_1) | instid1(VALU_DEP_2)
	v_add_f64_e64 v[56:57], v[54:55], -v[52:53]
	v_add_f64_e32 v[62:63], v[50:51], v[54:55]
	v_add_f64_e64 v[60:61], v[54:55], -v[56:57]
	v_add_f64_e64 v[46:47], v[46:47], -v[56:57]
	s_delay_alu instid0(VALU_DEP_3) | instskip(NEXT) | instid1(VALU_DEP_3)
	v_ldexp_f64 v[56:57], v[62:63], -2
	v_add_f64_e64 v[52:53], v[52:53], -v[60:61]
	v_add_f64_e32 v[60:61], v[64:65], v[48:49]
	s_delay_alu instid0(VALU_DEP_3) | instskip(NEXT) | instid1(VALU_DEP_3)
	v_cmp_neq_f64_e64 vcc_lo, 0x7ff00000, |v[56:57]|
	v_add_f64_e32 v[46:47], v[46:47], v[52:53]
	v_fract_f64_e32 v[52:53], v[56:57]
	s_delay_alu instid0(VALU_DEP_1) | instskip(NEXT) | instid1(VALU_DEP_1)
	v_ldexp_f64 v[52:53], v[52:53], 2
	v_dual_add_f64 v[50:51], v[62:63], -v[50:51] :: v_dual_cndmask_b32 v52, 0, v52, vcc_lo
	s_delay_alu instid0(VALU_DEP_1) | instskip(SKIP_1) | instid1(VALU_DEP_1)
	v_dual_add_f64 v[50:51], v[54:55], -v[50:51] :: v_dual_cndmask_b32 v53, 0, v53, vcc_lo
	v_add_f64_e32 v[54:55], v[60:61], v[46:47]
	v_add_f64_e32 v[56:57], v[50:51], v[54:55]
	v_add_f64_e64 v[66:67], v[54:55], -v[60:61]
	s_delay_alu instid0(VALU_DEP_2) | instskip(NEXT) | instid1(VALU_DEP_2)
	v_add_f64_e32 v[62:63], v[56:57], v[52:53]
	v_add_f64_e64 v[72:73], v[54:55], -v[66:67]
	v_add_f64_e64 v[46:47], v[46:47], -v[66:67]
	;; [unrolled: 1-line block ×3, first 2 shown]
	s_delay_alu instid0(VALU_DEP_4) | instskip(SKIP_2) | instid1(VALU_DEP_2)
	v_cmp_gt_f64_e32 vcc_lo, 0, v[62:63]
	v_add_f64_e64 v[62:63], v[60:61], -v[64:65]
	v_cndmask_b32_e64 v23, 0, 0x40100000, vcc_lo
	v_add_f64_e64 v[70:71], v[60:61], -v[62:63]
	v_add_f64_e64 v[48:49], v[48:49], -v[62:63]
	v_add_f64_e64 v[60:61], v[60:61], -v[72:73]
	s_delay_alu instid0(VALU_DEP_4) | instskip(NEXT) | instid1(VALU_DEP_4)
	v_add_f64_e32 v[52:53], v[52:53], v[22:23]
	v_add_f64_e64 v[62:63], v[64:65], -v[70:71]
	s_delay_alu instid0(VALU_DEP_3) | instskip(NEXT) | instid1(VALU_DEP_3)
	v_add_f64_e32 v[46:47], v[46:47], v[60:61]
	v_add_f64_e32 v[68:69], v[56:57], v[52:53]
	s_delay_alu instid0(VALU_DEP_3) | instskip(NEXT) | instid1(VALU_DEP_2)
	v_add_f64_e32 v[48:49], v[48:49], v[62:63]
	v_cvt_i32_f64_e32 v23, v[68:69]
	s_delay_alu instid0(VALU_DEP_2) | instskip(SKIP_1) | instid1(VALU_DEP_3)
	v_add_f64_e32 v[46:47], v[48:49], v[46:47]
	v_add_f64_e64 v[48:49], v[54:55], -v[50:51]
	v_cvt_f64_i32_e32 v[66:67], v23
	s_delay_alu instid0(VALU_DEP_3) | instskip(NEXT) | instid1(VALU_DEP_2)
	v_add_f64_e32 v[44:45], v[44:45], v[46:47]
	v_add_f64_e64 v[52:53], v[52:53], -v[66:67]
	s_delay_alu instid0(VALU_DEP_2) | instskip(NEXT) | instid1(VALU_DEP_2)
	v_add_f64_e32 v[44:45], v[48:49], v[44:45]
	v_add_f64_e32 v[58:59], v[56:57], v[52:53]
	s_delay_alu instid0(VALU_DEP_1) | instskip(SKIP_1) | instid1(VALU_DEP_2)
	v_add_f64_e64 v[46:47], v[58:59], -v[52:53]
	v_cmp_le_f64_e32 vcc_lo, 0.5, v[58:59]
	v_add_f64_e64 v[46:47], v[56:57], -v[46:47]
	v_add_co_ci_u32_e64 v48, null, 0, v23, vcc_lo
	v_cndmask_b32_e64 v23, 0, 0x3ff00000, vcc_lo
	s_delay_alu instid0(VALU_DEP_3) | instskip(NEXT) | instid1(VALU_DEP_2)
	v_add_f64_e32 v[44:45], v[44:45], v[46:47]
	v_add_f64_e64 v[46:47], v[58:59], -v[22:23]
	s_delay_alu instid0(VALU_DEP_1) | instskip(NEXT) | instid1(VALU_DEP_1)
	v_add_f64_e32 v[50:51], v[46:47], v[44:45]
	v_mul_f64_e32 v[52:53], 0x3ff921fb54442d18, v[50:51]
	v_add_f64_e64 v[46:47], v[50:51], -v[46:47]
	s_delay_alu instid0(VALU_DEP_2) | instskip(NEXT) | instid1(VALU_DEP_2)
	v_fma_f64 v[54:55], v[50:51], s[18:19], -v[52:53]
	v_add_f64_e64 v[44:45], v[44:45], -v[46:47]
	s_delay_alu instid0(VALU_DEP_2) | instskip(NEXT) | instid1(VALU_DEP_1)
	v_fmac_f64_e32 v[54:55], 0x3c91a62633145c07, v[50:51]
	v_fmac_f64_e32 v[54:55], 0x3ff921fb54442d18, v[44:45]
	s_delay_alu instid0(VALU_DEP_1) | instskip(NEXT) | instid1(VALU_DEP_1)
	v_add_f64_e32 v[44:45], v[52:53], v[54:55]
	v_add_f64_e64 v[46:47], v[44:45], -v[52:53]
	s_delay_alu instid0(VALU_DEP_1)
	v_add_f64_e64 v[46:47], v[54:55], -v[46:47]
	s_and_not1_saveexec_b32 s4, s4
	s_cbranch_execnz .LBB247_236
	s_branch .LBB247_237
.LBB247_235:                            ;   in Loop: Header=BB247_217 Depth=1
	s_and_not1_saveexec_b32 s4, s4
	s_cbranch_execz .LBB247_237
.LBB247_236:                            ;   in Loop: Header=BB247_217 Depth=1
	v_mul_f64_e64 v[44:45], |v[8:9]|, s[20:21]
	s_delay_alu instid0(VALU_DEP_1) | instskip(NEXT) | instid1(VALU_DEP_1)
	v_rndne_f64_e32 v[48:49], v[44:45]
	v_fma_f64 v[44:45], v[48:49], s[22:23], |v[8:9]|
	v_mul_f64_e32 v[46:47], 0xbc91a62633145c00, v[48:49]
	s_delay_alu instid0(VALU_DEP_2) | instskip(NEXT) | instid1(VALU_DEP_2)
	v_fmamk_f64 v[54:55], v[48:49], 0xbc91a62633145c00, v[44:45]
	v_add_f64_e32 v[50:51], v[44:45], v[46:47]
	s_delay_alu instid0(VALU_DEP_1) | instskip(NEXT) | instid1(VALU_DEP_3)
	v_add_f64_e64 v[52:53], v[44:45], -v[50:51]
	v_add_f64_e64 v[44:45], v[50:51], -v[54:55]
	s_delay_alu instid0(VALU_DEP_2) | instskip(SKIP_1) | instid1(VALU_DEP_2)
	v_add_f64_e32 v[50:51], v[52:53], v[46:47]
	v_fmamk_f64 v[46:47], v[48:49], 0x3c91a62633145c00, v[46:47]
	v_add_f64_e32 v[44:45], v[44:45], v[50:51]
	s_delay_alu instid0(VALU_DEP_1) | instskip(NEXT) | instid1(VALU_DEP_1)
	v_add_f64_e64 v[46:47], v[44:45], -v[46:47]
	v_fmac_f64_e32 v[46:47], 0xb97b839a252049c0, v[48:49]
	v_cvt_i32_f64_e32 v48, v[48:49]
	s_delay_alu instid0(VALU_DEP_2) | instskip(NEXT) | instid1(VALU_DEP_1)
	v_add_f64_e32 v[44:45], v[54:55], v[46:47]
	v_add_f64_e64 v[50:51], v[44:45], -v[54:55]
	s_delay_alu instid0(VALU_DEP_1)
	v_add_f64_e64 v[46:47], v[46:47], -v[50:51]
.LBB247_237:                            ;   in Loop: Header=BB247_217 Depth=1
	s_or_b32 exec_lo, exec_lo, s4
	v_mul_f64_e32 v[50:51], 0xbff71547652b82fe, v[6:7]
	v_mul_f64_e32 v[52:53], v[40:41], v[40:41]
	s_delay_alu instid0(VALU_DEP_3)
	v_mul_f64_e32 v[66:67], 0.5, v[42:43]
	v_cmp_class_f64_e64 s4, v[8:9], 0x1f8
	v_lshlrev_b32_e32 v8, 30, v48
	v_mul_f64_e32 v[54:55], v[44:45], v[44:45]
	v_cmp_ngt_f64_e64 s5, 0xc0900000, v[6:7]
	v_cmp_nlt_f64_e64 s6, 0x4090cc00, v[6:7]
	v_rndne_f64_e32 v[50:51], v[50:51]
	v_mul_f64_e32 v[56:57], 0.5, v[52:53]
	s_delay_alu instid0(VALU_DEP_2) | instskip(NEXT) | instid1(VALU_DEP_2)
	v_fma_f64 v[58:59], v[50:51], s[24:25], -v[6:7]
	v_add_f64_e64 v[62:63], -v[56:57], 1.0
	v_cvt_i32_f64_e32 v23, v[50:51]
	v_and_b32_e32 v6, 1, v48
	s_delay_alu instid0(VALU_DEP_1) | instskip(SKIP_3) | instid1(VALU_DEP_2)
	v_cmp_eq_u32_e64 s7, 0, v6
	v_mul_f64_e32 v[76:77], 0.5, v[46:47]
	v_fmac_f64_e32 v[58:59], 0xbc7abc9e3b39803f, v[50:51]
	v_add_f64_e64 v[70:71], -v[62:63], 1.0
	v_fmamk_f64 v[74:75], v[58:59], 0x3e5ade156a5dcb37, v[24:25]
	s_delay_alu instid0(VALU_DEP_2) | instskip(NEXT) | instid1(VALU_DEP_2)
	v_add_f64_e64 v[56:57], v[70:71], -v[56:57]
	v_fmaak_f64 v[74:75], v[58:59], v[74:75], 0x3ec71dee623fde64
	s_delay_alu instid0(VALU_DEP_1) | instskip(NEXT) | instid1(VALU_DEP_1)
	v_fmaak_f64 v[74:75], v[58:59], v[74:75], 0x3efa01997c89e6b0
	v_fmaak_f64 v[74:75], v[58:59], v[74:75], 0x3f2a01a014761f6e
	s_delay_alu instid0(VALU_DEP_1) | instskip(NEXT) | instid1(VALU_DEP_1)
	v_fmaak_f64 v[70:71], v[58:59], v[74:75], 0x3f56c16c1852b7b0
	;; [unrolled: 3-line block ×4, first 2 shown]
	v_fma_f64 v[70:71], v[58:59], v[70:71], 1.0
	s_delay_alu instid0(VALU_DEP_1) | instskip(NEXT) | instid1(VALU_DEP_1)
	v_fma_f64 v[50:51], v[58:59], v[70:71], 1.0
	v_ldexp_f64 v[50:51], v[50:51], v23
	v_and_b32_e32 v23, 1, v38
	v_fmamk_f64 v[72:73], v[52:53], 0x3de5e0b2f9a43bb8, v[28:29]
	v_lshlrev_b32_e32 v38, 30, v38
	v_mul_f64_e32 v[60:61], 0.5, v[54:55]
	v_mul_f64_e64 v[78:79], v[44:45], -v[54:55]
	v_cmp_eq_u32_e32 vcc_lo, 0, v23
	v_mul_f64_e64 v[68:69], v[40:41], -v[52:53]
	v_fmamk_f64 v[82:83], v[54:55], 0x3de5e0b2f9a43bb8, v[28:29]
	v_fmaak_f64 v[72:73], v[52:53], v[72:73], 0x3ec71de3796cde01
	v_mul_f64_e32 v[74:75], v[52:53], v[52:53]
	s_delay_alu instid0(VALU_DEP_2) | instskip(NEXT) | instid1(VALU_DEP_1)
	v_fmaak_f64 v[72:73], v[52:53], v[72:73], 0xbf2a01a019e83e5c
	v_fmaak_f64 v[72:73], v[52:53], v[72:73], 0x3f81111111110bb3
	v_cndmask_b32_e64 v9, 0x7ff00000, v51, s5
	v_add_f64_e64 v[64:65], -v[60:61], 1.0
	s_delay_alu instid0(VALU_DEP_3) | instskip(SKIP_1) | instid1(VALU_DEP_1)
	v_fmac_f64_e32 v[66:67], v[68:69], v[72:73]
	v_fmaak_f64 v[72:73], v[54:55], v[82:83], 0x3ec71de3796cde01
	v_fmaak_f64 v[72:73], v[54:55], v[72:73], 0xbf2a01a019e83e5c
	s_delay_alu instid0(VALU_DEP_1) | instskip(NEXT) | instid1(VALU_DEP_1)
	v_fmaak_f64 v[72:73], v[54:55], v[72:73], 0x3f81111111110bb3
	v_fmac_f64_e32 v[76:77], v[78:79], v[72:73]
	v_fmamk_f64 v[72:73], v[52:53], 0xbda907db46cc5e42, v[26:27]
	v_add_f64_e64 v[80:81], -v[64:65], 1.0
	v_fma_f64 v[66:67], v[52:53], v[66:67], -v[42:43]
	v_fma_f64 v[42:43], v[40:41], -v[42:43], v[56:57]
	s_delay_alu instid0(VALU_DEP_4) | instskip(SKIP_1) | instid1(VALU_DEP_2)
	v_fmaak_f64 v[56:57], v[52:53], v[72:73], 0xbe927e4fa17f65f6
	v_mul_f64_e32 v[72:73], v[54:55], v[54:55]
	v_fmaak_f64 v[56:57], v[52:53], v[56:57], 0x3efa01a019f4ec90
	s_delay_alu instid0(VALU_DEP_1) | instskip(NEXT) | instid1(VALU_DEP_1)
	v_fmaak_f64 v[56:57], v[52:53], v[56:57], 0xbf56c16c16c16967
	v_fmaak_f64 v[52:53], v[52:53], v[56:57], 0x3fa5555555555555
	v_fma_f64 v[56:57], v[54:55], v[76:77], -v[46:47]
	v_fmac_f64_e32 v[66:67], 0xbfc5555555555555, v[68:69]
	s_delay_alu instid0(VALU_DEP_3) | instskip(NEXT) | instid1(VALU_DEP_3)
	v_fmac_f64_e32 v[42:43], v[74:75], v[52:53]
	v_fmac_f64_e32 v[56:57], 0xbfc5555555555555, v[78:79]
	s_delay_alu instid0(VALU_DEP_3) | instskip(NEXT) | instid1(VALU_DEP_3)
	v_add_f64_e64 v[40:41], v[40:41], -v[66:67]
	v_add_f64_e32 v[42:43], v[62:63], v[42:43]
	s_delay_alu instid0(VALU_DEP_2) | instskip(NEXT) | instid1(VALU_DEP_2)
	v_xor_b32_e32 v7, 0x80000000, v41
	v_cndmask_b32_e32 v23, v40, v42, vcc_lo
	v_add_f64_e64 v[60:61], v[80:81], -v[60:61]
	v_fmamk_f64 v[80:81], v[54:55], 0xbda907db46cc5e42, v[26:27]
	s_delay_alu instid0(VALU_DEP_4) | instskip(SKIP_2) | instid1(VALU_DEP_2)
	v_cndmask_b32_e32 v6, v7, v43, vcc_lo
	v_xor_b32_e32 v7, v8, v39
	s_and_b32 vcc_lo, s6, s5
	v_bitop3_b32 v38, v6, v38, 0x80000000 bitop3:0x78
	v_cndmask_b32_e64 v6, 0, v23, s4
	v_fma_f64 v[46:47], v[44:45], -v[46:47], v[60:61]
	v_fmaak_f64 v[60:61], v[54:55], v[80:81], 0xbe927e4fa17f65f6
	v_add_f64_e64 v[44:45], v[44:45], -v[56:57]
	s_delay_alu instid0(VALU_DEP_2) | instskip(NEXT) | instid1(VALU_DEP_1)
	v_fmaak_f64 v[52:53], v[54:55], v[60:61], 0x3efa01a019f4ec90
	v_fmaak_f64 v[52:53], v[54:55], v[52:53], 0xbf56c16c16c16967
	s_delay_alu instid0(VALU_DEP_1) | instskip(NEXT) | instid1(VALU_DEP_1)
	v_fmaak_f64 v[52:53], v[54:55], v[52:53], 0x3fa5555555555555
	v_fmac_f64_e32 v[46:47], v[72:73], v[52:53]
	s_delay_alu instid0(VALU_DEP_1) | instskip(NEXT) | instid1(VALU_DEP_1)
	v_add_f64_e32 v[46:47], v[64:65], v[46:47]
	v_dual_cndmask_b32 v39, v47, v45, s7 :: v_dual_cndmask_b32 v8, v46, v44, s7
	s_delay_alu instid0(VALU_DEP_1) | instskip(SKIP_1) | instid1(VALU_DEP_3)
	v_bitop3_b32 v23, v39, v7, 0x80000000 bitop3:0x78
	v_cndmask_b32_e64 v7, 0x7ff80000, v38, s4
	v_dual_cndmask_b32 v8, 0, v8, s4 :: v_dual_cndmask_b32 v39, 0, v9, s6
	v_cndmask_b32_e32 v38, 0, v50, vcc_lo
	s_delay_alu instid0(VALU_DEP_4) | instskip(NEXT) | instid1(VALU_DEP_2)
	v_cndmask_b32_e64 v9, 0x7ff80000, v23, s4
	v_mul_f64_e32 v[40:41], v[38:39], v[6:7]
	s_delay_alu instid0(VALU_DEP_2)
	v_mul_f64_e32 v[38:39], v[38:39], v[8:9]
                                        ; implicit-def: $vgpr8_vgpr9
.LBB247_238:                            ;   in Loop: Header=BB247_217 Depth=1
	s_and_not1_saveexec_b32 s41, s41
	s_cbranch_execz .LBB247_282
; %bb.239:                              ;   in Loop: Header=BB247_217 Depth=1
	v_cmp_ngt_f64_e64 s4, 0x41d00000, |v[8:9]|
                                        ; implicit-def: $vgpr38
                                        ; implicit-def: $vgpr40_vgpr41
                                        ; implicit-def: $vgpr42_vgpr43
	s_and_saveexec_b32 s5, s4
	s_delay_alu instid0(SALU_CYCLE_1)
	s_xor_b32 s5, exec_lo, s5
	s_cbranch_execz .LBB247_241
; %bb.240:                              ;   in Loop: Header=BB247_217 Depth=1
	v_ldexp_f64 v[40:41], |v[8:9]|, 0xffffff80
	v_cmp_le_f64_e64 vcc_lo, 0x7b000000, |v[8:9]|
	v_trig_preop_f64 v[42:43], |v[8:9]|, 0
	v_and_b32_e32 v23, 0x7fffffff, v9
	v_trig_preop_f64 v[44:45], |v[8:9]|, 1
	v_trig_preop_f64 v[54:55], |v[8:9]|, 2
	s_delay_alu instid0(VALU_DEP_3) | instskip(NEXT) | instid1(VALU_DEP_1)
	v_dual_cndmask_b32 v41, v23, v41 :: v_dual_cndmask_b32 v40, v8, v40
	v_mul_f64_e32 v[46:47], v[42:43], v[40:41]
	s_delay_alu instid0(VALU_DEP_4) | instskip(NEXT) | instid1(VALU_DEP_4)
	v_mul_f64_e32 v[48:49], v[44:45], v[40:41]
	v_mul_f64_e32 v[60:61], v[54:55], v[40:41]
	s_delay_alu instid0(VALU_DEP_3) | instskip(NEXT) | instid1(VALU_DEP_3)
	v_fma_f64 v[42:43], v[42:43], v[40:41], -v[46:47]
	v_fma_f64 v[44:45], v[44:45], v[40:41], -v[48:49]
	s_delay_alu instid0(VALU_DEP_3) | instskip(NEXT) | instid1(VALU_DEP_3)
	v_fma_f64 v[40:41], v[54:55], v[40:41], -v[60:61]
	v_add_f64_e32 v[50:51], v[48:49], v[42:43]
	s_delay_alu instid0(VALU_DEP_1) | instskip(SKIP_1) | instid1(VALU_DEP_2)
	v_add_f64_e64 v[52:53], v[50:51], -v[48:49]
	v_add_f64_e32 v[58:59], v[46:47], v[50:51]
	v_add_f64_e64 v[56:57], v[50:51], -v[52:53]
	v_add_f64_e64 v[42:43], v[42:43], -v[52:53]
	s_delay_alu instid0(VALU_DEP_3) | instskip(NEXT) | instid1(VALU_DEP_3)
	v_ldexp_f64 v[52:53], v[58:59], -2
	v_add_f64_e64 v[48:49], v[48:49], -v[56:57]
	v_add_f64_e32 v[56:57], v[60:61], v[44:45]
	s_delay_alu instid0(VALU_DEP_3) | instskip(NEXT) | instid1(VALU_DEP_3)
	v_cmp_neq_f64_e64 vcc_lo, 0x7ff00000, |v[52:53]|
	v_add_f64_e32 v[42:43], v[42:43], v[48:49]
	v_fract_f64_e32 v[48:49], v[52:53]
	s_delay_alu instid0(VALU_DEP_1) | instskip(NEXT) | instid1(VALU_DEP_1)
	v_ldexp_f64 v[48:49], v[48:49], 2
	v_dual_add_f64 v[46:47], v[58:59], -v[46:47] :: v_dual_cndmask_b32 v48, 0, v48, vcc_lo
	s_delay_alu instid0(VALU_DEP_1) | instskip(SKIP_1) | instid1(VALU_DEP_1)
	v_dual_add_f64 v[46:47], v[50:51], -v[46:47] :: v_dual_cndmask_b32 v49, 0, v49, vcc_lo
	v_add_f64_e32 v[50:51], v[56:57], v[42:43]
	v_add_f64_e32 v[52:53], v[46:47], v[50:51]
	v_add_f64_e64 v[62:63], v[50:51], -v[56:57]
	s_delay_alu instid0(VALU_DEP_2) | instskip(NEXT) | instid1(VALU_DEP_2)
	v_add_f64_e32 v[58:59], v[52:53], v[48:49]
	v_add_f64_e64 v[68:69], v[50:51], -v[62:63]
	v_add_f64_e64 v[42:43], v[42:43], -v[62:63]
	;; [unrolled: 1-line block ×3, first 2 shown]
	s_delay_alu instid0(VALU_DEP_4) | instskip(SKIP_1) | instid1(VALU_DEP_3)
	v_cmp_gt_f64_e32 vcc_lo, 0, v[58:59]
	v_add_f64_e64 v[58:59], v[56:57], -v[60:61]
	v_add_f64_e64 v[46:47], v[50:51], -v[46:47]
	v_cndmask_b32_e64 v23, 0, 0x40100000, vcc_lo
	s_delay_alu instid0(VALU_DEP_3) | instskip(SKIP_2) | instid1(VALU_DEP_4)
	v_add_f64_e64 v[66:67], v[56:57], -v[58:59]
	v_add_f64_e64 v[44:45], v[44:45], -v[58:59]
	;; [unrolled: 1-line block ×3, first 2 shown]
	v_add_f64_e32 v[48:49], v[48:49], v[22:23]
	s_delay_alu instid0(VALU_DEP_4) | instskip(NEXT) | instid1(VALU_DEP_3)
	v_add_f64_e64 v[58:59], v[60:61], -v[66:67]
	v_add_f64_e32 v[42:43], v[42:43], v[56:57]
	s_delay_alu instid0(VALU_DEP_3) | instskip(NEXT) | instid1(VALU_DEP_3)
	v_add_f64_e32 v[64:65], v[52:53], v[48:49]
	v_add_f64_e32 v[44:45], v[44:45], v[58:59]
	s_delay_alu instid0(VALU_DEP_2) | instskip(NEXT) | instid1(VALU_DEP_2)
	v_cvt_i32_f64_e32 v23, v[64:65]
	v_add_f64_e32 v[42:43], v[44:45], v[42:43]
	s_delay_alu instid0(VALU_DEP_2) | instskip(NEXT) | instid1(VALU_DEP_2)
	v_cvt_f64_i32_e32 v[62:63], v23
	v_add_f64_e32 v[40:41], v[40:41], v[42:43]
	s_delay_alu instid0(VALU_DEP_2) | instskip(NEXT) | instid1(VALU_DEP_2)
	v_add_f64_e64 v[48:49], v[48:49], -v[62:63]
	v_add_f64_e32 v[40:41], v[46:47], v[40:41]
	s_delay_alu instid0(VALU_DEP_2) | instskip(NEXT) | instid1(VALU_DEP_1)
	v_add_f64_e32 v[44:45], v[52:53], v[48:49]
	v_add_f64_e64 v[42:43], v[44:45], -v[48:49]
	v_cmp_le_f64_e32 vcc_lo, 0.5, v[44:45]
	s_delay_alu instid0(VALU_DEP_2) | instskip(SKIP_2) | instid1(VALU_DEP_3)
	v_add_f64_e64 v[42:43], v[52:53], -v[42:43]
	v_add_co_ci_u32_e64 v38, null, 0, v23, vcc_lo
	v_cndmask_b32_e64 v23, 0, 0x3ff00000, vcc_lo
	v_add_f64_e32 v[40:41], v[40:41], v[42:43]
	s_delay_alu instid0(VALU_DEP_2) | instskip(NEXT) | instid1(VALU_DEP_1)
	v_add_f64_e64 v[42:43], v[44:45], -v[22:23]
	v_add_f64_e32 v[44:45], v[42:43], v[40:41]
	s_delay_alu instid0(VALU_DEP_1) | instskip(SKIP_1) | instid1(VALU_DEP_2)
	v_mul_f64_e32 v[46:47], 0x3ff921fb54442d18, v[44:45]
	v_add_f64_e64 v[42:43], v[44:45], -v[42:43]
	v_fma_f64 v[48:49], v[44:45], s[18:19], -v[46:47]
	s_delay_alu instid0(VALU_DEP_2) | instskip(NEXT) | instid1(VALU_DEP_2)
	v_add_f64_e64 v[40:41], v[40:41], -v[42:43]
	v_fmac_f64_e32 v[48:49], 0x3c91a62633145c07, v[44:45]
	s_delay_alu instid0(VALU_DEP_1) | instskip(NEXT) | instid1(VALU_DEP_1)
	v_fmac_f64_e32 v[48:49], 0x3ff921fb54442d18, v[40:41]
	v_add_f64_e32 v[40:41], v[46:47], v[48:49]
	s_delay_alu instid0(VALU_DEP_1) | instskip(NEXT) | instid1(VALU_DEP_1)
	v_add_f64_e64 v[42:43], v[40:41], -v[46:47]
	v_add_f64_e64 v[42:43], v[48:49], -v[42:43]
	s_and_not1_saveexec_b32 s5, s5
	s_cbranch_execz .LBB247_243
	s_branch .LBB247_242
.LBB247_241:                            ;   in Loop: Header=BB247_217 Depth=1
	s_and_not1_saveexec_b32 s5, s5
	s_cbranch_execz .LBB247_243
.LBB247_242:                            ;   in Loop: Header=BB247_217 Depth=1
	v_mul_f64_e64 v[40:41], |v[8:9]|, s[20:21]
	s_delay_alu instid0(VALU_DEP_1) | instskip(NEXT) | instid1(VALU_DEP_1)
	v_rndne_f64_e32 v[44:45], v[40:41]
	v_fma_f64 v[40:41], v[44:45], s[22:23], |v[8:9]|
	v_mul_f64_e32 v[42:43], 0xbc91a62633145c00, v[44:45]
	v_cvt_i32_f64_e32 v38, v[44:45]
	s_delay_alu instid0(VALU_DEP_3) | instskip(NEXT) | instid1(VALU_DEP_3)
	v_fmamk_f64 v[50:51], v[44:45], 0xbc91a62633145c00, v[40:41]
	v_add_f64_e32 v[46:47], v[40:41], v[42:43]
	s_delay_alu instid0(VALU_DEP_1) | instskip(NEXT) | instid1(VALU_DEP_3)
	v_add_f64_e64 v[48:49], v[40:41], -v[46:47]
	v_add_f64_e64 v[40:41], v[46:47], -v[50:51]
	s_delay_alu instid0(VALU_DEP_2) | instskip(SKIP_1) | instid1(VALU_DEP_2)
	v_add_f64_e32 v[46:47], v[48:49], v[42:43]
	v_fmamk_f64 v[42:43], v[44:45], 0x3c91a62633145c00, v[42:43]
	v_add_f64_e32 v[40:41], v[40:41], v[46:47]
	s_delay_alu instid0(VALU_DEP_1) | instskip(NEXT) | instid1(VALU_DEP_1)
	v_add_f64_e64 v[42:43], v[40:41], -v[42:43]
	v_fmac_f64_e32 v[42:43], 0xb97b839a252049c0, v[44:45]
	s_delay_alu instid0(VALU_DEP_1) | instskip(NEXT) | instid1(VALU_DEP_1)
	v_add_f64_e32 v[40:41], v[50:51], v[42:43]
	v_add_f64_e64 v[46:47], v[40:41], -v[50:51]
	s_delay_alu instid0(VALU_DEP_1)
	v_add_f64_e64 v[42:43], v[42:43], -v[46:47]
.LBB247_243:                            ;   in Loop: Header=BB247_217 Depth=1
	s_or_b32 exec_lo, exec_lo, s5
                                        ; implicit-def: $vgpr48
                                        ; implicit-def: $vgpr44_vgpr45
                                        ; implicit-def: $vgpr46_vgpr47
	s_and_saveexec_b32 s5, s4
	s_delay_alu instid0(SALU_CYCLE_1)
	s_xor_b32 s4, exec_lo, s5
	s_cbranch_execz .LBB247_245
; %bb.244:                              ;   in Loop: Header=BB247_217 Depth=1
	v_ldexp_f64 v[44:45], |v[8:9]|, 0xffffff80
	v_cmp_le_f64_e64 vcc_lo, 0x7b000000, |v[8:9]|
	v_trig_preop_f64 v[46:47], |v[8:9]|, 0
	v_and_b32_e32 v23, 0x7fffffff, v9
	v_trig_preop_f64 v[48:49], |v[8:9]|, 1
	v_trig_preop_f64 v[58:59], |v[8:9]|, 2
	s_delay_alu instid0(VALU_DEP_3) | instskip(NEXT) | instid1(VALU_DEP_1)
	v_dual_cndmask_b32 v45, v23, v45 :: v_dual_cndmask_b32 v44, v8, v44
	v_mul_f64_e32 v[50:51], v[46:47], v[44:45]
	s_delay_alu instid0(VALU_DEP_4) | instskip(NEXT) | instid1(VALU_DEP_4)
	v_mul_f64_e32 v[52:53], v[48:49], v[44:45]
	v_mul_f64_e32 v[64:65], v[58:59], v[44:45]
	s_delay_alu instid0(VALU_DEP_3) | instskip(NEXT) | instid1(VALU_DEP_3)
	v_fma_f64 v[46:47], v[46:47], v[44:45], -v[50:51]
	v_fma_f64 v[48:49], v[48:49], v[44:45], -v[52:53]
	s_delay_alu instid0(VALU_DEP_3) | instskip(NEXT) | instid1(VALU_DEP_3)
	v_fma_f64 v[44:45], v[58:59], v[44:45], -v[64:65]
	v_add_f64_e32 v[54:55], v[52:53], v[46:47]
	s_delay_alu instid0(VALU_DEP_1) | instskip(SKIP_1) | instid1(VALU_DEP_2)
	v_add_f64_e64 v[56:57], v[54:55], -v[52:53]
	v_add_f64_e32 v[62:63], v[50:51], v[54:55]
	v_add_f64_e64 v[60:61], v[54:55], -v[56:57]
	v_add_f64_e64 v[46:47], v[46:47], -v[56:57]
	s_delay_alu instid0(VALU_DEP_3) | instskip(NEXT) | instid1(VALU_DEP_3)
	v_ldexp_f64 v[56:57], v[62:63], -2
	v_add_f64_e64 v[52:53], v[52:53], -v[60:61]
	v_add_f64_e32 v[60:61], v[64:65], v[48:49]
	s_delay_alu instid0(VALU_DEP_3) | instskip(NEXT) | instid1(VALU_DEP_3)
	v_cmp_neq_f64_e64 vcc_lo, 0x7ff00000, |v[56:57]|
	v_add_f64_e32 v[46:47], v[46:47], v[52:53]
	v_fract_f64_e32 v[52:53], v[56:57]
	s_delay_alu instid0(VALU_DEP_1) | instskip(NEXT) | instid1(VALU_DEP_1)
	v_ldexp_f64 v[52:53], v[52:53], 2
	v_dual_add_f64 v[50:51], v[62:63], -v[50:51] :: v_dual_cndmask_b32 v52, 0, v52, vcc_lo
	s_delay_alu instid0(VALU_DEP_1) | instskip(SKIP_1) | instid1(VALU_DEP_1)
	v_dual_add_f64 v[50:51], v[54:55], -v[50:51] :: v_dual_cndmask_b32 v53, 0, v53, vcc_lo
	v_add_f64_e32 v[54:55], v[60:61], v[46:47]
	v_add_f64_e32 v[56:57], v[50:51], v[54:55]
	v_add_f64_e64 v[66:67], v[54:55], -v[60:61]
	s_delay_alu instid0(VALU_DEP_2) | instskip(NEXT) | instid1(VALU_DEP_2)
	v_add_f64_e32 v[62:63], v[56:57], v[52:53]
	v_add_f64_e64 v[72:73], v[54:55], -v[66:67]
	v_add_f64_e64 v[46:47], v[46:47], -v[66:67]
	;; [unrolled: 1-line block ×3, first 2 shown]
	s_delay_alu instid0(VALU_DEP_4) | instskip(SKIP_2) | instid1(VALU_DEP_2)
	v_cmp_gt_f64_e32 vcc_lo, 0, v[62:63]
	v_add_f64_e64 v[62:63], v[60:61], -v[64:65]
	v_cndmask_b32_e64 v23, 0, 0x40100000, vcc_lo
	v_add_f64_e64 v[70:71], v[60:61], -v[62:63]
	v_add_f64_e64 v[48:49], v[48:49], -v[62:63]
	;; [unrolled: 1-line block ×3, first 2 shown]
	s_delay_alu instid0(VALU_DEP_4) | instskip(NEXT) | instid1(VALU_DEP_4)
	v_add_f64_e32 v[52:53], v[52:53], v[22:23]
	v_add_f64_e64 v[62:63], v[64:65], -v[70:71]
	s_delay_alu instid0(VALU_DEP_3) | instskip(NEXT) | instid1(VALU_DEP_3)
	v_add_f64_e32 v[46:47], v[46:47], v[60:61]
	v_add_f64_e32 v[68:69], v[56:57], v[52:53]
	s_delay_alu instid0(VALU_DEP_3) | instskip(NEXT) | instid1(VALU_DEP_2)
	v_add_f64_e32 v[48:49], v[48:49], v[62:63]
	v_cvt_i32_f64_e32 v23, v[68:69]
	s_delay_alu instid0(VALU_DEP_2) | instskip(SKIP_1) | instid1(VALU_DEP_3)
	v_add_f64_e32 v[46:47], v[48:49], v[46:47]
	v_add_f64_e64 v[48:49], v[54:55], -v[50:51]
	v_cvt_f64_i32_e32 v[66:67], v23
	s_delay_alu instid0(VALU_DEP_3) | instskip(NEXT) | instid1(VALU_DEP_2)
	v_add_f64_e32 v[44:45], v[44:45], v[46:47]
	v_add_f64_e64 v[52:53], v[52:53], -v[66:67]
	s_delay_alu instid0(VALU_DEP_2) | instskip(NEXT) | instid1(VALU_DEP_2)
	v_add_f64_e32 v[44:45], v[48:49], v[44:45]
	v_add_f64_e32 v[58:59], v[56:57], v[52:53]
	s_delay_alu instid0(VALU_DEP_1) | instskip(SKIP_1) | instid1(VALU_DEP_2)
	v_add_f64_e64 v[46:47], v[58:59], -v[52:53]
	v_cmp_le_f64_e32 vcc_lo, 0.5, v[58:59]
	v_add_f64_e64 v[46:47], v[56:57], -v[46:47]
	v_add_co_ci_u32_e64 v48, null, 0, v23, vcc_lo
	v_cndmask_b32_e64 v23, 0, 0x3ff00000, vcc_lo
	s_delay_alu instid0(VALU_DEP_3) | instskip(NEXT) | instid1(VALU_DEP_2)
	v_add_f64_e32 v[44:45], v[44:45], v[46:47]
	v_add_f64_e64 v[46:47], v[58:59], -v[22:23]
	s_delay_alu instid0(VALU_DEP_1) | instskip(NEXT) | instid1(VALU_DEP_1)
	v_add_f64_e32 v[50:51], v[46:47], v[44:45]
	v_mul_f64_e32 v[52:53], 0x3ff921fb54442d18, v[50:51]
	v_add_f64_e64 v[46:47], v[50:51], -v[46:47]
	s_delay_alu instid0(VALU_DEP_2) | instskip(NEXT) | instid1(VALU_DEP_2)
	v_fma_f64 v[54:55], v[50:51], s[18:19], -v[52:53]
	v_add_f64_e64 v[44:45], v[44:45], -v[46:47]
	s_delay_alu instid0(VALU_DEP_2) | instskip(NEXT) | instid1(VALU_DEP_1)
	v_fmac_f64_e32 v[54:55], 0x3c91a62633145c07, v[50:51]
	v_fmac_f64_e32 v[54:55], 0x3ff921fb54442d18, v[44:45]
	s_delay_alu instid0(VALU_DEP_1) | instskip(NEXT) | instid1(VALU_DEP_1)
	v_add_f64_e32 v[44:45], v[52:53], v[54:55]
	v_add_f64_e64 v[46:47], v[44:45], -v[52:53]
	s_delay_alu instid0(VALU_DEP_1)
	v_add_f64_e64 v[46:47], v[54:55], -v[46:47]
	s_and_not1_saveexec_b32 s4, s4
	s_cbranch_execnz .LBB247_246
	s_branch .LBB247_247
.LBB247_245:                            ;   in Loop: Header=BB247_217 Depth=1
	s_and_not1_saveexec_b32 s4, s4
	s_cbranch_execz .LBB247_247
.LBB247_246:                            ;   in Loop: Header=BB247_217 Depth=1
	v_mul_f64_e64 v[44:45], |v[8:9]|, s[20:21]
	s_delay_alu instid0(VALU_DEP_1) | instskip(NEXT) | instid1(VALU_DEP_1)
	v_rndne_f64_e32 v[48:49], v[44:45]
	v_fma_f64 v[44:45], v[48:49], s[22:23], |v[8:9]|
	v_mul_f64_e32 v[46:47], 0xbc91a62633145c00, v[48:49]
	s_delay_alu instid0(VALU_DEP_2) | instskip(NEXT) | instid1(VALU_DEP_2)
	v_fmamk_f64 v[54:55], v[48:49], 0xbc91a62633145c00, v[44:45]
	v_add_f64_e32 v[50:51], v[44:45], v[46:47]
	s_delay_alu instid0(VALU_DEP_1) | instskip(NEXT) | instid1(VALU_DEP_3)
	v_add_f64_e64 v[52:53], v[44:45], -v[50:51]
	v_add_f64_e64 v[44:45], v[50:51], -v[54:55]
	s_delay_alu instid0(VALU_DEP_2) | instskip(SKIP_1) | instid1(VALU_DEP_2)
	v_add_f64_e32 v[50:51], v[52:53], v[46:47]
	v_fmamk_f64 v[46:47], v[48:49], 0x3c91a62633145c00, v[46:47]
	v_add_f64_e32 v[44:45], v[44:45], v[50:51]
	s_delay_alu instid0(VALU_DEP_1) | instskip(NEXT) | instid1(VALU_DEP_1)
	v_add_f64_e64 v[46:47], v[44:45], -v[46:47]
	v_fmac_f64_e32 v[46:47], 0xb97b839a252049c0, v[48:49]
	v_cvt_i32_f64_e32 v48, v[48:49]
	s_delay_alu instid0(VALU_DEP_2) | instskip(NEXT) | instid1(VALU_DEP_1)
	v_add_f64_e32 v[44:45], v[54:55], v[46:47]
	v_add_f64_e64 v[50:51], v[44:45], -v[54:55]
	s_delay_alu instid0(VALU_DEP_1)
	v_add_f64_e64 v[46:47], v[46:47], -v[50:51]
.LBB247_247:                            ;   in Loop: Header=BB247_217 Depth=1
	s_or_b32 exec_lo, exec_lo, s4
	v_add_f64_e64 v[6:7], -v[6:7], s[30:31]
	v_mul_f64_e32 v[52:53], v[40:41], v[40:41]
	s_delay_alu instid0(VALU_DEP_3)
	v_mul_f64_e32 v[66:67], 0.5, v[42:43]
	v_cmp_class_f64_e64 s4, v[8:9], 0x1f8
	v_lshlrev_b32_e32 v9, 30, v48
	v_mul_f64_e32 v[54:55], v[44:45], v[44:45]
	v_mul_f64_e32 v[50:51], 0x3ff71547652b82fe, v[6:7]
	v_mul_f64_e32 v[56:57], 0.5, v[52:53]
	v_cmp_nlt_f64_e64 s5, 0x40900000, v[6:7]
	v_cmp_ngt_f64_e64 s6, 0xc090cc00, v[6:7]
	s_delay_alu instid0(VALU_DEP_4) | instskip(NEXT) | instid1(VALU_DEP_4)
	v_rndne_f64_e32 v[50:51], v[50:51]
	v_add_f64_e64 v[62:63], -v[56:57], 1.0
	s_delay_alu instid0(VALU_DEP_2) | instskip(NEXT) | instid1(VALU_DEP_2)
	v_fmamk_f64 v[60:61], v[50:51], 0xbfe62e42fefa39ef, v[6:7]
	v_add_f64_e64 v[70:71], -v[62:63], 1.0
	v_cvt_i32_f64_e32 v23, v[50:51]
	v_and_b32_e32 v6, 1, v48
	s_delay_alu instid0(VALU_DEP_4) | instskip(NEXT) | instid1(VALU_DEP_2)
	v_fmac_f64_e32 v[60:61], 0xbc7abc9e3b39803f, v[50:51]
	v_cmp_eq_u32_e64 s7, 0, v6
	v_mul_f64_e32 v[76:77], 0.5, v[46:47]
	v_add_f64_e64 v[56:57], v[70:71], -v[56:57]
	s_delay_alu instid0(VALU_DEP_4) | instskip(NEXT) | instid1(VALU_DEP_1)
	v_fmamk_f64 v[74:75], v[60:61], 0x3e5ade156a5dcb37, v[24:25]
	v_fmaak_f64 v[74:75], v[60:61], v[74:75], 0x3ec71dee623fde64
	s_delay_alu instid0(VALU_DEP_1) | instskip(NEXT) | instid1(VALU_DEP_1)
	v_fmaak_f64 v[74:75], v[60:61], v[74:75], 0x3efa01997c89e6b0
	v_fmaak_f64 v[74:75], v[60:61], v[74:75], 0x3f2a01a014761f6e
	s_delay_alu instid0(VALU_DEP_1) | instskip(NEXT) | instid1(VALU_DEP_1)
	v_fmaak_f64 v[70:71], v[60:61], v[74:75], 0x3f56c16c1852b7b0
	v_fmaak_f64 v[70:71], v[60:61], v[70:71], 0x3f81111111122322
	s_delay_alu instid0(VALU_DEP_1) | instskip(NEXT) | instid1(VALU_DEP_1)
	v_fmaak_f64 v[70:71], v[60:61], v[70:71], 0x3fa55555555502a1
	v_fmaak_f64 v[70:71], v[60:61], v[70:71], 0x3fc5555555555511
	s_delay_alu instid0(VALU_DEP_1) | instskip(NEXT) | instid1(VALU_DEP_1)
	v_fmaak_f64 v[70:71], v[60:61], v[70:71], 0x3fe000000000000b
	v_fma_f64 v[70:71], v[60:61], v[70:71], 1.0
	s_delay_alu instid0(VALU_DEP_1) | instskip(NEXT) | instid1(VALU_DEP_1)
	v_fma_f64 v[50:51], v[60:61], v[70:71], 1.0
	v_ldexp_f64 v[50:51], v[50:51], v23
	v_and_b32_e32 v23, 1, v38
	v_fmamk_f64 v[72:73], v[52:53], 0x3de5e0b2f9a43bb8, v[28:29]
	v_lshlrev_b32_e32 v38, 30, v38
	v_mul_f64_e32 v[58:59], 0.5, v[54:55]
	v_mul_f64_e64 v[78:79], v[44:45], -v[54:55]
	v_cmp_eq_u32_e32 vcc_lo, 0, v23
	v_mul_f64_e64 v[68:69], v[40:41], -v[52:53]
	v_fmamk_f64 v[82:83], v[54:55], 0x3de5e0b2f9a43bb8, v[28:29]
	v_fmaak_f64 v[72:73], v[52:53], v[72:73], 0x3ec71de3796cde01
	v_mul_f64_e32 v[74:75], v[52:53], v[52:53]
	s_delay_alu instid0(VALU_DEP_2) | instskip(NEXT) | instid1(VALU_DEP_1)
	v_fmaak_f64 v[72:73], v[52:53], v[72:73], 0xbf2a01a019e83e5c
	v_fmaak_f64 v[72:73], v[52:53], v[72:73], 0x3f81111111110bb3
	v_cndmask_b32_e64 v8, 0x7ff00000, v51, s5
	v_add_f64_e64 v[64:65], -v[58:59], 1.0
	s_delay_alu instid0(VALU_DEP_3) | instskip(SKIP_1) | instid1(VALU_DEP_1)
	v_fmac_f64_e32 v[66:67], v[68:69], v[72:73]
	v_fmaak_f64 v[72:73], v[54:55], v[82:83], 0x3ec71de3796cde01
	v_fmaak_f64 v[72:73], v[54:55], v[72:73], 0xbf2a01a019e83e5c
	s_delay_alu instid0(VALU_DEP_1) | instskip(NEXT) | instid1(VALU_DEP_1)
	v_fmaak_f64 v[72:73], v[54:55], v[72:73], 0x3f81111111110bb3
	v_fmac_f64_e32 v[76:77], v[78:79], v[72:73]
	v_fmamk_f64 v[72:73], v[52:53], 0xbda907db46cc5e42, v[26:27]
	v_add_f64_e64 v[80:81], -v[64:65], 1.0
	v_fma_f64 v[66:67], v[52:53], v[66:67], -v[42:43]
	v_fma_f64 v[42:43], v[40:41], -v[42:43], v[56:57]
	s_delay_alu instid0(VALU_DEP_4) | instskip(SKIP_1) | instid1(VALU_DEP_2)
	v_fmaak_f64 v[56:57], v[52:53], v[72:73], 0xbe927e4fa17f65f6
	v_mul_f64_e32 v[72:73], v[54:55], v[54:55]
	v_fmaak_f64 v[56:57], v[52:53], v[56:57], 0x3efa01a019f4ec90
	s_delay_alu instid0(VALU_DEP_1) | instskip(NEXT) | instid1(VALU_DEP_1)
	v_fmaak_f64 v[56:57], v[52:53], v[56:57], 0xbf56c16c16c16967
	v_fmaak_f64 v[52:53], v[52:53], v[56:57], 0x3fa5555555555555
	v_add_f64_e64 v[58:59], v[80:81], -v[58:59]
	v_fmamk_f64 v[80:81], v[54:55], 0xbda907db46cc5e42, v[26:27]
	v_fmac_f64_e32 v[66:67], 0xbfc5555555555555, v[68:69]
	s_delay_alu instid0(VALU_DEP_4) | instskip(NEXT) | instid1(VALU_DEP_2)
	v_fmac_f64_e32 v[42:43], v[74:75], v[52:53]
	v_add_f64_e64 v[40:41], v[40:41], -v[66:67]
	s_delay_alu instid0(VALU_DEP_2) | instskip(NEXT) | instid1(VALU_DEP_2)
	v_add_f64_e32 v[42:43], v[62:63], v[42:43]
	v_xor_b32_e32 v7, 0x80000000, v41
	s_delay_alu instid0(VALU_DEP_2) | instskip(NEXT) | instid1(VALU_DEP_2)
	v_dual_cndmask_b32 v23, v40, v42, vcc_lo :: v_dual_cndmask_b32 v40, 0, v8, s6
	v_cndmask_b32_e32 v6, v7, v43, vcc_lo
	s_and_b32 vcc_lo, s6, s5
	v_fma_f64 v[56:57], v[54:55], v[76:77], -v[46:47]
	v_fma_f64 v[46:47], v[44:45], -v[46:47], v[58:59]
	v_fmaak_f64 v[58:59], v[54:55], v[80:81], 0xbe927e4fa17f65f6
	v_xor_b32_e32 v7, v9, v39
	v_bitop3_b32 v38, v6, v38, 0x80000000 bitop3:0x78
	v_cndmask_b32_e64 v6, 0, v23, s4
	s_delay_alu instid0(VALU_DEP_4) | instskip(NEXT) | instid1(VALU_DEP_1)
	v_fmaak_f64 v[52:53], v[54:55], v[58:59], 0x3efa01a019f4ec90
	v_fmaak_f64 v[52:53], v[54:55], v[52:53], 0xbf56c16c16c16967
	s_delay_alu instid0(VALU_DEP_1) | instskip(SKIP_1) | instid1(VALU_DEP_2)
	v_fmaak_f64 v[52:53], v[54:55], v[52:53], 0x3fa5555555555555
	v_fmac_f64_e32 v[56:57], 0xbfc5555555555555, v[78:79]
	v_fmac_f64_e32 v[46:47], v[72:73], v[52:53]
	s_delay_alu instid0(VALU_DEP_2) | instskip(NEXT) | instid1(VALU_DEP_2)
	v_add_f64_e64 v[44:45], v[44:45], -v[56:57]
	v_add_f64_e32 v[46:47], v[64:65], v[46:47]
	s_delay_alu instid0(VALU_DEP_1) | instskip(NEXT) | instid1(VALU_DEP_1)
	v_dual_cndmask_b32 v39, v47, v45, s7 :: v_dual_cndmask_b32 v9, v46, v44, s7
	v_bitop3_b32 v23, v39, v7, 0x80000000 bitop3:0x78
	v_cndmask_b32_e64 v7, 0x7ff80000, v38, s4
	s_delay_alu instid0(VALU_DEP_3) | instskip(SKIP_3) | instid1(VALU_DEP_2)
	v_cndmask_b32_e64 v8, 0, v9, s4
	v_and_or_b32 v39, v40, s33, 0x7fe00000
	v_cndmask_b32_e32 v38, 0, v50, vcc_lo
	v_cndmask_b32_e64 v9, 0x7ff80000, v23, s4
	v_dual_mul_f64 v[6:7], v[38:39], v[6:7] :: v_dual_lshrrev_b32 v23, 20, v40
	s_delay_alu instid0(VALU_DEP_2) | instskip(NEXT) | instid1(VALU_DEP_2)
	v_mul_f64_e32 v[8:9], v[38:39], v[8:9]
	v_add_nc_u32_e32 v38, 0xffffff09, v23
	s_delay_alu instid0(VALU_DEP_1) | instskip(NEXT) | instid1(VALU_DEP_1)
	v_lshrrev_b16 v23, 15, v38
	v_add_nc_u16 v23, v38, v23
	s_delay_alu instid0(VALU_DEP_1) | instskip(NEXT) | instid1(VALU_DEP_1)
	v_ashrrev_i16 v23, 1, v23
	v_bfe_i32 v39, v23, 0, 16
	s_delay_alu instid0(VALU_DEP_1) | instskip(NEXT) | instid1(VALU_DEP_1)
	v_lshl_add_u32 v23, v39, 20, 0x3ff00000
	v_mul_f64_e32 v[6:7], v[6:7], v[22:23]
	v_mul_f64_e32 v[8:9], v[8:9], v[22:23]
	v_sub_nc_u32_e32 v23, v38, v39
	v_mov_b32_e32 v38, v22
	s_delay_alu instid0(VALU_DEP_2) | instskip(NEXT) | instid1(VALU_DEP_1)
	v_lshl_add_u32 v39, v23, 20, 0x3ff00000
	v_mul_f64_e32 v[40:41], v[6:7], v[38:39]
	v_mul_f64_e32 v[38:39], v[8:9], v[38:39]
	s_or_b32 exec_lo, exec_lo, s41
                                        ; implicit-def: $vgpr42_vgpr43
                                        ; implicit-def: $vgpr8_vgpr9
                                        ; implicit-def: $vgpr23
.LBB247_248:                            ;   in Loop: Header=BB247_217 Depth=1
	s_and_not1_saveexec_b32 s5, s40
	s_cbranch_execz .LBB247_254
.LBB247_249:                            ;   in Loop: Header=BB247_217 Depth=1
	v_cmp_ne_u32_e32 vcc_lo, 0, v6
	v_cmp_ne_u32_e64 s4, 0x7ff00000, v23
                                        ; implicit-def: $vgpr38_vgpr39
	s_or_b32 s4, vcc_lo, s4
	s_delay_alu instid0(SALU_CYCLE_1) | instskip(NEXT) | instid1(SALU_CYCLE_1)
	s_and_saveexec_b32 s6, s4
	s_xor_b32 s4, exec_lo, s6
; %bb.250:                              ;   in Loop: Header=BB247_217 Depth=1
	v_add_f64_e64 v[38:39], v[8:9], -v[8:9]
                                        ; implicit-def: $vgpr42_vgpr43
                                        ; implicit-def: $vgpr8_vgpr9
; %bb.251:                              ;   in Loop: Header=BB247_217 Depth=1
	s_or_saveexec_b32 s4, s4
	s_delay_alu instid0(VALU_DEP_1)
	v_mov_b64_e32 v[40:41], v[38:39]
	s_xor_b32 exec_lo, exec_lo, s4
	s_cbranch_execz .LBB247_253
; %bb.252:                              ;   in Loop: Header=BB247_217 Depth=1
	v_cmp_lt_i64_e32 vcc_lo, -1, v[42:43]
	v_dual_add_f64 v[8:9], v[8:9], -v[8:9] :: v_dual_cndmask_b32 v41, 0, v43, vcc_lo
	s_delay_alu instid0(VALU_DEP_1) | instskip(NEXT) | instid1(VALU_DEP_2)
	v_dual_cndmask_b32 v40, 0, v6 :: v_dual_cndmask_b32 v39, 0, v9
	v_cndmask_b32_e32 v38, 0, v8, vcc_lo
.LBB247_253:                            ;   in Loop: Header=BB247_217 Depth=1
	s_or_b32 exec_lo, exec_lo, s4
.LBB247_254:                            ;   in Loop: Header=BB247_217 Depth=1
	s_delay_alu instid0(SALU_CYCLE_1)
	s_or_b32 exec_lo, exec_lo, s5
                                        ; implicit-def: $vgpr8_vgpr9
.LBB247_255:                            ;   in Loop: Header=BB247_217 Depth=1
	s_and_not1_saveexec_b32 s6, s39
	s_cbranch_execz .LBB247_265
; %bb.256:                              ;   in Loop: Header=BB247_217 Depth=1
	v_cmp_ngt_f64_e64 s4, 0x41d00000, |v[8:9]|
                                        ; implicit-def: $vgpr38
                                        ; implicit-def: $vgpr6_vgpr7
                                        ; implicit-def: $vgpr40_vgpr41
	s_and_saveexec_b32 s5, s4
	s_delay_alu instid0(SALU_CYCLE_1)
	s_xor_b32 s5, exec_lo, s5
	s_cbranch_execz .LBB247_258
; %bb.257:                              ;   in Loop: Header=BB247_217 Depth=1
	v_ldexp_f64 v[6:7], |v[8:9]|, 0xffffff80
	v_cmp_le_f64_e64 vcc_lo, 0x7b000000, |v[8:9]|
	v_trig_preop_f64 v[40:41], |v[8:9]|, 0
	v_and_b32_e32 v23, 0x7fffffff, v9
	v_trig_preop_f64 v[42:43], |v[8:9]|, 1
	v_trig_preop_f64 v[52:53], |v[8:9]|, 2
	s_delay_alu instid0(VALU_DEP_3) | instskip(NEXT) | instid1(VALU_DEP_1)
	v_dual_cndmask_b32 v7, v23, v7 :: v_dual_cndmask_b32 v6, v8, v6
	v_mul_f64_e32 v[44:45], v[40:41], v[6:7]
	s_delay_alu instid0(VALU_DEP_4) | instskip(NEXT) | instid1(VALU_DEP_4)
	v_mul_f64_e32 v[46:47], v[42:43], v[6:7]
	v_mul_f64_e32 v[58:59], v[52:53], v[6:7]
	s_delay_alu instid0(VALU_DEP_3) | instskip(NEXT) | instid1(VALU_DEP_3)
	v_fma_f64 v[40:41], v[40:41], v[6:7], -v[44:45]
	v_fma_f64 v[42:43], v[42:43], v[6:7], -v[46:47]
	s_delay_alu instid0(VALU_DEP_3) | instskip(NEXT) | instid1(VALU_DEP_3)
	v_fma_f64 v[6:7], v[52:53], v[6:7], -v[58:59]
	v_add_f64_e32 v[48:49], v[46:47], v[40:41]
	s_delay_alu instid0(VALU_DEP_1) | instskip(SKIP_1) | instid1(VALU_DEP_2)
	v_add_f64_e64 v[50:51], v[48:49], -v[46:47]
	v_add_f64_e32 v[56:57], v[44:45], v[48:49]
	v_add_f64_e64 v[54:55], v[48:49], -v[50:51]
	v_add_f64_e64 v[40:41], v[40:41], -v[50:51]
	s_delay_alu instid0(VALU_DEP_3) | instskip(NEXT) | instid1(VALU_DEP_3)
	v_ldexp_f64 v[50:51], v[56:57], -2
	v_add_f64_e64 v[46:47], v[46:47], -v[54:55]
	v_add_f64_e32 v[54:55], v[58:59], v[42:43]
	s_delay_alu instid0(VALU_DEP_3) | instskip(NEXT) | instid1(VALU_DEP_3)
	v_cmp_neq_f64_e64 vcc_lo, 0x7ff00000, |v[50:51]|
	v_add_f64_e32 v[40:41], v[40:41], v[46:47]
	v_fract_f64_e32 v[46:47], v[50:51]
	s_delay_alu instid0(VALU_DEP_1) | instskip(NEXT) | instid1(VALU_DEP_1)
	v_ldexp_f64 v[46:47], v[46:47], 2
	v_dual_add_f64 v[44:45], v[56:57], -v[44:45] :: v_dual_cndmask_b32 v46, 0, v46, vcc_lo
	s_delay_alu instid0(VALU_DEP_1) | instskip(SKIP_1) | instid1(VALU_DEP_1)
	v_dual_add_f64 v[44:45], v[48:49], -v[44:45] :: v_dual_cndmask_b32 v47, 0, v47, vcc_lo
	v_add_f64_e32 v[48:49], v[54:55], v[40:41]
	v_add_f64_e32 v[50:51], v[44:45], v[48:49]
	v_add_f64_e64 v[60:61], v[48:49], -v[54:55]
	s_delay_alu instid0(VALU_DEP_2) | instskip(NEXT) | instid1(VALU_DEP_2)
	v_add_f64_e32 v[56:57], v[50:51], v[46:47]
	v_add_f64_e64 v[66:67], v[48:49], -v[60:61]
	v_add_f64_e64 v[40:41], v[40:41], -v[60:61]
	;; [unrolled: 1-line block ×3, first 2 shown]
	s_delay_alu instid0(VALU_DEP_4) | instskip(SKIP_1) | instid1(VALU_DEP_3)
	v_cmp_gt_f64_e32 vcc_lo, 0, v[56:57]
	v_add_f64_e64 v[56:57], v[54:55], -v[58:59]
	v_add_f64_e64 v[44:45], v[48:49], -v[44:45]
	v_cndmask_b32_e64 v23, 0, 0x40100000, vcc_lo
	s_delay_alu instid0(VALU_DEP_3) | instskip(SKIP_2) | instid1(VALU_DEP_4)
	v_add_f64_e64 v[64:65], v[54:55], -v[56:57]
	v_add_f64_e64 v[42:43], v[42:43], -v[56:57]
	;; [unrolled: 1-line block ×3, first 2 shown]
	v_add_f64_e32 v[46:47], v[46:47], v[22:23]
	s_delay_alu instid0(VALU_DEP_4) | instskip(NEXT) | instid1(VALU_DEP_3)
	v_add_f64_e64 v[56:57], v[58:59], -v[64:65]
	v_add_f64_e32 v[40:41], v[40:41], v[54:55]
	s_delay_alu instid0(VALU_DEP_3) | instskip(NEXT) | instid1(VALU_DEP_3)
	v_add_f64_e32 v[62:63], v[50:51], v[46:47]
	v_add_f64_e32 v[42:43], v[42:43], v[56:57]
	s_delay_alu instid0(VALU_DEP_2) | instskip(NEXT) | instid1(VALU_DEP_2)
	v_cvt_i32_f64_e32 v23, v[62:63]
	v_add_f64_e32 v[40:41], v[42:43], v[40:41]
	s_delay_alu instid0(VALU_DEP_2) | instskip(NEXT) | instid1(VALU_DEP_2)
	v_cvt_f64_i32_e32 v[60:61], v23
	v_add_f64_e32 v[6:7], v[6:7], v[40:41]
	s_delay_alu instid0(VALU_DEP_2) | instskip(NEXT) | instid1(VALU_DEP_2)
	v_add_f64_e64 v[46:47], v[46:47], -v[60:61]
	v_add_f64_e32 v[6:7], v[44:45], v[6:7]
	s_delay_alu instid0(VALU_DEP_2) | instskip(NEXT) | instid1(VALU_DEP_1)
	v_add_f64_e32 v[42:43], v[50:51], v[46:47]
	v_add_f64_e64 v[40:41], v[42:43], -v[46:47]
	v_cmp_le_f64_e32 vcc_lo, 0.5, v[42:43]
	s_delay_alu instid0(VALU_DEP_2) | instskip(SKIP_2) | instid1(VALU_DEP_3)
	v_add_f64_e64 v[40:41], v[50:51], -v[40:41]
	v_add_co_ci_u32_e64 v38, null, 0, v23, vcc_lo
	v_cndmask_b32_e64 v23, 0, 0x3ff00000, vcc_lo
	v_add_f64_e32 v[6:7], v[6:7], v[40:41]
	s_delay_alu instid0(VALU_DEP_2) | instskip(NEXT) | instid1(VALU_DEP_1)
	v_add_f64_e64 v[40:41], v[42:43], -v[22:23]
	v_add_f64_e32 v[42:43], v[40:41], v[6:7]
	s_delay_alu instid0(VALU_DEP_1) | instskip(SKIP_1) | instid1(VALU_DEP_2)
	v_mul_f64_e32 v[44:45], 0x3ff921fb54442d18, v[42:43]
	v_add_f64_e64 v[40:41], v[42:43], -v[40:41]
	v_fma_f64 v[46:47], v[42:43], s[18:19], -v[44:45]
	s_delay_alu instid0(VALU_DEP_2) | instskip(NEXT) | instid1(VALU_DEP_2)
	v_add_f64_e64 v[6:7], v[6:7], -v[40:41]
	v_fmac_f64_e32 v[46:47], 0x3c91a62633145c07, v[42:43]
	s_delay_alu instid0(VALU_DEP_1) | instskip(NEXT) | instid1(VALU_DEP_1)
	v_fmac_f64_e32 v[46:47], 0x3ff921fb54442d18, v[6:7]
	v_add_f64_e32 v[6:7], v[44:45], v[46:47]
	s_delay_alu instid0(VALU_DEP_1) | instskip(NEXT) | instid1(VALU_DEP_1)
	v_add_f64_e64 v[40:41], v[6:7], -v[44:45]
	v_add_f64_e64 v[40:41], v[46:47], -v[40:41]
	s_and_not1_saveexec_b32 s5, s5
	s_cbranch_execz .LBB247_260
	s_branch .LBB247_259
.LBB247_258:                            ;   in Loop: Header=BB247_217 Depth=1
	s_and_not1_saveexec_b32 s5, s5
	s_cbranch_execz .LBB247_260
.LBB247_259:                            ;   in Loop: Header=BB247_217 Depth=1
	v_mul_f64_e64 v[6:7], |v[8:9]|, s[20:21]
	s_delay_alu instid0(VALU_DEP_1) | instskip(NEXT) | instid1(VALU_DEP_1)
	v_rndne_f64_e32 v[42:43], v[6:7]
	v_fma_f64 v[6:7], v[42:43], s[22:23], |v[8:9]|
	v_mul_f64_e32 v[40:41], 0xbc91a62633145c00, v[42:43]
	v_cvt_i32_f64_e32 v38, v[42:43]
	s_delay_alu instid0(VALU_DEP_3) | instskip(NEXT) | instid1(VALU_DEP_3)
	v_fmamk_f64 v[48:49], v[42:43], 0xbc91a62633145c00, v[6:7]
	v_add_f64_e32 v[44:45], v[6:7], v[40:41]
	s_delay_alu instid0(VALU_DEP_1) | instskip(NEXT) | instid1(VALU_DEP_3)
	v_add_f64_e64 v[46:47], v[6:7], -v[44:45]
	v_add_f64_e64 v[6:7], v[44:45], -v[48:49]
	s_delay_alu instid0(VALU_DEP_2) | instskip(SKIP_1) | instid1(VALU_DEP_2)
	v_add_f64_e32 v[44:45], v[46:47], v[40:41]
	v_fmamk_f64 v[40:41], v[42:43], 0x3c91a62633145c00, v[40:41]
	v_add_f64_e32 v[6:7], v[6:7], v[44:45]
	s_delay_alu instid0(VALU_DEP_1) | instskip(NEXT) | instid1(VALU_DEP_1)
	v_add_f64_e64 v[40:41], v[6:7], -v[40:41]
	v_fmac_f64_e32 v[40:41], 0xb97b839a252049c0, v[42:43]
	s_delay_alu instid0(VALU_DEP_1) | instskip(NEXT) | instid1(VALU_DEP_1)
	v_add_f64_e32 v[6:7], v[48:49], v[40:41]
	v_add_f64_e64 v[44:45], v[6:7], -v[48:49]
	s_delay_alu instid0(VALU_DEP_1)
	v_add_f64_e64 v[40:41], v[40:41], -v[44:45]
.LBB247_260:                            ;   in Loop: Header=BB247_217 Depth=1
	s_or_b32 exec_lo, exec_lo, s5
                                        ; implicit-def: $vgpr46
                                        ; implicit-def: $vgpr42_vgpr43
                                        ; implicit-def: $vgpr44_vgpr45
	s_and_saveexec_b32 s5, s4
	s_delay_alu instid0(SALU_CYCLE_1)
	s_xor_b32 s4, exec_lo, s5
	s_cbranch_execz .LBB247_262
; %bb.261:                              ;   in Loop: Header=BB247_217 Depth=1
	v_ldexp_f64 v[42:43], |v[8:9]|, 0xffffff80
	v_cmp_le_f64_e64 vcc_lo, 0x7b000000, |v[8:9]|
	v_trig_preop_f64 v[44:45], |v[8:9]|, 0
	v_and_b32_e32 v23, 0x7fffffff, v9
	v_trig_preop_f64 v[46:47], |v[8:9]|, 1
	v_trig_preop_f64 v[56:57], |v[8:9]|, 2
	s_delay_alu instid0(VALU_DEP_3) | instskip(NEXT) | instid1(VALU_DEP_1)
	v_dual_cndmask_b32 v43, v23, v43 :: v_dual_cndmask_b32 v42, v8, v42
	v_mul_f64_e32 v[48:49], v[44:45], v[42:43]
	s_delay_alu instid0(VALU_DEP_4) | instskip(NEXT) | instid1(VALU_DEP_4)
	v_mul_f64_e32 v[50:51], v[46:47], v[42:43]
	v_mul_f64_e32 v[62:63], v[56:57], v[42:43]
	s_delay_alu instid0(VALU_DEP_3) | instskip(NEXT) | instid1(VALU_DEP_3)
	v_fma_f64 v[44:45], v[44:45], v[42:43], -v[48:49]
	v_fma_f64 v[46:47], v[46:47], v[42:43], -v[50:51]
	s_delay_alu instid0(VALU_DEP_3) | instskip(NEXT) | instid1(VALU_DEP_3)
	v_fma_f64 v[42:43], v[56:57], v[42:43], -v[62:63]
	v_add_f64_e32 v[52:53], v[50:51], v[44:45]
	s_delay_alu instid0(VALU_DEP_1) | instskip(SKIP_1) | instid1(VALU_DEP_2)
	v_add_f64_e64 v[54:55], v[52:53], -v[50:51]
	v_add_f64_e32 v[60:61], v[48:49], v[52:53]
	v_add_f64_e64 v[58:59], v[52:53], -v[54:55]
	v_add_f64_e64 v[44:45], v[44:45], -v[54:55]
	s_delay_alu instid0(VALU_DEP_3) | instskip(NEXT) | instid1(VALU_DEP_3)
	v_ldexp_f64 v[54:55], v[60:61], -2
	v_add_f64_e64 v[50:51], v[50:51], -v[58:59]
	v_add_f64_e32 v[58:59], v[62:63], v[46:47]
	s_delay_alu instid0(VALU_DEP_3) | instskip(NEXT) | instid1(VALU_DEP_3)
	v_cmp_neq_f64_e64 vcc_lo, 0x7ff00000, |v[54:55]|
	v_add_f64_e32 v[44:45], v[44:45], v[50:51]
	v_fract_f64_e32 v[50:51], v[54:55]
	s_delay_alu instid0(VALU_DEP_1) | instskip(NEXT) | instid1(VALU_DEP_1)
	v_ldexp_f64 v[50:51], v[50:51], 2
	v_dual_add_f64 v[48:49], v[60:61], -v[48:49] :: v_dual_cndmask_b32 v50, 0, v50, vcc_lo
	s_delay_alu instid0(VALU_DEP_1) | instskip(SKIP_1) | instid1(VALU_DEP_1)
	v_dual_add_f64 v[48:49], v[52:53], -v[48:49] :: v_dual_cndmask_b32 v51, 0, v51, vcc_lo
	v_add_f64_e32 v[52:53], v[58:59], v[44:45]
	v_add_f64_e32 v[54:55], v[48:49], v[52:53]
	v_add_f64_e64 v[64:65], v[52:53], -v[58:59]
	s_delay_alu instid0(VALU_DEP_2) | instskip(NEXT) | instid1(VALU_DEP_2)
	v_add_f64_e32 v[60:61], v[54:55], v[50:51]
	v_add_f64_e64 v[70:71], v[52:53], -v[64:65]
	v_add_f64_e64 v[44:45], v[44:45], -v[64:65]
	;; [unrolled: 1-line block ×3, first 2 shown]
	s_delay_alu instid0(VALU_DEP_4) | instskip(SKIP_2) | instid1(VALU_DEP_2)
	v_cmp_gt_f64_e32 vcc_lo, 0, v[60:61]
	v_add_f64_e64 v[60:61], v[58:59], -v[62:63]
	v_cndmask_b32_e64 v23, 0, 0x40100000, vcc_lo
	v_add_f64_e64 v[68:69], v[58:59], -v[60:61]
	v_add_f64_e64 v[46:47], v[46:47], -v[60:61]
	;; [unrolled: 1-line block ×3, first 2 shown]
	s_delay_alu instid0(VALU_DEP_4) | instskip(NEXT) | instid1(VALU_DEP_4)
	v_add_f64_e32 v[50:51], v[50:51], v[22:23]
	v_add_f64_e64 v[60:61], v[62:63], -v[68:69]
	s_delay_alu instid0(VALU_DEP_3) | instskip(NEXT) | instid1(VALU_DEP_3)
	v_add_f64_e32 v[44:45], v[44:45], v[58:59]
	v_add_f64_e32 v[66:67], v[54:55], v[50:51]
	s_delay_alu instid0(VALU_DEP_3) | instskip(NEXT) | instid1(VALU_DEP_2)
	v_add_f64_e32 v[46:47], v[46:47], v[60:61]
	v_cvt_i32_f64_e32 v23, v[66:67]
	s_delay_alu instid0(VALU_DEP_2) | instskip(SKIP_1) | instid1(VALU_DEP_3)
	v_add_f64_e32 v[44:45], v[46:47], v[44:45]
	v_add_f64_e64 v[46:47], v[52:53], -v[48:49]
	v_cvt_f64_i32_e32 v[64:65], v23
	s_delay_alu instid0(VALU_DEP_3) | instskip(NEXT) | instid1(VALU_DEP_2)
	v_add_f64_e32 v[42:43], v[42:43], v[44:45]
	v_add_f64_e64 v[50:51], v[50:51], -v[64:65]
	s_delay_alu instid0(VALU_DEP_2) | instskip(NEXT) | instid1(VALU_DEP_2)
	v_add_f64_e32 v[42:43], v[46:47], v[42:43]
	v_add_f64_e32 v[56:57], v[54:55], v[50:51]
	s_delay_alu instid0(VALU_DEP_1) | instskip(SKIP_1) | instid1(VALU_DEP_2)
	v_add_f64_e64 v[44:45], v[56:57], -v[50:51]
	v_cmp_le_f64_e32 vcc_lo, 0.5, v[56:57]
	v_add_f64_e64 v[44:45], v[54:55], -v[44:45]
	v_add_co_ci_u32_e64 v46, null, 0, v23, vcc_lo
	v_cndmask_b32_e64 v23, 0, 0x3ff00000, vcc_lo
	s_delay_alu instid0(VALU_DEP_3) | instskip(NEXT) | instid1(VALU_DEP_2)
	v_add_f64_e32 v[42:43], v[42:43], v[44:45]
	v_add_f64_e64 v[44:45], v[56:57], -v[22:23]
	s_delay_alu instid0(VALU_DEP_1) | instskip(NEXT) | instid1(VALU_DEP_1)
	v_add_f64_e32 v[48:49], v[44:45], v[42:43]
	v_mul_f64_e32 v[50:51], 0x3ff921fb54442d18, v[48:49]
	v_add_f64_e64 v[44:45], v[48:49], -v[44:45]
	s_delay_alu instid0(VALU_DEP_2) | instskip(NEXT) | instid1(VALU_DEP_2)
	v_fma_f64 v[52:53], v[48:49], s[18:19], -v[50:51]
	v_add_f64_e64 v[42:43], v[42:43], -v[44:45]
	s_delay_alu instid0(VALU_DEP_2) | instskip(NEXT) | instid1(VALU_DEP_1)
	v_fmac_f64_e32 v[52:53], 0x3c91a62633145c07, v[48:49]
	v_fmac_f64_e32 v[52:53], 0x3ff921fb54442d18, v[42:43]
	s_delay_alu instid0(VALU_DEP_1) | instskip(NEXT) | instid1(VALU_DEP_1)
	v_add_f64_e32 v[42:43], v[50:51], v[52:53]
	v_add_f64_e64 v[44:45], v[42:43], -v[50:51]
	s_delay_alu instid0(VALU_DEP_1)
	v_add_f64_e64 v[44:45], v[52:53], -v[44:45]
	s_and_not1_saveexec_b32 s4, s4
	s_cbranch_execnz .LBB247_263
	s_branch .LBB247_264
.LBB247_262:                            ;   in Loop: Header=BB247_217 Depth=1
	s_and_not1_saveexec_b32 s4, s4
	s_cbranch_execz .LBB247_264
.LBB247_263:                            ;   in Loop: Header=BB247_217 Depth=1
	v_mul_f64_e64 v[42:43], |v[8:9]|, s[20:21]
	s_delay_alu instid0(VALU_DEP_1) | instskip(NEXT) | instid1(VALU_DEP_1)
	v_rndne_f64_e32 v[46:47], v[42:43]
	v_fma_f64 v[42:43], v[46:47], s[22:23], |v[8:9]|
	v_mul_f64_e32 v[44:45], 0xbc91a62633145c00, v[46:47]
	s_delay_alu instid0(VALU_DEP_2) | instskip(NEXT) | instid1(VALU_DEP_2)
	v_fmamk_f64 v[52:53], v[46:47], 0xbc91a62633145c00, v[42:43]
	v_add_f64_e32 v[48:49], v[42:43], v[44:45]
	s_delay_alu instid0(VALU_DEP_1) | instskip(NEXT) | instid1(VALU_DEP_3)
	v_add_f64_e64 v[50:51], v[42:43], -v[48:49]
	v_add_f64_e64 v[42:43], v[48:49], -v[52:53]
	s_delay_alu instid0(VALU_DEP_2) | instskip(SKIP_1) | instid1(VALU_DEP_2)
	v_add_f64_e32 v[48:49], v[50:51], v[44:45]
	v_fmamk_f64 v[44:45], v[46:47], 0x3c91a62633145c00, v[44:45]
	v_add_f64_e32 v[42:43], v[42:43], v[48:49]
	s_delay_alu instid0(VALU_DEP_1) | instskip(NEXT) | instid1(VALU_DEP_1)
	v_add_f64_e64 v[44:45], v[42:43], -v[44:45]
	v_fmac_f64_e32 v[44:45], 0xb97b839a252049c0, v[46:47]
	v_cvt_i32_f64_e32 v46, v[46:47]
	s_delay_alu instid0(VALU_DEP_2) | instskip(NEXT) | instid1(VALU_DEP_1)
	v_add_f64_e32 v[42:43], v[52:53], v[44:45]
	v_add_f64_e64 v[48:49], v[42:43], -v[52:53]
	s_delay_alu instid0(VALU_DEP_1)
	v_add_f64_e64 v[44:45], v[44:45], -v[48:49]
.LBB247_264:                            ;   in Loop: Header=BB247_217 Depth=1
	s_or_b32 exec_lo, exec_lo, s4
	v_mul_f64_e32 v[48:49], v[6:7], v[6:7]
	v_mul_f64_e32 v[50:51], v[42:43], v[42:43]
	s_delay_alu instid0(VALU_DEP_3) | instskip(NEXT) | instid1(VALU_DEP_4)
	v_mul_f64_e32 v[60:61], 0.5, v[40:41]
	v_mul_f64_e32 v[68:69], 0.5, v[44:45]
	v_cmp_class_f64_e64 s4, v[8:9], 0x1f8
	v_and_b32_e32 v8, 1, v46
	v_and_b32_e32 v23, 1, v38
	v_lshlrev_b32_e32 v9, 30, v46
	s_delay_alu instid0(VALU_DEP_3) | instskip(SKIP_1) | instid1(VALU_DEP_4)
	v_cmp_eq_u32_e64 s5, 0, v8
	v_lshlrev_b32_e32 v8, 30, v38
	v_cmp_eq_u32_e32 vcc_lo, 0, v23
	s_delay_alu instid0(VALU_DEP_4) | instskip(SKIP_4) | instid1(VALU_DEP_3)
	v_dual_mul_f64 v[52:53], 0.5, v[48:49] :: v_dual_bitop2_b32 v9, v9, v39 bitop3:0x14
	v_mul_f64_e64 v[62:63], v[6:7], -v[48:49]
	v_fmamk_f64 v[66:67], v[48:49], 0x3de5e0b2f9a43bb8, v[28:29]
	v_mul_f64_e64 v[70:71], v[42:43], -v[50:51]
	v_fmamk_f64 v[74:75], v[50:51], 0x3de5e0b2f9a43bb8, v[28:29]
	v_fmaak_f64 v[66:67], v[48:49], v[66:67], 0x3ec71de3796cde01
	s_delay_alu instid0(VALU_DEP_1) | instskip(NEXT) | instid1(VALU_DEP_1)
	v_fmaak_f64 v[66:67], v[48:49], v[66:67], 0xbf2a01a019e83e5c
	v_fmaak_f64 v[66:67], v[48:49], v[66:67], 0x3f81111111110bb3
	v_add_f64_e64 v[56:57], -v[52:53], 1.0
	s_delay_alu instid0(VALU_DEP_2) | instskip(SKIP_1) | instid1(VALU_DEP_3)
	v_fmac_f64_e32 v[60:61], v[62:63], v[66:67]
	v_mul_f64_e32 v[66:67], v[48:49], v[48:49]
	v_add_f64_e64 v[64:65], -v[56:57], 1.0
	s_delay_alu instid0(VALU_DEP_3) | instskip(NEXT) | instid1(VALU_DEP_2)
	v_fma_f64 v[60:61], v[48:49], v[60:61], -v[40:41]
	v_add_f64_e64 v[52:53], v[64:65], -v[52:53]
	v_fmaak_f64 v[64:65], v[50:51], v[74:75], 0x3ec71de3796cde01
	s_delay_alu instid0(VALU_DEP_3) | instskip(NEXT) | instid1(VALU_DEP_2)
	v_fmac_f64_e32 v[60:61], 0xbfc5555555555555, v[62:63]
	v_fmaak_f64 v[64:65], v[50:51], v[64:65], 0xbf2a01a019e83e5c
	s_delay_alu instid0(VALU_DEP_1) | instskip(NEXT) | instid1(VALU_DEP_1)
	v_fmaak_f64 v[64:65], v[50:51], v[64:65], 0x3f81111111110bb3
	v_fmac_f64_e32 v[68:69], v[70:71], v[64:65]
	v_fmamk_f64 v[64:65], v[48:49], 0xbda907db46cc5e42, v[26:27]
	v_fma_f64 v[40:41], v[6:7], -v[40:41], v[52:53]
	s_delay_alu instid0(VALU_DEP_2) | instskip(SKIP_2) | instid1(VALU_DEP_3)
	v_fmaak_f64 v[52:53], v[48:49], v[64:65], 0xbe927e4fa17f65f6
	v_add_f64_e64 v[6:7], v[6:7], -v[60:61]
	v_fmamk_f64 v[64:65], v[50:51], 0xbda907db46cc5e42, v[26:27]
	v_fmaak_f64 v[52:53], v[48:49], v[52:53], 0x3efa01a019f4ec90
	s_delay_alu instid0(VALU_DEP_1) | instskip(NEXT) | instid1(VALU_DEP_1)
	v_fmaak_f64 v[52:53], v[48:49], v[52:53], 0xbf56c16c16c16967
	v_fmaak_f64 v[48:49], v[48:49], v[52:53], 0x3fa5555555555555
	v_fma_f64 v[68:69], v[50:51], v[68:69], -v[44:45]
	v_fmaak_f64 v[52:53], v[50:51], v[64:65], 0xbe927e4fa17f65f6
	s_delay_alu instid0(VALU_DEP_3) | instskip(NEXT) | instid1(VALU_DEP_2)
	v_fmac_f64_e32 v[40:41], v[66:67], v[48:49]
	v_fmaak_f64 v[48:49], v[50:51], v[52:53], 0x3efa01a019f4ec90
	v_xor_b32_e32 v7, 0x80000000, v7
	s_delay_alu instid0(VALU_DEP_2) | instskip(NEXT) | instid1(VALU_DEP_1)
	v_fmaak_f64 v[48:49], v[50:51], v[48:49], 0xbf56c16c16c16967
	v_fmaak_f64 v[48:49], v[50:51], v[48:49], 0x3fa5555555555555
	v_fmac_f64_e32 v[68:69], 0xbfc5555555555555, v[70:71]
	v_add_f64_e32 v[40:41], v[56:57], v[40:41]
	s_delay_alu instid0(VALU_DEP_1) | instskip(NEXT) | instid1(VALU_DEP_1)
	v_dual_mul_f64 v[54:55], 0.5, v[50:51] :: v_dual_cndmask_b32 v6, v6, v40, vcc_lo
	v_add_f64_e64 v[58:59], -v[54:55], 1.0
	s_delay_alu instid0(VALU_DEP_2) | instskip(NEXT) | instid1(VALU_DEP_1)
	v_dual_cndmask_b32 v7, v7, v41, vcc_lo :: v_dual_cndmask_b32 v40, 0, v6, s4
	v_bitop3_b32 v7, v7, v8, 0x80000000 bitop3:0x78
	s_delay_alu instid0(VALU_DEP_1) | instskip(NEXT) | instid1(VALU_DEP_4)
	v_cndmask_b32_e64 v41, 0x7ff80000, v7, s4
	v_add_f64_e64 v[72:73], -v[58:59], 1.0
	s_delay_alu instid0(VALU_DEP_1) | instskip(SKIP_1) | instid1(VALU_DEP_2)
	v_add_f64_e64 v[54:55], v[72:73], -v[54:55]
	v_mul_f64_e32 v[72:73], v[50:51], v[50:51]
	v_fma_f64 v[44:45], v[42:43], -v[44:45], v[54:55]
	v_add_f64_e64 v[42:43], v[42:43], -v[68:69]
	s_delay_alu instid0(VALU_DEP_2) | instskip(NEXT) | instid1(VALU_DEP_1)
	v_fmac_f64_e32 v[44:45], v[72:73], v[48:49]
	v_add_f64_e32 v[44:45], v[58:59], v[44:45]
	s_delay_alu instid0(VALU_DEP_1) | instskip(NEXT) | instid1(VALU_DEP_1)
	v_dual_cndmask_b32 v38, v45, v43, s5 :: v_dual_cndmask_b32 v23, v44, v42, s5
	v_bitop3_b32 v8, v38, v9, 0x80000000 bitop3:0x78
	s_delay_alu instid0(VALU_DEP_2) | instskip(NEXT) | instid1(VALU_DEP_2)
	v_cndmask_b32_e64 v38, 0, v23, s4
	v_cndmask_b32_e64 v39, 0x7ff80000, v8, s4
.LBB247_265:                            ;   in Loop: Header=BB247_217 Depth=1
	s_or_b32 exec_lo, exec_lo, s6
                                        ; implicit-def: $vgpr6_vgpr7
.LBB247_266:                            ;   in Loop: Header=BB247_217 Depth=1
	s_and_not1_saveexec_b32 s5, s38
	s_cbranch_execz .LBB247_268
; %bb.267:                              ;   in Loop: Header=BB247_217 Depth=1
	v_mul_f64_e32 v[8:9], 0xbff71547652b82fe, v[6:7]
	v_cmp_ngt_f64_e32 vcc_lo, 0xc0900000, v[6:7]
	v_cmp_nlt_f64_e64 s4, 0x4090cc00, v[6:7]
	s_delay_alu instid0(VALU_DEP_3) | instskip(NEXT) | instid1(VALU_DEP_1)
	v_rndne_f64_e32 v[8:9], v[8:9]
	v_fma_f64 v[40:41], v[8:9], s[24:25], -v[6:7]
	v_cvt_i32_f64_e32 v23, v[8:9]
	s_delay_alu instid0(VALU_DEP_2) | instskip(NEXT) | instid1(VALU_DEP_1)
	v_fmac_f64_e32 v[40:41], 0xbc7abc9e3b39803f, v[8:9]
	v_fmamk_f64 v[42:43], v[40:41], 0x3e5ade156a5dcb37, v[24:25]
	s_delay_alu instid0(VALU_DEP_1) | instskip(NEXT) | instid1(VALU_DEP_1)
	v_fmaak_f64 v[42:43], v[40:41], v[42:43], 0x3ec71dee623fde64
	v_fmaak_f64 v[42:43], v[40:41], v[42:43], 0x3efa01997c89e6b0
	s_delay_alu instid0(VALU_DEP_1) | instskip(NEXT) | instid1(VALU_DEP_1)
	v_fmaak_f64 v[42:43], v[40:41], v[42:43], 0x3f2a01a014761f6e
	v_fmaak_f64 v[42:43], v[40:41], v[42:43], 0x3f56c16c1852b7b0
	;; [unrolled: 3-line block ×4, first 2 shown]
	s_delay_alu instid0(VALU_DEP_1) | instskip(NEXT) | instid1(VALU_DEP_1)
	v_fma_f64 v[42:43], v[40:41], v[42:43], 1.0
	v_fma_f64 v[8:9], v[40:41], v[42:43], 1.0
	s_delay_alu instid0(VALU_DEP_1) | instskip(NEXT) | instid1(VALU_DEP_1)
	v_ldexp_f64 v[8:9], v[8:9], v23
	v_cndmask_b32_e32 v9, 0x7ff00000, v9, vcc_lo
	s_and_b32 vcc_lo, s4, vcc_lo
	s_delay_alu instid0(VALU_DEP_1) | instid1(SALU_CYCLE_1)
	v_dual_cndmask_b32 v40, 0, v8, vcc_lo :: v_dual_cndmask_b32 v41, 0, v9, s4
.LBB247_268:                            ;   in Loop: Header=BB247_217 Depth=1
	s_or_b32 exec_lo, exec_lo, s5
	s_delay_alu instid0(VALU_DEP_1) | instskip(SKIP_1) | instid1(VALU_DEP_1)
	v_add_f64_e32 v[38:39], s[10:11], v[38:39]
	s_mov_b32 s4, exec_lo
	v_xor_b32_e32 v7, 0x80000000, v39
	s_delay_alu instid0(VALU_DEP_3) | instskip(NEXT) | instid1(VALU_DEP_1)
	v_add_f64_e32 v[40:41], s[8:9], v[40:41]
	v_cmp_gt_f64_e32 vcc_lo, 0, v[40:41]
	v_xor_b32_e32 v6, 0x80000000, v41
	s_delay_alu instid0(VALU_DEP_1) | instskip(SKIP_3) | instid1(VALU_DEP_1)
	v_cndmask_b32_e32 v43, v41, v6, vcc_lo
	v_cmp_gt_f64_e32 vcc_lo, 0, v[38:39]
	v_dual_cndmask_b32 v45, v39, v7 :: v_dual_mov_b32 v42, v40
	v_mov_b32_e32 v44, v38
                                        ; implicit-def: $vgpr8_vgpr9
	v_cmpx_ge_f64_e32 v[42:43], v[44:45]
	s_xor_b32 s5, exec_lo, s4
	s_cbranch_execz .LBB247_274
; %bb.269:                              ;   in Loop: Header=BB247_217 Depth=1
	v_cmp_neq_f64_e32 vcc_lo, 0, v[40:41]
	v_cmp_neq_f64_e64 s4, 0, v[38:39]
                                        ; implicit-def: $vgpr8_vgpr9
	s_or_b32 s4, vcc_lo, s4
	s_delay_alu instid0(SALU_CYCLE_1) | instskip(NEXT) | instid1(SALU_CYCLE_1)
	s_and_saveexec_b32 s6, s4
	s_xor_b32 s4, exec_lo, s6
	s_cbranch_execz .LBB247_271
; %bb.270:                              ;   in Loop: Header=BB247_217 Depth=1
	v_div_scale_f64 v[6:7], null, v[40:41], v[40:41], v[38:39]
	v_div_scale_f64 v[44:45], vcc_lo, v[38:39], v[40:41], v[38:39]
	s_delay_alu instid0(VALU_DEP_2) | instskip(SKIP_1) | instid1(TRANS32_DEP_1)
	v_rcp_f64_e32 v[8:9], v[6:7]
	v_nop
	v_fma_f64 v[42:43], -v[6:7], v[8:9], 1.0
	s_delay_alu instid0(VALU_DEP_1) | instskip(NEXT) | instid1(VALU_DEP_1)
	v_fmac_f64_e32 v[8:9], v[8:9], v[42:43]
	v_fma_f64 v[42:43], -v[6:7], v[8:9], 1.0
	s_delay_alu instid0(VALU_DEP_1) | instskip(NEXT) | instid1(VALU_DEP_1)
	v_fmac_f64_e32 v[8:9], v[8:9], v[42:43]
	v_mul_f64_e32 v[42:43], v[44:45], v[8:9]
	s_delay_alu instid0(VALU_DEP_1) | instskip(NEXT) | instid1(VALU_DEP_1)
	v_fma_f64 v[6:7], -v[6:7], v[42:43], v[44:45]
	v_div_fmas_f64 v[6:7], v[6:7], v[8:9], v[42:43]
	s_delay_alu instid0(VALU_DEP_1) | instskip(NEXT) | instid1(VALU_DEP_1)
	v_div_fixup_f64 v[6:7], v[6:7], v[40:41], v[38:39]
	v_fmac_f64_e32 v[40:41], v[38:39], v[6:7]
	s_delay_alu instid0(VALU_DEP_1) | instskip(SKIP_1) | instid1(VALU_DEP_2)
	v_div_scale_f64 v[8:9], null, v[40:41], v[40:41], 1.0
	v_div_scale_f64 v[44:45], vcc_lo, 1.0, v[40:41], 1.0
	v_rcp_f64_e32 v[38:39], v[8:9]
	v_nop
	s_delay_alu instid0(TRANS32_DEP_1) | instskip(NEXT) | instid1(VALU_DEP_1)
	v_fma_f64 v[42:43], -v[8:9], v[38:39], 1.0
	v_fmac_f64_e32 v[38:39], v[38:39], v[42:43]
	s_delay_alu instid0(VALU_DEP_1) | instskip(NEXT) | instid1(VALU_DEP_1)
	v_fma_f64 v[42:43], -v[8:9], v[38:39], 1.0
	v_fmac_f64_e32 v[38:39], v[38:39], v[42:43]
	s_delay_alu instid0(VALU_DEP_1) | instskip(NEXT) | instid1(VALU_DEP_1)
	v_mul_f64_e32 v[42:43], v[44:45], v[38:39]
	v_fma_f64 v[8:9], -v[8:9], v[42:43], v[44:45]
                                        ; implicit-def: $vgpr44_vgpr45
	s_delay_alu instid0(VALU_DEP_1) | instskip(SKIP_1) | instid1(VALU_DEP_2)
	v_div_fmas_f64 v[8:9], v[8:9], v[38:39], v[42:43]
	v_fma_f64 v[38:39], s[10:11], v[6:7], s[8:9]
                                        ; implicit-def: $vgpr42_vgpr43
	v_div_fixup_f64 v[8:9], v[8:9], v[40:41], 1.0
	v_fma_f64 v[40:41], -s[8:9], v[6:7], s[10:11]
	s_delay_alu instid0(VALU_DEP_2) | instskip(NEXT) | instid1(VALU_DEP_2)
	v_mul_f64_e32 v[6:7], v[38:39], v[8:9]
	v_mul_f64_e32 v[8:9], v[40:41], v[8:9]
.LBB247_271:                            ;   in Loop: Header=BB247_217 Depth=1
	s_and_not1_saveexec_b32 s6, s4
	s_cbranch_execz .LBB247_273
; %bb.272:                              ;   in Loop: Header=BB247_217 Depth=1
	v_div_scale_f64 v[6:7], null, v[42:43], v[42:43], s[8:9]
	v_div_scale_f64 v[8:9], null, v[44:45], v[44:45], s[10:11]
	v_div_scale_f64 v[50:51], vcc_lo, s[8:9], v[42:43], s[8:9]
	s_delay_alu instid0(VALU_DEP_3) | instskip(NEXT) | instid1(VALU_DEP_2)
	v_rcp_f64_e32 v[38:39], v[6:7]
	v_rcp_f64_e32 v[40:41], v[8:9]
	s_delay_alu instid0(TRANS32_DEP_2) | instskip(NEXT) | instid1(TRANS32_DEP_1)
	v_fma_f64 v[46:47], -v[6:7], v[38:39], 1.0
	v_fma_f64 v[48:49], -v[8:9], v[40:41], 1.0
	s_delay_alu instid0(VALU_DEP_2) | instskip(NEXT) | instid1(VALU_DEP_2)
	v_fmac_f64_e32 v[38:39], v[38:39], v[46:47]
	v_fmac_f64_e32 v[40:41], v[40:41], v[48:49]
	s_delay_alu instid0(VALU_DEP_2) | instskip(NEXT) | instid1(VALU_DEP_2)
	v_fma_f64 v[46:47], -v[6:7], v[38:39], 1.0
	v_fma_f64 v[48:49], -v[8:9], v[40:41], 1.0
	s_delay_alu instid0(VALU_DEP_2) | instskip(SKIP_1) | instid1(VALU_DEP_3)
	v_fmac_f64_e32 v[38:39], v[38:39], v[46:47]
	v_div_scale_f64 v[46:47], s4, s[10:11], v[44:45], s[10:11]
	v_fmac_f64_e32 v[40:41], v[40:41], v[48:49]
	s_delay_alu instid0(VALU_DEP_3) | instskip(NEXT) | instid1(VALU_DEP_2)
	v_mul_f64_e32 v[48:49], v[50:51], v[38:39]
	v_mul_f64_e32 v[52:53], v[46:47], v[40:41]
	s_delay_alu instid0(VALU_DEP_2) | instskip(NEXT) | instid1(VALU_DEP_2)
	v_fma_f64 v[6:7], -v[6:7], v[48:49], v[50:51]
	v_fma_f64 v[8:9], -v[8:9], v[52:53], v[46:47]
	s_delay_alu instid0(VALU_DEP_2) | instskip(SKIP_1) | instid1(VALU_DEP_2)
	v_div_fmas_f64 v[6:7], v[6:7], v[38:39], v[48:49]
	s_mov_b32 vcc_lo, s4
	v_div_fmas_f64 v[8:9], v[8:9], v[40:41], v[52:53]
	s_delay_alu instid0(VALU_DEP_2) | instskip(NEXT) | instid1(VALU_DEP_2)
	v_div_fixup_f64 v[6:7], v[6:7], v[42:43], s[8:9]
	v_div_fixup_f64 v[8:9], v[8:9], v[44:45], s[10:11]
.LBB247_273:                            ;   in Loop: Header=BB247_217 Depth=1
	s_or_b32 exec_lo, exec_lo, s6
                                        ; implicit-def: $vgpr38_vgpr39
                                        ; implicit-def: $vgpr40_vgpr41
.LBB247_274:                            ;   in Loop: Header=BB247_217 Depth=1
	s_and_not1_saveexec_b32 s4, s5
	s_cbranch_execz .LBB247_276
; %bb.275:                              ;   in Loop: Header=BB247_217 Depth=1
	v_div_scale_f64 v[6:7], null, v[38:39], v[38:39], v[40:41]
	v_div_scale_f64 v[44:45], vcc_lo, v[40:41], v[38:39], v[40:41]
	s_delay_alu instid0(VALU_DEP_2) | instskip(SKIP_1) | instid1(TRANS32_DEP_1)
	v_rcp_f64_e32 v[8:9], v[6:7]
	v_nop
	v_fma_f64 v[42:43], -v[6:7], v[8:9], 1.0
	s_delay_alu instid0(VALU_DEP_1) | instskip(NEXT) | instid1(VALU_DEP_1)
	v_fmac_f64_e32 v[8:9], v[8:9], v[42:43]
	v_fma_f64 v[42:43], -v[6:7], v[8:9], 1.0
	s_delay_alu instid0(VALU_DEP_1) | instskip(NEXT) | instid1(VALU_DEP_1)
	v_fmac_f64_e32 v[8:9], v[8:9], v[42:43]
	v_mul_f64_e32 v[42:43], v[44:45], v[8:9]
	s_delay_alu instid0(VALU_DEP_1) | instskip(NEXT) | instid1(VALU_DEP_1)
	v_fma_f64 v[6:7], -v[6:7], v[42:43], v[44:45]
	v_div_fmas_f64 v[6:7], v[6:7], v[8:9], v[42:43]
	s_delay_alu instid0(VALU_DEP_1) | instskip(NEXT) | instid1(VALU_DEP_1)
	v_div_fixup_f64 v[6:7], v[6:7], v[38:39], v[40:41]
	v_fmac_f64_e32 v[38:39], v[40:41], v[6:7]
	s_delay_alu instid0(VALU_DEP_1) | instskip(SKIP_1) | instid1(VALU_DEP_2)
	v_div_scale_f64 v[8:9], null, v[38:39], v[38:39], 1.0
	v_div_scale_f64 v[44:45], vcc_lo, 1.0, v[38:39], 1.0
	v_rcp_f64_e32 v[40:41], v[8:9]
	v_nop
	s_delay_alu instid0(TRANS32_DEP_1) | instskip(NEXT) | instid1(VALU_DEP_1)
	v_fma_f64 v[42:43], -v[8:9], v[40:41], 1.0
	v_fmac_f64_e32 v[40:41], v[40:41], v[42:43]
	s_delay_alu instid0(VALU_DEP_1) | instskip(NEXT) | instid1(VALU_DEP_1)
	v_fma_f64 v[42:43], -v[8:9], v[40:41], 1.0
	v_fmac_f64_e32 v[40:41], v[40:41], v[42:43]
	s_delay_alu instid0(VALU_DEP_1) | instskip(NEXT) | instid1(VALU_DEP_1)
	v_mul_f64_e32 v[42:43], v[44:45], v[40:41]
	v_fma_f64 v[8:9], -v[8:9], v[42:43], v[44:45]
	s_delay_alu instid0(VALU_DEP_1) | instskip(SKIP_1) | instid1(VALU_DEP_2)
	v_div_fmas_f64 v[8:9], v[8:9], v[40:41], v[42:43]
	v_fma_f64 v[40:41], s[8:9], v[6:7], s[10:11]
	v_div_fixup_f64 v[8:9], v[8:9], v[38:39], 1.0
	v_fma_f64 v[38:39], s[10:11], v[6:7], -s[8:9]
	s_delay_alu instid0(VALU_DEP_2) | instskip(NEXT) | instid1(VALU_DEP_2)
	v_mul_f64_e32 v[6:7], v[40:41], v[8:9]
	v_mul_f64_e32 v[8:9], v[38:39], v[8:9]
.LBB247_276:                            ;   in Loop: Header=BB247_217 Depth=1
	s_or_b32 exec_lo, exec_lo, s4
	v_xor_b32_e32 v39, 0x80000000, v17
	v_mov_b32_e32 v38, v16
                                        ; implicit-def: $vgpr40_vgpr41
	s_mov_b32 s4, exec_lo
	s_delay_alu instid0(VALU_DEP_2) | instskip(NEXT) | instid1(VALU_DEP_1)
	v_and_b32_e32 v44, 0x7fffffff, v39
	v_or_b32_e32 v23, v44, v16
	s_delay_alu instid0(VALU_DEP_1)
	v_cmpx_ne_u32_e32 0, v23
	s_xor_b32 s38, exec_lo, s4
	s_cbranch_execz .LBB247_319
; %bb.277:                              ;   in Loop: Header=BB247_217 Depth=1
	v_xor_b32_e32 v43, 0x80000000, v15
                                        ; implicit-def: $vgpr40_vgpr41
	s_mov_b32 s4, exec_lo
	v_mov_b32_e32 v42, v14
	s_delay_alu instid0(VALU_DEP_2) | instskip(NEXT) | instid1(VALU_DEP_1)
	v_and_b32_e32 v23, 0x7fffffff, v43
	v_or_b32_e32 v38, v23, v14
	s_delay_alu instid0(VALU_DEP_1)
	v_cmpx_ne_u32_e32 0, v38
	s_xor_b32 s39, exec_lo, s4
	s_cbranch_execz .LBB247_308
; %bb.278:                              ;   in Loop: Header=BB247_217 Depth=1
                                        ; implicit-def: $vgpr40_vgpr41
	s_mov_b32 s4, exec_lo
	v_cmpx_gt_u32_e32 0x7ff00000, v44
	s_xor_b32 s40, exec_lo, s4
	s_cbranch_execz .LBB247_301
; %bb.279:                              ;   in Loop: Header=BB247_217 Depth=1
	v_add_nc_u32_e32 v23, 0xbf79d1be, v43
                                        ; implicit-def: $vgpr40_vgpr41
	s_mov_b32 s4, exec_lo
	s_delay_alu instid0(VALU_DEP_1)
	v_cmpx_lt_u32_e32 0x108aa2, v23
	s_xor_b32 s41, exec_lo, s4
	s_cbranch_execz .LBB247_290
; %bb.280:                              ;   in Loop: Header=BB247_217 Depth=1
	v_cmp_ngt_f64_e64 s4, 0x41d00000, |v[16:17]|
                                        ; implicit-def: $vgpr38
                                        ; implicit-def: $vgpr40_vgpr41
                                        ; implicit-def: $vgpr42_vgpr43
	s_and_saveexec_b32 s5, s4
	s_delay_alu instid0(SALU_CYCLE_1)
	s_xor_b32 s5, exec_lo, s5
	s_cbranch_execz .LBB247_283
; %bb.281:                              ;   in Loop: Header=BB247_217 Depth=1
	v_ldexp_f64 v[40:41], |v[16:17]|, 0xffffff80
	v_cmp_le_f64_e64 vcc_lo, 0x7b000000, |v[16:17]|
	v_trig_preop_f64 v[42:43], |v[16:17]|, 0
	v_and_b32_e32 v23, 0x7fffffff, v17
	v_trig_preop_f64 v[44:45], |v[16:17]|, 1
	v_trig_preop_f64 v[54:55], |v[16:17]|, 2
	s_delay_alu instid0(VALU_DEP_3) | instskip(NEXT) | instid1(VALU_DEP_1)
	v_dual_cndmask_b32 v41, v23, v41 :: v_dual_cndmask_b32 v40, v16, v40
	v_mul_f64_e32 v[46:47], v[42:43], v[40:41]
	s_delay_alu instid0(VALU_DEP_4) | instskip(NEXT) | instid1(VALU_DEP_4)
	v_mul_f64_e32 v[48:49], v[44:45], v[40:41]
	v_mul_f64_e32 v[60:61], v[54:55], v[40:41]
	s_delay_alu instid0(VALU_DEP_3) | instskip(NEXT) | instid1(VALU_DEP_3)
	v_fma_f64 v[42:43], v[42:43], v[40:41], -v[46:47]
	v_fma_f64 v[44:45], v[44:45], v[40:41], -v[48:49]
	s_delay_alu instid0(VALU_DEP_3) | instskip(NEXT) | instid1(VALU_DEP_3)
	v_fma_f64 v[40:41], v[54:55], v[40:41], -v[60:61]
	v_add_f64_e32 v[50:51], v[48:49], v[42:43]
	s_delay_alu instid0(VALU_DEP_1) | instskip(SKIP_1) | instid1(VALU_DEP_2)
	v_add_f64_e64 v[52:53], v[50:51], -v[48:49]
	v_add_f64_e32 v[58:59], v[46:47], v[50:51]
	v_add_f64_e64 v[56:57], v[50:51], -v[52:53]
	v_add_f64_e64 v[42:43], v[42:43], -v[52:53]
	s_delay_alu instid0(VALU_DEP_3) | instskip(NEXT) | instid1(VALU_DEP_3)
	v_ldexp_f64 v[52:53], v[58:59], -2
	v_add_f64_e64 v[48:49], v[48:49], -v[56:57]
	v_add_f64_e32 v[56:57], v[60:61], v[44:45]
	s_delay_alu instid0(VALU_DEP_3) | instskip(NEXT) | instid1(VALU_DEP_3)
	v_cmp_neq_f64_e64 vcc_lo, 0x7ff00000, |v[52:53]|
	v_add_f64_e32 v[42:43], v[42:43], v[48:49]
	v_fract_f64_e32 v[48:49], v[52:53]
	s_delay_alu instid0(VALU_DEP_1) | instskip(NEXT) | instid1(VALU_DEP_1)
	v_ldexp_f64 v[48:49], v[48:49], 2
	v_dual_add_f64 v[46:47], v[58:59], -v[46:47] :: v_dual_cndmask_b32 v48, 0, v48, vcc_lo
	s_delay_alu instid0(VALU_DEP_1) | instskip(SKIP_1) | instid1(VALU_DEP_1)
	v_dual_add_f64 v[46:47], v[50:51], -v[46:47] :: v_dual_cndmask_b32 v49, 0, v49, vcc_lo
	v_add_f64_e32 v[50:51], v[56:57], v[42:43]
	v_add_f64_e32 v[52:53], v[46:47], v[50:51]
	v_add_f64_e64 v[62:63], v[50:51], -v[56:57]
	s_delay_alu instid0(VALU_DEP_2) | instskip(NEXT) | instid1(VALU_DEP_2)
	v_add_f64_e32 v[58:59], v[52:53], v[48:49]
	v_add_f64_e64 v[68:69], v[50:51], -v[62:63]
	v_add_f64_e64 v[42:43], v[42:43], -v[62:63]
	;; [unrolled: 1-line block ×3, first 2 shown]
	s_delay_alu instid0(VALU_DEP_4) | instskip(SKIP_1) | instid1(VALU_DEP_3)
	v_cmp_gt_f64_e32 vcc_lo, 0, v[58:59]
	v_add_f64_e64 v[58:59], v[56:57], -v[60:61]
	v_add_f64_e64 v[46:47], v[50:51], -v[46:47]
	v_cndmask_b32_e64 v23, 0, 0x40100000, vcc_lo
	s_delay_alu instid0(VALU_DEP_3) | instskip(SKIP_2) | instid1(VALU_DEP_4)
	v_add_f64_e64 v[66:67], v[56:57], -v[58:59]
	v_add_f64_e64 v[44:45], v[44:45], -v[58:59]
	;; [unrolled: 1-line block ×3, first 2 shown]
	v_add_f64_e32 v[48:49], v[48:49], v[22:23]
	s_delay_alu instid0(VALU_DEP_4) | instskip(NEXT) | instid1(VALU_DEP_3)
	v_add_f64_e64 v[58:59], v[60:61], -v[66:67]
	v_add_f64_e32 v[42:43], v[42:43], v[56:57]
	s_delay_alu instid0(VALU_DEP_3) | instskip(NEXT) | instid1(VALU_DEP_3)
	v_add_f64_e32 v[64:65], v[52:53], v[48:49]
	v_add_f64_e32 v[44:45], v[44:45], v[58:59]
	s_delay_alu instid0(VALU_DEP_2) | instskip(NEXT) | instid1(VALU_DEP_2)
	v_cvt_i32_f64_e32 v23, v[64:65]
	v_add_f64_e32 v[42:43], v[44:45], v[42:43]
	s_delay_alu instid0(VALU_DEP_2) | instskip(NEXT) | instid1(VALU_DEP_2)
	v_cvt_f64_i32_e32 v[62:63], v23
	v_add_f64_e32 v[40:41], v[40:41], v[42:43]
	s_delay_alu instid0(VALU_DEP_2) | instskip(NEXT) | instid1(VALU_DEP_2)
	v_add_f64_e64 v[48:49], v[48:49], -v[62:63]
	v_add_f64_e32 v[40:41], v[46:47], v[40:41]
	s_delay_alu instid0(VALU_DEP_2) | instskip(NEXT) | instid1(VALU_DEP_1)
	v_add_f64_e32 v[44:45], v[52:53], v[48:49]
	v_add_f64_e64 v[42:43], v[44:45], -v[48:49]
	v_cmp_le_f64_e32 vcc_lo, 0.5, v[44:45]
	s_delay_alu instid0(VALU_DEP_2) | instskip(SKIP_2) | instid1(VALU_DEP_3)
	v_add_f64_e64 v[42:43], v[52:53], -v[42:43]
	v_add_co_ci_u32_e64 v38, null, 0, v23, vcc_lo
	v_cndmask_b32_e64 v23, 0, 0x3ff00000, vcc_lo
	v_add_f64_e32 v[40:41], v[40:41], v[42:43]
	s_delay_alu instid0(VALU_DEP_2) | instskip(NEXT) | instid1(VALU_DEP_1)
	v_add_f64_e64 v[42:43], v[44:45], -v[22:23]
	v_add_f64_e32 v[44:45], v[42:43], v[40:41]
	s_delay_alu instid0(VALU_DEP_1) | instskip(SKIP_1) | instid1(VALU_DEP_2)
	v_mul_f64_e32 v[46:47], 0x3ff921fb54442d18, v[44:45]
	v_add_f64_e64 v[42:43], v[44:45], -v[42:43]
	v_fma_f64 v[48:49], v[44:45], s[18:19], -v[46:47]
	s_delay_alu instid0(VALU_DEP_2) | instskip(NEXT) | instid1(VALU_DEP_2)
	v_add_f64_e64 v[40:41], v[40:41], -v[42:43]
	v_fmac_f64_e32 v[48:49], 0x3c91a62633145c07, v[44:45]
	s_delay_alu instid0(VALU_DEP_1) | instskip(NEXT) | instid1(VALU_DEP_1)
	v_fmac_f64_e32 v[48:49], 0x3ff921fb54442d18, v[40:41]
	v_add_f64_e32 v[40:41], v[46:47], v[48:49]
	s_delay_alu instid0(VALU_DEP_1) | instskip(NEXT) | instid1(VALU_DEP_1)
	v_add_f64_e64 v[42:43], v[40:41], -v[46:47]
	v_add_f64_e64 v[42:43], v[48:49], -v[42:43]
	s_and_not1_saveexec_b32 s5, s5
	s_cbranch_execz .LBB247_285
	s_branch .LBB247_284
.LBB247_282:                            ;   in Loop: Header=BB247_217 Depth=1
	s_or_b32 exec_lo, exec_lo, s41
                                        ; implicit-def: $vgpr42_vgpr43
                                        ; implicit-def: $vgpr8_vgpr9
                                        ; implicit-def: $vgpr23
	s_and_not1_saveexec_b32 s5, s40
	s_cbranch_execnz .LBB247_249
	s_branch .LBB247_254
.LBB247_283:                            ;   in Loop: Header=BB247_217 Depth=1
	s_and_not1_saveexec_b32 s5, s5
	s_cbranch_execz .LBB247_285
.LBB247_284:                            ;   in Loop: Header=BB247_217 Depth=1
	v_mul_f64_e64 v[40:41], |v[16:17]|, s[20:21]
	s_delay_alu instid0(VALU_DEP_1) | instskip(NEXT) | instid1(VALU_DEP_1)
	v_rndne_f64_e32 v[44:45], v[40:41]
	v_fma_f64 v[40:41], v[44:45], s[22:23], |v[16:17]|
	v_mul_f64_e32 v[42:43], 0xbc91a62633145c00, v[44:45]
	v_cvt_i32_f64_e32 v38, v[44:45]
	s_delay_alu instid0(VALU_DEP_3) | instskip(NEXT) | instid1(VALU_DEP_3)
	v_fmamk_f64 v[50:51], v[44:45], 0xbc91a62633145c00, v[40:41]
	v_add_f64_e32 v[46:47], v[40:41], v[42:43]
	s_delay_alu instid0(VALU_DEP_1) | instskip(NEXT) | instid1(VALU_DEP_3)
	v_add_f64_e64 v[48:49], v[40:41], -v[46:47]
	v_add_f64_e64 v[40:41], v[46:47], -v[50:51]
	s_delay_alu instid0(VALU_DEP_2) | instskip(SKIP_1) | instid1(VALU_DEP_2)
	v_add_f64_e32 v[46:47], v[48:49], v[42:43]
	v_fmamk_f64 v[42:43], v[44:45], 0x3c91a62633145c00, v[42:43]
	v_add_f64_e32 v[40:41], v[40:41], v[46:47]
	s_delay_alu instid0(VALU_DEP_1) | instskip(NEXT) | instid1(VALU_DEP_1)
	v_add_f64_e64 v[42:43], v[40:41], -v[42:43]
	v_fmac_f64_e32 v[42:43], 0xb97b839a252049c0, v[44:45]
	s_delay_alu instid0(VALU_DEP_1) | instskip(NEXT) | instid1(VALU_DEP_1)
	v_add_f64_e32 v[40:41], v[50:51], v[42:43]
	v_add_f64_e64 v[46:47], v[40:41], -v[50:51]
	s_delay_alu instid0(VALU_DEP_1)
	v_add_f64_e64 v[42:43], v[42:43], -v[46:47]
.LBB247_285:                            ;   in Loop: Header=BB247_217 Depth=1
	s_or_b32 exec_lo, exec_lo, s5
                                        ; implicit-def: $vgpr48
                                        ; implicit-def: $vgpr44_vgpr45
                                        ; implicit-def: $vgpr46_vgpr47
	s_and_saveexec_b32 s5, s4
	s_delay_alu instid0(SALU_CYCLE_1)
	s_xor_b32 s4, exec_lo, s5
	s_cbranch_execz .LBB247_287
; %bb.286:                              ;   in Loop: Header=BB247_217 Depth=1
	v_ldexp_f64 v[44:45], |v[16:17]|, 0xffffff80
	v_cmp_le_f64_e64 vcc_lo, 0x7b000000, |v[16:17]|
	v_trig_preop_f64 v[46:47], |v[16:17]|, 0
	v_and_b32_e32 v23, 0x7fffffff, v17
	v_trig_preop_f64 v[48:49], |v[16:17]|, 1
	v_trig_preop_f64 v[58:59], |v[16:17]|, 2
	s_delay_alu instid0(VALU_DEP_3) | instskip(NEXT) | instid1(VALU_DEP_1)
	v_dual_cndmask_b32 v45, v23, v45 :: v_dual_cndmask_b32 v44, v16, v44
	v_mul_f64_e32 v[50:51], v[46:47], v[44:45]
	s_delay_alu instid0(VALU_DEP_4) | instskip(NEXT) | instid1(VALU_DEP_4)
	v_mul_f64_e32 v[52:53], v[48:49], v[44:45]
	v_mul_f64_e32 v[64:65], v[58:59], v[44:45]
	s_delay_alu instid0(VALU_DEP_3) | instskip(NEXT) | instid1(VALU_DEP_3)
	v_fma_f64 v[46:47], v[46:47], v[44:45], -v[50:51]
	v_fma_f64 v[48:49], v[48:49], v[44:45], -v[52:53]
	s_delay_alu instid0(VALU_DEP_3) | instskip(NEXT) | instid1(VALU_DEP_3)
	v_fma_f64 v[44:45], v[58:59], v[44:45], -v[64:65]
	v_add_f64_e32 v[54:55], v[52:53], v[46:47]
	s_delay_alu instid0(VALU_DEP_1) | instskip(SKIP_1) | instid1(VALU_DEP_2)
	v_add_f64_e64 v[56:57], v[54:55], -v[52:53]
	v_add_f64_e32 v[62:63], v[50:51], v[54:55]
	v_add_f64_e64 v[60:61], v[54:55], -v[56:57]
	v_add_f64_e64 v[46:47], v[46:47], -v[56:57]
	s_delay_alu instid0(VALU_DEP_3) | instskip(NEXT) | instid1(VALU_DEP_3)
	v_ldexp_f64 v[56:57], v[62:63], -2
	v_add_f64_e64 v[52:53], v[52:53], -v[60:61]
	v_add_f64_e32 v[60:61], v[64:65], v[48:49]
	s_delay_alu instid0(VALU_DEP_3) | instskip(NEXT) | instid1(VALU_DEP_3)
	v_cmp_neq_f64_e64 vcc_lo, 0x7ff00000, |v[56:57]|
	v_add_f64_e32 v[46:47], v[46:47], v[52:53]
	v_fract_f64_e32 v[52:53], v[56:57]
	s_delay_alu instid0(VALU_DEP_1) | instskip(NEXT) | instid1(VALU_DEP_1)
	v_ldexp_f64 v[52:53], v[52:53], 2
	v_dual_add_f64 v[50:51], v[62:63], -v[50:51] :: v_dual_cndmask_b32 v52, 0, v52, vcc_lo
	s_delay_alu instid0(VALU_DEP_1) | instskip(SKIP_1) | instid1(VALU_DEP_1)
	v_dual_add_f64 v[50:51], v[54:55], -v[50:51] :: v_dual_cndmask_b32 v53, 0, v53, vcc_lo
	v_add_f64_e32 v[54:55], v[60:61], v[46:47]
	v_add_f64_e32 v[56:57], v[50:51], v[54:55]
	v_add_f64_e64 v[66:67], v[54:55], -v[60:61]
	s_delay_alu instid0(VALU_DEP_2) | instskip(NEXT) | instid1(VALU_DEP_2)
	v_add_f64_e32 v[62:63], v[56:57], v[52:53]
	v_add_f64_e64 v[72:73], v[54:55], -v[66:67]
	v_add_f64_e64 v[46:47], v[46:47], -v[66:67]
	;; [unrolled: 1-line block ×3, first 2 shown]
	s_delay_alu instid0(VALU_DEP_4) | instskip(SKIP_2) | instid1(VALU_DEP_2)
	v_cmp_gt_f64_e32 vcc_lo, 0, v[62:63]
	v_add_f64_e64 v[62:63], v[60:61], -v[64:65]
	v_cndmask_b32_e64 v23, 0, 0x40100000, vcc_lo
	v_add_f64_e64 v[70:71], v[60:61], -v[62:63]
	v_add_f64_e64 v[48:49], v[48:49], -v[62:63]
	;; [unrolled: 1-line block ×3, first 2 shown]
	s_delay_alu instid0(VALU_DEP_4) | instskip(NEXT) | instid1(VALU_DEP_4)
	v_add_f64_e32 v[52:53], v[52:53], v[22:23]
	v_add_f64_e64 v[62:63], v[64:65], -v[70:71]
	s_delay_alu instid0(VALU_DEP_3) | instskip(NEXT) | instid1(VALU_DEP_3)
	v_add_f64_e32 v[46:47], v[46:47], v[60:61]
	v_add_f64_e32 v[68:69], v[56:57], v[52:53]
	s_delay_alu instid0(VALU_DEP_3) | instskip(NEXT) | instid1(VALU_DEP_2)
	v_add_f64_e32 v[48:49], v[48:49], v[62:63]
	v_cvt_i32_f64_e32 v23, v[68:69]
	s_delay_alu instid0(VALU_DEP_2) | instskip(SKIP_1) | instid1(VALU_DEP_3)
	v_add_f64_e32 v[46:47], v[48:49], v[46:47]
	v_add_f64_e64 v[48:49], v[54:55], -v[50:51]
	v_cvt_f64_i32_e32 v[66:67], v23
	s_delay_alu instid0(VALU_DEP_3) | instskip(NEXT) | instid1(VALU_DEP_2)
	v_add_f64_e32 v[44:45], v[44:45], v[46:47]
	v_add_f64_e64 v[52:53], v[52:53], -v[66:67]
	s_delay_alu instid0(VALU_DEP_2) | instskip(NEXT) | instid1(VALU_DEP_2)
	v_add_f64_e32 v[44:45], v[48:49], v[44:45]
	v_add_f64_e32 v[58:59], v[56:57], v[52:53]
	s_delay_alu instid0(VALU_DEP_1) | instskip(SKIP_1) | instid1(VALU_DEP_2)
	v_add_f64_e64 v[46:47], v[58:59], -v[52:53]
	v_cmp_le_f64_e32 vcc_lo, 0.5, v[58:59]
	v_add_f64_e64 v[46:47], v[56:57], -v[46:47]
	v_add_co_ci_u32_e64 v48, null, 0, v23, vcc_lo
	v_cndmask_b32_e64 v23, 0, 0x3ff00000, vcc_lo
	s_delay_alu instid0(VALU_DEP_3) | instskip(NEXT) | instid1(VALU_DEP_2)
	v_add_f64_e32 v[44:45], v[44:45], v[46:47]
	v_add_f64_e64 v[46:47], v[58:59], -v[22:23]
	s_delay_alu instid0(VALU_DEP_1) | instskip(NEXT) | instid1(VALU_DEP_1)
	v_add_f64_e32 v[50:51], v[46:47], v[44:45]
	v_mul_f64_e32 v[52:53], 0x3ff921fb54442d18, v[50:51]
	v_add_f64_e64 v[46:47], v[50:51], -v[46:47]
	s_delay_alu instid0(VALU_DEP_2) | instskip(NEXT) | instid1(VALU_DEP_2)
	v_fma_f64 v[54:55], v[50:51], s[18:19], -v[52:53]
	v_add_f64_e64 v[44:45], v[44:45], -v[46:47]
	s_delay_alu instid0(VALU_DEP_2) | instskip(NEXT) | instid1(VALU_DEP_1)
	v_fmac_f64_e32 v[54:55], 0x3c91a62633145c07, v[50:51]
	v_fmac_f64_e32 v[54:55], 0x3ff921fb54442d18, v[44:45]
	s_delay_alu instid0(VALU_DEP_1) | instskip(NEXT) | instid1(VALU_DEP_1)
	v_add_f64_e32 v[44:45], v[52:53], v[54:55]
	v_add_f64_e64 v[46:47], v[44:45], -v[52:53]
	s_delay_alu instid0(VALU_DEP_1)
	v_add_f64_e64 v[46:47], v[54:55], -v[46:47]
	s_and_not1_saveexec_b32 s4, s4
	s_cbranch_execnz .LBB247_288
	s_branch .LBB247_289
.LBB247_287:                            ;   in Loop: Header=BB247_217 Depth=1
	s_and_not1_saveexec_b32 s4, s4
	s_cbranch_execz .LBB247_289
.LBB247_288:                            ;   in Loop: Header=BB247_217 Depth=1
	v_mul_f64_e64 v[44:45], |v[16:17]|, s[20:21]
	s_delay_alu instid0(VALU_DEP_1) | instskip(NEXT) | instid1(VALU_DEP_1)
	v_rndne_f64_e32 v[48:49], v[44:45]
	v_fma_f64 v[44:45], v[48:49], s[22:23], |v[16:17]|
	v_mul_f64_e32 v[46:47], 0xbc91a62633145c00, v[48:49]
	s_delay_alu instid0(VALU_DEP_2) | instskip(NEXT) | instid1(VALU_DEP_2)
	v_fmamk_f64 v[54:55], v[48:49], 0xbc91a62633145c00, v[44:45]
	v_add_f64_e32 v[50:51], v[44:45], v[46:47]
	s_delay_alu instid0(VALU_DEP_1) | instskip(NEXT) | instid1(VALU_DEP_3)
	v_add_f64_e64 v[52:53], v[44:45], -v[50:51]
	v_add_f64_e64 v[44:45], v[50:51], -v[54:55]
	s_delay_alu instid0(VALU_DEP_2) | instskip(SKIP_1) | instid1(VALU_DEP_2)
	v_add_f64_e32 v[50:51], v[52:53], v[46:47]
	v_fmamk_f64 v[46:47], v[48:49], 0x3c91a62633145c00, v[46:47]
	v_add_f64_e32 v[44:45], v[44:45], v[50:51]
	s_delay_alu instid0(VALU_DEP_1) | instskip(NEXT) | instid1(VALU_DEP_1)
	v_add_f64_e64 v[46:47], v[44:45], -v[46:47]
	v_fmac_f64_e32 v[46:47], 0xb97b839a252049c0, v[48:49]
	v_cvt_i32_f64_e32 v48, v[48:49]
	s_delay_alu instid0(VALU_DEP_2) | instskip(NEXT) | instid1(VALU_DEP_1)
	v_add_f64_e32 v[44:45], v[54:55], v[46:47]
	v_add_f64_e64 v[50:51], v[44:45], -v[54:55]
	s_delay_alu instid0(VALU_DEP_1)
	v_add_f64_e64 v[46:47], v[46:47], -v[50:51]
.LBB247_289:                            ;   in Loop: Header=BB247_217 Depth=1
	s_or_b32 exec_lo, exec_lo, s4
	v_mul_f64_e32 v[50:51], 0xbff71547652b82fe, v[14:15]
	v_mul_f64_e32 v[52:53], v[40:41], v[40:41]
	s_delay_alu instid0(VALU_DEP_3)
	v_mul_f64_e32 v[66:67], 0.5, v[42:43]
	v_cmp_class_f64_e64 s4, v[16:17], 0x1f8
	v_lshlrev_b32_e32 v16, 30, v48
	v_mul_f64_e32 v[54:55], v[44:45], v[44:45]
	v_cmp_ngt_f64_e64 s5, 0xc0900000, v[14:15]
	v_cmp_nlt_f64_e64 s6, 0x4090cc00, v[14:15]
	v_rndne_f64_e32 v[50:51], v[50:51]
	v_mul_f64_e32 v[56:57], 0.5, v[52:53]
	s_delay_alu instid0(VALU_DEP_2) | instskip(NEXT) | instid1(VALU_DEP_2)
	v_fma_f64 v[58:59], v[50:51], s[24:25], -v[14:15]
	v_add_f64_e64 v[62:63], -v[56:57], 1.0
	v_cvt_i32_f64_e32 v23, v[50:51]
	v_and_b32_e32 v14, 1, v48
	s_delay_alu instid0(VALU_DEP_1) | instskip(SKIP_3) | instid1(VALU_DEP_2)
	v_cmp_eq_u32_e64 s7, 0, v14
	v_mul_f64_e32 v[76:77], 0.5, v[46:47]
	v_fmac_f64_e32 v[58:59], 0xbc7abc9e3b39803f, v[50:51]
	v_add_f64_e64 v[70:71], -v[62:63], 1.0
	v_fmamk_f64 v[74:75], v[58:59], 0x3e5ade156a5dcb37, v[24:25]
	s_delay_alu instid0(VALU_DEP_2) | instskip(NEXT) | instid1(VALU_DEP_2)
	v_add_f64_e64 v[56:57], v[70:71], -v[56:57]
	v_fmaak_f64 v[74:75], v[58:59], v[74:75], 0x3ec71dee623fde64
	s_delay_alu instid0(VALU_DEP_1) | instskip(NEXT) | instid1(VALU_DEP_1)
	v_fmaak_f64 v[74:75], v[58:59], v[74:75], 0x3efa01997c89e6b0
	v_fmaak_f64 v[74:75], v[58:59], v[74:75], 0x3f2a01a014761f6e
	s_delay_alu instid0(VALU_DEP_1) | instskip(NEXT) | instid1(VALU_DEP_1)
	v_fmaak_f64 v[70:71], v[58:59], v[74:75], 0x3f56c16c1852b7b0
	;; [unrolled: 3-line block ×4, first 2 shown]
	v_fma_f64 v[70:71], v[58:59], v[70:71], 1.0
	s_delay_alu instid0(VALU_DEP_1) | instskip(NEXT) | instid1(VALU_DEP_1)
	v_fma_f64 v[50:51], v[58:59], v[70:71], 1.0
	v_ldexp_f64 v[50:51], v[50:51], v23
	v_and_b32_e32 v23, 1, v38
	v_fmamk_f64 v[72:73], v[52:53], 0x3de5e0b2f9a43bb8, v[28:29]
	v_lshlrev_b32_e32 v38, 30, v38
	v_mul_f64_e32 v[60:61], 0.5, v[54:55]
	v_mul_f64_e64 v[78:79], v[44:45], -v[54:55]
	v_cmp_eq_u32_e32 vcc_lo, 0, v23
	v_mul_f64_e64 v[68:69], v[40:41], -v[52:53]
	v_fmamk_f64 v[82:83], v[54:55], 0x3de5e0b2f9a43bb8, v[28:29]
	v_fmaak_f64 v[72:73], v[52:53], v[72:73], 0x3ec71de3796cde01
	v_mul_f64_e32 v[74:75], v[52:53], v[52:53]
	s_delay_alu instid0(VALU_DEP_2) | instskip(NEXT) | instid1(VALU_DEP_1)
	v_fmaak_f64 v[72:73], v[52:53], v[72:73], 0xbf2a01a019e83e5c
	v_fmaak_f64 v[72:73], v[52:53], v[72:73], 0x3f81111111110bb3
	v_cndmask_b32_e64 v17, 0x7ff00000, v51, s5
	v_add_f64_e64 v[64:65], -v[60:61], 1.0
	s_delay_alu instid0(VALU_DEP_3) | instskip(SKIP_1) | instid1(VALU_DEP_1)
	v_fmac_f64_e32 v[66:67], v[68:69], v[72:73]
	v_fmaak_f64 v[72:73], v[54:55], v[82:83], 0x3ec71de3796cde01
	v_fmaak_f64 v[72:73], v[54:55], v[72:73], 0xbf2a01a019e83e5c
	s_delay_alu instid0(VALU_DEP_1) | instskip(NEXT) | instid1(VALU_DEP_1)
	v_fmaak_f64 v[72:73], v[54:55], v[72:73], 0x3f81111111110bb3
	v_fmac_f64_e32 v[76:77], v[78:79], v[72:73]
	v_fmamk_f64 v[72:73], v[52:53], 0xbda907db46cc5e42, v[26:27]
	v_add_f64_e64 v[80:81], -v[64:65], 1.0
	v_fma_f64 v[66:67], v[52:53], v[66:67], -v[42:43]
	v_fma_f64 v[42:43], v[40:41], -v[42:43], v[56:57]
	s_delay_alu instid0(VALU_DEP_4) | instskip(SKIP_1) | instid1(VALU_DEP_2)
	v_fmaak_f64 v[56:57], v[52:53], v[72:73], 0xbe927e4fa17f65f6
	v_mul_f64_e32 v[72:73], v[54:55], v[54:55]
	v_fmaak_f64 v[56:57], v[52:53], v[56:57], 0x3efa01a019f4ec90
	s_delay_alu instid0(VALU_DEP_1) | instskip(NEXT) | instid1(VALU_DEP_1)
	v_fmaak_f64 v[56:57], v[52:53], v[56:57], 0xbf56c16c16c16967
	v_fmaak_f64 v[52:53], v[52:53], v[56:57], 0x3fa5555555555555
	v_fma_f64 v[56:57], v[54:55], v[76:77], -v[46:47]
	v_fmac_f64_e32 v[66:67], 0xbfc5555555555555, v[68:69]
	s_delay_alu instid0(VALU_DEP_3) | instskip(NEXT) | instid1(VALU_DEP_3)
	v_fmac_f64_e32 v[42:43], v[74:75], v[52:53]
	v_fmac_f64_e32 v[56:57], 0xbfc5555555555555, v[78:79]
	s_delay_alu instid0(VALU_DEP_3) | instskip(NEXT) | instid1(VALU_DEP_3)
	v_add_f64_e64 v[40:41], v[40:41], -v[66:67]
	v_add_f64_e32 v[42:43], v[62:63], v[42:43]
	s_delay_alu instid0(VALU_DEP_2) | instskip(NEXT) | instid1(VALU_DEP_2)
	v_xor_b32_e32 v15, 0x80000000, v41
	v_cndmask_b32_e32 v23, v40, v42, vcc_lo
	v_add_f64_e64 v[60:61], v[80:81], -v[60:61]
	v_fmamk_f64 v[80:81], v[54:55], 0xbda907db46cc5e42, v[26:27]
	s_delay_alu instid0(VALU_DEP_4) | instskip(SKIP_2) | instid1(VALU_DEP_2)
	v_cndmask_b32_e32 v14, v15, v43, vcc_lo
	v_xor_b32_e32 v15, v16, v39
	s_and_b32 vcc_lo, s6, s5
	v_bitop3_b32 v38, v14, v38, 0x80000000 bitop3:0x78
	v_cndmask_b32_e64 v14, 0, v23, s4
	v_fma_f64 v[46:47], v[44:45], -v[46:47], v[60:61]
	v_fmaak_f64 v[60:61], v[54:55], v[80:81], 0xbe927e4fa17f65f6
	v_add_f64_e64 v[44:45], v[44:45], -v[56:57]
	s_delay_alu instid0(VALU_DEP_2) | instskip(NEXT) | instid1(VALU_DEP_1)
	v_fmaak_f64 v[52:53], v[54:55], v[60:61], 0x3efa01a019f4ec90
	v_fmaak_f64 v[52:53], v[54:55], v[52:53], 0xbf56c16c16c16967
	s_delay_alu instid0(VALU_DEP_1) | instskip(NEXT) | instid1(VALU_DEP_1)
	v_fmaak_f64 v[52:53], v[54:55], v[52:53], 0x3fa5555555555555
	v_fmac_f64_e32 v[46:47], v[72:73], v[52:53]
	s_delay_alu instid0(VALU_DEP_1) | instskip(NEXT) | instid1(VALU_DEP_1)
	v_add_f64_e32 v[46:47], v[64:65], v[46:47]
	v_dual_cndmask_b32 v39, v47, v45, s7 :: v_dual_cndmask_b32 v16, v46, v44, s7
	s_delay_alu instid0(VALU_DEP_1) | instskip(SKIP_1) | instid1(VALU_DEP_3)
	v_bitop3_b32 v23, v39, v15, 0x80000000 bitop3:0x78
	v_cndmask_b32_e64 v15, 0x7ff80000, v38, s4
	v_dual_cndmask_b32 v16, 0, v16, s4 :: v_dual_cndmask_b32 v39, 0, v17, s6
	v_cndmask_b32_e32 v38, 0, v50, vcc_lo
	s_delay_alu instid0(VALU_DEP_4) | instskip(NEXT) | instid1(VALU_DEP_2)
	v_cndmask_b32_e64 v17, 0x7ff80000, v23, s4
	v_mul_f64_e32 v[40:41], v[38:39], v[14:15]
	s_delay_alu instid0(VALU_DEP_2)
	v_mul_f64_e32 v[38:39], v[38:39], v[16:17]
                                        ; implicit-def: $vgpr16_vgpr17
.LBB247_290:                            ;   in Loop: Header=BB247_217 Depth=1
	s_and_not1_saveexec_b32 s41, s41
	s_cbranch_execz .LBB247_300
; %bb.291:                              ;   in Loop: Header=BB247_217 Depth=1
	v_cmp_ngt_f64_e64 s4, 0x41d00000, |v[16:17]|
                                        ; implicit-def: $vgpr38
                                        ; implicit-def: $vgpr40_vgpr41
                                        ; implicit-def: $vgpr42_vgpr43
	s_and_saveexec_b32 s5, s4
	s_delay_alu instid0(SALU_CYCLE_1)
	s_xor_b32 s5, exec_lo, s5
	s_cbranch_execz .LBB247_293
; %bb.292:                              ;   in Loop: Header=BB247_217 Depth=1
	v_ldexp_f64 v[40:41], |v[16:17]|, 0xffffff80
	v_cmp_le_f64_e64 vcc_lo, 0x7b000000, |v[16:17]|
	v_trig_preop_f64 v[42:43], |v[16:17]|, 0
	v_and_b32_e32 v23, 0x7fffffff, v17
	v_trig_preop_f64 v[44:45], |v[16:17]|, 1
	v_trig_preop_f64 v[54:55], |v[16:17]|, 2
	s_delay_alu instid0(VALU_DEP_3) | instskip(NEXT) | instid1(VALU_DEP_1)
	v_dual_cndmask_b32 v41, v23, v41 :: v_dual_cndmask_b32 v40, v16, v40
	v_mul_f64_e32 v[46:47], v[42:43], v[40:41]
	s_delay_alu instid0(VALU_DEP_4) | instskip(NEXT) | instid1(VALU_DEP_4)
	v_mul_f64_e32 v[48:49], v[44:45], v[40:41]
	v_mul_f64_e32 v[60:61], v[54:55], v[40:41]
	s_delay_alu instid0(VALU_DEP_3) | instskip(NEXT) | instid1(VALU_DEP_3)
	v_fma_f64 v[42:43], v[42:43], v[40:41], -v[46:47]
	v_fma_f64 v[44:45], v[44:45], v[40:41], -v[48:49]
	s_delay_alu instid0(VALU_DEP_3) | instskip(NEXT) | instid1(VALU_DEP_3)
	v_fma_f64 v[40:41], v[54:55], v[40:41], -v[60:61]
	v_add_f64_e32 v[50:51], v[48:49], v[42:43]
	s_delay_alu instid0(VALU_DEP_1) | instskip(SKIP_1) | instid1(VALU_DEP_2)
	v_add_f64_e64 v[52:53], v[50:51], -v[48:49]
	v_add_f64_e32 v[58:59], v[46:47], v[50:51]
	v_add_f64_e64 v[56:57], v[50:51], -v[52:53]
	v_add_f64_e64 v[42:43], v[42:43], -v[52:53]
	s_delay_alu instid0(VALU_DEP_3) | instskip(NEXT) | instid1(VALU_DEP_3)
	v_ldexp_f64 v[52:53], v[58:59], -2
	v_add_f64_e64 v[48:49], v[48:49], -v[56:57]
	v_add_f64_e32 v[56:57], v[60:61], v[44:45]
	s_delay_alu instid0(VALU_DEP_3) | instskip(NEXT) | instid1(VALU_DEP_3)
	v_cmp_neq_f64_e64 vcc_lo, 0x7ff00000, |v[52:53]|
	v_add_f64_e32 v[42:43], v[42:43], v[48:49]
	v_fract_f64_e32 v[48:49], v[52:53]
	s_delay_alu instid0(VALU_DEP_1) | instskip(NEXT) | instid1(VALU_DEP_1)
	v_ldexp_f64 v[48:49], v[48:49], 2
	v_dual_add_f64 v[46:47], v[58:59], -v[46:47] :: v_dual_cndmask_b32 v48, 0, v48, vcc_lo
	s_delay_alu instid0(VALU_DEP_1) | instskip(SKIP_1) | instid1(VALU_DEP_1)
	v_dual_add_f64 v[46:47], v[50:51], -v[46:47] :: v_dual_cndmask_b32 v49, 0, v49, vcc_lo
	v_add_f64_e32 v[50:51], v[56:57], v[42:43]
	v_add_f64_e32 v[52:53], v[46:47], v[50:51]
	v_add_f64_e64 v[62:63], v[50:51], -v[56:57]
	s_delay_alu instid0(VALU_DEP_2) | instskip(NEXT) | instid1(VALU_DEP_2)
	v_add_f64_e32 v[58:59], v[52:53], v[48:49]
	v_add_f64_e64 v[68:69], v[50:51], -v[62:63]
	v_add_f64_e64 v[42:43], v[42:43], -v[62:63]
	;; [unrolled: 1-line block ×3, first 2 shown]
	s_delay_alu instid0(VALU_DEP_4) | instskip(SKIP_1) | instid1(VALU_DEP_3)
	v_cmp_gt_f64_e32 vcc_lo, 0, v[58:59]
	v_add_f64_e64 v[58:59], v[56:57], -v[60:61]
	v_add_f64_e64 v[46:47], v[50:51], -v[46:47]
	v_cndmask_b32_e64 v23, 0, 0x40100000, vcc_lo
	s_delay_alu instid0(VALU_DEP_3) | instskip(SKIP_2) | instid1(VALU_DEP_4)
	v_add_f64_e64 v[66:67], v[56:57], -v[58:59]
	v_add_f64_e64 v[44:45], v[44:45], -v[58:59]
	;; [unrolled: 1-line block ×3, first 2 shown]
	v_add_f64_e32 v[48:49], v[48:49], v[22:23]
	s_delay_alu instid0(VALU_DEP_4) | instskip(NEXT) | instid1(VALU_DEP_3)
	v_add_f64_e64 v[58:59], v[60:61], -v[66:67]
	v_add_f64_e32 v[42:43], v[42:43], v[56:57]
	s_delay_alu instid0(VALU_DEP_3) | instskip(NEXT) | instid1(VALU_DEP_3)
	v_add_f64_e32 v[64:65], v[52:53], v[48:49]
	v_add_f64_e32 v[44:45], v[44:45], v[58:59]
	s_delay_alu instid0(VALU_DEP_2) | instskip(NEXT) | instid1(VALU_DEP_2)
	v_cvt_i32_f64_e32 v23, v[64:65]
	v_add_f64_e32 v[42:43], v[44:45], v[42:43]
	s_delay_alu instid0(VALU_DEP_2) | instskip(NEXT) | instid1(VALU_DEP_2)
	v_cvt_f64_i32_e32 v[62:63], v23
	v_add_f64_e32 v[40:41], v[40:41], v[42:43]
	s_delay_alu instid0(VALU_DEP_2) | instskip(NEXT) | instid1(VALU_DEP_2)
	v_add_f64_e64 v[48:49], v[48:49], -v[62:63]
	v_add_f64_e32 v[40:41], v[46:47], v[40:41]
	s_delay_alu instid0(VALU_DEP_2) | instskip(NEXT) | instid1(VALU_DEP_1)
	v_add_f64_e32 v[44:45], v[52:53], v[48:49]
	v_add_f64_e64 v[42:43], v[44:45], -v[48:49]
	v_cmp_le_f64_e32 vcc_lo, 0.5, v[44:45]
	s_delay_alu instid0(VALU_DEP_2) | instskip(SKIP_2) | instid1(VALU_DEP_3)
	v_add_f64_e64 v[42:43], v[52:53], -v[42:43]
	v_add_co_ci_u32_e64 v38, null, 0, v23, vcc_lo
	v_cndmask_b32_e64 v23, 0, 0x3ff00000, vcc_lo
	v_add_f64_e32 v[40:41], v[40:41], v[42:43]
	s_delay_alu instid0(VALU_DEP_2) | instskip(NEXT) | instid1(VALU_DEP_1)
	v_add_f64_e64 v[42:43], v[44:45], -v[22:23]
	v_add_f64_e32 v[44:45], v[42:43], v[40:41]
	s_delay_alu instid0(VALU_DEP_1) | instskip(SKIP_1) | instid1(VALU_DEP_2)
	v_mul_f64_e32 v[46:47], 0x3ff921fb54442d18, v[44:45]
	v_add_f64_e64 v[42:43], v[44:45], -v[42:43]
	v_fma_f64 v[48:49], v[44:45], s[18:19], -v[46:47]
	s_delay_alu instid0(VALU_DEP_2) | instskip(NEXT) | instid1(VALU_DEP_2)
	v_add_f64_e64 v[40:41], v[40:41], -v[42:43]
	v_fmac_f64_e32 v[48:49], 0x3c91a62633145c07, v[44:45]
	s_delay_alu instid0(VALU_DEP_1) | instskip(NEXT) | instid1(VALU_DEP_1)
	v_fmac_f64_e32 v[48:49], 0x3ff921fb54442d18, v[40:41]
	v_add_f64_e32 v[40:41], v[46:47], v[48:49]
	s_delay_alu instid0(VALU_DEP_1) | instskip(NEXT) | instid1(VALU_DEP_1)
	v_add_f64_e64 v[42:43], v[40:41], -v[46:47]
	v_add_f64_e64 v[42:43], v[48:49], -v[42:43]
	s_and_not1_saveexec_b32 s5, s5
	s_cbranch_execz .LBB247_295
	s_branch .LBB247_294
.LBB247_293:                            ;   in Loop: Header=BB247_217 Depth=1
	s_and_not1_saveexec_b32 s5, s5
	s_cbranch_execz .LBB247_295
.LBB247_294:                            ;   in Loop: Header=BB247_217 Depth=1
	v_mul_f64_e64 v[40:41], |v[16:17]|, s[20:21]
	s_delay_alu instid0(VALU_DEP_1) | instskip(NEXT) | instid1(VALU_DEP_1)
	v_rndne_f64_e32 v[44:45], v[40:41]
	v_fma_f64 v[40:41], v[44:45], s[22:23], |v[16:17]|
	v_mul_f64_e32 v[42:43], 0xbc91a62633145c00, v[44:45]
	v_cvt_i32_f64_e32 v38, v[44:45]
	s_delay_alu instid0(VALU_DEP_3) | instskip(NEXT) | instid1(VALU_DEP_3)
	v_fmamk_f64 v[50:51], v[44:45], 0xbc91a62633145c00, v[40:41]
	v_add_f64_e32 v[46:47], v[40:41], v[42:43]
	s_delay_alu instid0(VALU_DEP_1) | instskip(NEXT) | instid1(VALU_DEP_3)
	v_add_f64_e64 v[48:49], v[40:41], -v[46:47]
	v_add_f64_e64 v[40:41], v[46:47], -v[50:51]
	s_delay_alu instid0(VALU_DEP_2) | instskip(SKIP_1) | instid1(VALU_DEP_2)
	v_add_f64_e32 v[46:47], v[48:49], v[42:43]
	v_fmamk_f64 v[42:43], v[44:45], 0x3c91a62633145c00, v[42:43]
	v_add_f64_e32 v[40:41], v[40:41], v[46:47]
	s_delay_alu instid0(VALU_DEP_1) | instskip(NEXT) | instid1(VALU_DEP_1)
	v_add_f64_e64 v[42:43], v[40:41], -v[42:43]
	v_fmac_f64_e32 v[42:43], 0xb97b839a252049c0, v[44:45]
	s_delay_alu instid0(VALU_DEP_1) | instskip(NEXT) | instid1(VALU_DEP_1)
	v_add_f64_e32 v[40:41], v[50:51], v[42:43]
	v_add_f64_e64 v[46:47], v[40:41], -v[50:51]
	s_delay_alu instid0(VALU_DEP_1)
	v_add_f64_e64 v[42:43], v[42:43], -v[46:47]
.LBB247_295:                            ;   in Loop: Header=BB247_217 Depth=1
	s_or_b32 exec_lo, exec_lo, s5
                                        ; implicit-def: $vgpr48
                                        ; implicit-def: $vgpr44_vgpr45
                                        ; implicit-def: $vgpr46_vgpr47
	s_and_saveexec_b32 s5, s4
	s_delay_alu instid0(SALU_CYCLE_1)
	s_xor_b32 s4, exec_lo, s5
	s_cbranch_execz .LBB247_297
; %bb.296:                              ;   in Loop: Header=BB247_217 Depth=1
	v_ldexp_f64 v[44:45], |v[16:17]|, 0xffffff80
	v_cmp_le_f64_e64 vcc_lo, 0x7b000000, |v[16:17]|
	v_trig_preop_f64 v[46:47], |v[16:17]|, 0
	v_and_b32_e32 v23, 0x7fffffff, v17
	v_trig_preop_f64 v[48:49], |v[16:17]|, 1
	v_trig_preop_f64 v[58:59], |v[16:17]|, 2
	s_delay_alu instid0(VALU_DEP_3) | instskip(NEXT) | instid1(VALU_DEP_1)
	v_dual_cndmask_b32 v45, v23, v45 :: v_dual_cndmask_b32 v44, v16, v44
	v_mul_f64_e32 v[50:51], v[46:47], v[44:45]
	s_delay_alu instid0(VALU_DEP_4) | instskip(NEXT) | instid1(VALU_DEP_4)
	v_mul_f64_e32 v[52:53], v[48:49], v[44:45]
	v_mul_f64_e32 v[64:65], v[58:59], v[44:45]
	s_delay_alu instid0(VALU_DEP_3) | instskip(NEXT) | instid1(VALU_DEP_3)
	v_fma_f64 v[46:47], v[46:47], v[44:45], -v[50:51]
	v_fma_f64 v[48:49], v[48:49], v[44:45], -v[52:53]
	s_delay_alu instid0(VALU_DEP_3) | instskip(NEXT) | instid1(VALU_DEP_3)
	v_fma_f64 v[44:45], v[58:59], v[44:45], -v[64:65]
	v_add_f64_e32 v[54:55], v[52:53], v[46:47]
	s_delay_alu instid0(VALU_DEP_1) | instskip(SKIP_1) | instid1(VALU_DEP_2)
	v_add_f64_e64 v[56:57], v[54:55], -v[52:53]
	v_add_f64_e32 v[62:63], v[50:51], v[54:55]
	v_add_f64_e64 v[60:61], v[54:55], -v[56:57]
	v_add_f64_e64 v[46:47], v[46:47], -v[56:57]
	s_delay_alu instid0(VALU_DEP_3) | instskip(NEXT) | instid1(VALU_DEP_3)
	v_ldexp_f64 v[56:57], v[62:63], -2
	v_add_f64_e64 v[52:53], v[52:53], -v[60:61]
	v_add_f64_e32 v[60:61], v[64:65], v[48:49]
	s_delay_alu instid0(VALU_DEP_3) | instskip(NEXT) | instid1(VALU_DEP_3)
	v_cmp_neq_f64_e64 vcc_lo, 0x7ff00000, |v[56:57]|
	v_add_f64_e32 v[46:47], v[46:47], v[52:53]
	v_fract_f64_e32 v[52:53], v[56:57]
	s_delay_alu instid0(VALU_DEP_1) | instskip(NEXT) | instid1(VALU_DEP_1)
	v_ldexp_f64 v[52:53], v[52:53], 2
	v_dual_add_f64 v[50:51], v[62:63], -v[50:51] :: v_dual_cndmask_b32 v52, 0, v52, vcc_lo
	s_delay_alu instid0(VALU_DEP_1) | instskip(SKIP_1) | instid1(VALU_DEP_1)
	v_dual_add_f64 v[50:51], v[54:55], -v[50:51] :: v_dual_cndmask_b32 v53, 0, v53, vcc_lo
	v_add_f64_e32 v[54:55], v[60:61], v[46:47]
	v_add_f64_e32 v[56:57], v[50:51], v[54:55]
	v_add_f64_e64 v[66:67], v[54:55], -v[60:61]
	s_delay_alu instid0(VALU_DEP_2) | instskip(NEXT) | instid1(VALU_DEP_2)
	v_add_f64_e32 v[62:63], v[56:57], v[52:53]
	v_add_f64_e64 v[72:73], v[54:55], -v[66:67]
	v_add_f64_e64 v[46:47], v[46:47], -v[66:67]
	;; [unrolled: 1-line block ×3, first 2 shown]
	s_delay_alu instid0(VALU_DEP_4) | instskip(SKIP_2) | instid1(VALU_DEP_2)
	v_cmp_gt_f64_e32 vcc_lo, 0, v[62:63]
	v_add_f64_e64 v[62:63], v[60:61], -v[64:65]
	v_cndmask_b32_e64 v23, 0, 0x40100000, vcc_lo
	v_add_f64_e64 v[70:71], v[60:61], -v[62:63]
	v_add_f64_e64 v[48:49], v[48:49], -v[62:63]
	;; [unrolled: 1-line block ×3, first 2 shown]
	s_delay_alu instid0(VALU_DEP_4) | instskip(NEXT) | instid1(VALU_DEP_4)
	v_add_f64_e32 v[52:53], v[52:53], v[22:23]
	v_add_f64_e64 v[62:63], v[64:65], -v[70:71]
	s_delay_alu instid0(VALU_DEP_3) | instskip(NEXT) | instid1(VALU_DEP_3)
	v_add_f64_e32 v[46:47], v[46:47], v[60:61]
	v_add_f64_e32 v[68:69], v[56:57], v[52:53]
	s_delay_alu instid0(VALU_DEP_3) | instskip(NEXT) | instid1(VALU_DEP_2)
	v_add_f64_e32 v[48:49], v[48:49], v[62:63]
	v_cvt_i32_f64_e32 v23, v[68:69]
	s_delay_alu instid0(VALU_DEP_2) | instskip(SKIP_1) | instid1(VALU_DEP_3)
	v_add_f64_e32 v[46:47], v[48:49], v[46:47]
	v_add_f64_e64 v[48:49], v[54:55], -v[50:51]
	v_cvt_f64_i32_e32 v[66:67], v23
	s_delay_alu instid0(VALU_DEP_3) | instskip(NEXT) | instid1(VALU_DEP_2)
	v_add_f64_e32 v[44:45], v[44:45], v[46:47]
	v_add_f64_e64 v[52:53], v[52:53], -v[66:67]
	s_delay_alu instid0(VALU_DEP_2) | instskip(NEXT) | instid1(VALU_DEP_2)
	v_add_f64_e32 v[44:45], v[48:49], v[44:45]
	v_add_f64_e32 v[58:59], v[56:57], v[52:53]
	s_delay_alu instid0(VALU_DEP_1) | instskip(SKIP_1) | instid1(VALU_DEP_2)
	v_add_f64_e64 v[46:47], v[58:59], -v[52:53]
	v_cmp_le_f64_e32 vcc_lo, 0.5, v[58:59]
	v_add_f64_e64 v[46:47], v[56:57], -v[46:47]
	v_add_co_ci_u32_e64 v48, null, 0, v23, vcc_lo
	v_cndmask_b32_e64 v23, 0, 0x3ff00000, vcc_lo
	s_delay_alu instid0(VALU_DEP_3) | instskip(NEXT) | instid1(VALU_DEP_2)
	v_add_f64_e32 v[44:45], v[44:45], v[46:47]
	v_add_f64_e64 v[46:47], v[58:59], -v[22:23]
	s_delay_alu instid0(VALU_DEP_1) | instskip(NEXT) | instid1(VALU_DEP_1)
	v_add_f64_e32 v[50:51], v[46:47], v[44:45]
	v_mul_f64_e32 v[52:53], 0x3ff921fb54442d18, v[50:51]
	v_add_f64_e64 v[46:47], v[50:51], -v[46:47]
	s_delay_alu instid0(VALU_DEP_2) | instskip(NEXT) | instid1(VALU_DEP_2)
	v_fma_f64 v[54:55], v[50:51], s[18:19], -v[52:53]
	v_add_f64_e64 v[44:45], v[44:45], -v[46:47]
	s_delay_alu instid0(VALU_DEP_2) | instskip(NEXT) | instid1(VALU_DEP_1)
	v_fmac_f64_e32 v[54:55], 0x3c91a62633145c07, v[50:51]
	v_fmac_f64_e32 v[54:55], 0x3ff921fb54442d18, v[44:45]
	s_delay_alu instid0(VALU_DEP_1) | instskip(NEXT) | instid1(VALU_DEP_1)
	v_add_f64_e32 v[44:45], v[52:53], v[54:55]
	v_add_f64_e64 v[46:47], v[44:45], -v[52:53]
	s_delay_alu instid0(VALU_DEP_1)
	v_add_f64_e64 v[46:47], v[54:55], -v[46:47]
	s_and_not1_saveexec_b32 s4, s4
	s_cbranch_execnz .LBB247_298
	s_branch .LBB247_299
.LBB247_297:                            ;   in Loop: Header=BB247_217 Depth=1
	s_and_not1_saveexec_b32 s4, s4
	s_cbranch_execz .LBB247_299
.LBB247_298:                            ;   in Loop: Header=BB247_217 Depth=1
	v_mul_f64_e64 v[44:45], |v[16:17]|, s[20:21]
	s_delay_alu instid0(VALU_DEP_1) | instskip(NEXT) | instid1(VALU_DEP_1)
	v_rndne_f64_e32 v[48:49], v[44:45]
	v_fma_f64 v[44:45], v[48:49], s[22:23], |v[16:17]|
	v_mul_f64_e32 v[46:47], 0xbc91a62633145c00, v[48:49]
	s_delay_alu instid0(VALU_DEP_2) | instskip(NEXT) | instid1(VALU_DEP_2)
	v_fmamk_f64 v[54:55], v[48:49], 0xbc91a62633145c00, v[44:45]
	v_add_f64_e32 v[50:51], v[44:45], v[46:47]
	s_delay_alu instid0(VALU_DEP_1) | instskip(NEXT) | instid1(VALU_DEP_3)
	v_add_f64_e64 v[52:53], v[44:45], -v[50:51]
	v_add_f64_e64 v[44:45], v[50:51], -v[54:55]
	s_delay_alu instid0(VALU_DEP_2) | instskip(SKIP_1) | instid1(VALU_DEP_2)
	v_add_f64_e32 v[50:51], v[52:53], v[46:47]
	v_fmamk_f64 v[46:47], v[48:49], 0x3c91a62633145c00, v[46:47]
	v_add_f64_e32 v[44:45], v[44:45], v[50:51]
	s_delay_alu instid0(VALU_DEP_1) | instskip(NEXT) | instid1(VALU_DEP_1)
	v_add_f64_e64 v[46:47], v[44:45], -v[46:47]
	v_fmac_f64_e32 v[46:47], 0xb97b839a252049c0, v[48:49]
	v_cvt_i32_f64_e32 v48, v[48:49]
	s_delay_alu instid0(VALU_DEP_2) | instskip(NEXT) | instid1(VALU_DEP_1)
	v_add_f64_e32 v[44:45], v[54:55], v[46:47]
	v_add_f64_e64 v[50:51], v[44:45], -v[54:55]
	s_delay_alu instid0(VALU_DEP_1)
	v_add_f64_e64 v[46:47], v[46:47], -v[50:51]
.LBB247_299:                            ;   in Loop: Header=BB247_217 Depth=1
	s_or_b32 exec_lo, exec_lo, s4
	v_add_f64_e64 v[14:15], -v[14:15], s[30:31]
	v_mul_f64_e32 v[52:53], v[40:41], v[40:41]
	s_delay_alu instid0(VALU_DEP_3)
	v_mul_f64_e32 v[66:67], 0.5, v[42:43]
	v_cmp_class_f64_e64 s4, v[16:17], 0x1f8
	v_lshlrev_b32_e32 v17, 30, v48
	v_mul_f64_e32 v[54:55], v[44:45], v[44:45]
	v_mul_f64_e32 v[50:51], 0x3ff71547652b82fe, v[14:15]
	v_mul_f64_e32 v[56:57], 0.5, v[52:53]
	v_cmp_nlt_f64_e64 s5, 0x40900000, v[14:15]
	v_cmp_ngt_f64_e64 s6, 0xc090cc00, v[14:15]
	s_delay_alu instid0(VALU_DEP_4) | instskip(NEXT) | instid1(VALU_DEP_4)
	v_rndne_f64_e32 v[50:51], v[50:51]
	v_add_f64_e64 v[62:63], -v[56:57], 1.0
	s_delay_alu instid0(VALU_DEP_2) | instskip(NEXT) | instid1(VALU_DEP_2)
	v_fmamk_f64 v[60:61], v[50:51], 0xbfe62e42fefa39ef, v[14:15]
	v_add_f64_e64 v[70:71], -v[62:63], 1.0
	v_cvt_i32_f64_e32 v23, v[50:51]
	v_and_b32_e32 v14, 1, v48
	s_delay_alu instid0(VALU_DEP_4) | instskip(NEXT) | instid1(VALU_DEP_2)
	v_fmac_f64_e32 v[60:61], 0xbc7abc9e3b39803f, v[50:51]
	v_cmp_eq_u32_e64 s7, 0, v14
	v_mul_f64_e32 v[76:77], 0.5, v[46:47]
	v_add_f64_e64 v[56:57], v[70:71], -v[56:57]
	s_delay_alu instid0(VALU_DEP_4) | instskip(NEXT) | instid1(VALU_DEP_1)
	v_fmamk_f64 v[74:75], v[60:61], 0x3e5ade156a5dcb37, v[24:25]
	v_fmaak_f64 v[74:75], v[60:61], v[74:75], 0x3ec71dee623fde64
	s_delay_alu instid0(VALU_DEP_1) | instskip(NEXT) | instid1(VALU_DEP_1)
	v_fmaak_f64 v[74:75], v[60:61], v[74:75], 0x3efa01997c89e6b0
	v_fmaak_f64 v[74:75], v[60:61], v[74:75], 0x3f2a01a014761f6e
	s_delay_alu instid0(VALU_DEP_1) | instskip(NEXT) | instid1(VALU_DEP_1)
	v_fmaak_f64 v[70:71], v[60:61], v[74:75], 0x3f56c16c1852b7b0
	;; [unrolled: 3-line block ×4, first 2 shown]
	v_fma_f64 v[70:71], v[60:61], v[70:71], 1.0
	s_delay_alu instid0(VALU_DEP_1) | instskip(NEXT) | instid1(VALU_DEP_1)
	v_fma_f64 v[50:51], v[60:61], v[70:71], 1.0
	v_ldexp_f64 v[50:51], v[50:51], v23
	v_and_b32_e32 v23, 1, v38
	v_fmamk_f64 v[72:73], v[52:53], 0x3de5e0b2f9a43bb8, v[28:29]
	v_lshlrev_b32_e32 v38, 30, v38
	v_mul_f64_e32 v[58:59], 0.5, v[54:55]
	v_mul_f64_e64 v[78:79], v[44:45], -v[54:55]
	v_cmp_eq_u32_e32 vcc_lo, 0, v23
	v_mul_f64_e64 v[68:69], v[40:41], -v[52:53]
	v_fmamk_f64 v[82:83], v[54:55], 0x3de5e0b2f9a43bb8, v[28:29]
	v_fmaak_f64 v[72:73], v[52:53], v[72:73], 0x3ec71de3796cde01
	v_mul_f64_e32 v[74:75], v[52:53], v[52:53]
	s_delay_alu instid0(VALU_DEP_2) | instskip(NEXT) | instid1(VALU_DEP_1)
	v_fmaak_f64 v[72:73], v[52:53], v[72:73], 0xbf2a01a019e83e5c
	v_fmaak_f64 v[72:73], v[52:53], v[72:73], 0x3f81111111110bb3
	v_cndmask_b32_e64 v16, 0x7ff00000, v51, s5
	v_add_f64_e64 v[64:65], -v[58:59], 1.0
	s_delay_alu instid0(VALU_DEP_3) | instskip(SKIP_1) | instid1(VALU_DEP_1)
	v_fmac_f64_e32 v[66:67], v[68:69], v[72:73]
	v_fmaak_f64 v[72:73], v[54:55], v[82:83], 0x3ec71de3796cde01
	v_fmaak_f64 v[72:73], v[54:55], v[72:73], 0xbf2a01a019e83e5c
	s_delay_alu instid0(VALU_DEP_1) | instskip(NEXT) | instid1(VALU_DEP_1)
	v_fmaak_f64 v[72:73], v[54:55], v[72:73], 0x3f81111111110bb3
	v_fmac_f64_e32 v[76:77], v[78:79], v[72:73]
	v_fmamk_f64 v[72:73], v[52:53], 0xbda907db46cc5e42, v[26:27]
	v_add_f64_e64 v[80:81], -v[64:65], 1.0
	v_fma_f64 v[66:67], v[52:53], v[66:67], -v[42:43]
	v_fma_f64 v[42:43], v[40:41], -v[42:43], v[56:57]
	s_delay_alu instid0(VALU_DEP_4) | instskip(SKIP_1) | instid1(VALU_DEP_2)
	v_fmaak_f64 v[56:57], v[52:53], v[72:73], 0xbe927e4fa17f65f6
	v_mul_f64_e32 v[72:73], v[54:55], v[54:55]
	v_fmaak_f64 v[56:57], v[52:53], v[56:57], 0x3efa01a019f4ec90
	s_delay_alu instid0(VALU_DEP_1) | instskip(NEXT) | instid1(VALU_DEP_1)
	v_fmaak_f64 v[56:57], v[52:53], v[56:57], 0xbf56c16c16c16967
	v_fmaak_f64 v[52:53], v[52:53], v[56:57], 0x3fa5555555555555
	v_add_f64_e64 v[58:59], v[80:81], -v[58:59]
	v_fmamk_f64 v[80:81], v[54:55], 0xbda907db46cc5e42, v[26:27]
	v_fmac_f64_e32 v[66:67], 0xbfc5555555555555, v[68:69]
	s_delay_alu instid0(VALU_DEP_4) | instskip(NEXT) | instid1(VALU_DEP_2)
	v_fmac_f64_e32 v[42:43], v[74:75], v[52:53]
	v_add_f64_e64 v[40:41], v[40:41], -v[66:67]
	s_delay_alu instid0(VALU_DEP_2) | instskip(NEXT) | instid1(VALU_DEP_2)
	v_add_f64_e32 v[42:43], v[62:63], v[42:43]
	v_xor_b32_e32 v15, 0x80000000, v41
	s_delay_alu instid0(VALU_DEP_2) | instskip(NEXT) | instid1(VALU_DEP_2)
	v_dual_cndmask_b32 v23, v40, v42, vcc_lo :: v_dual_cndmask_b32 v40, 0, v16, s6
	v_cndmask_b32_e32 v14, v15, v43, vcc_lo
	s_and_b32 vcc_lo, s6, s5
	v_fma_f64 v[56:57], v[54:55], v[76:77], -v[46:47]
	v_fma_f64 v[46:47], v[44:45], -v[46:47], v[58:59]
	v_fmaak_f64 v[58:59], v[54:55], v[80:81], 0xbe927e4fa17f65f6
	v_xor_b32_e32 v15, v17, v39
	v_bitop3_b32 v38, v14, v38, 0x80000000 bitop3:0x78
	v_cndmask_b32_e64 v14, 0, v23, s4
	s_delay_alu instid0(VALU_DEP_4) | instskip(NEXT) | instid1(VALU_DEP_1)
	v_fmaak_f64 v[52:53], v[54:55], v[58:59], 0x3efa01a019f4ec90
	v_fmaak_f64 v[52:53], v[54:55], v[52:53], 0xbf56c16c16c16967
	s_delay_alu instid0(VALU_DEP_1) | instskip(SKIP_1) | instid1(VALU_DEP_2)
	v_fmaak_f64 v[52:53], v[54:55], v[52:53], 0x3fa5555555555555
	v_fmac_f64_e32 v[56:57], 0xbfc5555555555555, v[78:79]
	v_fmac_f64_e32 v[46:47], v[72:73], v[52:53]
	s_delay_alu instid0(VALU_DEP_2) | instskip(NEXT) | instid1(VALU_DEP_2)
	v_add_f64_e64 v[44:45], v[44:45], -v[56:57]
	v_add_f64_e32 v[46:47], v[64:65], v[46:47]
	s_delay_alu instid0(VALU_DEP_1) | instskip(NEXT) | instid1(VALU_DEP_1)
	v_dual_cndmask_b32 v39, v47, v45, s7 :: v_dual_cndmask_b32 v17, v46, v44, s7
	v_bitop3_b32 v23, v39, v15, 0x80000000 bitop3:0x78
	v_cndmask_b32_e64 v15, 0x7ff80000, v38, s4
	s_delay_alu instid0(VALU_DEP_3) | instskip(SKIP_3) | instid1(VALU_DEP_2)
	v_cndmask_b32_e64 v16, 0, v17, s4
	v_and_or_b32 v39, v40, s33, 0x7fe00000
	v_cndmask_b32_e32 v38, 0, v50, vcc_lo
	v_cndmask_b32_e64 v17, 0x7ff80000, v23, s4
	v_dual_mul_f64 v[14:15], v[38:39], v[14:15] :: v_dual_lshrrev_b32 v23, 20, v40
	s_delay_alu instid0(VALU_DEP_2) | instskip(NEXT) | instid1(VALU_DEP_2)
	v_mul_f64_e32 v[16:17], v[38:39], v[16:17]
	v_add_nc_u32_e32 v38, 0xffffff09, v23
	s_delay_alu instid0(VALU_DEP_1) | instskip(NEXT) | instid1(VALU_DEP_1)
	v_lshrrev_b16 v23, 15, v38
	v_add_nc_u16 v23, v38, v23
	s_delay_alu instid0(VALU_DEP_1) | instskip(NEXT) | instid1(VALU_DEP_1)
	v_ashrrev_i16 v23, 1, v23
	v_bfe_i32 v39, v23, 0, 16
	s_delay_alu instid0(VALU_DEP_1) | instskip(NEXT) | instid1(VALU_DEP_1)
	v_lshl_add_u32 v23, v39, 20, 0x3ff00000
	v_mul_f64_e32 v[14:15], v[14:15], v[22:23]
	v_mul_f64_e32 v[16:17], v[16:17], v[22:23]
	v_sub_nc_u32_e32 v23, v38, v39
	v_mov_b32_e32 v38, v22
	s_delay_alu instid0(VALU_DEP_2) | instskip(NEXT) | instid1(VALU_DEP_1)
	v_lshl_add_u32 v39, v23, 20, 0x3ff00000
	v_mul_f64_e32 v[40:41], v[14:15], v[38:39]
	v_mul_f64_e32 v[38:39], v[16:17], v[38:39]
.LBB247_300:                            ;   in Loop: Header=BB247_217 Depth=1
	s_or_b32 exec_lo, exec_lo, s41
                                        ; implicit-def: $vgpr42_vgpr43
                                        ; implicit-def: $vgpr16_vgpr17
                                        ; implicit-def: $vgpr23
.LBB247_301:                            ;   in Loop: Header=BB247_217 Depth=1
	s_and_not1_saveexec_b32 s5, s40
	s_cbranch_execz .LBB247_307
; %bb.302:                              ;   in Loop: Header=BB247_217 Depth=1
	v_cmp_ne_u32_e32 vcc_lo, 0, v14
	v_cmp_ne_u32_e64 s4, 0x7ff00000, v23
                                        ; implicit-def: $vgpr38_vgpr39
	s_or_b32 s4, vcc_lo, s4
	s_delay_alu instid0(SALU_CYCLE_1) | instskip(NEXT) | instid1(SALU_CYCLE_1)
	s_and_saveexec_b32 s6, s4
	s_xor_b32 s4, exec_lo, s6
; %bb.303:                              ;   in Loop: Header=BB247_217 Depth=1
	v_add_f64_e64 v[38:39], v[16:17], -v[16:17]
                                        ; implicit-def: $vgpr42_vgpr43
                                        ; implicit-def: $vgpr16_vgpr17
; %bb.304:                              ;   in Loop: Header=BB247_217 Depth=1
	s_or_saveexec_b32 s4, s4
	s_delay_alu instid0(VALU_DEP_1)
	v_mov_b64_e32 v[40:41], v[38:39]
	s_xor_b32 exec_lo, exec_lo, s4
	s_cbranch_execz .LBB247_306
; %bb.305:                              ;   in Loop: Header=BB247_217 Depth=1
	v_cmp_lt_i64_e32 vcc_lo, -1, v[42:43]
	v_dual_add_f64 v[16:17], v[16:17], -v[16:17] :: v_dual_cndmask_b32 v41, 0, v43, vcc_lo
	s_delay_alu instid0(VALU_DEP_1) | instskip(NEXT) | instid1(VALU_DEP_2)
	v_dual_cndmask_b32 v40, 0, v14 :: v_dual_cndmask_b32 v39, 0, v17
	v_cndmask_b32_e32 v38, 0, v16, vcc_lo
.LBB247_306:                            ;   in Loop: Header=BB247_217 Depth=1
	s_or_b32 exec_lo, exec_lo, s4
.LBB247_307:                            ;   in Loop: Header=BB247_217 Depth=1
	s_delay_alu instid0(SALU_CYCLE_1)
	s_or_b32 exec_lo, exec_lo, s5
                                        ; implicit-def: $vgpr16_vgpr17
.LBB247_308:                            ;   in Loop: Header=BB247_217 Depth=1
	s_and_not1_saveexec_b32 s6, s39
	s_cbranch_execz .LBB247_318
; %bb.309:                              ;   in Loop: Header=BB247_217 Depth=1
	v_cmp_ngt_f64_e64 s4, 0x41d00000, |v[16:17]|
                                        ; implicit-def: $vgpr38
                                        ; implicit-def: $vgpr14_vgpr15
                                        ; implicit-def: $vgpr40_vgpr41
	s_and_saveexec_b32 s5, s4
	s_delay_alu instid0(SALU_CYCLE_1)
	s_xor_b32 s5, exec_lo, s5
	s_cbranch_execz .LBB247_311
; %bb.310:                              ;   in Loop: Header=BB247_217 Depth=1
	v_ldexp_f64 v[14:15], |v[16:17]|, 0xffffff80
	v_cmp_le_f64_e64 vcc_lo, 0x7b000000, |v[16:17]|
	v_trig_preop_f64 v[40:41], |v[16:17]|, 0
	v_and_b32_e32 v23, 0x7fffffff, v17
	v_trig_preop_f64 v[42:43], |v[16:17]|, 1
	v_trig_preop_f64 v[52:53], |v[16:17]|, 2
	s_delay_alu instid0(VALU_DEP_3) | instskip(NEXT) | instid1(VALU_DEP_1)
	v_dual_cndmask_b32 v15, v23, v15 :: v_dual_cndmask_b32 v14, v16, v14
	v_mul_f64_e32 v[44:45], v[40:41], v[14:15]
	s_delay_alu instid0(VALU_DEP_4) | instskip(NEXT) | instid1(VALU_DEP_4)
	v_mul_f64_e32 v[46:47], v[42:43], v[14:15]
	v_mul_f64_e32 v[58:59], v[52:53], v[14:15]
	s_delay_alu instid0(VALU_DEP_3) | instskip(NEXT) | instid1(VALU_DEP_3)
	v_fma_f64 v[40:41], v[40:41], v[14:15], -v[44:45]
	v_fma_f64 v[42:43], v[42:43], v[14:15], -v[46:47]
	s_delay_alu instid0(VALU_DEP_3) | instskip(NEXT) | instid1(VALU_DEP_3)
	v_fma_f64 v[14:15], v[52:53], v[14:15], -v[58:59]
	v_add_f64_e32 v[48:49], v[46:47], v[40:41]
	s_delay_alu instid0(VALU_DEP_1) | instskip(SKIP_1) | instid1(VALU_DEP_2)
	v_add_f64_e64 v[50:51], v[48:49], -v[46:47]
	v_add_f64_e32 v[56:57], v[44:45], v[48:49]
	v_add_f64_e64 v[54:55], v[48:49], -v[50:51]
	v_add_f64_e64 v[40:41], v[40:41], -v[50:51]
	s_delay_alu instid0(VALU_DEP_3) | instskip(NEXT) | instid1(VALU_DEP_3)
	v_ldexp_f64 v[50:51], v[56:57], -2
	v_add_f64_e64 v[46:47], v[46:47], -v[54:55]
	v_add_f64_e32 v[54:55], v[58:59], v[42:43]
	s_delay_alu instid0(VALU_DEP_3) | instskip(NEXT) | instid1(VALU_DEP_3)
	v_cmp_neq_f64_e64 vcc_lo, 0x7ff00000, |v[50:51]|
	v_add_f64_e32 v[40:41], v[40:41], v[46:47]
	v_fract_f64_e32 v[46:47], v[50:51]
	s_delay_alu instid0(VALU_DEP_1) | instskip(NEXT) | instid1(VALU_DEP_1)
	v_ldexp_f64 v[46:47], v[46:47], 2
	v_dual_add_f64 v[44:45], v[56:57], -v[44:45] :: v_dual_cndmask_b32 v46, 0, v46, vcc_lo
	s_delay_alu instid0(VALU_DEP_1) | instskip(SKIP_1) | instid1(VALU_DEP_1)
	v_dual_add_f64 v[44:45], v[48:49], -v[44:45] :: v_dual_cndmask_b32 v47, 0, v47, vcc_lo
	v_add_f64_e32 v[48:49], v[54:55], v[40:41]
	v_add_f64_e32 v[50:51], v[44:45], v[48:49]
	v_add_f64_e64 v[60:61], v[48:49], -v[54:55]
	s_delay_alu instid0(VALU_DEP_2) | instskip(NEXT) | instid1(VALU_DEP_2)
	v_add_f64_e32 v[56:57], v[50:51], v[46:47]
	v_add_f64_e64 v[66:67], v[48:49], -v[60:61]
	v_add_f64_e64 v[40:41], v[40:41], -v[60:61]
	;; [unrolled: 1-line block ×3, first 2 shown]
	s_delay_alu instid0(VALU_DEP_4) | instskip(SKIP_1) | instid1(VALU_DEP_3)
	v_cmp_gt_f64_e32 vcc_lo, 0, v[56:57]
	v_add_f64_e64 v[56:57], v[54:55], -v[58:59]
	v_add_f64_e64 v[44:45], v[48:49], -v[44:45]
	v_cndmask_b32_e64 v23, 0, 0x40100000, vcc_lo
	s_delay_alu instid0(VALU_DEP_3) | instskip(SKIP_2) | instid1(VALU_DEP_4)
	v_add_f64_e64 v[64:65], v[54:55], -v[56:57]
	v_add_f64_e64 v[42:43], v[42:43], -v[56:57]
	;; [unrolled: 1-line block ×3, first 2 shown]
	v_add_f64_e32 v[46:47], v[46:47], v[22:23]
	s_delay_alu instid0(VALU_DEP_4) | instskip(NEXT) | instid1(VALU_DEP_3)
	v_add_f64_e64 v[56:57], v[58:59], -v[64:65]
	v_add_f64_e32 v[40:41], v[40:41], v[54:55]
	s_delay_alu instid0(VALU_DEP_3) | instskip(NEXT) | instid1(VALU_DEP_3)
	v_add_f64_e32 v[62:63], v[50:51], v[46:47]
	v_add_f64_e32 v[42:43], v[42:43], v[56:57]
	s_delay_alu instid0(VALU_DEP_2) | instskip(NEXT) | instid1(VALU_DEP_2)
	v_cvt_i32_f64_e32 v23, v[62:63]
	v_add_f64_e32 v[40:41], v[42:43], v[40:41]
	s_delay_alu instid0(VALU_DEP_2) | instskip(NEXT) | instid1(VALU_DEP_2)
	v_cvt_f64_i32_e32 v[60:61], v23
	v_add_f64_e32 v[14:15], v[14:15], v[40:41]
	s_delay_alu instid0(VALU_DEP_2) | instskip(NEXT) | instid1(VALU_DEP_2)
	v_add_f64_e64 v[46:47], v[46:47], -v[60:61]
	v_add_f64_e32 v[14:15], v[44:45], v[14:15]
	s_delay_alu instid0(VALU_DEP_2) | instskip(NEXT) | instid1(VALU_DEP_1)
	v_add_f64_e32 v[42:43], v[50:51], v[46:47]
	v_add_f64_e64 v[40:41], v[42:43], -v[46:47]
	v_cmp_le_f64_e32 vcc_lo, 0.5, v[42:43]
	s_delay_alu instid0(VALU_DEP_2) | instskip(SKIP_2) | instid1(VALU_DEP_3)
	v_add_f64_e64 v[40:41], v[50:51], -v[40:41]
	v_add_co_ci_u32_e64 v38, null, 0, v23, vcc_lo
	v_cndmask_b32_e64 v23, 0, 0x3ff00000, vcc_lo
	v_add_f64_e32 v[14:15], v[14:15], v[40:41]
	s_delay_alu instid0(VALU_DEP_2) | instskip(NEXT) | instid1(VALU_DEP_1)
	v_add_f64_e64 v[40:41], v[42:43], -v[22:23]
	v_add_f64_e32 v[42:43], v[40:41], v[14:15]
	s_delay_alu instid0(VALU_DEP_1) | instskip(SKIP_1) | instid1(VALU_DEP_2)
	v_mul_f64_e32 v[44:45], 0x3ff921fb54442d18, v[42:43]
	v_add_f64_e64 v[40:41], v[42:43], -v[40:41]
	v_fma_f64 v[46:47], v[42:43], s[18:19], -v[44:45]
	s_delay_alu instid0(VALU_DEP_2) | instskip(NEXT) | instid1(VALU_DEP_2)
	v_add_f64_e64 v[14:15], v[14:15], -v[40:41]
	v_fmac_f64_e32 v[46:47], 0x3c91a62633145c07, v[42:43]
	s_delay_alu instid0(VALU_DEP_1) | instskip(NEXT) | instid1(VALU_DEP_1)
	v_fmac_f64_e32 v[46:47], 0x3ff921fb54442d18, v[14:15]
	v_add_f64_e32 v[14:15], v[44:45], v[46:47]
	s_delay_alu instid0(VALU_DEP_1) | instskip(NEXT) | instid1(VALU_DEP_1)
	v_add_f64_e64 v[40:41], v[14:15], -v[44:45]
	v_add_f64_e64 v[40:41], v[46:47], -v[40:41]
	s_and_not1_saveexec_b32 s5, s5
	s_cbranch_execz .LBB247_313
	s_branch .LBB247_312
.LBB247_311:                            ;   in Loop: Header=BB247_217 Depth=1
	s_and_not1_saveexec_b32 s5, s5
	s_cbranch_execz .LBB247_313
.LBB247_312:                            ;   in Loop: Header=BB247_217 Depth=1
	v_mul_f64_e64 v[14:15], |v[16:17]|, s[20:21]
	s_delay_alu instid0(VALU_DEP_1) | instskip(NEXT) | instid1(VALU_DEP_1)
	v_rndne_f64_e32 v[42:43], v[14:15]
	v_fma_f64 v[14:15], v[42:43], s[22:23], |v[16:17]|
	v_mul_f64_e32 v[40:41], 0xbc91a62633145c00, v[42:43]
	v_cvt_i32_f64_e32 v38, v[42:43]
	s_delay_alu instid0(VALU_DEP_3) | instskip(NEXT) | instid1(VALU_DEP_3)
	v_fmamk_f64 v[48:49], v[42:43], 0xbc91a62633145c00, v[14:15]
	v_add_f64_e32 v[44:45], v[14:15], v[40:41]
	s_delay_alu instid0(VALU_DEP_1) | instskip(NEXT) | instid1(VALU_DEP_3)
	v_add_f64_e64 v[46:47], v[14:15], -v[44:45]
	v_add_f64_e64 v[14:15], v[44:45], -v[48:49]
	s_delay_alu instid0(VALU_DEP_2) | instskip(SKIP_1) | instid1(VALU_DEP_2)
	v_add_f64_e32 v[44:45], v[46:47], v[40:41]
	v_fmamk_f64 v[40:41], v[42:43], 0x3c91a62633145c00, v[40:41]
	v_add_f64_e32 v[14:15], v[14:15], v[44:45]
	s_delay_alu instid0(VALU_DEP_1) | instskip(NEXT) | instid1(VALU_DEP_1)
	v_add_f64_e64 v[40:41], v[14:15], -v[40:41]
	v_fmac_f64_e32 v[40:41], 0xb97b839a252049c0, v[42:43]
	s_delay_alu instid0(VALU_DEP_1) | instskip(NEXT) | instid1(VALU_DEP_1)
	v_add_f64_e32 v[14:15], v[48:49], v[40:41]
	v_add_f64_e64 v[44:45], v[14:15], -v[48:49]
	s_delay_alu instid0(VALU_DEP_1)
	v_add_f64_e64 v[40:41], v[40:41], -v[44:45]
.LBB247_313:                            ;   in Loop: Header=BB247_217 Depth=1
	s_or_b32 exec_lo, exec_lo, s5
                                        ; implicit-def: $vgpr46
                                        ; implicit-def: $vgpr42_vgpr43
                                        ; implicit-def: $vgpr44_vgpr45
	s_and_saveexec_b32 s5, s4
	s_delay_alu instid0(SALU_CYCLE_1)
	s_xor_b32 s4, exec_lo, s5
	s_cbranch_execz .LBB247_315
; %bb.314:                              ;   in Loop: Header=BB247_217 Depth=1
	v_ldexp_f64 v[42:43], |v[16:17]|, 0xffffff80
	v_cmp_le_f64_e64 vcc_lo, 0x7b000000, |v[16:17]|
	v_trig_preop_f64 v[44:45], |v[16:17]|, 0
	v_and_b32_e32 v23, 0x7fffffff, v17
	v_trig_preop_f64 v[46:47], |v[16:17]|, 1
	v_trig_preop_f64 v[56:57], |v[16:17]|, 2
	s_delay_alu instid0(VALU_DEP_3) | instskip(NEXT) | instid1(VALU_DEP_1)
	v_dual_cndmask_b32 v43, v23, v43 :: v_dual_cndmask_b32 v42, v16, v42
	v_mul_f64_e32 v[48:49], v[44:45], v[42:43]
	s_delay_alu instid0(VALU_DEP_4) | instskip(NEXT) | instid1(VALU_DEP_4)
	v_mul_f64_e32 v[50:51], v[46:47], v[42:43]
	v_mul_f64_e32 v[62:63], v[56:57], v[42:43]
	s_delay_alu instid0(VALU_DEP_3) | instskip(NEXT) | instid1(VALU_DEP_3)
	v_fma_f64 v[44:45], v[44:45], v[42:43], -v[48:49]
	v_fma_f64 v[46:47], v[46:47], v[42:43], -v[50:51]
	s_delay_alu instid0(VALU_DEP_3) | instskip(NEXT) | instid1(VALU_DEP_3)
	v_fma_f64 v[42:43], v[56:57], v[42:43], -v[62:63]
	v_add_f64_e32 v[52:53], v[50:51], v[44:45]
	s_delay_alu instid0(VALU_DEP_1) | instskip(SKIP_1) | instid1(VALU_DEP_2)
	v_add_f64_e64 v[54:55], v[52:53], -v[50:51]
	v_add_f64_e32 v[60:61], v[48:49], v[52:53]
	v_add_f64_e64 v[58:59], v[52:53], -v[54:55]
	v_add_f64_e64 v[44:45], v[44:45], -v[54:55]
	s_delay_alu instid0(VALU_DEP_3) | instskip(NEXT) | instid1(VALU_DEP_3)
	v_ldexp_f64 v[54:55], v[60:61], -2
	v_add_f64_e64 v[50:51], v[50:51], -v[58:59]
	v_add_f64_e32 v[58:59], v[62:63], v[46:47]
	s_delay_alu instid0(VALU_DEP_3) | instskip(NEXT) | instid1(VALU_DEP_3)
	v_cmp_neq_f64_e64 vcc_lo, 0x7ff00000, |v[54:55]|
	v_add_f64_e32 v[44:45], v[44:45], v[50:51]
	v_fract_f64_e32 v[50:51], v[54:55]
	s_delay_alu instid0(VALU_DEP_1) | instskip(NEXT) | instid1(VALU_DEP_1)
	v_ldexp_f64 v[50:51], v[50:51], 2
	v_dual_add_f64 v[48:49], v[60:61], -v[48:49] :: v_dual_cndmask_b32 v50, 0, v50, vcc_lo
	s_delay_alu instid0(VALU_DEP_1) | instskip(SKIP_1) | instid1(VALU_DEP_1)
	v_dual_add_f64 v[48:49], v[52:53], -v[48:49] :: v_dual_cndmask_b32 v51, 0, v51, vcc_lo
	v_add_f64_e32 v[52:53], v[58:59], v[44:45]
	v_add_f64_e32 v[54:55], v[48:49], v[52:53]
	v_add_f64_e64 v[64:65], v[52:53], -v[58:59]
	s_delay_alu instid0(VALU_DEP_2) | instskip(NEXT) | instid1(VALU_DEP_2)
	v_add_f64_e32 v[60:61], v[54:55], v[50:51]
	v_add_f64_e64 v[70:71], v[52:53], -v[64:65]
	v_add_f64_e64 v[44:45], v[44:45], -v[64:65]
	;; [unrolled: 1-line block ×3, first 2 shown]
	s_delay_alu instid0(VALU_DEP_4) | instskip(SKIP_2) | instid1(VALU_DEP_2)
	v_cmp_gt_f64_e32 vcc_lo, 0, v[60:61]
	v_add_f64_e64 v[60:61], v[58:59], -v[62:63]
	v_cndmask_b32_e64 v23, 0, 0x40100000, vcc_lo
	v_add_f64_e64 v[68:69], v[58:59], -v[60:61]
	v_add_f64_e64 v[46:47], v[46:47], -v[60:61]
	;; [unrolled: 1-line block ×3, first 2 shown]
	s_delay_alu instid0(VALU_DEP_4) | instskip(NEXT) | instid1(VALU_DEP_4)
	v_add_f64_e32 v[50:51], v[50:51], v[22:23]
	v_add_f64_e64 v[60:61], v[62:63], -v[68:69]
	s_delay_alu instid0(VALU_DEP_3) | instskip(NEXT) | instid1(VALU_DEP_3)
	v_add_f64_e32 v[44:45], v[44:45], v[58:59]
	v_add_f64_e32 v[66:67], v[54:55], v[50:51]
	s_delay_alu instid0(VALU_DEP_3) | instskip(NEXT) | instid1(VALU_DEP_2)
	v_add_f64_e32 v[46:47], v[46:47], v[60:61]
	v_cvt_i32_f64_e32 v23, v[66:67]
	s_delay_alu instid0(VALU_DEP_2) | instskip(SKIP_1) | instid1(VALU_DEP_3)
	v_add_f64_e32 v[44:45], v[46:47], v[44:45]
	v_add_f64_e64 v[46:47], v[52:53], -v[48:49]
	v_cvt_f64_i32_e32 v[64:65], v23
	s_delay_alu instid0(VALU_DEP_3) | instskip(NEXT) | instid1(VALU_DEP_2)
	v_add_f64_e32 v[42:43], v[42:43], v[44:45]
	v_add_f64_e64 v[50:51], v[50:51], -v[64:65]
	s_delay_alu instid0(VALU_DEP_2) | instskip(NEXT) | instid1(VALU_DEP_2)
	v_add_f64_e32 v[42:43], v[46:47], v[42:43]
	v_add_f64_e32 v[56:57], v[54:55], v[50:51]
	s_delay_alu instid0(VALU_DEP_1) | instskip(SKIP_1) | instid1(VALU_DEP_2)
	v_add_f64_e64 v[44:45], v[56:57], -v[50:51]
	v_cmp_le_f64_e32 vcc_lo, 0.5, v[56:57]
	v_add_f64_e64 v[44:45], v[54:55], -v[44:45]
	v_add_co_ci_u32_e64 v46, null, 0, v23, vcc_lo
	v_cndmask_b32_e64 v23, 0, 0x3ff00000, vcc_lo
	s_delay_alu instid0(VALU_DEP_3) | instskip(NEXT) | instid1(VALU_DEP_2)
	v_add_f64_e32 v[42:43], v[42:43], v[44:45]
	v_add_f64_e64 v[44:45], v[56:57], -v[22:23]
	s_delay_alu instid0(VALU_DEP_1) | instskip(NEXT) | instid1(VALU_DEP_1)
	v_add_f64_e32 v[48:49], v[44:45], v[42:43]
	v_mul_f64_e32 v[50:51], 0x3ff921fb54442d18, v[48:49]
	v_add_f64_e64 v[44:45], v[48:49], -v[44:45]
	s_delay_alu instid0(VALU_DEP_2) | instskip(NEXT) | instid1(VALU_DEP_2)
	v_fma_f64 v[52:53], v[48:49], s[18:19], -v[50:51]
	v_add_f64_e64 v[42:43], v[42:43], -v[44:45]
	s_delay_alu instid0(VALU_DEP_2) | instskip(NEXT) | instid1(VALU_DEP_1)
	v_fmac_f64_e32 v[52:53], 0x3c91a62633145c07, v[48:49]
	v_fmac_f64_e32 v[52:53], 0x3ff921fb54442d18, v[42:43]
	s_delay_alu instid0(VALU_DEP_1) | instskip(NEXT) | instid1(VALU_DEP_1)
	v_add_f64_e32 v[42:43], v[50:51], v[52:53]
	v_add_f64_e64 v[44:45], v[42:43], -v[50:51]
	s_delay_alu instid0(VALU_DEP_1)
	v_add_f64_e64 v[44:45], v[52:53], -v[44:45]
	s_and_not1_saveexec_b32 s4, s4
	s_cbranch_execnz .LBB247_316
	s_branch .LBB247_317
.LBB247_315:                            ;   in Loop: Header=BB247_217 Depth=1
	s_and_not1_saveexec_b32 s4, s4
	s_cbranch_execz .LBB247_317
.LBB247_316:                            ;   in Loop: Header=BB247_217 Depth=1
	v_mul_f64_e64 v[42:43], |v[16:17]|, s[20:21]
	s_delay_alu instid0(VALU_DEP_1) | instskip(NEXT) | instid1(VALU_DEP_1)
	v_rndne_f64_e32 v[46:47], v[42:43]
	v_fma_f64 v[42:43], v[46:47], s[22:23], |v[16:17]|
	v_mul_f64_e32 v[44:45], 0xbc91a62633145c00, v[46:47]
	s_delay_alu instid0(VALU_DEP_2) | instskip(NEXT) | instid1(VALU_DEP_2)
	v_fmamk_f64 v[52:53], v[46:47], 0xbc91a62633145c00, v[42:43]
	v_add_f64_e32 v[48:49], v[42:43], v[44:45]
	s_delay_alu instid0(VALU_DEP_1) | instskip(NEXT) | instid1(VALU_DEP_3)
	v_add_f64_e64 v[50:51], v[42:43], -v[48:49]
	v_add_f64_e64 v[42:43], v[48:49], -v[52:53]
	s_delay_alu instid0(VALU_DEP_2) | instskip(SKIP_1) | instid1(VALU_DEP_2)
	v_add_f64_e32 v[48:49], v[50:51], v[44:45]
	v_fmamk_f64 v[44:45], v[46:47], 0x3c91a62633145c00, v[44:45]
	v_add_f64_e32 v[42:43], v[42:43], v[48:49]
	s_delay_alu instid0(VALU_DEP_1) | instskip(NEXT) | instid1(VALU_DEP_1)
	v_add_f64_e64 v[44:45], v[42:43], -v[44:45]
	v_fmac_f64_e32 v[44:45], 0xb97b839a252049c0, v[46:47]
	v_cvt_i32_f64_e32 v46, v[46:47]
	s_delay_alu instid0(VALU_DEP_2) | instskip(NEXT) | instid1(VALU_DEP_1)
	v_add_f64_e32 v[42:43], v[52:53], v[44:45]
	v_add_f64_e64 v[48:49], v[42:43], -v[52:53]
	s_delay_alu instid0(VALU_DEP_1)
	v_add_f64_e64 v[44:45], v[44:45], -v[48:49]
.LBB247_317:                            ;   in Loop: Header=BB247_217 Depth=1
	s_or_b32 exec_lo, exec_lo, s4
	v_mul_f64_e32 v[48:49], v[14:15], v[14:15]
	v_mul_f64_e32 v[50:51], v[42:43], v[42:43]
	s_delay_alu instid0(VALU_DEP_3) | instskip(NEXT) | instid1(VALU_DEP_4)
	v_mul_f64_e32 v[60:61], 0.5, v[40:41]
	v_mul_f64_e32 v[68:69], 0.5, v[44:45]
	v_cmp_class_f64_e64 s4, v[16:17], 0x1f8
	v_and_b32_e32 v16, 1, v46
	v_and_b32_e32 v23, 1, v38
	v_lshlrev_b32_e32 v17, 30, v46
	s_delay_alu instid0(VALU_DEP_3) | instskip(SKIP_1) | instid1(VALU_DEP_4)
	v_cmp_eq_u32_e64 s5, 0, v16
	v_lshlrev_b32_e32 v16, 30, v38
	v_cmp_eq_u32_e32 vcc_lo, 0, v23
	s_delay_alu instid0(VALU_DEP_4) | instskip(SKIP_4) | instid1(VALU_DEP_3)
	v_dual_mul_f64 v[52:53], 0.5, v[48:49] :: v_dual_bitop2_b32 v17, v17, v39 bitop3:0x14
	v_mul_f64_e64 v[62:63], v[14:15], -v[48:49]
	v_fmamk_f64 v[66:67], v[48:49], 0x3de5e0b2f9a43bb8, v[28:29]
	v_mul_f64_e64 v[70:71], v[42:43], -v[50:51]
	v_fmamk_f64 v[74:75], v[50:51], 0x3de5e0b2f9a43bb8, v[28:29]
	v_fmaak_f64 v[66:67], v[48:49], v[66:67], 0x3ec71de3796cde01
	s_delay_alu instid0(VALU_DEP_1) | instskip(NEXT) | instid1(VALU_DEP_1)
	v_fmaak_f64 v[66:67], v[48:49], v[66:67], 0xbf2a01a019e83e5c
	v_fmaak_f64 v[66:67], v[48:49], v[66:67], 0x3f81111111110bb3
	v_add_f64_e64 v[56:57], -v[52:53], 1.0
	s_delay_alu instid0(VALU_DEP_2) | instskip(SKIP_1) | instid1(VALU_DEP_3)
	v_fmac_f64_e32 v[60:61], v[62:63], v[66:67]
	v_mul_f64_e32 v[66:67], v[48:49], v[48:49]
	v_add_f64_e64 v[64:65], -v[56:57], 1.0
	s_delay_alu instid0(VALU_DEP_3) | instskip(NEXT) | instid1(VALU_DEP_2)
	v_fma_f64 v[60:61], v[48:49], v[60:61], -v[40:41]
	v_add_f64_e64 v[52:53], v[64:65], -v[52:53]
	v_fmaak_f64 v[64:65], v[50:51], v[74:75], 0x3ec71de3796cde01
	s_delay_alu instid0(VALU_DEP_3) | instskip(NEXT) | instid1(VALU_DEP_2)
	v_fmac_f64_e32 v[60:61], 0xbfc5555555555555, v[62:63]
	v_fmaak_f64 v[64:65], v[50:51], v[64:65], 0xbf2a01a019e83e5c
	s_delay_alu instid0(VALU_DEP_1) | instskip(NEXT) | instid1(VALU_DEP_1)
	v_fmaak_f64 v[64:65], v[50:51], v[64:65], 0x3f81111111110bb3
	v_fmac_f64_e32 v[68:69], v[70:71], v[64:65]
	v_fmamk_f64 v[64:65], v[48:49], 0xbda907db46cc5e42, v[26:27]
	v_fma_f64 v[40:41], v[14:15], -v[40:41], v[52:53]
	s_delay_alu instid0(VALU_DEP_2) | instskip(SKIP_2) | instid1(VALU_DEP_3)
	v_fmaak_f64 v[52:53], v[48:49], v[64:65], 0xbe927e4fa17f65f6
	v_add_f64_e64 v[14:15], v[14:15], -v[60:61]
	v_fmamk_f64 v[64:65], v[50:51], 0xbda907db46cc5e42, v[26:27]
	v_fmaak_f64 v[52:53], v[48:49], v[52:53], 0x3efa01a019f4ec90
	s_delay_alu instid0(VALU_DEP_1) | instskip(NEXT) | instid1(VALU_DEP_1)
	v_fmaak_f64 v[52:53], v[48:49], v[52:53], 0xbf56c16c16c16967
	v_fmaak_f64 v[48:49], v[48:49], v[52:53], 0x3fa5555555555555
	v_fma_f64 v[68:69], v[50:51], v[68:69], -v[44:45]
	v_fmaak_f64 v[52:53], v[50:51], v[64:65], 0xbe927e4fa17f65f6
	s_delay_alu instid0(VALU_DEP_3) | instskip(NEXT) | instid1(VALU_DEP_2)
	v_fmac_f64_e32 v[40:41], v[66:67], v[48:49]
	v_fmaak_f64 v[48:49], v[50:51], v[52:53], 0x3efa01a019f4ec90
	v_xor_b32_e32 v15, 0x80000000, v15
	s_delay_alu instid0(VALU_DEP_2) | instskip(NEXT) | instid1(VALU_DEP_1)
	v_fmaak_f64 v[48:49], v[50:51], v[48:49], 0xbf56c16c16c16967
	v_fmaak_f64 v[48:49], v[50:51], v[48:49], 0x3fa5555555555555
	v_fmac_f64_e32 v[68:69], 0xbfc5555555555555, v[70:71]
	v_add_f64_e32 v[40:41], v[56:57], v[40:41]
	s_delay_alu instid0(VALU_DEP_1) | instskip(NEXT) | instid1(VALU_DEP_1)
	v_dual_mul_f64 v[54:55], 0.5, v[50:51] :: v_dual_cndmask_b32 v14, v14, v40, vcc_lo
	v_add_f64_e64 v[58:59], -v[54:55], 1.0
	s_delay_alu instid0(VALU_DEP_2) | instskip(NEXT) | instid1(VALU_DEP_1)
	v_dual_cndmask_b32 v15, v15, v41, vcc_lo :: v_dual_cndmask_b32 v40, 0, v14, s4
	v_bitop3_b32 v15, v15, v16, 0x80000000 bitop3:0x78
	s_delay_alu instid0(VALU_DEP_1) | instskip(NEXT) | instid1(VALU_DEP_4)
	v_cndmask_b32_e64 v41, 0x7ff80000, v15, s4
	v_add_f64_e64 v[72:73], -v[58:59], 1.0
	s_delay_alu instid0(VALU_DEP_1) | instskip(SKIP_1) | instid1(VALU_DEP_2)
	v_add_f64_e64 v[54:55], v[72:73], -v[54:55]
	v_mul_f64_e32 v[72:73], v[50:51], v[50:51]
	v_fma_f64 v[44:45], v[42:43], -v[44:45], v[54:55]
	v_add_f64_e64 v[42:43], v[42:43], -v[68:69]
	s_delay_alu instid0(VALU_DEP_2) | instskip(NEXT) | instid1(VALU_DEP_1)
	v_fmac_f64_e32 v[44:45], v[72:73], v[48:49]
	v_add_f64_e32 v[44:45], v[58:59], v[44:45]
	s_delay_alu instid0(VALU_DEP_1) | instskip(NEXT) | instid1(VALU_DEP_1)
	v_dual_cndmask_b32 v38, v45, v43, s5 :: v_dual_cndmask_b32 v23, v44, v42, s5
	v_bitop3_b32 v16, v38, v17, 0x80000000 bitop3:0x78
	s_delay_alu instid0(VALU_DEP_2) | instskip(NEXT) | instid1(VALU_DEP_2)
	v_cndmask_b32_e64 v38, 0, v23, s4
	v_cndmask_b32_e64 v39, 0x7ff80000, v16, s4
.LBB247_318:                            ;   in Loop: Header=BB247_217 Depth=1
	s_or_b32 exec_lo, exec_lo, s6
                                        ; implicit-def: $vgpr14_vgpr15
.LBB247_319:                            ;   in Loop: Header=BB247_217 Depth=1
	s_and_not1_saveexec_b32 s5, s38
	s_cbranch_execz .LBB247_321
; %bb.320:                              ;   in Loop: Header=BB247_217 Depth=1
	v_mul_f64_e32 v[16:17], 0xbff71547652b82fe, v[14:15]
	v_cmp_ngt_f64_e32 vcc_lo, 0xc0900000, v[14:15]
	v_cmp_nlt_f64_e64 s4, 0x4090cc00, v[14:15]
	s_delay_alu instid0(VALU_DEP_3) | instskip(NEXT) | instid1(VALU_DEP_1)
	v_rndne_f64_e32 v[16:17], v[16:17]
	v_fma_f64 v[40:41], v[16:17], s[24:25], -v[14:15]
	v_cvt_i32_f64_e32 v23, v[16:17]
	s_delay_alu instid0(VALU_DEP_2) | instskip(NEXT) | instid1(VALU_DEP_1)
	v_fmac_f64_e32 v[40:41], 0xbc7abc9e3b39803f, v[16:17]
	v_fmamk_f64 v[42:43], v[40:41], 0x3e5ade156a5dcb37, v[24:25]
	s_delay_alu instid0(VALU_DEP_1) | instskip(NEXT) | instid1(VALU_DEP_1)
	v_fmaak_f64 v[42:43], v[40:41], v[42:43], 0x3ec71dee623fde64
	v_fmaak_f64 v[42:43], v[40:41], v[42:43], 0x3efa01997c89e6b0
	s_delay_alu instid0(VALU_DEP_1) | instskip(NEXT) | instid1(VALU_DEP_1)
	v_fmaak_f64 v[42:43], v[40:41], v[42:43], 0x3f2a01a014761f6e
	v_fmaak_f64 v[42:43], v[40:41], v[42:43], 0x3f56c16c1852b7b0
	;; [unrolled: 3-line block ×4, first 2 shown]
	s_delay_alu instid0(VALU_DEP_1) | instskip(NEXT) | instid1(VALU_DEP_1)
	v_fma_f64 v[42:43], v[40:41], v[42:43], 1.0
	v_fma_f64 v[16:17], v[40:41], v[42:43], 1.0
	s_delay_alu instid0(VALU_DEP_1) | instskip(NEXT) | instid1(VALU_DEP_1)
	v_ldexp_f64 v[16:17], v[16:17], v23
	v_cndmask_b32_e32 v17, 0x7ff00000, v17, vcc_lo
	s_and_b32 vcc_lo, s4, vcc_lo
	s_delay_alu instid0(VALU_DEP_1) | instid1(SALU_CYCLE_1)
	v_dual_cndmask_b32 v40, 0, v16, vcc_lo :: v_dual_cndmask_b32 v41, 0, v17, s4
.LBB247_321:                            ;   in Loop: Header=BB247_217 Depth=1
	s_or_b32 exec_lo, exec_lo, s5
	s_delay_alu instid0(VALU_DEP_1) | instskip(SKIP_1) | instid1(VALU_DEP_1)
	v_add_f64_e32 v[38:39], s[10:11], v[38:39]
	s_mov_b32 s4, exec_lo
	v_xor_b32_e32 v15, 0x80000000, v39
	s_delay_alu instid0(VALU_DEP_3) | instskip(NEXT) | instid1(VALU_DEP_1)
	v_add_f64_e32 v[40:41], s[8:9], v[40:41]
	v_cmp_gt_f64_e32 vcc_lo, 0, v[40:41]
	v_xor_b32_e32 v14, 0x80000000, v41
	s_delay_alu instid0(VALU_DEP_1) | instskip(SKIP_3) | instid1(VALU_DEP_1)
	v_cndmask_b32_e32 v43, v41, v14, vcc_lo
	v_cmp_gt_f64_e32 vcc_lo, 0, v[38:39]
	v_dual_cndmask_b32 v45, v39, v15 :: v_dual_mov_b32 v42, v40
	v_mov_b32_e32 v44, v38
                                        ; implicit-def: $vgpr16_vgpr17
	v_cmpx_ge_f64_e32 v[42:43], v[44:45]
	s_xor_b32 s5, exec_lo, s4
	s_cbranch_execz .LBB247_327
; %bb.322:                              ;   in Loop: Header=BB247_217 Depth=1
	v_cmp_neq_f64_e32 vcc_lo, 0, v[40:41]
	v_cmp_neq_f64_e64 s4, 0, v[38:39]
                                        ; implicit-def: $vgpr16_vgpr17
	s_or_b32 s4, vcc_lo, s4
	s_delay_alu instid0(SALU_CYCLE_1) | instskip(NEXT) | instid1(SALU_CYCLE_1)
	s_and_saveexec_b32 s6, s4
	s_xor_b32 s4, exec_lo, s6
	s_cbranch_execz .LBB247_324
; %bb.323:                              ;   in Loop: Header=BB247_217 Depth=1
	v_div_scale_f64 v[14:15], null, v[40:41], v[40:41], v[38:39]
	v_div_scale_f64 v[44:45], vcc_lo, v[38:39], v[40:41], v[38:39]
	s_delay_alu instid0(VALU_DEP_2) | instskip(SKIP_1) | instid1(TRANS32_DEP_1)
	v_rcp_f64_e32 v[16:17], v[14:15]
	v_nop
	v_fma_f64 v[42:43], -v[14:15], v[16:17], 1.0
	s_delay_alu instid0(VALU_DEP_1) | instskip(NEXT) | instid1(VALU_DEP_1)
	v_fmac_f64_e32 v[16:17], v[16:17], v[42:43]
	v_fma_f64 v[42:43], -v[14:15], v[16:17], 1.0
	s_delay_alu instid0(VALU_DEP_1) | instskip(NEXT) | instid1(VALU_DEP_1)
	v_fmac_f64_e32 v[16:17], v[16:17], v[42:43]
	v_mul_f64_e32 v[42:43], v[44:45], v[16:17]
	s_delay_alu instid0(VALU_DEP_1) | instskip(NEXT) | instid1(VALU_DEP_1)
	v_fma_f64 v[14:15], -v[14:15], v[42:43], v[44:45]
	v_div_fmas_f64 v[14:15], v[14:15], v[16:17], v[42:43]
	s_delay_alu instid0(VALU_DEP_1) | instskip(NEXT) | instid1(VALU_DEP_1)
	v_div_fixup_f64 v[14:15], v[14:15], v[40:41], v[38:39]
	v_fmac_f64_e32 v[40:41], v[38:39], v[14:15]
	s_delay_alu instid0(VALU_DEP_1) | instskip(SKIP_1) | instid1(VALU_DEP_2)
	v_div_scale_f64 v[16:17], null, v[40:41], v[40:41], 1.0
	v_div_scale_f64 v[44:45], vcc_lo, 1.0, v[40:41], 1.0
	v_rcp_f64_e32 v[38:39], v[16:17]
	v_nop
	s_delay_alu instid0(TRANS32_DEP_1) | instskip(NEXT) | instid1(VALU_DEP_1)
	v_fma_f64 v[42:43], -v[16:17], v[38:39], 1.0
	v_fmac_f64_e32 v[38:39], v[38:39], v[42:43]
	s_delay_alu instid0(VALU_DEP_1) | instskip(NEXT) | instid1(VALU_DEP_1)
	v_fma_f64 v[42:43], -v[16:17], v[38:39], 1.0
	v_fmac_f64_e32 v[38:39], v[38:39], v[42:43]
	s_delay_alu instid0(VALU_DEP_1) | instskip(NEXT) | instid1(VALU_DEP_1)
	v_mul_f64_e32 v[42:43], v[44:45], v[38:39]
	v_fma_f64 v[16:17], -v[16:17], v[42:43], v[44:45]
                                        ; implicit-def: $vgpr44_vgpr45
	s_delay_alu instid0(VALU_DEP_1) | instskip(SKIP_1) | instid1(VALU_DEP_2)
	v_div_fmas_f64 v[16:17], v[16:17], v[38:39], v[42:43]
	v_fma_f64 v[38:39], s[10:11], v[14:15], s[8:9]
                                        ; implicit-def: $vgpr42_vgpr43
	v_div_fixup_f64 v[16:17], v[16:17], v[40:41], 1.0
	v_fma_f64 v[40:41], -s[8:9], v[14:15], s[10:11]
	s_delay_alu instid0(VALU_DEP_2) | instskip(NEXT) | instid1(VALU_DEP_2)
	v_mul_f64_e32 v[14:15], v[38:39], v[16:17]
	v_mul_f64_e32 v[16:17], v[40:41], v[16:17]
.LBB247_324:                            ;   in Loop: Header=BB247_217 Depth=1
	s_and_not1_saveexec_b32 s6, s4
	s_cbranch_execz .LBB247_326
; %bb.325:                              ;   in Loop: Header=BB247_217 Depth=1
	v_div_scale_f64 v[14:15], null, v[42:43], v[42:43], s[8:9]
	v_div_scale_f64 v[16:17], null, v[44:45], v[44:45], s[10:11]
	v_div_scale_f64 v[50:51], vcc_lo, s[8:9], v[42:43], s[8:9]
	s_delay_alu instid0(VALU_DEP_3) | instskip(NEXT) | instid1(VALU_DEP_2)
	v_rcp_f64_e32 v[38:39], v[14:15]
	v_rcp_f64_e32 v[40:41], v[16:17]
	s_delay_alu instid0(TRANS32_DEP_2) | instskip(NEXT) | instid1(TRANS32_DEP_1)
	v_fma_f64 v[46:47], -v[14:15], v[38:39], 1.0
	v_fma_f64 v[48:49], -v[16:17], v[40:41], 1.0
	s_delay_alu instid0(VALU_DEP_2) | instskip(NEXT) | instid1(VALU_DEP_2)
	v_fmac_f64_e32 v[38:39], v[38:39], v[46:47]
	v_fmac_f64_e32 v[40:41], v[40:41], v[48:49]
	s_delay_alu instid0(VALU_DEP_2) | instskip(NEXT) | instid1(VALU_DEP_2)
	v_fma_f64 v[46:47], -v[14:15], v[38:39], 1.0
	v_fma_f64 v[48:49], -v[16:17], v[40:41], 1.0
	s_delay_alu instid0(VALU_DEP_2) | instskip(SKIP_1) | instid1(VALU_DEP_3)
	v_fmac_f64_e32 v[38:39], v[38:39], v[46:47]
	v_div_scale_f64 v[46:47], s4, s[10:11], v[44:45], s[10:11]
	v_fmac_f64_e32 v[40:41], v[40:41], v[48:49]
	s_delay_alu instid0(VALU_DEP_3) | instskip(NEXT) | instid1(VALU_DEP_2)
	v_mul_f64_e32 v[48:49], v[50:51], v[38:39]
	v_mul_f64_e32 v[52:53], v[46:47], v[40:41]
	s_delay_alu instid0(VALU_DEP_2) | instskip(NEXT) | instid1(VALU_DEP_2)
	v_fma_f64 v[14:15], -v[14:15], v[48:49], v[50:51]
	v_fma_f64 v[16:17], -v[16:17], v[52:53], v[46:47]
	s_delay_alu instid0(VALU_DEP_2) | instskip(SKIP_1) | instid1(VALU_DEP_2)
	v_div_fmas_f64 v[14:15], v[14:15], v[38:39], v[48:49]
	s_mov_b32 vcc_lo, s4
	v_div_fmas_f64 v[16:17], v[16:17], v[40:41], v[52:53]
	s_delay_alu instid0(VALU_DEP_2) | instskip(NEXT) | instid1(VALU_DEP_2)
	v_div_fixup_f64 v[14:15], v[14:15], v[42:43], s[8:9]
	v_div_fixup_f64 v[16:17], v[16:17], v[44:45], s[10:11]
.LBB247_326:                            ;   in Loop: Header=BB247_217 Depth=1
	s_or_b32 exec_lo, exec_lo, s6
                                        ; implicit-def: $vgpr38_vgpr39
                                        ; implicit-def: $vgpr40_vgpr41
.LBB247_327:                            ;   in Loop: Header=BB247_217 Depth=1
	s_and_not1_saveexec_b32 s4, s5
	s_cbranch_execz .LBB247_329
; %bb.328:                              ;   in Loop: Header=BB247_217 Depth=1
	v_div_scale_f64 v[14:15], null, v[38:39], v[38:39], v[40:41]
	v_div_scale_f64 v[44:45], vcc_lo, v[40:41], v[38:39], v[40:41]
	s_delay_alu instid0(VALU_DEP_2) | instskip(SKIP_1) | instid1(TRANS32_DEP_1)
	v_rcp_f64_e32 v[16:17], v[14:15]
	v_nop
	v_fma_f64 v[42:43], -v[14:15], v[16:17], 1.0
	s_delay_alu instid0(VALU_DEP_1) | instskip(NEXT) | instid1(VALU_DEP_1)
	v_fmac_f64_e32 v[16:17], v[16:17], v[42:43]
	v_fma_f64 v[42:43], -v[14:15], v[16:17], 1.0
	s_delay_alu instid0(VALU_DEP_1) | instskip(NEXT) | instid1(VALU_DEP_1)
	v_fmac_f64_e32 v[16:17], v[16:17], v[42:43]
	v_mul_f64_e32 v[42:43], v[44:45], v[16:17]
	s_delay_alu instid0(VALU_DEP_1) | instskip(NEXT) | instid1(VALU_DEP_1)
	v_fma_f64 v[14:15], -v[14:15], v[42:43], v[44:45]
	v_div_fmas_f64 v[14:15], v[14:15], v[16:17], v[42:43]
	s_delay_alu instid0(VALU_DEP_1) | instskip(NEXT) | instid1(VALU_DEP_1)
	v_div_fixup_f64 v[14:15], v[14:15], v[38:39], v[40:41]
	v_fmac_f64_e32 v[38:39], v[40:41], v[14:15]
	s_delay_alu instid0(VALU_DEP_1) | instskip(SKIP_1) | instid1(VALU_DEP_2)
	v_div_scale_f64 v[16:17], null, v[38:39], v[38:39], 1.0
	v_div_scale_f64 v[44:45], vcc_lo, 1.0, v[38:39], 1.0
	v_rcp_f64_e32 v[40:41], v[16:17]
	v_nop
	s_delay_alu instid0(TRANS32_DEP_1) | instskip(NEXT) | instid1(VALU_DEP_1)
	v_fma_f64 v[42:43], -v[16:17], v[40:41], 1.0
	v_fmac_f64_e32 v[40:41], v[40:41], v[42:43]
	s_delay_alu instid0(VALU_DEP_1) | instskip(NEXT) | instid1(VALU_DEP_1)
	v_fma_f64 v[42:43], -v[16:17], v[40:41], 1.0
	v_fmac_f64_e32 v[40:41], v[40:41], v[42:43]
	s_delay_alu instid0(VALU_DEP_1) | instskip(NEXT) | instid1(VALU_DEP_1)
	v_mul_f64_e32 v[42:43], v[44:45], v[40:41]
	v_fma_f64 v[16:17], -v[16:17], v[42:43], v[44:45]
	s_delay_alu instid0(VALU_DEP_1) | instskip(SKIP_1) | instid1(VALU_DEP_2)
	v_div_fmas_f64 v[16:17], v[16:17], v[40:41], v[42:43]
	v_fma_f64 v[40:41], s[8:9], v[14:15], s[10:11]
	v_div_fixup_f64 v[16:17], v[16:17], v[38:39], 1.0
	v_fma_f64 v[38:39], s[10:11], v[14:15], -s[8:9]
	s_delay_alu instid0(VALU_DEP_2) | instskip(NEXT) | instid1(VALU_DEP_2)
	v_mul_f64_e32 v[14:15], v[40:41], v[16:17]
	v_mul_f64_e32 v[16:17], v[38:39], v[16:17]
.LBB247_329:                            ;   in Loop: Header=BB247_217 Depth=1
	s_or_b32 exec_lo, exec_lo, s4
	v_xor_b32_e32 v39, 0x80000000, v13
	v_mov_b32_e32 v38, v12
                                        ; implicit-def: $vgpr40_vgpr41
	s_mov_b32 s4, exec_lo
	s_delay_alu instid0(VALU_DEP_2) | instskip(NEXT) | instid1(VALU_DEP_1)
	v_and_b32_e32 v44, 0x7fffffff, v39
	v_or_b32_e32 v23, v44, v12
	s_delay_alu instid0(VALU_DEP_1)
	v_cmpx_ne_u32_e32 0, v23
	s_xor_b32 s38, exec_lo, s4
	s_cbranch_execz .LBB247_371
; %bb.330:                              ;   in Loop: Header=BB247_217 Depth=1
	v_xor_b32_e32 v43, 0x80000000, v11
                                        ; implicit-def: $vgpr40_vgpr41
	s_mov_b32 s4, exec_lo
	v_mov_b32_e32 v42, v10
	s_delay_alu instid0(VALU_DEP_2) | instskip(NEXT) | instid1(VALU_DEP_1)
	v_and_b32_e32 v23, 0x7fffffff, v43
	v_or_b32_e32 v38, v23, v10
	s_delay_alu instid0(VALU_DEP_1)
	v_cmpx_ne_u32_e32 0, v38
	s_xor_b32 s39, exec_lo, s4
	s_cbranch_execz .LBB247_360
; %bb.331:                              ;   in Loop: Header=BB247_217 Depth=1
                                        ; implicit-def: $vgpr40_vgpr41
	s_mov_b32 s4, exec_lo
	v_cmpx_gt_u32_e32 0x7ff00000, v44
	s_xor_b32 s40, exec_lo, s4
	s_cbranch_execz .LBB247_353
; %bb.332:                              ;   in Loop: Header=BB247_217 Depth=1
	v_add_nc_u32_e32 v23, 0xbf79d1be, v43
                                        ; implicit-def: $vgpr40_vgpr41
	s_mov_b32 s4, exec_lo
	s_delay_alu instid0(VALU_DEP_1)
	v_cmpx_lt_u32_e32 0x108aa2, v23
	s_xor_b32 s41, exec_lo, s4
	s_cbranch_execz .LBB247_342
; %bb.333:                              ;   in Loop: Header=BB247_217 Depth=1
	v_cmp_ngt_f64_e64 s4, 0x41d00000, |v[12:13]|
                                        ; implicit-def: $vgpr38
                                        ; implicit-def: $vgpr40_vgpr41
                                        ; implicit-def: $vgpr42_vgpr43
	s_and_saveexec_b32 s5, s4
	s_delay_alu instid0(SALU_CYCLE_1)
	s_xor_b32 s5, exec_lo, s5
	s_cbranch_execz .LBB247_335
; %bb.334:                              ;   in Loop: Header=BB247_217 Depth=1
	v_ldexp_f64 v[40:41], |v[12:13]|, 0xffffff80
	v_cmp_le_f64_e64 vcc_lo, 0x7b000000, |v[12:13]|
	v_trig_preop_f64 v[42:43], |v[12:13]|, 0
	v_and_b32_e32 v23, 0x7fffffff, v13
	v_trig_preop_f64 v[44:45], |v[12:13]|, 1
	v_trig_preop_f64 v[54:55], |v[12:13]|, 2
	s_delay_alu instid0(VALU_DEP_3) | instskip(NEXT) | instid1(VALU_DEP_1)
	v_dual_cndmask_b32 v41, v23, v41 :: v_dual_cndmask_b32 v40, v12, v40
	v_mul_f64_e32 v[46:47], v[42:43], v[40:41]
	s_delay_alu instid0(VALU_DEP_4) | instskip(NEXT) | instid1(VALU_DEP_4)
	v_mul_f64_e32 v[48:49], v[44:45], v[40:41]
	v_mul_f64_e32 v[60:61], v[54:55], v[40:41]
	s_delay_alu instid0(VALU_DEP_3) | instskip(NEXT) | instid1(VALU_DEP_3)
	v_fma_f64 v[42:43], v[42:43], v[40:41], -v[46:47]
	v_fma_f64 v[44:45], v[44:45], v[40:41], -v[48:49]
	s_delay_alu instid0(VALU_DEP_3) | instskip(NEXT) | instid1(VALU_DEP_3)
	v_fma_f64 v[40:41], v[54:55], v[40:41], -v[60:61]
	v_add_f64_e32 v[50:51], v[48:49], v[42:43]
	s_delay_alu instid0(VALU_DEP_1) | instskip(SKIP_1) | instid1(VALU_DEP_2)
	v_add_f64_e64 v[52:53], v[50:51], -v[48:49]
	v_add_f64_e32 v[58:59], v[46:47], v[50:51]
	v_add_f64_e64 v[56:57], v[50:51], -v[52:53]
	v_add_f64_e64 v[42:43], v[42:43], -v[52:53]
	s_delay_alu instid0(VALU_DEP_3) | instskip(NEXT) | instid1(VALU_DEP_3)
	v_ldexp_f64 v[52:53], v[58:59], -2
	v_add_f64_e64 v[48:49], v[48:49], -v[56:57]
	v_add_f64_e32 v[56:57], v[60:61], v[44:45]
	s_delay_alu instid0(VALU_DEP_3) | instskip(NEXT) | instid1(VALU_DEP_3)
	v_cmp_neq_f64_e64 vcc_lo, 0x7ff00000, |v[52:53]|
	v_add_f64_e32 v[42:43], v[42:43], v[48:49]
	v_fract_f64_e32 v[48:49], v[52:53]
	s_delay_alu instid0(VALU_DEP_1) | instskip(NEXT) | instid1(VALU_DEP_1)
	v_ldexp_f64 v[48:49], v[48:49], 2
	v_dual_add_f64 v[46:47], v[58:59], -v[46:47] :: v_dual_cndmask_b32 v48, 0, v48, vcc_lo
	s_delay_alu instid0(VALU_DEP_1) | instskip(SKIP_1) | instid1(VALU_DEP_1)
	v_dual_add_f64 v[46:47], v[50:51], -v[46:47] :: v_dual_cndmask_b32 v49, 0, v49, vcc_lo
	v_add_f64_e32 v[50:51], v[56:57], v[42:43]
	v_add_f64_e32 v[52:53], v[46:47], v[50:51]
	v_add_f64_e64 v[62:63], v[50:51], -v[56:57]
	s_delay_alu instid0(VALU_DEP_2) | instskip(NEXT) | instid1(VALU_DEP_2)
	v_add_f64_e32 v[58:59], v[52:53], v[48:49]
	v_add_f64_e64 v[68:69], v[50:51], -v[62:63]
	v_add_f64_e64 v[42:43], v[42:43], -v[62:63]
	;; [unrolled: 1-line block ×3, first 2 shown]
	s_delay_alu instid0(VALU_DEP_4) | instskip(SKIP_1) | instid1(VALU_DEP_3)
	v_cmp_gt_f64_e32 vcc_lo, 0, v[58:59]
	v_add_f64_e64 v[58:59], v[56:57], -v[60:61]
	v_add_f64_e64 v[46:47], v[50:51], -v[46:47]
	v_cndmask_b32_e64 v23, 0, 0x40100000, vcc_lo
	s_delay_alu instid0(VALU_DEP_3) | instskip(SKIP_2) | instid1(VALU_DEP_4)
	v_add_f64_e64 v[66:67], v[56:57], -v[58:59]
	v_add_f64_e64 v[44:45], v[44:45], -v[58:59]
	;; [unrolled: 1-line block ×3, first 2 shown]
	v_add_f64_e32 v[48:49], v[48:49], v[22:23]
	s_delay_alu instid0(VALU_DEP_4) | instskip(NEXT) | instid1(VALU_DEP_3)
	v_add_f64_e64 v[58:59], v[60:61], -v[66:67]
	v_add_f64_e32 v[42:43], v[42:43], v[56:57]
	s_delay_alu instid0(VALU_DEP_3) | instskip(NEXT) | instid1(VALU_DEP_3)
	v_add_f64_e32 v[64:65], v[52:53], v[48:49]
	v_add_f64_e32 v[44:45], v[44:45], v[58:59]
	s_delay_alu instid0(VALU_DEP_2) | instskip(NEXT) | instid1(VALU_DEP_2)
	v_cvt_i32_f64_e32 v23, v[64:65]
	v_add_f64_e32 v[42:43], v[44:45], v[42:43]
	s_delay_alu instid0(VALU_DEP_2) | instskip(NEXT) | instid1(VALU_DEP_2)
	v_cvt_f64_i32_e32 v[62:63], v23
	v_add_f64_e32 v[40:41], v[40:41], v[42:43]
	s_delay_alu instid0(VALU_DEP_2) | instskip(NEXT) | instid1(VALU_DEP_2)
	v_add_f64_e64 v[48:49], v[48:49], -v[62:63]
	v_add_f64_e32 v[40:41], v[46:47], v[40:41]
	s_delay_alu instid0(VALU_DEP_2) | instskip(NEXT) | instid1(VALU_DEP_1)
	v_add_f64_e32 v[44:45], v[52:53], v[48:49]
	v_add_f64_e64 v[42:43], v[44:45], -v[48:49]
	v_cmp_le_f64_e32 vcc_lo, 0.5, v[44:45]
	s_delay_alu instid0(VALU_DEP_2) | instskip(SKIP_2) | instid1(VALU_DEP_3)
	v_add_f64_e64 v[42:43], v[52:53], -v[42:43]
	v_add_co_ci_u32_e64 v38, null, 0, v23, vcc_lo
	v_cndmask_b32_e64 v23, 0, 0x3ff00000, vcc_lo
	v_add_f64_e32 v[40:41], v[40:41], v[42:43]
	s_delay_alu instid0(VALU_DEP_2) | instskip(NEXT) | instid1(VALU_DEP_1)
	v_add_f64_e64 v[42:43], v[44:45], -v[22:23]
	v_add_f64_e32 v[44:45], v[42:43], v[40:41]
	s_delay_alu instid0(VALU_DEP_1) | instskip(SKIP_1) | instid1(VALU_DEP_2)
	v_mul_f64_e32 v[46:47], 0x3ff921fb54442d18, v[44:45]
	v_add_f64_e64 v[42:43], v[44:45], -v[42:43]
	v_fma_f64 v[48:49], v[44:45], s[18:19], -v[46:47]
	s_delay_alu instid0(VALU_DEP_2) | instskip(NEXT) | instid1(VALU_DEP_2)
	v_add_f64_e64 v[40:41], v[40:41], -v[42:43]
	v_fmac_f64_e32 v[48:49], 0x3c91a62633145c07, v[44:45]
	s_delay_alu instid0(VALU_DEP_1) | instskip(NEXT) | instid1(VALU_DEP_1)
	v_fmac_f64_e32 v[48:49], 0x3ff921fb54442d18, v[40:41]
	v_add_f64_e32 v[40:41], v[46:47], v[48:49]
	s_delay_alu instid0(VALU_DEP_1) | instskip(NEXT) | instid1(VALU_DEP_1)
	v_add_f64_e64 v[42:43], v[40:41], -v[46:47]
	v_add_f64_e64 v[42:43], v[48:49], -v[42:43]
	s_and_not1_saveexec_b32 s5, s5
	s_cbranch_execz .LBB247_337
	s_branch .LBB247_336
.LBB247_335:                            ;   in Loop: Header=BB247_217 Depth=1
	s_and_not1_saveexec_b32 s5, s5
	s_cbranch_execz .LBB247_337
.LBB247_336:                            ;   in Loop: Header=BB247_217 Depth=1
	v_mul_f64_e64 v[40:41], |v[12:13]|, s[20:21]
	s_delay_alu instid0(VALU_DEP_1) | instskip(NEXT) | instid1(VALU_DEP_1)
	v_rndne_f64_e32 v[44:45], v[40:41]
	v_fma_f64 v[40:41], v[44:45], s[22:23], |v[12:13]|
	v_mul_f64_e32 v[42:43], 0xbc91a62633145c00, v[44:45]
	v_cvt_i32_f64_e32 v38, v[44:45]
	s_delay_alu instid0(VALU_DEP_3) | instskip(NEXT) | instid1(VALU_DEP_3)
	v_fmamk_f64 v[50:51], v[44:45], 0xbc91a62633145c00, v[40:41]
	v_add_f64_e32 v[46:47], v[40:41], v[42:43]
	s_delay_alu instid0(VALU_DEP_1) | instskip(NEXT) | instid1(VALU_DEP_3)
	v_add_f64_e64 v[48:49], v[40:41], -v[46:47]
	v_add_f64_e64 v[40:41], v[46:47], -v[50:51]
	s_delay_alu instid0(VALU_DEP_2) | instskip(SKIP_1) | instid1(VALU_DEP_2)
	v_add_f64_e32 v[46:47], v[48:49], v[42:43]
	v_fmamk_f64 v[42:43], v[44:45], 0x3c91a62633145c00, v[42:43]
	v_add_f64_e32 v[40:41], v[40:41], v[46:47]
	s_delay_alu instid0(VALU_DEP_1) | instskip(NEXT) | instid1(VALU_DEP_1)
	v_add_f64_e64 v[42:43], v[40:41], -v[42:43]
	v_fmac_f64_e32 v[42:43], 0xb97b839a252049c0, v[44:45]
	s_delay_alu instid0(VALU_DEP_1) | instskip(NEXT) | instid1(VALU_DEP_1)
	v_add_f64_e32 v[40:41], v[50:51], v[42:43]
	v_add_f64_e64 v[46:47], v[40:41], -v[50:51]
	s_delay_alu instid0(VALU_DEP_1)
	v_add_f64_e64 v[42:43], v[42:43], -v[46:47]
.LBB247_337:                            ;   in Loop: Header=BB247_217 Depth=1
	s_or_b32 exec_lo, exec_lo, s5
                                        ; implicit-def: $vgpr48
                                        ; implicit-def: $vgpr44_vgpr45
                                        ; implicit-def: $vgpr46_vgpr47
	s_and_saveexec_b32 s5, s4
	s_delay_alu instid0(SALU_CYCLE_1)
	s_xor_b32 s4, exec_lo, s5
	s_cbranch_execz .LBB247_339
; %bb.338:                              ;   in Loop: Header=BB247_217 Depth=1
	v_ldexp_f64 v[44:45], |v[12:13]|, 0xffffff80
	v_cmp_le_f64_e64 vcc_lo, 0x7b000000, |v[12:13]|
	v_trig_preop_f64 v[46:47], |v[12:13]|, 0
	v_and_b32_e32 v23, 0x7fffffff, v13
	v_trig_preop_f64 v[48:49], |v[12:13]|, 1
	v_trig_preop_f64 v[58:59], |v[12:13]|, 2
	s_delay_alu instid0(VALU_DEP_3) | instskip(NEXT) | instid1(VALU_DEP_1)
	v_dual_cndmask_b32 v45, v23, v45 :: v_dual_cndmask_b32 v44, v12, v44
	v_mul_f64_e32 v[50:51], v[46:47], v[44:45]
	s_delay_alu instid0(VALU_DEP_4) | instskip(NEXT) | instid1(VALU_DEP_4)
	v_mul_f64_e32 v[52:53], v[48:49], v[44:45]
	v_mul_f64_e32 v[64:65], v[58:59], v[44:45]
	s_delay_alu instid0(VALU_DEP_3) | instskip(NEXT) | instid1(VALU_DEP_3)
	v_fma_f64 v[46:47], v[46:47], v[44:45], -v[50:51]
	v_fma_f64 v[48:49], v[48:49], v[44:45], -v[52:53]
	s_delay_alu instid0(VALU_DEP_3) | instskip(NEXT) | instid1(VALU_DEP_3)
	v_fma_f64 v[44:45], v[58:59], v[44:45], -v[64:65]
	v_add_f64_e32 v[54:55], v[52:53], v[46:47]
	s_delay_alu instid0(VALU_DEP_1) | instskip(SKIP_1) | instid1(VALU_DEP_2)
	v_add_f64_e64 v[56:57], v[54:55], -v[52:53]
	v_add_f64_e32 v[62:63], v[50:51], v[54:55]
	v_add_f64_e64 v[60:61], v[54:55], -v[56:57]
	v_add_f64_e64 v[46:47], v[46:47], -v[56:57]
	s_delay_alu instid0(VALU_DEP_3) | instskip(NEXT) | instid1(VALU_DEP_3)
	v_ldexp_f64 v[56:57], v[62:63], -2
	v_add_f64_e64 v[52:53], v[52:53], -v[60:61]
	v_add_f64_e32 v[60:61], v[64:65], v[48:49]
	s_delay_alu instid0(VALU_DEP_3) | instskip(NEXT) | instid1(VALU_DEP_3)
	v_cmp_neq_f64_e64 vcc_lo, 0x7ff00000, |v[56:57]|
	v_add_f64_e32 v[46:47], v[46:47], v[52:53]
	v_fract_f64_e32 v[52:53], v[56:57]
	s_delay_alu instid0(VALU_DEP_1) | instskip(NEXT) | instid1(VALU_DEP_1)
	v_ldexp_f64 v[52:53], v[52:53], 2
	v_dual_add_f64 v[50:51], v[62:63], -v[50:51] :: v_dual_cndmask_b32 v52, 0, v52, vcc_lo
	s_delay_alu instid0(VALU_DEP_1) | instskip(SKIP_1) | instid1(VALU_DEP_1)
	v_dual_add_f64 v[50:51], v[54:55], -v[50:51] :: v_dual_cndmask_b32 v53, 0, v53, vcc_lo
	v_add_f64_e32 v[54:55], v[60:61], v[46:47]
	v_add_f64_e32 v[56:57], v[50:51], v[54:55]
	v_add_f64_e64 v[66:67], v[54:55], -v[60:61]
	s_delay_alu instid0(VALU_DEP_2) | instskip(NEXT) | instid1(VALU_DEP_2)
	v_add_f64_e32 v[62:63], v[56:57], v[52:53]
	v_add_f64_e64 v[72:73], v[54:55], -v[66:67]
	v_add_f64_e64 v[46:47], v[46:47], -v[66:67]
	;; [unrolled: 1-line block ×3, first 2 shown]
	s_delay_alu instid0(VALU_DEP_4) | instskip(SKIP_2) | instid1(VALU_DEP_2)
	v_cmp_gt_f64_e32 vcc_lo, 0, v[62:63]
	v_add_f64_e64 v[62:63], v[60:61], -v[64:65]
	v_cndmask_b32_e64 v23, 0, 0x40100000, vcc_lo
	v_add_f64_e64 v[70:71], v[60:61], -v[62:63]
	v_add_f64_e64 v[48:49], v[48:49], -v[62:63]
	;; [unrolled: 1-line block ×3, first 2 shown]
	s_delay_alu instid0(VALU_DEP_4) | instskip(NEXT) | instid1(VALU_DEP_4)
	v_add_f64_e32 v[52:53], v[52:53], v[22:23]
	v_add_f64_e64 v[62:63], v[64:65], -v[70:71]
	s_delay_alu instid0(VALU_DEP_3) | instskip(NEXT) | instid1(VALU_DEP_3)
	v_add_f64_e32 v[46:47], v[46:47], v[60:61]
	v_add_f64_e32 v[68:69], v[56:57], v[52:53]
	s_delay_alu instid0(VALU_DEP_3) | instskip(NEXT) | instid1(VALU_DEP_2)
	v_add_f64_e32 v[48:49], v[48:49], v[62:63]
	v_cvt_i32_f64_e32 v23, v[68:69]
	s_delay_alu instid0(VALU_DEP_2) | instskip(SKIP_1) | instid1(VALU_DEP_3)
	v_add_f64_e32 v[46:47], v[48:49], v[46:47]
	v_add_f64_e64 v[48:49], v[54:55], -v[50:51]
	v_cvt_f64_i32_e32 v[66:67], v23
	s_delay_alu instid0(VALU_DEP_3) | instskip(NEXT) | instid1(VALU_DEP_2)
	v_add_f64_e32 v[44:45], v[44:45], v[46:47]
	v_add_f64_e64 v[52:53], v[52:53], -v[66:67]
	s_delay_alu instid0(VALU_DEP_2) | instskip(NEXT) | instid1(VALU_DEP_2)
	v_add_f64_e32 v[44:45], v[48:49], v[44:45]
	v_add_f64_e32 v[58:59], v[56:57], v[52:53]
	s_delay_alu instid0(VALU_DEP_1) | instskip(SKIP_1) | instid1(VALU_DEP_2)
	v_add_f64_e64 v[46:47], v[58:59], -v[52:53]
	v_cmp_le_f64_e32 vcc_lo, 0.5, v[58:59]
	v_add_f64_e64 v[46:47], v[56:57], -v[46:47]
	v_add_co_ci_u32_e64 v48, null, 0, v23, vcc_lo
	v_cndmask_b32_e64 v23, 0, 0x3ff00000, vcc_lo
	s_delay_alu instid0(VALU_DEP_3) | instskip(NEXT) | instid1(VALU_DEP_2)
	v_add_f64_e32 v[44:45], v[44:45], v[46:47]
	v_add_f64_e64 v[46:47], v[58:59], -v[22:23]
	s_delay_alu instid0(VALU_DEP_1) | instskip(NEXT) | instid1(VALU_DEP_1)
	v_add_f64_e32 v[50:51], v[46:47], v[44:45]
	v_mul_f64_e32 v[52:53], 0x3ff921fb54442d18, v[50:51]
	v_add_f64_e64 v[46:47], v[50:51], -v[46:47]
	s_delay_alu instid0(VALU_DEP_2) | instskip(NEXT) | instid1(VALU_DEP_2)
	v_fma_f64 v[54:55], v[50:51], s[18:19], -v[52:53]
	v_add_f64_e64 v[44:45], v[44:45], -v[46:47]
	s_delay_alu instid0(VALU_DEP_2) | instskip(NEXT) | instid1(VALU_DEP_1)
	v_fmac_f64_e32 v[54:55], 0x3c91a62633145c07, v[50:51]
	v_fmac_f64_e32 v[54:55], 0x3ff921fb54442d18, v[44:45]
	s_delay_alu instid0(VALU_DEP_1) | instskip(NEXT) | instid1(VALU_DEP_1)
	v_add_f64_e32 v[44:45], v[52:53], v[54:55]
	v_add_f64_e64 v[46:47], v[44:45], -v[52:53]
	s_delay_alu instid0(VALU_DEP_1)
	v_add_f64_e64 v[46:47], v[54:55], -v[46:47]
	s_and_not1_saveexec_b32 s4, s4
	s_cbranch_execnz .LBB247_340
	s_branch .LBB247_341
.LBB247_339:                            ;   in Loop: Header=BB247_217 Depth=1
	s_and_not1_saveexec_b32 s4, s4
	s_cbranch_execz .LBB247_341
.LBB247_340:                            ;   in Loop: Header=BB247_217 Depth=1
	v_mul_f64_e64 v[44:45], |v[12:13]|, s[20:21]
	s_delay_alu instid0(VALU_DEP_1) | instskip(NEXT) | instid1(VALU_DEP_1)
	v_rndne_f64_e32 v[48:49], v[44:45]
	v_fma_f64 v[44:45], v[48:49], s[22:23], |v[12:13]|
	v_mul_f64_e32 v[46:47], 0xbc91a62633145c00, v[48:49]
	s_delay_alu instid0(VALU_DEP_2) | instskip(NEXT) | instid1(VALU_DEP_2)
	v_fmamk_f64 v[54:55], v[48:49], 0xbc91a62633145c00, v[44:45]
	v_add_f64_e32 v[50:51], v[44:45], v[46:47]
	s_delay_alu instid0(VALU_DEP_1) | instskip(NEXT) | instid1(VALU_DEP_3)
	v_add_f64_e64 v[52:53], v[44:45], -v[50:51]
	v_add_f64_e64 v[44:45], v[50:51], -v[54:55]
	s_delay_alu instid0(VALU_DEP_2) | instskip(SKIP_1) | instid1(VALU_DEP_2)
	v_add_f64_e32 v[50:51], v[52:53], v[46:47]
	v_fmamk_f64 v[46:47], v[48:49], 0x3c91a62633145c00, v[46:47]
	v_add_f64_e32 v[44:45], v[44:45], v[50:51]
	s_delay_alu instid0(VALU_DEP_1) | instskip(NEXT) | instid1(VALU_DEP_1)
	v_add_f64_e64 v[46:47], v[44:45], -v[46:47]
	v_fmac_f64_e32 v[46:47], 0xb97b839a252049c0, v[48:49]
	v_cvt_i32_f64_e32 v48, v[48:49]
	s_delay_alu instid0(VALU_DEP_2) | instskip(NEXT) | instid1(VALU_DEP_1)
	v_add_f64_e32 v[44:45], v[54:55], v[46:47]
	v_add_f64_e64 v[50:51], v[44:45], -v[54:55]
	s_delay_alu instid0(VALU_DEP_1)
	v_add_f64_e64 v[46:47], v[46:47], -v[50:51]
.LBB247_341:                            ;   in Loop: Header=BB247_217 Depth=1
	s_or_b32 exec_lo, exec_lo, s4
	v_mul_f64_e32 v[50:51], 0xbff71547652b82fe, v[10:11]
	v_mul_f64_e32 v[52:53], v[40:41], v[40:41]
	s_delay_alu instid0(VALU_DEP_3)
	v_mul_f64_e32 v[66:67], 0.5, v[42:43]
	v_cmp_class_f64_e64 s4, v[12:13], 0x1f8
	v_lshlrev_b32_e32 v12, 30, v48
	v_mul_f64_e32 v[54:55], v[44:45], v[44:45]
	v_cmp_ngt_f64_e64 s5, 0xc0900000, v[10:11]
	v_cmp_nlt_f64_e64 s6, 0x4090cc00, v[10:11]
	v_rndne_f64_e32 v[50:51], v[50:51]
	v_mul_f64_e32 v[56:57], 0.5, v[52:53]
	s_delay_alu instid0(VALU_DEP_2) | instskip(NEXT) | instid1(VALU_DEP_2)
	v_fma_f64 v[58:59], v[50:51], s[24:25], -v[10:11]
	v_add_f64_e64 v[62:63], -v[56:57], 1.0
	v_cvt_i32_f64_e32 v23, v[50:51]
	v_and_b32_e32 v10, 1, v48
	s_delay_alu instid0(VALU_DEP_1) | instskip(SKIP_3) | instid1(VALU_DEP_2)
	v_cmp_eq_u32_e64 s7, 0, v10
	v_mul_f64_e32 v[76:77], 0.5, v[46:47]
	v_fmac_f64_e32 v[58:59], 0xbc7abc9e3b39803f, v[50:51]
	v_add_f64_e64 v[70:71], -v[62:63], 1.0
	v_fmamk_f64 v[74:75], v[58:59], 0x3e5ade156a5dcb37, v[24:25]
	s_delay_alu instid0(VALU_DEP_2) | instskip(NEXT) | instid1(VALU_DEP_2)
	v_add_f64_e64 v[56:57], v[70:71], -v[56:57]
	v_fmaak_f64 v[74:75], v[58:59], v[74:75], 0x3ec71dee623fde64
	s_delay_alu instid0(VALU_DEP_1) | instskip(NEXT) | instid1(VALU_DEP_1)
	v_fmaak_f64 v[74:75], v[58:59], v[74:75], 0x3efa01997c89e6b0
	v_fmaak_f64 v[74:75], v[58:59], v[74:75], 0x3f2a01a014761f6e
	s_delay_alu instid0(VALU_DEP_1) | instskip(NEXT) | instid1(VALU_DEP_1)
	v_fmaak_f64 v[70:71], v[58:59], v[74:75], 0x3f56c16c1852b7b0
	;; [unrolled: 3-line block ×4, first 2 shown]
	v_fma_f64 v[70:71], v[58:59], v[70:71], 1.0
	s_delay_alu instid0(VALU_DEP_1) | instskip(NEXT) | instid1(VALU_DEP_1)
	v_fma_f64 v[50:51], v[58:59], v[70:71], 1.0
	v_ldexp_f64 v[50:51], v[50:51], v23
	v_and_b32_e32 v23, 1, v38
	v_fmamk_f64 v[72:73], v[52:53], 0x3de5e0b2f9a43bb8, v[28:29]
	v_lshlrev_b32_e32 v38, 30, v38
	v_mul_f64_e32 v[60:61], 0.5, v[54:55]
	v_mul_f64_e64 v[78:79], v[44:45], -v[54:55]
	v_cmp_eq_u32_e32 vcc_lo, 0, v23
	v_mul_f64_e64 v[68:69], v[40:41], -v[52:53]
	v_fmamk_f64 v[82:83], v[54:55], 0x3de5e0b2f9a43bb8, v[28:29]
	v_fmaak_f64 v[72:73], v[52:53], v[72:73], 0x3ec71de3796cde01
	v_mul_f64_e32 v[74:75], v[52:53], v[52:53]
	s_delay_alu instid0(VALU_DEP_2) | instskip(NEXT) | instid1(VALU_DEP_1)
	v_fmaak_f64 v[72:73], v[52:53], v[72:73], 0xbf2a01a019e83e5c
	v_fmaak_f64 v[72:73], v[52:53], v[72:73], 0x3f81111111110bb3
	v_cndmask_b32_e64 v13, 0x7ff00000, v51, s5
	v_add_f64_e64 v[64:65], -v[60:61], 1.0
	s_delay_alu instid0(VALU_DEP_3) | instskip(SKIP_1) | instid1(VALU_DEP_1)
	v_fmac_f64_e32 v[66:67], v[68:69], v[72:73]
	v_fmaak_f64 v[72:73], v[54:55], v[82:83], 0x3ec71de3796cde01
	v_fmaak_f64 v[72:73], v[54:55], v[72:73], 0xbf2a01a019e83e5c
	s_delay_alu instid0(VALU_DEP_1) | instskip(NEXT) | instid1(VALU_DEP_1)
	v_fmaak_f64 v[72:73], v[54:55], v[72:73], 0x3f81111111110bb3
	v_fmac_f64_e32 v[76:77], v[78:79], v[72:73]
	v_fmamk_f64 v[72:73], v[52:53], 0xbda907db46cc5e42, v[26:27]
	v_add_f64_e64 v[80:81], -v[64:65], 1.0
	v_fma_f64 v[66:67], v[52:53], v[66:67], -v[42:43]
	v_fma_f64 v[42:43], v[40:41], -v[42:43], v[56:57]
	s_delay_alu instid0(VALU_DEP_4) | instskip(SKIP_1) | instid1(VALU_DEP_2)
	v_fmaak_f64 v[56:57], v[52:53], v[72:73], 0xbe927e4fa17f65f6
	v_mul_f64_e32 v[72:73], v[54:55], v[54:55]
	v_fmaak_f64 v[56:57], v[52:53], v[56:57], 0x3efa01a019f4ec90
	s_delay_alu instid0(VALU_DEP_1) | instskip(NEXT) | instid1(VALU_DEP_1)
	v_fmaak_f64 v[56:57], v[52:53], v[56:57], 0xbf56c16c16c16967
	v_fmaak_f64 v[52:53], v[52:53], v[56:57], 0x3fa5555555555555
	v_fma_f64 v[56:57], v[54:55], v[76:77], -v[46:47]
	v_fmac_f64_e32 v[66:67], 0xbfc5555555555555, v[68:69]
	s_delay_alu instid0(VALU_DEP_3) | instskip(NEXT) | instid1(VALU_DEP_3)
	v_fmac_f64_e32 v[42:43], v[74:75], v[52:53]
	v_fmac_f64_e32 v[56:57], 0xbfc5555555555555, v[78:79]
	s_delay_alu instid0(VALU_DEP_3) | instskip(NEXT) | instid1(VALU_DEP_3)
	v_add_f64_e64 v[40:41], v[40:41], -v[66:67]
	v_add_f64_e32 v[42:43], v[62:63], v[42:43]
	s_delay_alu instid0(VALU_DEP_2) | instskip(NEXT) | instid1(VALU_DEP_2)
	v_xor_b32_e32 v11, 0x80000000, v41
	v_cndmask_b32_e32 v23, v40, v42, vcc_lo
	v_add_f64_e64 v[60:61], v[80:81], -v[60:61]
	v_fmamk_f64 v[80:81], v[54:55], 0xbda907db46cc5e42, v[26:27]
	s_delay_alu instid0(VALU_DEP_4) | instskip(SKIP_2) | instid1(VALU_DEP_2)
	v_cndmask_b32_e32 v10, v11, v43, vcc_lo
	v_xor_b32_e32 v11, v12, v39
	s_and_b32 vcc_lo, s6, s5
	v_bitop3_b32 v38, v10, v38, 0x80000000 bitop3:0x78
	v_cndmask_b32_e64 v10, 0, v23, s4
	v_fma_f64 v[46:47], v[44:45], -v[46:47], v[60:61]
	v_fmaak_f64 v[60:61], v[54:55], v[80:81], 0xbe927e4fa17f65f6
	v_add_f64_e64 v[44:45], v[44:45], -v[56:57]
	s_delay_alu instid0(VALU_DEP_2) | instskip(NEXT) | instid1(VALU_DEP_1)
	v_fmaak_f64 v[52:53], v[54:55], v[60:61], 0x3efa01a019f4ec90
	v_fmaak_f64 v[52:53], v[54:55], v[52:53], 0xbf56c16c16c16967
	s_delay_alu instid0(VALU_DEP_1) | instskip(NEXT) | instid1(VALU_DEP_1)
	v_fmaak_f64 v[52:53], v[54:55], v[52:53], 0x3fa5555555555555
	v_fmac_f64_e32 v[46:47], v[72:73], v[52:53]
	s_delay_alu instid0(VALU_DEP_1) | instskip(NEXT) | instid1(VALU_DEP_1)
	v_add_f64_e32 v[46:47], v[64:65], v[46:47]
	v_dual_cndmask_b32 v39, v47, v45, s7 :: v_dual_cndmask_b32 v12, v46, v44, s7
	s_delay_alu instid0(VALU_DEP_1) | instskip(SKIP_1) | instid1(VALU_DEP_3)
	v_bitop3_b32 v23, v39, v11, 0x80000000 bitop3:0x78
	v_cndmask_b32_e64 v11, 0x7ff80000, v38, s4
	v_dual_cndmask_b32 v12, 0, v12, s4 :: v_dual_cndmask_b32 v39, 0, v13, s6
	v_cndmask_b32_e32 v38, 0, v50, vcc_lo
	s_delay_alu instid0(VALU_DEP_4) | instskip(NEXT) | instid1(VALU_DEP_2)
	v_cndmask_b32_e64 v13, 0x7ff80000, v23, s4
	v_mul_f64_e32 v[40:41], v[38:39], v[10:11]
	s_delay_alu instid0(VALU_DEP_2)
	v_mul_f64_e32 v[38:39], v[38:39], v[12:13]
                                        ; implicit-def: $vgpr12_vgpr13
.LBB247_342:                            ;   in Loop: Header=BB247_217 Depth=1
	s_and_not1_saveexec_b32 s41, s41
	s_cbranch_execz .LBB247_352
; %bb.343:                              ;   in Loop: Header=BB247_217 Depth=1
	v_cmp_ngt_f64_e64 s4, 0x41d00000, |v[12:13]|
                                        ; implicit-def: $vgpr38
                                        ; implicit-def: $vgpr40_vgpr41
                                        ; implicit-def: $vgpr42_vgpr43
	s_and_saveexec_b32 s5, s4
	s_delay_alu instid0(SALU_CYCLE_1)
	s_xor_b32 s5, exec_lo, s5
	s_cbranch_execz .LBB247_345
; %bb.344:                              ;   in Loop: Header=BB247_217 Depth=1
	v_ldexp_f64 v[40:41], |v[12:13]|, 0xffffff80
	v_cmp_le_f64_e64 vcc_lo, 0x7b000000, |v[12:13]|
	v_trig_preop_f64 v[42:43], |v[12:13]|, 0
	v_and_b32_e32 v23, 0x7fffffff, v13
	v_trig_preop_f64 v[44:45], |v[12:13]|, 1
	v_trig_preop_f64 v[54:55], |v[12:13]|, 2
	s_delay_alu instid0(VALU_DEP_3) | instskip(NEXT) | instid1(VALU_DEP_1)
	v_dual_cndmask_b32 v41, v23, v41 :: v_dual_cndmask_b32 v40, v12, v40
	v_mul_f64_e32 v[46:47], v[42:43], v[40:41]
	s_delay_alu instid0(VALU_DEP_4) | instskip(NEXT) | instid1(VALU_DEP_4)
	v_mul_f64_e32 v[48:49], v[44:45], v[40:41]
	v_mul_f64_e32 v[60:61], v[54:55], v[40:41]
	s_delay_alu instid0(VALU_DEP_3) | instskip(NEXT) | instid1(VALU_DEP_3)
	v_fma_f64 v[42:43], v[42:43], v[40:41], -v[46:47]
	v_fma_f64 v[44:45], v[44:45], v[40:41], -v[48:49]
	s_delay_alu instid0(VALU_DEP_3) | instskip(NEXT) | instid1(VALU_DEP_3)
	v_fma_f64 v[40:41], v[54:55], v[40:41], -v[60:61]
	v_add_f64_e32 v[50:51], v[48:49], v[42:43]
	s_delay_alu instid0(VALU_DEP_1) | instskip(SKIP_1) | instid1(VALU_DEP_2)
	v_add_f64_e64 v[52:53], v[50:51], -v[48:49]
	v_add_f64_e32 v[58:59], v[46:47], v[50:51]
	v_add_f64_e64 v[56:57], v[50:51], -v[52:53]
	v_add_f64_e64 v[42:43], v[42:43], -v[52:53]
	s_delay_alu instid0(VALU_DEP_3) | instskip(NEXT) | instid1(VALU_DEP_3)
	v_ldexp_f64 v[52:53], v[58:59], -2
	v_add_f64_e64 v[48:49], v[48:49], -v[56:57]
	v_add_f64_e32 v[56:57], v[60:61], v[44:45]
	s_delay_alu instid0(VALU_DEP_3) | instskip(NEXT) | instid1(VALU_DEP_3)
	v_cmp_neq_f64_e64 vcc_lo, 0x7ff00000, |v[52:53]|
	v_add_f64_e32 v[42:43], v[42:43], v[48:49]
	v_fract_f64_e32 v[48:49], v[52:53]
	s_delay_alu instid0(VALU_DEP_1) | instskip(NEXT) | instid1(VALU_DEP_1)
	v_ldexp_f64 v[48:49], v[48:49], 2
	v_dual_add_f64 v[46:47], v[58:59], -v[46:47] :: v_dual_cndmask_b32 v48, 0, v48, vcc_lo
	s_delay_alu instid0(VALU_DEP_1) | instskip(SKIP_1) | instid1(VALU_DEP_1)
	v_dual_add_f64 v[46:47], v[50:51], -v[46:47] :: v_dual_cndmask_b32 v49, 0, v49, vcc_lo
	v_add_f64_e32 v[50:51], v[56:57], v[42:43]
	v_add_f64_e32 v[52:53], v[46:47], v[50:51]
	v_add_f64_e64 v[62:63], v[50:51], -v[56:57]
	s_delay_alu instid0(VALU_DEP_2) | instskip(NEXT) | instid1(VALU_DEP_2)
	v_add_f64_e32 v[58:59], v[52:53], v[48:49]
	v_add_f64_e64 v[68:69], v[50:51], -v[62:63]
	v_add_f64_e64 v[42:43], v[42:43], -v[62:63]
	;; [unrolled: 1-line block ×3, first 2 shown]
	s_delay_alu instid0(VALU_DEP_4) | instskip(SKIP_1) | instid1(VALU_DEP_3)
	v_cmp_gt_f64_e32 vcc_lo, 0, v[58:59]
	v_add_f64_e64 v[58:59], v[56:57], -v[60:61]
	v_add_f64_e64 v[46:47], v[50:51], -v[46:47]
	v_cndmask_b32_e64 v23, 0, 0x40100000, vcc_lo
	s_delay_alu instid0(VALU_DEP_3) | instskip(SKIP_2) | instid1(VALU_DEP_4)
	v_add_f64_e64 v[66:67], v[56:57], -v[58:59]
	v_add_f64_e64 v[44:45], v[44:45], -v[58:59]
	;; [unrolled: 1-line block ×3, first 2 shown]
	v_add_f64_e32 v[48:49], v[48:49], v[22:23]
	s_delay_alu instid0(VALU_DEP_4) | instskip(NEXT) | instid1(VALU_DEP_3)
	v_add_f64_e64 v[58:59], v[60:61], -v[66:67]
	v_add_f64_e32 v[42:43], v[42:43], v[56:57]
	s_delay_alu instid0(VALU_DEP_3) | instskip(NEXT) | instid1(VALU_DEP_3)
	v_add_f64_e32 v[64:65], v[52:53], v[48:49]
	v_add_f64_e32 v[44:45], v[44:45], v[58:59]
	s_delay_alu instid0(VALU_DEP_2) | instskip(NEXT) | instid1(VALU_DEP_2)
	v_cvt_i32_f64_e32 v23, v[64:65]
	v_add_f64_e32 v[42:43], v[44:45], v[42:43]
	s_delay_alu instid0(VALU_DEP_2) | instskip(NEXT) | instid1(VALU_DEP_2)
	v_cvt_f64_i32_e32 v[62:63], v23
	v_add_f64_e32 v[40:41], v[40:41], v[42:43]
	s_delay_alu instid0(VALU_DEP_2) | instskip(NEXT) | instid1(VALU_DEP_2)
	v_add_f64_e64 v[48:49], v[48:49], -v[62:63]
	v_add_f64_e32 v[40:41], v[46:47], v[40:41]
	s_delay_alu instid0(VALU_DEP_2) | instskip(NEXT) | instid1(VALU_DEP_1)
	v_add_f64_e32 v[44:45], v[52:53], v[48:49]
	v_add_f64_e64 v[42:43], v[44:45], -v[48:49]
	v_cmp_le_f64_e32 vcc_lo, 0.5, v[44:45]
	s_delay_alu instid0(VALU_DEP_2) | instskip(SKIP_2) | instid1(VALU_DEP_3)
	v_add_f64_e64 v[42:43], v[52:53], -v[42:43]
	v_add_co_ci_u32_e64 v38, null, 0, v23, vcc_lo
	v_cndmask_b32_e64 v23, 0, 0x3ff00000, vcc_lo
	v_add_f64_e32 v[40:41], v[40:41], v[42:43]
	s_delay_alu instid0(VALU_DEP_2) | instskip(NEXT) | instid1(VALU_DEP_1)
	v_add_f64_e64 v[42:43], v[44:45], -v[22:23]
	v_add_f64_e32 v[44:45], v[42:43], v[40:41]
	s_delay_alu instid0(VALU_DEP_1) | instskip(SKIP_1) | instid1(VALU_DEP_2)
	v_mul_f64_e32 v[46:47], 0x3ff921fb54442d18, v[44:45]
	v_add_f64_e64 v[42:43], v[44:45], -v[42:43]
	v_fma_f64 v[48:49], v[44:45], s[18:19], -v[46:47]
	s_delay_alu instid0(VALU_DEP_2) | instskip(NEXT) | instid1(VALU_DEP_2)
	v_add_f64_e64 v[40:41], v[40:41], -v[42:43]
	v_fmac_f64_e32 v[48:49], 0x3c91a62633145c07, v[44:45]
	s_delay_alu instid0(VALU_DEP_1) | instskip(NEXT) | instid1(VALU_DEP_1)
	v_fmac_f64_e32 v[48:49], 0x3ff921fb54442d18, v[40:41]
	v_add_f64_e32 v[40:41], v[46:47], v[48:49]
	s_delay_alu instid0(VALU_DEP_1) | instskip(NEXT) | instid1(VALU_DEP_1)
	v_add_f64_e64 v[42:43], v[40:41], -v[46:47]
	v_add_f64_e64 v[42:43], v[48:49], -v[42:43]
	s_and_not1_saveexec_b32 s5, s5
	s_cbranch_execz .LBB247_347
	s_branch .LBB247_346
.LBB247_345:                            ;   in Loop: Header=BB247_217 Depth=1
	s_and_not1_saveexec_b32 s5, s5
	s_cbranch_execz .LBB247_347
.LBB247_346:                            ;   in Loop: Header=BB247_217 Depth=1
	v_mul_f64_e64 v[40:41], |v[12:13]|, s[20:21]
	s_delay_alu instid0(VALU_DEP_1) | instskip(NEXT) | instid1(VALU_DEP_1)
	v_rndne_f64_e32 v[44:45], v[40:41]
	v_fma_f64 v[40:41], v[44:45], s[22:23], |v[12:13]|
	v_mul_f64_e32 v[42:43], 0xbc91a62633145c00, v[44:45]
	v_cvt_i32_f64_e32 v38, v[44:45]
	s_delay_alu instid0(VALU_DEP_3) | instskip(NEXT) | instid1(VALU_DEP_3)
	v_fmamk_f64 v[50:51], v[44:45], 0xbc91a62633145c00, v[40:41]
	v_add_f64_e32 v[46:47], v[40:41], v[42:43]
	s_delay_alu instid0(VALU_DEP_1) | instskip(NEXT) | instid1(VALU_DEP_3)
	v_add_f64_e64 v[48:49], v[40:41], -v[46:47]
	v_add_f64_e64 v[40:41], v[46:47], -v[50:51]
	s_delay_alu instid0(VALU_DEP_2) | instskip(SKIP_1) | instid1(VALU_DEP_2)
	v_add_f64_e32 v[46:47], v[48:49], v[42:43]
	v_fmamk_f64 v[42:43], v[44:45], 0x3c91a62633145c00, v[42:43]
	v_add_f64_e32 v[40:41], v[40:41], v[46:47]
	s_delay_alu instid0(VALU_DEP_1) | instskip(NEXT) | instid1(VALU_DEP_1)
	v_add_f64_e64 v[42:43], v[40:41], -v[42:43]
	v_fmac_f64_e32 v[42:43], 0xb97b839a252049c0, v[44:45]
	s_delay_alu instid0(VALU_DEP_1) | instskip(NEXT) | instid1(VALU_DEP_1)
	v_add_f64_e32 v[40:41], v[50:51], v[42:43]
	v_add_f64_e64 v[46:47], v[40:41], -v[50:51]
	s_delay_alu instid0(VALU_DEP_1)
	v_add_f64_e64 v[42:43], v[42:43], -v[46:47]
.LBB247_347:                            ;   in Loop: Header=BB247_217 Depth=1
	s_or_b32 exec_lo, exec_lo, s5
                                        ; implicit-def: $vgpr48
                                        ; implicit-def: $vgpr44_vgpr45
                                        ; implicit-def: $vgpr46_vgpr47
	s_and_saveexec_b32 s5, s4
	s_delay_alu instid0(SALU_CYCLE_1)
	s_xor_b32 s4, exec_lo, s5
	s_cbranch_execz .LBB247_349
; %bb.348:                              ;   in Loop: Header=BB247_217 Depth=1
	v_ldexp_f64 v[44:45], |v[12:13]|, 0xffffff80
	v_cmp_le_f64_e64 vcc_lo, 0x7b000000, |v[12:13]|
	v_trig_preop_f64 v[46:47], |v[12:13]|, 0
	v_and_b32_e32 v23, 0x7fffffff, v13
	v_trig_preop_f64 v[48:49], |v[12:13]|, 1
	v_trig_preop_f64 v[58:59], |v[12:13]|, 2
	s_delay_alu instid0(VALU_DEP_3) | instskip(NEXT) | instid1(VALU_DEP_1)
	v_dual_cndmask_b32 v45, v23, v45 :: v_dual_cndmask_b32 v44, v12, v44
	v_mul_f64_e32 v[50:51], v[46:47], v[44:45]
	s_delay_alu instid0(VALU_DEP_4) | instskip(NEXT) | instid1(VALU_DEP_4)
	v_mul_f64_e32 v[52:53], v[48:49], v[44:45]
	v_mul_f64_e32 v[64:65], v[58:59], v[44:45]
	s_delay_alu instid0(VALU_DEP_3) | instskip(NEXT) | instid1(VALU_DEP_3)
	v_fma_f64 v[46:47], v[46:47], v[44:45], -v[50:51]
	v_fma_f64 v[48:49], v[48:49], v[44:45], -v[52:53]
	s_delay_alu instid0(VALU_DEP_3) | instskip(NEXT) | instid1(VALU_DEP_3)
	v_fma_f64 v[44:45], v[58:59], v[44:45], -v[64:65]
	v_add_f64_e32 v[54:55], v[52:53], v[46:47]
	s_delay_alu instid0(VALU_DEP_1) | instskip(SKIP_1) | instid1(VALU_DEP_2)
	v_add_f64_e64 v[56:57], v[54:55], -v[52:53]
	v_add_f64_e32 v[62:63], v[50:51], v[54:55]
	v_add_f64_e64 v[60:61], v[54:55], -v[56:57]
	v_add_f64_e64 v[46:47], v[46:47], -v[56:57]
	s_delay_alu instid0(VALU_DEP_3) | instskip(NEXT) | instid1(VALU_DEP_3)
	v_ldexp_f64 v[56:57], v[62:63], -2
	v_add_f64_e64 v[52:53], v[52:53], -v[60:61]
	v_add_f64_e32 v[60:61], v[64:65], v[48:49]
	s_delay_alu instid0(VALU_DEP_3) | instskip(NEXT) | instid1(VALU_DEP_3)
	v_cmp_neq_f64_e64 vcc_lo, 0x7ff00000, |v[56:57]|
	v_add_f64_e32 v[46:47], v[46:47], v[52:53]
	v_fract_f64_e32 v[52:53], v[56:57]
	s_delay_alu instid0(VALU_DEP_1) | instskip(NEXT) | instid1(VALU_DEP_1)
	v_ldexp_f64 v[52:53], v[52:53], 2
	v_dual_add_f64 v[50:51], v[62:63], -v[50:51] :: v_dual_cndmask_b32 v52, 0, v52, vcc_lo
	s_delay_alu instid0(VALU_DEP_1) | instskip(SKIP_1) | instid1(VALU_DEP_1)
	v_dual_add_f64 v[50:51], v[54:55], -v[50:51] :: v_dual_cndmask_b32 v53, 0, v53, vcc_lo
	v_add_f64_e32 v[54:55], v[60:61], v[46:47]
	v_add_f64_e32 v[56:57], v[50:51], v[54:55]
	v_add_f64_e64 v[66:67], v[54:55], -v[60:61]
	s_delay_alu instid0(VALU_DEP_2) | instskip(NEXT) | instid1(VALU_DEP_2)
	v_add_f64_e32 v[62:63], v[56:57], v[52:53]
	v_add_f64_e64 v[72:73], v[54:55], -v[66:67]
	v_add_f64_e64 v[46:47], v[46:47], -v[66:67]
	;; [unrolled: 1-line block ×3, first 2 shown]
	s_delay_alu instid0(VALU_DEP_4) | instskip(SKIP_2) | instid1(VALU_DEP_2)
	v_cmp_gt_f64_e32 vcc_lo, 0, v[62:63]
	v_add_f64_e64 v[62:63], v[60:61], -v[64:65]
	v_cndmask_b32_e64 v23, 0, 0x40100000, vcc_lo
	v_add_f64_e64 v[70:71], v[60:61], -v[62:63]
	v_add_f64_e64 v[48:49], v[48:49], -v[62:63]
	;; [unrolled: 1-line block ×3, first 2 shown]
	s_delay_alu instid0(VALU_DEP_4) | instskip(NEXT) | instid1(VALU_DEP_4)
	v_add_f64_e32 v[52:53], v[52:53], v[22:23]
	v_add_f64_e64 v[62:63], v[64:65], -v[70:71]
	s_delay_alu instid0(VALU_DEP_3) | instskip(NEXT) | instid1(VALU_DEP_3)
	v_add_f64_e32 v[46:47], v[46:47], v[60:61]
	v_add_f64_e32 v[68:69], v[56:57], v[52:53]
	s_delay_alu instid0(VALU_DEP_3) | instskip(NEXT) | instid1(VALU_DEP_2)
	v_add_f64_e32 v[48:49], v[48:49], v[62:63]
	v_cvt_i32_f64_e32 v23, v[68:69]
	s_delay_alu instid0(VALU_DEP_2) | instskip(SKIP_1) | instid1(VALU_DEP_3)
	v_add_f64_e32 v[46:47], v[48:49], v[46:47]
	v_add_f64_e64 v[48:49], v[54:55], -v[50:51]
	v_cvt_f64_i32_e32 v[66:67], v23
	s_delay_alu instid0(VALU_DEP_3) | instskip(NEXT) | instid1(VALU_DEP_2)
	v_add_f64_e32 v[44:45], v[44:45], v[46:47]
	v_add_f64_e64 v[52:53], v[52:53], -v[66:67]
	s_delay_alu instid0(VALU_DEP_2) | instskip(NEXT) | instid1(VALU_DEP_2)
	v_add_f64_e32 v[44:45], v[48:49], v[44:45]
	v_add_f64_e32 v[58:59], v[56:57], v[52:53]
	s_delay_alu instid0(VALU_DEP_1) | instskip(SKIP_1) | instid1(VALU_DEP_2)
	v_add_f64_e64 v[46:47], v[58:59], -v[52:53]
	v_cmp_le_f64_e32 vcc_lo, 0.5, v[58:59]
	v_add_f64_e64 v[46:47], v[56:57], -v[46:47]
	v_add_co_ci_u32_e64 v48, null, 0, v23, vcc_lo
	v_cndmask_b32_e64 v23, 0, 0x3ff00000, vcc_lo
	s_delay_alu instid0(VALU_DEP_3) | instskip(NEXT) | instid1(VALU_DEP_2)
	v_add_f64_e32 v[44:45], v[44:45], v[46:47]
	v_add_f64_e64 v[46:47], v[58:59], -v[22:23]
	s_delay_alu instid0(VALU_DEP_1) | instskip(NEXT) | instid1(VALU_DEP_1)
	v_add_f64_e32 v[50:51], v[46:47], v[44:45]
	v_mul_f64_e32 v[52:53], 0x3ff921fb54442d18, v[50:51]
	v_add_f64_e64 v[46:47], v[50:51], -v[46:47]
	s_delay_alu instid0(VALU_DEP_2) | instskip(NEXT) | instid1(VALU_DEP_2)
	v_fma_f64 v[54:55], v[50:51], s[18:19], -v[52:53]
	v_add_f64_e64 v[44:45], v[44:45], -v[46:47]
	s_delay_alu instid0(VALU_DEP_2) | instskip(NEXT) | instid1(VALU_DEP_1)
	v_fmac_f64_e32 v[54:55], 0x3c91a62633145c07, v[50:51]
	v_fmac_f64_e32 v[54:55], 0x3ff921fb54442d18, v[44:45]
	s_delay_alu instid0(VALU_DEP_1) | instskip(NEXT) | instid1(VALU_DEP_1)
	v_add_f64_e32 v[44:45], v[52:53], v[54:55]
	v_add_f64_e64 v[46:47], v[44:45], -v[52:53]
	s_delay_alu instid0(VALU_DEP_1)
	v_add_f64_e64 v[46:47], v[54:55], -v[46:47]
	s_and_not1_saveexec_b32 s4, s4
	s_cbranch_execnz .LBB247_350
	s_branch .LBB247_351
.LBB247_349:                            ;   in Loop: Header=BB247_217 Depth=1
	s_and_not1_saveexec_b32 s4, s4
	s_cbranch_execz .LBB247_351
.LBB247_350:                            ;   in Loop: Header=BB247_217 Depth=1
	v_mul_f64_e64 v[44:45], |v[12:13]|, s[20:21]
	s_delay_alu instid0(VALU_DEP_1) | instskip(NEXT) | instid1(VALU_DEP_1)
	v_rndne_f64_e32 v[48:49], v[44:45]
	v_fma_f64 v[44:45], v[48:49], s[22:23], |v[12:13]|
	v_mul_f64_e32 v[46:47], 0xbc91a62633145c00, v[48:49]
	s_delay_alu instid0(VALU_DEP_2) | instskip(NEXT) | instid1(VALU_DEP_2)
	v_fmamk_f64 v[54:55], v[48:49], 0xbc91a62633145c00, v[44:45]
	v_add_f64_e32 v[50:51], v[44:45], v[46:47]
	s_delay_alu instid0(VALU_DEP_1) | instskip(NEXT) | instid1(VALU_DEP_3)
	v_add_f64_e64 v[52:53], v[44:45], -v[50:51]
	v_add_f64_e64 v[44:45], v[50:51], -v[54:55]
	s_delay_alu instid0(VALU_DEP_2) | instskip(SKIP_1) | instid1(VALU_DEP_2)
	v_add_f64_e32 v[50:51], v[52:53], v[46:47]
	v_fmamk_f64 v[46:47], v[48:49], 0x3c91a62633145c00, v[46:47]
	v_add_f64_e32 v[44:45], v[44:45], v[50:51]
	s_delay_alu instid0(VALU_DEP_1) | instskip(NEXT) | instid1(VALU_DEP_1)
	v_add_f64_e64 v[46:47], v[44:45], -v[46:47]
	v_fmac_f64_e32 v[46:47], 0xb97b839a252049c0, v[48:49]
	v_cvt_i32_f64_e32 v48, v[48:49]
	s_delay_alu instid0(VALU_DEP_2) | instskip(NEXT) | instid1(VALU_DEP_1)
	v_add_f64_e32 v[44:45], v[54:55], v[46:47]
	v_add_f64_e64 v[50:51], v[44:45], -v[54:55]
	s_delay_alu instid0(VALU_DEP_1)
	v_add_f64_e64 v[46:47], v[46:47], -v[50:51]
.LBB247_351:                            ;   in Loop: Header=BB247_217 Depth=1
	s_or_b32 exec_lo, exec_lo, s4
	v_add_f64_e64 v[10:11], -v[10:11], s[30:31]
	v_mul_f64_e32 v[52:53], v[40:41], v[40:41]
	s_delay_alu instid0(VALU_DEP_3)
	v_mul_f64_e32 v[66:67], 0.5, v[42:43]
	v_cmp_class_f64_e64 s4, v[12:13], 0x1f8
	v_lshlrev_b32_e32 v13, 30, v48
	v_mul_f64_e32 v[54:55], v[44:45], v[44:45]
	v_mul_f64_e32 v[50:51], 0x3ff71547652b82fe, v[10:11]
	v_mul_f64_e32 v[56:57], 0.5, v[52:53]
	v_cmp_nlt_f64_e64 s5, 0x40900000, v[10:11]
	v_cmp_ngt_f64_e64 s6, 0xc090cc00, v[10:11]
	s_delay_alu instid0(VALU_DEP_4) | instskip(NEXT) | instid1(VALU_DEP_4)
	v_rndne_f64_e32 v[50:51], v[50:51]
	v_add_f64_e64 v[62:63], -v[56:57], 1.0
	s_delay_alu instid0(VALU_DEP_2) | instskip(NEXT) | instid1(VALU_DEP_2)
	v_fmamk_f64 v[60:61], v[50:51], 0xbfe62e42fefa39ef, v[10:11]
	v_add_f64_e64 v[70:71], -v[62:63], 1.0
	v_cvt_i32_f64_e32 v23, v[50:51]
	v_and_b32_e32 v10, 1, v48
	s_delay_alu instid0(VALU_DEP_4) | instskip(NEXT) | instid1(VALU_DEP_2)
	v_fmac_f64_e32 v[60:61], 0xbc7abc9e3b39803f, v[50:51]
	v_cmp_eq_u32_e64 s7, 0, v10
	v_mul_f64_e32 v[76:77], 0.5, v[46:47]
	v_add_f64_e64 v[56:57], v[70:71], -v[56:57]
	s_delay_alu instid0(VALU_DEP_4) | instskip(NEXT) | instid1(VALU_DEP_1)
	v_fmamk_f64 v[74:75], v[60:61], 0x3e5ade156a5dcb37, v[24:25]
	v_fmaak_f64 v[74:75], v[60:61], v[74:75], 0x3ec71dee623fde64
	s_delay_alu instid0(VALU_DEP_1) | instskip(NEXT) | instid1(VALU_DEP_1)
	v_fmaak_f64 v[74:75], v[60:61], v[74:75], 0x3efa01997c89e6b0
	v_fmaak_f64 v[74:75], v[60:61], v[74:75], 0x3f2a01a014761f6e
	s_delay_alu instid0(VALU_DEP_1) | instskip(NEXT) | instid1(VALU_DEP_1)
	v_fmaak_f64 v[70:71], v[60:61], v[74:75], 0x3f56c16c1852b7b0
	;; [unrolled: 3-line block ×4, first 2 shown]
	v_fma_f64 v[70:71], v[60:61], v[70:71], 1.0
	s_delay_alu instid0(VALU_DEP_1) | instskip(NEXT) | instid1(VALU_DEP_1)
	v_fma_f64 v[50:51], v[60:61], v[70:71], 1.0
	v_ldexp_f64 v[50:51], v[50:51], v23
	v_and_b32_e32 v23, 1, v38
	v_fmamk_f64 v[72:73], v[52:53], 0x3de5e0b2f9a43bb8, v[28:29]
	v_lshlrev_b32_e32 v38, 30, v38
	v_mul_f64_e32 v[58:59], 0.5, v[54:55]
	v_mul_f64_e64 v[78:79], v[44:45], -v[54:55]
	v_cmp_eq_u32_e32 vcc_lo, 0, v23
	v_mul_f64_e64 v[68:69], v[40:41], -v[52:53]
	v_fmamk_f64 v[82:83], v[54:55], 0x3de5e0b2f9a43bb8, v[28:29]
	v_fmaak_f64 v[72:73], v[52:53], v[72:73], 0x3ec71de3796cde01
	v_mul_f64_e32 v[74:75], v[52:53], v[52:53]
	s_delay_alu instid0(VALU_DEP_2) | instskip(NEXT) | instid1(VALU_DEP_1)
	v_fmaak_f64 v[72:73], v[52:53], v[72:73], 0xbf2a01a019e83e5c
	v_fmaak_f64 v[72:73], v[52:53], v[72:73], 0x3f81111111110bb3
	v_cndmask_b32_e64 v12, 0x7ff00000, v51, s5
	v_add_f64_e64 v[64:65], -v[58:59], 1.0
	s_delay_alu instid0(VALU_DEP_3) | instskip(SKIP_1) | instid1(VALU_DEP_1)
	v_fmac_f64_e32 v[66:67], v[68:69], v[72:73]
	v_fmaak_f64 v[72:73], v[54:55], v[82:83], 0x3ec71de3796cde01
	v_fmaak_f64 v[72:73], v[54:55], v[72:73], 0xbf2a01a019e83e5c
	s_delay_alu instid0(VALU_DEP_1) | instskip(NEXT) | instid1(VALU_DEP_1)
	v_fmaak_f64 v[72:73], v[54:55], v[72:73], 0x3f81111111110bb3
	v_fmac_f64_e32 v[76:77], v[78:79], v[72:73]
	v_fmamk_f64 v[72:73], v[52:53], 0xbda907db46cc5e42, v[26:27]
	v_add_f64_e64 v[80:81], -v[64:65], 1.0
	v_fma_f64 v[66:67], v[52:53], v[66:67], -v[42:43]
	v_fma_f64 v[42:43], v[40:41], -v[42:43], v[56:57]
	s_delay_alu instid0(VALU_DEP_4) | instskip(SKIP_1) | instid1(VALU_DEP_2)
	v_fmaak_f64 v[56:57], v[52:53], v[72:73], 0xbe927e4fa17f65f6
	v_mul_f64_e32 v[72:73], v[54:55], v[54:55]
	v_fmaak_f64 v[56:57], v[52:53], v[56:57], 0x3efa01a019f4ec90
	s_delay_alu instid0(VALU_DEP_1) | instskip(NEXT) | instid1(VALU_DEP_1)
	v_fmaak_f64 v[56:57], v[52:53], v[56:57], 0xbf56c16c16c16967
	v_fmaak_f64 v[52:53], v[52:53], v[56:57], 0x3fa5555555555555
	v_add_f64_e64 v[58:59], v[80:81], -v[58:59]
	v_fmamk_f64 v[80:81], v[54:55], 0xbda907db46cc5e42, v[26:27]
	v_fmac_f64_e32 v[66:67], 0xbfc5555555555555, v[68:69]
	s_delay_alu instid0(VALU_DEP_4) | instskip(NEXT) | instid1(VALU_DEP_2)
	v_fmac_f64_e32 v[42:43], v[74:75], v[52:53]
	v_add_f64_e64 v[40:41], v[40:41], -v[66:67]
	s_delay_alu instid0(VALU_DEP_2) | instskip(NEXT) | instid1(VALU_DEP_2)
	v_add_f64_e32 v[42:43], v[62:63], v[42:43]
	v_xor_b32_e32 v11, 0x80000000, v41
	s_delay_alu instid0(VALU_DEP_2) | instskip(NEXT) | instid1(VALU_DEP_2)
	v_dual_cndmask_b32 v23, v40, v42, vcc_lo :: v_dual_cndmask_b32 v40, 0, v12, s6
	v_cndmask_b32_e32 v10, v11, v43, vcc_lo
	s_and_b32 vcc_lo, s6, s5
	v_fma_f64 v[56:57], v[54:55], v[76:77], -v[46:47]
	v_fma_f64 v[46:47], v[44:45], -v[46:47], v[58:59]
	v_fmaak_f64 v[58:59], v[54:55], v[80:81], 0xbe927e4fa17f65f6
	v_xor_b32_e32 v11, v13, v39
	v_bitop3_b32 v38, v10, v38, 0x80000000 bitop3:0x78
	v_cndmask_b32_e64 v10, 0, v23, s4
	s_delay_alu instid0(VALU_DEP_4) | instskip(NEXT) | instid1(VALU_DEP_1)
	v_fmaak_f64 v[52:53], v[54:55], v[58:59], 0x3efa01a019f4ec90
	v_fmaak_f64 v[52:53], v[54:55], v[52:53], 0xbf56c16c16c16967
	s_delay_alu instid0(VALU_DEP_1) | instskip(SKIP_1) | instid1(VALU_DEP_2)
	v_fmaak_f64 v[52:53], v[54:55], v[52:53], 0x3fa5555555555555
	v_fmac_f64_e32 v[56:57], 0xbfc5555555555555, v[78:79]
	v_fmac_f64_e32 v[46:47], v[72:73], v[52:53]
	s_delay_alu instid0(VALU_DEP_2) | instskip(NEXT) | instid1(VALU_DEP_2)
	v_add_f64_e64 v[44:45], v[44:45], -v[56:57]
	v_add_f64_e32 v[46:47], v[64:65], v[46:47]
	s_delay_alu instid0(VALU_DEP_1) | instskip(NEXT) | instid1(VALU_DEP_1)
	v_dual_cndmask_b32 v39, v47, v45, s7 :: v_dual_cndmask_b32 v13, v46, v44, s7
	v_bitop3_b32 v23, v39, v11, 0x80000000 bitop3:0x78
	v_cndmask_b32_e64 v11, 0x7ff80000, v38, s4
	s_delay_alu instid0(VALU_DEP_3) | instskip(SKIP_3) | instid1(VALU_DEP_2)
	v_cndmask_b32_e64 v12, 0, v13, s4
	v_and_or_b32 v39, v40, s33, 0x7fe00000
	v_cndmask_b32_e32 v38, 0, v50, vcc_lo
	v_cndmask_b32_e64 v13, 0x7ff80000, v23, s4
	v_dual_mul_f64 v[10:11], v[38:39], v[10:11] :: v_dual_lshrrev_b32 v23, 20, v40
	s_delay_alu instid0(VALU_DEP_2) | instskip(NEXT) | instid1(VALU_DEP_2)
	v_mul_f64_e32 v[12:13], v[38:39], v[12:13]
	v_add_nc_u32_e32 v38, 0xffffff09, v23
	s_delay_alu instid0(VALU_DEP_1) | instskip(NEXT) | instid1(VALU_DEP_1)
	v_lshrrev_b16 v23, 15, v38
	v_add_nc_u16 v23, v38, v23
	s_delay_alu instid0(VALU_DEP_1) | instskip(NEXT) | instid1(VALU_DEP_1)
	v_ashrrev_i16 v23, 1, v23
	v_bfe_i32 v39, v23, 0, 16
	s_delay_alu instid0(VALU_DEP_1) | instskip(NEXT) | instid1(VALU_DEP_1)
	v_lshl_add_u32 v23, v39, 20, 0x3ff00000
	v_mul_f64_e32 v[10:11], v[10:11], v[22:23]
	v_mul_f64_e32 v[12:13], v[12:13], v[22:23]
	v_sub_nc_u32_e32 v23, v38, v39
	v_mov_b32_e32 v38, v22
	s_delay_alu instid0(VALU_DEP_2) | instskip(NEXT) | instid1(VALU_DEP_1)
	v_lshl_add_u32 v39, v23, 20, 0x3ff00000
	v_mul_f64_e32 v[40:41], v[10:11], v[38:39]
	v_mul_f64_e32 v[38:39], v[12:13], v[38:39]
.LBB247_352:                            ;   in Loop: Header=BB247_217 Depth=1
	s_or_b32 exec_lo, exec_lo, s41
                                        ; implicit-def: $vgpr42_vgpr43
                                        ; implicit-def: $vgpr12_vgpr13
                                        ; implicit-def: $vgpr23
.LBB247_353:                            ;   in Loop: Header=BB247_217 Depth=1
	s_and_not1_saveexec_b32 s5, s40
	s_cbranch_execz .LBB247_359
; %bb.354:                              ;   in Loop: Header=BB247_217 Depth=1
	v_cmp_ne_u32_e32 vcc_lo, 0, v10
	v_cmp_ne_u32_e64 s4, 0x7ff00000, v23
                                        ; implicit-def: $vgpr38_vgpr39
	s_or_b32 s4, vcc_lo, s4
	s_delay_alu instid0(SALU_CYCLE_1) | instskip(NEXT) | instid1(SALU_CYCLE_1)
	s_and_saveexec_b32 s6, s4
	s_xor_b32 s4, exec_lo, s6
; %bb.355:                              ;   in Loop: Header=BB247_217 Depth=1
	v_add_f64_e64 v[38:39], v[12:13], -v[12:13]
                                        ; implicit-def: $vgpr42_vgpr43
                                        ; implicit-def: $vgpr12_vgpr13
; %bb.356:                              ;   in Loop: Header=BB247_217 Depth=1
	s_or_saveexec_b32 s4, s4
	s_delay_alu instid0(VALU_DEP_1)
	v_mov_b64_e32 v[40:41], v[38:39]
	s_xor_b32 exec_lo, exec_lo, s4
	s_cbranch_execz .LBB247_358
; %bb.357:                              ;   in Loop: Header=BB247_217 Depth=1
	v_cmp_lt_i64_e32 vcc_lo, -1, v[42:43]
	v_dual_add_f64 v[12:13], v[12:13], -v[12:13] :: v_dual_cndmask_b32 v41, 0, v43, vcc_lo
	s_delay_alu instid0(VALU_DEP_1) | instskip(NEXT) | instid1(VALU_DEP_2)
	v_dual_cndmask_b32 v40, 0, v10 :: v_dual_cndmask_b32 v39, 0, v13
	v_cndmask_b32_e32 v38, 0, v12, vcc_lo
.LBB247_358:                            ;   in Loop: Header=BB247_217 Depth=1
	s_or_b32 exec_lo, exec_lo, s4
.LBB247_359:                            ;   in Loop: Header=BB247_217 Depth=1
	s_delay_alu instid0(SALU_CYCLE_1)
	s_or_b32 exec_lo, exec_lo, s5
                                        ; implicit-def: $vgpr12_vgpr13
.LBB247_360:                            ;   in Loop: Header=BB247_217 Depth=1
	s_and_not1_saveexec_b32 s6, s39
	s_cbranch_execz .LBB247_370
; %bb.361:                              ;   in Loop: Header=BB247_217 Depth=1
	v_cmp_ngt_f64_e64 s4, 0x41d00000, |v[12:13]|
                                        ; implicit-def: $vgpr38
                                        ; implicit-def: $vgpr10_vgpr11
                                        ; implicit-def: $vgpr40_vgpr41
	s_and_saveexec_b32 s5, s4
	s_delay_alu instid0(SALU_CYCLE_1)
	s_xor_b32 s5, exec_lo, s5
	s_cbranch_execz .LBB247_363
; %bb.362:                              ;   in Loop: Header=BB247_217 Depth=1
	v_ldexp_f64 v[10:11], |v[12:13]|, 0xffffff80
	v_cmp_le_f64_e64 vcc_lo, 0x7b000000, |v[12:13]|
	v_trig_preop_f64 v[40:41], |v[12:13]|, 0
	v_and_b32_e32 v23, 0x7fffffff, v13
	v_trig_preop_f64 v[42:43], |v[12:13]|, 1
	v_trig_preop_f64 v[52:53], |v[12:13]|, 2
	s_delay_alu instid0(VALU_DEP_3) | instskip(NEXT) | instid1(VALU_DEP_1)
	v_dual_cndmask_b32 v11, v23, v11 :: v_dual_cndmask_b32 v10, v12, v10
	v_mul_f64_e32 v[44:45], v[40:41], v[10:11]
	s_delay_alu instid0(VALU_DEP_4) | instskip(NEXT) | instid1(VALU_DEP_4)
	v_mul_f64_e32 v[46:47], v[42:43], v[10:11]
	v_mul_f64_e32 v[58:59], v[52:53], v[10:11]
	s_delay_alu instid0(VALU_DEP_3) | instskip(NEXT) | instid1(VALU_DEP_3)
	v_fma_f64 v[40:41], v[40:41], v[10:11], -v[44:45]
	v_fma_f64 v[42:43], v[42:43], v[10:11], -v[46:47]
	s_delay_alu instid0(VALU_DEP_3) | instskip(NEXT) | instid1(VALU_DEP_3)
	v_fma_f64 v[10:11], v[52:53], v[10:11], -v[58:59]
	v_add_f64_e32 v[48:49], v[46:47], v[40:41]
	s_delay_alu instid0(VALU_DEP_1) | instskip(SKIP_1) | instid1(VALU_DEP_2)
	v_add_f64_e64 v[50:51], v[48:49], -v[46:47]
	v_add_f64_e32 v[56:57], v[44:45], v[48:49]
	v_add_f64_e64 v[54:55], v[48:49], -v[50:51]
	v_add_f64_e64 v[40:41], v[40:41], -v[50:51]
	s_delay_alu instid0(VALU_DEP_3) | instskip(NEXT) | instid1(VALU_DEP_3)
	v_ldexp_f64 v[50:51], v[56:57], -2
	v_add_f64_e64 v[46:47], v[46:47], -v[54:55]
	v_add_f64_e32 v[54:55], v[58:59], v[42:43]
	s_delay_alu instid0(VALU_DEP_3) | instskip(NEXT) | instid1(VALU_DEP_3)
	v_cmp_neq_f64_e64 vcc_lo, 0x7ff00000, |v[50:51]|
	v_add_f64_e32 v[40:41], v[40:41], v[46:47]
	v_fract_f64_e32 v[46:47], v[50:51]
	s_delay_alu instid0(VALU_DEP_1) | instskip(NEXT) | instid1(VALU_DEP_1)
	v_ldexp_f64 v[46:47], v[46:47], 2
	v_dual_add_f64 v[44:45], v[56:57], -v[44:45] :: v_dual_cndmask_b32 v46, 0, v46, vcc_lo
	s_delay_alu instid0(VALU_DEP_1) | instskip(SKIP_1) | instid1(VALU_DEP_1)
	v_dual_add_f64 v[44:45], v[48:49], -v[44:45] :: v_dual_cndmask_b32 v47, 0, v47, vcc_lo
	v_add_f64_e32 v[48:49], v[54:55], v[40:41]
	v_add_f64_e32 v[50:51], v[44:45], v[48:49]
	v_add_f64_e64 v[60:61], v[48:49], -v[54:55]
	s_delay_alu instid0(VALU_DEP_2) | instskip(NEXT) | instid1(VALU_DEP_2)
	v_add_f64_e32 v[56:57], v[50:51], v[46:47]
	v_add_f64_e64 v[66:67], v[48:49], -v[60:61]
	v_add_f64_e64 v[40:41], v[40:41], -v[60:61]
	;; [unrolled: 1-line block ×3, first 2 shown]
	s_delay_alu instid0(VALU_DEP_4) | instskip(SKIP_1) | instid1(VALU_DEP_3)
	v_cmp_gt_f64_e32 vcc_lo, 0, v[56:57]
	v_add_f64_e64 v[56:57], v[54:55], -v[58:59]
	v_add_f64_e64 v[44:45], v[48:49], -v[44:45]
	v_cndmask_b32_e64 v23, 0, 0x40100000, vcc_lo
	s_delay_alu instid0(VALU_DEP_3) | instskip(SKIP_2) | instid1(VALU_DEP_4)
	v_add_f64_e64 v[64:65], v[54:55], -v[56:57]
	v_add_f64_e64 v[42:43], v[42:43], -v[56:57]
	;; [unrolled: 1-line block ×3, first 2 shown]
	v_add_f64_e32 v[46:47], v[46:47], v[22:23]
	s_delay_alu instid0(VALU_DEP_4) | instskip(NEXT) | instid1(VALU_DEP_3)
	v_add_f64_e64 v[56:57], v[58:59], -v[64:65]
	v_add_f64_e32 v[40:41], v[40:41], v[54:55]
	s_delay_alu instid0(VALU_DEP_3) | instskip(NEXT) | instid1(VALU_DEP_3)
	v_add_f64_e32 v[62:63], v[50:51], v[46:47]
	v_add_f64_e32 v[42:43], v[42:43], v[56:57]
	s_delay_alu instid0(VALU_DEP_2) | instskip(NEXT) | instid1(VALU_DEP_2)
	v_cvt_i32_f64_e32 v23, v[62:63]
	v_add_f64_e32 v[40:41], v[42:43], v[40:41]
	s_delay_alu instid0(VALU_DEP_2) | instskip(NEXT) | instid1(VALU_DEP_2)
	v_cvt_f64_i32_e32 v[60:61], v23
	v_add_f64_e32 v[10:11], v[10:11], v[40:41]
	s_delay_alu instid0(VALU_DEP_2) | instskip(NEXT) | instid1(VALU_DEP_2)
	v_add_f64_e64 v[46:47], v[46:47], -v[60:61]
	v_add_f64_e32 v[10:11], v[44:45], v[10:11]
	s_delay_alu instid0(VALU_DEP_2) | instskip(NEXT) | instid1(VALU_DEP_1)
	v_add_f64_e32 v[42:43], v[50:51], v[46:47]
	v_add_f64_e64 v[40:41], v[42:43], -v[46:47]
	v_cmp_le_f64_e32 vcc_lo, 0.5, v[42:43]
	s_delay_alu instid0(VALU_DEP_2) | instskip(SKIP_2) | instid1(VALU_DEP_3)
	v_add_f64_e64 v[40:41], v[50:51], -v[40:41]
	v_add_co_ci_u32_e64 v38, null, 0, v23, vcc_lo
	v_cndmask_b32_e64 v23, 0, 0x3ff00000, vcc_lo
	v_add_f64_e32 v[10:11], v[10:11], v[40:41]
	s_delay_alu instid0(VALU_DEP_2) | instskip(NEXT) | instid1(VALU_DEP_1)
	v_add_f64_e64 v[40:41], v[42:43], -v[22:23]
	v_add_f64_e32 v[42:43], v[40:41], v[10:11]
	s_delay_alu instid0(VALU_DEP_1) | instskip(SKIP_1) | instid1(VALU_DEP_2)
	v_mul_f64_e32 v[44:45], 0x3ff921fb54442d18, v[42:43]
	v_add_f64_e64 v[40:41], v[42:43], -v[40:41]
	v_fma_f64 v[46:47], v[42:43], s[18:19], -v[44:45]
	s_delay_alu instid0(VALU_DEP_2) | instskip(NEXT) | instid1(VALU_DEP_2)
	v_add_f64_e64 v[10:11], v[10:11], -v[40:41]
	v_fmac_f64_e32 v[46:47], 0x3c91a62633145c07, v[42:43]
	s_delay_alu instid0(VALU_DEP_1) | instskip(NEXT) | instid1(VALU_DEP_1)
	v_fmac_f64_e32 v[46:47], 0x3ff921fb54442d18, v[10:11]
	v_add_f64_e32 v[10:11], v[44:45], v[46:47]
	s_delay_alu instid0(VALU_DEP_1) | instskip(NEXT) | instid1(VALU_DEP_1)
	v_add_f64_e64 v[40:41], v[10:11], -v[44:45]
	v_add_f64_e64 v[40:41], v[46:47], -v[40:41]
	s_and_not1_saveexec_b32 s5, s5
	s_cbranch_execz .LBB247_365
	s_branch .LBB247_364
.LBB247_363:                            ;   in Loop: Header=BB247_217 Depth=1
	s_and_not1_saveexec_b32 s5, s5
	s_cbranch_execz .LBB247_365
.LBB247_364:                            ;   in Loop: Header=BB247_217 Depth=1
	v_mul_f64_e64 v[10:11], |v[12:13]|, s[20:21]
	s_delay_alu instid0(VALU_DEP_1) | instskip(NEXT) | instid1(VALU_DEP_1)
	v_rndne_f64_e32 v[42:43], v[10:11]
	v_fma_f64 v[10:11], v[42:43], s[22:23], |v[12:13]|
	v_mul_f64_e32 v[40:41], 0xbc91a62633145c00, v[42:43]
	v_cvt_i32_f64_e32 v38, v[42:43]
	s_delay_alu instid0(VALU_DEP_3) | instskip(NEXT) | instid1(VALU_DEP_3)
	v_fmamk_f64 v[48:49], v[42:43], 0xbc91a62633145c00, v[10:11]
	v_add_f64_e32 v[44:45], v[10:11], v[40:41]
	s_delay_alu instid0(VALU_DEP_1) | instskip(NEXT) | instid1(VALU_DEP_3)
	v_add_f64_e64 v[46:47], v[10:11], -v[44:45]
	v_add_f64_e64 v[10:11], v[44:45], -v[48:49]
	s_delay_alu instid0(VALU_DEP_2) | instskip(SKIP_1) | instid1(VALU_DEP_2)
	v_add_f64_e32 v[44:45], v[46:47], v[40:41]
	v_fmamk_f64 v[40:41], v[42:43], 0x3c91a62633145c00, v[40:41]
	v_add_f64_e32 v[10:11], v[10:11], v[44:45]
	s_delay_alu instid0(VALU_DEP_1) | instskip(NEXT) | instid1(VALU_DEP_1)
	v_add_f64_e64 v[40:41], v[10:11], -v[40:41]
	v_fmac_f64_e32 v[40:41], 0xb97b839a252049c0, v[42:43]
	s_delay_alu instid0(VALU_DEP_1) | instskip(NEXT) | instid1(VALU_DEP_1)
	v_add_f64_e32 v[10:11], v[48:49], v[40:41]
	v_add_f64_e64 v[44:45], v[10:11], -v[48:49]
	s_delay_alu instid0(VALU_DEP_1)
	v_add_f64_e64 v[40:41], v[40:41], -v[44:45]
.LBB247_365:                            ;   in Loop: Header=BB247_217 Depth=1
	s_or_b32 exec_lo, exec_lo, s5
                                        ; implicit-def: $vgpr46
                                        ; implicit-def: $vgpr42_vgpr43
                                        ; implicit-def: $vgpr44_vgpr45
	s_and_saveexec_b32 s5, s4
	s_delay_alu instid0(SALU_CYCLE_1)
	s_xor_b32 s4, exec_lo, s5
	s_cbranch_execz .LBB247_367
; %bb.366:                              ;   in Loop: Header=BB247_217 Depth=1
	v_ldexp_f64 v[42:43], |v[12:13]|, 0xffffff80
	v_cmp_le_f64_e64 vcc_lo, 0x7b000000, |v[12:13]|
	v_trig_preop_f64 v[44:45], |v[12:13]|, 0
	v_and_b32_e32 v23, 0x7fffffff, v13
	v_trig_preop_f64 v[46:47], |v[12:13]|, 1
	v_trig_preop_f64 v[56:57], |v[12:13]|, 2
	s_delay_alu instid0(VALU_DEP_3) | instskip(NEXT) | instid1(VALU_DEP_1)
	v_dual_cndmask_b32 v43, v23, v43 :: v_dual_cndmask_b32 v42, v12, v42
	v_mul_f64_e32 v[48:49], v[44:45], v[42:43]
	s_delay_alu instid0(VALU_DEP_4) | instskip(NEXT) | instid1(VALU_DEP_4)
	v_mul_f64_e32 v[50:51], v[46:47], v[42:43]
	v_mul_f64_e32 v[62:63], v[56:57], v[42:43]
	s_delay_alu instid0(VALU_DEP_3) | instskip(NEXT) | instid1(VALU_DEP_3)
	v_fma_f64 v[44:45], v[44:45], v[42:43], -v[48:49]
	v_fma_f64 v[46:47], v[46:47], v[42:43], -v[50:51]
	s_delay_alu instid0(VALU_DEP_3) | instskip(NEXT) | instid1(VALU_DEP_3)
	v_fma_f64 v[42:43], v[56:57], v[42:43], -v[62:63]
	v_add_f64_e32 v[52:53], v[50:51], v[44:45]
	s_delay_alu instid0(VALU_DEP_1) | instskip(SKIP_1) | instid1(VALU_DEP_2)
	v_add_f64_e64 v[54:55], v[52:53], -v[50:51]
	v_add_f64_e32 v[60:61], v[48:49], v[52:53]
	v_add_f64_e64 v[58:59], v[52:53], -v[54:55]
	v_add_f64_e64 v[44:45], v[44:45], -v[54:55]
	s_delay_alu instid0(VALU_DEP_3) | instskip(NEXT) | instid1(VALU_DEP_3)
	v_ldexp_f64 v[54:55], v[60:61], -2
	v_add_f64_e64 v[50:51], v[50:51], -v[58:59]
	v_add_f64_e32 v[58:59], v[62:63], v[46:47]
	s_delay_alu instid0(VALU_DEP_3) | instskip(NEXT) | instid1(VALU_DEP_3)
	v_cmp_neq_f64_e64 vcc_lo, 0x7ff00000, |v[54:55]|
	v_add_f64_e32 v[44:45], v[44:45], v[50:51]
	v_fract_f64_e32 v[50:51], v[54:55]
	s_delay_alu instid0(VALU_DEP_1) | instskip(NEXT) | instid1(VALU_DEP_1)
	v_ldexp_f64 v[50:51], v[50:51], 2
	v_dual_add_f64 v[48:49], v[60:61], -v[48:49] :: v_dual_cndmask_b32 v50, 0, v50, vcc_lo
	s_delay_alu instid0(VALU_DEP_1) | instskip(SKIP_1) | instid1(VALU_DEP_1)
	v_dual_add_f64 v[48:49], v[52:53], -v[48:49] :: v_dual_cndmask_b32 v51, 0, v51, vcc_lo
	v_add_f64_e32 v[52:53], v[58:59], v[44:45]
	v_add_f64_e32 v[54:55], v[48:49], v[52:53]
	v_add_f64_e64 v[64:65], v[52:53], -v[58:59]
	s_delay_alu instid0(VALU_DEP_2) | instskip(NEXT) | instid1(VALU_DEP_2)
	v_add_f64_e32 v[60:61], v[54:55], v[50:51]
	v_add_f64_e64 v[70:71], v[52:53], -v[64:65]
	v_add_f64_e64 v[44:45], v[44:45], -v[64:65]
	;; [unrolled: 1-line block ×3, first 2 shown]
	s_delay_alu instid0(VALU_DEP_4) | instskip(SKIP_2) | instid1(VALU_DEP_2)
	v_cmp_gt_f64_e32 vcc_lo, 0, v[60:61]
	v_add_f64_e64 v[60:61], v[58:59], -v[62:63]
	v_cndmask_b32_e64 v23, 0, 0x40100000, vcc_lo
	v_add_f64_e64 v[68:69], v[58:59], -v[60:61]
	v_add_f64_e64 v[46:47], v[46:47], -v[60:61]
	;; [unrolled: 1-line block ×3, first 2 shown]
	s_delay_alu instid0(VALU_DEP_4) | instskip(NEXT) | instid1(VALU_DEP_4)
	v_add_f64_e32 v[50:51], v[50:51], v[22:23]
	v_add_f64_e64 v[60:61], v[62:63], -v[68:69]
	s_delay_alu instid0(VALU_DEP_3) | instskip(NEXT) | instid1(VALU_DEP_3)
	v_add_f64_e32 v[44:45], v[44:45], v[58:59]
	v_add_f64_e32 v[66:67], v[54:55], v[50:51]
	s_delay_alu instid0(VALU_DEP_3) | instskip(NEXT) | instid1(VALU_DEP_2)
	v_add_f64_e32 v[46:47], v[46:47], v[60:61]
	v_cvt_i32_f64_e32 v23, v[66:67]
	s_delay_alu instid0(VALU_DEP_2) | instskip(SKIP_1) | instid1(VALU_DEP_3)
	v_add_f64_e32 v[44:45], v[46:47], v[44:45]
	v_add_f64_e64 v[46:47], v[52:53], -v[48:49]
	v_cvt_f64_i32_e32 v[64:65], v23
	s_delay_alu instid0(VALU_DEP_3) | instskip(NEXT) | instid1(VALU_DEP_2)
	v_add_f64_e32 v[42:43], v[42:43], v[44:45]
	v_add_f64_e64 v[50:51], v[50:51], -v[64:65]
	s_delay_alu instid0(VALU_DEP_2) | instskip(NEXT) | instid1(VALU_DEP_2)
	v_add_f64_e32 v[42:43], v[46:47], v[42:43]
	v_add_f64_e32 v[56:57], v[54:55], v[50:51]
	s_delay_alu instid0(VALU_DEP_1) | instskip(SKIP_1) | instid1(VALU_DEP_2)
	v_add_f64_e64 v[44:45], v[56:57], -v[50:51]
	v_cmp_le_f64_e32 vcc_lo, 0.5, v[56:57]
	v_add_f64_e64 v[44:45], v[54:55], -v[44:45]
	v_add_co_ci_u32_e64 v46, null, 0, v23, vcc_lo
	v_cndmask_b32_e64 v23, 0, 0x3ff00000, vcc_lo
	s_delay_alu instid0(VALU_DEP_3) | instskip(NEXT) | instid1(VALU_DEP_2)
	v_add_f64_e32 v[42:43], v[42:43], v[44:45]
	v_add_f64_e64 v[44:45], v[56:57], -v[22:23]
	s_delay_alu instid0(VALU_DEP_1) | instskip(NEXT) | instid1(VALU_DEP_1)
	v_add_f64_e32 v[48:49], v[44:45], v[42:43]
	v_mul_f64_e32 v[50:51], 0x3ff921fb54442d18, v[48:49]
	v_add_f64_e64 v[44:45], v[48:49], -v[44:45]
	s_delay_alu instid0(VALU_DEP_2) | instskip(NEXT) | instid1(VALU_DEP_2)
	v_fma_f64 v[52:53], v[48:49], s[18:19], -v[50:51]
	v_add_f64_e64 v[42:43], v[42:43], -v[44:45]
	s_delay_alu instid0(VALU_DEP_2) | instskip(NEXT) | instid1(VALU_DEP_1)
	v_fmac_f64_e32 v[52:53], 0x3c91a62633145c07, v[48:49]
	v_fmac_f64_e32 v[52:53], 0x3ff921fb54442d18, v[42:43]
	s_delay_alu instid0(VALU_DEP_1) | instskip(NEXT) | instid1(VALU_DEP_1)
	v_add_f64_e32 v[42:43], v[50:51], v[52:53]
	v_add_f64_e64 v[44:45], v[42:43], -v[50:51]
	s_delay_alu instid0(VALU_DEP_1)
	v_add_f64_e64 v[44:45], v[52:53], -v[44:45]
	s_and_not1_saveexec_b32 s4, s4
	s_cbranch_execnz .LBB247_368
	s_branch .LBB247_369
.LBB247_367:                            ;   in Loop: Header=BB247_217 Depth=1
	s_and_not1_saveexec_b32 s4, s4
	s_cbranch_execz .LBB247_369
.LBB247_368:                            ;   in Loop: Header=BB247_217 Depth=1
	v_mul_f64_e64 v[42:43], |v[12:13]|, s[20:21]
	s_delay_alu instid0(VALU_DEP_1) | instskip(NEXT) | instid1(VALU_DEP_1)
	v_rndne_f64_e32 v[46:47], v[42:43]
	v_fma_f64 v[42:43], v[46:47], s[22:23], |v[12:13]|
	v_mul_f64_e32 v[44:45], 0xbc91a62633145c00, v[46:47]
	s_delay_alu instid0(VALU_DEP_2) | instskip(NEXT) | instid1(VALU_DEP_2)
	v_fmamk_f64 v[52:53], v[46:47], 0xbc91a62633145c00, v[42:43]
	v_add_f64_e32 v[48:49], v[42:43], v[44:45]
	s_delay_alu instid0(VALU_DEP_1) | instskip(NEXT) | instid1(VALU_DEP_3)
	v_add_f64_e64 v[50:51], v[42:43], -v[48:49]
	v_add_f64_e64 v[42:43], v[48:49], -v[52:53]
	s_delay_alu instid0(VALU_DEP_2) | instskip(SKIP_1) | instid1(VALU_DEP_2)
	v_add_f64_e32 v[48:49], v[50:51], v[44:45]
	v_fmamk_f64 v[44:45], v[46:47], 0x3c91a62633145c00, v[44:45]
	v_add_f64_e32 v[42:43], v[42:43], v[48:49]
	s_delay_alu instid0(VALU_DEP_1) | instskip(NEXT) | instid1(VALU_DEP_1)
	v_add_f64_e64 v[44:45], v[42:43], -v[44:45]
	v_fmac_f64_e32 v[44:45], 0xb97b839a252049c0, v[46:47]
	v_cvt_i32_f64_e32 v46, v[46:47]
	s_delay_alu instid0(VALU_DEP_2) | instskip(NEXT) | instid1(VALU_DEP_1)
	v_add_f64_e32 v[42:43], v[52:53], v[44:45]
	v_add_f64_e64 v[48:49], v[42:43], -v[52:53]
	s_delay_alu instid0(VALU_DEP_1)
	v_add_f64_e64 v[44:45], v[44:45], -v[48:49]
.LBB247_369:                            ;   in Loop: Header=BB247_217 Depth=1
	s_or_b32 exec_lo, exec_lo, s4
	v_mul_f64_e32 v[48:49], v[10:11], v[10:11]
	v_mul_f64_e32 v[50:51], v[42:43], v[42:43]
	s_delay_alu instid0(VALU_DEP_3) | instskip(NEXT) | instid1(VALU_DEP_4)
	v_mul_f64_e32 v[60:61], 0.5, v[40:41]
	v_mul_f64_e32 v[68:69], 0.5, v[44:45]
	v_cmp_class_f64_e64 s4, v[12:13], 0x1f8
	v_and_b32_e32 v12, 1, v46
	v_and_b32_e32 v23, 1, v38
	v_lshlrev_b32_e32 v13, 30, v46
	s_delay_alu instid0(VALU_DEP_3) | instskip(SKIP_1) | instid1(VALU_DEP_4)
	v_cmp_eq_u32_e64 s5, 0, v12
	v_lshlrev_b32_e32 v12, 30, v38
	v_cmp_eq_u32_e32 vcc_lo, 0, v23
	s_delay_alu instid0(VALU_DEP_4) | instskip(SKIP_4) | instid1(VALU_DEP_3)
	v_dual_mul_f64 v[52:53], 0.5, v[48:49] :: v_dual_bitop2_b32 v13, v13, v39 bitop3:0x14
	v_mul_f64_e64 v[62:63], v[10:11], -v[48:49]
	v_fmamk_f64 v[66:67], v[48:49], 0x3de5e0b2f9a43bb8, v[28:29]
	v_mul_f64_e64 v[70:71], v[42:43], -v[50:51]
	v_fmamk_f64 v[74:75], v[50:51], 0x3de5e0b2f9a43bb8, v[28:29]
	v_fmaak_f64 v[66:67], v[48:49], v[66:67], 0x3ec71de3796cde01
	s_delay_alu instid0(VALU_DEP_1) | instskip(NEXT) | instid1(VALU_DEP_1)
	v_fmaak_f64 v[66:67], v[48:49], v[66:67], 0xbf2a01a019e83e5c
	v_fmaak_f64 v[66:67], v[48:49], v[66:67], 0x3f81111111110bb3
	v_add_f64_e64 v[56:57], -v[52:53], 1.0
	s_delay_alu instid0(VALU_DEP_2) | instskip(SKIP_1) | instid1(VALU_DEP_3)
	v_fmac_f64_e32 v[60:61], v[62:63], v[66:67]
	v_mul_f64_e32 v[66:67], v[48:49], v[48:49]
	v_add_f64_e64 v[64:65], -v[56:57], 1.0
	s_delay_alu instid0(VALU_DEP_3) | instskip(NEXT) | instid1(VALU_DEP_2)
	v_fma_f64 v[60:61], v[48:49], v[60:61], -v[40:41]
	v_add_f64_e64 v[52:53], v[64:65], -v[52:53]
	v_fmaak_f64 v[64:65], v[50:51], v[74:75], 0x3ec71de3796cde01
	s_delay_alu instid0(VALU_DEP_3) | instskip(NEXT) | instid1(VALU_DEP_2)
	v_fmac_f64_e32 v[60:61], 0xbfc5555555555555, v[62:63]
	v_fmaak_f64 v[64:65], v[50:51], v[64:65], 0xbf2a01a019e83e5c
	s_delay_alu instid0(VALU_DEP_1) | instskip(NEXT) | instid1(VALU_DEP_1)
	v_fmaak_f64 v[64:65], v[50:51], v[64:65], 0x3f81111111110bb3
	v_fmac_f64_e32 v[68:69], v[70:71], v[64:65]
	v_fmamk_f64 v[64:65], v[48:49], 0xbda907db46cc5e42, v[26:27]
	v_fma_f64 v[40:41], v[10:11], -v[40:41], v[52:53]
	s_delay_alu instid0(VALU_DEP_2) | instskip(SKIP_2) | instid1(VALU_DEP_3)
	v_fmaak_f64 v[52:53], v[48:49], v[64:65], 0xbe927e4fa17f65f6
	v_add_f64_e64 v[10:11], v[10:11], -v[60:61]
	v_fmamk_f64 v[64:65], v[50:51], 0xbda907db46cc5e42, v[26:27]
	v_fmaak_f64 v[52:53], v[48:49], v[52:53], 0x3efa01a019f4ec90
	s_delay_alu instid0(VALU_DEP_1) | instskip(NEXT) | instid1(VALU_DEP_1)
	v_fmaak_f64 v[52:53], v[48:49], v[52:53], 0xbf56c16c16c16967
	v_fmaak_f64 v[48:49], v[48:49], v[52:53], 0x3fa5555555555555
	v_fma_f64 v[68:69], v[50:51], v[68:69], -v[44:45]
	v_fmaak_f64 v[52:53], v[50:51], v[64:65], 0xbe927e4fa17f65f6
	s_delay_alu instid0(VALU_DEP_3) | instskip(NEXT) | instid1(VALU_DEP_2)
	v_fmac_f64_e32 v[40:41], v[66:67], v[48:49]
	v_fmaak_f64 v[48:49], v[50:51], v[52:53], 0x3efa01a019f4ec90
	v_xor_b32_e32 v11, 0x80000000, v11
	s_delay_alu instid0(VALU_DEP_2) | instskip(NEXT) | instid1(VALU_DEP_1)
	v_fmaak_f64 v[48:49], v[50:51], v[48:49], 0xbf56c16c16c16967
	v_fmaak_f64 v[48:49], v[50:51], v[48:49], 0x3fa5555555555555
	v_fmac_f64_e32 v[68:69], 0xbfc5555555555555, v[70:71]
	v_add_f64_e32 v[40:41], v[56:57], v[40:41]
	s_delay_alu instid0(VALU_DEP_1) | instskip(NEXT) | instid1(VALU_DEP_1)
	v_dual_mul_f64 v[54:55], 0.5, v[50:51] :: v_dual_cndmask_b32 v10, v10, v40, vcc_lo
	v_add_f64_e64 v[58:59], -v[54:55], 1.0
	s_delay_alu instid0(VALU_DEP_2) | instskip(NEXT) | instid1(VALU_DEP_1)
	v_dual_cndmask_b32 v11, v11, v41, vcc_lo :: v_dual_cndmask_b32 v40, 0, v10, s4
	v_bitop3_b32 v11, v11, v12, 0x80000000 bitop3:0x78
	s_delay_alu instid0(VALU_DEP_1) | instskip(NEXT) | instid1(VALU_DEP_4)
	v_cndmask_b32_e64 v41, 0x7ff80000, v11, s4
	v_add_f64_e64 v[72:73], -v[58:59], 1.0
	s_delay_alu instid0(VALU_DEP_1) | instskip(SKIP_1) | instid1(VALU_DEP_2)
	v_add_f64_e64 v[54:55], v[72:73], -v[54:55]
	v_mul_f64_e32 v[72:73], v[50:51], v[50:51]
	v_fma_f64 v[44:45], v[42:43], -v[44:45], v[54:55]
	v_add_f64_e64 v[42:43], v[42:43], -v[68:69]
	s_delay_alu instid0(VALU_DEP_2) | instskip(NEXT) | instid1(VALU_DEP_1)
	v_fmac_f64_e32 v[44:45], v[72:73], v[48:49]
	v_add_f64_e32 v[44:45], v[58:59], v[44:45]
	s_delay_alu instid0(VALU_DEP_1) | instskip(NEXT) | instid1(VALU_DEP_1)
	v_dual_cndmask_b32 v38, v45, v43, s5 :: v_dual_cndmask_b32 v23, v44, v42, s5
	v_bitop3_b32 v12, v38, v13, 0x80000000 bitop3:0x78
	s_delay_alu instid0(VALU_DEP_2) | instskip(NEXT) | instid1(VALU_DEP_2)
	v_cndmask_b32_e64 v38, 0, v23, s4
	v_cndmask_b32_e64 v39, 0x7ff80000, v12, s4
.LBB247_370:                            ;   in Loop: Header=BB247_217 Depth=1
	s_or_b32 exec_lo, exec_lo, s6
                                        ; implicit-def: $vgpr10_vgpr11
.LBB247_371:                            ;   in Loop: Header=BB247_217 Depth=1
	s_and_not1_saveexec_b32 s5, s38
	s_cbranch_execz .LBB247_373
; %bb.372:                              ;   in Loop: Header=BB247_217 Depth=1
	v_mul_f64_e32 v[12:13], 0xbff71547652b82fe, v[10:11]
	v_cmp_ngt_f64_e32 vcc_lo, 0xc0900000, v[10:11]
	v_cmp_nlt_f64_e64 s4, 0x4090cc00, v[10:11]
	s_delay_alu instid0(VALU_DEP_3) | instskip(NEXT) | instid1(VALU_DEP_1)
	v_rndne_f64_e32 v[12:13], v[12:13]
	v_fma_f64 v[40:41], v[12:13], s[24:25], -v[10:11]
	v_cvt_i32_f64_e32 v23, v[12:13]
	s_delay_alu instid0(VALU_DEP_2) | instskip(NEXT) | instid1(VALU_DEP_1)
	v_fmac_f64_e32 v[40:41], 0xbc7abc9e3b39803f, v[12:13]
	v_fmamk_f64 v[42:43], v[40:41], 0x3e5ade156a5dcb37, v[24:25]
	s_delay_alu instid0(VALU_DEP_1) | instskip(NEXT) | instid1(VALU_DEP_1)
	v_fmaak_f64 v[42:43], v[40:41], v[42:43], 0x3ec71dee623fde64
	v_fmaak_f64 v[42:43], v[40:41], v[42:43], 0x3efa01997c89e6b0
	s_delay_alu instid0(VALU_DEP_1) | instskip(NEXT) | instid1(VALU_DEP_1)
	v_fmaak_f64 v[42:43], v[40:41], v[42:43], 0x3f2a01a014761f6e
	v_fmaak_f64 v[42:43], v[40:41], v[42:43], 0x3f56c16c1852b7b0
	;; [unrolled: 3-line block ×4, first 2 shown]
	s_delay_alu instid0(VALU_DEP_1) | instskip(NEXT) | instid1(VALU_DEP_1)
	v_fma_f64 v[42:43], v[40:41], v[42:43], 1.0
	v_fma_f64 v[12:13], v[40:41], v[42:43], 1.0
	s_delay_alu instid0(VALU_DEP_1) | instskip(NEXT) | instid1(VALU_DEP_1)
	v_ldexp_f64 v[12:13], v[12:13], v23
	v_cndmask_b32_e32 v13, 0x7ff00000, v13, vcc_lo
	s_and_b32 vcc_lo, s4, vcc_lo
	s_delay_alu instid0(VALU_DEP_1) | instid1(SALU_CYCLE_1)
	v_dual_cndmask_b32 v40, 0, v12, vcc_lo :: v_dual_cndmask_b32 v41, 0, v13, s4
.LBB247_373:                            ;   in Loop: Header=BB247_217 Depth=1
	s_or_b32 exec_lo, exec_lo, s5
	s_delay_alu instid0(VALU_DEP_1) | instskip(SKIP_1) | instid1(VALU_DEP_1)
	v_add_f64_e32 v[38:39], s[10:11], v[38:39]
	s_mov_b32 s4, exec_lo
	v_xor_b32_e32 v11, 0x80000000, v39
	s_delay_alu instid0(VALU_DEP_3) | instskip(NEXT) | instid1(VALU_DEP_1)
	v_add_f64_e32 v[40:41], s[8:9], v[40:41]
	v_cmp_gt_f64_e32 vcc_lo, 0, v[40:41]
	v_xor_b32_e32 v10, 0x80000000, v41
	s_delay_alu instid0(VALU_DEP_1) | instskip(SKIP_3) | instid1(VALU_DEP_1)
	v_cndmask_b32_e32 v43, v41, v10, vcc_lo
	v_cmp_gt_f64_e32 vcc_lo, 0, v[38:39]
	v_dual_cndmask_b32 v45, v39, v11 :: v_dual_mov_b32 v42, v40
	v_mov_b32_e32 v44, v38
                                        ; implicit-def: $vgpr12_vgpr13
	v_cmpx_ge_f64_e32 v[42:43], v[44:45]
	s_xor_b32 s5, exec_lo, s4
	s_cbranch_execz .LBB247_379
; %bb.374:                              ;   in Loop: Header=BB247_217 Depth=1
	v_cmp_neq_f64_e32 vcc_lo, 0, v[40:41]
	v_cmp_neq_f64_e64 s4, 0, v[38:39]
                                        ; implicit-def: $vgpr12_vgpr13
	s_or_b32 s4, vcc_lo, s4
	s_delay_alu instid0(SALU_CYCLE_1) | instskip(NEXT) | instid1(SALU_CYCLE_1)
	s_and_saveexec_b32 s6, s4
	s_xor_b32 s4, exec_lo, s6
	s_cbranch_execz .LBB247_376
; %bb.375:                              ;   in Loop: Header=BB247_217 Depth=1
	v_div_scale_f64 v[10:11], null, v[40:41], v[40:41], v[38:39]
	v_div_scale_f64 v[44:45], vcc_lo, v[38:39], v[40:41], v[38:39]
	s_delay_alu instid0(VALU_DEP_2) | instskip(SKIP_1) | instid1(TRANS32_DEP_1)
	v_rcp_f64_e32 v[12:13], v[10:11]
	v_nop
	v_fma_f64 v[42:43], -v[10:11], v[12:13], 1.0
	s_delay_alu instid0(VALU_DEP_1) | instskip(NEXT) | instid1(VALU_DEP_1)
	v_fmac_f64_e32 v[12:13], v[12:13], v[42:43]
	v_fma_f64 v[42:43], -v[10:11], v[12:13], 1.0
	s_delay_alu instid0(VALU_DEP_1) | instskip(NEXT) | instid1(VALU_DEP_1)
	v_fmac_f64_e32 v[12:13], v[12:13], v[42:43]
	v_mul_f64_e32 v[42:43], v[44:45], v[12:13]
	s_delay_alu instid0(VALU_DEP_1) | instskip(NEXT) | instid1(VALU_DEP_1)
	v_fma_f64 v[10:11], -v[10:11], v[42:43], v[44:45]
	v_div_fmas_f64 v[10:11], v[10:11], v[12:13], v[42:43]
	s_delay_alu instid0(VALU_DEP_1) | instskip(NEXT) | instid1(VALU_DEP_1)
	v_div_fixup_f64 v[10:11], v[10:11], v[40:41], v[38:39]
	v_fmac_f64_e32 v[40:41], v[38:39], v[10:11]
	s_delay_alu instid0(VALU_DEP_1) | instskip(SKIP_1) | instid1(VALU_DEP_2)
	v_div_scale_f64 v[12:13], null, v[40:41], v[40:41], 1.0
	v_div_scale_f64 v[44:45], vcc_lo, 1.0, v[40:41], 1.0
	v_rcp_f64_e32 v[38:39], v[12:13]
	v_nop
	s_delay_alu instid0(TRANS32_DEP_1) | instskip(NEXT) | instid1(VALU_DEP_1)
	v_fma_f64 v[42:43], -v[12:13], v[38:39], 1.0
	v_fmac_f64_e32 v[38:39], v[38:39], v[42:43]
	s_delay_alu instid0(VALU_DEP_1) | instskip(NEXT) | instid1(VALU_DEP_1)
	v_fma_f64 v[42:43], -v[12:13], v[38:39], 1.0
	v_fmac_f64_e32 v[38:39], v[38:39], v[42:43]
	s_delay_alu instid0(VALU_DEP_1) | instskip(NEXT) | instid1(VALU_DEP_1)
	v_mul_f64_e32 v[42:43], v[44:45], v[38:39]
	v_fma_f64 v[12:13], -v[12:13], v[42:43], v[44:45]
                                        ; implicit-def: $vgpr44_vgpr45
	s_delay_alu instid0(VALU_DEP_1) | instskip(SKIP_1) | instid1(VALU_DEP_2)
	v_div_fmas_f64 v[12:13], v[12:13], v[38:39], v[42:43]
	v_fma_f64 v[38:39], s[10:11], v[10:11], s[8:9]
                                        ; implicit-def: $vgpr42_vgpr43
	v_div_fixup_f64 v[12:13], v[12:13], v[40:41], 1.0
	v_fma_f64 v[40:41], -s[8:9], v[10:11], s[10:11]
	s_delay_alu instid0(VALU_DEP_2) | instskip(NEXT) | instid1(VALU_DEP_2)
	v_mul_f64_e32 v[10:11], v[38:39], v[12:13]
	v_mul_f64_e32 v[12:13], v[40:41], v[12:13]
.LBB247_376:                            ;   in Loop: Header=BB247_217 Depth=1
	s_and_not1_saveexec_b32 s6, s4
	s_cbranch_execz .LBB247_378
; %bb.377:                              ;   in Loop: Header=BB247_217 Depth=1
	v_div_scale_f64 v[10:11], null, v[42:43], v[42:43], s[8:9]
	v_div_scale_f64 v[12:13], null, v[44:45], v[44:45], s[10:11]
	v_div_scale_f64 v[50:51], vcc_lo, s[8:9], v[42:43], s[8:9]
	s_delay_alu instid0(VALU_DEP_3) | instskip(NEXT) | instid1(VALU_DEP_2)
	v_rcp_f64_e32 v[38:39], v[10:11]
	v_rcp_f64_e32 v[40:41], v[12:13]
	s_delay_alu instid0(TRANS32_DEP_2) | instskip(NEXT) | instid1(TRANS32_DEP_1)
	v_fma_f64 v[46:47], -v[10:11], v[38:39], 1.0
	v_fma_f64 v[48:49], -v[12:13], v[40:41], 1.0
	s_delay_alu instid0(VALU_DEP_2) | instskip(NEXT) | instid1(VALU_DEP_2)
	v_fmac_f64_e32 v[38:39], v[38:39], v[46:47]
	v_fmac_f64_e32 v[40:41], v[40:41], v[48:49]
	s_delay_alu instid0(VALU_DEP_2) | instskip(NEXT) | instid1(VALU_DEP_2)
	v_fma_f64 v[46:47], -v[10:11], v[38:39], 1.0
	v_fma_f64 v[48:49], -v[12:13], v[40:41], 1.0
	s_delay_alu instid0(VALU_DEP_2) | instskip(SKIP_1) | instid1(VALU_DEP_3)
	v_fmac_f64_e32 v[38:39], v[38:39], v[46:47]
	v_div_scale_f64 v[46:47], s4, s[10:11], v[44:45], s[10:11]
	v_fmac_f64_e32 v[40:41], v[40:41], v[48:49]
	s_delay_alu instid0(VALU_DEP_3) | instskip(NEXT) | instid1(VALU_DEP_2)
	v_mul_f64_e32 v[48:49], v[50:51], v[38:39]
	v_mul_f64_e32 v[52:53], v[46:47], v[40:41]
	s_delay_alu instid0(VALU_DEP_2) | instskip(NEXT) | instid1(VALU_DEP_2)
	v_fma_f64 v[10:11], -v[10:11], v[48:49], v[50:51]
	v_fma_f64 v[12:13], -v[12:13], v[52:53], v[46:47]
	s_delay_alu instid0(VALU_DEP_2) | instskip(SKIP_1) | instid1(VALU_DEP_2)
	v_div_fmas_f64 v[10:11], v[10:11], v[38:39], v[48:49]
	s_mov_b32 vcc_lo, s4
	v_div_fmas_f64 v[12:13], v[12:13], v[40:41], v[52:53]
	s_delay_alu instid0(VALU_DEP_2) | instskip(NEXT) | instid1(VALU_DEP_2)
	v_div_fixup_f64 v[10:11], v[10:11], v[42:43], s[8:9]
	v_div_fixup_f64 v[12:13], v[12:13], v[44:45], s[10:11]
.LBB247_378:                            ;   in Loop: Header=BB247_217 Depth=1
	s_or_b32 exec_lo, exec_lo, s6
                                        ; implicit-def: $vgpr38_vgpr39
                                        ; implicit-def: $vgpr40_vgpr41
.LBB247_379:                            ;   in Loop: Header=BB247_217 Depth=1
	s_and_not1_saveexec_b32 s4, s5
	s_cbranch_execz .LBB247_381
; %bb.380:                              ;   in Loop: Header=BB247_217 Depth=1
	v_div_scale_f64 v[10:11], null, v[38:39], v[38:39], v[40:41]
	v_div_scale_f64 v[44:45], vcc_lo, v[40:41], v[38:39], v[40:41]
	s_delay_alu instid0(VALU_DEP_2) | instskip(SKIP_1) | instid1(TRANS32_DEP_1)
	v_rcp_f64_e32 v[12:13], v[10:11]
	v_nop
	v_fma_f64 v[42:43], -v[10:11], v[12:13], 1.0
	s_delay_alu instid0(VALU_DEP_1) | instskip(NEXT) | instid1(VALU_DEP_1)
	v_fmac_f64_e32 v[12:13], v[12:13], v[42:43]
	v_fma_f64 v[42:43], -v[10:11], v[12:13], 1.0
	s_delay_alu instid0(VALU_DEP_1) | instskip(NEXT) | instid1(VALU_DEP_1)
	v_fmac_f64_e32 v[12:13], v[12:13], v[42:43]
	v_mul_f64_e32 v[42:43], v[44:45], v[12:13]
	s_delay_alu instid0(VALU_DEP_1) | instskip(NEXT) | instid1(VALU_DEP_1)
	v_fma_f64 v[10:11], -v[10:11], v[42:43], v[44:45]
	v_div_fmas_f64 v[10:11], v[10:11], v[12:13], v[42:43]
	s_delay_alu instid0(VALU_DEP_1) | instskip(NEXT) | instid1(VALU_DEP_1)
	v_div_fixup_f64 v[10:11], v[10:11], v[38:39], v[40:41]
	v_fmac_f64_e32 v[38:39], v[40:41], v[10:11]
	s_delay_alu instid0(VALU_DEP_1) | instskip(SKIP_1) | instid1(VALU_DEP_2)
	v_div_scale_f64 v[12:13], null, v[38:39], v[38:39], 1.0
	v_div_scale_f64 v[44:45], vcc_lo, 1.0, v[38:39], 1.0
	v_rcp_f64_e32 v[40:41], v[12:13]
	v_nop
	s_delay_alu instid0(TRANS32_DEP_1) | instskip(NEXT) | instid1(VALU_DEP_1)
	v_fma_f64 v[42:43], -v[12:13], v[40:41], 1.0
	v_fmac_f64_e32 v[40:41], v[40:41], v[42:43]
	s_delay_alu instid0(VALU_DEP_1) | instskip(NEXT) | instid1(VALU_DEP_1)
	v_fma_f64 v[42:43], -v[12:13], v[40:41], 1.0
	v_fmac_f64_e32 v[40:41], v[40:41], v[42:43]
	s_delay_alu instid0(VALU_DEP_1) | instskip(NEXT) | instid1(VALU_DEP_1)
	v_mul_f64_e32 v[42:43], v[44:45], v[40:41]
	v_fma_f64 v[12:13], -v[12:13], v[42:43], v[44:45]
	s_delay_alu instid0(VALU_DEP_1) | instskip(SKIP_1) | instid1(VALU_DEP_2)
	v_div_fmas_f64 v[12:13], v[12:13], v[40:41], v[42:43]
	v_fma_f64 v[40:41], s[8:9], v[10:11], s[10:11]
	v_div_fixup_f64 v[12:13], v[12:13], v[38:39], 1.0
	v_fma_f64 v[38:39], s[10:11], v[10:11], -s[8:9]
	s_delay_alu instid0(VALU_DEP_2) | instskip(NEXT) | instid1(VALU_DEP_2)
	v_mul_f64_e32 v[10:11], v[40:41], v[12:13]
	v_mul_f64_e32 v[12:13], v[38:39], v[12:13]
.LBB247_381:                            ;   in Loop: Header=BB247_217 Depth=1
	s_or_b32 exec_lo, exec_lo, s4
	v_xor_b32_e32 v39, 0x80000000, v5
	v_mov_b32_e32 v38, v4
                                        ; implicit-def: $vgpr40_vgpr41
	s_mov_b32 s4, exec_lo
	s_delay_alu instid0(VALU_DEP_2) | instskip(NEXT) | instid1(VALU_DEP_1)
	v_and_b32_e32 v44, 0x7fffffff, v39
	v_or_b32_e32 v23, v44, v4
	s_delay_alu instid0(VALU_DEP_1)
	v_cmpx_ne_u32_e32 0, v23
	s_xor_b32 s38, exec_lo, s4
	s_cbranch_execz .LBB247_423
; %bb.382:                              ;   in Loop: Header=BB247_217 Depth=1
	v_xor_b32_e32 v43, 0x80000000, v3
                                        ; implicit-def: $vgpr40_vgpr41
	s_mov_b32 s4, exec_lo
	v_mov_b32_e32 v42, v2
	s_delay_alu instid0(VALU_DEP_2) | instskip(NEXT) | instid1(VALU_DEP_1)
	v_and_b32_e32 v23, 0x7fffffff, v43
	v_or_b32_e32 v38, v23, v2
	s_delay_alu instid0(VALU_DEP_1)
	v_cmpx_ne_u32_e32 0, v38
	s_xor_b32 s39, exec_lo, s4
	s_cbranch_execz .LBB247_412
; %bb.383:                              ;   in Loop: Header=BB247_217 Depth=1
                                        ; implicit-def: $vgpr40_vgpr41
	s_mov_b32 s4, exec_lo
	v_cmpx_gt_u32_e32 0x7ff00000, v44
	s_xor_b32 s40, exec_lo, s4
	s_cbranch_execz .LBB247_405
; %bb.384:                              ;   in Loop: Header=BB247_217 Depth=1
	v_add_nc_u32_e32 v23, 0xbf79d1be, v43
                                        ; implicit-def: $vgpr40_vgpr41
	s_mov_b32 s4, exec_lo
	s_delay_alu instid0(VALU_DEP_1)
	v_cmpx_lt_u32_e32 0x108aa2, v23
	s_xor_b32 s41, exec_lo, s4
	s_cbranch_execz .LBB247_394
; %bb.385:                              ;   in Loop: Header=BB247_217 Depth=1
	v_cmp_ngt_f64_e64 s4, 0x41d00000, |v[4:5]|
                                        ; implicit-def: $vgpr38
                                        ; implicit-def: $vgpr40_vgpr41
                                        ; implicit-def: $vgpr42_vgpr43
	s_and_saveexec_b32 s5, s4
	s_delay_alu instid0(SALU_CYCLE_1)
	s_xor_b32 s5, exec_lo, s5
	s_cbranch_execz .LBB247_387
; %bb.386:                              ;   in Loop: Header=BB247_217 Depth=1
	v_ldexp_f64 v[40:41], |v[4:5]|, 0xffffff80
	v_cmp_le_f64_e64 vcc_lo, 0x7b000000, |v[4:5]|
	v_trig_preop_f64 v[42:43], |v[4:5]|, 0
	v_and_b32_e32 v23, 0x7fffffff, v5
	v_trig_preop_f64 v[44:45], |v[4:5]|, 1
	v_trig_preop_f64 v[54:55], |v[4:5]|, 2
	s_delay_alu instid0(VALU_DEP_3) | instskip(NEXT) | instid1(VALU_DEP_1)
	v_dual_cndmask_b32 v41, v23, v41 :: v_dual_cndmask_b32 v40, v4, v40
	v_mul_f64_e32 v[46:47], v[42:43], v[40:41]
	s_delay_alu instid0(VALU_DEP_4) | instskip(NEXT) | instid1(VALU_DEP_4)
	v_mul_f64_e32 v[48:49], v[44:45], v[40:41]
	v_mul_f64_e32 v[60:61], v[54:55], v[40:41]
	s_delay_alu instid0(VALU_DEP_3) | instskip(NEXT) | instid1(VALU_DEP_3)
	v_fma_f64 v[42:43], v[42:43], v[40:41], -v[46:47]
	v_fma_f64 v[44:45], v[44:45], v[40:41], -v[48:49]
	s_delay_alu instid0(VALU_DEP_3) | instskip(NEXT) | instid1(VALU_DEP_3)
	v_fma_f64 v[40:41], v[54:55], v[40:41], -v[60:61]
	v_add_f64_e32 v[50:51], v[48:49], v[42:43]
	s_delay_alu instid0(VALU_DEP_1) | instskip(SKIP_1) | instid1(VALU_DEP_2)
	v_add_f64_e64 v[52:53], v[50:51], -v[48:49]
	v_add_f64_e32 v[58:59], v[46:47], v[50:51]
	v_add_f64_e64 v[56:57], v[50:51], -v[52:53]
	v_add_f64_e64 v[42:43], v[42:43], -v[52:53]
	s_delay_alu instid0(VALU_DEP_3) | instskip(NEXT) | instid1(VALU_DEP_3)
	v_ldexp_f64 v[52:53], v[58:59], -2
	v_add_f64_e64 v[48:49], v[48:49], -v[56:57]
	v_add_f64_e32 v[56:57], v[60:61], v[44:45]
	s_delay_alu instid0(VALU_DEP_3) | instskip(NEXT) | instid1(VALU_DEP_3)
	v_cmp_neq_f64_e64 vcc_lo, 0x7ff00000, |v[52:53]|
	v_add_f64_e32 v[42:43], v[42:43], v[48:49]
	v_fract_f64_e32 v[48:49], v[52:53]
	s_delay_alu instid0(VALU_DEP_1) | instskip(NEXT) | instid1(VALU_DEP_1)
	v_ldexp_f64 v[48:49], v[48:49], 2
	v_dual_add_f64 v[46:47], v[58:59], -v[46:47] :: v_dual_cndmask_b32 v48, 0, v48, vcc_lo
	s_delay_alu instid0(VALU_DEP_1) | instskip(SKIP_1) | instid1(VALU_DEP_1)
	v_dual_add_f64 v[46:47], v[50:51], -v[46:47] :: v_dual_cndmask_b32 v49, 0, v49, vcc_lo
	v_add_f64_e32 v[50:51], v[56:57], v[42:43]
	v_add_f64_e32 v[52:53], v[46:47], v[50:51]
	v_add_f64_e64 v[62:63], v[50:51], -v[56:57]
	s_delay_alu instid0(VALU_DEP_2) | instskip(NEXT) | instid1(VALU_DEP_2)
	v_add_f64_e32 v[58:59], v[52:53], v[48:49]
	v_add_f64_e64 v[68:69], v[50:51], -v[62:63]
	v_add_f64_e64 v[42:43], v[42:43], -v[62:63]
	;; [unrolled: 1-line block ×3, first 2 shown]
	s_delay_alu instid0(VALU_DEP_4) | instskip(SKIP_1) | instid1(VALU_DEP_3)
	v_cmp_gt_f64_e32 vcc_lo, 0, v[58:59]
	v_add_f64_e64 v[58:59], v[56:57], -v[60:61]
	v_add_f64_e64 v[46:47], v[50:51], -v[46:47]
	v_cndmask_b32_e64 v23, 0, 0x40100000, vcc_lo
	s_delay_alu instid0(VALU_DEP_3) | instskip(SKIP_2) | instid1(VALU_DEP_4)
	v_add_f64_e64 v[66:67], v[56:57], -v[58:59]
	v_add_f64_e64 v[44:45], v[44:45], -v[58:59]
	v_add_f64_e64 v[56:57], v[56:57], -v[68:69]
	v_add_f64_e32 v[48:49], v[48:49], v[22:23]
	s_delay_alu instid0(VALU_DEP_4) | instskip(NEXT) | instid1(VALU_DEP_3)
	v_add_f64_e64 v[58:59], v[60:61], -v[66:67]
	v_add_f64_e32 v[42:43], v[42:43], v[56:57]
	s_delay_alu instid0(VALU_DEP_3) | instskip(NEXT) | instid1(VALU_DEP_3)
	v_add_f64_e32 v[64:65], v[52:53], v[48:49]
	v_add_f64_e32 v[44:45], v[44:45], v[58:59]
	s_delay_alu instid0(VALU_DEP_2) | instskip(NEXT) | instid1(VALU_DEP_2)
	v_cvt_i32_f64_e32 v23, v[64:65]
	v_add_f64_e32 v[42:43], v[44:45], v[42:43]
	s_delay_alu instid0(VALU_DEP_2) | instskip(NEXT) | instid1(VALU_DEP_2)
	v_cvt_f64_i32_e32 v[62:63], v23
	v_add_f64_e32 v[40:41], v[40:41], v[42:43]
	s_delay_alu instid0(VALU_DEP_2) | instskip(NEXT) | instid1(VALU_DEP_2)
	v_add_f64_e64 v[48:49], v[48:49], -v[62:63]
	v_add_f64_e32 v[40:41], v[46:47], v[40:41]
	s_delay_alu instid0(VALU_DEP_2) | instskip(NEXT) | instid1(VALU_DEP_1)
	v_add_f64_e32 v[44:45], v[52:53], v[48:49]
	v_add_f64_e64 v[42:43], v[44:45], -v[48:49]
	v_cmp_le_f64_e32 vcc_lo, 0.5, v[44:45]
	s_delay_alu instid0(VALU_DEP_2) | instskip(SKIP_2) | instid1(VALU_DEP_3)
	v_add_f64_e64 v[42:43], v[52:53], -v[42:43]
	v_add_co_ci_u32_e64 v38, null, 0, v23, vcc_lo
	v_cndmask_b32_e64 v23, 0, 0x3ff00000, vcc_lo
	v_add_f64_e32 v[40:41], v[40:41], v[42:43]
	s_delay_alu instid0(VALU_DEP_2) | instskip(NEXT) | instid1(VALU_DEP_1)
	v_add_f64_e64 v[42:43], v[44:45], -v[22:23]
	v_add_f64_e32 v[44:45], v[42:43], v[40:41]
	s_delay_alu instid0(VALU_DEP_1) | instskip(SKIP_1) | instid1(VALU_DEP_2)
	v_mul_f64_e32 v[46:47], 0x3ff921fb54442d18, v[44:45]
	v_add_f64_e64 v[42:43], v[44:45], -v[42:43]
	v_fma_f64 v[48:49], v[44:45], s[18:19], -v[46:47]
	s_delay_alu instid0(VALU_DEP_2) | instskip(NEXT) | instid1(VALU_DEP_2)
	v_add_f64_e64 v[40:41], v[40:41], -v[42:43]
	v_fmac_f64_e32 v[48:49], 0x3c91a62633145c07, v[44:45]
	s_delay_alu instid0(VALU_DEP_1) | instskip(NEXT) | instid1(VALU_DEP_1)
	v_fmac_f64_e32 v[48:49], 0x3ff921fb54442d18, v[40:41]
	v_add_f64_e32 v[40:41], v[46:47], v[48:49]
	s_delay_alu instid0(VALU_DEP_1) | instskip(NEXT) | instid1(VALU_DEP_1)
	v_add_f64_e64 v[42:43], v[40:41], -v[46:47]
	v_add_f64_e64 v[42:43], v[48:49], -v[42:43]
	s_and_not1_saveexec_b32 s5, s5
	s_cbranch_execz .LBB247_389
	s_branch .LBB247_388
.LBB247_387:                            ;   in Loop: Header=BB247_217 Depth=1
	s_and_not1_saveexec_b32 s5, s5
	s_cbranch_execz .LBB247_389
.LBB247_388:                            ;   in Loop: Header=BB247_217 Depth=1
	v_mul_f64_e64 v[40:41], |v[4:5]|, s[20:21]
	s_delay_alu instid0(VALU_DEP_1) | instskip(NEXT) | instid1(VALU_DEP_1)
	v_rndne_f64_e32 v[44:45], v[40:41]
	v_fma_f64 v[40:41], v[44:45], s[22:23], |v[4:5]|
	v_mul_f64_e32 v[42:43], 0xbc91a62633145c00, v[44:45]
	v_cvt_i32_f64_e32 v38, v[44:45]
	s_delay_alu instid0(VALU_DEP_3) | instskip(NEXT) | instid1(VALU_DEP_3)
	v_fmamk_f64 v[50:51], v[44:45], 0xbc91a62633145c00, v[40:41]
	v_add_f64_e32 v[46:47], v[40:41], v[42:43]
	s_delay_alu instid0(VALU_DEP_1) | instskip(NEXT) | instid1(VALU_DEP_3)
	v_add_f64_e64 v[48:49], v[40:41], -v[46:47]
	v_add_f64_e64 v[40:41], v[46:47], -v[50:51]
	s_delay_alu instid0(VALU_DEP_2) | instskip(SKIP_1) | instid1(VALU_DEP_2)
	v_add_f64_e32 v[46:47], v[48:49], v[42:43]
	v_fmamk_f64 v[42:43], v[44:45], 0x3c91a62633145c00, v[42:43]
	v_add_f64_e32 v[40:41], v[40:41], v[46:47]
	s_delay_alu instid0(VALU_DEP_1) | instskip(NEXT) | instid1(VALU_DEP_1)
	v_add_f64_e64 v[42:43], v[40:41], -v[42:43]
	v_fmac_f64_e32 v[42:43], 0xb97b839a252049c0, v[44:45]
	s_delay_alu instid0(VALU_DEP_1) | instskip(NEXT) | instid1(VALU_DEP_1)
	v_add_f64_e32 v[40:41], v[50:51], v[42:43]
	v_add_f64_e64 v[46:47], v[40:41], -v[50:51]
	s_delay_alu instid0(VALU_DEP_1)
	v_add_f64_e64 v[42:43], v[42:43], -v[46:47]
.LBB247_389:                            ;   in Loop: Header=BB247_217 Depth=1
	s_or_b32 exec_lo, exec_lo, s5
                                        ; implicit-def: $vgpr48
                                        ; implicit-def: $vgpr44_vgpr45
                                        ; implicit-def: $vgpr46_vgpr47
	s_and_saveexec_b32 s5, s4
	s_delay_alu instid0(SALU_CYCLE_1)
	s_xor_b32 s4, exec_lo, s5
	s_cbranch_execz .LBB247_391
; %bb.390:                              ;   in Loop: Header=BB247_217 Depth=1
	v_ldexp_f64 v[44:45], |v[4:5]|, 0xffffff80
	v_cmp_le_f64_e64 vcc_lo, 0x7b000000, |v[4:5]|
	v_trig_preop_f64 v[46:47], |v[4:5]|, 0
	v_and_b32_e32 v23, 0x7fffffff, v5
	v_trig_preop_f64 v[48:49], |v[4:5]|, 1
	v_trig_preop_f64 v[58:59], |v[4:5]|, 2
	s_delay_alu instid0(VALU_DEP_3) | instskip(NEXT) | instid1(VALU_DEP_1)
	v_dual_cndmask_b32 v45, v23, v45 :: v_dual_cndmask_b32 v44, v4, v44
	v_mul_f64_e32 v[50:51], v[46:47], v[44:45]
	s_delay_alu instid0(VALU_DEP_4) | instskip(NEXT) | instid1(VALU_DEP_4)
	v_mul_f64_e32 v[52:53], v[48:49], v[44:45]
	v_mul_f64_e32 v[64:65], v[58:59], v[44:45]
	s_delay_alu instid0(VALU_DEP_3) | instskip(NEXT) | instid1(VALU_DEP_3)
	v_fma_f64 v[46:47], v[46:47], v[44:45], -v[50:51]
	v_fma_f64 v[48:49], v[48:49], v[44:45], -v[52:53]
	s_delay_alu instid0(VALU_DEP_3) | instskip(NEXT) | instid1(VALU_DEP_3)
	v_fma_f64 v[44:45], v[58:59], v[44:45], -v[64:65]
	v_add_f64_e32 v[54:55], v[52:53], v[46:47]
	s_delay_alu instid0(VALU_DEP_1) | instskip(SKIP_1) | instid1(VALU_DEP_2)
	v_add_f64_e64 v[56:57], v[54:55], -v[52:53]
	v_add_f64_e32 v[62:63], v[50:51], v[54:55]
	v_add_f64_e64 v[60:61], v[54:55], -v[56:57]
	v_add_f64_e64 v[46:47], v[46:47], -v[56:57]
	s_delay_alu instid0(VALU_DEP_3) | instskip(NEXT) | instid1(VALU_DEP_3)
	v_ldexp_f64 v[56:57], v[62:63], -2
	v_add_f64_e64 v[52:53], v[52:53], -v[60:61]
	v_add_f64_e32 v[60:61], v[64:65], v[48:49]
	s_delay_alu instid0(VALU_DEP_3) | instskip(NEXT) | instid1(VALU_DEP_3)
	v_cmp_neq_f64_e64 vcc_lo, 0x7ff00000, |v[56:57]|
	v_add_f64_e32 v[46:47], v[46:47], v[52:53]
	v_fract_f64_e32 v[52:53], v[56:57]
	s_delay_alu instid0(VALU_DEP_1) | instskip(NEXT) | instid1(VALU_DEP_1)
	v_ldexp_f64 v[52:53], v[52:53], 2
	v_dual_add_f64 v[50:51], v[62:63], -v[50:51] :: v_dual_cndmask_b32 v52, 0, v52, vcc_lo
	s_delay_alu instid0(VALU_DEP_1) | instskip(SKIP_1) | instid1(VALU_DEP_1)
	v_dual_add_f64 v[50:51], v[54:55], -v[50:51] :: v_dual_cndmask_b32 v53, 0, v53, vcc_lo
	v_add_f64_e32 v[54:55], v[60:61], v[46:47]
	v_add_f64_e32 v[56:57], v[50:51], v[54:55]
	v_add_f64_e64 v[66:67], v[54:55], -v[60:61]
	s_delay_alu instid0(VALU_DEP_2) | instskip(NEXT) | instid1(VALU_DEP_2)
	v_add_f64_e32 v[62:63], v[56:57], v[52:53]
	v_add_f64_e64 v[72:73], v[54:55], -v[66:67]
	v_add_f64_e64 v[46:47], v[46:47], -v[66:67]
	;; [unrolled: 1-line block ×3, first 2 shown]
	s_delay_alu instid0(VALU_DEP_4) | instskip(SKIP_2) | instid1(VALU_DEP_2)
	v_cmp_gt_f64_e32 vcc_lo, 0, v[62:63]
	v_add_f64_e64 v[62:63], v[60:61], -v[64:65]
	v_cndmask_b32_e64 v23, 0, 0x40100000, vcc_lo
	v_add_f64_e64 v[70:71], v[60:61], -v[62:63]
	v_add_f64_e64 v[48:49], v[48:49], -v[62:63]
	;; [unrolled: 1-line block ×3, first 2 shown]
	s_delay_alu instid0(VALU_DEP_4) | instskip(NEXT) | instid1(VALU_DEP_4)
	v_add_f64_e32 v[52:53], v[52:53], v[22:23]
	v_add_f64_e64 v[62:63], v[64:65], -v[70:71]
	s_delay_alu instid0(VALU_DEP_3) | instskip(NEXT) | instid1(VALU_DEP_3)
	v_add_f64_e32 v[46:47], v[46:47], v[60:61]
	v_add_f64_e32 v[68:69], v[56:57], v[52:53]
	s_delay_alu instid0(VALU_DEP_3) | instskip(NEXT) | instid1(VALU_DEP_2)
	v_add_f64_e32 v[48:49], v[48:49], v[62:63]
	v_cvt_i32_f64_e32 v23, v[68:69]
	s_delay_alu instid0(VALU_DEP_2) | instskip(SKIP_1) | instid1(VALU_DEP_3)
	v_add_f64_e32 v[46:47], v[48:49], v[46:47]
	v_add_f64_e64 v[48:49], v[54:55], -v[50:51]
	v_cvt_f64_i32_e32 v[66:67], v23
	s_delay_alu instid0(VALU_DEP_3) | instskip(NEXT) | instid1(VALU_DEP_2)
	v_add_f64_e32 v[44:45], v[44:45], v[46:47]
	v_add_f64_e64 v[52:53], v[52:53], -v[66:67]
	s_delay_alu instid0(VALU_DEP_2) | instskip(NEXT) | instid1(VALU_DEP_2)
	v_add_f64_e32 v[44:45], v[48:49], v[44:45]
	v_add_f64_e32 v[58:59], v[56:57], v[52:53]
	s_delay_alu instid0(VALU_DEP_1) | instskip(SKIP_1) | instid1(VALU_DEP_2)
	v_add_f64_e64 v[46:47], v[58:59], -v[52:53]
	v_cmp_le_f64_e32 vcc_lo, 0.5, v[58:59]
	v_add_f64_e64 v[46:47], v[56:57], -v[46:47]
	v_add_co_ci_u32_e64 v48, null, 0, v23, vcc_lo
	v_cndmask_b32_e64 v23, 0, 0x3ff00000, vcc_lo
	s_delay_alu instid0(VALU_DEP_3) | instskip(NEXT) | instid1(VALU_DEP_2)
	v_add_f64_e32 v[44:45], v[44:45], v[46:47]
	v_add_f64_e64 v[46:47], v[58:59], -v[22:23]
	s_delay_alu instid0(VALU_DEP_1) | instskip(NEXT) | instid1(VALU_DEP_1)
	v_add_f64_e32 v[50:51], v[46:47], v[44:45]
	v_mul_f64_e32 v[52:53], 0x3ff921fb54442d18, v[50:51]
	v_add_f64_e64 v[46:47], v[50:51], -v[46:47]
	s_delay_alu instid0(VALU_DEP_2) | instskip(NEXT) | instid1(VALU_DEP_2)
	v_fma_f64 v[54:55], v[50:51], s[18:19], -v[52:53]
	v_add_f64_e64 v[44:45], v[44:45], -v[46:47]
	s_delay_alu instid0(VALU_DEP_2) | instskip(NEXT) | instid1(VALU_DEP_1)
	v_fmac_f64_e32 v[54:55], 0x3c91a62633145c07, v[50:51]
	v_fmac_f64_e32 v[54:55], 0x3ff921fb54442d18, v[44:45]
	s_delay_alu instid0(VALU_DEP_1) | instskip(NEXT) | instid1(VALU_DEP_1)
	v_add_f64_e32 v[44:45], v[52:53], v[54:55]
	v_add_f64_e64 v[46:47], v[44:45], -v[52:53]
	s_delay_alu instid0(VALU_DEP_1)
	v_add_f64_e64 v[46:47], v[54:55], -v[46:47]
	s_and_not1_saveexec_b32 s4, s4
	s_cbranch_execnz .LBB247_392
	s_branch .LBB247_393
.LBB247_391:                            ;   in Loop: Header=BB247_217 Depth=1
	s_and_not1_saveexec_b32 s4, s4
	s_cbranch_execz .LBB247_393
.LBB247_392:                            ;   in Loop: Header=BB247_217 Depth=1
	v_mul_f64_e64 v[44:45], |v[4:5]|, s[20:21]
	s_delay_alu instid0(VALU_DEP_1) | instskip(NEXT) | instid1(VALU_DEP_1)
	v_rndne_f64_e32 v[48:49], v[44:45]
	v_fma_f64 v[44:45], v[48:49], s[22:23], |v[4:5]|
	v_mul_f64_e32 v[46:47], 0xbc91a62633145c00, v[48:49]
	s_delay_alu instid0(VALU_DEP_2) | instskip(NEXT) | instid1(VALU_DEP_2)
	v_fmamk_f64 v[54:55], v[48:49], 0xbc91a62633145c00, v[44:45]
	v_add_f64_e32 v[50:51], v[44:45], v[46:47]
	s_delay_alu instid0(VALU_DEP_1) | instskip(NEXT) | instid1(VALU_DEP_3)
	v_add_f64_e64 v[52:53], v[44:45], -v[50:51]
	v_add_f64_e64 v[44:45], v[50:51], -v[54:55]
	s_delay_alu instid0(VALU_DEP_2) | instskip(SKIP_1) | instid1(VALU_DEP_2)
	v_add_f64_e32 v[50:51], v[52:53], v[46:47]
	v_fmamk_f64 v[46:47], v[48:49], 0x3c91a62633145c00, v[46:47]
	v_add_f64_e32 v[44:45], v[44:45], v[50:51]
	s_delay_alu instid0(VALU_DEP_1) | instskip(NEXT) | instid1(VALU_DEP_1)
	v_add_f64_e64 v[46:47], v[44:45], -v[46:47]
	v_fmac_f64_e32 v[46:47], 0xb97b839a252049c0, v[48:49]
	v_cvt_i32_f64_e32 v48, v[48:49]
	s_delay_alu instid0(VALU_DEP_2) | instskip(NEXT) | instid1(VALU_DEP_1)
	v_add_f64_e32 v[44:45], v[54:55], v[46:47]
	v_add_f64_e64 v[50:51], v[44:45], -v[54:55]
	s_delay_alu instid0(VALU_DEP_1)
	v_add_f64_e64 v[46:47], v[46:47], -v[50:51]
.LBB247_393:                            ;   in Loop: Header=BB247_217 Depth=1
	s_or_b32 exec_lo, exec_lo, s4
	v_mul_f64_e32 v[50:51], 0xbff71547652b82fe, v[2:3]
	v_mul_f64_e32 v[52:53], v[40:41], v[40:41]
	s_delay_alu instid0(VALU_DEP_3)
	v_mul_f64_e32 v[66:67], 0.5, v[42:43]
	v_cmp_class_f64_e64 s4, v[4:5], 0x1f8
	v_lshlrev_b32_e32 v4, 30, v48
	v_mul_f64_e32 v[54:55], v[44:45], v[44:45]
	v_cmp_ngt_f64_e64 s5, 0xc0900000, v[2:3]
	v_cmp_nlt_f64_e64 s6, 0x4090cc00, v[2:3]
	v_rndne_f64_e32 v[50:51], v[50:51]
	v_mul_f64_e32 v[56:57], 0.5, v[52:53]
	s_delay_alu instid0(VALU_DEP_2) | instskip(NEXT) | instid1(VALU_DEP_2)
	v_fma_f64 v[58:59], v[50:51], s[24:25], -v[2:3]
	v_add_f64_e64 v[62:63], -v[56:57], 1.0
	v_cvt_i32_f64_e32 v23, v[50:51]
	v_and_b32_e32 v2, 1, v48
	s_delay_alu instid0(VALU_DEP_1) | instskip(SKIP_3) | instid1(VALU_DEP_2)
	v_cmp_eq_u32_e64 s7, 0, v2
	v_mul_f64_e32 v[76:77], 0.5, v[46:47]
	v_fmac_f64_e32 v[58:59], 0xbc7abc9e3b39803f, v[50:51]
	v_add_f64_e64 v[70:71], -v[62:63], 1.0
	v_fmamk_f64 v[74:75], v[58:59], 0x3e5ade156a5dcb37, v[24:25]
	s_delay_alu instid0(VALU_DEP_2) | instskip(NEXT) | instid1(VALU_DEP_2)
	v_add_f64_e64 v[56:57], v[70:71], -v[56:57]
	v_fmaak_f64 v[74:75], v[58:59], v[74:75], 0x3ec71dee623fde64
	s_delay_alu instid0(VALU_DEP_1) | instskip(NEXT) | instid1(VALU_DEP_1)
	v_fmaak_f64 v[74:75], v[58:59], v[74:75], 0x3efa01997c89e6b0
	v_fmaak_f64 v[74:75], v[58:59], v[74:75], 0x3f2a01a014761f6e
	s_delay_alu instid0(VALU_DEP_1) | instskip(NEXT) | instid1(VALU_DEP_1)
	v_fmaak_f64 v[70:71], v[58:59], v[74:75], 0x3f56c16c1852b7b0
	;; [unrolled: 3-line block ×4, first 2 shown]
	v_fma_f64 v[70:71], v[58:59], v[70:71], 1.0
	s_delay_alu instid0(VALU_DEP_1) | instskip(NEXT) | instid1(VALU_DEP_1)
	v_fma_f64 v[50:51], v[58:59], v[70:71], 1.0
	v_ldexp_f64 v[50:51], v[50:51], v23
	v_and_b32_e32 v23, 1, v38
	v_fmamk_f64 v[72:73], v[52:53], 0x3de5e0b2f9a43bb8, v[28:29]
	v_lshlrev_b32_e32 v38, 30, v38
	v_mul_f64_e32 v[60:61], 0.5, v[54:55]
	v_mul_f64_e64 v[78:79], v[44:45], -v[54:55]
	v_cmp_eq_u32_e32 vcc_lo, 0, v23
	v_mul_f64_e64 v[68:69], v[40:41], -v[52:53]
	v_fmamk_f64 v[82:83], v[54:55], 0x3de5e0b2f9a43bb8, v[28:29]
	v_fmaak_f64 v[72:73], v[52:53], v[72:73], 0x3ec71de3796cde01
	v_mul_f64_e32 v[74:75], v[52:53], v[52:53]
	s_delay_alu instid0(VALU_DEP_2) | instskip(NEXT) | instid1(VALU_DEP_1)
	v_fmaak_f64 v[72:73], v[52:53], v[72:73], 0xbf2a01a019e83e5c
	v_fmaak_f64 v[72:73], v[52:53], v[72:73], 0x3f81111111110bb3
	v_cndmask_b32_e64 v5, 0x7ff00000, v51, s5
	v_add_f64_e64 v[64:65], -v[60:61], 1.0
	s_delay_alu instid0(VALU_DEP_3) | instskip(SKIP_1) | instid1(VALU_DEP_1)
	v_fmac_f64_e32 v[66:67], v[68:69], v[72:73]
	v_fmaak_f64 v[72:73], v[54:55], v[82:83], 0x3ec71de3796cde01
	v_fmaak_f64 v[72:73], v[54:55], v[72:73], 0xbf2a01a019e83e5c
	s_delay_alu instid0(VALU_DEP_1) | instskip(NEXT) | instid1(VALU_DEP_1)
	v_fmaak_f64 v[72:73], v[54:55], v[72:73], 0x3f81111111110bb3
	v_fmac_f64_e32 v[76:77], v[78:79], v[72:73]
	v_fmamk_f64 v[72:73], v[52:53], 0xbda907db46cc5e42, v[26:27]
	v_add_f64_e64 v[80:81], -v[64:65], 1.0
	v_fma_f64 v[66:67], v[52:53], v[66:67], -v[42:43]
	v_fma_f64 v[42:43], v[40:41], -v[42:43], v[56:57]
	s_delay_alu instid0(VALU_DEP_4) | instskip(SKIP_1) | instid1(VALU_DEP_2)
	v_fmaak_f64 v[56:57], v[52:53], v[72:73], 0xbe927e4fa17f65f6
	v_mul_f64_e32 v[72:73], v[54:55], v[54:55]
	v_fmaak_f64 v[56:57], v[52:53], v[56:57], 0x3efa01a019f4ec90
	s_delay_alu instid0(VALU_DEP_1) | instskip(NEXT) | instid1(VALU_DEP_1)
	v_fmaak_f64 v[56:57], v[52:53], v[56:57], 0xbf56c16c16c16967
	v_fmaak_f64 v[52:53], v[52:53], v[56:57], 0x3fa5555555555555
	v_fma_f64 v[56:57], v[54:55], v[76:77], -v[46:47]
	v_fmac_f64_e32 v[66:67], 0xbfc5555555555555, v[68:69]
	s_delay_alu instid0(VALU_DEP_3) | instskip(NEXT) | instid1(VALU_DEP_3)
	v_fmac_f64_e32 v[42:43], v[74:75], v[52:53]
	v_fmac_f64_e32 v[56:57], 0xbfc5555555555555, v[78:79]
	s_delay_alu instid0(VALU_DEP_3) | instskip(NEXT) | instid1(VALU_DEP_3)
	v_add_f64_e64 v[40:41], v[40:41], -v[66:67]
	v_add_f64_e32 v[42:43], v[62:63], v[42:43]
	s_delay_alu instid0(VALU_DEP_2) | instskip(NEXT) | instid1(VALU_DEP_2)
	v_xor_b32_e32 v3, 0x80000000, v41
	v_cndmask_b32_e32 v23, v40, v42, vcc_lo
	v_add_f64_e64 v[60:61], v[80:81], -v[60:61]
	v_fmamk_f64 v[80:81], v[54:55], 0xbda907db46cc5e42, v[26:27]
	s_delay_alu instid0(VALU_DEP_4) | instskip(SKIP_2) | instid1(VALU_DEP_2)
	v_cndmask_b32_e32 v2, v3, v43, vcc_lo
	v_xor_b32_e32 v3, v4, v39
	s_and_b32 vcc_lo, s6, s5
	v_bitop3_b32 v38, v2, v38, 0x80000000 bitop3:0x78
	v_cndmask_b32_e64 v2, 0, v23, s4
	v_fma_f64 v[46:47], v[44:45], -v[46:47], v[60:61]
	v_fmaak_f64 v[60:61], v[54:55], v[80:81], 0xbe927e4fa17f65f6
	v_add_f64_e64 v[44:45], v[44:45], -v[56:57]
	s_delay_alu instid0(VALU_DEP_2) | instskip(NEXT) | instid1(VALU_DEP_1)
	v_fmaak_f64 v[52:53], v[54:55], v[60:61], 0x3efa01a019f4ec90
	v_fmaak_f64 v[52:53], v[54:55], v[52:53], 0xbf56c16c16c16967
	s_delay_alu instid0(VALU_DEP_1) | instskip(NEXT) | instid1(VALU_DEP_1)
	v_fmaak_f64 v[52:53], v[54:55], v[52:53], 0x3fa5555555555555
	v_fmac_f64_e32 v[46:47], v[72:73], v[52:53]
	s_delay_alu instid0(VALU_DEP_1) | instskip(NEXT) | instid1(VALU_DEP_1)
	v_add_f64_e32 v[46:47], v[64:65], v[46:47]
	v_dual_cndmask_b32 v39, v47, v45, s7 :: v_dual_cndmask_b32 v4, v46, v44, s7
	s_delay_alu instid0(VALU_DEP_1) | instskip(SKIP_1) | instid1(VALU_DEP_3)
	v_bitop3_b32 v23, v39, v3, 0x80000000 bitop3:0x78
	v_cndmask_b32_e64 v3, 0x7ff80000, v38, s4
	v_dual_cndmask_b32 v4, 0, v4, s4 :: v_dual_cndmask_b32 v39, 0, v5, s6
	v_cndmask_b32_e32 v38, 0, v50, vcc_lo
	s_delay_alu instid0(VALU_DEP_4) | instskip(NEXT) | instid1(VALU_DEP_2)
	v_cndmask_b32_e64 v5, 0x7ff80000, v23, s4
	v_mul_f64_e32 v[40:41], v[38:39], v[2:3]
	s_delay_alu instid0(VALU_DEP_2)
	v_mul_f64_e32 v[38:39], v[38:39], v[4:5]
                                        ; implicit-def: $vgpr4_vgpr5
.LBB247_394:                            ;   in Loop: Header=BB247_217 Depth=1
	s_and_not1_saveexec_b32 s41, s41
	s_cbranch_execz .LBB247_404
; %bb.395:                              ;   in Loop: Header=BB247_217 Depth=1
	v_cmp_ngt_f64_e64 s4, 0x41d00000, |v[4:5]|
                                        ; implicit-def: $vgpr38
                                        ; implicit-def: $vgpr40_vgpr41
                                        ; implicit-def: $vgpr42_vgpr43
	s_and_saveexec_b32 s5, s4
	s_delay_alu instid0(SALU_CYCLE_1)
	s_xor_b32 s5, exec_lo, s5
	s_cbranch_execz .LBB247_397
; %bb.396:                              ;   in Loop: Header=BB247_217 Depth=1
	v_ldexp_f64 v[40:41], |v[4:5]|, 0xffffff80
	v_cmp_le_f64_e64 vcc_lo, 0x7b000000, |v[4:5]|
	v_trig_preop_f64 v[42:43], |v[4:5]|, 0
	v_and_b32_e32 v23, 0x7fffffff, v5
	v_trig_preop_f64 v[44:45], |v[4:5]|, 1
	v_trig_preop_f64 v[54:55], |v[4:5]|, 2
	s_delay_alu instid0(VALU_DEP_3) | instskip(NEXT) | instid1(VALU_DEP_1)
	v_dual_cndmask_b32 v41, v23, v41 :: v_dual_cndmask_b32 v40, v4, v40
	v_mul_f64_e32 v[46:47], v[42:43], v[40:41]
	s_delay_alu instid0(VALU_DEP_4) | instskip(NEXT) | instid1(VALU_DEP_4)
	v_mul_f64_e32 v[48:49], v[44:45], v[40:41]
	v_mul_f64_e32 v[60:61], v[54:55], v[40:41]
	s_delay_alu instid0(VALU_DEP_3) | instskip(NEXT) | instid1(VALU_DEP_3)
	v_fma_f64 v[42:43], v[42:43], v[40:41], -v[46:47]
	v_fma_f64 v[44:45], v[44:45], v[40:41], -v[48:49]
	s_delay_alu instid0(VALU_DEP_3) | instskip(NEXT) | instid1(VALU_DEP_3)
	v_fma_f64 v[40:41], v[54:55], v[40:41], -v[60:61]
	v_add_f64_e32 v[50:51], v[48:49], v[42:43]
	s_delay_alu instid0(VALU_DEP_1) | instskip(SKIP_1) | instid1(VALU_DEP_2)
	v_add_f64_e64 v[52:53], v[50:51], -v[48:49]
	v_add_f64_e32 v[58:59], v[46:47], v[50:51]
	v_add_f64_e64 v[56:57], v[50:51], -v[52:53]
	v_add_f64_e64 v[42:43], v[42:43], -v[52:53]
	s_delay_alu instid0(VALU_DEP_3) | instskip(NEXT) | instid1(VALU_DEP_3)
	v_ldexp_f64 v[52:53], v[58:59], -2
	v_add_f64_e64 v[48:49], v[48:49], -v[56:57]
	v_add_f64_e32 v[56:57], v[60:61], v[44:45]
	s_delay_alu instid0(VALU_DEP_3) | instskip(NEXT) | instid1(VALU_DEP_3)
	v_cmp_neq_f64_e64 vcc_lo, 0x7ff00000, |v[52:53]|
	v_add_f64_e32 v[42:43], v[42:43], v[48:49]
	v_fract_f64_e32 v[48:49], v[52:53]
	s_delay_alu instid0(VALU_DEP_1) | instskip(NEXT) | instid1(VALU_DEP_1)
	v_ldexp_f64 v[48:49], v[48:49], 2
	v_dual_add_f64 v[46:47], v[58:59], -v[46:47] :: v_dual_cndmask_b32 v48, 0, v48, vcc_lo
	s_delay_alu instid0(VALU_DEP_1) | instskip(SKIP_1) | instid1(VALU_DEP_1)
	v_dual_add_f64 v[46:47], v[50:51], -v[46:47] :: v_dual_cndmask_b32 v49, 0, v49, vcc_lo
	v_add_f64_e32 v[50:51], v[56:57], v[42:43]
	v_add_f64_e32 v[52:53], v[46:47], v[50:51]
	v_add_f64_e64 v[62:63], v[50:51], -v[56:57]
	s_delay_alu instid0(VALU_DEP_2) | instskip(NEXT) | instid1(VALU_DEP_2)
	v_add_f64_e32 v[58:59], v[52:53], v[48:49]
	v_add_f64_e64 v[68:69], v[50:51], -v[62:63]
	v_add_f64_e64 v[42:43], v[42:43], -v[62:63]
	;; [unrolled: 1-line block ×3, first 2 shown]
	s_delay_alu instid0(VALU_DEP_4) | instskip(SKIP_1) | instid1(VALU_DEP_3)
	v_cmp_gt_f64_e32 vcc_lo, 0, v[58:59]
	v_add_f64_e64 v[58:59], v[56:57], -v[60:61]
	v_add_f64_e64 v[46:47], v[50:51], -v[46:47]
	v_cndmask_b32_e64 v23, 0, 0x40100000, vcc_lo
	s_delay_alu instid0(VALU_DEP_3) | instskip(SKIP_2) | instid1(VALU_DEP_4)
	v_add_f64_e64 v[66:67], v[56:57], -v[58:59]
	v_add_f64_e64 v[44:45], v[44:45], -v[58:59]
	v_add_f64_e64 v[56:57], v[56:57], -v[68:69]
	v_add_f64_e32 v[48:49], v[48:49], v[22:23]
	s_delay_alu instid0(VALU_DEP_4) | instskip(NEXT) | instid1(VALU_DEP_3)
	v_add_f64_e64 v[58:59], v[60:61], -v[66:67]
	v_add_f64_e32 v[42:43], v[42:43], v[56:57]
	s_delay_alu instid0(VALU_DEP_3) | instskip(NEXT) | instid1(VALU_DEP_3)
	v_add_f64_e32 v[64:65], v[52:53], v[48:49]
	v_add_f64_e32 v[44:45], v[44:45], v[58:59]
	s_delay_alu instid0(VALU_DEP_2) | instskip(NEXT) | instid1(VALU_DEP_2)
	v_cvt_i32_f64_e32 v23, v[64:65]
	v_add_f64_e32 v[42:43], v[44:45], v[42:43]
	s_delay_alu instid0(VALU_DEP_2) | instskip(NEXT) | instid1(VALU_DEP_2)
	v_cvt_f64_i32_e32 v[62:63], v23
	v_add_f64_e32 v[40:41], v[40:41], v[42:43]
	s_delay_alu instid0(VALU_DEP_2) | instskip(NEXT) | instid1(VALU_DEP_2)
	v_add_f64_e64 v[48:49], v[48:49], -v[62:63]
	v_add_f64_e32 v[40:41], v[46:47], v[40:41]
	s_delay_alu instid0(VALU_DEP_2) | instskip(NEXT) | instid1(VALU_DEP_1)
	v_add_f64_e32 v[44:45], v[52:53], v[48:49]
	v_add_f64_e64 v[42:43], v[44:45], -v[48:49]
	v_cmp_le_f64_e32 vcc_lo, 0.5, v[44:45]
	s_delay_alu instid0(VALU_DEP_2) | instskip(SKIP_2) | instid1(VALU_DEP_3)
	v_add_f64_e64 v[42:43], v[52:53], -v[42:43]
	v_add_co_ci_u32_e64 v38, null, 0, v23, vcc_lo
	v_cndmask_b32_e64 v23, 0, 0x3ff00000, vcc_lo
	v_add_f64_e32 v[40:41], v[40:41], v[42:43]
	s_delay_alu instid0(VALU_DEP_2) | instskip(NEXT) | instid1(VALU_DEP_1)
	v_add_f64_e64 v[42:43], v[44:45], -v[22:23]
	v_add_f64_e32 v[44:45], v[42:43], v[40:41]
	s_delay_alu instid0(VALU_DEP_1) | instskip(SKIP_1) | instid1(VALU_DEP_2)
	v_mul_f64_e32 v[46:47], 0x3ff921fb54442d18, v[44:45]
	v_add_f64_e64 v[42:43], v[44:45], -v[42:43]
	v_fma_f64 v[48:49], v[44:45], s[18:19], -v[46:47]
	s_delay_alu instid0(VALU_DEP_2) | instskip(NEXT) | instid1(VALU_DEP_2)
	v_add_f64_e64 v[40:41], v[40:41], -v[42:43]
	v_fmac_f64_e32 v[48:49], 0x3c91a62633145c07, v[44:45]
	s_delay_alu instid0(VALU_DEP_1) | instskip(NEXT) | instid1(VALU_DEP_1)
	v_fmac_f64_e32 v[48:49], 0x3ff921fb54442d18, v[40:41]
	v_add_f64_e32 v[40:41], v[46:47], v[48:49]
	s_delay_alu instid0(VALU_DEP_1) | instskip(NEXT) | instid1(VALU_DEP_1)
	v_add_f64_e64 v[42:43], v[40:41], -v[46:47]
	v_add_f64_e64 v[42:43], v[48:49], -v[42:43]
	s_and_not1_saveexec_b32 s5, s5
	s_cbranch_execz .LBB247_399
	s_branch .LBB247_398
.LBB247_397:                            ;   in Loop: Header=BB247_217 Depth=1
	s_and_not1_saveexec_b32 s5, s5
	s_cbranch_execz .LBB247_399
.LBB247_398:                            ;   in Loop: Header=BB247_217 Depth=1
	v_mul_f64_e64 v[40:41], |v[4:5]|, s[20:21]
	s_delay_alu instid0(VALU_DEP_1) | instskip(NEXT) | instid1(VALU_DEP_1)
	v_rndne_f64_e32 v[44:45], v[40:41]
	v_fma_f64 v[40:41], v[44:45], s[22:23], |v[4:5]|
	v_mul_f64_e32 v[42:43], 0xbc91a62633145c00, v[44:45]
	v_cvt_i32_f64_e32 v38, v[44:45]
	s_delay_alu instid0(VALU_DEP_3) | instskip(NEXT) | instid1(VALU_DEP_3)
	v_fmamk_f64 v[50:51], v[44:45], 0xbc91a62633145c00, v[40:41]
	v_add_f64_e32 v[46:47], v[40:41], v[42:43]
	s_delay_alu instid0(VALU_DEP_1) | instskip(NEXT) | instid1(VALU_DEP_3)
	v_add_f64_e64 v[48:49], v[40:41], -v[46:47]
	v_add_f64_e64 v[40:41], v[46:47], -v[50:51]
	s_delay_alu instid0(VALU_DEP_2) | instskip(SKIP_1) | instid1(VALU_DEP_2)
	v_add_f64_e32 v[46:47], v[48:49], v[42:43]
	v_fmamk_f64 v[42:43], v[44:45], 0x3c91a62633145c00, v[42:43]
	v_add_f64_e32 v[40:41], v[40:41], v[46:47]
	s_delay_alu instid0(VALU_DEP_1) | instskip(NEXT) | instid1(VALU_DEP_1)
	v_add_f64_e64 v[42:43], v[40:41], -v[42:43]
	v_fmac_f64_e32 v[42:43], 0xb97b839a252049c0, v[44:45]
	s_delay_alu instid0(VALU_DEP_1) | instskip(NEXT) | instid1(VALU_DEP_1)
	v_add_f64_e32 v[40:41], v[50:51], v[42:43]
	v_add_f64_e64 v[46:47], v[40:41], -v[50:51]
	s_delay_alu instid0(VALU_DEP_1)
	v_add_f64_e64 v[42:43], v[42:43], -v[46:47]
.LBB247_399:                            ;   in Loop: Header=BB247_217 Depth=1
	s_or_b32 exec_lo, exec_lo, s5
                                        ; implicit-def: $vgpr48
                                        ; implicit-def: $vgpr44_vgpr45
                                        ; implicit-def: $vgpr46_vgpr47
	s_and_saveexec_b32 s5, s4
	s_delay_alu instid0(SALU_CYCLE_1)
	s_xor_b32 s4, exec_lo, s5
	s_cbranch_execz .LBB247_401
; %bb.400:                              ;   in Loop: Header=BB247_217 Depth=1
	v_ldexp_f64 v[44:45], |v[4:5]|, 0xffffff80
	v_cmp_le_f64_e64 vcc_lo, 0x7b000000, |v[4:5]|
	v_trig_preop_f64 v[46:47], |v[4:5]|, 0
	v_and_b32_e32 v23, 0x7fffffff, v5
	v_trig_preop_f64 v[48:49], |v[4:5]|, 1
	v_trig_preop_f64 v[58:59], |v[4:5]|, 2
	s_delay_alu instid0(VALU_DEP_3) | instskip(NEXT) | instid1(VALU_DEP_1)
	v_dual_cndmask_b32 v45, v23, v45 :: v_dual_cndmask_b32 v44, v4, v44
	v_mul_f64_e32 v[50:51], v[46:47], v[44:45]
	s_delay_alu instid0(VALU_DEP_4) | instskip(NEXT) | instid1(VALU_DEP_4)
	v_mul_f64_e32 v[52:53], v[48:49], v[44:45]
	v_mul_f64_e32 v[64:65], v[58:59], v[44:45]
	s_delay_alu instid0(VALU_DEP_3) | instskip(NEXT) | instid1(VALU_DEP_3)
	v_fma_f64 v[46:47], v[46:47], v[44:45], -v[50:51]
	v_fma_f64 v[48:49], v[48:49], v[44:45], -v[52:53]
	s_delay_alu instid0(VALU_DEP_3) | instskip(NEXT) | instid1(VALU_DEP_3)
	v_fma_f64 v[44:45], v[58:59], v[44:45], -v[64:65]
	v_add_f64_e32 v[54:55], v[52:53], v[46:47]
	s_delay_alu instid0(VALU_DEP_1) | instskip(SKIP_1) | instid1(VALU_DEP_2)
	v_add_f64_e64 v[56:57], v[54:55], -v[52:53]
	v_add_f64_e32 v[62:63], v[50:51], v[54:55]
	v_add_f64_e64 v[60:61], v[54:55], -v[56:57]
	v_add_f64_e64 v[46:47], v[46:47], -v[56:57]
	s_delay_alu instid0(VALU_DEP_3) | instskip(NEXT) | instid1(VALU_DEP_3)
	v_ldexp_f64 v[56:57], v[62:63], -2
	v_add_f64_e64 v[52:53], v[52:53], -v[60:61]
	v_add_f64_e32 v[60:61], v[64:65], v[48:49]
	s_delay_alu instid0(VALU_DEP_3) | instskip(NEXT) | instid1(VALU_DEP_3)
	v_cmp_neq_f64_e64 vcc_lo, 0x7ff00000, |v[56:57]|
	v_add_f64_e32 v[46:47], v[46:47], v[52:53]
	v_fract_f64_e32 v[52:53], v[56:57]
	s_delay_alu instid0(VALU_DEP_1) | instskip(NEXT) | instid1(VALU_DEP_1)
	v_ldexp_f64 v[52:53], v[52:53], 2
	v_dual_add_f64 v[50:51], v[62:63], -v[50:51] :: v_dual_cndmask_b32 v52, 0, v52, vcc_lo
	s_delay_alu instid0(VALU_DEP_1) | instskip(SKIP_1) | instid1(VALU_DEP_1)
	v_dual_add_f64 v[50:51], v[54:55], -v[50:51] :: v_dual_cndmask_b32 v53, 0, v53, vcc_lo
	v_add_f64_e32 v[54:55], v[60:61], v[46:47]
	v_add_f64_e32 v[56:57], v[50:51], v[54:55]
	v_add_f64_e64 v[66:67], v[54:55], -v[60:61]
	s_delay_alu instid0(VALU_DEP_2) | instskip(NEXT) | instid1(VALU_DEP_2)
	v_add_f64_e32 v[62:63], v[56:57], v[52:53]
	v_add_f64_e64 v[72:73], v[54:55], -v[66:67]
	v_add_f64_e64 v[46:47], v[46:47], -v[66:67]
	;; [unrolled: 1-line block ×3, first 2 shown]
	s_delay_alu instid0(VALU_DEP_4) | instskip(SKIP_2) | instid1(VALU_DEP_2)
	v_cmp_gt_f64_e32 vcc_lo, 0, v[62:63]
	v_add_f64_e64 v[62:63], v[60:61], -v[64:65]
	v_cndmask_b32_e64 v23, 0, 0x40100000, vcc_lo
	v_add_f64_e64 v[70:71], v[60:61], -v[62:63]
	v_add_f64_e64 v[48:49], v[48:49], -v[62:63]
	;; [unrolled: 1-line block ×3, first 2 shown]
	s_delay_alu instid0(VALU_DEP_4) | instskip(NEXT) | instid1(VALU_DEP_4)
	v_add_f64_e32 v[52:53], v[52:53], v[22:23]
	v_add_f64_e64 v[62:63], v[64:65], -v[70:71]
	s_delay_alu instid0(VALU_DEP_3) | instskip(NEXT) | instid1(VALU_DEP_3)
	v_add_f64_e32 v[46:47], v[46:47], v[60:61]
	v_add_f64_e32 v[68:69], v[56:57], v[52:53]
	s_delay_alu instid0(VALU_DEP_3) | instskip(NEXT) | instid1(VALU_DEP_2)
	v_add_f64_e32 v[48:49], v[48:49], v[62:63]
	v_cvt_i32_f64_e32 v23, v[68:69]
	s_delay_alu instid0(VALU_DEP_2) | instskip(SKIP_1) | instid1(VALU_DEP_3)
	v_add_f64_e32 v[46:47], v[48:49], v[46:47]
	v_add_f64_e64 v[48:49], v[54:55], -v[50:51]
	v_cvt_f64_i32_e32 v[66:67], v23
	s_delay_alu instid0(VALU_DEP_3) | instskip(NEXT) | instid1(VALU_DEP_2)
	v_add_f64_e32 v[44:45], v[44:45], v[46:47]
	v_add_f64_e64 v[52:53], v[52:53], -v[66:67]
	s_delay_alu instid0(VALU_DEP_2) | instskip(NEXT) | instid1(VALU_DEP_2)
	v_add_f64_e32 v[44:45], v[48:49], v[44:45]
	v_add_f64_e32 v[58:59], v[56:57], v[52:53]
	s_delay_alu instid0(VALU_DEP_1) | instskip(SKIP_1) | instid1(VALU_DEP_2)
	v_add_f64_e64 v[46:47], v[58:59], -v[52:53]
	v_cmp_le_f64_e32 vcc_lo, 0.5, v[58:59]
	v_add_f64_e64 v[46:47], v[56:57], -v[46:47]
	v_add_co_ci_u32_e64 v48, null, 0, v23, vcc_lo
	v_cndmask_b32_e64 v23, 0, 0x3ff00000, vcc_lo
	s_delay_alu instid0(VALU_DEP_3) | instskip(NEXT) | instid1(VALU_DEP_2)
	v_add_f64_e32 v[44:45], v[44:45], v[46:47]
	v_add_f64_e64 v[46:47], v[58:59], -v[22:23]
	s_delay_alu instid0(VALU_DEP_1) | instskip(NEXT) | instid1(VALU_DEP_1)
	v_add_f64_e32 v[50:51], v[46:47], v[44:45]
	v_mul_f64_e32 v[52:53], 0x3ff921fb54442d18, v[50:51]
	v_add_f64_e64 v[46:47], v[50:51], -v[46:47]
	s_delay_alu instid0(VALU_DEP_2) | instskip(NEXT) | instid1(VALU_DEP_2)
	v_fma_f64 v[54:55], v[50:51], s[18:19], -v[52:53]
	v_add_f64_e64 v[44:45], v[44:45], -v[46:47]
	s_delay_alu instid0(VALU_DEP_2) | instskip(NEXT) | instid1(VALU_DEP_1)
	v_fmac_f64_e32 v[54:55], 0x3c91a62633145c07, v[50:51]
	v_fmac_f64_e32 v[54:55], 0x3ff921fb54442d18, v[44:45]
	s_delay_alu instid0(VALU_DEP_1) | instskip(NEXT) | instid1(VALU_DEP_1)
	v_add_f64_e32 v[44:45], v[52:53], v[54:55]
	v_add_f64_e64 v[46:47], v[44:45], -v[52:53]
	s_delay_alu instid0(VALU_DEP_1)
	v_add_f64_e64 v[46:47], v[54:55], -v[46:47]
	s_and_not1_saveexec_b32 s4, s4
	s_cbranch_execnz .LBB247_402
	s_branch .LBB247_403
.LBB247_401:                            ;   in Loop: Header=BB247_217 Depth=1
	s_and_not1_saveexec_b32 s4, s4
	s_cbranch_execz .LBB247_403
.LBB247_402:                            ;   in Loop: Header=BB247_217 Depth=1
	v_mul_f64_e64 v[44:45], |v[4:5]|, s[20:21]
	s_delay_alu instid0(VALU_DEP_1) | instskip(NEXT) | instid1(VALU_DEP_1)
	v_rndne_f64_e32 v[48:49], v[44:45]
	v_fma_f64 v[44:45], v[48:49], s[22:23], |v[4:5]|
	v_mul_f64_e32 v[46:47], 0xbc91a62633145c00, v[48:49]
	s_delay_alu instid0(VALU_DEP_2) | instskip(NEXT) | instid1(VALU_DEP_2)
	v_fmamk_f64 v[54:55], v[48:49], 0xbc91a62633145c00, v[44:45]
	v_add_f64_e32 v[50:51], v[44:45], v[46:47]
	s_delay_alu instid0(VALU_DEP_1) | instskip(NEXT) | instid1(VALU_DEP_3)
	v_add_f64_e64 v[52:53], v[44:45], -v[50:51]
	v_add_f64_e64 v[44:45], v[50:51], -v[54:55]
	s_delay_alu instid0(VALU_DEP_2) | instskip(SKIP_1) | instid1(VALU_DEP_2)
	v_add_f64_e32 v[50:51], v[52:53], v[46:47]
	v_fmamk_f64 v[46:47], v[48:49], 0x3c91a62633145c00, v[46:47]
	v_add_f64_e32 v[44:45], v[44:45], v[50:51]
	s_delay_alu instid0(VALU_DEP_1) | instskip(NEXT) | instid1(VALU_DEP_1)
	v_add_f64_e64 v[46:47], v[44:45], -v[46:47]
	v_fmac_f64_e32 v[46:47], 0xb97b839a252049c0, v[48:49]
	v_cvt_i32_f64_e32 v48, v[48:49]
	s_delay_alu instid0(VALU_DEP_2) | instskip(NEXT) | instid1(VALU_DEP_1)
	v_add_f64_e32 v[44:45], v[54:55], v[46:47]
	v_add_f64_e64 v[50:51], v[44:45], -v[54:55]
	s_delay_alu instid0(VALU_DEP_1)
	v_add_f64_e64 v[46:47], v[46:47], -v[50:51]
.LBB247_403:                            ;   in Loop: Header=BB247_217 Depth=1
	s_or_b32 exec_lo, exec_lo, s4
	v_add_f64_e64 v[2:3], -v[2:3], s[30:31]
	v_mul_f64_e32 v[52:53], v[40:41], v[40:41]
	s_delay_alu instid0(VALU_DEP_3)
	v_mul_f64_e32 v[66:67], 0.5, v[42:43]
	v_cmp_class_f64_e64 s4, v[4:5], 0x1f8
	v_lshlrev_b32_e32 v5, 30, v48
	v_mul_f64_e32 v[54:55], v[44:45], v[44:45]
	v_mul_f64_e32 v[50:51], 0x3ff71547652b82fe, v[2:3]
	v_mul_f64_e32 v[56:57], 0.5, v[52:53]
	v_cmp_nlt_f64_e64 s5, 0x40900000, v[2:3]
	v_cmp_ngt_f64_e64 s6, 0xc090cc00, v[2:3]
	s_delay_alu instid0(VALU_DEP_4) | instskip(NEXT) | instid1(VALU_DEP_4)
	v_rndne_f64_e32 v[50:51], v[50:51]
	v_add_f64_e64 v[62:63], -v[56:57], 1.0
	s_delay_alu instid0(VALU_DEP_2) | instskip(NEXT) | instid1(VALU_DEP_2)
	v_fmamk_f64 v[60:61], v[50:51], 0xbfe62e42fefa39ef, v[2:3]
	v_add_f64_e64 v[70:71], -v[62:63], 1.0
	v_cvt_i32_f64_e32 v23, v[50:51]
	v_and_b32_e32 v2, 1, v48
	s_delay_alu instid0(VALU_DEP_4) | instskip(NEXT) | instid1(VALU_DEP_2)
	v_fmac_f64_e32 v[60:61], 0xbc7abc9e3b39803f, v[50:51]
	v_cmp_eq_u32_e64 s7, 0, v2
	v_mul_f64_e32 v[76:77], 0.5, v[46:47]
	v_add_f64_e64 v[56:57], v[70:71], -v[56:57]
	s_delay_alu instid0(VALU_DEP_4) | instskip(NEXT) | instid1(VALU_DEP_1)
	v_fmamk_f64 v[74:75], v[60:61], 0x3e5ade156a5dcb37, v[24:25]
	v_fmaak_f64 v[74:75], v[60:61], v[74:75], 0x3ec71dee623fde64
	s_delay_alu instid0(VALU_DEP_1) | instskip(NEXT) | instid1(VALU_DEP_1)
	v_fmaak_f64 v[74:75], v[60:61], v[74:75], 0x3efa01997c89e6b0
	v_fmaak_f64 v[74:75], v[60:61], v[74:75], 0x3f2a01a014761f6e
	s_delay_alu instid0(VALU_DEP_1) | instskip(NEXT) | instid1(VALU_DEP_1)
	v_fmaak_f64 v[70:71], v[60:61], v[74:75], 0x3f56c16c1852b7b0
	;; [unrolled: 3-line block ×4, first 2 shown]
	v_fma_f64 v[70:71], v[60:61], v[70:71], 1.0
	s_delay_alu instid0(VALU_DEP_1) | instskip(NEXT) | instid1(VALU_DEP_1)
	v_fma_f64 v[50:51], v[60:61], v[70:71], 1.0
	v_ldexp_f64 v[50:51], v[50:51], v23
	v_and_b32_e32 v23, 1, v38
	v_fmamk_f64 v[72:73], v[52:53], 0x3de5e0b2f9a43bb8, v[28:29]
	v_lshlrev_b32_e32 v38, 30, v38
	v_mul_f64_e32 v[58:59], 0.5, v[54:55]
	v_mul_f64_e64 v[78:79], v[44:45], -v[54:55]
	v_cmp_eq_u32_e32 vcc_lo, 0, v23
	v_mul_f64_e64 v[68:69], v[40:41], -v[52:53]
	v_fmamk_f64 v[82:83], v[54:55], 0x3de5e0b2f9a43bb8, v[28:29]
	v_fmaak_f64 v[72:73], v[52:53], v[72:73], 0x3ec71de3796cde01
	v_mul_f64_e32 v[74:75], v[52:53], v[52:53]
	s_delay_alu instid0(VALU_DEP_2) | instskip(NEXT) | instid1(VALU_DEP_1)
	v_fmaak_f64 v[72:73], v[52:53], v[72:73], 0xbf2a01a019e83e5c
	v_fmaak_f64 v[72:73], v[52:53], v[72:73], 0x3f81111111110bb3
	v_cndmask_b32_e64 v4, 0x7ff00000, v51, s5
	v_add_f64_e64 v[64:65], -v[58:59], 1.0
	s_delay_alu instid0(VALU_DEP_3) | instskip(SKIP_1) | instid1(VALU_DEP_1)
	v_fmac_f64_e32 v[66:67], v[68:69], v[72:73]
	v_fmaak_f64 v[72:73], v[54:55], v[82:83], 0x3ec71de3796cde01
	v_fmaak_f64 v[72:73], v[54:55], v[72:73], 0xbf2a01a019e83e5c
	s_delay_alu instid0(VALU_DEP_1) | instskip(NEXT) | instid1(VALU_DEP_1)
	v_fmaak_f64 v[72:73], v[54:55], v[72:73], 0x3f81111111110bb3
	v_fmac_f64_e32 v[76:77], v[78:79], v[72:73]
	v_fmamk_f64 v[72:73], v[52:53], 0xbda907db46cc5e42, v[26:27]
	v_add_f64_e64 v[80:81], -v[64:65], 1.0
	v_fma_f64 v[66:67], v[52:53], v[66:67], -v[42:43]
	v_fma_f64 v[42:43], v[40:41], -v[42:43], v[56:57]
	s_delay_alu instid0(VALU_DEP_4) | instskip(SKIP_1) | instid1(VALU_DEP_2)
	v_fmaak_f64 v[56:57], v[52:53], v[72:73], 0xbe927e4fa17f65f6
	v_mul_f64_e32 v[72:73], v[54:55], v[54:55]
	v_fmaak_f64 v[56:57], v[52:53], v[56:57], 0x3efa01a019f4ec90
	s_delay_alu instid0(VALU_DEP_1) | instskip(NEXT) | instid1(VALU_DEP_1)
	v_fmaak_f64 v[56:57], v[52:53], v[56:57], 0xbf56c16c16c16967
	v_fmaak_f64 v[52:53], v[52:53], v[56:57], 0x3fa5555555555555
	v_add_f64_e64 v[58:59], v[80:81], -v[58:59]
	v_fmamk_f64 v[80:81], v[54:55], 0xbda907db46cc5e42, v[26:27]
	v_fmac_f64_e32 v[66:67], 0xbfc5555555555555, v[68:69]
	s_delay_alu instid0(VALU_DEP_4) | instskip(NEXT) | instid1(VALU_DEP_2)
	v_fmac_f64_e32 v[42:43], v[74:75], v[52:53]
	v_add_f64_e64 v[40:41], v[40:41], -v[66:67]
	s_delay_alu instid0(VALU_DEP_2) | instskip(NEXT) | instid1(VALU_DEP_2)
	v_add_f64_e32 v[42:43], v[62:63], v[42:43]
	v_xor_b32_e32 v3, 0x80000000, v41
	s_delay_alu instid0(VALU_DEP_2) | instskip(NEXT) | instid1(VALU_DEP_2)
	v_dual_cndmask_b32 v23, v40, v42, vcc_lo :: v_dual_cndmask_b32 v40, 0, v4, s6
	v_cndmask_b32_e32 v2, v3, v43, vcc_lo
	s_and_b32 vcc_lo, s6, s5
	v_fma_f64 v[56:57], v[54:55], v[76:77], -v[46:47]
	v_fma_f64 v[46:47], v[44:45], -v[46:47], v[58:59]
	v_fmaak_f64 v[58:59], v[54:55], v[80:81], 0xbe927e4fa17f65f6
	v_xor_b32_e32 v3, v5, v39
	v_bitop3_b32 v38, v2, v38, 0x80000000 bitop3:0x78
	v_cndmask_b32_e64 v2, 0, v23, s4
	s_delay_alu instid0(VALU_DEP_4) | instskip(NEXT) | instid1(VALU_DEP_1)
	v_fmaak_f64 v[52:53], v[54:55], v[58:59], 0x3efa01a019f4ec90
	v_fmaak_f64 v[52:53], v[54:55], v[52:53], 0xbf56c16c16c16967
	s_delay_alu instid0(VALU_DEP_1) | instskip(SKIP_1) | instid1(VALU_DEP_2)
	v_fmaak_f64 v[52:53], v[54:55], v[52:53], 0x3fa5555555555555
	v_fmac_f64_e32 v[56:57], 0xbfc5555555555555, v[78:79]
	v_fmac_f64_e32 v[46:47], v[72:73], v[52:53]
	s_delay_alu instid0(VALU_DEP_2) | instskip(NEXT) | instid1(VALU_DEP_2)
	v_add_f64_e64 v[44:45], v[44:45], -v[56:57]
	v_add_f64_e32 v[46:47], v[64:65], v[46:47]
	s_delay_alu instid0(VALU_DEP_1) | instskip(NEXT) | instid1(VALU_DEP_1)
	v_dual_cndmask_b32 v39, v47, v45, s7 :: v_dual_cndmask_b32 v5, v46, v44, s7
	v_bitop3_b32 v23, v39, v3, 0x80000000 bitop3:0x78
	v_cndmask_b32_e64 v3, 0x7ff80000, v38, s4
	s_delay_alu instid0(VALU_DEP_3) | instskip(SKIP_3) | instid1(VALU_DEP_2)
	v_cndmask_b32_e64 v4, 0, v5, s4
	v_and_or_b32 v39, v40, s33, 0x7fe00000
	v_cndmask_b32_e32 v38, 0, v50, vcc_lo
	v_cndmask_b32_e64 v5, 0x7ff80000, v23, s4
	v_dual_mul_f64 v[2:3], v[38:39], v[2:3] :: v_dual_lshrrev_b32 v23, 20, v40
	s_delay_alu instid0(VALU_DEP_2) | instskip(NEXT) | instid1(VALU_DEP_2)
	v_mul_f64_e32 v[4:5], v[38:39], v[4:5]
	v_add_nc_u32_e32 v38, 0xffffff09, v23
	s_delay_alu instid0(VALU_DEP_1) | instskip(NEXT) | instid1(VALU_DEP_1)
	v_lshrrev_b16 v23, 15, v38
	v_add_nc_u16 v23, v38, v23
	s_delay_alu instid0(VALU_DEP_1) | instskip(NEXT) | instid1(VALU_DEP_1)
	v_ashrrev_i16 v23, 1, v23
	v_bfe_i32 v39, v23, 0, 16
	s_delay_alu instid0(VALU_DEP_1) | instskip(NEXT) | instid1(VALU_DEP_1)
	v_lshl_add_u32 v23, v39, 20, 0x3ff00000
	v_mul_f64_e32 v[2:3], v[2:3], v[22:23]
	v_mul_f64_e32 v[4:5], v[4:5], v[22:23]
	v_sub_nc_u32_e32 v23, v38, v39
	v_mov_b32_e32 v38, v22
	s_delay_alu instid0(VALU_DEP_2) | instskip(NEXT) | instid1(VALU_DEP_1)
	v_lshl_add_u32 v39, v23, 20, 0x3ff00000
	v_mul_f64_e32 v[40:41], v[2:3], v[38:39]
	v_mul_f64_e32 v[38:39], v[4:5], v[38:39]
.LBB247_404:                            ;   in Loop: Header=BB247_217 Depth=1
	s_or_b32 exec_lo, exec_lo, s41
                                        ; implicit-def: $vgpr42_vgpr43
                                        ; implicit-def: $vgpr4_vgpr5
                                        ; implicit-def: $vgpr23
.LBB247_405:                            ;   in Loop: Header=BB247_217 Depth=1
	s_and_not1_saveexec_b32 s5, s40
	s_cbranch_execz .LBB247_411
; %bb.406:                              ;   in Loop: Header=BB247_217 Depth=1
	v_cmp_ne_u32_e32 vcc_lo, 0, v2
	v_cmp_ne_u32_e64 s4, 0x7ff00000, v23
                                        ; implicit-def: $vgpr38_vgpr39
	s_or_b32 s4, vcc_lo, s4
	s_delay_alu instid0(SALU_CYCLE_1) | instskip(NEXT) | instid1(SALU_CYCLE_1)
	s_and_saveexec_b32 s6, s4
	s_xor_b32 s4, exec_lo, s6
; %bb.407:                              ;   in Loop: Header=BB247_217 Depth=1
	v_add_f64_e64 v[38:39], v[4:5], -v[4:5]
                                        ; implicit-def: $vgpr42_vgpr43
                                        ; implicit-def: $vgpr4_vgpr5
; %bb.408:                              ;   in Loop: Header=BB247_217 Depth=1
	s_or_saveexec_b32 s4, s4
	s_delay_alu instid0(VALU_DEP_1)
	v_mov_b64_e32 v[40:41], v[38:39]
	s_xor_b32 exec_lo, exec_lo, s4
	s_cbranch_execz .LBB247_410
; %bb.409:                              ;   in Loop: Header=BB247_217 Depth=1
	v_cmp_lt_i64_e32 vcc_lo, -1, v[42:43]
	v_dual_add_f64 v[4:5], v[4:5], -v[4:5] :: v_dual_cndmask_b32 v41, 0, v43, vcc_lo
	s_delay_alu instid0(VALU_DEP_1) | instskip(NEXT) | instid1(VALU_DEP_2)
	v_dual_cndmask_b32 v40, 0, v2 :: v_dual_cndmask_b32 v39, 0, v5
	v_cndmask_b32_e32 v38, 0, v4, vcc_lo
.LBB247_410:                            ;   in Loop: Header=BB247_217 Depth=1
	s_or_b32 exec_lo, exec_lo, s4
.LBB247_411:                            ;   in Loop: Header=BB247_217 Depth=1
	s_delay_alu instid0(SALU_CYCLE_1)
	s_or_b32 exec_lo, exec_lo, s5
                                        ; implicit-def: $vgpr4_vgpr5
.LBB247_412:                            ;   in Loop: Header=BB247_217 Depth=1
	s_and_not1_saveexec_b32 s6, s39
	s_cbranch_execz .LBB247_422
; %bb.413:                              ;   in Loop: Header=BB247_217 Depth=1
	v_cmp_ngt_f64_e64 s4, 0x41d00000, |v[4:5]|
                                        ; implicit-def: $vgpr38
                                        ; implicit-def: $vgpr2_vgpr3
                                        ; implicit-def: $vgpr40_vgpr41
	s_and_saveexec_b32 s5, s4
	s_delay_alu instid0(SALU_CYCLE_1)
	s_xor_b32 s5, exec_lo, s5
	s_cbranch_execz .LBB247_415
; %bb.414:                              ;   in Loop: Header=BB247_217 Depth=1
	v_ldexp_f64 v[2:3], |v[4:5]|, 0xffffff80
	v_cmp_le_f64_e64 vcc_lo, 0x7b000000, |v[4:5]|
	v_trig_preop_f64 v[40:41], |v[4:5]|, 0
	v_and_b32_e32 v23, 0x7fffffff, v5
	v_trig_preop_f64 v[42:43], |v[4:5]|, 1
	v_trig_preop_f64 v[52:53], |v[4:5]|, 2
	s_delay_alu instid0(VALU_DEP_3) | instskip(NEXT) | instid1(VALU_DEP_1)
	v_dual_cndmask_b32 v3, v23, v3 :: v_dual_cndmask_b32 v2, v4, v2
	v_mul_f64_e32 v[44:45], v[40:41], v[2:3]
	s_delay_alu instid0(VALU_DEP_4) | instskip(NEXT) | instid1(VALU_DEP_4)
	v_mul_f64_e32 v[46:47], v[42:43], v[2:3]
	v_mul_f64_e32 v[58:59], v[52:53], v[2:3]
	s_delay_alu instid0(VALU_DEP_3) | instskip(NEXT) | instid1(VALU_DEP_3)
	v_fma_f64 v[40:41], v[40:41], v[2:3], -v[44:45]
	v_fma_f64 v[42:43], v[42:43], v[2:3], -v[46:47]
	s_delay_alu instid0(VALU_DEP_3) | instskip(NEXT) | instid1(VALU_DEP_3)
	v_fma_f64 v[2:3], v[52:53], v[2:3], -v[58:59]
	v_add_f64_e32 v[48:49], v[46:47], v[40:41]
	s_delay_alu instid0(VALU_DEP_1) | instskip(SKIP_1) | instid1(VALU_DEP_2)
	v_add_f64_e64 v[50:51], v[48:49], -v[46:47]
	v_add_f64_e32 v[56:57], v[44:45], v[48:49]
	v_add_f64_e64 v[54:55], v[48:49], -v[50:51]
	v_add_f64_e64 v[40:41], v[40:41], -v[50:51]
	s_delay_alu instid0(VALU_DEP_3) | instskip(NEXT) | instid1(VALU_DEP_3)
	v_ldexp_f64 v[50:51], v[56:57], -2
	v_add_f64_e64 v[46:47], v[46:47], -v[54:55]
	v_add_f64_e32 v[54:55], v[58:59], v[42:43]
	s_delay_alu instid0(VALU_DEP_3) | instskip(NEXT) | instid1(VALU_DEP_3)
	v_cmp_neq_f64_e64 vcc_lo, 0x7ff00000, |v[50:51]|
	v_add_f64_e32 v[40:41], v[40:41], v[46:47]
	v_fract_f64_e32 v[46:47], v[50:51]
	s_delay_alu instid0(VALU_DEP_1) | instskip(NEXT) | instid1(VALU_DEP_1)
	v_ldexp_f64 v[46:47], v[46:47], 2
	v_dual_add_f64 v[44:45], v[56:57], -v[44:45] :: v_dual_cndmask_b32 v46, 0, v46, vcc_lo
	s_delay_alu instid0(VALU_DEP_1) | instskip(SKIP_1) | instid1(VALU_DEP_1)
	v_dual_add_f64 v[44:45], v[48:49], -v[44:45] :: v_dual_cndmask_b32 v47, 0, v47, vcc_lo
	v_add_f64_e32 v[48:49], v[54:55], v[40:41]
	v_add_f64_e32 v[50:51], v[44:45], v[48:49]
	v_add_f64_e64 v[60:61], v[48:49], -v[54:55]
	s_delay_alu instid0(VALU_DEP_2) | instskip(NEXT) | instid1(VALU_DEP_2)
	v_add_f64_e32 v[56:57], v[50:51], v[46:47]
	v_add_f64_e64 v[66:67], v[48:49], -v[60:61]
	v_add_f64_e64 v[40:41], v[40:41], -v[60:61]
	v_add_f64_e64 v[44:45], v[50:51], -v[44:45]
	s_delay_alu instid0(VALU_DEP_4) | instskip(SKIP_1) | instid1(VALU_DEP_3)
	v_cmp_gt_f64_e32 vcc_lo, 0, v[56:57]
	v_add_f64_e64 v[56:57], v[54:55], -v[58:59]
	v_add_f64_e64 v[44:45], v[48:49], -v[44:45]
	v_cndmask_b32_e64 v23, 0, 0x40100000, vcc_lo
	s_delay_alu instid0(VALU_DEP_3) | instskip(SKIP_2) | instid1(VALU_DEP_4)
	v_add_f64_e64 v[64:65], v[54:55], -v[56:57]
	v_add_f64_e64 v[42:43], v[42:43], -v[56:57]
	;; [unrolled: 1-line block ×3, first 2 shown]
	v_add_f64_e32 v[46:47], v[46:47], v[22:23]
	s_delay_alu instid0(VALU_DEP_4) | instskip(NEXT) | instid1(VALU_DEP_3)
	v_add_f64_e64 v[56:57], v[58:59], -v[64:65]
	v_add_f64_e32 v[40:41], v[40:41], v[54:55]
	s_delay_alu instid0(VALU_DEP_3) | instskip(NEXT) | instid1(VALU_DEP_3)
	v_add_f64_e32 v[62:63], v[50:51], v[46:47]
	v_add_f64_e32 v[42:43], v[42:43], v[56:57]
	s_delay_alu instid0(VALU_DEP_2) | instskip(NEXT) | instid1(VALU_DEP_2)
	v_cvt_i32_f64_e32 v23, v[62:63]
	v_add_f64_e32 v[40:41], v[42:43], v[40:41]
	s_delay_alu instid0(VALU_DEP_2) | instskip(NEXT) | instid1(VALU_DEP_2)
	v_cvt_f64_i32_e32 v[60:61], v23
	v_add_f64_e32 v[2:3], v[2:3], v[40:41]
	s_delay_alu instid0(VALU_DEP_2) | instskip(NEXT) | instid1(VALU_DEP_2)
	v_add_f64_e64 v[46:47], v[46:47], -v[60:61]
	v_add_f64_e32 v[2:3], v[44:45], v[2:3]
	s_delay_alu instid0(VALU_DEP_2) | instskip(NEXT) | instid1(VALU_DEP_1)
	v_add_f64_e32 v[42:43], v[50:51], v[46:47]
	v_add_f64_e64 v[40:41], v[42:43], -v[46:47]
	v_cmp_le_f64_e32 vcc_lo, 0.5, v[42:43]
	s_delay_alu instid0(VALU_DEP_2) | instskip(SKIP_2) | instid1(VALU_DEP_3)
	v_add_f64_e64 v[40:41], v[50:51], -v[40:41]
	v_add_co_ci_u32_e64 v38, null, 0, v23, vcc_lo
	v_cndmask_b32_e64 v23, 0, 0x3ff00000, vcc_lo
	v_add_f64_e32 v[2:3], v[2:3], v[40:41]
	s_delay_alu instid0(VALU_DEP_2) | instskip(NEXT) | instid1(VALU_DEP_1)
	v_add_f64_e64 v[40:41], v[42:43], -v[22:23]
	v_add_f64_e32 v[42:43], v[40:41], v[2:3]
	s_delay_alu instid0(VALU_DEP_1) | instskip(SKIP_1) | instid1(VALU_DEP_2)
	v_mul_f64_e32 v[44:45], 0x3ff921fb54442d18, v[42:43]
	v_add_f64_e64 v[40:41], v[42:43], -v[40:41]
	v_fma_f64 v[46:47], v[42:43], s[18:19], -v[44:45]
	s_delay_alu instid0(VALU_DEP_2) | instskip(NEXT) | instid1(VALU_DEP_2)
	v_add_f64_e64 v[2:3], v[2:3], -v[40:41]
	v_fmac_f64_e32 v[46:47], 0x3c91a62633145c07, v[42:43]
	s_delay_alu instid0(VALU_DEP_1) | instskip(NEXT) | instid1(VALU_DEP_1)
	v_fmac_f64_e32 v[46:47], 0x3ff921fb54442d18, v[2:3]
	v_add_f64_e32 v[2:3], v[44:45], v[46:47]
	s_delay_alu instid0(VALU_DEP_1) | instskip(NEXT) | instid1(VALU_DEP_1)
	v_add_f64_e64 v[40:41], v[2:3], -v[44:45]
	v_add_f64_e64 v[40:41], v[46:47], -v[40:41]
	s_and_not1_saveexec_b32 s5, s5
	s_cbranch_execz .LBB247_417
	s_branch .LBB247_416
.LBB247_415:                            ;   in Loop: Header=BB247_217 Depth=1
	s_and_not1_saveexec_b32 s5, s5
	s_cbranch_execz .LBB247_417
.LBB247_416:                            ;   in Loop: Header=BB247_217 Depth=1
	v_mul_f64_e64 v[2:3], |v[4:5]|, s[20:21]
	s_delay_alu instid0(VALU_DEP_1) | instskip(NEXT) | instid1(VALU_DEP_1)
	v_rndne_f64_e32 v[42:43], v[2:3]
	v_fma_f64 v[2:3], v[42:43], s[22:23], |v[4:5]|
	v_mul_f64_e32 v[40:41], 0xbc91a62633145c00, v[42:43]
	v_cvt_i32_f64_e32 v38, v[42:43]
	s_delay_alu instid0(VALU_DEP_3) | instskip(NEXT) | instid1(VALU_DEP_3)
	v_fmamk_f64 v[48:49], v[42:43], 0xbc91a62633145c00, v[2:3]
	v_add_f64_e32 v[44:45], v[2:3], v[40:41]
	s_delay_alu instid0(VALU_DEP_1) | instskip(NEXT) | instid1(VALU_DEP_3)
	v_add_f64_e64 v[46:47], v[2:3], -v[44:45]
	v_add_f64_e64 v[2:3], v[44:45], -v[48:49]
	s_delay_alu instid0(VALU_DEP_2) | instskip(SKIP_1) | instid1(VALU_DEP_2)
	v_add_f64_e32 v[44:45], v[46:47], v[40:41]
	v_fmamk_f64 v[40:41], v[42:43], 0x3c91a62633145c00, v[40:41]
	v_add_f64_e32 v[2:3], v[2:3], v[44:45]
	s_delay_alu instid0(VALU_DEP_1) | instskip(NEXT) | instid1(VALU_DEP_1)
	v_add_f64_e64 v[40:41], v[2:3], -v[40:41]
	v_fmac_f64_e32 v[40:41], 0xb97b839a252049c0, v[42:43]
	s_delay_alu instid0(VALU_DEP_1) | instskip(NEXT) | instid1(VALU_DEP_1)
	v_add_f64_e32 v[2:3], v[48:49], v[40:41]
	v_add_f64_e64 v[44:45], v[2:3], -v[48:49]
	s_delay_alu instid0(VALU_DEP_1)
	v_add_f64_e64 v[40:41], v[40:41], -v[44:45]
.LBB247_417:                            ;   in Loop: Header=BB247_217 Depth=1
	s_or_b32 exec_lo, exec_lo, s5
                                        ; implicit-def: $vgpr46
                                        ; implicit-def: $vgpr42_vgpr43
                                        ; implicit-def: $vgpr44_vgpr45
	s_and_saveexec_b32 s5, s4
	s_delay_alu instid0(SALU_CYCLE_1)
	s_xor_b32 s4, exec_lo, s5
	s_cbranch_execz .LBB247_419
; %bb.418:                              ;   in Loop: Header=BB247_217 Depth=1
	v_ldexp_f64 v[42:43], |v[4:5]|, 0xffffff80
	v_cmp_le_f64_e64 vcc_lo, 0x7b000000, |v[4:5]|
	v_trig_preop_f64 v[44:45], |v[4:5]|, 0
	v_and_b32_e32 v23, 0x7fffffff, v5
	v_trig_preop_f64 v[46:47], |v[4:5]|, 1
	v_trig_preop_f64 v[56:57], |v[4:5]|, 2
	s_delay_alu instid0(VALU_DEP_3) | instskip(NEXT) | instid1(VALU_DEP_1)
	v_dual_cndmask_b32 v43, v23, v43 :: v_dual_cndmask_b32 v42, v4, v42
	v_mul_f64_e32 v[48:49], v[44:45], v[42:43]
	s_delay_alu instid0(VALU_DEP_4) | instskip(NEXT) | instid1(VALU_DEP_4)
	v_mul_f64_e32 v[50:51], v[46:47], v[42:43]
	v_mul_f64_e32 v[62:63], v[56:57], v[42:43]
	s_delay_alu instid0(VALU_DEP_3) | instskip(NEXT) | instid1(VALU_DEP_3)
	v_fma_f64 v[44:45], v[44:45], v[42:43], -v[48:49]
	v_fma_f64 v[46:47], v[46:47], v[42:43], -v[50:51]
	s_delay_alu instid0(VALU_DEP_3) | instskip(NEXT) | instid1(VALU_DEP_3)
	v_fma_f64 v[42:43], v[56:57], v[42:43], -v[62:63]
	v_add_f64_e32 v[52:53], v[50:51], v[44:45]
	s_delay_alu instid0(VALU_DEP_1) | instskip(SKIP_1) | instid1(VALU_DEP_2)
	v_add_f64_e64 v[54:55], v[52:53], -v[50:51]
	v_add_f64_e32 v[60:61], v[48:49], v[52:53]
	v_add_f64_e64 v[58:59], v[52:53], -v[54:55]
	v_add_f64_e64 v[44:45], v[44:45], -v[54:55]
	s_delay_alu instid0(VALU_DEP_3) | instskip(NEXT) | instid1(VALU_DEP_3)
	v_ldexp_f64 v[54:55], v[60:61], -2
	v_add_f64_e64 v[50:51], v[50:51], -v[58:59]
	v_add_f64_e32 v[58:59], v[62:63], v[46:47]
	s_delay_alu instid0(VALU_DEP_3) | instskip(NEXT) | instid1(VALU_DEP_3)
	v_cmp_neq_f64_e64 vcc_lo, 0x7ff00000, |v[54:55]|
	v_add_f64_e32 v[44:45], v[44:45], v[50:51]
	v_fract_f64_e32 v[50:51], v[54:55]
	s_delay_alu instid0(VALU_DEP_1) | instskip(NEXT) | instid1(VALU_DEP_1)
	v_ldexp_f64 v[50:51], v[50:51], 2
	v_dual_add_f64 v[48:49], v[60:61], -v[48:49] :: v_dual_cndmask_b32 v50, 0, v50, vcc_lo
	s_delay_alu instid0(VALU_DEP_1) | instskip(SKIP_1) | instid1(VALU_DEP_1)
	v_dual_add_f64 v[48:49], v[52:53], -v[48:49] :: v_dual_cndmask_b32 v51, 0, v51, vcc_lo
	v_add_f64_e32 v[52:53], v[58:59], v[44:45]
	v_add_f64_e32 v[54:55], v[48:49], v[52:53]
	v_add_f64_e64 v[64:65], v[52:53], -v[58:59]
	s_delay_alu instid0(VALU_DEP_2) | instskip(NEXT) | instid1(VALU_DEP_2)
	v_add_f64_e32 v[60:61], v[54:55], v[50:51]
	v_add_f64_e64 v[70:71], v[52:53], -v[64:65]
	v_add_f64_e64 v[44:45], v[44:45], -v[64:65]
	v_add_f64_e64 v[48:49], v[54:55], -v[48:49]
	s_delay_alu instid0(VALU_DEP_4) | instskip(SKIP_2) | instid1(VALU_DEP_2)
	v_cmp_gt_f64_e32 vcc_lo, 0, v[60:61]
	v_add_f64_e64 v[60:61], v[58:59], -v[62:63]
	v_cndmask_b32_e64 v23, 0, 0x40100000, vcc_lo
	v_add_f64_e64 v[68:69], v[58:59], -v[60:61]
	v_add_f64_e64 v[46:47], v[46:47], -v[60:61]
	;; [unrolled: 1-line block ×3, first 2 shown]
	s_delay_alu instid0(VALU_DEP_4) | instskip(NEXT) | instid1(VALU_DEP_4)
	v_add_f64_e32 v[50:51], v[50:51], v[22:23]
	v_add_f64_e64 v[60:61], v[62:63], -v[68:69]
	s_delay_alu instid0(VALU_DEP_3) | instskip(NEXT) | instid1(VALU_DEP_3)
	v_add_f64_e32 v[44:45], v[44:45], v[58:59]
	v_add_f64_e32 v[66:67], v[54:55], v[50:51]
	s_delay_alu instid0(VALU_DEP_3) | instskip(NEXT) | instid1(VALU_DEP_2)
	v_add_f64_e32 v[46:47], v[46:47], v[60:61]
	v_cvt_i32_f64_e32 v23, v[66:67]
	s_delay_alu instid0(VALU_DEP_2) | instskip(SKIP_1) | instid1(VALU_DEP_3)
	v_add_f64_e32 v[44:45], v[46:47], v[44:45]
	v_add_f64_e64 v[46:47], v[52:53], -v[48:49]
	v_cvt_f64_i32_e32 v[64:65], v23
	s_delay_alu instid0(VALU_DEP_3) | instskip(NEXT) | instid1(VALU_DEP_2)
	v_add_f64_e32 v[42:43], v[42:43], v[44:45]
	v_add_f64_e64 v[50:51], v[50:51], -v[64:65]
	s_delay_alu instid0(VALU_DEP_2) | instskip(NEXT) | instid1(VALU_DEP_2)
	v_add_f64_e32 v[42:43], v[46:47], v[42:43]
	v_add_f64_e32 v[56:57], v[54:55], v[50:51]
	s_delay_alu instid0(VALU_DEP_1) | instskip(SKIP_1) | instid1(VALU_DEP_2)
	v_add_f64_e64 v[44:45], v[56:57], -v[50:51]
	v_cmp_le_f64_e32 vcc_lo, 0.5, v[56:57]
	v_add_f64_e64 v[44:45], v[54:55], -v[44:45]
	v_add_co_ci_u32_e64 v46, null, 0, v23, vcc_lo
	v_cndmask_b32_e64 v23, 0, 0x3ff00000, vcc_lo
	s_delay_alu instid0(VALU_DEP_3) | instskip(NEXT) | instid1(VALU_DEP_2)
	v_add_f64_e32 v[42:43], v[42:43], v[44:45]
	v_add_f64_e64 v[44:45], v[56:57], -v[22:23]
	s_delay_alu instid0(VALU_DEP_1) | instskip(NEXT) | instid1(VALU_DEP_1)
	v_add_f64_e32 v[48:49], v[44:45], v[42:43]
	v_mul_f64_e32 v[50:51], 0x3ff921fb54442d18, v[48:49]
	v_add_f64_e64 v[44:45], v[48:49], -v[44:45]
	s_delay_alu instid0(VALU_DEP_2) | instskip(NEXT) | instid1(VALU_DEP_2)
	v_fma_f64 v[52:53], v[48:49], s[18:19], -v[50:51]
	v_add_f64_e64 v[42:43], v[42:43], -v[44:45]
	s_delay_alu instid0(VALU_DEP_2) | instskip(NEXT) | instid1(VALU_DEP_1)
	v_fmac_f64_e32 v[52:53], 0x3c91a62633145c07, v[48:49]
	v_fmac_f64_e32 v[52:53], 0x3ff921fb54442d18, v[42:43]
	s_delay_alu instid0(VALU_DEP_1) | instskip(NEXT) | instid1(VALU_DEP_1)
	v_add_f64_e32 v[42:43], v[50:51], v[52:53]
	v_add_f64_e64 v[44:45], v[42:43], -v[50:51]
	s_delay_alu instid0(VALU_DEP_1)
	v_add_f64_e64 v[44:45], v[52:53], -v[44:45]
	s_and_not1_saveexec_b32 s4, s4
	s_cbranch_execnz .LBB247_420
	s_branch .LBB247_421
.LBB247_419:                            ;   in Loop: Header=BB247_217 Depth=1
	s_and_not1_saveexec_b32 s4, s4
	s_cbranch_execz .LBB247_421
.LBB247_420:                            ;   in Loop: Header=BB247_217 Depth=1
	v_mul_f64_e64 v[42:43], |v[4:5]|, s[20:21]
	s_delay_alu instid0(VALU_DEP_1) | instskip(NEXT) | instid1(VALU_DEP_1)
	v_rndne_f64_e32 v[46:47], v[42:43]
	v_fma_f64 v[42:43], v[46:47], s[22:23], |v[4:5]|
	v_mul_f64_e32 v[44:45], 0xbc91a62633145c00, v[46:47]
	s_delay_alu instid0(VALU_DEP_2) | instskip(NEXT) | instid1(VALU_DEP_2)
	v_fmamk_f64 v[52:53], v[46:47], 0xbc91a62633145c00, v[42:43]
	v_add_f64_e32 v[48:49], v[42:43], v[44:45]
	s_delay_alu instid0(VALU_DEP_1) | instskip(NEXT) | instid1(VALU_DEP_3)
	v_add_f64_e64 v[50:51], v[42:43], -v[48:49]
	v_add_f64_e64 v[42:43], v[48:49], -v[52:53]
	s_delay_alu instid0(VALU_DEP_2) | instskip(SKIP_1) | instid1(VALU_DEP_2)
	v_add_f64_e32 v[48:49], v[50:51], v[44:45]
	v_fmamk_f64 v[44:45], v[46:47], 0x3c91a62633145c00, v[44:45]
	v_add_f64_e32 v[42:43], v[42:43], v[48:49]
	s_delay_alu instid0(VALU_DEP_1) | instskip(NEXT) | instid1(VALU_DEP_1)
	v_add_f64_e64 v[44:45], v[42:43], -v[44:45]
	v_fmac_f64_e32 v[44:45], 0xb97b839a252049c0, v[46:47]
	v_cvt_i32_f64_e32 v46, v[46:47]
	s_delay_alu instid0(VALU_DEP_2) | instskip(NEXT) | instid1(VALU_DEP_1)
	v_add_f64_e32 v[42:43], v[52:53], v[44:45]
	v_add_f64_e64 v[48:49], v[42:43], -v[52:53]
	s_delay_alu instid0(VALU_DEP_1)
	v_add_f64_e64 v[44:45], v[44:45], -v[48:49]
.LBB247_421:                            ;   in Loop: Header=BB247_217 Depth=1
	s_or_b32 exec_lo, exec_lo, s4
	v_mul_f64_e32 v[48:49], v[2:3], v[2:3]
	v_mul_f64_e32 v[50:51], v[42:43], v[42:43]
	s_delay_alu instid0(VALU_DEP_3) | instskip(NEXT) | instid1(VALU_DEP_4)
	v_mul_f64_e32 v[60:61], 0.5, v[40:41]
	v_mul_f64_e32 v[68:69], 0.5, v[44:45]
	v_cmp_class_f64_e64 s4, v[4:5], 0x1f8
	v_and_b32_e32 v4, 1, v46
	v_and_b32_e32 v23, 1, v38
	v_lshlrev_b32_e32 v5, 30, v46
	s_delay_alu instid0(VALU_DEP_3) | instskip(SKIP_1) | instid1(VALU_DEP_4)
	v_cmp_eq_u32_e64 s5, 0, v4
	v_lshlrev_b32_e32 v4, 30, v38
	v_cmp_eq_u32_e32 vcc_lo, 0, v23
	s_delay_alu instid0(VALU_DEP_4) | instskip(SKIP_4) | instid1(VALU_DEP_3)
	v_dual_mul_f64 v[52:53], 0.5, v[48:49] :: v_dual_bitop2_b32 v5, v5, v39 bitop3:0x14
	v_mul_f64_e64 v[62:63], v[2:3], -v[48:49]
	v_fmamk_f64 v[66:67], v[48:49], 0x3de5e0b2f9a43bb8, v[28:29]
	v_mul_f64_e64 v[70:71], v[42:43], -v[50:51]
	v_fmamk_f64 v[74:75], v[50:51], 0x3de5e0b2f9a43bb8, v[28:29]
	v_fmaak_f64 v[66:67], v[48:49], v[66:67], 0x3ec71de3796cde01
	s_delay_alu instid0(VALU_DEP_1) | instskip(NEXT) | instid1(VALU_DEP_1)
	v_fmaak_f64 v[66:67], v[48:49], v[66:67], 0xbf2a01a019e83e5c
	v_fmaak_f64 v[66:67], v[48:49], v[66:67], 0x3f81111111110bb3
	v_add_f64_e64 v[56:57], -v[52:53], 1.0
	s_delay_alu instid0(VALU_DEP_2) | instskip(SKIP_1) | instid1(VALU_DEP_3)
	v_fmac_f64_e32 v[60:61], v[62:63], v[66:67]
	v_mul_f64_e32 v[66:67], v[48:49], v[48:49]
	v_add_f64_e64 v[64:65], -v[56:57], 1.0
	s_delay_alu instid0(VALU_DEP_3) | instskip(NEXT) | instid1(VALU_DEP_2)
	v_fma_f64 v[60:61], v[48:49], v[60:61], -v[40:41]
	v_add_f64_e64 v[52:53], v[64:65], -v[52:53]
	v_fmaak_f64 v[64:65], v[50:51], v[74:75], 0x3ec71de3796cde01
	s_delay_alu instid0(VALU_DEP_3) | instskip(NEXT) | instid1(VALU_DEP_2)
	v_fmac_f64_e32 v[60:61], 0xbfc5555555555555, v[62:63]
	v_fmaak_f64 v[64:65], v[50:51], v[64:65], 0xbf2a01a019e83e5c
	s_delay_alu instid0(VALU_DEP_1) | instskip(NEXT) | instid1(VALU_DEP_1)
	v_fmaak_f64 v[64:65], v[50:51], v[64:65], 0x3f81111111110bb3
	v_fmac_f64_e32 v[68:69], v[70:71], v[64:65]
	v_fmamk_f64 v[64:65], v[48:49], 0xbda907db46cc5e42, v[26:27]
	v_fma_f64 v[40:41], v[2:3], -v[40:41], v[52:53]
	s_delay_alu instid0(VALU_DEP_2) | instskip(SKIP_2) | instid1(VALU_DEP_3)
	v_fmaak_f64 v[52:53], v[48:49], v[64:65], 0xbe927e4fa17f65f6
	v_add_f64_e64 v[2:3], v[2:3], -v[60:61]
	v_fmamk_f64 v[64:65], v[50:51], 0xbda907db46cc5e42, v[26:27]
	v_fmaak_f64 v[52:53], v[48:49], v[52:53], 0x3efa01a019f4ec90
	s_delay_alu instid0(VALU_DEP_1) | instskip(NEXT) | instid1(VALU_DEP_1)
	v_fmaak_f64 v[52:53], v[48:49], v[52:53], 0xbf56c16c16c16967
	v_fmaak_f64 v[48:49], v[48:49], v[52:53], 0x3fa5555555555555
	v_fma_f64 v[68:69], v[50:51], v[68:69], -v[44:45]
	v_fmaak_f64 v[52:53], v[50:51], v[64:65], 0xbe927e4fa17f65f6
	s_delay_alu instid0(VALU_DEP_3) | instskip(NEXT) | instid1(VALU_DEP_2)
	v_fmac_f64_e32 v[40:41], v[66:67], v[48:49]
	v_fmaak_f64 v[48:49], v[50:51], v[52:53], 0x3efa01a019f4ec90
	v_xor_b32_e32 v3, 0x80000000, v3
	s_delay_alu instid0(VALU_DEP_2) | instskip(NEXT) | instid1(VALU_DEP_1)
	v_fmaak_f64 v[48:49], v[50:51], v[48:49], 0xbf56c16c16c16967
	v_fmaak_f64 v[48:49], v[50:51], v[48:49], 0x3fa5555555555555
	v_fmac_f64_e32 v[68:69], 0xbfc5555555555555, v[70:71]
	v_add_f64_e32 v[40:41], v[56:57], v[40:41]
	s_delay_alu instid0(VALU_DEP_1) | instskip(NEXT) | instid1(VALU_DEP_1)
	v_dual_mul_f64 v[54:55], 0.5, v[50:51] :: v_dual_cndmask_b32 v2, v2, v40, vcc_lo
	v_add_f64_e64 v[58:59], -v[54:55], 1.0
	s_delay_alu instid0(VALU_DEP_2) | instskip(NEXT) | instid1(VALU_DEP_1)
	v_dual_cndmask_b32 v3, v3, v41, vcc_lo :: v_dual_cndmask_b32 v40, 0, v2, s4
	v_bitop3_b32 v3, v3, v4, 0x80000000 bitop3:0x78
	s_delay_alu instid0(VALU_DEP_1) | instskip(NEXT) | instid1(VALU_DEP_4)
	v_cndmask_b32_e64 v41, 0x7ff80000, v3, s4
	v_add_f64_e64 v[72:73], -v[58:59], 1.0
	s_delay_alu instid0(VALU_DEP_1) | instskip(SKIP_1) | instid1(VALU_DEP_2)
	v_add_f64_e64 v[54:55], v[72:73], -v[54:55]
	v_mul_f64_e32 v[72:73], v[50:51], v[50:51]
	v_fma_f64 v[44:45], v[42:43], -v[44:45], v[54:55]
	v_add_f64_e64 v[42:43], v[42:43], -v[68:69]
	s_delay_alu instid0(VALU_DEP_2) | instskip(NEXT) | instid1(VALU_DEP_1)
	v_fmac_f64_e32 v[44:45], v[72:73], v[48:49]
	v_add_f64_e32 v[44:45], v[58:59], v[44:45]
	s_delay_alu instid0(VALU_DEP_1) | instskip(NEXT) | instid1(VALU_DEP_1)
	v_dual_cndmask_b32 v38, v45, v43, s5 :: v_dual_cndmask_b32 v23, v44, v42, s5
	v_bitop3_b32 v4, v38, v5, 0x80000000 bitop3:0x78
	s_delay_alu instid0(VALU_DEP_2) | instskip(NEXT) | instid1(VALU_DEP_2)
	v_cndmask_b32_e64 v38, 0, v23, s4
	v_cndmask_b32_e64 v39, 0x7ff80000, v4, s4
.LBB247_422:                            ;   in Loop: Header=BB247_217 Depth=1
	s_or_b32 exec_lo, exec_lo, s6
                                        ; implicit-def: $vgpr2_vgpr3
.LBB247_423:                            ;   in Loop: Header=BB247_217 Depth=1
	s_and_not1_saveexec_b32 s5, s38
	s_cbranch_execz .LBB247_425
; %bb.424:                              ;   in Loop: Header=BB247_217 Depth=1
	v_mul_f64_e32 v[4:5], 0xbff71547652b82fe, v[2:3]
	v_cmp_ngt_f64_e32 vcc_lo, 0xc0900000, v[2:3]
	v_cmp_nlt_f64_e64 s4, 0x4090cc00, v[2:3]
	s_delay_alu instid0(VALU_DEP_3) | instskip(NEXT) | instid1(VALU_DEP_1)
	v_rndne_f64_e32 v[4:5], v[4:5]
	v_fma_f64 v[40:41], v[4:5], s[24:25], -v[2:3]
	v_cvt_i32_f64_e32 v23, v[4:5]
	s_delay_alu instid0(VALU_DEP_2) | instskip(NEXT) | instid1(VALU_DEP_1)
	v_fmac_f64_e32 v[40:41], 0xbc7abc9e3b39803f, v[4:5]
	v_fmamk_f64 v[42:43], v[40:41], 0x3e5ade156a5dcb37, v[24:25]
	s_delay_alu instid0(VALU_DEP_1) | instskip(NEXT) | instid1(VALU_DEP_1)
	v_fmaak_f64 v[42:43], v[40:41], v[42:43], 0x3ec71dee623fde64
	v_fmaak_f64 v[42:43], v[40:41], v[42:43], 0x3efa01997c89e6b0
	s_delay_alu instid0(VALU_DEP_1) | instskip(NEXT) | instid1(VALU_DEP_1)
	v_fmaak_f64 v[42:43], v[40:41], v[42:43], 0x3f2a01a014761f6e
	v_fmaak_f64 v[42:43], v[40:41], v[42:43], 0x3f56c16c1852b7b0
	;; [unrolled: 3-line block ×4, first 2 shown]
	s_delay_alu instid0(VALU_DEP_1) | instskip(NEXT) | instid1(VALU_DEP_1)
	v_fma_f64 v[42:43], v[40:41], v[42:43], 1.0
	v_fma_f64 v[4:5], v[40:41], v[42:43], 1.0
	s_delay_alu instid0(VALU_DEP_1) | instskip(NEXT) | instid1(VALU_DEP_1)
	v_ldexp_f64 v[4:5], v[4:5], v23
	v_cndmask_b32_e32 v5, 0x7ff00000, v5, vcc_lo
	s_and_b32 vcc_lo, s4, vcc_lo
	s_delay_alu instid0(VALU_DEP_1) | instid1(SALU_CYCLE_1)
	v_dual_cndmask_b32 v40, 0, v4, vcc_lo :: v_dual_cndmask_b32 v41, 0, v5, s4
.LBB247_425:                            ;   in Loop: Header=BB247_217 Depth=1
	s_or_b32 exec_lo, exec_lo, s5
	s_delay_alu instid0(VALU_DEP_1) | instskip(SKIP_1) | instid1(VALU_DEP_1)
	v_add_f64_e32 v[38:39], s[10:11], v[38:39]
	s_mov_b32 s4, exec_lo
	v_xor_b32_e32 v3, 0x80000000, v39
	s_delay_alu instid0(VALU_DEP_3) | instskip(NEXT) | instid1(VALU_DEP_1)
	v_add_f64_e32 v[40:41], s[8:9], v[40:41]
	v_cmp_gt_f64_e32 vcc_lo, 0, v[40:41]
	v_xor_b32_e32 v2, 0x80000000, v41
	s_delay_alu instid0(VALU_DEP_1) | instskip(SKIP_3) | instid1(VALU_DEP_1)
	v_cndmask_b32_e32 v43, v41, v2, vcc_lo
	v_cmp_gt_f64_e32 vcc_lo, 0, v[38:39]
	v_dual_cndmask_b32 v45, v39, v3 :: v_dual_mov_b32 v42, v40
	v_mov_b32_e32 v44, v38
                                        ; implicit-def: $vgpr4_vgpr5
	v_cmpx_ge_f64_e32 v[42:43], v[44:45]
	s_xor_b32 s5, exec_lo, s4
	s_cbranch_execz .LBB247_435
; %bb.426:                              ;   in Loop: Header=BB247_217 Depth=1
	v_cmp_neq_f64_e32 vcc_lo, 0, v[40:41]
	v_cmp_neq_f64_e64 s4, 0, v[38:39]
                                        ; implicit-def: $vgpr4_vgpr5
	s_or_b32 s4, vcc_lo, s4
	s_delay_alu instid0(SALU_CYCLE_1) | instskip(NEXT) | instid1(SALU_CYCLE_1)
	s_and_saveexec_b32 s6, s4
	s_xor_b32 s4, exec_lo, s6
	s_cbranch_execz .LBB247_428
; %bb.427:                              ;   in Loop: Header=BB247_217 Depth=1
	v_div_scale_f64 v[2:3], null, v[40:41], v[40:41], v[38:39]
	v_div_scale_f64 v[44:45], vcc_lo, v[38:39], v[40:41], v[38:39]
	s_delay_alu instid0(VALU_DEP_2) | instskip(SKIP_1) | instid1(TRANS32_DEP_1)
	v_rcp_f64_e32 v[4:5], v[2:3]
	v_nop
	v_fma_f64 v[42:43], -v[2:3], v[4:5], 1.0
	s_delay_alu instid0(VALU_DEP_1) | instskip(NEXT) | instid1(VALU_DEP_1)
	v_fmac_f64_e32 v[4:5], v[4:5], v[42:43]
	v_fma_f64 v[42:43], -v[2:3], v[4:5], 1.0
	s_delay_alu instid0(VALU_DEP_1) | instskip(NEXT) | instid1(VALU_DEP_1)
	v_fmac_f64_e32 v[4:5], v[4:5], v[42:43]
	v_mul_f64_e32 v[42:43], v[44:45], v[4:5]
	s_delay_alu instid0(VALU_DEP_1) | instskip(NEXT) | instid1(VALU_DEP_1)
	v_fma_f64 v[2:3], -v[2:3], v[42:43], v[44:45]
	v_div_fmas_f64 v[2:3], v[2:3], v[4:5], v[42:43]
	s_delay_alu instid0(VALU_DEP_1) | instskip(NEXT) | instid1(VALU_DEP_1)
	v_div_fixup_f64 v[2:3], v[2:3], v[40:41], v[38:39]
	v_fmac_f64_e32 v[40:41], v[38:39], v[2:3]
	s_delay_alu instid0(VALU_DEP_1) | instskip(SKIP_1) | instid1(VALU_DEP_2)
	v_div_scale_f64 v[4:5], null, v[40:41], v[40:41], 1.0
	v_div_scale_f64 v[44:45], vcc_lo, 1.0, v[40:41], 1.0
	v_rcp_f64_e32 v[38:39], v[4:5]
	v_nop
	s_delay_alu instid0(TRANS32_DEP_1) | instskip(NEXT) | instid1(VALU_DEP_1)
	v_fma_f64 v[42:43], -v[4:5], v[38:39], 1.0
	v_fmac_f64_e32 v[38:39], v[38:39], v[42:43]
	s_delay_alu instid0(VALU_DEP_1) | instskip(NEXT) | instid1(VALU_DEP_1)
	v_fma_f64 v[42:43], -v[4:5], v[38:39], 1.0
	v_fmac_f64_e32 v[38:39], v[38:39], v[42:43]
	s_delay_alu instid0(VALU_DEP_1) | instskip(NEXT) | instid1(VALU_DEP_1)
	v_mul_f64_e32 v[42:43], v[44:45], v[38:39]
	v_fma_f64 v[4:5], -v[4:5], v[42:43], v[44:45]
                                        ; implicit-def: $vgpr44_vgpr45
	s_delay_alu instid0(VALU_DEP_1) | instskip(SKIP_1) | instid1(VALU_DEP_2)
	v_div_fmas_f64 v[4:5], v[4:5], v[38:39], v[42:43]
	v_fma_f64 v[38:39], s[10:11], v[2:3], s[8:9]
                                        ; implicit-def: $vgpr42_vgpr43
	v_div_fixup_f64 v[4:5], v[4:5], v[40:41], 1.0
	v_fma_f64 v[40:41], -s[8:9], v[2:3], s[10:11]
	s_delay_alu instid0(VALU_DEP_2) | instskip(NEXT) | instid1(VALU_DEP_2)
	v_mul_f64_e32 v[2:3], v[38:39], v[4:5]
	v_mul_f64_e32 v[4:5], v[40:41], v[4:5]
.LBB247_428:                            ;   in Loop: Header=BB247_217 Depth=1
	s_and_not1_saveexec_b32 s6, s4
	s_cbranch_execz .LBB247_430
; %bb.429:                              ;   in Loop: Header=BB247_217 Depth=1
	v_div_scale_f64 v[2:3], null, v[42:43], v[42:43], s[8:9]
	v_div_scale_f64 v[4:5], null, v[44:45], v[44:45], s[10:11]
	v_div_scale_f64 v[50:51], vcc_lo, s[8:9], v[42:43], s[8:9]
	s_delay_alu instid0(VALU_DEP_3) | instskip(NEXT) | instid1(VALU_DEP_2)
	v_rcp_f64_e32 v[38:39], v[2:3]
	v_rcp_f64_e32 v[40:41], v[4:5]
	s_delay_alu instid0(TRANS32_DEP_2) | instskip(NEXT) | instid1(TRANS32_DEP_1)
	v_fma_f64 v[46:47], -v[2:3], v[38:39], 1.0
	v_fma_f64 v[48:49], -v[4:5], v[40:41], 1.0
	s_delay_alu instid0(VALU_DEP_2) | instskip(NEXT) | instid1(VALU_DEP_2)
	v_fmac_f64_e32 v[38:39], v[38:39], v[46:47]
	v_fmac_f64_e32 v[40:41], v[40:41], v[48:49]
	s_delay_alu instid0(VALU_DEP_2) | instskip(NEXT) | instid1(VALU_DEP_2)
	v_fma_f64 v[46:47], -v[2:3], v[38:39], 1.0
	v_fma_f64 v[48:49], -v[4:5], v[40:41], 1.0
	s_delay_alu instid0(VALU_DEP_2) | instskip(SKIP_1) | instid1(VALU_DEP_3)
	v_fmac_f64_e32 v[38:39], v[38:39], v[46:47]
	v_div_scale_f64 v[46:47], s4, s[10:11], v[44:45], s[10:11]
	v_fmac_f64_e32 v[40:41], v[40:41], v[48:49]
	s_delay_alu instid0(VALU_DEP_3) | instskip(NEXT) | instid1(VALU_DEP_2)
	v_mul_f64_e32 v[48:49], v[50:51], v[38:39]
	v_mul_f64_e32 v[52:53], v[46:47], v[40:41]
	s_delay_alu instid0(VALU_DEP_2) | instskip(NEXT) | instid1(VALU_DEP_2)
	v_fma_f64 v[2:3], -v[2:3], v[48:49], v[50:51]
	v_fma_f64 v[4:5], -v[4:5], v[52:53], v[46:47]
	s_delay_alu instid0(VALU_DEP_2) | instskip(SKIP_1) | instid1(VALU_DEP_2)
	v_div_fmas_f64 v[2:3], v[2:3], v[38:39], v[48:49]
	s_mov_b32 vcc_lo, s4
	v_div_fmas_f64 v[4:5], v[4:5], v[40:41], v[52:53]
	s_delay_alu instid0(VALU_DEP_2) | instskip(NEXT) | instid1(VALU_DEP_2)
	v_div_fixup_f64 v[2:3], v[2:3], v[42:43], s[8:9]
	v_div_fixup_f64 v[4:5], v[4:5], v[44:45], s[10:11]
.LBB247_430:                            ;   in Loop: Header=BB247_217 Depth=1
	s_or_b32 exec_lo, exec_lo, s6
                                        ; implicit-def: $vgpr38_vgpr39
                                        ; implicit-def: $vgpr40_vgpr41
	s_and_not1_saveexec_b32 s4, s5
	s_cbranch_execnz .LBB247_436
.LBB247_431:                            ;   in Loop: Header=BB247_217 Depth=1
	s_or_b32 exec_lo, exec_lo, s4
	s_and_saveexec_b32 s4, s0
	s_delay_alu instid0(SALU_CYCLE_1)
	s_xor_b32 s0, exec_lo, s4
	s_cbranch_execz .LBB247_437
.LBB247_432:                            ;   in Loop: Header=BB247_217 Depth=1
	v_lshl_add_u64 v[30:31], v[30:31], 4, s[14:15]
	global_store_b128 v[30:31], v[6:9], off
	s_wait_xcnt 0x0
	s_or_b32 exec_lo, exec_lo, s0
	s_and_saveexec_b32 s0, s1
	s_cbranch_execnz .LBB247_438
.LBB247_433:                            ;   in Loop: Header=BB247_217 Depth=1
	s_or_b32 exec_lo, exec_lo, s0
	s_and_saveexec_b32 s0, s2
	s_cbranch_execz .LBB247_439
.LBB247_434:                            ;   in Loop: Header=BB247_217 Depth=1
	v_lshl_add_u64 v[6:7], v[34:35], 4, s[14:15]
	global_store_b128 v[6:7], v[10:13], off
	s_wait_xcnt 0x0
	s_or_b32 exec_lo, exec_lo, s0
	s_and_saveexec_b32 s0, s3
	s_cbranch_execz .LBB247_216
	s_branch .LBB247_440
.LBB247_435:                            ;   in Loop: Header=BB247_217 Depth=1
	s_and_not1_saveexec_b32 s4, s5
	s_cbranch_execz .LBB247_431
.LBB247_436:                            ;   in Loop: Header=BB247_217 Depth=1
	v_div_scale_f64 v[2:3], null, v[38:39], v[38:39], v[40:41]
	v_div_scale_f64 v[44:45], vcc_lo, v[40:41], v[38:39], v[40:41]
	s_delay_alu instid0(VALU_DEP_2) | instskip(SKIP_1) | instid1(TRANS32_DEP_1)
	v_rcp_f64_e32 v[4:5], v[2:3]
	v_nop
	v_fma_f64 v[42:43], -v[2:3], v[4:5], 1.0
	s_delay_alu instid0(VALU_DEP_1) | instskip(NEXT) | instid1(VALU_DEP_1)
	v_fmac_f64_e32 v[4:5], v[4:5], v[42:43]
	v_fma_f64 v[42:43], -v[2:3], v[4:5], 1.0
	s_delay_alu instid0(VALU_DEP_1) | instskip(NEXT) | instid1(VALU_DEP_1)
	v_fmac_f64_e32 v[4:5], v[4:5], v[42:43]
	v_mul_f64_e32 v[42:43], v[44:45], v[4:5]
	s_delay_alu instid0(VALU_DEP_1) | instskip(NEXT) | instid1(VALU_DEP_1)
	v_fma_f64 v[2:3], -v[2:3], v[42:43], v[44:45]
	v_div_fmas_f64 v[2:3], v[2:3], v[4:5], v[42:43]
	s_delay_alu instid0(VALU_DEP_1) | instskip(NEXT) | instid1(VALU_DEP_1)
	v_div_fixup_f64 v[2:3], v[2:3], v[38:39], v[40:41]
	v_fmac_f64_e32 v[38:39], v[40:41], v[2:3]
	s_delay_alu instid0(VALU_DEP_1) | instskip(SKIP_1) | instid1(VALU_DEP_2)
	v_div_scale_f64 v[4:5], null, v[38:39], v[38:39], 1.0
	v_div_scale_f64 v[44:45], vcc_lo, 1.0, v[38:39], 1.0
	v_rcp_f64_e32 v[40:41], v[4:5]
	v_nop
	s_delay_alu instid0(TRANS32_DEP_1) | instskip(NEXT) | instid1(VALU_DEP_1)
	v_fma_f64 v[42:43], -v[4:5], v[40:41], 1.0
	v_fmac_f64_e32 v[40:41], v[40:41], v[42:43]
	s_delay_alu instid0(VALU_DEP_1) | instskip(NEXT) | instid1(VALU_DEP_1)
	v_fma_f64 v[42:43], -v[4:5], v[40:41], 1.0
	v_fmac_f64_e32 v[40:41], v[40:41], v[42:43]
	s_delay_alu instid0(VALU_DEP_1) | instskip(NEXT) | instid1(VALU_DEP_1)
	v_mul_f64_e32 v[42:43], v[44:45], v[40:41]
	v_fma_f64 v[4:5], -v[4:5], v[42:43], v[44:45]
	s_delay_alu instid0(VALU_DEP_1) | instskip(SKIP_1) | instid1(VALU_DEP_2)
	v_div_fmas_f64 v[4:5], v[4:5], v[40:41], v[42:43]
	v_fma_f64 v[40:41], s[8:9], v[2:3], s[10:11]
	v_div_fixup_f64 v[4:5], v[4:5], v[38:39], 1.0
	v_fma_f64 v[38:39], s[10:11], v[2:3], -s[8:9]
	s_delay_alu instid0(VALU_DEP_2) | instskip(NEXT) | instid1(VALU_DEP_2)
	v_mul_f64_e32 v[2:3], v[40:41], v[4:5]
	v_mul_f64_e32 v[4:5], v[38:39], v[4:5]
	s_or_b32 exec_lo, exec_lo, s4
	s_and_saveexec_b32 s4, s0
	s_delay_alu instid0(SALU_CYCLE_1)
	s_xor_b32 s0, exec_lo, s4
	s_cbranch_execnz .LBB247_432
.LBB247_437:                            ;   in Loop: Header=BB247_217 Depth=1
	s_or_b32 exec_lo, exec_lo, s0
	s_and_saveexec_b32 s0, s1
	s_cbranch_execz .LBB247_433
.LBB247_438:                            ;   in Loop: Header=BB247_217 Depth=1
	v_lshl_add_u64 v[6:7], v[32:33], 4, s[14:15]
	global_store_b128 v[6:7], v[14:17], off
	s_wait_xcnt 0x0
	s_or_b32 exec_lo, exec_lo, s0
	s_and_saveexec_b32 s0, s2
	s_cbranch_execnz .LBB247_434
.LBB247_439:                            ;   in Loop: Header=BB247_217 Depth=1
	s_or_b32 exec_lo, exec_lo, s0
	s_and_saveexec_b32 s0, s3
	s_cbranch_execz .LBB247_216
.LBB247_440:                            ;   in Loop: Header=BB247_217 Depth=1
	v_lshl_add_u64 v[6:7], v[36:37], 4, s[14:15]
	global_store_b128 v[6:7], v[2:5], off
	s_branch .LBB247_216
.LBB247_441:
	s_sendmsg sendmsg(MSG_DEALLOC_VGPRS)
	s_endpgm
	.section	.rodata,"a",@progbits
	.p2align	6, 0x0
	.amdhsa_kernel _ZN2at6native12_GLOBAL__N_125multi_tensor_apply_kernelINS1_18TensorListMetadataILi2EEENS1_14UnaryOpFunctorIN3c107complexIdEELi2ELi1ELi1EEEJNS0_7SigmoidIS8_EEEEEvT_T0_DpT1_
		.amdhsa_group_segment_fixed_size 0
		.amdhsa_private_segment_fixed_size 0
		.amdhsa_kernarg_size 3424
		.amdhsa_user_sgpr_count 2
		.amdhsa_user_sgpr_dispatch_ptr 0
		.amdhsa_user_sgpr_queue_ptr 0
		.amdhsa_user_sgpr_kernarg_segment_ptr 1
		.amdhsa_user_sgpr_dispatch_id 0
		.amdhsa_user_sgpr_kernarg_preload_length 0
		.amdhsa_user_sgpr_kernarg_preload_offset 0
		.amdhsa_user_sgpr_private_segment_size 0
		.amdhsa_wavefront_size32 1
		.amdhsa_uses_dynamic_stack 0
		.amdhsa_enable_private_segment 0
		.amdhsa_system_sgpr_workgroup_id_x 1
		.amdhsa_system_sgpr_workgroup_id_y 0
		.amdhsa_system_sgpr_workgroup_id_z 0
		.amdhsa_system_sgpr_workgroup_info 0
		.amdhsa_system_vgpr_workitem_id 0
		.amdhsa_next_free_vgpr 84
		.amdhsa_next_free_sgpr 42
		.amdhsa_named_barrier_count 0
		.amdhsa_reserve_vcc 1
		.amdhsa_float_round_mode_32 0
		.amdhsa_float_round_mode_16_64 0
		.amdhsa_float_denorm_mode_32 3
		.amdhsa_float_denorm_mode_16_64 3
		.amdhsa_fp16_overflow 0
		.amdhsa_memory_ordered 1
		.amdhsa_forward_progress 1
		.amdhsa_inst_pref_size 255
		.amdhsa_round_robin_scheduling 0
		.amdhsa_exception_fp_ieee_invalid_op 0
		.amdhsa_exception_fp_denorm_src 0
		.amdhsa_exception_fp_ieee_div_zero 0
		.amdhsa_exception_fp_ieee_overflow 0
		.amdhsa_exception_fp_ieee_underflow 0
		.amdhsa_exception_fp_ieee_inexact 0
		.amdhsa_exception_int_div_zero 0
	.end_amdhsa_kernel
	.section	.text._ZN2at6native12_GLOBAL__N_125multi_tensor_apply_kernelINS1_18TensorListMetadataILi2EEENS1_14UnaryOpFunctorIN3c107complexIdEELi2ELi1ELi1EEEJNS0_7SigmoidIS8_EEEEEvT_T0_DpT1_,"axG",@progbits,_ZN2at6native12_GLOBAL__N_125multi_tensor_apply_kernelINS1_18TensorListMetadataILi2EEENS1_14UnaryOpFunctorIN3c107complexIdEELi2ELi1ELi1EEEJNS0_7SigmoidIS8_EEEEEvT_T0_DpT1_,comdat
.Lfunc_end247:
	.size	_ZN2at6native12_GLOBAL__N_125multi_tensor_apply_kernelINS1_18TensorListMetadataILi2EEENS1_14UnaryOpFunctorIN3c107complexIdEELi2ELi1ELi1EEEJNS0_7SigmoidIS8_EEEEEvT_T0_DpT1_, .Lfunc_end247-_ZN2at6native12_GLOBAL__N_125multi_tensor_apply_kernelINS1_18TensorListMetadataILi2EEENS1_14UnaryOpFunctorIN3c107complexIdEELi2ELi1ELi1EEEJNS0_7SigmoidIS8_EEEEEvT_T0_DpT1_
                                        ; -- End function
	.set _ZN2at6native12_GLOBAL__N_125multi_tensor_apply_kernelINS1_18TensorListMetadataILi2EEENS1_14UnaryOpFunctorIN3c107complexIdEELi2ELi1ELi1EEEJNS0_7SigmoidIS8_EEEEEvT_T0_DpT1_.num_vgpr, 84
	.set _ZN2at6native12_GLOBAL__N_125multi_tensor_apply_kernelINS1_18TensorListMetadataILi2EEENS1_14UnaryOpFunctorIN3c107complexIdEELi2ELi1ELi1EEEJNS0_7SigmoidIS8_EEEEEvT_T0_DpT1_.num_agpr, 0
	.set _ZN2at6native12_GLOBAL__N_125multi_tensor_apply_kernelINS1_18TensorListMetadataILi2EEENS1_14UnaryOpFunctorIN3c107complexIdEELi2ELi1ELi1EEEJNS0_7SigmoidIS8_EEEEEvT_T0_DpT1_.numbered_sgpr, 42
	.set _ZN2at6native12_GLOBAL__N_125multi_tensor_apply_kernelINS1_18TensorListMetadataILi2EEENS1_14UnaryOpFunctorIN3c107complexIdEELi2ELi1ELi1EEEJNS0_7SigmoidIS8_EEEEEvT_T0_DpT1_.num_named_barrier, 0
	.set _ZN2at6native12_GLOBAL__N_125multi_tensor_apply_kernelINS1_18TensorListMetadataILi2EEENS1_14UnaryOpFunctorIN3c107complexIdEELi2ELi1ELi1EEEJNS0_7SigmoidIS8_EEEEEvT_T0_DpT1_.private_seg_size, 0
	.set _ZN2at6native12_GLOBAL__N_125multi_tensor_apply_kernelINS1_18TensorListMetadataILi2EEENS1_14UnaryOpFunctorIN3c107complexIdEELi2ELi1ELi1EEEJNS0_7SigmoidIS8_EEEEEvT_T0_DpT1_.uses_vcc, 1
	.set _ZN2at6native12_GLOBAL__N_125multi_tensor_apply_kernelINS1_18TensorListMetadataILi2EEENS1_14UnaryOpFunctorIN3c107complexIdEELi2ELi1ELi1EEEJNS0_7SigmoidIS8_EEEEEvT_T0_DpT1_.uses_flat_scratch, 0
	.set _ZN2at6native12_GLOBAL__N_125multi_tensor_apply_kernelINS1_18TensorListMetadataILi2EEENS1_14UnaryOpFunctorIN3c107complexIdEELi2ELi1ELi1EEEJNS0_7SigmoidIS8_EEEEEvT_T0_DpT1_.has_dyn_sized_stack, 0
	.set _ZN2at6native12_GLOBAL__N_125multi_tensor_apply_kernelINS1_18TensorListMetadataILi2EEENS1_14UnaryOpFunctorIN3c107complexIdEELi2ELi1ELi1EEEJNS0_7SigmoidIS8_EEEEEvT_T0_DpT1_.has_recursion, 0
	.set _ZN2at6native12_GLOBAL__N_125multi_tensor_apply_kernelINS1_18TensorListMetadataILi2EEENS1_14UnaryOpFunctorIN3c107complexIdEELi2ELi1ELi1EEEJNS0_7SigmoidIS8_EEEEEvT_T0_DpT1_.has_indirect_call, 0
	.section	.AMDGPU.csdata,"",@progbits
; Kernel info:
; codeLenInByte = 69780
; TotalNumSgprs: 44
; NumVgprs: 84
; ScratchSize: 0
; MemoryBound: 1
; FloatMode: 240
; IeeeMode: 1
; LDSByteSize: 0 bytes/workgroup (compile time only)
; SGPRBlocks: 0
; VGPRBlocks: 5
; NumSGPRsForWavesPerEU: 44
; NumVGPRsForWavesPerEU: 84
; NamedBarCnt: 0
; Occupancy: 10
; WaveLimiterHint : 0
; COMPUTE_PGM_RSRC2:SCRATCH_EN: 0
; COMPUTE_PGM_RSRC2:USER_SGPR: 2
; COMPUTE_PGM_RSRC2:TRAP_HANDLER: 0
; COMPUTE_PGM_RSRC2:TGID_X_EN: 1
; COMPUTE_PGM_RSRC2:TGID_Y_EN: 0
; COMPUTE_PGM_RSRC2:TGID_Z_EN: 0
; COMPUTE_PGM_RSRC2:TIDIG_COMP_CNT: 0
	.section	.text._ZN2at6native12_GLOBAL__N_125multi_tensor_apply_kernelINS1_18TensorListMetadataILi2EEENS1_14UnaryOpFunctorIN3c107complexIfEELi2ELi1ELi1EEEJNS0_7SigmoidIS8_EEEEEvT_T0_DpT1_,"axG",@progbits,_ZN2at6native12_GLOBAL__N_125multi_tensor_apply_kernelINS1_18TensorListMetadataILi2EEENS1_14UnaryOpFunctorIN3c107complexIfEELi2ELi1ELi1EEEJNS0_7SigmoidIS8_EEEEEvT_T0_DpT1_,comdat
	.globl	_ZN2at6native12_GLOBAL__N_125multi_tensor_apply_kernelINS1_18TensorListMetadataILi2EEENS1_14UnaryOpFunctorIN3c107complexIfEELi2ELi1ELi1EEEJNS0_7SigmoidIS8_EEEEEvT_T0_DpT1_ ; -- Begin function _ZN2at6native12_GLOBAL__N_125multi_tensor_apply_kernelINS1_18TensorListMetadataILi2EEENS1_14UnaryOpFunctorIN3c107complexIfEELi2ELi1ELi1EEEJNS0_7SigmoidIS8_EEEEEvT_T0_DpT1_
	.p2align	8
	.type	_ZN2at6native12_GLOBAL__N_125multi_tensor_apply_kernelINS1_18TensorListMetadataILi2EEENS1_14UnaryOpFunctorIN3c107complexIfEELi2ELi1ELi1EEEJNS0_7SigmoidIS8_EEEEEvT_T0_DpT1_,@function
_ZN2at6native12_GLOBAL__N_125multi_tensor_apply_kernelINS1_18TensorListMetadataILi2EEENS1_14UnaryOpFunctorIN3c107complexIfEELi2ELi1ELi1EEEJNS0_7SigmoidIS8_EEEEEvT_T0_DpT1_: ; @_ZN2at6native12_GLOBAL__N_125multi_tensor_apply_kernelINS1_18TensorListMetadataILi2EEENS1_14UnaryOpFunctorIN3c107complexIfEELi2ELi1ELi1EEEJNS0_7SigmoidIS8_EEEEEvT_T0_DpT1_
; %bb.0:
	s_bfe_u32 s2, ttmp6, 0x4000c
	s_and_b32 s3, ttmp6, 15
	s_add_co_i32 s2, s2, 1
	s_getreg_b32 s4, hwreg(HW_REG_IB_STS2, 6, 4)
	s_mul_i32 s2, ttmp9, s2
	s_delay_alu instid0(SALU_CYCLE_1)
	s_add_co_i32 s3, s3, s2
	s_cmp_eq_u32 s4, 0
	s_cselect_b32 s2, ttmp9, s3
	s_mov_b32 s3, 0
	s_load_u8 s11, s[0:1], s2 offset:0x600
	s_add_nc_u64 s[4:5], s[0:1], s[2:3]
	s_mul_u64 s[6:7], s[2:3], 3
	s_mov_b32 s21, s3
	s_add_nc_u64 s[8:9], s[4:5], s[6:7]
	s_load_b32 s10, s[8:9], 0x740
	s_wait_kmcnt 0x0
	s_clause 0x3
	s_load_b64 s[4:5], s[0:1], s11 offset:0x0 scale_offset
	s_load_b64 s[16:17], s[0:1], s11 offset:0x200 scale_offset
	s_load_b64 s[18:19], s[0:1], s11 offset:0x400 scale_offset
	s_load_b64 s[6:7], s[0:1], 0xc50
	s_wait_xcnt 0x0
	s_ashr_i32 s11, s10, 31
	s_delay_alu instid0(SALU_CYCLE_1)
	s_lshl_b64 s[8:9], s[10:11], 19
	s_wait_kmcnt 0x0
	s_and_b32 s20, s18, 3
	s_add_nc_u64 s[14:15], s[16:17], s[8:9]
	s_add_nc_u64 s[12:13], s[4:5], s[8:9]
	s_and_b64 s[22:23], s[14:15], 31
	s_and_b32 s2, s12, 31
	s_or_b64 s[20:21], s[22:23], s[20:21]
	s_lshl_b64 s[10:11], s[10:11], 16
	s_or_b64 s[2:3], s[20:21], s[2:3]
	s_sub_nc_u64 s[10:11], s[18:19], s[10:11]
	s_cmp_eq_u64 s[2:3], 0
	s_mov_b32 s2, -1
	s_cbranch_scc0 .LBB248_213
; %bb.1:
	v_min_i64 v[14:15], 0x10000, s[10:11]
	v_dual_mov_b32 v17, 0 :: v_dual_lshlrev_b32 v16, 2, v0
	s_mov_b32 s26, exec_lo
	s_delay_alu instid0(VALU_DEP_1)
	v_cmpx_lt_i64_e64 v[16:17], v[14:15]
	s_cbranch_execz .LBB248_212
; %bb.2:
	s_load_b32 s2, s[0:1], 0xc64
	v_dual_mov_b32 v1, v17 :: v_dual_lshlrev_b32 v18, 5, v0
	v_mov_b32_e32 v19, v17
	s_mov_b32 s19, 0
	s_mov_b32 s20, s7
	s_delay_alu instid0(VALU_DEP_2)
	v_mov_b64_e32 v[20:21], v[0:1]
	s_mov_b32 s21, s6
	s_mov_b32 s27, 0x7fffff
	s_mov_b64 s[22:23], 0xfe5163ab
	s_mov_b32 s28, 0xb94c1982
	s_mov_b32 s29, 0x37d75334
	;; [unrolled: 1-line block ×5, first 2 shown]
	s_wait_kmcnt 0x0
	s_and_b32 s18, s2, 0xffff
	s_delay_alu instid0(SALU_CYCLE_1)
	s_lshl_b32 s24, s18, 5
	s_branch .LBB248_4
.LBB248_3:                              ;   in Loop: Header=BB248_4 Depth=1
	s_or_b32 exec_lo, exec_lo, s2
	v_add_nc_u64_e32 v[20:21], s[18:19], v[20:21]
	s_add_nc_u64 s[12:13], s[12:13], s[24:25]
	s_delay_alu instid0(VALU_DEP_1) | instskip(NEXT) | instid1(VALU_DEP_1)
	v_lshlrev_b64_e32 v[2:3], 2, v[20:21]
	v_cmp_ge_i64_e32 vcc_lo, v[2:3], v[14:15]
	v_add_nc_u64_e32 v[2:3], s[14:15], v[18:19]
	s_add_nc_u64 s[14:15], s[14:15], s[24:25]
	s_clause 0x1
	global_store_b128 v[2:3], v[6:9], off
	global_store_b128 v[2:3], v[10:13], off offset:16
	s_or_b32 s31, vcc_lo, s31
	s_wait_xcnt 0x0
	s_and_not1_b32 exec_lo, exec_lo, s31
	s_cbranch_execz .LBB248_212
.LBB248_4:                              ; =>This Inner Loop Header: Depth=1
	v_add_nc_u64_e32 v[6:7], s[12:13], v[18:19]
	s_mov_b32 s2, exec_lo
	s_clause 0x1
	global_load_b128 v[8:11], v[6:7], off
	global_load_b128 v[2:5], v[6:7], off offset:16
	s_wait_loadcnt 0x1
	v_and_b32_e32 v1, 0x7fffffff, v9
	s_wait_xcnt 0x0
	v_xor_b32_e32 v7, 0x80000000, v9
	s_delay_alu instid0(VALU_DEP_2)
	v_cmpx_ne_u32_e32 0, v1
	s_xor_b32 s33, exec_lo, s2
	s_cbranch_execz .LBB248_46
; %bb.5:                                ;   in Loop: Header=BB248_4 Depth=1
	v_and_b32_e32 v13, 0x7fffffff, v8
	s_mov_b32 s2, exec_lo
	s_delay_alu instid0(VALU_DEP_1)
	v_cmpx_ne_u32_e32 0, v13
	s_xor_b32 s34, exec_lo, s2
	s_cbranch_execz .LBB248_35
; %bb.6:                                ;   in Loop: Header=BB248_4 Depth=1
	v_xor_b32_e32 v12, 0x80000000, v8
	s_mov_b32 s2, exec_lo
	v_cmpx_gt_u32_e32 0x7f800000, v1
	s_xor_b32 s35, exec_lo, s2
	s_cbranch_execz .LBB248_28
; %bb.7:                                ;   in Loop: Header=BB248_4 Depth=1
	v_add_nc_u32_e32 v6, 0xbd4e8de8, v12
	s_mov_b32 s2, exec_lo
	s_delay_alu instid0(VALU_DEP_1)
	v_cmpx_lt_u32_e32 0x8e8e5c, v6
	s_xor_b32 s36, exec_lo, s2
	s_cbranch_execz .LBB248_17
; %bb.8:                                ;   in Loop: Header=BB248_4 Depth=1
	v_cmp_ngt_f32_e64 s37, 0x48000000, |v9|
                                        ; implicit-def: $vgpr12
                                        ; implicit-def: $vgpr6
	s_and_saveexec_b32 s2, s37
	s_delay_alu instid0(SALU_CYCLE_1)
	s_xor_b32 s38, exec_lo, s2
	s_cbranch_execz .LBB248_10
; %bb.9:                                ;   in Loop: Header=BB248_4 Depth=1
	v_and_or_b32 v16, v1, s27, 0x800000
	v_dual_mov_b32 v31, v17 :: v_dual_lshrrev_b32 v6, 23, v1
	v_mov_b32_e32 v33, v17
	s_delay_alu instid0(VALU_DEP_3) | instskip(NEXT) | instid1(VALU_DEP_1)
	v_mul_u64_e32 v[12:13], s[22:23], v[16:17]
	v_dual_mov_b32 v23, v17 :: v_dual_mov_b32 v22, v13
	s_delay_alu instid0(VALU_DEP_1) | instskip(NEXT) | instid1(VALU_DEP_1)
	v_mad_nc_u64_u32 v[22:23], 0x3c439041, v16, v[22:23]
	v_dual_mov_b32 v25, v17 :: v_dual_mov_b32 v24, v23
	s_delay_alu instid0(VALU_DEP_1) | instskip(NEXT) | instid1(VALU_DEP_1)
	v_mad_nc_u64_u32 v[24:25], 0xdb629599, v16, v[24:25]
	;; [unrolled: 3-line block ×4, first 2 shown]
	v_mov_b32_e32 v30, v29
	s_delay_alu instid0(VALU_DEP_1) | instskip(NEXT) | instid1(VALU_DEP_1)
	v_mad_nc_u64_u32 v[30:31], 0x4e441529, v16, v[30:31]
	v_mov_b32_e32 v32, v31
	s_delay_alu instid0(VALU_DEP_1) | instskip(SKIP_1) | instid1(VALU_DEP_1)
	v_mad_nc_u64_u32 v[32:33], 0xa2f9836e, v16, v[32:33]
	v_add_nc_u32_e32 v6, 0xffffff88, v6
	v_cmp_lt_u32_e32 vcc_lo, 63, v6
	v_cndmask_b32_e64 v13, 0, 0xffffffc0, vcc_lo
	s_delay_alu instid0(VALU_DEP_4) | instskip(NEXT) | instid1(VALU_DEP_2)
	v_cndmask_b32_e32 v23, v32, v28, vcc_lo
	v_dual_cndmask_b32 v27, v28, v24 :: v_dual_add_nc_u32 v6, v13, v6
	s_delay_alu instid0(VALU_DEP_1) | instskip(SKIP_2) | instid1(VALU_DEP_3)
	v_cmp_lt_u32_e64 s2, 31, v6
	v_cndmask_b32_e32 v25, v33, v30, vcc_lo
	v_cndmask_b32_e32 v16, v30, v26, vcc_lo
	v_cndmask_b32_e64 v13, 0, 0xffffffe0, s2
	s_delay_alu instid0(VALU_DEP_1) | instskip(NEXT) | instid1(VALU_DEP_1)
	v_add_nc_u32_e32 v6, v13, v6
	v_cmp_lt_u32_e64 s3, 31, v6
	s_delay_alu instid0(VALU_DEP_1) | instskip(NEXT) | instid1(VALU_DEP_1)
	v_cndmask_b32_e64 v13, 0, 0xffffffe0, s3
	v_add_nc_u32_e32 v6, v13, v6
	v_dual_cndmask_b32 v13, v26, v22, vcc_lo :: v_dual_cndmask_b32 v22, v23, v16, s2
	v_cndmask_b32_e64 v23, v25, v23, s2
	s_delay_alu instid0(VALU_DEP_1) | instskip(NEXT) | instid1(VALU_DEP_3)
	v_dual_cndmask_b32 v16, v16, v27, s2 :: v_dual_cndmask_b32 v23, v23, v22, s3
	v_dual_sub_nc_u32 v25, 32, v6 :: v_dual_cndmask_b32 v26, v27, v13, s2
	s_delay_alu instid0(VALU_DEP_1) | instskip(NEXT) | instid1(VALU_DEP_1)
	v_dual_cndmask_b32 v22, v22, v16, s3 :: v_dual_cndmask_b32 v16, v16, v26, s3
	v_alignbit_b32 v27, v23, v22, v25
	v_cndmask_b32_e32 v12, v24, v12, vcc_lo
	v_cmp_eq_u32_e32 vcc_lo, 0, v6
	s_delay_alu instid0(VALU_DEP_4) | instskip(NEXT) | instid1(VALU_DEP_3)
	v_alignbit_b32 v24, v22, v16, v25
	v_dual_cndmask_b32 v6, v27, v23, vcc_lo :: v_dual_cndmask_b32 v12, v13, v12, s2
	s_delay_alu instid0(VALU_DEP_2) | instskip(NEXT) | instid1(VALU_DEP_2)
	v_cndmask_b32_e32 v13, v24, v22, vcc_lo
	v_bfe_u32 v22, v6, 29, 1
	s_delay_alu instid0(VALU_DEP_3) | instskip(NEXT) | instid1(VALU_DEP_3)
	v_cndmask_b32_e64 v12, v26, v12, s3
	v_alignbit_b32 v23, v6, v13, 30
	s_delay_alu instid0(VALU_DEP_3) | instskip(NEXT) | instid1(VALU_DEP_3)
	v_sub_nc_u32_e32 v24, 0, v22
	v_alignbit_b32 v25, v16, v12, v25
	s_delay_alu instid0(VALU_DEP_2) | instskip(NEXT) | instid1(VALU_DEP_2)
	v_xor_b32_e32 v23, v23, v24
	v_cndmask_b32_e32 v16, v25, v16, vcc_lo
	s_delay_alu instid0(VALU_DEP_2) | instskip(NEXT) | instid1(VALU_DEP_2)
	v_clz_i32_u32_e32 v25, v23
	v_alignbit_b32 v13, v13, v16, 30
	v_alignbit_b32 v12, v16, v12, 30
	s_delay_alu instid0(VALU_DEP_3) | instskip(NEXT) | instid1(VALU_DEP_3)
	v_min_u32_e32 v25, 32, v25
	v_xor_b32_e32 v13, v13, v24
	s_delay_alu instid0(VALU_DEP_3) | instskip(NEXT) | instid1(VALU_DEP_3)
	v_dual_lshrrev_b32 v24, 29, v6 :: v_dual_bitop2_b32 v12, v12, v24 bitop3:0x14
	v_dual_sub_nc_u32 v16, 31, v25 :: v_dual_lshlrev_b32 v26, 23, v25
	s_delay_alu instid0(VALU_DEP_1) | instskip(NEXT) | instid1(VALU_DEP_3)
	v_alignbit_b32 v23, v23, v13, v16
	v_alignbit_b32 v12, v13, v12, v16
	s_delay_alu instid0(VALU_DEP_4) | instskip(NEXT) | instid1(VALU_DEP_2)
	v_lshlrev_b32_e32 v13, 31, v24
	v_alignbit_b32 v16, v23, v12, 9
	s_delay_alu instid0(VALU_DEP_2) | instskip(SKIP_1) | instid1(VALU_DEP_3)
	v_dual_lshrrev_b32 v23, 9, v23 :: v_dual_bitop2_b32 v24, 0.5, v13 bitop3:0x54
	v_or_b32_e32 v13, 0x33000000, v13
	v_clz_i32_u32_e32 v27, v16
	s_delay_alu instid0(VALU_DEP_3) | instskip(NEXT) | instid1(VALU_DEP_2)
	v_sub_nc_u32_e32 v24, v24, v26
	v_min_u32_e32 v26, 32, v27
	s_delay_alu instid0(VALU_DEP_1) | instskip(NEXT) | instid1(VALU_DEP_3)
	v_add_lshl_u32 v25, v26, v25, 23
	v_or_b32_e32 v23, v23, v24
	v_not_b32_e32 v24, v26
	s_delay_alu instid0(VALU_DEP_3) | instskip(NEXT) | instid1(VALU_DEP_3)
	v_sub_nc_u32_e32 v13, v13, v25
	v_mul_f32_e32 v27, 0x3fc90fda, v23
	s_delay_alu instid0(VALU_DEP_3) | instskip(NEXT) | instid1(VALU_DEP_2)
	v_alignbit_b32 v12, v16, v12, v24
	v_fma_f32 v16, 0x3fc90fda, v23, -v27
	s_delay_alu instid0(VALU_DEP_2) | instskip(NEXT) | instid1(VALU_DEP_2)
	v_lshrrev_b32_e32 v12, 9, v12
	v_fmac_f32_e32 v16, 0x33a22168, v23
	s_delay_alu instid0(VALU_DEP_2) | instskip(NEXT) | instid1(VALU_DEP_1)
	v_or_b32_e32 v12, v13, v12
	v_fmac_f32_e32 v16, 0x3fc90fda, v12
	s_delay_alu instid0(VALU_DEP_1) | instskip(NEXT) | instid1(VALU_DEP_1)
	v_dual_lshrrev_b32 v12, 30, v6 :: v_dual_add_f32 v6, v27, v16
	v_add_nc_u32_e32 v12, v22, v12
	s_and_not1_saveexec_b32 s2, s38
	s_branch .LBB248_11
.LBB248_10:                             ;   in Loop: Header=BB248_4 Depth=1
	s_and_not1_saveexec_b32 s2, s38
.LBB248_11:                             ;   in Loop: Header=BB248_4 Depth=1
	v_mul_f32_e64 v6, 0x3f22f983, |v9|
	s_delay_alu instid0(VALU_DEP_1) | instskip(NEXT) | instid1(VALU_DEP_1)
	v_rndne_f32_e32 v12, v6
	v_fma_f32 v6, 0xbfc90fda, v12, |v9|
	s_delay_alu instid0(VALU_DEP_1) | instskip(NEXT) | instid1(VALU_DEP_1)
	v_fmac_f32_e32 v6, 0xb3a22168, v12
	v_fmac_f32_e32 v6, 0xa7c234c4, v12
	v_cvt_i32_f32_e32 v12, v12
; %bb.12:                               ;   in Loop: Header=BB248_4 Depth=1
	s_or_b32 exec_lo, exec_lo, s2
                                        ; implicit-def: $vgpr16
                                        ; implicit-def: $vgpr13
	s_and_saveexec_b32 s2, s37
	s_delay_alu instid0(SALU_CYCLE_1)
	s_xor_b32 s37, exec_lo, s2
	s_cbranch_execz .LBB248_14
; %bb.13:                               ;   in Loop: Header=BB248_4 Depth=1
	v_and_or_b32 v16, v1, s27, 0x800000
	v_dual_lshrrev_b32 v13, 23, v1 :: v_dual_mov_b32 v33, v17
	v_mov_b32_e32 v35, v17
	s_delay_alu instid0(VALU_DEP_3) | instskip(SKIP_1) | instid1(VALU_DEP_4)
	v_mul_u64_e32 v[22:23], s[22:23], v[16:17]
	v_mov_b32_e32 v25, v17
	v_add_nc_u32_e32 v13, 0xffffff88, v13
	s_delay_alu instid0(VALU_DEP_1) | instskip(NEXT) | instid1(VALU_DEP_4)
	v_cmp_lt_u32_e32 vcc_lo, 63, v13
	v_mov_b32_e32 v24, v23
	v_cndmask_b32_e64 v23, 0, 0xffffffc0, vcc_lo
	s_delay_alu instid0(VALU_DEP_2) | instskip(NEXT) | instid1(VALU_DEP_2)
	v_mad_nc_u64_u32 v[24:25], 0x3c439041, v16, v[24:25]
	v_dual_mov_b32 v27, v17 :: v_dual_add_nc_u32 v13, v23, v13
	s_delay_alu instid0(VALU_DEP_1) | instskip(NEXT) | instid1(VALU_DEP_3)
	v_cmp_lt_u32_e64 s2, 31, v13
	v_mov_b32_e32 v26, v25
	s_delay_alu instid0(VALU_DEP_2) | instskip(NEXT) | instid1(VALU_DEP_2)
	v_cndmask_b32_e64 v23, 0, 0xffffffe0, s2
	v_mad_nc_u64_u32 v[26:27], 0xdb629599, v16, v[26:27]
	s_delay_alu instid0(VALU_DEP_2) | instskip(NEXT) | instid1(VALU_DEP_1)
	v_dual_mov_b32 v29, v17 :: v_dual_add_nc_u32 v13, v23, v13
	v_cmp_lt_u32_e64 s3, 31, v13
	s_delay_alu instid0(VALU_DEP_3) | instskip(NEXT) | instid1(VALU_DEP_1)
	v_mov_b32_e32 v28, v27
	v_mad_nc_u64_u32 v[28:29], 0xf534ddc0, v16, v[28:29]
	s_delay_alu instid0(VALU_DEP_1) | instskip(NEXT) | instid1(VALU_DEP_1)
	v_dual_mov_b32 v31, v17 :: v_dual_mov_b32 v30, v29
	v_mad_nc_u64_u32 v[30:31], 0xfc2757d1, v16, v[30:31]
	s_delay_alu instid0(VALU_DEP_1) | instskip(NEXT) | instid1(VALU_DEP_1)
	v_dual_mov_b32 v32, v31 :: v_dual_cndmask_b32 v29, v30, v26
	v_mad_nc_u64_u32 v[32:33], 0x4e441529, v16, v[32:33]
	s_delay_alu instid0(VALU_DEP_1) | instskip(NEXT) | instid1(VALU_DEP_1)
	v_mov_b32_e32 v34, v33
	v_mad_nc_u64_u32 v[34:35], 0xa2f9836e, v16, v[34:35]
	v_cndmask_b32_e64 v16, 0, 0xffffffe0, s3
	s_delay_alu instid0(VALU_DEP_2) | instskip(NEXT) | instid1(VALU_DEP_2)
	v_dual_cndmask_b32 v23, v32, v28, vcc_lo :: v_dual_cndmask_b32 v25, v34, v30, vcc_lo
	v_dual_cndmask_b32 v27, v35, v32, vcc_lo :: v_dual_add_nc_u32 v13, v16, v13
	s_delay_alu instid0(VALU_DEP_2) | instskip(NEXT) | instid1(VALU_DEP_2)
	v_dual_cndmask_b32 v16, v28, v24, vcc_lo :: v_dual_cndmask_b32 v24, v25, v23, s2
	v_cndmask_b32_e64 v25, v27, v25, s2
	s_delay_alu instid0(VALU_DEP_2) | instskip(NEXT) | instid1(VALU_DEP_2)
	v_dual_cndmask_b32 v23, v23, v29, s2 :: v_dual_cndmask_b32 v28, v29, v16, s2
	v_dual_sub_nc_u32 v27, 32, v13 :: v_dual_cndmask_b32 v25, v25, v24, s3
	s_delay_alu instid0(VALU_DEP_2) | instskip(NEXT) | instid1(VALU_DEP_1)
	v_dual_cndmask_b32 v24, v24, v23, s3 :: v_dual_cndmask_b32 v23, v23, v28, s3
	v_alignbit_b32 v29, v25, v24, v27
	v_cndmask_b32_e32 v22, v26, v22, vcc_lo
	v_cmp_eq_u32_e32 vcc_lo, 0, v13
	s_delay_alu instid0(VALU_DEP_4) | instskip(NEXT) | instid1(VALU_DEP_3)
	v_alignbit_b32 v26, v24, v23, v27
	v_dual_cndmask_b32 v13, v29, v25, vcc_lo :: v_dual_cndmask_b32 v16, v16, v22, s2
	s_delay_alu instid0(VALU_DEP_2) | instskip(NEXT) | instid1(VALU_DEP_2)
	v_cndmask_b32_e32 v22, v26, v24, vcc_lo
	v_bfe_u32 v24, v13, 29, 1
	s_delay_alu instid0(VALU_DEP_2) | instskip(NEXT) | instid1(VALU_DEP_2)
	v_alignbit_b32 v25, v13, v22, 30
	v_sub_nc_u32_e32 v26, 0, v24
	s_delay_alu instid0(VALU_DEP_1) | instskip(NEXT) | instid1(VALU_DEP_1)
	v_dual_cndmask_b32 v16, v28, v16, s3 :: v_dual_bitop2_b32 v25, v25, v26 bitop3:0x14
	v_alignbit_b32 v27, v23, v16, v27
	s_delay_alu instid0(VALU_DEP_1) | instskip(NEXT) | instid1(VALU_DEP_3)
	v_cndmask_b32_e32 v23, v27, v23, vcc_lo
	v_clz_i32_u32_e32 v27, v25
	s_delay_alu instid0(VALU_DEP_2) | instskip(NEXT) | instid1(VALU_DEP_2)
	v_alignbit_b32 v22, v22, v23, 30
	v_min_u32_e32 v27, 32, v27
	v_alignbit_b32 v16, v23, v16, 30
	s_delay_alu instid0(VALU_DEP_2) | instskip(NEXT) | instid1(VALU_DEP_2)
	v_dual_sub_nc_u32 v23, 31, v27 :: v_dual_bitop2_b32 v22, v22, v26 bitop3:0x14
	v_dual_lshrrev_b32 v26, 29, v13 :: v_dual_bitop2_b32 v16, v16, v26 bitop3:0x14
	v_lshlrev_b32_e32 v28, 23, v27
	s_delay_alu instid0(VALU_DEP_3) | instskip(NEXT) | instid1(VALU_DEP_3)
	v_alignbit_b32 v25, v25, v22, v23
	v_alignbit_b32 v16, v22, v16, v23
	s_delay_alu instid0(VALU_DEP_4) | instskip(NEXT) | instid1(VALU_DEP_2)
	v_lshlrev_b32_e32 v22, 31, v26
	v_alignbit_b32 v23, v25, v16, 9
	s_delay_alu instid0(VALU_DEP_2) | instskip(SKIP_1) | instid1(VALU_DEP_3)
	v_dual_lshrrev_b32 v25, 9, v25 :: v_dual_bitop2_b32 v26, 0.5, v22 bitop3:0x54
	v_or_b32_e32 v22, 0x33000000, v22
	v_clz_i32_u32_e32 v29, v23
	s_delay_alu instid0(VALU_DEP_3) | instskip(NEXT) | instid1(VALU_DEP_2)
	v_sub_nc_u32_e32 v26, v26, v28
	v_min_u32_e32 v28, 32, v29
	s_delay_alu instid0(VALU_DEP_1) | instskip(NEXT) | instid1(VALU_DEP_3)
	v_add_lshl_u32 v27, v28, v27, 23
	v_or_b32_e32 v25, v25, v26
	v_not_b32_e32 v26, v28
	s_delay_alu instid0(VALU_DEP_2) | instskip(NEXT) | instid1(VALU_DEP_2)
	v_dual_mul_f32 v29, 0x3fc90fda, v25 :: v_dual_sub_nc_u32 v22, v22, v27
	v_alignbit_b32 v16, v23, v16, v26
	s_delay_alu instid0(VALU_DEP_2) | instskip(NEXT) | instid1(VALU_DEP_1)
	v_fma_f32 v23, 0x3fc90fda, v25, -v29
	v_dual_fmac_f32 v23, 0x33a22168, v25 :: v_dual_lshrrev_b32 v16, 9, v16
	s_delay_alu instid0(VALU_DEP_1) | instskip(NEXT) | instid1(VALU_DEP_1)
	v_or_b32_e32 v16, v22, v16
	v_dual_fmac_f32 v23, 0x3fc90fda, v16 :: v_dual_lshrrev_b32 v16, 30, v13
	s_delay_alu instid0(VALU_DEP_1)
	v_dual_add_f32 v13, v29, v23 :: v_dual_add_nc_u32 v16, v24, v16
	s_and_not1_saveexec_b32 s2, s37
	s_cbranch_execnz .LBB248_15
	s_branch .LBB248_16
.LBB248_14:                             ;   in Loop: Header=BB248_4 Depth=1
	s_and_not1_saveexec_b32 s2, s37
.LBB248_15:                             ;   in Loop: Header=BB248_4 Depth=1
	v_mul_f32_e64 v13, 0x3f22f983, |v9|
	s_delay_alu instid0(VALU_DEP_1) | instskip(NEXT) | instid1(VALU_DEP_1)
	v_rndne_f32_e32 v16, v13
	v_fma_f32 v13, 0xbfc90fda, v16, |v9|
	s_delay_alu instid0(VALU_DEP_1) | instskip(NEXT) | instid1(VALU_DEP_1)
	v_fmac_f32_e32 v13, 0xb3a22168, v16
	v_fmac_f32_e32 v13, 0xa7c234c4, v16
	v_cvt_i32_f32_e32 v16, v16
.LBB248_16:                             ;   in Loop: Header=BB248_4 Depth=1
	s_or_b32 exec_lo, exec_lo, s2
	s_delay_alu instid0(VALU_DEP_1) | instskip(SKIP_2) | instid1(VALU_DEP_3)
	v_dual_mul_f32 v25, v13, v13 :: v_dual_bitop2_b32 v24, 1, v12 bitop3:0x40
	v_dual_mul_f32 v22, 0xbfb8aa3b, v8 :: v_dual_mul_f32 v23, v6, v6
	v_cmp_ngt_f32_e64 s2, 0xc2b17218, v8
	v_cmp_eq_u32_e32 vcc_lo, 0, v24
	s_delay_alu instid0(VALU_DEP_4) | instskip(NEXT) | instid1(VALU_DEP_4)
	v_fmaak_f32 v30, s28, v25, 0x3c0881c4
	v_rndne_f32_e32 v26, v22
	v_fma_f32 v27, 0xbfb8aa3b, v8, -v22
	v_dual_fmaak_f32 v29, s29, v23, 0xbab64f3b :: v_dual_lshlrev_b32 v12, 30, v12
	s_delay_alu instid0(VALU_DEP_4) | instskip(NEXT) | instid1(VALU_DEP_3)
	v_fmaak_f32 v30, v25, v30, 0xbe2aaa9d
	v_dual_sub_f32 v22, v22, v26 :: v_dual_fmac_f32 v27, 0xb2a5705f, v8
	v_cvt_i32_f32_e32 v26, v26
	s_delay_alu instid0(VALU_DEP_3) | instskip(NEXT) | instid1(VALU_DEP_3)
	v_dual_mul_f32 v30, v25, v30 :: v_dual_fmaak_f32 v31, s29, v25, 0xbab64f3b
	v_add_f32_e32 v22, v22, v27
	s_delay_alu instid0(VALU_DEP_2) | instskip(NEXT) | instid1(VALU_DEP_3)
	v_dual_fmaak_f32 v28, s28, v23, 0x3c0881c4 :: v_dual_fmac_f32 v13, v13, v30
	v_fmaak_f32 v27, v25, v31, 0x3d2aabf7
	s_delay_alu instid0(VALU_DEP_3) | instskip(NEXT) | instid1(VALU_DEP_1)
	v_exp_f32_e32 v22, v22
	v_fmaak_f32 v27, v25, v27, 0xbf000004
	s_delay_alu instid0(TRANS32_DEP_1) | instskip(NEXT) | instid1(VALU_DEP_2)
	v_ldexp_f32 v22, v22, v26
	v_fma_f32 v25, v25, v27, 1.0
	v_fmaak_f32 v28, v23, v28, 0xbe2aaa9d
	s_delay_alu instid0(VALU_DEP_1) | instskip(NEXT) | instid1(VALU_DEP_1)
	v_dual_fmaak_f32 v29, v23, v29, 0x3d2aabf7 :: v_dual_mul_f32 v28, v23, v28
	v_dual_fmaak_f32 v29, v23, v29, 0xbf000004 :: v_dual_fmac_f32 v6, v6, v28
	v_dual_lshlrev_b32 v16, 30, v16 :: v_dual_bitop2_b32 v26, 1, v16 bitop3:0x40
	s_delay_alu instid0(VALU_DEP_2) | instskip(NEXT) | instid1(VALU_DEP_2)
	v_fma_f32 v23, v23, v29, 1.0
	v_and_or_b32 v1, 0x80000000, v16, v1
	s_delay_alu instid0(VALU_DEP_2) | instskip(NEXT) | instid1(VALU_DEP_4)
	v_cndmask_b32_e64 v6, -v6, v23, vcc_lo
	v_cmp_eq_u32_e32 vcc_lo, 0, v26
	s_delay_alu instid0(VALU_DEP_2) | instskip(SKIP_2) | instid1(VALU_DEP_2)
	v_bitop3_b32 v6, v12, v6, 0x80000000 bitop3:0x6c
	v_cndmask_b32_e32 v13, v25, v13, vcc_lo
	v_cmp_nlt_f32_e32 vcc_lo, 0x42ce8ed0, v8
	v_xor3_b32 v1, v1, v13, v7
	v_cndmask_b32_e32 v16, 0, v22, vcc_lo
	v_cmp_class_f32_e64 vcc_lo, v9, 0x1f8
	s_delay_alu instid0(VALU_DEP_2) | instskip(SKIP_1) | instid1(VALU_DEP_1)
	v_cndmask_b32_e64 v7, 0x7f800000, v16, s2
	v_cndmask_b32_e32 v6, 0x7fc00000, v6, vcc_lo
	v_dual_cndmask_b32 v1, 0x7fc00000, v1 :: v_dual_mul_f32 v6, v7, v6
	s_delay_alu instid0(VALU_DEP_1)
	v_mul_f32_e32 v7, v7, v1
                                        ; implicit-def: $vgpr1
.LBB248_17:                             ;   in Loop: Header=BB248_4 Depth=1
	s_and_not1_saveexec_b32 s36, s36
	s_cbranch_execz .LBB248_20
; %bb.18:                               ;   in Loop: Header=BB248_4 Depth=1
	v_cmp_ngt_f32_e64 s37, 0x48000000, |v9|
                                        ; implicit-def: $vgpr12
                                        ; implicit-def: $vgpr6
	s_and_saveexec_b32 s2, s37
	s_delay_alu instid0(SALU_CYCLE_1)
	s_xor_b32 s38, exec_lo, s2
	s_cbranch_execz .LBB248_21
; %bb.19:                               ;   in Loop: Header=BB248_4 Depth=1
	v_and_or_b32 v16, v1, s27, 0x800000
	v_dual_mov_b32 v31, v17 :: v_dual_lshrrev_b32 v6, 23, v1
	v_mov_b32_e32 v33, v17
	s_delay_alu instid0(VALU_DEP_3) | instskip(NEXT) | instid1(VALU_DEP_1)
	v_mul_u64_e32 v[12:13], s[22:23], v[16:17]
	v_dual_mov_b32 v23, v17 :: v_dual_mov_b32 v22, v13
	s_delay_alu instid0(VALU_DEP_1) | instskip(NEXT) | instid1(VALU_DEP_1)
	v_mad_nc_u64_u32 v[22:23], 0x3c439041, v16, v[22:23]
	v_dual_mov_b32 v25, v17 :: v_dual_mov_b32 v24, v23
	s_delay_alu instid0(VALU_DEP_1) | instskip(NEXT) | instid1(VALU_DEP_1)
	v_mad_nc_u64_u32 v[24:25], 0xdb629599, v16, v[24:25]
	;; [unrolled: 3-line block ×4, first 2 shown]
	v_mov_b32_e32 v30, v29
	s_delay_alu instid0(VALU_DEP_1) | instskip(NEXT) | instid1(VALU_DEP_1)
	v_mad_nc_u64_u32 v[30:31], 0x4e441529, v16, v[30:31]
	v_mov_b32_e32 v32, v31
	s_delay_alu instid0(VALU_DEP_1) | instskip(SKIP_1) | instid1(VALU_DEP_1)
	v_mad_nc_u64_u32 v[32:33], 0xa2f9836e, v16, v[32:33]
	v_add_nc_u32_e32 v6, 0xffffff88, v6
	v_cmp_lt_u32_e32 vcc_lo, 63, v6
	v_cndmask_b32_e64 v13, 0, 0xffffffc0, vcc_lo
	s_delay_alu instid0(VALU_DEP_4) | instskip(NEXT) | instid1(VALU_DEP_2)
	v_cndmask_b32_e32 v23, v32, v28, vcc_lo
	v_dual_cndmask_b32 v27, v28, v24 :: v_dual_add_nc_u32 v6, v13, v6
	s_delay_alu instid0(VALU_DEP_1) | instskip(SKIP_2) | instid1(VALU_DEP_3)
	v_cmp_lt_u32_e64 s2, 31, v6
	v_cndmask_b32_e32 v25, v33, v30, vcc_lo
	v_cndmask_b32_e32 v16, v30, v26, vcc_lo
	v_cndmask_b32_e64 v13, 0, 0xffffffe0, s2
	s_delay_alu instid0(VALU_DEP_1) | instskip(NEXT) | instid1(VALU_DEP_1)
	v_add_nc_u32_e32 v6, v13, v6
	v_cmp_lt_u32_e64 s3, 31, v6
	s_delay_alu instid0(VALU_DEP_1) | instskip(NEXT) | instid1(VALU_DEP_1)
	v_cndmask_b32_e64 v13, 0, 0xffffffe0, s3
	v_add_nc_u32_e32 v6, v13, v6
	v_dual_cndmask_b32 v13, v26, v22, vcc_lo :: v_dual_cndmask_b32 v22, v23, v16, s2
	v_cndmask_b32_e64 v23, v25, v23, s2
	s_delay_alu instid0(VALU_DEP_1) | instskip(NEXT) | instid1(VALU_DEP_3)
	v_dual_cndmask_b32 v16, v16, v27, s2 :: v_dual_cndmask_b32 v23, v23, v22, s3
	v_dual_sub_nc_u32 v25, 32, v6 :: v_dual_cndmask_b32 v26, v27, v13, s2
	s_delay_alu instid0(VALU_DEP_1) | instskip(NEXT) | instid1(VALU_DEP_1)
	v_dual_cndmask_b32 v22, v22, v16, s3 :: v_dual_cndmask_b32 v16, v16, v26, s3
	v_alignbit_b32 v27, v23, v22, v25
	v_cndmask_b32_e32 v12, v24, v12, vcc_lo
	v_cmp_eq_u32_e32 vcc_lo, 0, v6
	s_delay_alu instid0(VALU_DEP_4) | instskip(NEXT) | instid1(VALU_DEP_3)
	v_alignbit_b32 v24, v22, v16, v25
	v_dual_cndmask_b32 v6, v27, v23, vcc_lo :: v_dual_cndmask_b32 v12, v13, v12, s2
	s_delay_alu instid0(VALU_DEP_2) | instskip(NEXT) | instid1(VALU_DEP_2)
	v_cndmask_b32_e32 v13, v24, v22, vcc_lo
	v_bfe_u32 v22, v6, 29, 1
	s_delay_alu instid0(VALU_DEP_3) | instskip(NEXT) | instid1(VALU_DEP_3)
	v_cndmask_b32_e64 v12, v26, v12, s3
	v_alignbit_b32 v23, v6, v13, 30
	s_delay_alu instid0(VALU_DEP_3) | instskip(NEXT) | instid1(VALU_DEP_3)
	v_sub_nc_u32_e32 v24, 0, v22
	v_alignbit_b32 v25, v16, v12, v25
	s_delay_alu instid0(VALU_DEP_2) | instskip(NEXT) | instid1(VALU_DEP_2)
	v_xor_b32_e32 v23, v23, v24
	v_cndmask_b32_e32 v16, v25, v16, vcc_lo
	s_delay_alu instid0(VALU_DEP_2) | instskip(NEXT) | instid1(VALU_DEP_2)
	v_clz_i32_u32_e32 v25, v23
	v_alignbit_b32 v13, v13, v16, 30
	v_alignbit_b32 v12, v16, v12, 30
	s_delay_alu instid0(VALU_DEP_3) | instskip(NEXT) | instid1(VALU_DEP_3)
	v_min_u32_e32 v25, 32, v25
	v_xor_b32_e32 v13, v13, v24
	s_delay_alu instid0(VALU_DEP_3) | instskip(NEXT) | instid1(VALU_DEP_3)
	v_dual_lshrrev_b32 v24, 29, v6 :: v_dual_bitop2_b32 v12, v12, v24 bitop3:0x14
	v_dual_sub_nc_u32 v16, 31, v25 :: v_dual_lshlrev_b32 v26, 23, v25
	s_delay_alu instid0(VALU_DEP_1) | instskip(NEXT) | instid1(VALU_DEP_3)
	v_alignbit_b32 v23, v23, v13, v16
	v_alignbit_b32 v12, v13, v12, v16
	s_delay_alu instid0(VALU_DEP_4) | instskip(NEXT) | instid1(VALU_DEP_2)
	v_lshlrev_b32_e32 v13, 31, v24
	v_alignbit_b32 v16, v23, v12, 9
	s_delay_alu instid0(VALU_DEP_2) | instskip(SKIP_1) | instid1(VALU_DEP_3)
	v_dual_lshrrev_b32 v23, 9, v23 :: v_dual_bitop2_b32 v24, 0.5, v13 bitop3:0x54
	v_or_b32_e32 v13, 0x33000000, v13
	v_clz_i32_u32_e32 v27, v16
	s_delay_alu instid0(VALU_DEP_3) | instskip(NEXT) | instid1(VALU_DEP_2)
	v_sub_nc_u32_e32 v24, v24, v26
	v_min_u32_e32 v26, 32, v27
	s_delay_alu instid0(VALU_DEP_1) | instskip(NEXT) | instid1(VALU_DEP_3)
	v_add_lshl_u32 v25, v26, v25, 23
	v_or_b32_e32 v23, v23, v24
	v_not_b32_e32 v24, v26
	s_delay_alu instid0(VALU_DEP_3) | instskip(NEXT) | instid1(VALU_DEP_3)
	v_sub_nc_u32_e32 v13, v13, v25
	v_mul_f32_e32 v27, 0x3fc90fda, v23
	s_delay_alu instid0(VALU_DEP_3) | instskip(NEXT) | instid1(VALU_DEP_2)
	v_alignbit_b32 v12, v16, v12, v24
	v_fma_f32 v16, 0x3fc90fda, v23, -v27
	s_delay_alu instid0(VALU_DEP_2) | instskip(NEXT) | instid1(VALU_DEP_2)
	v_lshrrev_b32_e32 v12, 9, v12
	v_fmac_f32_e32 v16, 0x33a22168, v23
	s_delay_alu instid0(VALU_DEP_2) | instskip(NEXT) | instid1(VALU_DEP_1)
	v_or_b32_e32 v12, v13, v12
	v_fmac_f32_e32 v16, 0x3fc90fda, v12
	s_delay_alu instid0(VALU_DEP_1) | instskip(NEXT) | instid1(VALU_DEP_1)
	v_dual_lshrrev_b32 v12, 30, v6 :: v_dual_add_f32 v6, v27, v16
	v_add_nc_u32_e32 v12, v22, v12
	s_and_not1_saveexec_b32 s2, s38
	s_branch .LBB248_22
.LBB248_20:                             ;   in Loop: Header=BB248_4 Depth=1
	s_or_b32 exec_lo, exec_lo, s36
                                        ; implicit-def: $vgpr12
                                        ; implicit-def: $vgpr13
	s_and_not1_saveexec_b32 s2, s35
	s_cbranch_execnz .LBB248_29
	s_branch .LBB248_34
.LBB248_21:                             ;   in Loop: Header=BB248_4 Depth=1
	s_and_not1_saveexec_b32 s2, s38
.LBB248_22:                             ;   in Loop: Header=BB248_4 Depth=1
	v_mul_f32_e64 v6, 0x3f22f983, |v9|
	s_delay_alu instid0(VALU_DEP_1) | instskip(NEXT) | instid1(VALU_DEP_1)
	v_rndne_f32_e32 v12, v6
	v_fma_f32 v6, 0xbfc90fda, v12, |v9|
	s_delay_alu instid0(VALU_DEP_1) | instskip(NEXT) | instid1(VALU_DEP_1)
	v_fmac_f32_e32 v6, 0xb3a22168, v12
	v_fmac_f32_e32 v6, 0xa7c234c4, v12
	v_cvt_i32_f32_e32 v12, v12
; %bb.23:                               ;   in Loop: Header=BB248_4 Depth=1
	s_or_b32 exec_lo, exec_lo, s2
                                        ; implicit-def: $vgpr16
                                        ; implicit-def: $vgpr13
	s_and_saveexec_b32 s2, s37
	s_delay_alu instid0(SALU_CYCLE_1)
	s_xor_b32 s37, exec_lo, s2
	s_cbranch_execz .LBB248_25
; %bb.24:                               ;   in Loop: Header=BB248_4 Depth=1
	v_and_or_b32 v16, v1, s27, 0x800000
	v_dual_lshrrev_b32 v13, 23, v1 :: v_dual_mov_b32 v33, v17
	v_mov_b32_e32 v35, v17
	s_delay_alu instid0(VALU_DEP_3) | instskip(SKIP_1) | instid1(VALU_DEP_4)
	v_mul_u64_e32 v[22:23], s[22:23], v[16:17]
	v_mov_b32_e32 v25, v17
	v_add_nc_u32_e32 v13, 0xffffff88, v13
	s_delay_alu instid0(VALU_DEP_1) | instskip(NEXT) | instid1(VALU_DEP_4)
	v_cmp_lt_u32_e32 vcc_lo, 63, v13
	v_mov_b32_e32 v24, v23
	v_cndmask_b32_e64 v23, 0, 0xffffffc0, vcc_lo
	s_delay_alu instid0(VALU_DEP_2) | instskip(NEXT) | instid1(VALU_DEP_2)
	v_mad_nc_u64_u32 v[24:25], 0x3c439041, v16, v[24:25]
	v_dual_mov_b32 v27, v17 :: v_dual_add_nc_u32 v13, v23, v13
	s_delay_alu instid0(VALU_DEP_1) | instskip(NEXT) | instid1(VALU_DEP_3)
	v_cmp_lt_u32_e64 s2, 31, v13
	v_mov_b32_e32 v26, v25
	s_delay_alu instid0(VALU_DEP_2) | instskip(NEXT) | instid1(VALU_DEP_2)
	v_cndmask_b32_e64 v23, 0, 0xffffffe0, s2
	v_mad_nc_u64_u32 v[26:27], 0xdb629599, v16, v[26:27]
	s_delay_alu instid0(VALU_DEP_2) | instskip(NEXT) | instid1(VALU_DEP_1)
	v_dual_mov_b32 v29, v17 :: v_dual_add_nc_u32 v13, v23, v13
	v_cmp_lt_u32_e64 s3, 31, v13
	s_delay_alu instid0(VALU_DEP_3) | instskip(NEXT) | instid1(VALU_DEP_1)
	v_mov_b32_e32 v28, v27
	v_mad_nc_u64_u32 v[28:29], 0xf534ddc0, v16, v[28:29]
	s_delay_alu instid0(VALU_DEP_1) | instskip(NEXT) | instid1(VALU_DEP_1)
	v_dual_mov_b32 v31, v17 :: v_dual_mov_b32 v30, v29
	v_mad_nc_u64_u32 v[30:31], 0xfc2757d1, v16, v[30:31]
	s_delay_alu instid0(VALU_DEP_1) | instskip(NEXT) | instid1(VALU_DEP_1)
	v_dual_mov_b32 v32, v31 :: v_dual_cndmask_b32 v29, v30, v26
	v_mad_nc_u64_u32 v[32:33], 0x4e441529, v16, v[32:33]
	s_delay_alu instid0(VALU_DEP_1) | instskip(NEXT) | instid1(VALU_DEP_1)
	v_mov_b32_e32 v34, v33
	v_mad_nc_u64_u32 v[34:35], 0xa2f9836e, v16, v[34:35]
	v_cndmask_b32_e64 v16, 0, 0xffffffe0, s3
	s_delay_alu instid0(VALU_DEP_2) | instskip(NEXT) | instid1(VALU_DEP_2)
	v_dual_cndmask_b32 v23, v32, v28, vcc_lo :: v_dual_cndmask_b32 v25, v34, v30, vcc_lo
	v_dual_cndmask_b32 v27, v35, v32, vcc_lo :: v_dual_add_nc_u32 v13, v16, v13
	s_delay_alu instid0(VALU_DEP_2) | instskip(NEXT) | instid1(VALU_DEP_2)
	v_dual_cndmask_b32 v16, v28, v24, vcc_lo :: v_dual_cndmask_b32 v24, v25, v23, s2
	v_cndmask_b32_e64 v25, v27, v25, s2
	s_delay_alu instid0(VALU_DEP_2) | instskip(NEXT) | instid1(VALU_DEP_2)
	v_dual_cndmask_b32 v23, v23, v29, s2 :: v_dual_cndmask_b32 v28, v29, v16, s2
	v_dual_sub_nc_u32 v27, 32, v13 :: v_dual_cndmask_b32 v25, v25, v24, s3
	s_delay_alu instid0(VALU_DEP_2) | instskip(NEXT) | instid1(VALU_DEP_1)
	v_dual_cndmask_b32 v24, v24, v23, s3 :: v_dual_cndmask_b32 v23, v23, v28, s3
	v_alignbit_b32 v29, v25, v24, v27
	v_cndmask_b32_e32 v22, v26, v22, vcc_lo
	v_cmp_eq_u32_e32 vcc_lo, 0, v13
	s_delay_alu instid0(VALU_DEP_4) | instskip(NEXT) | instid1(VALU_DEP_3)
	v_alignbit_b32 v26, v24, v23, v27
	v_dual_cndmask_b32 v13, v29, v25, vcc_lo :: v_dual_cndmask_b32 v16, v16, v22, s2
	s_delay_alu instid0(VALU_DEP_2) | instskip(NEXT) | instid1(VALU_DEP_2)
	v_cndmask_b32_e32 v22, v26, v24, vcc_lo
	v_bfe_u32 v24, v13, 29, 1
	s_delay_alu instid0(VALU_DEP_2) | instskip(NEXT) | instid1(VALU_DEP_2)
	v_alignbit_b32 v25, v13, v22, 30
	v_sub_nc_u32_e32 v26, 0, v24
	s_delay_alu instid0(VALU_DEP_1) | instskip(NEXT) | instid1(VALU_DEP_1)
	v_dual_cndmask_b32 v16, v28, v16, s3 :: v_dual_bitop2_b32 v25, v25, v26 bitop3:0x14
	v_alignbit_b32 v27, v23, v16, v27
	s_delay_alu instid0(VALU_DEP_1) | instskip(NEXT) | instid1(VALU_DEP_3)
	v_cndmask_b32_e32 v23, v27, v23, vcc_lo
	v_clz_i32_u32_e32 v27, v25
	s_delay_alu instid0(VALU_DEP_2) | instskip(NEXT) | instid1(VALU_DEP_2)
	v_alignbit_b32 v22, v22, v23, 30
	v_min_u32_e32 v27, 32, v27
	v_alignbit_b32 v16, v23, v16, 30
	s_delay_alu instid0(VALU_DEP_2) | instskip(NEXT) | instid1(VALU_DEP_2)
	v_dual_sub_nc_u32 v23, 31, v27 :: v_dual_bitop2_b32 v22, v22, v26 bitop3:0x14
	v_dual_lshrrev_b32 v26, 29, v13 :: v_dual_bitop2_b32 v16, v16, v26 bitop3:0x14
	v_lshlrev_b32_e32 v28, 23, v27
	s_delay_alu instid0(VALU_DEP_3) | instskip(NEXT) | instid1(VALU_DEP_3)
	v_alignbit_b32 v25, v25, v22, v23
	v_alignbit_b32 v16, v22, v16, v23
	s_delay_alu instid0(VALU_DEP_4) | instskip(NEXT) | instid1(VALU_DEP_2)
	v_lshlrev_b32_e32 v22, 31, v26
	v_alignbit_b32 v23, v25, v16, 9
	s_delay_alu instid0(VALU_DEP_2) | instskip(SKIP_1) | instid1(VALU_DEP_3)
	v_dual_lshrrev_b32 v25, 9, v25 :: v_dual_bitop2_b32 v26, 0.5, v22 bitop3:0x54
	v_or_b32_e32 v22, 0x33000000, v22
	v_clz_i32_u32_e32 v29, v23
	s_delay_alu instid0(VALU_DEP_3) | instskip(NEXT) | instid1(VALU_DEP_2)
	v_sub_nc_u32_e32 v26, v26, v28
	v_min_u32_e32 v28, 32, v29
	s_delay_alu instid0(VALU_DEP_1) | instskip(NEXT) | instid1(VALU_DEP_3)
	v_add_lshl_u32 v27, v28, v27, 23
	v_or_b32_e32 v25, v25, v26
	v_not_b32_e32 v26, v28
	s_delay_alu instid0(VALU_DEP_2) | instskip(NEXT) | instid1(VALU_DEP_2)
	v_dual_mul_f32 v29, 0x3fc90fda, v25 :: v_dual_sub_nc_u32 v22, v22, v27
	v_alignbit_b32 v16, v23, v16, v26
	s_delay_alu instid0(VALU_DEP_2) | instskip(NEXT) | instid1(VALU_DEP_1)
	v_fma_f32 v23, 0x3fc90fda, v25, -v29
	v_dual_fmac_f32 v23, 0x33a22168, v25 :: v_dual_lshrrev_b32 v16, 9, v16
	s_delay_alu instid0(VALU_DEP_1) | instskip(NEXT) | instid1(VALU_DEP_1)
	v_or_b32_e32 v16, v22, v16
	v_dual_fmac_f32 v23, 0x3fc90fda, v16 :: v_dual_lshrrev_b32 v16, 30, v13
	s_delay_alu instid0(VALU_DEP_1)
	v_dual_add_f32 v13, v29, v23 :: v_dual_add_nc_u32 v16, v24, v16
	s_and_not1_saveexec_b32 s2, s37
	s_cbranch_execnz .LBB248_26
	s_branch .LBB248_27
.LBB248_25:                             ;   in Loop: Header=BB248_4 Depth=1
	s_and_not1_saveexec_b32 s2, s37
.LBB248_26:                             ;   in Loop: Header=BB248_4 Depth=1
	v_mul_f32_e64 v13, 0x3f22f983, |v9|
	s_delay_alu instid0(VALU_DEP_1) | instskip(NEXT) | instid1(VALU_DEP_1)
	v_rndne_f32_e32 v16, v13
	v_fma_f32 v13, 0xbfc90fda, v16, |v9|
	s_delay_alu instid0(VALU_DEP_1) | instskip(NEXT) | instid1(VALU_DEP_1)
	v_fmac_f32_e32 v13, 0xb3a22168, v16
	v_fmac_f32_e32 v13, 0xa7c234c4, v16
	v_cvt_i32_f32_e32 v16, v16
.LBB248_27:                             ;   in Loop: Header=BB248_4 Depth=1
	s_or_b32 exec_lo, exec_lo, s2
	v_sub_f32_e32 v22, 0xc322e3bc, v8
	s_delay_alu instid0(VALU_DEP_2) | instskip(SKIP_1) | instid1(VALU_DEP_3)
	v_dual_lshlrev_b32 v16, 30, v16 :: v_dual_bitop2_b32 v28, 1, v16 bitop3:0x40
	v_dual_mul_f32 v27, v13, v13 :: v_dual_mul_f32 v26, v6, v6
	v_mul_f32_e32 v23, 0x3fb8aa3b, v22
	s_delay_alu instid0(VALU_DEP_3) | instskip(NEXT) | instid1(VALU_DEP_3)
	v_and_or_b32 v1, 0x80000000, v16, v1
	v_dual_fmaak_f32 v30, s28, v27, 0x3c0881c4 :: v_dual_fmaak_f32 v29, s28, v26, 0x3c0881c4
	s_delay_alu instid0(VALU_DEP_3) | instskip(SKIP_1) | instid1(VALU_DEP_3)
	v_fma_f32 v24, 0x3fb8aa3b, v22, -v23
	v_rndne_f32_e32 v25, v23
	v_fmaak_f32 v29, v26, v29, 0xbe2aaa9d
	s_delay_alu instid0(VALU_DEP_2) | instskip(SKIP_2) | instid1(VALU_DEP_3)
	v_dual_sub_f32 v23, v23, v25 :: v_dual_fmac_f32 v24, 0x32a5705f, v22
	v_cvt_i32_f32_e32 v25, v25
	v_cmp_ngt_f32_e32 vcc_lo, 0xc2ce8ed0, v22
	v_dual_mul_f32 v29, v26, v29 :: v_dual_add_f32 v23, v23, v24
	s_delay_alu instid0(VALU_DEP_1) | instskip(NEXT) | instid1(VALU_DEP_2)
	v_dual_lshlrev_b32 v24, 30, v12 :: v_dual_fmac_f32 v6, v6, v29
	v_exp_f32_e32 v23, v23
	v_nop
	s_delay_alu instid0(TRANS32_DEP_1) | instskip(NEXT) | instid1(VALU_DEP_1)
	v_ldexp_f32 v23, v23, v25
	v_dual_cndmask_b32 v23, 0, v23, vcc_lo :: v_dual_bitop2_b32 v12, 1, v12 bitop3:0x40
	v_cmp_nlt_f32_e32 vcc_lo, 0x42b17218, v22
	v_fmaak_f32 v22, v27, v30, 0xbe2aaa9d
	v_fmaak_f32 v31, s29, v27, 0xbab64f3b
	s_delay_alu instid0(VALU_DEP_4) | instskip(SKIP_1) | instid1(VALU_DEP_3)
	v_cndmask_b32_e32 v16, 0x7f800000, v23, vcc_lo
	v_fmaak_f32 v25, s29, v26, 0xbab64f3b
	v_dual_mul_f32 v22, v27, v22 :: v_dual_fmaak_f32 v23, v27, v31, 0x3d2aabf7
	v_cmp_eq_u32_e32 vcc_lo, 0, v28
	s_delay_alu instid0(VALU_DEP_3) | instskip(NEXT) | instid1(VALU_DEP_3)
	v_dual_fmaak_f32 v25, v26, v25, 0x3d2aabf7 :: v_dual_lshrrev_b32 v30, 23, v16
	v_fmac_f32_e32 v13, v13, v22
	s_delay_alu instid0(VALU_DEP_4) | instskip(NEXT) | instid1(VALU_DEP_3)
	v_fmaak_f32 v23, v27, v23, 0xbf000004
	v_subrev_nc_u32_e32 v30, 19, v30
	s_delay_alu instid0(VALU_DEP_4) | instskip(NEXT) | instid1(VALU_DEP_3)
	v_fmaak_f32 v25, v26, v25, 0xbf000004
	v_fma_f32 v22, v27, v23, 1.0
	s_delay_alu instid0(VALU_DEP_2) | instskip(NEXT) | instid1(VALU_DEP_4)
	v_fma_f32 v23, v26, v25, 1.0
	v_lshrrev_b16 v25, 15, v30
	s_delay_alu instid0(VALU_DEP_3) | instskip(SKIP_1) | instid1(VALU_DEP_3)
	v_cndmask_b32_e32 v13, v22, v13, vcc_lo
	v_cmp_eq_u32_e32 vcc_lo, 0, v12
	v_add_nc_u16 v12, v30, v25
	s_delay_alu instid0(VALU_DEP_3) | instskip(SKIP_2) | instid1(VALU_DEP_4)
	v_xor3_b32 v1, v1, v13, v7
	v_cndmask_b32_e64 v6, -v6, v23, vcc_lo
	v_cmp_class_f32_e64 vcc_lo, v9, 0x1f8
	v_ashrrev_i16 v13, 1, v12
	v_and_or_b32 v12, 0x7fffff, v16, s30
	s_delay_alu instid0(VALU_DEP_4) | instskip(SKIP_1) | instid1(VALU_DEP_4)
	v_bitop3_b32 v6, v24, v6, 0x80000000 bitop3:0x6c
	v_cndmask_b32_e32 v7, 0x7fc00000, v1, vcc_lo
	v_bfe_i32 v1, v13, 0, 16
	s_delay_alu instid0(VALU_DEP_3) | instskip(NEXT) | instid1(VALU_DEP_1)
	v_cndmask_b32_e32 v6, 0x7fc00000, v6, vcc_lo
	v_pk_mul_f32 v[6:7], v[6:7], v[12:13] op_sel_hi:[1,0]
	s_delay_alu instid0(VALU_DEP_3) | instskip(SKIP_1) | instid1(VALU_DEP_2)
	v_sub_nc_u32_e32 v13, v30, v1
	v_lshl_add_u32 v12, v1, 23, 1.0
	v_lshl_add_u32 v16, v13, 23, 1.0
	s_delay_alu instid0(VALU_DEP_2) | instskip(NEXT) | instid1(VALU_DEP_1)
	v_pk_mul_f32 v[6:7], v[6:7], v[12:13] op_sel_hi:[1,0]
	v_pk_mul_f32 v[6:7], v[6:7], v[16:17] op_sel_hi:[1,0]
	s_or_b32 exec_lo, exec_lo, s36
                                        ; implicit-def: $vgpr12
                                        ; implicit-def: $vgpr13
.LBB248_28:                             ;   in Loop: Header=BB248_4 Depth=1
	s_and_not1_saveexec_b32 s2, s35
	s_cbranch_execz .LBB248_34
.LBB248_29:                             ;   in Loop: Header=BB248_4 Depth=1
	v_sub_f32_e32 v7, v9, v9
	s_mov_b32 s3, exec_lo
	v_cmpx_ne_u32_e32 0x7f800000, v13
	s_xor_b32 s3, exec_lo, s3
; %bb.30:                               ;   in Loop: Header=BB248_4 Depth=1
                                        ; implicit-def: $vgpr12
; %bb.31:                               ;   in Loop: Header=BB248_4 Depth=1
	s_delay_alu instid0(SALU_CYCLE_1)
	s_or_saveexec_b32 s3, s3
	v_mov_b32_e32 v6, v7
	s_xor_b32 exec_lo, exec_lo, s3
; %bb.32:                               ;   in Loop: Header=BB248_4 Depth=1
	v_cmp_lt_i32_e32 vcc_lo, -1, v12
	v_dual_cndmask_b32 v6, 0, -v8, vcc_lo :: v_dual_cndmask_b32 v7, 0, v7, vcc_lo
; %bb.33:                               ;   in Loop: Header=BB248_4 Depth=1
	s_or_b32 exec_lo, exec_lo, s3
.LBB248_34:                             ;   in Loop: Header=BB248_4 Depth=1
	s_delay_alu instid0(SALU_CYCLE_1)
	s_or_b32 exec_lo, exec_lo, s2
                                        ; implicit-def: $vgpr1
.LBB248_35:                             ;   in Loop: Header=BB248_4 Depth=1
	s_and_not1_saveexec_b32 s34, s34
	s_cbranch_execz .LBB248_45
; %bb.36:                               ;   in Loop: Header=BB248_4 Depth=1
	v_lshrrev_b32_e32 v6, 23, v1
	v_cmp_ngt_f32_e64 s35, 0x48000000, |v9|
	v_and_or_b32 v16, v1, s27, 0x800000
                                        ; implicit-def: $vgpr12
	s_delay_alu instid0(VALU_DEP_3) | instskip(SKIP_1) | instid1(SALU_CYCLE_1)
	v_add_nc_u32_e32 v13, 0xffffff88, v6
                                        ; implicit-def: $vgpr6
	s_and_saveexec_b32 s2, s35
	s_xor_b32 s36, exec_lo, s2
	s_cbranch_execz .LBB248_38
; %bb.37:                               ;   in Loop: Header=BB248_4 Depth=1
	v_mul_u64_e32 v[22:23], s[22:23], v[16:17]
	v_mov_b32_e32 v25, v17
	v_cmp_lt_u32_e32 vcc_lo, 63, v13
	v_mov_b32_e32 v35, v17
	v_cndmask_b32_e64 v6, 0, 0xffffffc0, vcc_lo
	s_delay_alu instid0(VALU_DEP_1) | instskip(NEXT) | instid1(VALU_DEP_1)
	v_add_nc_u32_e32 v6, v6, v13
	v_cmp_lt_u32_e64 s2, 31, v6
	s_delay_alu instid0(VALU_DEP_1) | instskip(NEXT) | instid1(VALU_DEP_1)
	v_cndmask_b32_e64 v12, 0, 0xffffffe0, s2
	v_dual_add_nc_u32 v6, v12, v6 :: v_dual_mov_b32 v24, v23
	s_delay_alu instid0(VALU_DEP_1) | instskip(NEXT) | instid1(VALU_DEP_2)
	v_cmp_lt_u32_e64 s3, 31, v6
	v_mad_nc_u64_u32 v[24:25], 0x3c439041, v16, v[24:25]
	v_mov_b32_e32 v27, v17
	s_delay_alu instid0(VALU_DEP_3) | instskip(NEXT) | instid1(VALU_DEP_3)
	v_cndmask_b32_e64 v12, 0, 0xffffffe0, s3
	v_mov_b32_e32 v26, v25
	s_delay_alu instid0(VALU_DEP_1) | instskip(NEXT) | instid1(VALU_DEP_1)
	v_mad_nc_u64_u32 v[26:27], 0xdb629599, v16, v[26:27]
	v_dual_mov_b32 v29, v17 :: v_dual_mov_b32 v28, v27
	s_delay_alu instid0(VALU_DEP_2) | instskip(NEXT) | instid1(VALU_DEP_2)
	v_cndmask_b32_e32 v22, v26, v22, vcc_lo
	v_mad_nc_u64_u32 v[28:29], 0xf534ddc0, v16, v[28:29]
	s_delay_alu instid0(VALU_DEP_1) | instskip(NEXT) | instid1(VALU_DEP_1)
	v_dual_mov_b32 v31, v17 :: v_dual_mov_b32 v30, v29
	v_mad_nc_u64_u32 v[30:31], 0xfc2757d1, v16, v[30:31]
	s_delay_alu instid0(VALU_DEP_1) | instskip(NEXT) | instid1(VALU_DEP_2)
	v_dual_mov_b32 v33, v17 :: v_dual_mov_b32 v32, v31
	v_cndmask_b32_e32 v29, v30, v26, vcc_lo
	s_delay_alu instid0(VALU_DEP_2) | instskip(NEXT) | instid1(VALU_DEP_1)
	v_mad_nc_u64_u32 v[32:33], 0x4e441529, v16, v[32:33]
	v_mov_b32_e32 v34, v33
	s_delay_alu instid0(VALU_DEP_1) | instskip(NEXT) | instid1(VALU_DEP_1)
	v_mad_nc_u64_u32 v[34:35], 0xa2f9836e, v16, v[34:35]
	v_dual_cndmask_b32 v23, v32, v28, vcc_lo :: v_dual_cndmask_b32 v25, v34, v30, vcc_lo
	s_delay_alu instid0(VALU_DEP_2) | instskip(NEXT) | instid1(VALU_DEP_2)
	v_dual_cndmask_b32 v27, v35, v32 :: v_dual_add_nc_u32 v6, v12, v6
	v_dual_cndmask_b32 v12, v28, v24, vcc_lo :: v_dual_cndmask_b32 v24, v25, v23, s2
	s_delay_alu instid0(VALU_DEP_2) | instskip(NEXT) | instid1(VALU_DEP_3)
	v_cndmask_b32_e64 v25, v27, v25, s2
	v_dual_cndmask_b32 v23, v23, v29, s2 :: v_dual_sub_nc_u32 v27, 32, v6
	s_delay_alu instid0(VALU_DEP_3) | instskip(SKIP_1) | instid1(VALU_DEP_3)
	v_cndmask_b32_e64 v28, v29, v12, s2
	v_cmp_eq_u32_e32 vcc_lo, 0, v6
	v_dual_cndmask_b32 v25, v25, v24, s3 :: v_dual_cndmask_b32 v24, v24, v23, s3
	s_delay_alu instid0(VALU_DEP_1) | instskip(NEXT) | instid1(VALU_DEP_1)
	v_alignbit_b32 v29, v25, v24, v27
	v_dual_cndmask_b32 v23, v23, v28, s3 :: v_dual_cndmask_b32 v6, v29, v25, vcc_lo
	s_delay_alu instid0(VALU_DEP_1) | instskip(NEXT) | instid1(VALU_DEP_1)
	v_alignbit_b32 v26, v24, v23, v27
	v_dual_cndmask_b32 v12, v12, v22, s2 :: v_dual_cndmask_b32 v22, v26, v24, vcc_lo
	s_delay_alu instid0(VALU_DEP_3) | instskip(NEXT) | instid1(VALU_DEP_2)
	v_bfe_u32 v24, v6, 29, 1
	v_alignbit_b32 v25, v6, v22, 30
	s_delay_alu instid0(VALU_DEP_2) | instskip(NEXT) | instid1(VALU_DEP_1)
	v_sub_nc_u32_e32 v26, 0, v24
	v_dual_cndmask_b32 v12, v28, v12, s3 :: v_dual_bitop2_b32 v25, v25, v26 bitop3:0x14
	s_delay_alu instid0(VALU_DEP_1) | instskip(NEXT) | instid1(VALU_DEP_1)
	v_alignbit_b32 v27, v23, v12, v27
	v_cndmask_b32_e32 v23, v27, v23, vcc_lo
	s_delay_alu instid0(VALU_DEP_3) | instskip(NEXT) | instid1(VALU_DEP_2)
	v_clz_i32_u32_e32 v27, v25
	v_alignbit_b32 v22, v22, v23, 30
	s_delay_alu instid0(VALU_DEP_2) | instskip(SKIP_1) | instid1(VALU_DEP_2)
	v_min_u32_e32 v27, 32, v27
	v_alignbit_b32 v12, v23, v12, 30
	v_dual_sub_nc_u32 v23, 31, v27 :: v_dual_bitop2_b32 v22, v22, v26 bitop3:0x14
	s_delay_alu instid0(VALU_DEP_2) | instskip(SKIP_1) | instid1(VALU_DEP_3)
	v_xor_b32_e32 v12, v12, v26
	v_dual_lshrrev_b32 v26, 29, v6 :: v_dual_lshlrev_b32 v28, 23, v27
	v_alignbit_b32 v25, v25, v22, v23
	s_delay_alu instid0(VALU_DEP_3) | instskip(NEXT) | instid1(VALU_DEP_3)
	v_alignbit_b32 v12, v22, v12, v23
	v_lshlrev_b32_e32 v22, 31, v26
	s_delay_alu instid0(VALU_DEP_2) | instskip(NEXT) | instid1(VALU_DEP_2)
	v_alignbit_b32 v23, v25, v12, 9
	v_dual_lshrrev_b32 v25, 9, v25 :: v_dual_bitop2_b32 v26, 0.5, v22 bitop3:0x54
	v_or_b32_e32 v22, 0x33000000, v22
	s_delay_alu instid0(VALU_DEP_3) | instskip(NEXT) | instid1(VALU_DEP_3)
	v_clz_i32_u32_e32 v29, v23
	v_sub_nc_u32_e32 v26, v26, v28
	s_delay_alu instid0(VALU_DEP_2) | instskip(NEXT) | instid1(VALU_DEP_1)
	v_min_u32_e32 v28, 32, v29
	v_add_lshl_u32 v27, v28, v27, 23
	s_delay_alu instid0(VALU_DEP_3) | instskip(SKIP_1) | instid1(VALU_DEP_2)
	v_or_b32_e32 v25, v25, v26
	v_not_b32_e32 v26, v28
	v_dual_mul_f32 v29, 0x3fc90fda, v25 :: v_dual_sub_nc_u32 v22, v22, v27
	s_delay_alu instid0(VALU_DEP_2) | instskip(NEXT) | instid1(VALU_DEP_2)
	v_alignbit_b32 v12, v23, v12, v26
	v_fma_f32 v23, 0x3fc90fda, v25, -v29
	s_delay_alu instid0(VALU_DEP_1) | instskip(NEXT) | instid1(VALU_DEP_1)
	v_dual_fmac_f32 v23, 0x33a22168, v25 :: v_dual_lshrrev_b32 v12, 9, v12
	v_or_b32_e32 v12, v22, v12
	s_delay_alu instid0(VALU_DEP_1) | instskip(NEXT) | instid1(VALU_DEP_1)
	v_dual_fmac_f32 v23, 0x3fc90fda, v12 :: v_dual_lshrrev_b32 v12, 30, v6
	v_dual_add_f32 v6, v29, v23 :: v_dual_add_nc_u32 v12, v24, v12
.LBB248_38:                             ;   in Loop: Header=BB248_4 Depth=1
	s_or_saveexec_b32 s2, s36
	v_mul_f32_e64 v22, 0x3f22f983, |v9|
	s_delay_alu instid0(VALU_DEP_1)
	v_rndne_f32_e32 v24, v22
	s_xor_b32 exec_lo, exec_lo, s2
; %bb.39:                               ;   in Loop: Header=BB248_4 Depth=1
	s_delay_alu instid0(VALU_DEP_1) | instskip(SKIP_1) | instid1(VALU_DEP_2)
	v_fma_f32 v6, 0xbfc90fda, v24, |v9|
	v_cvt_i32_f32_e32 v12, v24
	v_fmac_f32_e32 v6, 0xb3a22168, v24
	s_delay_alu instid0(VALU_DEP_1)
	v_fmac_f32_e32 v6, 0xa7c234c4, v24
; %bb.40:                               ;   in Loop: Header=BB248_4 Depth=1
	s_or_b32 exec_lo, exec_lo, s2
                                        ; implicit-def: $vgpr23
                                        ; implicit-def: $vgpr22
	s_and_saveexec_b32 s2, s35
	s_delay_alu instid0(SALU_CYCLE_1)
	s_xor_b32 s35, exec_lo, s2
	s_cbranch_execz .LBB248_42
; %bb.41:                               ;   in Loop: Header=BB248_4 Depth=1
	v_mul_u64_e32 v[22:23], s[22:23], v[16:17]
	v_mov_b32_e32 v25, v17
	v_cmp_lt_u32_e32 vcc_lo, 63, v13
	s_delay_alu instid0(VALU_DEP_3) | instskip(SKIP_1) | instid1(VALU_DEP_2)
	v_dual_mov_b32 v35, v17 :: v_dual_mov_b32 v24, v23
	v_cndmask_b32_e64 v23, 0, 0xffffffc0, vcc_lo
	v_mad_nc_u64_u32 v[24:25], 0x3c439041, v16, v[24:25]
	s_delay_alu instid0(VALU_DEP_2) | instskip(NEXT) | instid1(VALU_DEP_1)
	v_dual_mov_b32 v27, v17 :: v_dual_add_nc_u32 v13, v23, v13
	v_cmp_lt_u32_e64 s2, 31, v13
	s_delay_alu instid0(VALU_DEP_3) | instskip(NEXT) | instid1(VALU_DEP_2)
	v_mov_b32_e32 v26, v25
	v_cndmask_b32_e64 v23, 0, 0xffffffe0, s2
	s_delay_alu instid0(VALU_DEP_2) | instskip(NEXT) | instid1(VALU_DEP_2)
	v_mad_nc_u64_u32 v[26:27], 0xdb629599, v16, v[26:27]
	v_dual_mov_b32 v29, v17 :: v_dual_add_nc_u32 v13, v23, v13
	s_delay_alu instid0(VALU_DEP_1) | instskip(NEXT) | instid1(VALU_DEP_3)
	v_cmp_lt_u32_e64 s3, 31, v13
	v_mov_b32_e32 v28, v27
	s_delay_alu instid0(VALU_DEP_1) | instskip(NEXT) | instid1(VALU_DEP_1)
	v_mad_nc_u64_u32 v[28:29], 0xf534ddc0, v16, v[28:29]
	v_dual_mov_b32 v31, v17 :: v_dual_mov_b32 v30, v29
	s_delay_alu instid0(VALU_DEP_1) | instskip(NEXT) | instid1(VALU_DEP_1)
	v_mad_nc_u64_u32 v[30:31], 0xfc2757d1, v16, v[30:31]
	v_dual_mov_b32 v33, v17 :: v_dual_mov_b32 v32, v31
	s_delay_alu instid0(VALU_DEP_2) | instskip(NEXT) | instid1(VALU_DEP_2)
	v_cndmask_b32_e32 v29, v30, v26, vcc_lo
	v_mad_nc_u64_u32 v[32:33], 0x4e441529, v16, v[32:33]
	s_delay_alu instid0(VALU_DEP_1) | instskip(NEXT) | instid1(VALU_DEP_1)
	v_mov_b32_e32 v34, v33
	v_mad_nc_u64_u32 v[34:35], 0xa2f9836e, v16, v[34:35]
	v_cndmask_b32_e64 v16, 0, 0xffffffe0, s3
	s_delay_alu instid0(VALU_DEP_2) | instskip(NEXT) | instid1(VALU_DEP_2)
	v_dual_cndmask_b32 v23, v32, v28, vcc_lo :: v_dual_cndmask_b32 v25, v34, v30, vcc_lo
	v_dual_cndmask_b32 v27, v35, v32, vcc_lo :: v_dual_add_nc_u32 v13, v16, v13
	s_delay_alu instid0(VALU_DEP_2) | instskip(NEXT) | instid1(VALU_DEP_2)
	v_dual_cndmask_b32 v16, v28, v24, vcc_lo :: v_dual_cndmask_b32 v24, v25, v23, s2
	v_cndmask_b32_e64 v25, v27, v25, s2
	s_delay_alu instid0(VALU_DEP_2) | instskip(NEXT) | instid1(VALU_DEP_2)
	v_dual_cndmask_b32 v23, v23, v29, s2 :: v_dual_cndmask_b32 v28, v29, v16, s2
	v_dual_sub_nc_u32 v27, 32, v13 :: v_dual_cndmask_b32 v25, v25, v24, s3
	s_delay_alu instid0(VALU_DEP_2) | instskip(NEXT) | instid1(VALU_DEP_1)
	v_dual_cndmask_b32 v24, v24, v23, s3 :: v_dual_cndmask_b32 v23, v23, v28, s3
	v_alignbit_b32 v29, v25, v24, v27
	v_cndmask_b32_e32 v22, v26, v22, vcc_lo
	v_cmp_eq_u32_e32 vcc_lo, 0, v13
	s_delay_alu instid0(VALU_DEP_4) | instskip(NEXT) | instid1(VALU_DEP_3)
	v_alignbit_b32 v26, v24, v23, v27
	v_dual_cndmask_b32 v13, v29, v25, vcc_lo :: v_dual_cndmask_b32 v16, v16, v22, s2
	s_delay_alu instid0(VALU_DEP_2) | instskip(NEXT) | instid1(VALU_DEP_2)
	v_cndmask_b32_e32 v22, v26, v24, vcc_lo
	v_bfe_u32 v24, v13, 29, 1
	s_delay_alu instid0(VALU_DEP_2) | instskip(NEXT) | instid1(VALU_DEP_2)
	v_alignbit_b32 v25, v13, v22, 30
	v_sub_nc_u32_e32 v26, 0, v24
	s_delay_alu instid0(VALU_DEP_1) | instskip(NEXT) | instid1(VALU_DEP_1)
	v_dual_cndmask_b32 v16, v28, v16, s3 :: v_dual_bitop2_b32 v25, v25, v26 bitop3:0x14
	v_alignbit_b32 v27, v23, v16, v27
	s_delay_alu instid0(VALU_DEP_1) | instskip(NEXT) | instid1(VALU_DEP_3)
	v_cndmask_b32_e32 v23, v27, v23, vcc_lo
	v_clz_i32_u32_e32 v27, v25
	s_delay_alu instid0(VALU_DEP_2) | instskip(NEXT) | instid1(VALU_DEP_2)
	v_alignbit_b32 v22, v22, v23, 30
	v_min_u32_e32 v27, 32, v27
	v_alignbit_b32 v16, v23, v16, 30
	s_delay_alu instid0(VALU_DEP_2) | instskip(NEXT) | instid1(VALU_DEP_2)
	v_dual_sub_nc_u32 v23, 31, v27 :: v_dual_bitop2_b32 v22, v22, v26 bitop3:0x14
	v_dual_lshrrev_b32 v26, 29, v13 :: v_dual_bitop2_b32 v16, v16, v26 bitop3:0x14
	v_dual_lshlrev_b32 v28, 23, v27 :: v_dual_lshrrev_b32 v13, 30, v13
	s_delay_alu instid0(VALU_DEP_3) | instskip(NEXT) | instid1(VALU_DEP_3)
	v_alignbit_b32 v25, v25, v22, v23
	v_alignbit_b32 v16, v22, v16, v23
	s_delay_alu instid0(VALU_DEP_4) | instskip(NEXT) | instid1(VALU_DEP_2)
	v_lshlrev_b32_e32 v22, 31, v26
	v_alignbit_b32 v23, v25, v16, 9
	s_delay_alu instid0(VALU_DEP_2) | instskip(SKIP_1) | instid1(VALU_DEP_3)
	v_dual_lshrrev_b32 v25, 9, v25 :: v_dual_bitop2_b32 v26, 0.5, v22 bitop3:0x54
	v_or_b32_e32 v22, 0x33000000, v22
	v_clz_i32_u32_e32 v29, v23
	s_delay_alu instid0(VALU_DEP_3) | instskip(NEXT) | instid1(VALU_DEP_2)
	v_sub_nc_u32_e32 v26, v26, v28
	v_min_u32_e32 v28, 32, v29
	s_delay_alu instid0(VALU_DEP_1) | instskip(NEXT) | instid1(VALU_DEP_3)
	v_add_lshl_u32 v27, v28, v27, 23
	v_or_b32_e32 v25, v25, v26
	v_not_b32_e32 v26, v28
	s_delay_alu instid0(VALU_DEP_2) | instskip(NEXT) | instid1(VALU_DEP_2)
	v_dual_mul_f32 v29, 0x3fc90fda, v25 :: v_dual_sub_nc_u32 v22, v22, v27
	v_alignbit_b32 v16, v23, v16, v26
	s_delay_alu instid0(VALU_DEP_2) | instskip(NEXT) | instid1(VALU_DEP_1)
	v_fma_f32 v23, 0x3fc90fda, v25, -v29
	v_dual_fmac_f32 v23, 0x33a22168, v25 :: v_dual_lshrrev_b32 v16, 9, v16
	s_delay_alu instid0(VALU_DEP_1) | instskip(NEXT) | instid1(VALU_DEP_1)
	v_or_b32_e32 v16, v22, v16
	v_fmac_f32_e32 v23, 0x3fc90fda, v16
	s_delay_alu instid0(VALU_DEP_1)
	v_dual_add_f32 v22, v29, v23 :: v_dual_add_nc_u32 v23, v24, v13
                                        ; implicit-def: $vgpr24
	s_and_not1_saveexec_b32 s2, s35
	s_cbranch_execnz .LBB248_43
	s_branch .LBB248_44
.LBB248_42:                             ;   in Loop: Header=BB248_4 Depth=1
	s_and_not1_saveexec_b32 s2, s35
.LBB248_43:                             ;   in Loop: Header=BB248_4 Depth=1
	v_fma_f32 v22, 0xbfc90fda, v24, |v9|
	v_cvt_i32_f32_e32 v23, v24
	s_delay_alu instid0(VALU_DEP_2) | instskip(NEXT) | instid1(VALU_DEP_1)
	v_fmac_f32_e32 v22, 0xb3a22168, v24
	v_fmac_f32_e32 v22, 0xa7c234c4, v24
.LBB248_44:                             ;   in Loop: Header=BB248_4 Depth=1
	s_or_b32 exec_lo, exec_lo, s2
	v_dual_mul_f32 v13, v6, v6 :: v_dual_bitop2_b32 v24, 1, v12 bitop3:0x40
	s_delay_alu instid0(VALU_DEP_1) | instskip(SKIP_1) | instid1(VALU_DEP_3)
	v_dual_mul_f32 v16, v22, v22 :: v_dual_fmaak_f32 v25, s28, v13, 0x3c0881c4
	v_lshlrev_b32_e32 v12, 30, v12
	v_cmp_eq_u32_e32 vcc_lo, 0, v24
	s_delay_alu instid0(VALU_DEP_3) | instskip(NEXT) | instid1(VALU_DEP_1)
	v_fmaak_f32 v25, v13, v25, 0xbe2aaa9d
	v_dual_fmaak_f32 v28, s29, v16, 0xbab64f3b :: v_dual_mul_f32 v25, v13, v25
	s_delay_alu instid0(VALU_DEP_1) | instskip(NEXT) | instid1(VALU_DEP_1)
	v_dual_fmaak_f32 v27, s28, v16, 0x3c0881c4 :: v_dual_fmac_f32 v6, v6, v25
	v_fmaak_f32 v27, v16, v27, 0xbe2aaa9d
	v_fmaak_f32 v26, s29, v13, 0xbab64f3b
	v_dual_lshlrev_b32 v23, 30, v23 :: v_dual_bitop2_b32 v29, 1, v23 bitop3:0x40
	s_delay_alu instid0(VALU_DEP_2) | instskip(NEXT) | instid1(VALU_DEP_2)
	v_dual_mul_f32 v27, v16, v27 :: v_dual_fmaak_f32 v26, v13, v26, 0x3d2aabf7
	v_and_or_b32 v1, 0x80000000, v23, v1
	s_delay_alu instid0(VALU_DEP_2) | instskip(NEXT) | instid1(VALU_DEP_3)
	v_fmac_f32_e32 v22, v22, v27
	v_fmaak_f32 v26, v13, v26, 0xbf000004
	s_delay_alu instid0(VALU_DEP_1) | instskip(NEXT) | instid1(VALU_DEP_1)
	v_fma_f32 v13, v13, v26, 1.0
	v_cndmask_b32_e64 v6, -v6, v13, vcc_lo
	v_cmp_eq_u32_e32 vcc_lo, 0, v29
	v_fmaak_f32 v28, v16, v28, 0x3d2aabf7
	s_delay_alu instid0(VALU_DEP_3) | instskip(NEXT) | instid1(VALU_DEP_2)
	v_bitop3_b32 v6, v12, v6, 0x80000000 bitop3:0x6c
	v_fmaak_f32 v28, v16, v28, 0xbf000004
	s_delay_alu instid0(VALU_DEP_1) | instskip(NEXT) | instid1(VALU_DEP_1)
	v_fma_f32 v16, v16, v28, 1.0
	v_cndmask_b32_e32 v13, v16, v22, vcc_lo
	v_cmp_class_f32_e64 vcc_lo, v9, 0x1f8
	s_delay_alu instid0(VALU_DEP_2) | instskip(SKIP_1) | instid1(VALU_DEP_2)
	v_xor3_b32 v1, v1, v13, v7
	v_cndmask_b32_e32 v6, 0x7fc00000, v6, vcc_lo
	v_cndmask_b32_e32 v7, 0x7fc00000, v1, vcc_lo
.LBB248_45:                             ;   in Loop: Header=BB248_4 Depth=1
	s_or_b32 exec_lo, exec_lo, s34
.LBB248_46:                             ;   in Loop: Header=BB248_4 Depth=1
	s_and_not1_saveexec_b32 s2, s33
	s_cbranch_execz .LBB248_48
; %bb.47:                               ;   in Loop: Header=BB248_4 Depth=1
	v_mul_f32_e32 v1, 0xbfb8aa3b, v8
	v_cmp_nlt_f32_e32 vcc_lo, 0x42ce8ed0, v8
	s_delay_alu instid0(VALU_DEP_2) | instskip(SKIP_1) | instid1(VALU_DEP_2)
	v_rndne_f32_e32 v6, v1
	v_fma_f32 v9, 0xbfb8aa3b, v8, -v1
	v_sub_f32_e32 v1, v1, v6
	s_delay_alu instid0(VALU_DEP_2) | instskip(SKIP_1) | instid1(VALU_DEP_2)
	v_fmac_f32_e32 v9, 0xb2a5705f, v8
	v_cvt_i32_f32_e32 v6, v6
	v_add_f32_e32 v1, v1, v9
	s_delay_alu instid0(VALU_DEP_1) | instskip(SKIP_1) | instid1(TRANS32_DEP_1)
	v_exp_f32_e32 v1, v1
	v_nop
	v_ldexp_f32 v1, v1, v6
	s_delay_alu instid0(VALU_DEP_1) | instskip(SKIP_1) | instid1(VALU_DEP_2)
	v_cndmask_b32_e32 v1, 0, v1, vcc_lo
	v_cmp_ngt_f32_e32 vcc_lo, 0xc2b17218, v8
	v_cndmask_b32_e32 v6, 0x7f800000, v1, vcc_lo
.LBB248_48:                             ;   in Loop: Header=BB248_4 Depth=1
	s_or_b32 exec_lo, exec_lo, s2
	v_mov_b64_e32 v[8:9], s[6:7]
	s_mov_b32 s2, exec_lo
	s_delay_alu instid0(VALU_DEP_1) | instskip(NEXT) | instid1(VALU_DEP_1)
	v_pk_add_f32 v[8:9], v[6:7], v[8:9]
                                        ; implicit-def: $vgpr6_vgpr7
	v_cmp_gt_f32_e32 vcc_lo, 0, v9
	v_cndmask_b32_e64 v1, v9, -v9, vcc_lo
	s_delay_alu instid0(VALU_DEP_3) | instskip(SKIP_1) | instid1(VALU_DEP_1)
	v_cmp_gt_f32_e32 vcc_lo, 0, v8
	v_cndmask_b32_e64 v12, v8, -v8, vcc_lo
	v_cmpx_ge_f32_e32 v12, v1
	s_xor_b32 s3, exec_lo, s2
	s_cbranch_execz .LBB248_54
; %bb.49:                               ;   in Loop: Header=BB248_4 Depth=1
	v_cmp_neq_f32_e32 vcc_lo, 0, v8
	v_cmp_neq_f32_e64 s2, 0, v9
                                        ; implicit-def: $vgpr6_vgpr7
	s_or_b32 s2, vcc_lo, s2
	s_delay_alu instid0(SALU_CYCLE_1) | instskip(NEXT) | instid1(SALU_CYCLE_1)
	s_and_saveexec_b32 s33, s2
	s_xor_b32 s2, exec_lo, s33
	s_cbranch_execz .LBB248_51
; %bb.50:                               ;   in Loop: Header=BB248_4 Depth=1
	v_div_scale_f32 v1, null, v8, v8, v9
	v_div_scale_f32 v12, vcc_lo, v9, v8, v9
	v_mov_b64_e32 v[22:23], s[20:21]
	s_delay_alu instid0(VALU_DEP_3) | instskip(SKIP_1) | instid1(TRANS32_DEP_1)
	v_rcp_f32_e32 v6, v1
	v_nop
	v_fma_f32 v7, -v1, v6, 1.0
	s_delay_alu instid0(VALU_DEP_1) | instskip(NEXT) | instid1(VALU_DEP_1)
	v_fmac_f32_e32 v6, v7, v6
	v_mul_f32_e32 v7, v12, v6
	s_delay_alu instid0(VALU_DEP_1) | instskip(NEXT) | instid1(VALU_DEP_1)
	v_fma_f32 v13, -v1, v7, v12
	v_fmac_f32_e32 v7, v13, v6
	s_delay_alu instid0(VALU_DEP_1) | instskip(NEXT) | instid1(VALU_DEP_1)
	v_fma_f32 v1, -v1, v7, v12
	v_div_fmas_f32 v1, v1, v6, v7
	s_delay_alu instid0(VALU_DEP_1) | instskip(NEXT) | instid1(VALU_DEP_1)
	v_div_fixup_f32 v6, v1, v8, v9
	v_fmac_f32_e32 v8, v9, v6
	s_delay_alu instid0(VALU_DEP_1) | instskip(SKIP_1) | instid1(VALU_DEP_2)
	v_div_scale_f32 v1, null, v8, v8, 1.0
	v_div_scale_f32 v16, vcc_lo, 1.0, v8, 1.0
	v_rcp_f32_e32 v7, v1
	v_nop
	s_delay_alu instid0(TRANS32_DEP_1) | instskip(NEXT) | instid1(VALU_DEP_1)
	v_fma_f32 v9, -v1, v7, 1.0
	v_fmac_f32_e32 v7, v9, v7
	s_delay_alu instid0(VALU_DEP_1) | instskip(NEXT) | instid1(VALU_DEP_1)
	v_mul_f32_e32 v9, v16, v7
	v_fma_f32 v12, -v1, v9, v16
	s_delay_alu instid0(VALU_DEP_1) | instskip(SKIP_1) | instid1(VALU_DEP_2)
	v_fmac_f32_e32 v9, v12, v7
	v_mov_b64_e32 v[12:13], s[6:7]
	v_fma_f32 v1, -v1, v9, v16
	s_delay_alu instid0(VALU_DEP_2) | instskip(NEXT) | instid1(VALU_DEP_2)
	v_pk_fma_f32 v[24:25], v[6:7], v[22:23], v[12:13] op_sel_hi:[0,1,1] neg_lo:[1,0,0] neg_hi:[1,0,0]
	v_div_fmas_f32 v1, v1, v7, v9
	v_pk_fma_f32 v[6:7], v[6:7], v[22:23], v[12:13]
                                        ; implicit-def: $vgpr12
	s_delay_alu instid0(VALU_DEP_3) | instskip(NEXT) | instid1(VALU_DEP_3)
	v_mov_b32_e32 v7, v25
	v_div_fixup_f32 v8, v1, v8, 1.0
                                        ; implicit-def: $vgpr1
	s_delay_alu instid0(VALU_DEP_1)
	v_pk_mul_f32 v[6:7], v[6:7], v[8:9] op_sel_hi:[1,0]
.LBB248_51:                             ;   in Loop: Header=BB248_4 Depth=1
	s_and_not1_saveexec_b32 s33, s2
	s_cbranch_execz .LBB248_53
; %bb.52:                               ;   in Loop: Header=BB248_4 Depth=1
	v_div_scale_f32 v6, null, v1, v1, s7
	v_div_scale_f32 v7, null, v12, v12, s6
	v_div_scale_f32 v22, vcc_lo, s7, v1, s7
	s_delay_alu instid0(VALU_DEP_3) | instskip(NEXT) | instid1(VALU_DEP_2)
	v_rcp_f32_e32 v8, v6
	v_rcp_f32_e32 v9, v7
	s_delay_alu instid0(TRANS32_DEP_2) | instskip(NEXT) | instid1(TRANS32_DEP_1)
	v_fma_f32 v13, -v6, v8, 1.0
	v_fma_f32 v16, -v7, v9, 1.0
	s_delay_alu instid0(VALU_DEP_1) | instskip(SKIP_1) | instid1(VALU_DEP_1)
	v_dual_fmac_f32 v8, v13, v8 :: v_dual_fmac_f32 v9, v16, v9
	v_div_scale_f32 v13, s2, s6, v12, s6
	v_dual_mul_f32 v16, v22, v8 :: v_dual_mul_f32 v23, v13, v9
	s_delay_alu instid0(VALU_DEP_1) | instskip(NEXT) | instid1(VALU_DEP_1)
	v_dual_fma_f32 v24, -v6, v16, v22 :: v_dual_fma_f32 v25, -v7, v23, v13
	v_dual_fmac_f32 v16, v24, v8 :: v_dual_fmac_f32 v23, v25, v9
	s_delay_alu instid0(VALU_DEP_1) | instskip(NEXT) | instid1(VALU_DEP_1)
	v_dual_fma_f32 v6, -v6, v16, v22 :: v_dual_fma_f32 v7, -v7, v23, v13
	v_div_fmas_f32 v6, v6, v8, v16
	s_mov_b32 vcc_lo, s2
	s_delay_alu instid0(VALU_DEP_2) | instskip(NEXT) | instid1(VALU_DEP_2)
	v_div_fmas_f32 v8, v7, v9, v23
	v_div_fixup_f32 v7, v6, v1, s7
	s_delay_alu instid0(VALU_DEP_2)
	v_div_fixup_f32 v6, v8, v12, s6
.LBB248_53:                             ;   in Loop: Header=BB248_4 Depth=1
	s_or_b32 exec_lo, exec_lo, s33
                                        ; implicit-def: $vgpr8_vgpr9
.LBB248_54:                             ;   in Loop: Header=BB248_4 Depth=1
	s_and_not1_saveexec_b32 s2, s3
	s_cbranch_execz .LBB248_56
; %bb.55:                               ;   in Loop: Header=BB248_4 Depth=1
	v_div_scale_f32 v1, null, v9, v9, v8
	v_div_scale_f32 v12, vcc_lo, v8, v9, v8
	v_mov_b64_e32 v[22:23], s[6:7]
	s_delay_alu instid0(VALU_DEP_3) | instskip(SKIP_1) | instid1(TRANS32_DEP_1)
	v_rcp_f32_e32 v6, v1
	v_nop
	v_fma_f32 v7, -v1, v6, 1.0
	s_delay_alu instid0(VALU_DEP_1) | instskip(NEXT) | instid1(VALU_DEP_1)
	v_fmac_f32_e32 v6, v7, v6
	v_mul_f32_e32 v7, v12, v6
	s_delay_alu instid0(VALU_DEP_1) | instskip(NEXT) | instid1(VALU_DEP_1)
	v_fma_f32 v13, -v1, v7, v12
	v_fmac_f32_e32 v7, v13, v6
	s_delay_alu instid0(VALU_DEP_1) | instskip(NEXT) | instid1(VALU_DEP_1)
	v_fma_f32 v1, -v1, v7, v12
	v_div_fmas_f32 v1, v1, v6, v7
	s_delay_alu instid0(VALU_DEP_1) | instskip(NEXT) | instid1(VALU_DEP_1)
	v_div_fixup_f32 v6, v1, v9, v8
	v_fmac_f32_e32 v9, v8, v6
	s_delay_alu instid0(VALU_DEP_1) | instskip(SKIP_1) | instid1(VALU_DEP_2)
	v_div_scale_f32 v1, null, v9, v9, 1.0
	v_div_scale_f32 v16, vcc_lo, 1.0, v9, 1.0
	v_rcp_f32_e32 v7, v1
	v_nop
	s_delay_alu instid0(TRANS32_DEP_1) | instskip(NEXT) | instid1(VALU_DEP_1)
	v_fma_f32 v8, -v1, v7, 1.0
	v_fmac_f32_e32 v7, v8, v7
	s_delay_alu instid0(VALU_DEP_1) | instskip(NEXT) | instid1(VALU_DEP_1)
	v_mul_f32_e32 v8, v16, v7
	v_fma_f32 v12, -v1, v8, v16
	s_delay_alu instid0(VALU_DEP_1) | instskip(SKIP_1) | instid1(VALU_DEP_2)
	v_fmac_f32_e32 v8, v12, v7
	v_mov_b64_e32 v[12:13], s[20:21]
	v_fma_f32 v1, -v1, v8, v16
	s_delay_alu instid0(VALU_DEP_2) | instskip(NEXT) | instid1(VALU_DEP_2)
	v_pk_fma_f32 v[24:25], v[6:7], v[22:23], v[12:13] op_sel_hi:[0,1,1] neg_lo:[0,0,1] neg_hi:[0,0,1]
	v_div_fmas_f32 v1, v1, v7, v8
	v_pk_fma_f32 v[6:7], v[6:7], v[22:23], v[12:13]
	s_delay_alu instid0(VALU_DEP_3) | instskip(NEXT) | instid1(VALU_DEP_3)
	v_mov_b32_e32 v7, v25
	v_div_fixup_f32 v8, v1, v9, 1.0
	s_delay_alu instid0(VALU_DEP_1)
	v_pk_mul_f32 v[6:7], v[6:7], v[8:9] op_sel_hi:[1,0]
.LBB248_56:                             ;   in Loop: Header=BB248_4 Depth=1
	s_or_b32 exec_lo, exec_lo, s2
	v_and_b32_e32 v1, 0x7fffffff, v11
	v_xor_b32_e32 v13, 0x80000000, v11
	s_mov_b32 s2, exec_lo
	s_delay_alu instid0(VALU_DEP_2)
	v_cmpx_ne_u32_e32 0, v1
	s_xor_b32 s33, exec_lo, s2
	s_cbranch_execz .LBB248_98
; %bb.57:                               ;   in Loop: Header=BB248_4 Depth=1
	v_and_b32_e32 v8, 0x7fffffff, v10
	s_mov_b32 s2, exec_lo
	s_delay_alu instid0(VALU_DEP_1)
	v_cmpx_ne_u32_e32 0, v8
	s_xor_b32 s34, exec_lo, s2
	s_cbranch_execz .LBB248_87
; %bb.58:                               ;   in Loop: Header=BB248_4 Depth=1
	v_xor_b32_e32 v16, 0x80000000, v10
	s_mov_b32 s2, exec_lo
	v_cmpx_gt_u32_e32 0x7f800000, v1
	s_xor_b32 s35, exec_lo, s2
	s_cbranch_execz .LBB248_80
; %bb.59:                               ;   in Loop: Header=BB248_4 Depth=1
	v_add_nc_u32_e32 v8, 0xbd4e8de8, v16
	s_mov_b32 s2, exec_lo
	s_delay_alu instid0(VALU_DEP_1)
	v_cmpx_lt_u32_e32 0x8e8e5c, v8
	s_xor_b32 s36, exec_lo, s2
	s_cbranch_execz .LBB248_69
; %bb.60:                               ;   in Loop: Header=BB248_4 Depth=1
	v_cmp_ngt_f32_e64 s37, 0x48000000, |v11|
                                        ; implicit-def: $vgpr9
                                        ; implicit-def: $vgpr8
	s_and_saveexec_b32 s2, s37
	s_delay_alu instid0(SALU_CYCLE_1)
	s_xor_b32 s38, exec_lo, s2
	s_cbranch_execz .LBB248_62
; %bb.61:                               ;   in Loop: Header=BB248_4 Depth=1
	v_and_or_b32 v16, v1, s27, 0x800000
	v_dual_mov_b32 v31, v17 :: v_dual_mov_b32 v33, v17
	s_delay_alu instid0(VALU_DEP_2) | instskip(NEXT) | instid1(VALU_DEP_1)
	v_mul_u64_e32 v[8:9], s[22:23], v[16:17]
	v_dual_mov_b32 v23, v17 :: v_dual_mov_b32 v22, v9
	v_lshrrev_b32_e32 v9, 23, v1
	s_delay_alu instid0(VALU_DEP_2) | instskip(SKIP_1) | instid1(VALU_DEP_3)
	v_mad_nc_u64_u32 v[22:23], 0x3c439041, v16, v[22:23]
	v_mov_b32_e32 v25, v17
	v_add_nc_u32_e32 v9, 0xffffff88, v9
	s_delay_alu instid0(VALU_DEP_1) | instskip(NEXT) | instid1(VALU_DEP_4)
	v_cmp_lt_u32_e32 vcc_lo, 63, v9
	v_mov_b32_e32 v24, v23
	v_cndmask_b32_e64 v12, 0, 0xffffffc0, vcc_lo
	s_delay_alu instid0(VALU_DEP_2) | instskip(NEXT) | instid1(VALU_DEP_2)
	v_mad_nc_u64_u32 v[24:25], 0xdb629599, v16, v[24:25]
	v_dual_mov_b32 v27, v17 :: v_dual_add_nc_u32 v9, v12, v9
	s_delay_alu instid0(VALU_DEP_1) | instskip(NEXT) | instid1(VALU_DEP_3)
	v_cmp_lt_u32_e64 s2, 31, v9
	v_mov_b32_e32 v26, v25
	s_delay_alu instid0(VALU_DEP_2) | instskip(NEXT) | instid1(VALU_DEP_2)
	v_cndmask_b32_e64 v12, 0, 0xffffffe0, s2
	v_mad_nc_u64_u32 v[26:27], 0xf534ddc0, v16, v[26:27]
	s_delay_alu instid0(VALU_DEP_2) | instskip(NEXT) | instid1(VALU_DEP_1)
	v_dual_mov_b32 v29, v17 :: v_dual_add_nc_u32 v9, v12, v9
	v_cmp_lt_u32_e64 s3, 31, v9
	s_delay_alu instid0(VALU_DEP_3) | instskip(NEXT) | instid1(VALU_DEP_2)
	v_mov_b32_e32 v28, v27
	v_cndmask_b32_e64 v12, 0, 0xffffffe0, s3
	s_delay_alu instid0(VALU_DEP_2) | instskip(NEXT) | instid1(VALU_DEP_2)
	v_mad_nc_u64_u32 v[28:29], 0xfc2757d1, v16, v[28:29]
	v_dual_cndmask_b32 v12, v26, v22 :: v_dual_add_nc_u32 v9, v12, v9
	s_delay_alu instid0(VALU_DEP_2) | instskip(NEXT) | instid1(VALU_DEP_1)
	v_dual_mov_b32 v30, v29 :: v_dual_cndmask_b32 v27, v28, v24
	v_mad_nc_u64_u32 v[30:31], 0x4e441529, v16, v[30:31]
	s_delay_alu instid0(VALU_DEP_1) | instskip(NEXT) | instid1(VALU_DEP_1)
	v_mov_b32_e32 v32, v31
	v_mad_nc_u64_u32 v[32:33], 0xa2f9836e, v16, v[32:33]
	s_delay_alu instid0(VALU_DEP_1) | instskip(NEXT) | instid1(VALU_DEP_1)
	v_dual_cndmask_b32 v16, v30, v26 :: v_dual_cndmask_b32 v23, v32, v28
	v_dual_cndmask_b32 v25, v33, v30, vcc_lo :: v_dual_cndmask_b32 v22, v23, v16, s2
	s_delay_alu instid0(VALU_DEP_1) | instskip(SKIP_1) | instid1(VALU_DEP_1)
	v_cndmask_b32_e64 v23, v25, v23, s2
	v_dual_cndmask_b32 v16, v16, v27, s2 :: v_dual_sub_nc_u32 v25, 32, v9
	v_dual_cndmask_b32 v23, v23, v22, s3 :: v_dual_cndmask_b32 v22, v22, v16, s3
	v_cndmask_b32_e32 v8, v24, v8, vcc_lo
	v_cmp_eq_u32_e32 vcc_lo, 0, v9
	v_cndmask_b32_e64 v26, v27, v12, s2
	s_delay_alu instid0(VALU_DEP_4) | instskip(NEXT) | instid1(VALU_DEP_1)
	v_alignbit_b32 v27, v23, v22, v25
	v_dual_cndmask_b32 v8, v12, v8, s2 :: v_dual_cndmask_b32 v9, v27, v23, vcc_lo
	s_delay_alu instid0(VALU_DEP_1) | instskip(NEXT) | instid1(VALU_DEP_1)
	v_dual_cndmask_b32 v16, v16, v26, s3 :: v_dual_cndmask_b32 v8, v26, v8, s3
	v_alignbit_b32 v24, v22, v16, v25
	s_delay_alu instid0(VALU_DEP_2) | instskip(NEXT) | instid1(VALU_DEP_2)
	v_alignbit_b32 v25, v16, v8, v25
	v_cndmask_b32_e32 v12, v24, v22, vcc_lo
	v_bfe_u32 v22, v9, 29, 1
	s_delay_alu instid0(VALU_DEP_3) | instskip(NEXT) | instid1(VALU_DEP_3)
	v_cndmask_b32_e32 v16, v25, v16, vcc_lo
	v_alignbit_b32 v23, v9, v12, 30
	s_delay_alu instid0(VALU_DEP_3) | instskip(NEXT) | instid1(VALU_DEP_3)
	v_sub_nc_u32_e32 v24, 0, v22
	v_alignbit_b32 v12, v12, v16, 30
	v_alignbit_b32 v8, v16, v8, 30
	s_delay_alu instid0(VALU_DEP_3) | instskip(NEXT) | instid1(VALU_DEP_2)
	v_xor_b32_e32 v23, v23, v24
	v_xor_b32_e32 v8, v8, v24
	s_delay_alu instid0(VALU_DEP_2) | instskip(NEXT) | instid1(VALU_DEP_1)
	v_clz_i32_u32_e32 v25, v23
	v_min_u32_e32 v25, 32, v25
	v_dual_lshrrev_b32 v24, 29, v9 :: v_dual_bitop2_b32 v12, v12, v24 bitop3:0x14
	v_lshrrev_b32_e32 v9, 30, v9
	s_delay_alu instid0(VALU_DEP_3) | instskip(NEXT) | instid1(VALU_DEP_2)
	v_dual_sub_nc_u32 v16, 31, v25 :: v_dual_lshlrev_b32 v26, 23, v25
	v_add_nc_u32_e32 v9, v22, v9
	s_delay_alu instid0(VALU_DEP_2) | instskip(SKIP_2) | instid1(VALU_DEP_2)
	v_alignbit_b32 v23, v23, v12, v16
	v_alignbit_b32 v8, v12, v8, v16
	v_lshlrev_b32_e32 v12, 31, v24
	v_alignbit_b32 v16, v23, v8, 9
	s_delay_alu instid0(VALU_DEP_2) | instskip(SKIP_1) | instid1(VALU_DEP_3)
	v_dual_lshrrev_b32 v23, 9, v23 :: v_dual_bitop2_b32 v24, 0.5, v12 bitop3:0x54
	v_or_b32_e32 v12, 0x33000000, v12
	v_clz_i32_u32_e32 v27, v16
	s_delay_alu instid0(VALU_DEP_3) | instskip(NEXT) | instid1(VALU_DEP_2)
	v_sub_nc_u32_e32 v24, v24, v26
	v_min_u32_e32 v26, 32, v27
	s_delay_alu instid0(VALU_DEP_1) | instskip(NEXT) | instid1(VALU_DEP_3)
	v_add_lshl_u32 v25, v26, v25, 23
	v_or_b32_e32 v23, v23, v24
	v_not_b32_e32 v24, v26
	s_delay_alu instid0(VALU_DEP_2) | instskip(NEXT) | instid1(VALU_DEP_2)
	v_dual_mul_f32 v27, 0x3fc90fda, v23 :: v_dual_sub_nc_u32 v12, v12, v25
	v_alignbit_b32 v8, v16, v8, v24
	s_delay_alu instid0(VALU_DEP_2) | instskip(NEXT) | instid1(VALU_DEP_2)
	v_fma_f32 v16, 0x3fc90fda, v23, -v27
	v_lshrrev_b32_e32 v8, 9, v8
	s_delay_alu instid0(VALU_DEP_2) | instskip(NEXT) | instid1(VALU_DEP_2)
	v_fmac_f32_e32 v16, 0x33a22168, v23
	v_or_b32_e32 v8, v12, v8
	s_delay_alu instid0(VALU_DEP_1) | instskip(NEXT) | instid1(VALU_DEP_1)
	v_fmac_f32_e32 v16, 0x3fc90fda, v8
	v_add_f32_e32 v8, v27, v16
	s_and_not1_saveexec_b32 s2, s38
	s_branch .LBB248_63
.LBB248_62:                             ;   in Loop: Header=BB248_4 Depth=1
	s_and_not1_saveexec_b32 s2, s38
.LBB248_63:                             ;   in Loop: Header=BB248_4 Depth=1
	v_mul_f32_e64 v8, 0x3f22f983, |v11|
	s_delay_alu instid0(VALU_DEP_1) | instskip(NEXT) | instid1(VALU_DEP_1)
	v_rndne_f32_e32 v9, v8
	v_fma_f32 v8, 0xbfc90fda, v9, |v11|
	s_delay_alu instid0(VALU_DEP_1) | instskip(NEXT) | instid1(VALU_DEP_1)
	v_fmac_f32_e32 v8, 0xb3a22168, v9
	v_fmac_f32_e32 v8, 0xa7c234c4, v9
	v_cvt_i32_f32_e32 v9, v9
; %bb.64:                               ;   in Loop: Header=BB248_4 Depth=1
	s_or_b32 exec_lo, exec_lo, s2
                                        ; implicit-def: $vgpr16
                                        ; implicit-def: $vgpr12
	s_and_saveexec_b32 s2, s37
	s_delay_alu instid0(SALU_CYCLE_1)
	s_xor_b32 s37, exec_lo, s2
	s_cbranch_execz .LBB248_66
; %bb.65:                               ;   in Loop: Header=BB248_4 Depth=1
	v_and_or_b32 v16, v1, s27, 0x800000
	v_dual_mov_b32 v33, v17 :: v_dual_lshrrev_b32 v12, 23, v1
	v_mov_b32_e32 v35, v17
	s_delay_alu instid0(VALU_DEP_3) | instskip(NEXT) | instid1(VALU_DEP_1)
	v_mul_u64_e32 v[22:23], s[22:23], v[16:17]
	v_dual_mov_b32 v25, v17 :: v_dual_mov_b32 v24, v23
	s_delay_alu instid0(VALU_DEP_1) | instskip(NEXT) | instid1(VALU_DEP_1)
	v_mad_nc_u64_u32 v[24:25], 0x3c439041, v16, v[24:25]
	v_dual_mov_b32 v27, v17 :: v_dual_mov_b32 v26, v25
	s_delay_alu instid0(VALU_DEP_1) | instskip(NEXT) | instid1(VALU_DEP_1)
	v_mad_nc_u64_u32 v[26:27], 0xdb629599, v16, v[26:27]
	;; [unrolled: 3-line block ×4, first 2 shown]
	v_mov_b32_e32 v32, v31
	s_delay_alu instid0(VALU_DEP_1) | instskip(NEXT) | instid1(VALU_DEP_1)
	v_mad_nc_u64_u32 v[32:33], 0x4e441529, v16, v[32:33]
	v_mov_b32_e32 v34, v33
	s_delay_alu instid0(VALU_DEP_1) | instskip(SKIP_1) | instid1(VALU_DEP_1)
	v_mad_nc_u64_u32 v[34:35], 0xa2f9836e, v16, v[34:35]
	v_add_nc_u32_e32 v12, 0xffffff88, v12
	v_cmp_lt_u32_e32 vcc_lo, 63, v12
	v_cndmask_b32_e64 v23, 0, 0xffffffc0, vcc_lo
	s_delay_alu instid0(VALU_DEP_4) | instskip(SKIP_1) | instid1(VALU_DEP_3)
	v_cndmask_b32_e32 v25, v34, v30, vcc_lo
	v_cndmask_b32_e32 v29, v30, v26, vcc_lo
	v_dual_cndmask_b32 v22, v26, v22, vcc_lo :: v_dual_add_nc_u32 v12, v23, v12
	s_delay_alu instid0(VALU_DEP_1) | instskip(SKIP_1) | instid1(VALU_DEP_2)
	v_cmp_lt_u32_e64 s2, 31, v12
	v_cndmask_b32_e32 v27, v35, v32, vcc_lo
	v_cndmask_b32_e64 v23, 0, 0xffffffe0, s2
	s_delay_alu instid0(VALU_DEP_1) | instskip(SKIP_1) | instid1(VALU_DEP_2)
	v_add_nc_u32_e32 v12, v23, v12
	v_cndmask_b32_e32 v23, v32, v28, vcc_lo
	v_cmp_lt_u32_e64 s3, 31, v12
	s_delay_alu instid0(VALU_DEP_1) | instskip(NEXT) | instid1(VALU_DEP_1)
	v_cndmask_b32_e64 v16, 0, 0xffffffe0, s3
	v_add_nc_u32_e32 v12, v16, v12
	s_delay_alu instid0(VALU_DEP_4) | instskip(SKIP_1) | instid1(VALU_DEP_3)
	v_dual_cndmask_b32 v16, v28, v24, vcc_lo :: v_dual_cndmask_b32 v24, v25, v23, s2
	v_cndmask_b32_e64 v25, v27, v25, s2
	v_dual_cndmask_b32 v23, v23, v29, s2 :: v_dual_sub_nc_u32 v27, 32, v12
	v_cmp_eq_u32_e32 vcc_lo, 0, v12
	s_delay_alu instid0(VALU_DEP_3) | instskip(NEXT) | instid1(VALU_DEP_3)
	v_cndmask_b32_e64 v25, v25, v24, s3
	v_dual_cndmask_b32 v28, v29, v16, s2 :: v_dual_cndmask_b32 v24, v24, v23, s3
	s_delay_alu instid0(VALU_DEP_1) | instskip(NEXT) | instid1(VALU_DEP_1)
	v_alignbit_b32 v29, v25, v24, v27
	v_dual_cndmask_b32 v23, v23, v28, s3 :: v_dual_cndmask_b32 v12, v29, v25, vcc_lo
	s_delay_alu instid0(VALU_DEP_1) | instskip(NEXT) | instid1(VALU_DEP_1)
	v_alignbit_b32 v26, v24, v23, v27
	v_dual_cndmask_b32 v16, v16, v22, s2 :: v_dual_cndmask_b32 v22, v26, v24, vcc_lo
	s_delay_alu instid0(VALU_DEP_3) | instskip(NEXT) | instid1(VALU_DEP_2)
	v_bfe_u32 v24, v12, 29, 1
	v_alignbit_b32 v25, v12, v22, 30
	s_delay_alu instid0(VALU_DEP_2) | instskip(NEXT) | instid1(VALU_DEP_1)
	v_sub_nc_u32_e32 v26, 0, v24
	v_dual_cndmask_b32 v16, v28, v16, s3 :: v_dual_bitop2_b32 v25, v25, v26 bitop3:0x14
	s_delay_alu instid0(VALU_DEP_1) | instskip(NEXT) | instid1(VALU_DEP_1)
	v_alignbit_b32 v27, v23, v16, v27
	v_cndmask_b32_e32 v23, v27, v23, vcc_lo
	s_delay_alu instid0(VALU_DEP_3) | instskip(NEXT) | instid1(VALU_DEP_2)
	v_clz_i32_u32_e32 v27, v25
	v_alignbit_b32 v22, v22, v23, 30
	s_delay_alu instid0(VALU_DEP_2) | instskip(SKIP_1) | instid1(VALU_DEP_2)
	v_min_u32_e32 v27, 32, v27
	v_alignbit_b32 v16, v23, v16, 30
	v_dual_sub_nc_u32 v23, 31, v27 :: v_dual_bitop2_b32 v22, v22, v26 bitop3:0x14
	s_delay_alu instid0(VALU_DEP_2) | instskip(SKIP_1) | instid1(VALU_DEP_3)
	v_dual_lshrrev_b32 v26, 29, v12 :: v_dual_bitop2_b32 v16, v16, v26 bitop3:0x14
	v_lshlrev_b32_e32 v28, 23, v27
	v_alignbit_b32 v25, v25, v22, v23
	s_delay_alu instid0(VALU_DEP_3) | instskip(NEXT) | instid1(VALU_DEP_4)
	v_alignbit_b32 v16, v22, v16, v23
	v_lshlrev_b32_e32 v22, 31, v26
	s_delay_alu instid0(VALU_DEP_2) | instskip(NEXT) | instid1(VALU_DEP_2)
	v_alignbit_b32 v23, v25, v16, 9
	v_dual_lshrrev_b32 v25, 9, v25 :: v_dual_bitop2_b32 v26, 0.5, v22 bitop3:0x54
	v_or_b32_e32 v22, 0x33000000, v22
	s_delay_alu instid0(VALU_DEP_3) | instskip(NEXT) | instid1(VALU_DEP_3)
	v_clz_i32_u32_e32 v29, v23
	v_sub_nc_u32_e32 v26, v26, v28
	s_delay_alu instid0(VALU_DEP_2) | instskip(NEXT) | instid1(VALU_DEP_1)
	v_min_u32_e32 v28, 32, v29
	v_add_lshl_u32 v27, v28, v27, 23
	s_delay_alu instid0(VALU_DEP_3) | instskip(SKIP_1) | instid1(VALU_DEP_2)
	v_or_b32_e32 v25, v25, v26
	v_not_b32_e32 v26, v28
	v_dual_mul_f32 v29, 0x3fc90fda, v25 :: v_dual_sub_nc_u32 v22, v22, v27
	s_delay_alu instid0(VALU_DEP_2) | instskip(NEXT) | instid1(VALU_DEP_2)
	v_alignbit_b32 v16, v23, v16, v26
	v_fma_f32 v23, 0x3fc90fda, v25, -v29
	s_delay_alu instid0(VALU_DEP_1) | instskip(NEXT) | instid1(VALU_DEP_1)
	v_dual_fmac_f32 v23, 0x33a22168, v25 :: v_dual_lshrrev_b32 v16, 9, v16
	v_or_b32_e32 v16, v22, v16
	s_delay_alu instid0(VALU_DEP_1) | instskip(SKIP_1) | instid1(VALU_DEP_1)
	v_fmac_f32_e32 v23, 0x3fc90fda, v16
	v_lshrrev_b32_e32 v16, 30, v12
	v_dual_add_nc_u32 v16, v24, v16 :: v_dual_add_f32 v12, v29, v23
	s_and_not1_saveexec_b32 s2, s37
	s_cbranch_execnz .LBB248_67
	s_branch .LBB248_68
.LBB248_66:                             ;   in Loop: Header=BB248_4 Depth=1
	s_and_not1_saveexec_b32 s2, s37
.LBB248_67:                             ;   in Loop: Header=BB248_4 Depth=1
	v_mul_f32_e64 v12, 0x3f22f983, |v11|
	s_delay_alu instid0(VALU_DEP_1) | instskip(NEXT) | instid1(VALU_DEP_1)
	v_rndne_f32_e32 v16, v12
	v_fma_f32 v12, 0xbfc90fda, v16, |v11|
	s_delay_alu instid0(VALU_DEP_1) | instskip(NEXT) | instid1(VALU_DEP_1)
	v_fmac_f32_e32 v12, 0xb3a22168, v16
	v_fmac_f32_e32 v12, 0xa7c234c4, v16
	v_cvt_i32_f32_e32 v16, v16
.LBB248_68:                             ;   in Loop: Header=BB248_4 Depth=1
	s_or_b32 exec_lo, exec_lo, s2
	v_dual_mul_f32 v22, 0xbfb8aa3b, v10 :: v_dual_mul_f32 v23, v8, v8
	s_delay_alu instid0(VALU_DEP_2) | instskip(SKIP_1) | instid1(VALU_DEP_3)
	v_dual_mul_f32 v25, v12, v12 :: v_dual_bitop2_b32 v24, 1, v9 bitop3:0x40
	v_cmp_ngt_f32_e64 s2, 0xc2b17218, v10
	v_rndne_f32_e32 v26, v22
	v_fma_f32 v27, 0xbfb8aa3b, v10, -v22
	v_dual_fmaak_f32 v28, s28, v23, 0x3c0881c4 :: v_dual_lshlrev_b32 v9, 30, v9
	s_delay_alu instid0(VALU_DEP_3) | instskip(SKIP_1) | instid1(VALU_DEP_3)
	v_dual_fmaak_f32 v29, s29, v23, 0xbab64f3b :: v_dual_sub_f32 v22, v22, v26
	v_fmaak_f32 v30, s28, v25, 0x3c0881c4
	v_fmaak_f32 v28, v23, v28, 0xbe2aaa9d
	v_fmac_f32_e32 v27, 0xb2a5705f, v10
	v_cvt_i32_f32_e32 v26, v26
	v_cmp_eq_u32_e32 vcc_lo, 0, v24
	v_fmaak_f32 v30, v25, v30, 0xbe2aaa9d
	v_dual_mul_f32 v28, v23, v28 :: v_dual_fmaak_f32 v31, s29, v25, 0xbab64f3b
	v_dual_add_f32 v22, v22, v27 :: v_dual_fmaak_f32 v29, v23, v29, 0x3d2aabf7
	s_delay_alu instid0(VALU_DEP_2) | instskip(NEXT) | instid1(VALU_DEP_3)
	v_dual_mul_f32 v30, v25, v30 :: v_dual_fmac_f32 v8, v8, v28
	v_fmaak_f32 v27, v25, v31, 0x3d2aabf7
	s_delay_alu instid0(VALU_DEP_3) | instskip(NEXT) | instid1(VALU_DEP_2)
	v_exp_f32_e32 v22, v22
	v_dual_fmaak_f32 v29, v23, v29, 0xbf000004 :: v_dual_fmac_f32 v12, v12, v30
	s_delay_alu instid0(VALU_DEP_2) | instskip(NEXT) | instid1(VALU_DEP_2)
	v_fmaak_f32 v27, v25, v27, 0xbf000004
	v_fma_f32 v23, v23, v29, 1.0
	s_delay_alu instid0(TRANS32_DEP_1) | instskip(SKIP_1) | instid1(VALU_DEP_4)
	v_ldexp_f32 v22, v22, v26
	v_dual_lshlrev_b32 v16, 30, v16 :: v_dual_bitop2_b32 v26, 1, v16 bitop3:0x40
	v_fma_f32 v25, v25, v27, 1.0
	s_delay_alu instid0(VALU_DEP_4) | instskip(NEXT) | instid1(VALU_DEP_3)
	v_cndmask_b32_e64 v8, -v8, v23, vcc_lo
	v_cmp_eq_u32_e32 vcc_lo, 0, v26
	s_delay_alu instid0(VALU_DEP_4) | instskip(NEXT) | instid1(VALU_DEP_3)
	v_and_or_b32 v1, 0x80000000, v16, v1
	v_bitop3_b32 v8, v9, v8, 0x80000000 bitop3:0x6c
	v_cndmask_b32_e32 v12, v25, v12, vcc_lo
	v_cmp_nlt_f32_e32 vcc_lo, 0x42ce8ed0, v10
	v_cndmask_b32_e32 v16, 0, v22, vcc_lo
	v_cmp_class_f32_e64 vcc_lo, v11, 0x1f8
	s_delay_alu instid0(VALU_DEP_4) | instskip(NEXT) | instid1(VALU_DEP_3)
	v_xor3_b32 v1, v1, v12, v13
	v_cndmask_b32_e64 v9, 0x7f800000, v16, s2
	v_cndmask_b32_e32 v8, 0x7fc00000, v8, vcc_lo
	s_delay_alu instid0(VALU_DEP_1) | instskip(NEXT) | instid1(VALU_DEP_1)
	v_dual_cndmask_b32 v1, 0x7fc00000, v1 :: v_dual_mul_f32 v12, v9, v8
	v_mul_f32_e32 v13, v9, v1
                                        ; implicit-def: $vgpr8_vgpr9_vgpr10_vgpr11
                                        ; implicit-def: $vgpr1
.LBB248_69:                             ;   in Loop: Header=BB248_4 Depth=1
	s_and_not1_saveexec_b32 s36, s36
	s_cbranch_execz .LBB248_79
; %bb.70:                               ;   in Loop: Header=BB248_4 Depth=1
	v_cmp_ngt_f32_e64 s37, 0x48000000, |v11|
                                        ; implicit-def: $vgpr9
                                        ; implicit-def: $vgpr8
	s_and_saveexec_b32 s2, s37
	s_delay_alu instid0(SALU_CYCLE_1)
	s_xor_b32 s38, exec_lo, s2
	s_cbranch_execz .LBB248_72
; %bb.71:                               ;   in Loop: Header=BB248_4 Depth=1
	v_and_or_b32 v16, v1, s27, 0x800000
	v_dual_mov_b32 v31, v17 :: v_dual_mov_b32 v33, v17
	s_delay_alu instid0(VALU_DEP_2) | instskip(NEXT) | instid1(VALU_DEP_1)
	v_mul_u64_e32 v[8:9], s[22:23], v[16:17]
	v_dual_mov_b32 v23, v17 :: v_dual_mov_b32 v22, v9
	v_lshrrev_b32_e32 v9, 23, v1
	s_delay_alu instid0(VALU_DEP_2) | instskip(SKIP_1) | instid1(VALU_DEP_3)
	v_mad_nc_u64_u32 v[22:23], 0x3c439041, v16, v[22:23]
	v_mov_b32_e32 v25, v17
	v_add_nc_u32_e32 v9, 0xffffff88, v9
	s_delay_alu instid0(VALU_DEP_1) | instskip(NEXT) | instid1(VALU_DEP_4)
	v_cmp_lt_u32_e32 vcc_lo, 63, v9
	v_mov_b32_e32 v24, v23
	v_cndmask_b32_e64 v12, 0, 0xffffffc0, vcc_lo
	s_delay_alu instid0(VALU_DEP_2) | instskip(NEXT) | instid1(VALU_DEP_2)
	v_mad_nc_u64_u32 v[24:25], 0xdb629599, v16, v[24:25]
	v_dual_mov_b32 v27, v17 :: v_dual_add_nc_u32 v9, v12, v9
	s_delay_alu instid0(VALU_DEP_1) | instskip(NEXT) | instid1(VALU_DEP_3)
	v_cmp_lt_u32_e64 s2, 31, v9
	v_mov_b32_e32 v26, v25
	s_delay_alu instid0(VALU_DEP_2) | instskip(NEXT) | instid1(VALU_DEP_2)
	v_cndmask_b32_e64 v12, 0, 0xffffffe0, s2
	v_mad_nc_u64_u32 v[26:27], 0xf534ddc0, v16, v[26:27]
	s_delay_alu instid0(VALU_DEP_2) | instskip(NEXT) | instid1(VALU_DEP_1)
	v_dual_mov_b32 v29, v17 :: v_dual_add_nc_u32 v9, v12, v9
	v_cmp_lt_u32_e64 s3, 31, v9
	s_delay_alu instid0(VALU_DEP_3) | instskip(NEXT) | instid1(VALU_DEP_2)
	v_mov_b32_e32 v28, v27
	v_cndmask_b32_e64 v12, 0, 0xffffffe0, s3
	s_delay_alu instid0(VALU_DEP_2) | instskip(NEXT) | instid1(VALU_DEP_2)
	v_mad_nc_u64_u32 v[28:29], 0xfc2757d1, v16, v[28:29]
	v_dual_cndmask_b32 v12, v26, v22 :: v_dual_add_nc_u32 v9, v12, v9
	s_delay_alu instid0(VALU_DEP_2) | instskip(NEXT) | instid1(VALU_DEP_1)
	v_dual_mov_b32 v30, v29 :: v_dual_cndmask_b32 v27, v28, v24
	v_mad_nc_u64_u32 v[30:31], 0x4e441529, v16, v[30:31]
	s_delay_alu instid0(VALU_DEP_1) | instskip(NEXT) | instid1(VALU_DEP_1)
	v_mov_b32_e32 v32, v31
	v_mad_nc_u64_u32 v[32:33], 0xa2f9836e, v16, v[32:33]
	s_delay_alu instid0(VALU_DEP_1) | instskip(NEXT) | instid1(VALU_DEP_1)
	v_dual_cndmask_b32 v16, v30, v26 :: v_dual_cndmask_b32 v23, v32, v28
	v_dual_cndmask_b32 v25, v33, v30, vcc_lo :: v_dual_cndmask_b32 v22, v23, v16, s2
	s_delay_alu instid0(VALU_DEP_1) | instskip(SKIP_1) | instid1(VALU_DEP_1)
	v_cndmask_b32_e64 v23, v25, v23, s2
	v_dual_cndmask_b32 v16, v16, v27, s2 :: v_dual_sub_nc_u32 v25, 32, v9
	v_dual_cndmask_b32 v23, v23, v22, s3 :: v_dual_cndmask_b32 v22, v22, v16, s3
	v_cndmask_b32_e32 v8, v24, v8, vcc_lo
	v_cmp_eq_u32_e32 vcc_lo, 0, v9
	v_cndmask_b32_e64 v26, v27, v12, s2
	s_delay_alu instid0(VALU_DEP_4) | instskip(NEXT) | instid1(VALU_DEP_1)
	v_alignbit_b32 v27, v23, v22, v25
	v_dual_cndmask_b32 v8, v12, v8, s2 :: v_dual_cndmask_b32 v9, v27, v23, vcc_lo
	s_delay_alu instid0(VALU_DEP_1) | instskip(NEXT) | instid1(VALU_DEP_1)
	v_dual_cndmask_b32 v16, v16, v26, s3 :: v_dual_cndmask_b32 v8, v26, v8, s3
	v_alignbit_b32 v24, v22, v16, v25
	s_delay_alu instid0(VALU_DEP_2) | instskip(NEXT) | instid1(VALU_DEP_2)
	v_alignbit_b32 v25, v16, v8, v25
	v_cndmask_b32_e32 v12, v24, v22, vcc_lo
	v_bfe_u32 v22, v9, 29, 1
	s_delay_alu instid0(VALU_DEP_3) | instskip(NEXT) | instid1(VALU_DEP_3)
	v_cndmask_b32_e32 v16, v25, v16, vcc_lo
	v_alignbit_b32 v23, v9, v12, 30
	s_delay_alu instid0(VALU_DEP_3) | instskip(NEXT) | instid1(VALU_DEP_3)
	v_sub_nc_u32_e32 v24, 0, v22
	v_alignbit_b32 v12, v12, v16, 30
	v_alignbit_b32 v8, v16, v8, 30
	s_delay_alu instid0(VALU_DEP_3) | instskip(NEXT) | instid1(VALU_DEP_2)
	v_xor_b32_e32 v23, v23, v24
	v_xor_b32_e32 v8, v8, v24
	s_delay_alu instid0(VALU_DEP_2) | instskip(NEXT) | instid1(VALU_DEP_1)
	v_clz_i32_u32_e32 v25, v23
	v_min_u32_e32 v25, 32, v25
	v_dual_lshrrev_b32 v24, 29, v9 :: v_dual_bitop2_b32 v12, v12, v24 bitop3:0x14
	v_lshrrev_b32_e32 v9, 30, v9
	s_delay_alu instid0(VALU_DEP_3) | instskip(NEXT) | instid1(VALU_DEP_2)
	v_dual_sub_nc_u32 v16, 31, v25 :: v_dual_lshlrev_b32 v26, 23, v25
	v_add_nc_u32_e32 v9, v22, v9
	s_delay_alu instid0(VALU_DEP_2) | instskip(SKIP_2) | instid1(VALU_DEP_2)
	v_alignbit_b32 v23, v23, v12, v16
	v_alignbit_b32 v8, v12, v8, v16
	v_lshlrev_b32_e32 v12, 31, v24
	v_alignbit_b32 v16, v23, v8, 9
	s_delay_alu instid0(VALU_DEP_2) | instskip(SKIP_1) | instid1(VALU_DEP_3)
	v_dual_lshrrev_b32 v23, 9, v23 :: v_dual_bitop2_b32 v24, 0.5, v12 bitop3:0x54
	v_or_b32_e32 v12, 0x33000000, v12
	v_clz_i32_u32_e32 v27, v16
	s_delay_alu instid0(VALU_DEP_3) | instskip(NEXT) | instid1(VALU_DEP_2)
	v_sub_nc_u32_e32 v24, v24, v26
	v_min_u32_e32 v26, 32, v27
	s_delay_alu instid0(VALU_DEP_1) | instskip(NEXT) | instid1(VALU_DEP_3)
	v_add_lshl_u32 v25, v26, v25, 23
	v_or_b32_e32 v23, v23, v24
	v_not_b32_e32 v24, v26
	s_delay_alu instid0(VALU_DEP_2) | instskip(NEXT) | instid1(VALU_DEP_2)
	v_dual_mul_f32 v27, 0x3fc90fda, v23 :: v_dual_sub_nc_u32 v12, v12, v25
	v_alignbit_b32 v8, v16, v8, v24
	s_delay_alu instid0(VALU_DEP_2) | instskip(NEXT) | instid1(VALU_DEP_2)
	v_fma_f32 v16, 0x3fc90fda, v23, -v27
	v_lshrrev_b32_e32 v8, 9, v8
	s_delay_alu instid0(VALU_DEP_2) | instskip(NEXT) | instid1(VALU_DEP_2)
	v_fmac_f32_e32 v16, 0x33a22168, v23
	v_or_b32_e32 v8, v12, v8
	s_delay_alu instid0(VALU_DEP_1) | instskip(NEXT) | instid1(VALU_DEP_1)
	v_fmac_f32_e32 v16, 0x3fc90fda, v8
	v_add_f32_e32 v8, v27, v16
	s_and_not1_saveexec_b32 s2, s38
	s_branch .LBB248_73
.LBB248_72:                             ;   in Loop: Header=BB248_4 Depth=1
	s_and_not1_saveexec_b32 s2, s38
.LBB248_73:                             ;   in Loop: Header=BB248_4 Depth=1
	v_mul_f32_e64 v8, 0x3f22f983, |v11|
	s_delay_alu instid0(VALU_DEP_1) | instskip(NEXT) | instid1(VALU_DEP_1)
	v_rndne_f32_e32 v9, v8
	v_fma_f32 v8, 0xbfc90fda, v9, |v11|
	s_delay_alu instid0(VALU_DEP_1) | instskip(NEXT) | instid1(VALU_DEP_1)
	v_fmac_f32_e32 v8, 0xb3a22168, v9
	v_fmac_f32_e32 v8, 0xa7c234c4, v9
	v_cvt_i32_f32_e32 v9, v9
; %bb.74:                               ;   in Loop: Header=BB248_4 Depth=1
	s_or_b32 exec_lo, exec_lo, s2
                                        ; implicit-def: $vgpr16
                                        ; implicit-def: $vgpr12
	s_and_saveexec_b32 s2, s37
	s_delay_alu instid0(SALU_CYCLE_1)
	s_xor_b32 s37, exec_lo, s2
	s_cbranch_execz .LBB248_76
; %bb.75:                               ;   in Loop: Header=BB248_4 Depth=1
	v_and_or_b32 v16, v1, s27, 0x800000
	v_dual_mov_b32 v33, v17 :: v_dual_lshrrev_b32 v12, 23, v1
	v_mov_b32_e32 v35, v17
	s_delay_alu instid0(VALU_DEP_3) | instskip(NEXT) | instid1(VALU_DEP_1)
	v_mul_u64_e32 v[22:23], s[22:23], v[16:17]
	v_dual_mov_b32 v25, v17 :: v_dual_mov_b32 v24, v23
	s_delay_alu instid0(VALU_DEP_1) | instskip(NEXT) | instid1(VALU_DEP_1)
	v_mad_nc_u64_u32 v[24:25], 0x3c439041, v16, v[24:25]
	v_dual_mov_b32 v27, v17 :: v_dual_mov_b32 v26, v25
	s_delay_alu instid0(VALU_DEP_1) | instskip(NEXT) | instid1(VALU_DEP_1)
	v_mad_nc_u64_u32 v[26:27], 0xdb629599, v16, v[26:27]
	;; [unrolled: 3-line block ×4, first 2 shown]
	v_mov_b32_e32 v32, v31
	s_delay_alu instid0(VALU_DEP_1) | instskip(NEXT) | instid1(VALU_DEP_1)
	v_mad_nc_u64_u32 v[32:33], 0x4e441529, v16, v[32:33]
	v_mov_b32_e32 v34, v33
	s_delay_alu instid0(VALU_DEP_1) | instskip(SKIP_1) | instid1(VALU_DEP_1)
	v_mad_nc_u64_u32 v[34:35], 0xa2f9836e, v16, v[34:35]
	v_add_nc_u32_e32 v12, 0xffffff88, v12
	v_cmp_lt_u32_e32 vcc_lo, 63, v12
	v_cndmask_b32_e64 v23, 0, 0xffffffc0, vcc_lo
	s_delay_alu instid0(VALU_DEP_4) | instskip(SKIP_1) | instid1(VALU_DEP_3)
	v_cndmask_b32_e32 v25, v34, v30, vcc_lo
	v_cndmask_b32_e32 v29, v30, v26, vcc_lo
	v_dual_cndmask_b32 v22, v26, v22, vcc_lo :: v_dual_add_nc_u32 v12, v23, v12
	s_delay_alu instid0(VALU_DEP_1) | instskip(SKIP_1) | instid1(VALU_DEP_2)
	v_cmp_lt_u32_e64 s2, 31, v12
	v_cndmask_b32_e32 v27, v35, v32, vcc_lo
	v_cndmask_b32_e64 v23, 0, 0xffffffe0, s2
	s_delay_alu instid0(VALU_DEP_1) | instskip(SKIP_1) | instid1(VALU_DEP_2)
	v_add_nc_u32_e32 v12, v23, v12
	v_cndmask_b32_e32 v23, v32, v28, vcc_lo
	v_cmp_lt_u32_e64 s3, 31, v12
	s_delay_alu instid0(VALU_DEP_1) | instskip(NEXT) | instid1(VALU_DEP_1)
	v_cndmask_b32_e64 v16, 0, 0xffffffe0, s3
	v_add_nc_u32_e32 v12, v16, v12
	s_delay_alu instid0(VALU_DEP_4) | instskip(SKIP_1) | instid1(VALU_DEP_3)
	v_dual_cndmask_b32 v16, v28, v24, vcc_lo :: v_dual_cndmask_b32 v24, v25, v23, s2
	v_cndmask_b32_e64 v25, v27, v25, s2
	v_dual_cndmask_b32 v23, v23, v29, s2 :: v_dual_sub_nc_u32 v27, 32, v12
	v_cmp_eq_u32_e32 vcc_lo, 0, v12
	s_delay_alu instid0(VALU_DEP_3) | instskip(NEXT) | instid1(VALU_DEP_3)
	v_cndmask_b32_e64 v25, v25, v24, s3
	v_dual_cndmask_b32 v28, v29, v16, s2 :: v_dual_cndmask_b32 v24, v24, v23, s3
	s_delay_alu instid0(VALU_DEP_1) | instskip(NEXT) | instid1(VALU_DEP_1)
	v_alignbit_b32 v29, v25, v24, v27
	v_dual_cndmask_b32 v23, v23, v28, s3 :: v_dual_cndmask_b32 v12, v29, v25, vcc_lo
	s_delay_alu instid0(VALU_DEP_1) | instskip(NEXT) | instid1(VALU_DEP_1)
	v_alignbit_b32 v26, v24, v23, v27
	v_dual_cndmask_b32 v16, v16, v22, s2 :: v_dual_cndmask_b32 v22, v26, v24, vcc_lo
	s_delay_alu instid0(VALU_DEP_3) | instskip(NEXT) | instid1(VALU_DEP_2)
	v_bfe_u32 v24, v12, 29, 1
	v_alignbit_b32 v25, v12, v22, 30
	s_delay_alu instid0(VALU_DEP_2) | instskip(NEXT) | instid1(VALU_DEP_1)
	v_sub_nc_u32_e32 v26, 0, v24
	v_dual_cndmask_b32 v16, v28, v16, s3 :: v_dual_bitop2_b32 v25, v25, v26 bitop3:0x14
	s_delay_alu instid0(VALU_DEP_1) | instskip(NEXT) | instid1(VALU_DEP_1)
	v_alignbit_b32 v27, v23, v16, v27
	v_cndmask_b32_e32 v23, v27, v23, vcc_lo
	s_delay_alu instid0(VALU_DEP_3) | instskip(NEXT) | instid1(VALU_DEP_2)
	v_clz_i32_u32_e32 v27, v25
	v_alignbit_b32 v22, v22, v23, 30
	s_delay_alu instid0(VALU_DEP_2) | instskip(SKIP_1) | instid1(VALU_DEP_2)
	v_min_u32_e32 v27, 32, v27
	v_alignbit_b32 v16, v23, v16, 30
	v_dual_sub_nc_u32 v23, 31, v27 :: v_dual_bitop2_b32 v22, v22, v26 bitop3:0x14
	s_delay_alu instid0(VALU_DEP_2) | instskip(SKIP_1) | instid1(VALU_DEP_3)
	v_dual_lshrrev_b32 v26, 29, v12 :: v_dual_bitop2_b32 v16, v16, v26 bitop3:0x14
	v_lshlrev_b32_e32 v28, 23, v27
	v_alignbit_b32 v25, v25, v22, v23
	s_delay_alu instid0(VALU_DEP_3) | instskip(NEXT) | instid1(VALU_DEP_4)
	v_alignbit_b32 v16, v22, v16, v23
	v_lshlrev_b32_e32 v22, 31, v26
	s_delay_alu instid0(VALU_DEP_2) | instskip(NEXT) | instid1(VALU_DEP_2)
	v_alignbit_b32 v23, v25, v16, 9
	v_dual_lshrrev_b32 v25, 9, v25 :: v_dual_bitop2_b32 v26, 0.5, v22 bitop3:0x54
	v_or_b32_e32 v22, 0x33000000, v22
	s_delay_alu instid0(VALU_DEP_3) | instskip(NEXT) | instid1(VALU_DEP_3)
	v_clz_i32_u32_e32 v29, v23
	v_sub_nc_u32_e32 v26, v26, v28
	s_delay_alu instid0(VALU_DEP_2) | instskip(NEXT) | instid1(VALU_DEP_1)
	v_min_u32_e32 v28, 32, v29
	v_add_lshl_u32 v27, v28, v27, 23
	s_delay_alu instid0(VALU_DEP_3) | instskip(SKIP_1) | instid1(VALU_DEP_2)
	v_or_b32_e32 v25, v25, v26
	v_not_b32_e32 v26, v28
	v_dual_mul_f32 v29, 0x3fc90fda, v25 :: v_dual_sub_nc_u32 v22, v22, v27
	s_delay_alu instid0(VALU_DEP_2) | instskip(NEXT) | instid1(VALU_DEP_2)
	v_alignbit_b32 v16, v23, v16, v26
	v_fma_f32 v23, 0x3fc90fda, v25, -v29
	s_delay_alu instid0(VALU_DEP_1) | instskip(NEXT) | instid1(VALU_DEP_1)
	v_dual_fmac_f32 v23, 0x33a22168, v25 :: v_dual_lshrrev_b32 v16, 9, v16
	v_or_b32_e32 v16, v22, v16
	s_delay_alu instid0(VALU_DEP_1) | instskip(SKIP_1) | instid1(VALU_DEP_1)
	v_fmac_f32_e32 v23, 0x3fc90fda, v16
	v_lshrrev_b32_e32 v16, 30, v12
	v_dual_add_nc_u32 v16, v24, v16 :: v_dual_add_f32 v12, v29, v23
	s_and_not1_saveexec_b32 s2, s37
	s_cbranch_execnz .LBB248_77
	s_branch .LBB248_78
.LBB248_76:                             ;   in Loop: Header=BB248_4 Depth=1
	s_and_not1_saveexec_b32 s2, s37
.LBB248_77:                             ;   in Loop: Header=BB248_4 Depth=1
	v_mul_f32_e64 v12, 0x3f22f983, |v11|
	s_delay_alu instid0(VALU_DEP_1) | instskip(NEXT) | instid1(VALU_DEP_1)
	v_rndne_f32_e32 v16, v12
	v_fma_f32 v12, 0xbfc90fda, v16, |v11|
	s_delay_alu instid0(VALU_DEP_1) | instskip(NEXT) | instid1(VALU_DEP_1)
	v_fmac_f32_e32 v12, 0xb3a22168, v16
	v_fmac_f32_e32 v12, 0xa7c234c4, v16
	v_cvt_i32_f32_e32 v16, v16
.LBB248_78:                             ;   in Loop: Header=BB248_4 Depth=1
	s_or_b32 exec_lo, exec_lo, s2
	v_sub_f32_e32 v10, 0xc322e3bc, v10
	s_delay_alu instid0(VALU_DEP_2) | instskip(NEXT) | instid1(VALU_DEP_2)
	v_dual_lshlrev_b32 v16, 30, v16 :: v_dual_bitop2_b32 v27, 1, v16 bitop3:0x40
	v_dual_mul_f32 v25, v8, v8 :: v_dual_mul_f32 v22, 0x3fb8aa3b, v10
	s_delay_alu instid0(VALU_DEP_2) | instskip(NEXT) | instid1(VALU_DEP_2)
	v_and_or_b32 v1, 0x80000000, v16, v1
	v_fma_f32 v23, 0x3fb8aa3b, v10, -v22
	v_rndne_f32_e32 v24, v22
	s_delay_alu instid0(VALU_DEP_1) | instskip(SKIP_1) | instid1(VALU_DEP_2)
	v_dual_fmac_f32 v23, 0x32a5705f, v10 :: v_dual_sub_f32 v22, v22, v24
	v_cvt_i32_f32_e32 v24, v24
	v_dual_add_f32 v22, v22, v23 :: v_dual_lshlrev_b32 v23, 30, v9
	v_and_b32_e32 v9, 1, v9
	v_cmp_ngt_f32_e32 vcc_lo, 0xc2ce8ed0, v10
	s_delay_alu instid0(VALU_DEP_3) | instskip(SKIP_1) | instid1(TRANS32_DEP_1)
	v_exp_f32_e32 v22, v22
	v_nop
	v_ldexp_f32 v22, v22, v24
	s_delay_alu instid0(VALU_DEP_1) | instskip(SKIP_1) | instid1(VALU_DEP_2)
	v_dual_mul_f32 v26, v12, v12 :: v_dual_cndmask_b32 v22, 0, v22, vcc_lo
	v_cmp_nlt_f32_e32 vcc_lo, 0x42b17218, v10
	v_dual_fmaak_f32 v28, s28, v25, 0x3c0881c4 :: v_dual_fmaak_f32 v29, s28, v26, 0x3c0881c4
	s_delay_alu instid0(VALU_DEP_3) | instskip(SKIP_1) | instid1(VALU_DEP_3)
	v_cndmask_b32_e32 v10, 0x7f800000, v22, vcc_lo
	v_fmaak_f32 v24, s29, v25, 0xbab64f3b
	v_fmaak_f32 v16, v26, v29, 0xbe2aaa9d
	s_delay_alu instid0(VALU_DEP_4) | instskip(SKIP_1) | instid1(VALU_DEP_4)
	v_fmaak_f32 v28, v25, v28, 0xbe2aaa9d
	v_cmp_eq_u32_e32 vcc_lo, 0, v27
	v_dual_fmaak_f32 v24, v25, v24, 0x3d2aabf7 :: v_dual_lshrrev_b32 v29, 23, v10
	v_and_or_b32 v10, 0x7fffff, v10, s30
	s_delay_alu instid0(VALU_DEP_4) | instskip(NEXT) | instid1(VALU_DEP_3)
	v_mul_f32_e32 v28, v25, v28
	v_subrev_nc_u32_e32 v29, 19, v29
	v_fmaak_f32 v30, s29, v26, 0xbab64f3b
	v_fmaak_f32 v24, v25, v24, 0xbf000004
	s_delay_alu instid0(VALU_DEP_4) | instskip(SKIP_1) | instid1(VALU_DEP_4)
	v_fmac_f32_e32 v8, v8, v28
	v_mul_f32_e32 v16, v26, v16
	v_fmaak_f32 v22, v26, v30, 0x3d2aabf7
	s_delay_alu instid0(VALU_DEP_2) | instskip(NEXT) | instid1(VALU_DEP_2)
	v_fmac_f32_e32 v12, v12, v16
	v_fmaak_f32 v22, v26, v22, 0xbf000004
	s_delay_alu instid0(VALU_DEP_1) | instskip(SKIP_2) | instid1(VALU_DEP_3)
	v_fma_f32 v16, v26, v22, 1.0
	v_fma_f32 v22, v25, v24, 1.0
	v_lshrrev_b16 v24, 15, v29
	v_cndmask_b32_e32 v12, v16, v12, vcc_lo
	v_cmp_eq_u32_e32 vcc_lo, 0, v9
	s_delay_alu instid0(VALU_DEP_3) | instskip(NEXT) | instid1(VALU_DEP_3)
	v_add_nc_u16 v9, v29, v24
	v_xor3_b32 v1, v1, v12, v13
	v_cndmask_b32_e64 v8, -v8, v22, vcc_lo
	v_cmp_class_f32_e64 vcc_lo, v11, 0x1f8
	s_delay_alu instid0(VALU_DEP_4) | instskip(NEXT) | instid1(VALU_DEP_3)
	v_ashrrev_i16 v11, 1, v9
	v_bitop3_b32 v8, v23, v8, 0x80000000 bitop3:0x6c
	v_cndmask_b32_e32 v9, 0x7fc00000, v1, vcc_lo
	s_delay_alu instid0(VALU_DEP_3) | instskip(NEXT) | instid1(VALU_DEP_3)
	v_bfe_i32 v1, v11, 0, 16
	v_cndmask_b32_e32 v8, 0x7fc00000, v8, vcc_lo
	s_delay_alu instid0(VALU_DEP_1) | instskip(NEXT) | instid1(VALU_DEP_3)
	v_pk_mul_f32 v[8:9], v[8:9], v[10:11] op_sel_hi:[1,0]
	v_sub_nc_u32_e32 v11, v29, v1
	v_lshl_add_u32 v10, v1, 23, 1.0
	s_delay_alu instid0(VALU_DEP_2) | instskip(NEXT) | instid1(VALU_DEP_2)
	v_lshl_add_u32 v12, v11, 23, 1.0
	v_pk_mul_f32 v[8:9], v[8:9], v[10:11] op_sel_hi:[1,0]
	s_delay_alu instid0(VALU_DEP_1)
	v_pk_mul_f32 v[12:13], v[8:9], v[12:13] op_sel_hi:[1,0]
.LBB248_79:                             ;   in Loop: Header=BB248_4 Depth=1
	s_or_b32 exec_lo, exec_lo, s36
                                        ; implicit-def: $vgpr8_vgpr9_vgpr10_vgpr11
                                        ; implicit-def: $vgpr16
                                        ; implicit-def: $vgpr8
.LBB248_80:                             ;   in Loop: Header=BB248_4 Depth=1
	s_and_not1_saveexec_b32 s2, s35
	s_cbranch_execz .LBB248_86
; %bb.81:                               ;   in Loop: Header=BB248_4 Depth=1
	v_sub_f32_e32 v13, v11, v11
	s_mov_b32 s3, exec_lo
	v_cmpx_ne_u32_e32 0x7f800000, v8
	s_xor_b32 s3, exec_lo, s3
; %bb.82:                               ;   in Loop: Header=BB248_4 Depth=1
                                        ; implicit-def: $vgpr16
                                        ; implicit-def: $vgpr8_vgpr9_vgpr10_vgpr11
; %bb.83:                               ;   in Loop: Header=BB248_4 Depth=1
	s_delay_alu instid0(SALU_CYCLE_1)
	s_or_saveexec_b32 s3, s3
	v_mov_b32_e32 v12, v13
	s_xor_b32 exec_lo, exec_lo, s3
; %bb.84:                               ;   in Loop: Header=BB248_4 Depth=1
	v_cmp_lt_i32_e32 vcc_lo, -1, v16
	v_dual_cndmask_b32 v12, 0, -v10, vcc_lo :: v_dual_cndmask_b32 v13, 0, v13, vcc_lo
; %bb.85:                               ;   in Loop: Header=BB248_4 Depth=1
	s_or_b32 exec_lo, exec_lo, s3
.LBB248_86:                             ;   in Loop: Header=BB248_4 Depth=1
	s_delay_alu instid0(SALU_CYCLE_1)
	s_or_b32 exec_lo, exec_lo, s2
                                        ; implicit-def: $vgpr8_vgpr9_vgpr10_vgpr11
                                        ; implicit-def: $vgpr1
.LBB248_87:                             ;   in Loop: Header=BB248_4 Depth=1
	s_and_not1_saveexec_b32 s34, s34
	s_cbranch_execz .LBB248_97
; %bb.88:                               ;   in Loop: Header=BB248_4 Depth=1
	v_lshrrev_b32_e32 v8, 23, v1
	v_cmp_ngt_f32_e64 s35, 0x48000000, |v11|
	v_and_or_b32 v16, v1, s27, 0x800000
                                        ; implicit-def: $vgpr9
	s_delay_alu instid0(VALU_DEP_3) | instskip(SKIP_1) | instid1(SALU_CYCLE_1)
	v_add_nc_u32_e32 v10, 0xffffff88, v8
                                        ; implicit-def: $vgpr8
	s_and_saveexec_b32 s2, s35
	s_xor_b32 s36, exec_lo, s2
	s_cbranch_execz .LBB248_90
; %bb.89:                               ;   in Loop: Header=BB248_4 Depth=1
	v_mul_u64_e32 v[8:9], s[22:23], v[16:17]
	v_mov_b32_e32 v23, v17
	v_cmp_lt_u32_e32 vcc_lo, 63, v10
	s_delay_alu instid0(VALU_DEP_3) | instskip(SKIP_1) | instid1(VALU_DEP_2)
	v_mov_b32_e32 v22, v9
	v_cndmask_b32_e64 v9, 0, 0xffffffc0, vcc_lo
	v_mad_nc_u64_u32 v[22:23], 0x3c439041, v16, v[22:23]
	s_delay_alu instid0(VALU_DEP_1) | instskip(NEXT) | instid1(VALU_DEP_1)
	v_dual_mov_b32 v25, v17 :: v_dual_mov_b32 v24, v23
	v_mad_nc_u64_u32 v[24:25], 0xdb629599, v16, v[24:25]
	s_delay_alu instid0(VALU_DEP_1) | instskip(NEXT) | instid1(VALU_DEP_2)
	v_dual_mov_b32 v27, v17 :: v_dual_mov_b32 v26, v25
	v_cndmask_b32_e32 v8, v24, v8, vcc_lo
	s_delay_alu instid0(VALU_DEP_2) | instskip(NEXT) | instid1(VALU_DEP_1)
	v_mad_nc_u64_u32 v[26:27], 0xf534ddc0, v16, v[26:27]
	v_dual_mov_b32 v29, v17 :: v_dual_mov_b32 v28, v27
	s_delay_alu instid0(VALU_DEP_1) | instskip(NEXT) | instid1(VALU_DEP_1)
	v_mad_nc_u64_u32 v[28:29], 0xfc2757d1, v16, v[28:29]
	v_dual_mov_b32 v31, v17 :: v_dual_mov_b32 v30, v29
	s_delay_alu instid0(VALU_DEP_1) | instskip(NEXT) | instid1(VALU_DEP_1)
	v_mad_nc_u64_u32 v[30:31], 0x4e441529, v16, v[30:31]
	v_dual_mov_b32 v32, v31 :: v_dual_add_nc_u32 v9, v9, v10
	s_delay_alu instid0(VALU_DEP_1) | instskip(NEXT) | instid1(VALU_DEP_1)
	v_cmp_lt_u32_e64 s2, 31, v9
	v_cndmask_b32_e64 v12, 0, 0xffffffe0, s2
	s_delay_alu instid0(VALU_DEP_1) | instskip(NEXT) | instid1(VALU_DEP_1)
	v_dual_mov_b32 v33, v17 :: v_dual_add_nc_u32 v9, v12, v9
	v_mad_nc_u64_u32 v[32:33], 0xa2f9836e, v16, v[32:33]
	v_cndmask_b32_e32 v23, v30, v26, vcc_lo
	s_delay_alu instid0(VALU_DEP_3) | instskip(NEXT) | instid1(VALU_DEP_1)
	v_cmp_lt_u32_e64 s3, 31, v9
	v_cndmask_b32_e64 v12, 0, 0xffffffe0, s3
	s_delay_alu instid0(VALU_DEP_4) | instskip(SKIP_1) | instid1(VALU_DEP_3)
	v_dual_cndmask_b32 v25, v32, v28, vcc_lo :: v_dual_cndmask_b32 v27, v33, v30, vcc_lo
	v_cndmask_b32_e32 v28, v28, v24, vcc_lo
	v_dual_cndmask_b32 v12, v26, v22 :: v_dual_add_nc_u32 v9, v12, v9
	s_delay_alu instid0(VALU_DEP_3) | instskip(NEXT) | instid1(VALU_DEP_2)
	v_dual_cndmask_b32 v22, v25, v23, s2 :: v_dual_cndmask_b32 v25, v27, v25, s2
	v_dual_cndmask_b32 v23, v23, v28, s2 :: v_dual_sub_nc_u32 v26, 32, v9
	s_delay_alu instid0(VALU_DEP_3) | instskip(SKIP_1) | instid1(VALU_DEP_3)
	v_cndmask_b32_e64 v27, v28, v12, s2
	v_cmp_eq_u32_e32 vcc_lo, 0, v9
	v_dual_cndmask_b32 v25, v25, v22, s3 :: v_dual_cndmask_b32 v22, v22, v23, s3
	v_cndmask_b32_e64 v8, v12, v8, s2
	s_delay_alu instid0(VALU_DEP_2) | instskip(NEXT) | instid1(VALU_DEP_1)
	v_alignbit_b32 v28, v25, v22, v26
	v_dual_cndmask_b32 v23, v23, v27, s3 :: v_dual_cndmask_b32 v9, v28, v25, vcc_lo
	s_delay_alu instid0(VALU_DEP_1) | instskip(NEXT) | instid1(VALU_DEP_1)
	v_alignbit_b32 v24, v22, v23, v26
	v_cndmask_b32_e32 v12, v24, v22, vcc_lo
	s_delay_alu instid0(VALU_DEP_3) | instskip(NEXT) | instid1(VALU_DEP_1)
	v_bfe_u32 v22, v9, 29, 1
	v_dual_sub_nc_u32 v25, 0, v22 :: v_dual_cndmask_b32 v8, v27, v8, s3
	s_delay_alu instid0(VALU_DEP_3) | instskip(NEXT) | instid1(VALU_DEP_2)
	v_alignbit_b32 v24, v9, v12, 30
	v_alignbit_b32 v26, v23, v8, v26
	s_delay_alu instid0(VALU_DEP_1) | instskip(NEXT) | instid1(VALU_DEP_1)
	v_dual_cndmask_b32 v23, v26, v23, vcc_lo :: v_dual_bitop2_b32 v24, v24, v25 bitop3:0x14
	v_clz_i32_u32_e32 v26, v24
	s_delay_alu instid0(VALU_DEP_2) | instskip(NEXT) | instid1(VALU_DEP_2)
	v_alignbit_b32 v12, v12, v23, 30
	v_min_u32_e32 v26, 32, v26
	v_alignbit_b32 v8, v23, v8, 30
	s_delay_alu instid0(VALU_DEP_2) | instskip(NEXT) | instid1(VALU_DEP_2)
	v_dual_sub_nc_u32 v23, 31, v26 :: v_dual_bitop2_b32 v12, v12, v25 bitop3:0x14
	v_xor_b32_e32 v8, v8, v25
	v_dual_lshrrev_b32 v25, 29, v9 :: v_dual_lshlrev_b32 v27, 23, v26
	v_lshrrev_b32_e32 v9, 30, v9
	s_delay_alu instid0(VALU_DEP_4) | instskip(NEXT) | instid1(VALU_DEP_4)
	v_alignbit_b32 v24, v24, v12, v23
	v_alignbit_b32 v8, v12, v8, v23
	s_delay_alu instid0(VALU_DEP_4) | instskip(NEXT) | instid1(VALU_DEP_4)
	v_lshlrev_b32_e32 v12, 31, v25
	v_add_nc_u32_e32 v9, v22, v9
	s_delay_alu instid0(VALU_DEP_3) | instskip(NEXT) | instid1(VALU_DEP_3)
	v_alignbit_b32 v23, v24, v8, 9
	v_or_b32_e32 v25, 0.5, v12
	v_lshrrev_b32_e32 v24, 9, v24
	v_or_b32_e32 v12, 0x33000000, v12
	s_delay_alu instid0(VALU_DEP_4) | instskip(NEXT) | instid1(VALU_DEP_4)
	v_clz_i32_u32_e32 v28, v23
	v_sub_nc_u32_e32 v25, v25, v27
	s_delay_alu instid0(VALU_DEP_2) | instskip(NEXT) | instid1(VALU_DEP_2)
	v_min_u32_e32 v27, 32, v28
	v_or_b32_e32 v24, v24, v25
	s_delay_alu instid0(VALU_DEP_2) | instskip(SKIP_1) | instid1(VALU_DEP_2)
	v_not_b32_e32 v25, v27
	v_add_lshl_u32 v26, v27, v26, 23
	v_alignbit_b32 v8, v23, v8, v25
	s_delay_alu instid0(VALU_DEP_1) | instskip(SKIP_1) | instid1(VALU_DEP_2)
	v_dual_sub_nc_u32 v12, v12, v26 :: v_dual_lshrrev_b32 v8, 9, v8
	v_mul_f32_e32 v28, 0x3fc90fda, v24
	v_or_b32_e32 v8, v12, v8
	s_delay_alu instid0(VALU_DEP_2) | instskip(NEXT) | instid1(VALU_DEP_1)
	v_fma_f32 v23, 0x3fc90fda, v24, -v28
	v_fmac_f32_e32 v23, 0x33a22168, v24
	s_delay_alu instid0(VALU_DEP_1) | instskip(NEXT) | instid1(VALU_DEP_1)
	v_fmac_f32_e32 v23, 0x3fc90fda, v8
	v_add_f32_e32 v8, v28, v23
.LBB248_90:                             ;   in Loop: Header=BB248_4 Depth=1
	s_or_saveexec_b32 s2, s36
	v_mul_f32_e64 v12, 0x3f22f983, |v11|
	s_delay_alu instid0(VALU_DEP_1)
	v_rndne_f32_e32 v23, v12
	s_xor_b32 exec_lo, exec_lo, s2
; %bb.91:                               ;   in Loop: Header=BB248_4 Depth=1
	s_delay_alu instid0(VALU_DEP_1) | instskip(SKIP_1) | instid1(VALU_DEP_2)
	v_fma_f32 v8, 0xbfc90fda, v23, |v11|
	v_cvt_i32_f32_e32 v9, v23
	v_fmac_f32_e32 v8, 0xb3a22168, v23
	s_delay_alu instid0(VALU_DEP_1)
	v_fmac_f32_e32 v8, 0xa7c234c4, v23
; %bb.92:                               ;   in Loop: Header=BB248_4 Depth=1
	s_or_b32 exec_lo, exec_lo, s2
                                        ; implicit-def: $vgpr22
                                        ; implicit-def: $vgpr12
	s_and_saveexec_b32 s2, s35
	s_delay_alu instid0(SALU_CYCLE_1)
	s_xor_b32 s35, exec_lo, s2
	s_cbranch_execz .LBB248_94
; %bb.93:                               ;   in Loop: Header=BB248_4 Depth=1
	v_mul_u64_e32 v[22:23], s[22:23], v[16:17]
	v_mov_b32_e32 v25, v17
	v_cmp_lt_u32_e32 vcc_lo, 63, v10
	v_mov_b32_e32 v35, v17
	v_cndmask_b32_e64 v12, 0, 0xffffffc0, vcc_lo
	s_delay_alu instid0(VALU_DEP_1) | instskip(NEXT) | instid1(VALU_DEP_1)
	v_add_nc_u32_e32 v10, v12, v10
	v_cmp_lt_u32_e64 s2, 31, v10
	s_delay_alu instid0(VALU_DEP_1) | instskip(NEXT) | instid1(VALU_DEP_1)
	v_cndmask_b32_e64 v12, 0, 0xffffffe0, s2
	v_dual_add_nc_u32 v10, v12, v10 :: v_dual_mov_b32 v24, v23
	s_delay_alu instid0(VALU_DEP_1) | instskip(NEXT) | instid1(VALU_DEP_2)
	v_cmp_lt_u32_e64 s3, 31, v10
	v_mad_nc_u64_u32 v[24:25], 0x3c439041, v16, v[24:25]
	v_mov_b32_e32 v27, v17
	s_delay_alu instid0(VALU_DEP_3) | instskip(NEXT) | instid1(VALU_DEP_3)
	v_cndmask_b32_e64 v12, 0, 0xffffffe0, s3
	v_mov_b32_e32 v26, v25
	s_delay_alu instid0(VALU_DEP_1) | instskip(NEXT) | instid1(VALU_DEP_1)
	v_mad_nc_u64_u32 v[26:27], 0xdb629599, v16, v[26:27]
	v_dual_mov_b32 v29, v17 :: v_dual_mov_b32 v28, v27
	s_delay_alu instid0(VALU_DEP_2) | instskip(NEXT) | instid1(VALU_DEP_2)
	v_cndmask_b32_e32 v22, v26, v22, vcc_lo
	v_mad_nc_u64_u32 v[28:29], 0xf534ddc0, v16, v[28:29]
	s_delay_alu instid0(VALU_DEP_1) | instskip(NEXT) | instid1(VALU_DEP_1)
	v_dual_mov_b32 v31, v17 :: v_dual_mov_b32 v30, v29
	v_mad_nc_u64_u32 v[30:31], 0xfc2757d1, v16, v[30:31]
	s_delay_alu instid0(VALU_DEP_1) | instskip(NEXT) | instid1(VALU_DEP_2)
	v_dual_mov_b32 v33, v17 :: v_dual_mov_b32 v32, v31
	v_cndmask_b32_e32 v27, v30, v26, vcc_lo
	s_delay_alu instid0(VALU_DEP_2) | instskip(NEXT) | instid1(VALU_DEP_1)
	v_mad_nc_u64_u32 v[32:33], 0x4e441529, v16, v[32:33]
	v_mov_b32_e32 v34, v33
	s_delay_alu instid0(VALU_DEP_1) | instskip(NEXT) | instid1(VALU_DEP_1)
	v_mad_nc_u64_u32 v[34:35], 0xa2f9836e, v16, v[34:35]
	v_dual_cndmask_b32 v16, v32, v28 :: v_dual_cndmask_b32 v23, v34, v30
	s_delay_alu instid0(VALU_DEP_2) | instskip(SKIP_1) | instid1(VALU_DEP_2)
	v_dual_cndmask_b32 v25, v35, v32 :: v_dual_add_nc_u32 v10, v12, v10
	v_cndmask_b32_e32 v12, v28, v24, vcc_lo
	v_dual_cndmask_b32 v24, v23, v16, s2 :: v_dual_cndmask_b32 v23, v25, v23, s2
	s_delay_alu instid0(VALU_DEP_3) | instskip(NEXT) | instid1(VALU_DEP_3)
	v_dual_cndmask_b32 v16, v16, v27, s2 :: v_dual_sub_nc_u32 v25, 32, v10
	v_cndmask_b32_e64 v27, v27, v12, s2
	v_cmp_eq_u32_e32 vcc_lo, 0, v10
	s_delay_alu instid0(VALU_DEP_4) | instskip(NEXT) | instid1(VALU_DEP_4)
	v_cndmask_b32_e64 v23, v23, v24, s3
	v_cndmask_b32_e64 v24, v24, v16, s3
	s_delay_alu instid0(VALU_DEP_4) | instskip(SKIP_1) | instid1(VALU_DEP_3)
	v_cndmask_b32_e64 v16, v16, v27, s3
	v_cndmask_b32_e64 v12, v12, v22, s2
	v_alignbit_b32 v28, v23, v24, v25
	s_delay_alu instid0(VALU_DEP_3) | instskip(NEXT) | instid1(VALU_DEP_1)
	v_alignbit_b32 v26, v24, v16, v25
	v_dual_cndmask_b32 v10, v28, v23, vcc_lo :: v_dual_cndmask_b32 v22, v26, v24, vcc_lo
	s_delay_alu instid0(VALU_DEP_1) | instskip(NEXT) | instid1(VALU_DEP_2)
	v_bfe_u32 v23, v10, 29, 1
	v_alignbit_b32 v24, v10, v22, 30
	s_delay_alu instid0(VALU_DEP_2) | instskip(NEXT) | instid1(VALU_DEP_1)
	v_dual_sub_nc_u32 v26, 0, v23 :: v_dual_cndmask_b32 v12, v27, v12, s3
	v_xor_b32_e32 v24, v24, v26
	s_delay_alu instid0(VALU_DEP_2) | instskip(NEXT) | instid1(VALU_DEP_1)
	v_alignbit_b32 v25, v16, v12, v25
	v_cndmask_b32_e32 v16, v25, v16, vcc_lo
	s_delay_alu instid0(VALU_DEP_3) | instskip(NEXT) | instid1(VALU_DEP_2)
	v_clz_i32_u32_e32 v25, v24
	v_alignbit_b32 v22, v22, v16, 30
	s_delay_alu instid0(VALU_DEP_2) | instskip(SKIP_1) | instid1(VALU_DEP_2)
	v_min_u32_e32 v25, 32, v25
	v_alignbit_b32 v12, v16, v12, 30
	v_dual_sub_nc_u32 v22, 31, v25 :: v_dual_bitop2_b32 v16, v22, v26 bitop3:0x14
	s_delay_alu instid0(VALU_DEP_2) | instskip(SKIP_2) | instid1(VALU_DEP_4)
	v_xor_b32_e32 v12, v12, v26
	v_dual_lshrrev_b32 v26, 29, v10 :: v_dual_lshlrev_b32 v27, 23, v25
	v_lshrrev_b32_e32 v10, 30, v10
	v_alignbit_b32 v24, v24, v16, v22
	s_delay_alu instid0(VALU_DEP_4) | instskip(NEXT) | instid1(VALU_DEP_4)
	v_alignbit_b32 v12, v16, v12, v22
	v_lshlrev_b32_e32 v16, 31, v26
	s_delay_alu instid0(VALU_DEP_2) | instskip(NEXT) | instid1(VALU_DEP_2)
	v_alignbit_b32 v22, v24, v12, 9
	v_or_b32_e32 v26, 0.5, v16
	v_lshrrev_b32_e32 v24, 9, v24
	v_or_b32_e32 v16, 0x33000000, v16
	s_delay_alu instid0(VALU_DEP_4) | instskip(NEXT) | instid1(VALU_DEP_4)
	v_clz_i32_u32_e32 v28, v22
	v_sub_nc_u32_e32 v26, v26, v27
	s_delay_alu instid0(VALU_DEP_2) | instskip(NEXT) | instid1(VALU_DEP_2)
	v_min_u32_e32 v27, 32, v28
	v_or_b32_e32 v24, v24, v26
	s_delay_alu instid0(VALU_DEP_2) | instskip(SKIP_1) | instid1(VALU_DEP_2)
	v_not_b32_e32 v26, v27
	v_add_lshl_u32 v25, v27, v25, 23
	v_alignbit_b32 v12, v22, v12, v26
	s_delay_alu instid0(VALU_DEP_1) | instskip(SKIP_1) | instid1(VALU_DEP_2)
	v_dual_sub_nc_u32 v16, v16, v25 :: v_dual_lshrrev_b32 v12, 9, v12
	v_mul_f32_e32 v28, 0x3fc90fda, v24
	v_or_b32_e32 v12, v16, v12
	s_delay_alu instid0(VALU_DEP_2) | instskip(NEXT) | instid1(VALU_DEP_1)
	v_fma_f32 v22, 0x3fc90fda, v24, -v28
	v_fmac_f32_e32 v22, 0x33a22168, v24
	s_delay_alu instid0(VALU_DEP_1) | instskip(NEXT) | instid1(VALU_DEP_1)
	v_fmac_f32_e32 v22, 0x3fc90fda, v12
	v_add_f32_e32 v12, v28, v22
	v_add_nc_u32_e32 v22, v23, v10
                                        ; implicit-def: $vgpr23
	s_and_not1_saveexec_b32 s2, s35
	s_cbranch_execnz .LBB248_95
	s_branch .LBB248_96
.LBB248_94:                             ;   in Loop: Header=BB248_4 Depth=1
	s_and_not1_saveexec_b32 s2, s35
.LBB248_95:                             ;   in Loop: Header=BB248_4 Depth=1
	v_fma_f32 v12, 0xbfc90fda, v23, |v11|
	v_cvt_i32_f32_e32 v22, v23
	s_delay_alu instid0(VALU_DEP_2) | instskip(NEXT) | instid1(VALU_DEP_1)
	v_fmac_f32_e32 v12, 0xb3a22168, v23
	v_fmac_f32_e32 v12, 0xa7c234c4, v23
.LBB248_96:                             ;   in Loop: Header=BB248_4 Depth=1
	s_or_b32 exec_lo, exec_lo, s2
	v_dual_mul_f32 v10, v8, v8 :: v_dual_bitop2_b32 v23, 1, v9 bitop3:0x40
	s_delay_alu instid0(VALU_DEP_2) | instskip(NEXT) | instid1(VALU_DEP_2)
	v_dual_mul_f32 v16, v12, v12 :: v_dual_lshlrev_b32 v9, 30, v9
	v_fmaak_f32 v24, s28, v10, 0x3c0881c4
	v_fmaak_f32 v25, s29, v10, 0xbab64f3b
	s_delay_alu instid0(VALU_DEP_3) | instskip(SKIP_1) | instid1(VALU_DEP_4)
	v_fmaak_f32 v26, s28, v16, 0x3c0881c4
	v_cmp_eq_u32_e32 vcc_lo, 0, v23
	v_fmaak_f32 v24, v10, v24, 0xbe2aaa9d
	s_delay_alu instid0(VALU_DEP_4) | instskip(NEXT) | instid1(VALU_DEP_4)
	v_fmaak_f32 v25, v10, v25, 0x3d2aabf7
	v_fmaak_f32 v26, v16, v26, 0xbe2aaa9d
	;; [unrolled: 1-line block ×3, first 2 shown]
	s_delay_alu instid0(VALU_DEP_4) | instskip(NEXT) | instid1(VALU_DEP_3)
	v_dual_mul_f32 v24, v10, v24 :: v_dual_bitop2_b32 v28, 1, v22 bitop3:0x40
	v_dual_mul_f32 v26, v16, v26 :: v_dual_fmaak_f32 v25, v10, v25, 0xbf000004
	s_delay_alu instid0(VALU_DEP_3) | instskip(NEXT) | instid1(VALU_DEP_3)
	v_dual_fmaak_f32 v27, v16, v27, 0x3d2aabf7 :: v_dual_lshlrev_b32 v22, 30, v22
	v_fmac_f32_e32 v8, v8, v24
	s_delay_alu instid0(VALU_DEP_3) | instskip(NEXT) | instid1(VALU_DEP_4)
	v_fmac_f32_e32 v12, v12, v26
	v_fma_f32 v10, v10, v25, 1.0
	s_delay_alu instid0(VALU_DEP_4) | instskip(NEXT) | instid1(VALU_DEP_2)
	v_and_or_b32 v1, 0x80000000, v22, v1
	v_cndmask_b32_e64 v8, -v8, v10, vcc_lo
	v_cmp_eq_u32_e32 vcc_lo, 0, v28
	v_fmaak_f32 v27, v16, v27, 0xbf000004
	s_delay_alu instid0(VALU_DEP_3) | instskip(NEXT) | instid1(VALU_DEP_2)
	v_bitop3_b32 v8, v9, v8, 0x80000000 bitop3:0x6c
	v_fma_f32 v16, v16, v27, 1.0
	s_delay_alu instid0(VALU_DEP_1) | instskip(SKIP_1) | instid1(VALU_DEP_2)
	v_cndmask_b32_e32 v10, v16, v12, vcc_lo
	v_cmp_class_f32_e64 vcc_lo, v11, 0x1f8
	v_xor3_b32 v1, v1, v10, v13
	v_cndmask_b32_e32 v12, 0x7fc00000, v8, vcc_lo
	s_delay_alu instid0(VALU_DEP_2)
	v_cndmask_b32_e32 v13, 0x7fc00000, v1, vcc_lo
.LBB248_97:                             ;   in Loop: Header=BB248_4 Depth=1
	s_or_b32 exec_lo, exec_lo, s34
                                        ; implicit-def: $vgpr8_vgpr9_vgpr10_vgpr11
.LBB248_98:                             ;   in Loop: Header=BB248_4 Depth=1
	s_and_not1_saveexec_b32 s2, s33
	s_cbranch_execz .LBB248_100
; %bb.99:                               ;   in Loop: Header=BB248_4 Depth=1
	v_mul_f32_e32 v1, 0xbfb8aa3b, v10
	v_cmp_nlt_f32_e32 vcc_lo, 0x42ce8ed0, v10
	s_delay_alu instid0(VALU_DEP_2) | instskip(SKIP_1) | instid1(VALU_DEP_2)
	v_rndne_f32_e32 v8, v1
	v_fma_f32 v9, 0xbfb8aa3b, v10, -v1
	v_sub_f32_e32 v1, v1, v8
	s_delay_alu instid0(VALU_DEP_2) | instskip(SKIP_1) | instid1(VALU_DEP_2)
	v_fmac_f32_e32 v9, 0xb2a5705f, v10
	v_cvt_i32_f32_e32 v8, v8
	v_add_f32_e32 v1, v1, v9
	s_delay_alu instid0(VALU_DEP_1) | instskip(SKIP_1) | instid1(TRANS32_DEP_1)
	v_exp_f32_e32 v1, v1
	v_nop
	v_ldexp_f32 v1, v1, v8
	s_delay_alu instid0(VALU_DEP_1) | instskip(SKIP_1) | instid1(VALU_DEP_2)
	v_cndmask_b32_e32 v1, 0, v1, vcc_lo
	v_cmp_ngt_f32_e32 vcc_lo, 0xc2b17218, v10
	v_cndmask_b32_e32 v12, 0x7f800000, v1, vcc_lo
.LBB248_100:                            ;   in Loop: Header=BB248_4 Depth=1
	s_or_b32 exec_lo, exec_lo, s2
	v_mov_b64_e32 v[8:9], s[6:7]
	s_mov_b32 s2, exec_lo
	s_delay_alu instid0(VALU_DEP_1) | instskip(NEXT) | instid1(VALU_DEP_1)
	v_pk_add_f32 v[10:11], v[12:13], v[8:9]
	v_cmp_gt_f32_e32 vcc_lo, 0, v11
	v_cndmask_b32_e64 v1, v11, -v11, vcc_lo
	s_delay_alu instid0(VALU_DEP_3) | instskip(SKIP_1) | instid1(VALU_DEP_1)
	v_cmp_gt_f32_e32 vcc_lo, 0, v10
	v_cndmask_b32_e64 v12, v10, -v10, vcc_lo
	v_cmpx_ge_f32_e32 v12, v1
	s_xor_b32 s3, exec_lo, s2
	s_cbranch_execz .LBB248_106
; %bb.101:                              ;   in Loop: Header=BB248_4 Depth=1
	v_cmp_neq_f32_e32 vcc_lo, 0, v10
	v_cmp_neq_f32_e64 s2, 0, v11
	s_or_b32 s2, vcc_lo, s2
	s_delay_alu instid0(SALU_CYCLE_1) | instskip(NEXT) | instid1(SALU_CYCLE_1)
	s_and_saveexec_b32 s33, s2
	s_xor_b32 s2, exec_lo, s33
	s_cbranch_execz .LBB248_103
; %bb.102:                              ;   in Loop: Header=BB248_4 Depth=1
	v_div_scale_f32 v1, null, v10, v10, v11
	v_div_scale_f32 v12, vcc_lo, v11, v10, v11
	v_mov_b64_e32 v[22:23], s[20:21]
	s_delay_alu instid0(VALU_DEP_3) | instskip(SKIP_1) | instid1(TRANS32_DEP_1)
	v_rcp_f32_e32 v8, v1
	v_nop
	v_fma_f32 v9, -v1, v8, 1.0
	s_delay_alu instid0(VALU_DEP_1) | instskip(NEXT) | instid1(VALU_DEP_1)
	v_fmac_f32_e32 v8, v9, v8
	v_mul_f32_e32 v9, v12, v8
	s_delay_alu instid0(VALU_DEP_1) | instskip(NEXT) | instid1(VALU_DEP_1)
	v_fma_f32 v13, -v1, v9, v12
	v_fmac_f32_e32 v9, v13, v8
	s_delay_alu instid0(VALU_DEP_1) | instskip(NEXT) | instid1(VALU_DEP_1)
	v_fma_f32 v1, -v1, v9, v12
	v_div_fmas_f32 v1, v1, v8, v9
	s_delay_alu instid0(VALU_DEP_1) | instskip(NEXT) | instid1(VALU_DEP_1)
	v_div_fixup_f32 v8, v1, v10, v11
	v_fmac_f32_e32 v10, v11, v8
	s_delay_alu instid0(VALU_DEP_1) | instskip(SKIP_1) | instid1(VALU_DEP_2)
	v_div_scale_f32 v1, null, v10, v10, 1.0
	v_div_scale_f32 v16, vcc_lo, 1.0, v10, 1.0
	v_rcp_f32_e32 v9, v1
	v_nop
	s_delay_alu instid0(TRANS32_DEP_1) | instskip(NEXT) | instid1(VALU_DEP_1)
	v_fma_f32 v11, -v1, v9, 1.0
	v_fmac_f32_e32 v9, v11, v9
	s_delay_alu instid0(VALU_DEP_1) | instskip(NEXT) | instid1(VALU_DEP_1)
	v_mul_f32_e32 v11, v16, v9
	v_fma_f32 v12, -v1, v11, v16
	s_delay_alu instid0(VALU_DEP_1) | instskip(SKIP_1) | instid1(VALU_DEP_2)
	v_fmac_f32_e32 v11, v12, v9
	v_mov_b64_e32 v[12:13], s[6:7]
	v_fma_f32 v1, -v1, v11, v16
	s_delay_alu instid0(VALU_DEP_2) | instskip(NEXT) | instid1(VALU_DEP_2)
	v_pk_fma_f32 v[24:25], v[8:9], v[22:23], v[12:13] op_sel_hi:[0,1,1] neg_lo:[1,0,0] neg_hi:[1,0,0]
	v_div_fmas_f32 v1, v1, v9, v11
	v_pk_fma_f32 v[8:9], v[8:9], v[22:23], v[12:13]
                                        ; implicit-def: $vgpr12
	s_delay_alu instid0(VALU_DEP_3) | instskip(NEXT) | instid1(VALU_DEP_3)
	v_mov_b32_e32 v9, v25
	v_div_fixup_f32 v10, v1, v10, 1.0
                                        ; implicit-def: $vgpr1
	s_delay_alu instid0(VALU_DEP_1)
	v_pk_mul_f32 v[8:9], v[8:9], v[10:11] op_sel_hi:[1,0]
.LBB248_103:                            ;   in Loop: Header=BB248_4 Depth=1
	s_and_not1_saveexec_b32 s33, s2
	s_cbranch_execz .LBB248_105
; %bb.104:                              ;   in Loop: Header=BB248_4 Depth=1
	v_div_scale_f32 v8, null, v1, v1, s7
	v_div_scale_f32 v9, null, v12, v12, s6
	v_div_scale_f32 v22, vcc_lo, s7, v1, s7
	s_delay_alu instid0(VALU_DEP_3) | instskip(NEXT) | instid1(VALU_DEP_2)
	v_rcp_f32_e32 v10, v8
	v_rcp_f32_e32 v11, v9
	s_delay_alu instid0(TRANS32_DEP_2) | instskip(NEXT) | instid1(TRANS32_DEP_1)
	v_fma_f32 v13, -v8, v10, 1.0
	v_fma_f32 v16, -v9, v11, 1.0
	s_delay_alu instid0(VALU_DEP_1) | instskip(SKIP_1) | instid1(VALU_DEP_1)
	v_dual_fmac_f32 v10, v13, v10 :: v_dual_fmac_f32 v11, v16, v11
	v_div_scale_f32 v13, s2, s6, v12, s6
	v_dual_mul_f32 v16, v22, v10 :: v_dual_mul_f32 v23, v13, v11
	s_delay_alu instid0(VALU_DEP_1) | instskip(NEXT) | instid1(VALU_DEP_1)
	v_dual_fma_f32 v24, -v8, v16, v22 :: v_dual_fma_f32 v25, -v9, v23, v13
	v_dual_fmac_f32 v16, v24, v10 :: v_dual_fmac_f32 v23, v25, v11
	s_delay_alu instid0(VALU_DEP_1) | instskip(NEXT) | instid1(VALU_DEP_1)
	v_dual_fma_f32 v8, -v8, v16, v22 :: v_dual_fma_f32 v9, -v9, v23, v13
	v_div_fmas_f32 v8, v8, v10, v16
	s_mov_b32 vcc_lo, s2
	s_delay_alu instid0(VALU_DEP_2) | instskip(NEXT) | instid1(VALU_DEP_2)
	v_div_fmas_f32 v10, v9, v11, v23
	v_div_fixup_f32 v9, v8, v1, s7
	s_delay_alu instid0(VALU_DEP_2)
	v_div_fixup_f32 v8, v10, v12, s6
.LBB248_105:                            ;   in Loop: Header=BB248_4 Depth=1
	s_or_b32 exec_lo, exec_lo, s33
                                        ; implicit-def: $vgpr10_vgpr11
.LBB248_106:                            ;   in Loop: Header=BB248_4 Depth=1
	s_and_not1_saveexec_b32 s2, s3
	s_cbranch_execz .LBB248_108
; %bb.107:                              ;   in Loop: Header=BB248_4 Depth=1
	v_div_scale_f32 v1, null, v11, v11, v10
	v_div_scale_f32 v12, vcc_lo, v10, v11, v10
	v_mov_b64_e32 v[22:23], s[6:7]
	s_delay_alu instid0(VALU_DEP_3) | instskip(SKIP_1) | instid1(TRANS32_DEP_1)
	v_rcp_f32_e32 v8, v1
	v_nop
	v_fma_f32 v9, -v1, v8, 1.0
	s_delay_alu instid0(VALU_DEP_1) | instskip(NEXT) | instid1(VALU_DEP_1)
	v_fmac_f32_e32 v8, v9, v8
	v_mul_f32_e32 v9, v12, v8
	s_delay_alu instid0(VALU_DEP_1) | instskip(NEXT) | instid1(VALU_DEP_1)
	v_fma_f32 v13, -v1, v9, v12
	v_fmac_f32_e32 v9, v13, v8
	s_delay_alu instid0(VALU_DEP_1) | instskip(NEXT) | instid1(VALU_DEP_1)
	v_fma_f32 v1, -v1, v9, v12
	v_div_fmas_f32 v1, v1, v8, v9
	s_delay_alu instid0(VALU_DEP_1) | instskip(NEXT) | instid1(VALU_DEP_1)
	v_div_fixup_f32 v8, v1, v11, v10
	v_fmac_f32_e32 v11, v10, v8
	s_delay_alu instid0(VALU_DEP_1) | instskip(SKIP_1) | instid1(VALU_DEP_2)
	v_div_scale_f32 v1, null, v11, v11, 1.0
	v_div_scale_f32 v16, vcc_lo, 1.0, v11, 1.0
	v_rcp_f32_e32 v9, v1
	v_nop
	s_delay_alu instid0(TRANS32_DEP_1) | instskip(NEXT) | instid1(VALU_DEP_1)
	v_fma_f32 v10, -v1, v9, 1.0
	v_fmac_f32_e32 v9, v10, v9
	s_delay_alu instid0(VALU_DEP_1) | instskip(NEXT) | instid1(VALU_DEP_1)
	v_mul_f32_e32 v10, v16, v9
	v_fma_f32 v12, -v1, v10, v16
	s_delay_alu instid0(VALU_DEP_1) | instskip(SKIP_1) | instid1(VALU_DEP_2)
	v_fmac_f32_e32 v10, v12, v9
	v_mov_b64_e32 v[12:13], s[20:21]
	v_fma_f32 v1, -v1, v10, v16
	s_delay_alu instid0(VALU_DEP_2) | instskip(NEXT) | instid1(VALU_DEP_2)
	v_pk_fma_f32 v[24:25], v[8:9], v[22:23], v[12:13] op_sel_hi:[0,1,1] neg_lo:[0,0,1] neg_hi:[0,0,1]
	v_div_fmas_f32 v1, v1, v9, v10
	v_pk_fma_f32 v[8:9], v[8:9], v[22:23], v[12:13]
	s_delay_alu instid0(VALU_DEP_3) | instskip(NEXT) | instid1(VALU_DEP_3)
	v_mov_b32_e32 v9, v25
	v_div_fixup_f32 v10, v1, v11, 1.0
	s_delay_alu instid0(VALU_DEP_1)
	v_pk_mul_f32 v[8:9], v[8:9], v[10:11] op_sel_hi:[1,0]
.LBB248_108:                            ;   in Loop: Header=BB248_4 Depth=1
	s_or_b32 exec_lo, exec_lo, s2
	s_wait_loadcnt 0x0
	v_and_b32_e32 v1, 0x7fffffff, v3
	v_xor_b32_e32 v11, 0x80000000, v3
	s_mov_b32 s2, exec_lo
	s_delay_alu instid0(VALU_DEP_2)
	v_cmpx_ne_u32_e32 0, v1
	s_xor_b32 s33, exec_lo, s2
	s_cbranch_execz .LBB248_150
; %bb.109:                              ;   in Loop: Header=BB248_4 Depth=1
	v_and_b32_e32 v13, 0x7fffffff, v2
	s_mov_b32 s2, exec_lo
	s_delay_alu instid0(VALU_DEP_1)
	v_cmpx_ne_u32_e32 0, v13
	s_xor_b32 s34, exec_lo, s2
	s_cbranch_execz .LBB248_139
; %bb.110:                              ;   in Loop: Header=BB248_4 Depth=1
	v_xor_b32_e32 v12, 0x80000000, v2
	s_mov_b32 s2, exec_lo
	v_cmpx_gt_u32_e32 0x7f800000, v1
	s_xor_b32 s35, exec_lo, s2
	s_cbranch_execz .LBB248_132
; %bb.111:                              ;   in Loop: Header=BB248_4 Depth=1
	v_add_nc_u32_e32 v10, 0xbd4e8de8, v12
	s_mov_b32 s2, exec_lo
	s_delay_alu instid0(VALU_DEP_1)
	v_cmpx_lt_u32_e32 0x8e8e5c, v10
	s_xor_b32 s36, exec_lo, s2
	s_cbranch_execz .LBB248_121
; %bb.112:                              ;   in Loop: Header=BB248_4 Depth=1
	v_cmp_ngt_f32_e64 s37, 0x48000000, |v3|
                                        ; implicit-def: $vgpr12
                                        ; implicit-def: $vgpr10
	s_and_saveexec_b32 s2, s37
	s_delay_alu instid0(SALU_CYCLE_1)
	s_xor_b32 s38, exec_lo, s2
	s_cbranch_execz .LBB248_114
; %bb.113:                              ;   in Loop: Header=BB248_4 Depth=1
	v_and_or_b32 v16, v1, s27, 0x800000
	v_dual_mov_b32 v31, v17 :: v_dual_lshrrev_b32 v10, 23, v1
	v_mov_b32_e32 v33, v17
	s_delay_alu instid0(VALU_DEP_3) | instskip(NEXT) | instid1(VALU_DEP_1)
	v_mul_u64_e32 v[12:13], s[22:23], v[16:17]
	v_dual_mov_b32 v23, v17 :: v_dual_mov_b32 v22, v13
	s_delay_alu instid0(VALU_DEP_1) | instskip(NEXT) | instid1(VALU_DEP_1)
	v_mad_nc_u64_u32 v[22:23], 0x3c439041, v16, v[22:23]
	v_dual_mov_b32 v25, v17 :: v_dual_mov_b32 v24, v23
	s_delay_alu instid0(VALU_DEP_1) | instskip(NEXT) | instid1(VALU_DEP_1)
	v_mad_nc_u64_u32 v[24:25], 0xdb629599, v16, v[24:25]
	;; [unrolled: 3-line block ×4, first 2 shown]
	v_mov_b32_e32 v30, v29
	s_delay_alu instid0(VALU_DEP_1) | instskip(NEXT) | instid1(VALU_DEP_1)
	v_mad_nc_u64_u32 v[30:31], 0x4e441529, v16, v[30:31]
	v_mov_b32_e32 v32, v31
	s_delay_alu instid0(VALU_DEP_1) | instskip(SKIP_1) | instid1(VALU_DEP_1)
	v_mad_nc_u64_u32 v[32:33], 0xa2f9836e, v16, v[32:33]
	v_add_nc_u32_e32 v10, 0xffffff88, v10
	v_cmp_lt_u32_e32 vcc_lo, 63, v10
	v_cndmask_b32_e64 v13, 0, 0xffffffc0, vcc_lo
	s_delay_alu instid0(VALU_DEP_4) | instskip(NEXT) | instid1(VALU_DEP_2)
	v_cndmask_b32_e32 v23, v32, v28, vcc_lo
	v_dual_cndmask_b32 v27, v28, v24 :: v_dual_add_nc_u32 v10, v13, v10
	s_delay_alu instid0(VALU_DEP_1) | instskip(SKIP_2) | instid1(VALU_DEP_3)
	v_cmp_lt_u32_e64 s2, 31, v10
	v_cndmask_b32_e32 v25, v33, v30, vcc_lo
	v_cndmask_b32_e32 v16, v30, v26, vcc_lo
	v_cndmask_b32_e64 v13, 0, 0xffffffe0, s2
	s_delay_alu instid0(VALU_DEP_1) | instskip(NEXT) | instid1(VALU_DEP_1)
	v_add_nc_u32_e32 v10, v13, v10
	v_cmp_lt_u32_e64 s3, 31, v10
	s_delay_alu instid0(VALU_DEP_1) | instskip(NEXT) | instid1(VALU_DEP_1)
	v_cndmask_b32_e64 v13, 0, 0xffffffe0, s3
	v_add_nc_u32_e32 v10, v13, v10
	v_dual_cndmask_b32 v13, v26, v22, vcc_lo :: v_dual_cndmask_b32 v22, v23, v16, s2
	v_cndmask_b32_e64 v23, v25, v23, s2
	s_delay_alu instid0(VALU_DEP_1) | instskip(NEXT) | instid1(VALU_DEP_3)
	v_dual_cndmask_b32 v16, v16, v27, s2 :: v_dual_cndmask_b32 v23, v23, v22, s3
	v_dual_sub_nc_u32 v25, 32, v10 :: v_dual_cndmask_b32 v26, v27, v13, s2
	s_delay_alu instid0(VALU_DEP_1) | instskip(NEXT) | instid1(VALU_DEP_1)
	v_dual_cndmask_b32 v22, v22, v16, s3 :: v_dual_cndmask_b32 v16, v16, v26, s3
	v_alignbit_b32 v27, v23, v22, v25
	v_cndmask_b32_e32 v12, v24, v12, vcc_lo
	v_cmp_eq_u32_e32 vcc_lo, 0, v10
	s_delay_alu instid0(VALU_DEP_4) | instskip(NEXT) | instid1(VALU_DEP_3)
	v_alignbit_b32 v24, v22, v16, v25
	v_dual_cndmask_b32 v10, v27, v23, vcc_lo :: v_dual_cndmask_b32 v12, v13, v12, s2
	s_delay_alu instid0(VALU_DEP_2) | instskip(NEXT) | instid1(VALU_DEP_2)
	v_cndmask_b32_e32 v13, v24, v22, vcc_lo
	v_bfe_u32 v22, v10, 29, 1
	s_delay_alu instid0(VALU_DEP_3) | instskip(NEXT) | instid1(VALU_DEP_3)
	v_cndmask_b32_e64 v12, v26, v12, s3
	v_alignbit_b32 v23, v10, v13, 30
	s_delay_alu instid0(VALU_DEP_3) | instskip(NEXT) | instid1(VALU_DEP_3)
	v_sub_nc_u32_e32 v24, 0, v22
	v_alignbit_b32 v25, v16, v12, v25
	s_delay_alu instid0(VALU_DEP_2) | instskip(NEXT) | instid1(VALU_DEP_2)
	v_xor_b32_e32 v23, v23, v24
	v_cndmask_b32_e32 v16, v25, v16, vcc_lo
	s_delay_alu instid0(VALU_DEP_2) | instskip(NEXT) | instid1(VALU_DEP_2)
	v_clz_i32_u32_e32 v25, v23
	v_alignbit_b32 v13, v13, v16, 30
	v_alignbit_b32 v12, v16, v12, 30
	s_delay_alu instid0(VALU_DEP_3) | instskip(NEXT) | instid1(VALU_DEP_3)
	v_min_u32_e32 v25, 32, v25
	v_xor_b32_e32 v13, v13, v24
	s_delay_alu instid0(VALU_DEP_3) | instskip(NEXT) | instid1(VALU_DEP_3)
	v_dual_lshrrev_b32 v24, 29, v10 :: v_dual_bitop2_b32 v12, v12, v24 bitop3:0x14
	v_dual_sub_nc_u32 v16, 31, v25 :: v_dual_lshlrev_b32 v26, 23, v25
	s_delay_alu instid0(VALU_DEP_1) | instskip(NEXT) | instid1(VALU_DEP_3)
	v_alignbit_b32 v23, v23, v13, v16
	v_alignbit_b32 v12, v13, v12, v16
	s_delay_alu instid0(VALU_DEP_4) | instskip(NEXT) | instid1(VALU_DEP_2)
	v_lshlrev_b32_e32 v13, 31, v24
	v_alignbit_b32 v16, v23, v12, 9
	s_delay_alu instid0(VALU_DEP_2) | instskip(SKIP_1) | instid1(VALU_DEP_3)
	v_dual_lshrrev_b32 v23, 9, v23 :: v_dual_bitop2_b32 v24, 0.5, v13 bitop3:0x54
	v_or_b32_e32 v13, 0x33000000, v13
	v_clz_i32_u32_e32 v27, v16
	s_delay_alu instid0(VALU_DEP_3) | instskip(NEXT) | instid1(VALU_DEP_2)
	v_sub_nc_u32_e32 v24, v24, v26
	v_min_u32_e32 v26, 32, v27
	s_delay_alu instid0(VALU_DEP_1) | instskip(NEXT) | instid1(VALU_DEP_3)
	v_add_lshl_u32 v25, v26, v25, 23
	v_or_b32_e32 v23, v23, v24
	v_not_b32_e32 v24, v26
	s_delay_alu instid0(VALU_DEP_3) | instskip(NEXT) | instid1(VALU_DEP_3)
	v_sub_nc_u32_e32 v13, v13, v25
	v_mul_f32_e32 v27, 0x3fc90fda, v23
	s_delay_alu instid0(VALU_DEP_3) | instskip(NEXT) | instid1(VALU_DEP_2)
	v_alignbit_b32 v12, v16, v12, v24
	v_fma_f32 v16, 0x3fc90fda, v23, -v27
	s_delay_alu instid0(VALU_DEP_2) | instskip(NEXT) | instid1(VALU_DEP_2)
	v_lshrrev_b32_e32 v12, 9, v12
	v_fmac_f32_e32 v16, 0x33a22168, v23
	s_delay_alu instid0(VALU_DEP_2) | instskip(NEXT) | instid1(VALU_DEP_1)
	v_or_b32_e32 v12, v13, v12
	v_fmac_f32_e32 v16, 0x3fc90fda, v12
	s_delay_alu instid0(VALU_DEP_1) | instskip(NEXT) | instid1(VALU_DEP_1)
	v_dual_lshrrev_b32 v12, 30, v10 :: v_dual_add_f32 v10, v27, v16
	v_add_nc_u32_e32 v12, v22, v12
	s_and_not1_saveexec_b32 s2, s38
	s_branch .LBB248_115
.LBB248_114:                            ;   in Loop: Header=BB248_4 Depth=1
	s_and_not1_saveexec_b32 s2, s38
.LBB248_115:                            ;   in Loop: Header=BB248_4 Depth=1
	v_mul_f32_e64 v10, 0x3f22f983, |v3|
	s_delay_alu instid0(VALU_DEP_1) | instskip(NEXT) | instid1(VALU_DEP_1)
	v_rndne_f32_e32 v12, v10
	v_fma_f32 v10, 0xbfc90fda, v12, |v3|
	s_delay_alu instid0(VALU_DEP_1) | instskip(NEXT) | instid1(VALU_DEP_1)
	v_fmac_f32_e32 v10, 0xb3a22168, v12
	v_fmac_f32_e32 v10, 0xa7c234c4, v12
	v_cvt_i32_f32_e32 v12, v12
; %bb.116:                              ;   in Loop: Header=BB248_4 Depth=1
	s_or_b32 exec_lo, exec_lo, s2
                                        ; implicit-def: $vgpr16
                                        ; implicit-def: $vgpr13
	s_and_saveexec_b32 s2, s37
	s_delay_alu instid0(SALU_CYCLE_1)
	s_xor_b32 s37, exec_lo, s2
	s_cbranch_execz .LBB248_118
; %bb.117:                              ;   in Loop: Header=BB248_4 Depth=1
	v_and_or_b32 v16, v1, s27, 0x800000
	v_dual_lshrrev_b32 v13, 23, v1 :: v_dual_mov_b32 v33, v17
	v_mov_b32_e32 v35, v17
	s_delay_alu instid0(VALU_DEP_3) | instskip(SKIP_1) | instid1(VALU_DEP_4)
	v_mul_u64_e32 v[22:23], s[22:23], v[16:17]
	v_mov_b32_e32 v25, v17
	v_add_nc_u32_e32 v13, 0xffffff88, v13
	s_delay_alu instid0(VALU_DEP_1) | instskip(NEXT) | instid1(VALU_DEP_4)
	v_cmp_lt_u32_e32 vcc_lo, 63, v13
	v_mov_b32_e32 v24, v23
	v_cndmask_b32_e64 v23, 0, 0xffffffc0, vcc_lo
	s_delay_alu instid0(VALU_DEP_2) | instskip(NEXT) | instid1(VALU_DEP_2)
	v_mad_nc_u64_u32 v[24:25], 0x3c439041, v16, v[24:25]
	v_dual_mov_b32 v27, v17 :: v_dual_add_nc_u32 v13, v23, v13
	s_delay_alu instid0(VALU_DEP_1) | instskip(NEXT) | instid1(VALU_DEP_3)
	v_cmp_lt_u32_e64 s2, 31, v13
	v_mov_b32_e32 v26, v25
	s_delay_alu instid0(VALU_DEP_2) | instskip(NEXT) | instid1(VALU_DEP_2)
	v_cndmask_b32_e64 v23, 0, 0xffffffe0, s2
	v_mad_nc_u64_u32 v[26:27], 0xdb629599, v16, v[26:27]
	s_delay_alu instid0(VALU_DEP_2) | instskip(NEXT) | instid1(VALU_DEP_1)
	v_dual_mov_b32 v29, v17 :: v_dual_add_nc_u32 v13, v23, v13
	v_cmp_lt_u32_e64 s3, 31, v13
	s_delay_alu instid0(VALU_DEP_3) | instskip(NEXT) | instid1(VALU_DEP_1)
	v_mov_b32_e32 v28, v27
	v_mad_nc_u64_u32 v[28:29], 0xf534ddc0, v16, v[28:29]
	s_delay_alu instid0(VALU_DEP_1) | instskip(NEXT) | instid1(VALU_DEP_1)
	v_dual_mov_b32 v31, v17 :: v_dual_mov_b32 v30, v29
	v_mad_nc_u64_u32 v[30:31], 0xfc2757d1, v16, v[30:31]
	s_delay_alu instid0(VALU_DEP_1) | instskip(NEXT) | instid1(VALU_DEP_1)
	v_dual_mov_b32 v32, v31 :: v_dual_cndmask_b32 v29, v30, v26
	v_mad_nc_u64_u32 v[32:33], 0x4e441529, v16, v[32:33]
	s_delay_alu instid0(VALU_DEP_1) | instskip(NEXT) | instid1(VALU_DEP_1)
	v_mov_b32_e32 v34, v33
	v_mad_nc_u64_u32 v[34:35], 0xa2f9836e, v16, v[34:35]
	v_cndmask_b32_e64 v16, 0, 0xffffffe0, s3
	s_delay_alu instid0(VALU_DEP_2) | instskip(NEXT) | instid1(VALU_DEP_2)
	v_dual_cndmask_b32 v23, v32, v28, vcc_lo :: v_dual_cndmask_b32 v25, v34, v30, vcc_lo
	v_dual_cndmask_b32 v27, v35, v32, vcc_lo :: v_dual_add_nc_u32 v13, v16, v13
	s_delay_alu instid0(VALU_DEP_2) | instskip(NEXT) | instid1(VALU_DEP_2)
	v_dual_cndmask_b32 v16, v28, v24, vcc_lo :: v_dual_cndmask_b32 v24, v25, v23, s2
	v_cndmask_b32_e64 v25, v27, v25, s2
	s_delay_alu instid0(VALU_DEP_2) | instskip(NEXT) | instid1(VALU_DEP_2)
	v_dual_cndmask_b32 v23, v23, v29, s2 :: v_dual_cndmask_b32 v28, v29, v16, s2
	v_dual_sub_nc_u32 v27, 32, v13 :: v_dual_cndmask_b32 v25, v25, v24, s3
	s_delay_alu instid0(VALU_DEP_2) | instskip(NEXT) | instid1(VALU_DEP_1)
	v_dual_cndmask_b32 v24, v24, v23, s3 :: v_dual_cndmask_b32 v23, v23, v28, s3
	v_alignbit_b32 v29, v25, v24, v27
	v_cndmask_b32_e32 v22, v26, v22, vcc_lo
	v_cmp_eq_u32_e32 vcc_lo, 0, v13
	s_delay_alu instid0(VALU_DEP_4) | instskip(NEXT) | instid1(VALU_DEP_3)
	v_alignbit_b32 v26, v24, v23, v27
	v_dual_cndmask_b32 v13, v29, v25, vcc_lo :: v_dual_cndmask_b32 v16, v16, v22, s2
	s_delay_alu instid0(VALU_DEP_2) | instskip(NEXT) | instid1(VALU_DEP_2)
	v_cndmask_b32_e32 v22, v26, v24, vcc_lo
	v_bfe_u32 v24, v13, 29, 1
	s_delay_alu instid0(VALU_DEP_2) | instskip(NEXT) | instid1(VALU_DEP_2)
	v_alignbit_b32 v25, v13, v22, 30
	v_sub_nc_u32_e32 v26, 0, v24
	s_delay_alu instid0(VALU_DEP_1) | instskip(NEXT) | instid1(VALU_DEP_1)
	v_dual_cndmask_b32 v16, v28, v16, s3 :: v_dual_bitop2_b32 v25, v25, v26 bitop3:0x14
	v_alignbit_b32 v27, v23, v16, v27
	s_delay_alu instid0(VALU_DEP_1) | instskip(NEXT) | instid1(VALU_DEP_3)
	v_cndmask_b32_e32 v23, v27, v23, vcc_lo
	v_clz_i32_u32_e32 v27, v25
	s_delay_alu instid0(VALU_DEP_2) | instskip(NEXT) | instid1(VALU_DEP_2)
	v_alignbit_b32 v22, v22, v23, 30
	v_min_u32_e32 v27, 32, v27
	v_alignbit_b32 v16, v23, v16, 30
	s_delay_alu instid0(VALU_DEP_2) | instskip(NEXT) | instid1(VALU_DEP_2)
	v_dual_sub_nc_u32 v23, 31, v27 :: v_dual_bitop2_b32 v22, v22, v26 bitop3:0x14
	v_dual_lshrrev_b32 v26, 29, v13 :: v_dual_bitop2_b32 v16, v16, v26 bitop3:0x14
	v_lshlrev_b32_e32 v28, 23, v27
	s_delay_alu instid0(VALU_DEP_3) | instskip(NEXT) | instid1(VALU_DEP_3)
	v_alignbit_b32 v25, v25, v22, v23
	v_alignbit_b32 v16, v22, v16, v23
	s_delay_alu instid0(VALU_DEP_4) | instskip(NEXT) | instid1(VALU_DEP_2)
	v_lshlrev_b32_e32 v22, 31, v26
	v_alignbit_b32 v23, v25, v16, 9
	s_delay_alu instid0(VALU_DEP_2) | instskip(SKIP_1) | instid1(VALU_DEP_3)
	v_dual_lshrrev_b32 v25, 9, v25 :: v_dual_bitop2_b32 v26, 0.5, v22 bitop3:0x54
	v_or_b32_e32 v22, 0x33000000, v22
	v_clz_i32_u32_e32 v29, v23
	s_delay_alu instid0(VALU_DEP_3) | instskip(NEXT) | instid1(VALU_DEP_2)
	v_sub_nc_u32_e32 v26, v26, v28
	v_min_u32_e32 v28, 32, v29
	s_delay_alu instid0(VALU_DEP_1) | instskip(NEXT) | instid1(VALU_DEP_3)
	v_add_lshl_u32 v27, v28, v27, 23
	v_or_b32_e32 v25, v25, v26
	v_not_b32_e32 v26, v28
	s_delay_alu instid0(VALU_DEP_2) | instskip(NEXT) | instid1(VALU_DEP_2)
	v_dual_mul_f32 v29, 0x3fc90fda, v25 :: v_dual_sub_nc_u32 v22, v22, v27
	v_alignbit_b32 v16, v23, v16, v26
	s_delay_alu instid0(VALU_DEP_2) | instskip(NEXT) | instid1(VALU_DEP_1)
	v_fma_f32 v23, 0x3fc90fda, v25, -v29
	v_dual_fmac_f32 v23, 0x33a22168, v25 :: v_dual_lshrrev_b32 v16, 9, v16
	s_delay_alu instid0(VALU_DEP_1) | instskip(NEXT) | instid1(VALU_DEP_1)
	v_or_b32_e32 v16, v22, v16
	v_dual_fmac_f32 v23, 0x3fc90fda, v16 :: v_dual_lshrrev_b32 v16, 30, v13
	s_delay_alu instid0(VALU_DEP_1)
	v_dual_add_f32 v13, v29, v23 :: v_dual_add_nc_u32 v16, v24, v16
	s_and_not1_saveexec_b32 s2, s37
	s_cbranch_execnz .LBB248_119
	s_branch .LBB248_120
.LBB248_118:                            ;   in Loop: Header=BB248_4 Depth=1
	s_and_not1_saveexec_b32 s2, s37
.LBB248_119:                            ;   in Loop: Header=BB248_4 Depth=1
	v_mul_f32_e64 v13, 0x3f22f983, |v3|
	s_delay_alu instid0(VALU_DEP_1) | instskip(NEXT) | instid1(VALU_DEP_1)
	v_rndne_f32_e32 v16, v13
	v_fma_f32 v13, 0xbfc90fda, v16, |v3|
	s_delay_alu instid0(VALU_DEP_1) | instskip(NEXT) | instid1(VALU_DEP_1)
	v_fmac_f32_e32 v13, 0xb3a22168, v16
	v_fmac_f32_e32 v13, 0xa7c234c4, v16
	v_cvt_i32_f32_e32 v16, v16
.LBB248_120:                            ;   in Loop: Header=BB248_4 Depth=1
	s_or_b32 exec_lo, exec_lo, s2
	s_delay_alu instid0(VALU_DEP_1) | instskip(SKIP_2) | instid1(VALU_DEP_3)
	v_dual_mul_f32 v22, 0xbfb8aa3b, v2 :: v_dual_mul_f32 v25, v13, v13
	v_dual_mul_f32 v23, v10, v10 :: v_dual_bitop2_b32 v24, 1, v12 bitop3:0x40
	v_cmp_ngt_f32_e64 s2, 0xc2b17218, v2
	v_rndne_f32_e32 v26, v22
	s_delay_alu instid0(VALU_DEP_4) | instskip(NEXT) | instid1(VALU_DEP_4)
	v_fmaak_f32 v30, s28, v25, 0x3c0881c4
	v_fmaak_f32 v29, s29, v23, 0xbab64f3b
	v_fma_f32 v27, 0xbfb8aa3b, v2, -v22
	v_cmp_eq_u32_e32 vcc_lo, 0, v24
	v_sub_f32_e32 v22, v22, v26
	v_fmaak_f32 v30, v25, v30, 0xbe2aaa9d
	v_fmaak_f32 v29, v23, v29, 0x3d2aabf7
	v_cvt_i32_f32_e32 v26, v26
	s_delay_alu instid0(VALU_DEP_3) | instskip(SKIP_1) | instid1(VALU_DEP_4)
	v_dual_lshlrev_b32 v12, 30, v12 :: v_dual_mul_f32 v30, v25, v30
	v_fmaak_f32 v28, s28, v23, 0x3c0881c4
	v_fmaak_f32 v29, v23, v29, 0xbf000004
	s_delay_alu instid0(VALU_DEP_2) | instskip(NEXT) | instid1(VALU_DEP_1)
	v_dual_fmac_f32 v13, v13, v30 :: v_dual_fmaak_f32 v28, v23, v28, 0xbe2aaa9d
	v_dual_fmac_f32 v27, 0xb2a5705f, v2 :: v_dual_mul_f32 v28, v23, v28
	s_delay_alu instid0(VALU_DEP_1) | instskip(NEXT) | instid1(VALU_DEP_1)
	v_dual_fmaak_f32 v31, s29, v25, 0xbab64f3b :: v_dual_add_f32 v22, v22, v27
	v_dual_fmac_f32 v10, v10, v28 :: v_dual_fmaak_f32 v27, v25, v31, 0x3d2aabf7
	s_delay_alu instid0(VALU_DEP_2) | instskip(NEXT) | instid1(VALU_DEP_1)
	v_exp_f32_e32 v22, v22
	v_fmaak_f32 v27, v25, v27, 0xbf000004
	s_delay_alu instid0(TRANS32_DEP_1) | instskip(SKIP_2) | instid1(VALU_DEP_4)
	v_ldexp_f32 v22, v22, v26
	v_dual_lshlrev_b32 v16, 30, v16 :: v_dual_bitop2_b32 v26, 1, v16 bitop3:0x40
	v_fma_f32 v23, v23, v29, 1.0
	v_fma_f32 v25, v25, v27, 1.0
	s_delay_alu instid0(VALU_DEP_3) | instskip(NEXT) | instid1(VALU_DEP_3)
	v_and_or_b32 v1, 0x80000000, v16, v1
	v_cndmask_b32_e64 v10, -v10, v23, vcc_lo
	v_cmp_eq_u32_e32 vcc_lo, 0, v26
	s_delay_alu instid0(VALU_DEP_2) | instskip(SKIP_2) | instid1(VALU_DEP_2)
	v_bitop3_b32 v10, v12, v10, 0x80000000 bitop3:0x6c
	v_cndmask_b32_e32 v13, v25, v13, vcc_lo
	v_cmp_nlt_f32_e32 vcc_lo, 0x42ce8ed0, v2
	v_xor3_b32 v1, v1, v13, v11
	v_cndmask_b32_e32 v16, 0, v22, vcc_lo
	v_cmp_class_f32_e64 vcc_lo, v3, 0x1f8
	s_delay_alu instid0(VALU_DEP_2) | instskip(SKIP_1) | instid1(VALU_DEP_1)
	v_cndmask_b32_e64 v11, 0x7f800000, v16, s2
	v_cndmask_b32_e32 v10, 0x7fc00000, v10, vcc_lo
	v_dual_cndmask_b32 v1, 0x7fc00000, v1 :: v_dual_mul_f32 v10, v11, v10
	s_delay_alu instid0(VALU_DEP_1)
	v_mul_f32_e32 v11, v11, v1
                                        ; implicit-def: $vgpr1
.LBB248_121:                            ;   in Loop: Header=BB248_4 Depth=1
	s_and_not1_saveexec_b32 s36, s36
	s_cbranch_execz .LBB248_131
; %bb.122:                              ;   in Loop: Header=BB248_4 Depth=1
	v_cmp_ngt_f32_e64 s37, 0x48000000, |v3|
                                        ; implicit-def: $vgpr12
                                        ; implicit-def: $vgpr10
	s_and_saveexec_b32 s2, s37
	s_delay_alu instid0(SALU_CYCLE_1)
	s_xor_b32 s38, exec_lo, s2
	s_cbranch_execz .LBB248_124
; %bb.123:                              ;   in Loop: Header=BB248_4 Depth=1
	v_and_or_b32 v16, v1, s27, 0x800000
	v_dual_mov_b32 v31, v17 :: v_dual_lshrrev_b32 v10, 23, v1
	v_mov_b32_e32 v33, v17
	s_delay_alu instid0(VALU_DEP_3) | instskip(NEXT) | instid1(VALU_DEP_1)
	v_mul_u64_e32 v[12:13], s[22:23], v[16:17]
	v_dual_mov_b32 v23, v17 :: v_dual_mov_b32 v22, v13
	s_delay_alu instid0(VALU_DEP_1) | instskip(NEXT) | instid1(VALU_DEP_1)
	v_mad_nc_u64_u32 v[22:23], 0x3c439041, v16, v[22:23]
	v_dual_mov_b32 v25, v17 :: v_dual_mov_b32 v24, v23
	s_delay_alu instid0(VALU_DEP_1) | instskip(NEXT) | instid1(VALU_DEP_1)
	v_mad_nc_u64_u32 v[24:25], 0xdb629599, v16, v[24:25]
	;; [unrolled: 3-line block ×4, first 2 shown]
	v_mov_b32_e32 v30, v29
	s_delay_alu instid0(VALU_DEP_1) | instskip(NEXT) | instid1(VALU_DEP_1)
	v_mad_nc_u64_u32 v[30:31], 0x4e441529, v16, v[30:31]
	v_mov_b32_e32 v32, v31
	s_delay_alu instid0(VALU_DEP_1) | instskip(SKIP_1) | instid1(VALU_DEP_1)
	v_mad_nc_u64_u32 v[32:33], 0xa2f9836e, v16, v[32:33]
	v_add_nc_u32_e32 v10, 0xffffff88, v10
	v_cmp_lt_u32_e32 vcc_lo, 63, v10
	v_cndmask_b32_e64 v13, 0, 0xffffffc0, vcc_lo
	s_delay_alu instid0(VALU_DEP_4) | instskip(NEXT) | instid1(VALU_DEP_2)
	v_cndmask_b32_e32 v23, v32, v28, vcc_lo
	v_dual_cndmask_b32 v27, v28, v24 :: v_dual_add_nc_u32 v10, v13, v10
	s_delay_alu instid0(VALU_DEP_1) | instskip(SKIP_2) | instid1(VALU_DEP_3)
	v_cmp_lt_u32_e64 s2, 31, v10
	v_cndmask_b32_e32 v25, v33, v30, vcc_lo
	v_cndmask_b32_e32 v16, v30, v26, vcc_lo
	v_cndmask_b32_e64 v13, 0, 0xffffffe0, s2
	s_delay_alu instid0(VALU_DEP_1) | instskip(NEXT) | instid1(VALU_DEP_1)
	v_add_nc_u32_e32 v10, v13, v10
	v_cmp_lt_u32_e64 s3, 31, v10
	s_delay_alu instid0(VALU_DEP_1) | instskip(NEXT) | instid1(VALU_DEP_1)
	v_cndmask_b32_e64 v13, 0, 0xffffffe0, s3
	v_add_nc_u32_e32 v10, v13, v10
	v_dual_cndmask_b32 v13, v26, v22, vcc_lo :: v_dual_cndmask_b32 v22, v23, v16, s2
	v_cndmask_b32_e64 v23, v25, v23, s2
	s_delay_alu instid0(VALU_DEP_1) | instskip(NEXT) | instid1(VALU_DEP_3)
	v_dual_cndmask_b32 v16, v16, v27, s2 :: v_dual_cndmask_b32 v23, v23, v22, s3
	v_dual_sub_nc_u32 v25, 32, v10 :: v_dual_cndmask_b32 v26, v27, v13, s2
	s_delay_alu instid0(VALU_DEP_1) | instskip(NEXT) | instid1(VALU_DEP_1)
	v_dual_cndmask_b32 v22, v22, v16, s3 :: v_dual_cndmask_b32 v16, v16, v26, s3
	v_alignbit_b32 v27, v23, v22, v25
	v_cndmask_b32_e32 v12, v24, v12, vcc_lo
	v_cmp_eq_u32_e32 vcc_lo, 0, v10
	s_delay_alu instid0(VALU_DEP_4) | instskip(NEXT) | instid1(VALU_DEP_3)
	v_alignbit_b32 v24, v22, v16, v25
	v_dual_cndmask_b32 v10, v27, v23, vcc_lo :: v_dual_cndmask_b32 v12, v13, v12, s2
	s_delay_alu instid0(VALU_DEP_2) | instskip(NEXT) | instid1(VALU_DEP_2)
	v_cndmask_b32_e32 v13, v24, v22, vcc_lo
	v_bfe_u32 v22, v10, 29, 1
	s_delay_alu instid0(VALU_DEP_3) | instskip(NEXT) | instid1(VALU_DEP_3)
	v_cndmask_b32_e64 v12, v26, v12, s3
	v_alignbit_b32 v23, v10, v13, 30
	s_delay_alu instid0(VALU_DEP_3) | instskip(NEXT) | instid1(VALU_DEP_3)
	v_sub_nc_u32_e32 v24, 0, v22
	v_alignbit_b32 v25, v16, v12, v25
	s_delay_alu instid0(VALU_DEP_2) | instskip(NEXT) | instid1(VALU_DEP_2)
	v_xor_b32_e32 v23, v23, v24
	v_cndmask_b32_e32 v16, v25, v16, vcc_lo
	s_delay_alu instid0(VALU_DEP_2) | instskip(NEXT) | instid1(VALU_DEP_2)
	v_clz_i32_u32_e32 v25, v23
	v_alignbit_b32 v13, v13, v16, 30
	v_alignbit_b32 v12, v16, v12, 30
	s_delay_alu instid0(VALU_DEP_3) | instskip(NEXT) | instid1(VALU_DEP_3)
	v_min_u32_e32 v25, 32, v25
	v_xor_b32_e32 v13, v13, v24
	s_delay_alu instid0(VALU_DEP_3) | instskip(NEXT) | instid1(VALU_DEP_3)
	v_dual_lshrrev_b32 v24, 29, v10 :: v_dual_bitop2_b32 v12, v12, v24 bitop3:0x14
	v_dual_sub_nc_u32 v16, 31, v25 :: v_dual_lshlrev_b32 v26, 23, v25
	s_delay_alu instid0(VALU_DEP_1) | instskip(NEXT) | instid1(VALU_DEP_3)
	v_alignbit_b32 v23, v23, v13, v16
	v_alignbit_b32 v12, v13, v12, v16
	s_delay_alu instid0(VALU_DEP_4) | instskip(NEXT) | instid1(VALU_DEP_2)
	v_lshlrev_b32_e32 v13, 31, v24
	v_alignbit_b32 v16, v23, v12, 9
	s_delay_alu instid0(VALU_DEP_2) | instskip(SKIP_1) | instid1(VALU_DEP_3)
	v_dual_lshrrev_b32 v23, 9, v23 :: v_dual_bitop2_b32 v24, 0.5, v13 bitop3:0x54
	v_or_b32_e32 v13, 0x33000000, v13
	v_clz_i32_u32_e32 v27, v16
	s_delay_alu instid0(VALU_DEP_3) | instskip(NEXT) | instid1(VALU_DEP_2)
	v_sub_nc_u32_e32 v24, v24, v26
	v_min_u32_e32 v26, 32, v27
	s_delay_alu instid0(VALU_DEP_1) | instskip(NEXT) | instid1(VALU_DEP_3)
	v_add_lshl_u32 v25, v26, v25, 23
	v_or_b32_e32 v23, v23, v24
	v_not_b32_e32 v24, v26
	s_delay_alu instid0(VALU_DEP_3) | instskip(NEXT) | instid1(VALU_DEP_3)
	v_sub_nc_u32_e32 v13, v13, v25
	v_mul_f32_e32 v27, 0x3fc90fda, v23
	s_delay_alu instid0(VALU_DEP_3) | instskip(NEXT) | instid1(VALU_DEP_2)
	v_alignbit_b32 v12, v16, v12, v24
	v_fma_f32 v16, 0x3fc90fda, v23, -v27
	s_delay_alu instid0(VALU_DEP_2) | instskip(NEXT) | instid1(VALU_DEP_2)
	v_lshrrev_b32_e32 v12, 9, v12
	v_fmac_f32_e32 v16, 0x33a22168, v23
	s_delay_alu instid0(VALU_DEP_2) | instskip(NEXT) | instid1(VALU_DEP_1)
	v_or_b32_e32 v12, v13, v12
	v_fmac_f32_e32 v16, 0x3fc90fda, v12
	s_delay_alu instid0(VALU_DEP_1) | instskip(NEXT) | instid1(VALU_DEP_1)
	v_dual_lshrrev_b32 v12, 30, v10 :: v_dual_add_f32 v10, v27, v16
	v_add_nc_u32_e32 v12, v22, v12
	s_and_not1_saveexec_b32 s2, s38
	s_branch .LBB248_125
.LBB248_124:                            ;   in Loop: Header=BB248_4 Depth=1
	s_and_not1_saveexec_b32 s2, s38
.LBB248_125:                            ;   in Loop: Header=BB248_4 Depth=1
	v_mul_f32_e64 v10, 0x3f22f983, |v3|
	s_delay_alu instid0(VALU_DEP_1) | instskip(NEXT) | instid1(VALU_DEP_1)
	v_rndne_f32_e32 v12, v10
	v_fma_f32 v10, 0xbfc90fda, v12, |v3|
	s_delay_alu instid0(VALU_DEP_1) | instskip(NEXT) | instid1(VALU_DEP_1)
	v_fmac_f32_e32 v10, 0xb3a22168, v12
	v_fmac_f32_e32 v10, 0xa7c234c4, v12
	v_cvt_i32_f32_e32 v12, v12
; %bb.126:                              ;   in Loop: Header=BB248_4 Depth=1
	s_or_b32 exec_lo, exec_lo, s2
                                        ; implicit-def: $vgpr16
                                        ; implicit-def: $vgpr13
	s_and_saveexec_b32 s2, s37
	s_delay_alu instid0(SALU_CYCLE_1)
	s_xor_b32 s37, exec_lo, s2
	s_cbranch_execz .LBB248_128
; %bb.127:                              ;   in Loop: Header=BB248_4 Depth=1
	v_and_or_b32 v16, v1, s27, 0x800000
	v_dual_lshrrev_b32 v13, 23, v1 :: v_dual_mov_b32 v33, v17
	v_mov_b32_e32 v35, v17
	s_delay_alu instid0(VALU_DEP_3) | instskip(SKIP_1) | instid1(VALU_DEP_4)
	v_mul_u64_e32 v[22:23], s[22:23], v[16:17]
	v_mov_b32_e32 v25, v17
	v_add_nc_u32_e32 v13, 0xffffff88, v13
	s_delay_alu instid0(VALU_DEP_1) | instskip(NEXT) | instid1(VALU_DEP_4)
	v_cmp_lt_u32_e32 vcc_lo, 63, v13
	v_mov_b32_e32 v24, v23
	v_cndmask_b32_e64 v23, 0, 0xffffffc0, vcc_lo
	s_delay_alu instid0(VALU_DEP_2) | instskip(NEXT) | instid1(VALU_DEP_2)
	v_mad_nc_u64_u32 v[24:25], 0x3c439041, v16, v[24:25]
	v_dual_mov_b32 v27, v17 :: v_dual_add_nc_u32 v13, v23, v13
	s_delay_alu instid0(VALU_DEP_1) | instskip(NEXT) | instid1(VALU_DEP_3)
	v_cmp_lt_u32_e64 s2, 31, v13
	v_mov_b32_e32 v26, v25
	s_delay_alu instid0(VALU_DEP_2) | instskip(NEXT) | instid1(VALU_DEP_2)
	v_cndmask_b32_e64 v23, 0, 0xffffffe0, s2
	v_mad_nc_u64_u32 v[26:27], 0xdb629599, v16, v[26:27]
	s_delay_alu instid0(VALU_DEP_2) | instskip(NEXT) | instid1(VALU_DEP_1)
	v_dual_mov_b32 v29, v17 :: v_dual_add_nc_u32 v13, v23, v13
	v_cmp_lt_u32_e64 s3, 31, v13
	s_delay_alu instid0(VALU_DEP_3) | instskip(NEXT) | instid1(VALU_DEP_1)
	v_mov_b32_e32 v28, v27
	v_mad_nc_u64_u32 v[28:29], 0xf534ddc0, v16, v[28:29]
	s_delay_alu instid0(VALU_DEP_1) | instskip(NEXT) | instid1(VALU_DEP_1)
	v_dual_mov_b32 v31, v17 :: v_dual_mov_b32 v30, v29
	v_mad_nc_u64_u32 v[30:31], 0xfc2757d1, v16, v[30:31]
	s_delay_alu instid0(VALU_DEP_1) | instskip(NEXT) | instid1(VALU_DEP_1)
	v_dual_mov_b32 v32, v31 :: v_dual_cndmask_b32 v29, v30, v26
	v_mad_nc_u64_u32 v[32:33], 0x4e441529, v16, v[32:33]
	s_delay_alu instid0(VALU_DEP_1) | instskip(NEXT) | instid1(VALU_DEP_1)
	v_mov_b32_e32 v34, v33
	v_mad_nc_u64_u32 v[34:35], 0xa2f9836e, v16, v[34:35]
	v_cndmask_b32_e64 v16, 0, 0xffffffe0, s3
	s_delay_alu instid0(VALU_DEP_2) | instskip(NEXT) | instid1(VALU_DEP_2)
	v_dual_cndmask_b32 v23, v32, v28, vcc_lo :: v_dual_cndmask_b32 v25, v34, v30, vcc_lo
	v_dual_cndmask_b32 v27, v35, v32, vcc_lo :: v_dual_add_nc_u32 v13, v16, v13
	s_delay_alu instid0(VALU_DEP_2) | instskip(NEXT) | instid1(VALU_DEP_2)
	v_dual_cndmask_b32 v16, v28, v24, vcc_lo :: v_dual_cndmask_b32 v24, v25, v23, s2
	v_cndmask_b32_e64 v25, v27, v25, s2
	s_delay_alu instid0(VALU_DEP_2) | instskip(NEXT) | instid1(VALU_DEP_2)
	v_dual_cndmask_b32 v23, v23, v29, s2 :: v_dual_cndmask_b32 v28, v29, v16, s2
	v_dual_sub_nc_u32 v27, 32, v13 :: v_dual_cndmask_b32 v25, v25, v24, s3
	s_delay_alu instid0(VALU_DEP_2) | instskip(NEXT) | instid1(VALU_DEP_1)
	v_dual_cndmask_b32 v24, v24, v23, s3 :: v_dual_cndmask_b32 v23, v23, v28, s3
	v_alignbit_b32 v29, v25, v24, v27
	v_cndmask_b32_e32 v22, v26, v22, vcc_lo
	v_cmp_eq_u32_e32 vcc_lo, 0, v13
	s_delay_alu instid0(VALU_DEP_4) | instskip(NEXT) | instid1(VALU_DEP_3)
	v_alignbit_b32 v26, v24, v23, v27
	v_dual_cndmask_b32 v13, v29, v25, vcc_lo :: v_dual_cndmask_b32 v16, v16, v22, s2
	s_delay_alu instid0(VALU_DEP_2) | instskip(NEXT) | instid1(VALU_DEP_2)
	v_cndmask_b32_e32 v22, v26, v24, vcc_lo
	v_bfe_u32 v24, v13, 29, 1
	s_delay_alu instid0(VALU_DEP_2) | instskip(NEXT) | instid1(VALU_DEP_2)
	v_alignbit_b32 v25, v13, v22, 30
	v_sub_nc_u32_e32 v26, 0, v24
	s_delay_alu instid0(VALU_DEP_1) | instskip(NEXT) | instid1(VALU_DEP_1)
	v_dual_cndmask_b32 v16, v28, v16, s3 :: v_dual_bitop2_b32 v25, v25, v26 bitop3:0x14
	v_alignbit_b32 v27, v23, v16, v27
	s_delay_alu instid0(VALU_DEP_1) | instskip(NEXT) | instid1(VALU_DEP_3)
	v_cndmask_b32_e32 v23, v27, v23, vcc_lo
	v_clz_i32_u32_e32 v27, v25
	s_delay_alu instid0(VALU_DEP_2) | instskip(NEXT) | instid1(VALU_DEP_2)
	v_alignbit_b32 v22, v22, v23, 30
	v_min_u32_e32 v27, 32, v27
	v_alignbit_b32 v16, v23, v16, 30
	s_delay_alu instid0(VALU_DEP_2) | instskip(NEXT) | instid1(VALU_DEP_2)
	v_dual_sub_nc_u32 v23, 31, v27 :: v_dual_bitop2_b32 v22, v22, v26 bitop3:0x14
	v_dual_lshrrev_b32 v26, 29, v13 :: v_dual_bitop2_b32 v16, v16, v26 bitop3:0x14
	v_lshlrev_b32_e32 v28, 23, v27
	s_delay_alu instid0(VALU_DEP_3) | instskip(NEXT) | instid1(VALU_DEP_3)
	v_alignbit_b32 v25, v25, v22, v23
	v_alignbit_b32 v16, v22, v16, v23
	s_delay_alu instid0(VALU_DEP_4) | instskip(NEXT) | instid1(VALU_DEP_2)
	v_lshlrev_b32_e32 v22, 31, v26
	v_alignbit_b32 v23, v25, v16, 9
	s_delay_alu instid0(VALU_DEP_2) | instskip(SKIP_1) | instid1(VALU_DEP_3)
	v_dual_lshrrev_b32 v25, 9, v25 :: v_dual_bitop2_b32 v26, 0.5, v22 bitop3:0x54
	v_or_b32_e32 v22, 0x33000000, v22
	v_clz_i32_u32_e32 v29, v23
	s_delay_alu instid0(VALU_DEP_3) | instskip(NEXT) | instid1(VALU_DEP_2)
	v_sub_nc_u32_e32 v26, v26, v28
	v_min_u32_e32 v28, 32, v29
	s_delay_alu instid0(VALU_DEP_1) | instskip(NEXT) | instid1(VALU_DEP_3)
	v_add_lshl_u32 v27, v28, v27, 23
	v_or_b32_e32 v25, v25, v26
	v_not_b32_e32 v26, v28
	s_delay_alu instid0(VALU_DEP_2) | instskip(NEXT) | instid1(VALU_DEP_2)
	v_dual_mul_f32 v29, 0x3fc90fda, v25 :: v_dual_sub_nc_u32 v22, v22, v27
	v_alignbit_b32 v16, v23, v16, v26
	s_delay_alu instid0(VALU_DEP_2) | instskip(NEXT) | instid1(VALU_DEP_1)
	v_fma_f32 v23, 0x3fc90fda, v25, -v29
	v_dual_fmac_f32 v23, 0x33a22168, v25 :: v_dual_lshrrev_b32 v16, 9, v16
	s_delay_alu instid0(VALU_DEP_1) | instskip(NEXT) | instid1(VALU_DEP_1)
	v_or_b32_e32 v16, v22, v16
	v_dual_fmac_f32 v23, 0x3fc90fda, v16 :: v_dual_lshrrev_b32 v16, 30, v13
	s_delay_alu instid0(VALU_DEP_1)
	v_dual_add_f32 v13, v29, v23 :: v_dual_add_nc_u32 v16, v24, v16
	s_and_not1_saveexec_b32 s2, s37
	s_cbranch_execnz .LBB248_129
	s_branch .LBB248_130
.LBB248_128:                            ;   in Loop: Header=BB248_4 Depth=1
	s_and_not1_saveexec_b32 s2, s37
.LBB248_129:                            ;   in Loop: Header=BB248_4 Depth=1
	v_mul_f32_e64 v13, 0x3f22f983, |v3|
	s_delay_alu instid0(VALU_DEP_1) | instskip(NEXT) | instid1(VALU_DEP_1)
	v_rndne_f32_e32 v16, v13
	v_fma_f32 v13, 0xbfc90fda, v16, |v3|
	s_delay_alu instid0(VALU_DEP_1) | instskip(NEXT) | instid1(VALU_DEP_1)
	v_fmac_f32_e32 v13, 0xb3a22168, v16
	v_fmac_f32_e32 v13, 0xa7c234c4, v16
	v_cvt_i32_f32_e32 v16, v16
.LBB248_130:                            ;   in Loop: Header=BB248_4 Depth=1
	s_or_b32 exec_lo, exec_lo, s2
	v_sub_f32_e32 v22, 0xc322e3bc, v2
	s_delay_alu instid0(VALU_DEP_2) | instskip(SKIP_1) | instid1(VALU_DEP_3)
	v_dual_lshlrev_b32 v16, 30, v16 :: v_dual_bitop2_b32 v28, 1, v16 bitop3:0x40
	v_dual_mul_f32 v27, v13, v13 :: v_dual_mul_f32 v26, v10, v10
	v_mul_f32_e32 v23, 0x3fb8aa3b, v22
	s_delay_alu instid0(VALU_DEP_3) | instskip(NEXT) | instid1(VALU_DEP_3)
	v_and_or_b32 v1, 0x80000000, v16, v1
	v_dual_fmaak_f32 v30, s28, v27, 0x3c0881c4 :: v_dual_fmaak_f32 v29, s28, v26, 0x3c0881c4
	s_delay_alu instid0(VALU_DEP_3) | instskip(SKIP_1) | instid1(VALU_DEP_3)
	v_fma_f32 v24, 0x3fb8aa3b, v22, -v23
	v_rndne_f32_e32 v25, v23
	v_fmaak_f32 v29, v26, v29, 0xbe2aaa9d
	s_delay_alu instid0(VALU_DEP_2) | instskip(SKIP_2) | instid1(VALU_DEP_3)
	v_dual_sub_f32 v23, v23, v25 :: v_dual_fmac_f32 v24, 0x32a5705f, v22
	v_cvt_i32_f32_e32 v25, v25
	v_cmp_ngt_f32_e32 vcc_lo, 0xc2ce8ed0, v22
	v_dual_mul_f32 v29, v26, v29 :: v_dual_add_f32 v23, v23, v24
	s_delay_alu instid0(VALU_DEP_1) | instskip(NEXT) | instid1(VALU_DEP_2)
	v_dual_lshlrev_b32 v24, 30, v12 :: v_dual_fmac_f32 v10, v10, v29
	v_exp_f32_e32 v23, v23
	v_nop
	s_delay_alu instid0(TRANS32_DEP_1) | instskip(NEXT) | instid1(VALU_DEP_1)
	v_ldexp_f32 v23, v23, v25
	v_dual_cndmask_b32 v23, 0, v23, vcc_lo :: v_dual_bitop2_b32 v12, 1, v12 bitop3:0x40
	v_cmp_nlt_f32_e32 vcc_lo, 0x42b17218, v22
	v_fmaak_f32 v22, v27, v30, 0xbe2aaa9d
	v_fmaak_f32 v31, s29, v27, 0xbab64f3b
	s_delay_alu instid0(VALU_DEP_4) | instskip(SKIP_1) | instid1(VALU_DEP_3)
	v_cndmask_b32_e32 v16, 0x7f800000, v23, vcc_lo
	v_fmaak_f32 v25, s29, v26, 0xbab64f3b
	v_dual_mul_f32 v22, v27, v22 :: v_dual_fmaak_f32 v23, v27, v31, 0x3d2aabf7
	v_cmp_eq_u32_e32 vcc_lo, 0, v28
	s_delay_alu instid0(VALU_DEP_3) | instskip(NEXT) | instid1(VALU_DEP_3)
	v_dual_fmaak_f32 v25, v26, v25, 0x3d2aabf7 :: v_dual_lshrrev_b32 v30, 23, v16
	v_fmac_f32_e32 v13, v13, v22
	s_delay_alu instid0(VALU_DEP_4) | instskip(NEXT) | instid1(VALU_DEP_3)
	v_fmaak_f32 v23, v27, v23, 0xbf000004
	v_subrev_nc_u32_e32 v30, 19, v30
	s_delay_alu instid0(VALU_DEP_4) | instskip(NEXT) | instid1(VALU_DEP_3)
	v_fmaak_f32 v25, v26, v25, 0xbf000004
	v_fma_f32 v22, v27, v23, 1.0
	s_delay_alu instid0(VALU_DEP_2) | instskip(NEXT) | instid1(VALU_DEP_4)
	v_fma_f32 v23, v26, v25, 1.0
	v_lshrrev_b16 v25, 15, v30
	s_delay_alu instid0(VALU_DEP_3) | instskip(SKIP_1) | instid1(VALU_DEP_3)
	v_cndmask_b32_e32 v13, v22, v13, vcc_lo
	v_cmp_eq_u32_e32 vcc_lo, 0, v12
	v_add_nc_u16 v12, v30, v25
	s_delay_alu instid0(VALU_DEP_3) | instskip(SKIP_2) | instid1(VALU_DEP_4)
	v_xor3_b32 v1, v1, v13, v11
	v_cndmask_b32_e64 v10, -v10, v23, vcc_lo
	v_cmp_class_f32_e64 vcc_lo, v3, 0x1f8
	v_ashrrev_i16 v13, 1, v12
	v_and_or_b32 v12, 0x7fffff, v16, s30
	s_delay_alu instid0(VALU_DEP_4) | instskip(SKIP_1) | instid1(VALU_DEP_4)
	v_bitop3_b32 v10, v24, v10, 0x80000000 bitop3:0x6c
	v_cndmask_b32_e32 v11, 0x7fc00000, v1, vcc_lo
	v_bfe_i32 v1, v13, 0, 16
	s_delay_alu instid0(VALU_DEP_3) | instskip(NEXT) | instid1(VALU_DEP_1)
	v_cndmask_b32_e32 v10, 0x7fc00000, v10, vcc_lo
	v_pk_mul_f32 v[10:11], v[10:11], v[12:13] op_sel_hi:[1,0]
	s_delay_alu instid0(VALU_DEP_3) | instskip(SKIP_1) | instid1(VALU_DEP_2)
	v_sub_nc_u32_e32 v13, v30, v1
	v_lshl_add_u32 v12, v1, 23, 1.0
	v_lshl_add_u32 v16, v13, 23, 1.0
	s_delay_alu instid0(VALU_DEP_2) | instskip(NEXT) | instid1(VALU_DEP_1)
	v_pk_mul_f32 v[10:11], v[10:11], v[12:13] op_sel_hi:[1,0]
	v_pk_mul_f32 v[10:11], v[10:11], v[16:17] op_sel_hi:[1,0]
.LBB248_131:                            ;   in Loop: Header=BB248_4 Depth=1
	s_or_b32 exec_lo, exec_lo, s36
                                        ; implicit-def: $vgpr12
                                        ; implicit-def: $vgpr13
.LBB248_132:                            ;   in Loop: Header=BB248_4 Depth=1
	s_and_not1_saveexec_b32 s2, s35
	s_cbranch_execz .LBB248_138
; %bb.133:                              ;   in Loop: Header=BB248_4 Depth=1
	v_sub_f32_e32 v11, v3, v3
	s_mov_b32 s3, exec_lo
	v_cmpx_ne_u32_e32 0x7f800000, v13
	s_xor_b32 s3, exec_lo, s3
; %bb.134:                              ;   in Loop: Header=BB248_4 Depth=1
                                        ; implicit-def: $vgpr12
; %bb.135:                              ;   in Loop: Header=BB248_4 Depth=1
	s_delay_alu instid0(SALU_CYCLE_1)
	s_or_saveexec_b32 s3, s3
	v_mov_b32_e32 v10, v11
	s_xor_b32 exec_lo, exec_lo, s3
; %bb.136:                              ;   in Loop: Header=BB248_4 Depth=1
	v_cmp_lt_i32_e32 vcc_lo, -1, v12
	v_dual_cndmask_b32 v10, 0, -v2, vcc_lo :: v_dual_cndmask_b32 v11, 0, v11, vcc_lo
; %bb.137:                              ;   in Loop: Header=BB248_4 Depth=1
	s_or_b32 exec_lo, exec_lo, s3
.LBB248_138:                            ;   in Loop: Header=BB248_4 Depth=1
	s_delay_alu instid0(SALU_CYCLE_1)
	s_or_b32 exec_lo, exec_lo, s2
                                        ; implicit-def: $vgpr1
.LBB248_139:                            ;   in Loop: Header=BB248_4 Depth=1
	s_and_not1_saveexec_b32 s34, s34
	s_cbranch_execz .LBB248_149
; %bb.140:                              ;   in Loop: Header=BB248_4 Depth=1
	v_lshrrev_b32_e32 v10, 23, v1
	v_cmp_ngt_f32_e64 s35, 0x48000000, |v3|
	v_and_or_b32 v16, v1, s27, 0x800000
                                        ; implicit-def: $vgpr12
	s_delay_alu instid0(VALU_DEP_3) | instskip(SKIP_1) | instid1(SALU_CYCLE_1)
	v_add_nc_u32_e32 v13, 0xffffff88, v10
                                        ; implicit-def: $vgpr10
	s_and_saveexec_b32 s2, s35
	s_xor_b32 s36, exec_lo, s2
	s_cbranch_execz .LBB248_142
; %bb.141:                              ;   in Loop: Header=BB248_4 Depth=1
	v_mul_u64_e32 v[22:23], s[22:23], v[16:17]
	v_mov_b32_e32 v25, v17
	v_cmp_lt_u32_e32 vcc_lo, 63, v13
	v_mov_b32_e32 v35, v17
	v_cndmask_b32_e64 v10, 0, 0xffffffc0, vcc_lo
	s_delay_alu instid0(VALU_DEP_1) | instskip(NEXT) | instid1(VALU_DEP_1)
	v_add_nc_u32_e32 v10, v10, v13
	v_cmp_lt_u32_e64 s2, 31, v10
	s_delay_alu instid0(VALU_DEP_1) | instskip(NEXT) | instid1(VALU_DEP_1)
	v_cndmask_b32_e64 v12, 0, 0xffffffe0, s2
	v_dual_add_nc_u32 v10, v12, v10 :: v_dual_mov_b32 v24, v23
	s_delay_alu instid0(VALU_DEP_1) | instskip(NEXT) | instid1(VALU_DEP_2)
	v_cmp_lt_u32_e64 s3, 31, v10
	v_mad_nc_u64_u32 v[24:25], 0x3c439041, v16, v[24:25]
	v_mov_b32_e32 v27, v17
	s_delay_alu instid0(VALU_DEP_3) | instskip(NEXT) | instid1(VALU_DEP_3)
	v_cndmask_b32_e64 v12, 0, 0xffffffe0, s3
	v_mov_b32_e32 v26, v25
	s_delay_alu instid0(VALU_DEP_1) | instskip(NEXT) | instid1(VALU_DEP_1)
	v_mad_nc_u64_u32 v[26:27], 0xdb629599, v16, v[26:27]
	v_dual_mov_b32 v29, v17 :: v_dual_mov_b32 v28, v27
	s_delay_alu instid0(VALU_DEP_2) | instskip(NEXT) | instid1(VALU_DEP_2)
	v_cndmask_b32_e32 v22, v26, v22, vcc_lo
	v_mad_nc_u64_u32 v[28:29], 0xf534ddc0, v16, v[28:29]
	s_delay_alu instid0(VALU_DEP_1) | instskip(NEXT) | instid1(VALU_DEP_1)
	v_dual_mov_b32 v31, v17 :: v_dual_mov_b32 v30, v29
	v_mad_nc_u64_u32 v[30:31], 0xfc2757d1, v16, v[30:31]
	s_delay_alu instid0(VALU_DEP_1) | instskip(NEXT) | instid1(VALU_DEP_2)
	v_dual_mov_b32 v33, v17 :: v_dual_mov_b32 v32, v31
	v_cndmask_b32_e32 v29, v30, v26, vcc_lo
	s_delay_alu instid0(VALU_DEP_2) | instskip(NEXT) | instid1(VALU_DEP_1)
	v_mad_nc_u64_u32 v[32:33], 0x4e441529, v16, v[32:33]
	v_mov_b32_e32 v34, v33
	s_delay_alu instid0(VALU_DEP_1) | instskip(NEXT) | instid1(VALU_DEP_1)
	v_mad_nc_u64_u32 v[34:35], 0xa2f9836e, v16, v[34:35]
	v_dual_cndmask_b32 v23, v32, v28, vcc_lo :: v_dual_cndmask_b32 v25, v34, v30, vcc_lo
	s_delay_alu instid0(VALU_DEP_2) | instskip(NEXT) | instid1(VALU_DEP_2)
	v_dual_cndmask_b32 v27, v35, v32 :: v_dual_add_nc_u32 v10, v12, v10
	v_dual_cndmask_b32 v12, v28, v24, vcc_lo :: v_dual_cndmask_b32 v24, v25, v23, s2
	s_delay_alu instid0(VALU_DEP_2) | instskip(NEXT) | instid1(VALU_DEP_3)
	v_cndmask_b32_e64 v25, v27, v25, s2
	v_dual_cndmask_b32 v23, v23, v29, s2 :: v_dual_sub_nc_u32 v27, 32, v10
	s_delay_alu instid0(VALU_DEP_3) | instskip(SKIP_1) | instid1(VALU_DEP_3)
	v_cndmask_b32_e64 v28, v29, v12, s2
	v_cmp_eq_u32_e32 vcc_lo, 0, v10
	v_dual_cndmask_b32 v25, v25, v24, s3 :: v_dual_cndmask_b32 v24, v24, v23, s3
	s_delay_alu instid0(VALU_DEP_1) | instskip(NEXT) | instid1(VALU_DEP_1)
	v_alignbit_b32 v29, v25, v24, v27
	v_dual_cndmask_b32 v23, v23, v28, s3 :: v_dual_cndmask_b32 v10, v29, v25, vcc_lo
	s_delay_alu instid0(VALU_DEP_1) | instskip(NEXT) | instid1(VALU_DEP_1)
	v_alignbit_b32 v26, v24, v23, v27
	v_dual_cndmask_b32 v12, v12, v22, s2 :: v_dual_cndmask_b32 v22, v26, v24, vcc_lo
	s_delay_alu instid0(VALU_DEP_3) | instskip(NEXT) | instid1(VALU_DEP_2)
	v_bfe_u32 v24, v10, 29, 1
	v_alignbit_b32 v25, v10, v22, 30
	s_delay_alu instid0(VALU_DEP_2) | instskip(NEXT) | instid1(VALU_DEP_1)
	v_sub_nc_u32_e32 v26, 0, v24
	v_dual_cndmask_b32 v12, v28, v12, s3 :: v_dual_bitop2_b32 v25, v25, v26 bitop3:0x14
	s_delay_alu instid0(VALU_DEP_1) | instskip(NEXT) | instid1(VALU_DEP_1)
	v_alignbit_b32 v27, v23, v12, v27
	v_cndmask_b32_e32 v23, v27, v23, vcc_lo
	s_delay_alu instid0(VALU_DEP_3) | instskip(NEXT) | instid1(VALU_DEP_2)
	v_clz_i32_u32_e32 v27, v25
	v_alignbit_b32 v22, v22, v23, 30
	s_delay_alu instid0(VALU_DEP_2) | instskip(SKIP_1) | instid1(VALU_DEP_2)
	v_min_u32_e32 v27, 32, v27
	v_alignbit_b32 v12, v23, v12, 30
	v_dual_sub_nc_u32 v23, 31, v27 :: v_dual_bitop2_b32 v22, v22, v26 bitop3:0x14
	s_delay_alu instid0(VALU_DEP_2) | instskip(SKIP_1) | instid1(VALU_DEP_3)
	v_xor_b32_e32 v12, v12, v26
	v_dual_lshrrev_b32 v26, 29, v10 :: v_dual_lshlrev_b32 v28, 23, v27
	v_alignbit_b32 v25, v25, v22, v23
	s_delay_alu instid0(VALU_DEP_3) | instskip(NEXT) | instid1(VALU_DEP_3)
	v_alignbit_b32 v12, v22, v12, v23
	v_lshlrev_b32_e32 v22, 31, v26
	s_delay_alu instid0(VALU_DEP_2) | instskip(NEXT) | instid1(VALU_DEP_2)
	v_alignbit_b32 v23, v25, v12, 9
	v_dual_lshrrev_b32 v25, 9, v25 :: v_dual_bitop2_b32 v26, 0.5, v22 bitop3:0x54
	v_or_b32_e32 v22, 0x33000000, v22
	s_delay_alu instid0(VALU_DEP_3) | instskip(NEXT) | instid1(VALU_DEP_3)
	v_clz_i32_u32_e32 v29, v23
	v_sub_nc_u32_e32 v26, v26, v28
	s_delay_alu instid0(VALU_DEP_2) | instskip(NEXT) | instid1(VALU_DEP_1)
	v_min_u32_e32 v28, 32, v29
	v_add_lshl_u32 v27, v28, v27, 23
	s_delay_alu instid0(VALU_DEP_3) | instskip(SKIP_1) | instid1(VALU_DEP_2)
	v_or_b32_e32 v25, v25, v26
	v_not_b32_e32 v26, v28
	v_dual_mul_f32 v29, 0x3fc90fda, v25 :: v_dual_sub_nc_u32 v22, v22, v27
	s_delay_alu instid0(VALU_DEP_2) | instskip(NEXT) | instid1(VALU_DEP_2)
	v_alignbit_b32 v12, v23, v12, v26
	v_fma_f32 v23, 0x3fc90fda, v25, -v29
	s_delay_alu instid0(VALU_DEP_1) | instskip(NEXT) | instid1(VALU_DEP_1)
	v_dual_fmac_f32 v23, 0x33a22168, v25 :: v_dual_lshrrev_b32 v12, 9, v12
	v_or_b32_e32 v12, v22, v12
	s_delay_alu instid0(VALU_DEP_1) | instskip(NEXT) | instid1(VALU_DEP_1)
	v_dual_fmac_f32 v23, 0x3fc90fda, v12 :: v_dual_lshrrev_b32 v12, 30, v10
	v_dual_add_f32 v10, v29, v23 :: v_dual_add_nc_u32 v12, v24, v12
.LBB248_142:                            ;   in Loop: Header=BB248_4 Depth=1
	s_or_saveexec_b32 s2, s36
	v_mul_f32_e64 v22, 0x3f22f983, |v3|
	s_delay_alu instid0(VALU_DEP_1)
	v_rndne_f32_e32 v24, v22
	s_xor_b32 exec_lo, exec_lo, s2
; %bb.143:                              ;   in Loop: Header=BB248_4 Depth=1
	s_delay_alu instid0(VALU_DEP_1) | instskip(SKIP_1) | instid1(VALU_DEP_2)
	v_fma_f32 v10, 0xbfc90fda, v24, |v3|
	v_cvt_i32_f32_e32 v12, v24
	v_fmac_f32_e32 v10, 0xb3a22168, v24
	s_delay_alu instid0(VALU_DEP_1)
	v_fmac_f32_e32 v10, 0xa7c234c4, v24
; %bb.144:                              ;   in Loop: Header=BB248_4 Depth=1
	s_or_b32 exec_lo, exec_lo, s2
                                        ; implicit-def: $vgpr23
                                        ; implicit-def: $vgpr22
	s_and_saveexec_b32 s2, s35
	s_delay_alu instid0(SALU_CYCLE_1)
	s_xor_b32 s35, exec_lo, s2
	s_cbranch_execz .LBB248_146
; %bb.145:                              ;   in Loop: Header=BB248_4 Depth=1
	v_mul_u64_e32 v[22:23], s[22:23], v[16:17]
	v_mov_b32_e32 v25, v17
	v_cmp_lt_u32_e32 vcc_lo, 63, v13
	s_delay_alu instid0(VALU_DEP_3) | instskip(SKIP_1) | instid1(VALU_DEP_2)
	v_dual_mov_b32 v35, v17 :: v_dual_mov_b32 v24, v23
	v_cndmask_b32_e64 v23, 0, 0xffffffc0, vcc_lo
	v_mad_nc_u64_u32 v[24:25], 0x3c439041, v16, v[24:25]
	s_delay_alu instid0(VALU_DEP_2) | instskip(NEXT) | instid1(VALU_DEP_1)
	v_dual_mov_b32 v27, v17 :: v_dual_add_nc_u32 v13, v23, v13
	v_cmp_lt_u32_e64 s2, 31, v13
	s_delay_alu instid0(VALU_DEP_3) | instskip(NEXT) | instid1(VALU_DEP_2)
	v_mov_b32_e32 v26, v25
	v_cndmask_b32_e64 v23, 0, 0xffffffe0, s2
	s_delay_alu instid0(VALU_DEP_2) | instskip(NEXT) | instid1(VALU_DEP_2)
	v_mad_nc_u64_u32 v[26:27], 0xdb629599, v16, v[26:27]
	v_dual_mov_b32 v29, v17 :: v_dual_add_nc_u32 v13, v23, v13
	s_delay_alu instid0(VALU_DEP_1) | instskip(NEXT) | instid1(VALU_DEP_3)
	v_cmp_lt_u32_e64 s3, 31, v13
	v_mov_b32_e32 v28, v27
	s_delay_alu instid0(VALU_DEP_1) | instskip(NEXT) | instid1(VALU_DEP_1)
	v_mad_nc_u64_u32 v[28:29], 0xf534ddc0, v16, v[28:29]
	v_dual_mov_b32 v31, v17 :: v_dual_mov_b32 v30, v29
	s_delay_alu instid0(VALU_DEP_1) | instskip(NEXT) | instid1(VALU_DEP_1)
	v_mad_nc_u64_u32 v[30:31], 0xfc2757d1, v16, v[30:31]
	v_dual_mov_b32 v33, v17 :: v_dual_mov_b32 v32, v31
	s_delay_alu instid0(VALU_DEP_2) | instskip(NEXT) | instid1(VALU_DEP_2)
	v_cndmask_b32_e32 v29, v30, v26, vcc_lo
	v_mad_nc_u64_u32 v[32:33], 0x4e441529, v16, v[32:33]
	s_delay_alu instid0(VALU_DEP_1) | instskip(NEXT) | instid1(VALU_DEP_1)
	v_mov_b32_e32 v34, v33
	v_mad_nc_u64_u32 v[34:35], 0xa2f9836e, v16, v[34:35]
	v_cndmask_b32_e64 v16, 0, 0xffffffe0, s3
	s_delay_alu instid0(VALU_DEP_2) | instskip(NEXT) | instid1(VALU_DEP_2)
	v_dual_cndmask_b32 v23, v32, v28, vcc_lo :: v_dual_cndmask_b32 v25, v34, v30, vcc_lo
	v_dual_cndmask_b32 v27, v35, v32, vcc_lo :: v_dual_add_nc_u32 v13, v16, v13
	s_delay_alu instid0(VALU_DEP_2) | instskip(NEXT) | instid1(VALU_DEP_2)
	v_dual_cndmask_b32 v16, v28, v24, vcc_lo :: v_dual_cndmask_b32 v24, v25, v23, s2
	v_cndmask_b32_e64 v25, v27, v25, s2
	s_delay_alu instid0(VALU_DEP_2) | instskip(NEXT) | instid1(VALU_DEP_2)
	v_dual_cndmask_b32 v23, v23, v29, s2 :: v_dual_cndmask_b32 v28, v29, v16, s2
	v_dual_sub_nc_u32 v27, 32, v13 :: v_dual_cndmask_b32 v25, v25, v24, s3
	s_delay_alu instid0(VALU_DEP_2) | instskip(NEXT) | instid1(VALU_DEP_1)
	v_dual_cndmask_b32 v24, v24, v23, s3 :: v_dual_cndmask_b32 v23, v23, v28, s3
	v_alignbit_b32 v29, v25, v24, v27
	v_cndmask_b32_e32 v22, v26, v22, vcc_lo
	v_cmp_eq_u32_e32 vcc_lo, 0, v13
	s_delay_alu instid0(VALU_DEP_4) | instskip(NEXT) | instid1(VALU_DEP_3)
	v_alignbit_b32 v26, v24, v23, v27
	v_dual_cndmask_b32 v13, v29, v25, vcc_lo :: v_dual_cndmask_b32 v16, v16, v22, s2
	s_delay_alu instid0(VALU_DEP_2) | instskip(NEXT) | instid1(VALU_DEP_2)
	v_cndmask_b32_e32 v22, v26, v24, vcc_lo
	v_bfe_u32 v24, v13, 29, 1
	s_delay_alu instid0(VALU_DEP_2) | instskip(NEXT) | instid1(VALU_DEP_2)
	v_alignbit_b32 v25, v13, v22, 30
	v_sub_nc_u32_e32 v26, 0, v24
	s_delay_alu instid0(VALU_DEP_1) | instskip(NEXT) | instid1(VALU_DEP_1)
	v_dual_cndmask_b32 v16, v28, v16, s3 :: v_dual_bitop2_b32 v25, v25, v26 bitop3:0x14
	v_alignbit_b32 v27, v23, v16, v27
	s_delay_alu instid0(VALU_DEP_1) | instskip(NEXT) | instid1(VALU_DEP_3)
	v_cndmask_b32_e32 v23, v27, v23, vcc_lo
	v_clz_i32_u32_e32 v27, v25
	s_delay_alu instid0(VALU_DEP_2) | instskip(NEXT) | instid1(VALU_DEP_2)
	v_alignbit_b32 v22, v22, v23, 30
	v_min_u32_e32 v27, 32, v27
	v_alignbit_b32 v16, v23, v16, 30
	s_delay_alu instid0(VALU_DEP_2) | instskip(NEXT) | instid1(VALU_DEP_2)
	v_dual_sub_nc_u32 v23, 31, v27 :: v_dual_bitop2_b32 v22, v22, v26 bitop3:0x14
	v_dual_lshrrev_b32 v26, 29, v13 :: v_dual_bitop2_b32 v16, v16, v26 bitop3:0x14
	v_dual_lshlrev_b32 v28, 23, v27 :: v_dual_lshrrev_b32 v13, 30, v13
	s_delay_alu instid0(VALU_DEP_3) | instskip(NEXT) | instid1(VALU_DEP_3)
	v_alignbit_b32 v25, v25, v22, v23
	v_alignbit_b32 v16, v22, v16, v23
	s_delay_alu instid0(VALU_DEP_4) | instskip(NEXT) | instid1(VALU_DEP_2)
	v_lshlrev_b32_e32 v22, 31, v26
	v_alignbit_b32 v23, v25, v16, 9
	s_delay_alu instid0(VALU_DEP_2) | instskip(SKIP_1) | instid1(VALU_DEP_3)
	v_dual_lshrrev_b32 v25, 9, v25 :: v_dual_bitop2_b32 v26, 0.5, v22 bitop3:0x54
	v_or_b32_e32 v22, 0x33000000, v22
	v_clz_i32_u32_e32 v29, v23
	s_delay_alu instid0(VALU_DEP_3) | instskip(NEXT) | instid1(VALU_DEP_2)
	v_sub_nc_u32_e32 v26, v26, v28
	v_min_u32_e32 v28, 32, v29
	s_delay_alu instid0(VALU_DEP_1) | instskip(NEXT) | instid1(VALU_DEP_3)
	v_add_lshl_u32 v27, v28, v27, 23
	v_or_b32_e32 v25, v25, v26
	v_not_b32_e32 v26, v28
	s_delay_alu instid0(VALU_DEP_2) | instskip(NEXT) | instid1(VALU_DEP_2)
	v_dual_mul_f32 v29, 0x3fc90fda, v25 :: v_dual_sub_nc_u32 v22, v22, v27
	v_alignbit_b32 v16, v23, v16, v26
	s_delay_alu instid0(VALU_DEP_2) | instskip(NEXT) | instid1(VALU_DEP_1)
	v_fma_f32 v23, 0x3fc90fda, v25, -v29
	v_dual_fmac_f32 v23, 0x33a22168, v25 :: v_dual_lshrrev_b32 v16, 9, v16
	s_delay_alu instid0(VALU_DEP_1) | instskip(NEXT) | instid1(VALU_DEP_1)
	v_or_b32_e32 v16, v22, v16
	v_fmac_f32_e32 v23, 0x3fc90fda, v16
	s_delay_alu instid0(VALU_DEP_1)
	v_dual_add_f32 v22, v29, v23 :: v_dual_add_nc_u32 v23, v24, v13
                                        ; implicit-def: $vgpr24
	s_and_not1_saveexec_b32 s2, s35
	s_cbranch_execnz .LBB248_147
	s_branch .LBB248_148
.LBB248_146:                            ;   in Loop: Header=BB248_4 Depth=1
	s_and_not1_saveexec_b32 s2, s35
.LBB248_147:                            ;   in Loop: Header=BB248_4 Depth=1
	v_fma_f32 v22, 0xbfc90fda, v24, |v3|
	v_cvt_i32_f32_e32 v23, v24
	s_delay_alu instid0(VALU_DEP_2) | instskip(NEXT) | instid1(VALU_DEP_1)
	v_fmac_f32_e32 v22, 0xb3a22168, v24
	v_fmac_f32_e32 v22, 0xa7c234c4, v24
.LBB248_148:                            ;   in Loop: Header=BB248_4 Depth=1
	s_or_b32 exec_lo, exec_lo, s2
	v_dual_mul_f32 v13, v10, v10 :: v_dual_bitop2_b32 v24, 1, v12 bitop3:0x40
	s_delay_alu instid0(VALU_DEP_1) | instskip(SKIP_1) | instid1(VALU_DEP_3)
	v_dual_mul_f32 v16, v22, v22 :: v_dual_fmaak_f32 v25, s28, v13, 0x3c0881c4
	v_lshlrev_b32_e32 v12, 30, v12
	v_cmp_eq_u32_e32 vcc_lo, 0, v24
	s_delay_alu instid0(VALU_DEP_3) | instskip(NEXT) | instid1(VALU_DEP_1)
	v_fmaak_f32 v25, v13, v25, 0xbe2aaa9d
	v_dual_fmaak_f32 v28, s29, v16, 0xbab64f3b :: v_dual_mul_f32 v25, v13, v25
	s_delay_alu instid0(VALU_DEP_1) | instskip(NEXT) | instid1(VALU_DEP_1)
	v_dual_fmaak_f32 v27, s28, v16, 0x3c0881c4 :: v_dual_fmac_f32 v10, v10, v25
	v_fmaak_f32 v27, v16, v27, 0xbe2aaa9d
	v_fmaak_f32 v26, s29, v13, 0xbab64f3b
	v_dual_lshlrev_b32 v23, 30, v23 :: v_dual_bitop2_b32 v29, 1, v23 bitop3:0x40
	s_delay_alu instid0(VALU_DEP_2) | instskip(NEXT) | instid1(VALU_DEP_2)
	v_dual_mul_f32 v27, v16, v27 :: v_dual_fmaak_f32 v26, v13, v26, 0x3d2aabf7
	v_and_or_b32 v1, 0x80000000, v23, v1
	s_delay_alu instid0(VALU_DEP_2) | instskip(NEXT) | instid1(VALU_DEP_3)
	v_fmac_f32_e32 v22, v22, v27
	v_fmaak_f32 v26, v13, v26, 0xbf000004
	s_delay_alu instid0(VALU_DEP_1) | instskip(NEXT) | instid1(VALU_DEP_1)
	v_fma_f32 v13, v13, v26, 1.0
	v_cndmask_b32_e64 v10, -v10, v13, vcc_lo
	v_cmp_eq_u32_e32 vcc_lo, 0, v29
	v_fmaak_f32 v28, v16, v28, 0x3d2aabf7
	s_delay_alu instid0(VALU_DEP_3) | instskip(NEXT) | instid1(VALU_DEP_2)
	v_bitop3_b32 v10, v12, v10, 0x80000000 bitop3:0x6c
	v_fmaak_f32 v28, v16, v28, 0xbf000004
	s_delay_alu instid0(VALU_DEP_1) | instskip(NEXT) | instid1(VALU_DEP_1)
	v_fma_f32 v16, v16, v28, 1.0
	v_cndmask_b32_e32 v13, v16, v22, vcc_lo
	v_cmp_class_f32_e64 vcc_lo, v3, 0x1f8
	s_delay_alu instid0(VALU_DEP_2) | instskip(SKIP_1) | instid1(VALU_DEP_2)
	v_xor3_b32 v1, v1, v13, v11
	v_cndmask_b32_e32 v10, 0x7fc00000, v10, vcc_lo
	v_cndmask_b32_e32 v11, 0x7fc00000, v1, vcc_lo
.LBB248_149:                            ;   in Loop: Header=BB248_4 Depth=1
	s_or_b32 exec_lo, exec_lo, s34
.LBB248_150:                            ;   in Loop: Header=BB248_4 Depth=1
	s_and_not1_saveexec_b32 s2, s33
	s_cbranch_execz .LBB248_152
; %bb.151:                              ;   in Loop: Header=BB248_4 Depth=1
	v_mul_f32_e32 v1, 0xbfb8aa3b, v2
	v_cmp_nlt_f32_e32 vcc_lo, 0x42ce8ed0, v2
	s_delay_alu instid0(VALU_DEP_2) | instskip(SKIP_1) | instid1(VALU_DEP_1)
	v_rndne_f32_e32 v3, v1
	v_fma_f32 v10, 0xbfb8aa3b, v2, -v1
	v_dual_sub_f32 v1, v1, v3 :: v_dual_fmac_f32 v10, 0xb2a5705f, v2
	v_cvt_i32_f32_e32 v3, v3
	s_delay_alu instid0(VALU_DEP_2) | instskip(NEXT) | instid1(VALU_DEP_1)
	v_add_f32_e32 v1, v1, v10
	v_exp_f32_e32 v1, v1
	v_nop
	s_delay_alu instid0(TRANS32_DEP_1) | instskip(NEXT) | instid1(VALU_DEP_1)
	v_ldexp_f32 v1, v1, v3
	v_cndmask_b32_e32 v1, 0, v1, vcc_lo
	v_cmp_ngt_f32_e32 vcc_lo, 0xc2b17218, v2
	s_delay_alu instid0(VALU_DEP_2)
	v_cndmask_b32_e32 v10, 0x7f800000, v1, vcc_lo
.LBB248_152:                            ;   in Loop: Header=BB248_4 Depth=1
	s_or_b32 exec_lo, exec_lo, s2
	v_mov_b64_e32 v[2:3], s[6:7]
	s_mov_b32 s2, exec_lo
	s_delay_alu instid0(VALU_DEP_1) | instskip(NEXT) | instid1(VALU_DEP_1)
	v_pk_add_f32 v[2:3], v[10:11], v[2:3]
                                        ; implicit-def: $vgpr10_vgpr11
	v_cmp_gt_f32_e32 vcc_lo, 0, v3
	v_cndmask_b32_e64 v1, v3, -v3, vcc_lo
	s_delay_alu instid0(VALU_DEP_3) | instskip(SKIP_1) | instid1(VALU_DEP_1)
	v_cmp_gt_f32_e32 vcc_lo, 0, v2
	v_cndmask_b32_e64 v12, v2, -v2, vcc_lo
	v_cmpx_ge_f32_e32 v12, v1
	s_xor_b32 s3, exec_lo, s2
	s_cbranch_execz .LBB248_158
; %bb.153:                              ;   in Loop: Header=BB248_4 Depth=1
	v_cmp_neq_f32_e32 vcc_lo, 0, v2
	v_cmp_neq_f32_e64 s2, 0, v3
                                        ; implicit-def: $vgpr10_vgpr11
	s_or_b32 s2, vcc_lo, s2
	s_delay_alu instid0(SALU_CYCLE_1) | instskip(NEXT) | instid1(SALU_CYCLE_1)
	s_and_saveexec_b32 s33, s2
	s_xor_b32 s2, exec_lo, s33
	s_cbranch_execz .LBB248_155
; %bb.154:                              ;   in Loop: Header=BB248_4 Depth=1
	v_div_scale_f32 v1, null, v2, v2, v3
	v_div_scale_f32 v12, vcc_lo, v3, v2, v3
	v_mov_b64_e32 v[22:23], s[20:21]
	s_delay_alu instid0(VALU_DEP_3) | instskip(SKIP_1) | instid1(TRANS32_DEP_1)
	v_rcp_f32_e32 v10, v1
	v_nop
	v_fma_f32 v11, -v1, v10, 1.0
	s_delay_alu instid0(VALU_DEP_1) | instskip(NEXT) | instid1(VALU_DEP_1)
	v_fmac_f32_e32 v10, v11, v10
	v_mul_f32_e32 v11, v12, v10
	s_delay_alu instid0(VALU_DEP_1) | instskip(NEXT) | instid1(VALU_DEP_1)
	v_fma_f32 v13, -v1, v11, v12
	v_fmac_f32_e32 v11, v13, v10
	s_delay_alu instid0(VALU_DEP_1) | instskip(NEXT) | instid1(VALU_DEP_1)
	v_fma_f32 v1, -v1, v11, v12
	v_div_fmas_f32 v1, v1, v10, v11
	s_delay_alu instid0(VALU_DEP_1) | instskip(NEXT) | instid1(VALU_DEP_1)
	v_div_fixup_f32 v10, v1, v2, v3
	v_fmac_f32_e32 v2, v3, v10
	s_delay_alu instid0(VALU_DEP_1) | instskip(SKIP_1) | instid1(VALU_DEP_2)
	v_div_scale_f32 v1, null, v2, v2, 1.0
	v_div_scale_f32 v16, vcc_lo, 1.0, v2, 1.0
	v_rcp_f32_e32 v3, v1
	v_nop
	s_delay_alu instid0(TRANS32_DEP_1) | instskip(NEXT) | instid1(VALU_DEP_1)
	v_fma_f32 v11, -v1, v3, 1.0
	v_fmac_f32_e32 v3, v11, v3
	s_delay_alu instid0(VALU_DEP_1) | instskip(NEXT) | instid1(VALU_DEP_1)
	v_mul_f32_e32 v11, v16, v3
	v_fma_f32 v12, -v1, v11, v16
	s_delay_alu instid0(VALU_DEP_1) | instskip(SKIP_1) | instid1(VALU_DEP_2)
	v_fmac_f32_e32 v11, v12, v3
	v_mov_b64_e32 v[12:13], s[6:7]
	v_fma_f32 v1, -v1, v11, v16
	s_delay_alu instid0(VALU_DEP_2) | instskip(NEXT) | instid1(VALU_DEP_2)
	v_pk_fma_f32 v[24:25], v[10:11], v[22:23], v[12:13] op_sel_hi:[0,1,1] neg_lo:[1,0,0] neg_hi:[1,0,0]
	v_div_fmas_f32 v1, v1, v3, v11
	v_pk_fma_f32 v[10:11], v[10:11], v[22:23], v[12:13]
                                        ; implicit-def: $vgpr12
	s_delay_alu instid0(VALU_DEP_3) | instskip(NEXT) | instid1(VALU_DEP_3)
	v_mov_b32_e32 v11, v25
	v_div_fixup_f32 v2, v1, v2, 1.0
                                        ; implicit-def: $vgpr1
	s_delay_alu instid0(VALU_DEP_1)
	v_pk_mul_f32 v[10:11], v[10:11], v[2:3] op_sel_hi:[1,0]
.LBB248_155:                            ;   in Loop: Header=BB248_4 Depth=1
	s_and_not1_saveexec_b32 s33, s2
	s_cbranch_execz .LBB248_157
; %bb.156:                              ;   in Loop: Header=BB248_4 Depth=1
	v_div_scale_f32 v2, null, v1, v1, s7
	v_div_scale_f32 v3, null, v12, v12, s6
	v_div_scale_f32 v22, vcc_lo, s7, v1, s7
	s_delay_alu instid0(VALU_DEP_3) | instskip(NEXT) | instid1(VALU_DEP_2)
	v_rcp_f32_e32 v10, v2
	v_rcp_f32_e32 v11, v3
	s_delay_alu instid0(TRANS32_DEP_2) | instskip(NEXT) | instid1(TRANS32_DEP_1)
	v_fma_f32 v13, -v2, v10, 1.0
	v_fma_f32 v16, -v3, v11, 1.0
	s_delay_alu instid0(VALU_DEP_1) | instskip(SKIP_1) | instid1(VALU_DEP_1)
	v_dual_fmac_f32 v10, v13, v10 :: v_dual_fmac_f32 v11, v16, v11
	v_div_scale_f32 v13, s2, s6, v12, s6
	v_dual_mul_f32 v16, v22, v10 :: v_dual_mul_f32 v23, v13, v11
	s_delay_alu instid0(VALU_DEP_1) | instskip(NEXT) | instid1(VALU_DEP_1)
	v_dual_fma_f32 v24, -v2, v16, v22 :: v_dual_fma_f32 v25, -v3, v23, v13
	v_dual_fmac_f32 v16, v24, v10 :: v_dual_fmac_f32 v23, v25, v11
	s_delay_alu instid0(VALU_DEP_1) | instskip(NEXT) | instid1(VALU_DEP_1)
	v_dual_fma_f32 v2, -v2, v16, v22 :: v_dual_fma_f32 v3, -v3, v23, v13
	v_div_fmas_f32 v2, v2, v10, v16
	s_mov_b32 vcc_lo, s2
	s_delay_alu instid0(VALU_DEP_2) | instskip(NEXT) | instid1(VALU_DEP_2)
	v_div_fmas_f32 v3, v3, v11, v23
	v_div_fixup_f32 v11, v2, v1, s7
	s_delay_alu instid0(VALU_DEP_2)
	v_div_fixup_f32 v10, v3, v12, s6
.LBB248_157:                            ;   in Loop: Header=BB248_4 Depth=1
	s_or_b32 exec_lo, exec_lo, s33
                                        ; implicit-def: $vgpr2_vgpr3
.LBB248_158:                            ;   in Loop: Header=BB248_4 Depth=1
	s_and_not1_saveexec_b32 s2, s3
	s_cbranch_execz .LBB248_160
; %bb.159:                              ;   in Loop: Header=BB248_4 Depth=1
	v_div_scale_f32 v1, null, v3, v3, v2
	v_div_scale_f32 v12, vcc_lo, v2, v3, v2
	v_mov_b64_e32 v[22:23], s[6:7]
	s_delay_alu instid0(VALU_DEP_3) | instskip(SKIP_1) | instid1(TRANS32_DEP_1)
	v_rcp_f32_e32 v10, v1
	v_nop
	v_fma_f32 v11, -v1, v10, 1.0
	s_delay_alu instid0(VALU_DEP_1) | instskip(NEXT) | instid1(VALU_DEP_1)
	v_fmac_f32_e32 v10, v11, v10
	v_mul_f32_e32 v11, v12, v10
	s_delay_alu instid0(VALU_DEP_1) | instskip(NEXT) | instid1(VALU_DEP_1)
	v_fma_f32 v13, -v1, v11, v12
	v_fmac_f32_e32 v11, v13, v10
	s_delay_alu instid0(VALU_DEP_1) | instskip(NEXT) | instid1(VALU_DEP_1)
	v_fma_f32 v1, -v1, v11, v12
	v_div_fmas_f32 v1, v1, v10, v11
	s_delay_alu instid0(VALU_DEP_1) | instskip(NEXT) | instid1(VALU_DEP_1)
	v_div_fixup_f32 v10, v1, v3, v2
	v_fmac_f32_e32 v3, v2, v10
	s_delay_alu instid0(VALU_DEP_1) | instskip(SKIP_1) | instid1(VALU_DEP_2)
	v_div_scale_f32 v1, null, v3, v3, 1.0
	v_div_scale_f32 v16, vcc_lo, 1.0, v3, 1.0
	v_rcp_f32_e32 v2, v1
	v_nop
	s_delay_alu instid0(TRANS32_DEP_1) | instskip(NEXT) | instid1(VALU_DEP_1)
	v_fma_f32 v11, -v1, v2, 1.0
	v_fmac_f32_e32 v2, v11, v2
	s_delay_alu instid0(VALU_DEP_1) | instskip(NEXT) | instid1(VALU_DEP_1)
	v_mul_f32_e32 v11, v16, v2
	v_fma_f32 v12, -v1, v11, v16
	s_delay_alu instid0(VALU_DEP_1) | instskip(SKIP_1) | instid1(VALU_DEP_2)
	v_fmac_f32_e32 v11, v12, v2
	v_mov_b64_e32 v[12:13], s[20:21]
	v_fma_f32 v1, -v1, v11, v16
	s_delay_alu instid0(VALU_DEP_2) | instskip(NEXT) | instid1(VALU_DEP_2)
	v_pk_fma_f32 v[24:25], v[10:11], v[22:23], v[12:13] op_sel_hi:[0,1,1] neg_lo:[0,0,1] neg_hi:[0,0,1]
	v_div_fmas_f32 v1, v1, v2, v11
	v_pk_fma_f32 v[10:11], v[10:11], v[22:23], v[12:13]
	s_delay_alu instid0(VALU_DEP_3) | instskip(NEXT) | instid1(VALU_DEP_3)
	v_mov_b32_e32 v11, v25
	v_div_fixup_f32 v2, v1, v3, 1.0
	s_delay_alu instid0(VALU_DEP_1)
	v_pk_mul_f32 v[10:11], v[10:11], v[2:3] op_sel_hi:[1,0]
.LBB248_160:                            ;   in Loop: Header=BB248_4 Depth=1
	s_or_b32 exec_lo, exec_lo, s2
	v_and_b32_e32 v1, 0x7fffffff, v5
	v_xor_b32_e32 v13, 0x80000000, v5
	s_mov_b32 s2, exec_lo
	s_delay_alu instid0(VALU_DEP_2)
	v_cmpx_ne_u32_e32 0, v1
	s_xor_b32 s33, exec_lo, s2
	s_cbranch_execz .LBB248_202
; %bb.161:                              ;   in Loop: Header=BB248_4 Depth=1
	v_and_b32_e32 v2, 0x7fffffff, v4
	s_mov_b32 s2, exec_lo
	s_delay_alu instid0(VALU_DEP_1)
	v_cmpx_ne_u32_e32 0, v2
	s_xor_b32 s34, exec_lo, s2
	s_cbranch_execz .LBB248_191
; %bb.162:                              ;   in Loop: Header=BB248_4 Depth=1
	v_xor_b32_e32 v16, 0x80000000, v4
	s_mov_b32 s2, exec_lo
	v_cmpx_gt_u32_e32 0x7f800000, v1
	s_xor_b32 s35, exec_lo, s2
	s_cbranch_execz .LBB248_184
; %bb.163:                              ;   in Loop: Header=BB248_4 Depth=1
	v_add_nc_u32_e32 v2, 0xbd4e8de8, v16
	s_mov_b32 s2, exec_lo
	s_delay_alu instid0(VALU_DEP_1)
	v_cmpx_lt_u32_e32 0x8e8e5c, v2
	s_xor_b32 s36, exec_lo, s2
	s_cbranch_execz .LBB248_173
; %bb.164:                              ;   in Loop: Header=BB248_4 Depth=1
	v_cmp_ngt_f32_e64 s37, 0x48000000, |v5|
                                        ; implicit-def: $vgpr3
                                        ; implicit-def: $vgpr2
	s_and_saveexec_b32 s2, s37
	s_delay_alu instid0(SALU_CYCLE_1)
	s_xor_b32 s38, exec_lo, s2
	s_cbranch_execz .LBB248_166
; %bb.165:                              ;   in Loop: Header=BB248_4 Depth=1
	v_and_or_b32 v16, v1, s27, 0x800000
	v_dual_mov_b32 v31, v17 :: v_dual_mov_b32 v33, v17
	s_delay_alu instid0(VALU_DEP_2) | instskip(NEXT) | instid1(VALU_DEP_1)
	v_mul_u64_e32 v[2:3], s[22:23], v[16:17]
	v_dual_mov_b32 v23, v17 :: v_dual_mov_b32 v22, v3
	v_lshrrev_b32_e32 v3, 23, v1
	s_delay_alu instid0(VALU_DEP_2) | instskip(SKIP_1) | instid1(VALU_DEP_3)
	v_mad_nc_u64_u32 v[22:23], 0x3c439041, v16, v[22:23]
	v_mov_b32_e32 v25, v17
	v_add_nc_u32_e32 v3, 0xffffff88, v3
	s_delay_alu instid0(VALU_DEP_1) | instskip(NEXT) | instid1(VALU_DEP_4)
	v_cmp_lt_u32_e32 vcc_lo, 63, v3
	v_mov_b32_e32 v24, v23
	v_cndmask_b32_e64 v12, 0, 0xffffffc0, vcc_lo
	s_delay_alu instid0(VALU_DEP_2) | instskip(NEXT) | instid1(VALU_DEP_2)
	v_mad_nc_u64_u32 v[24:25], 0xdb629599, v16, v[24:25]
	v_dual_mov_b32 v27, v17 :: v_dual_add_nc_u32 v3, v12, v3
	s_delay_alu instid0(VALU_DEP_1) | instskip(NEXT) | instid1(VALU_DEP_3)
	v_cmp_lt_u32_e64 s2, 31, v3
	v_mov_b32_e32 v26, v25
	s_delay_alu instid0(VALU_DEP_2) | instskip(NEXT) | instid1(VALU_DEP_2)
	v_cndmask_b32_e64 v12, 0, 0xffffffe0, s2
	v_mad_nc_u64_u32 v[26:27], 0xf534ddc0, v16, v[26:27]
	s_delay_alu instid0(VALU_DEP_2) | instskip(NEXT) | instid1(VALU_DEP_1)
	v_dual_mov_b32 v29, v17 :: v_dual_add_nc_u32 v3, v12, v3
	v_cmp_lt_u32_e64 s3, 31, v3
	s_delay_alu instid0(VALU_DEP_3) | instskip(NEXT) | instid1(VALU_DEP_2)
	v_mov_b32_e32 v28, v27
	v_cndmask_b32_e64 v12, 0, 0xffffffe0, s3
	s_delay_alu instid0(VALU_DEP_2) | instskip(NEXT) | instid1(VALU_DEP_2)
	v_mad_nc_u64_u32 v[28:29], 0xfc2757d1, v16, v[28:29]
	v_dual_cndmask_b32 v12, v26, v22 :: v_dual_add_nc_u32 v3, v12, v3
	s_delay_alu instid0(VALU_DEP_2) | instskip(NEXT) | instid1(VALU_DEP_1)
	v_dual_mov_b32 v30, v29 :: v_dual_cndmask_b32 v27, v28, v24
	v_mad_nc_u64_u32 v[30:31], 0x4e441529, v16, v[30:31]
	s_delay_alu instid0(VALU_DEP_1) | instskip(NEXT) | instid1(VALU_DEP_1)
	v_mov_b32_e32 v32, v31
	v_mad_nc_u64_u32 v[32:33], 0xa2f9836e, v16, v[32:33]
	s_delay_alu instid0(VALU_DEP_3) | instskip(NEXT) | instid1(VALU_DEP_2)
	v_dual_cndmask_b32 v16, v30, v26, vcc_lo :: v_dual_cndmask_b32 v26, v27, v12, s2
	v_dual_cndmask_b32 v23, v32, v28, vcc_lo :: v_dual_cndmask_b32 v25, v33, v30, vcc_lo
	s_delay_alu instid0(VALU_DEP_1) | instskip(SKIP_1) | instid1(VALU_DEP_2)
	v_dual_cndmask_b32 v22, v23, v16, s2 :: v_dual_cndmask_b32 v23, v25, v23, s2
	v_cndmask_b32_e64 v16, v16, v27, s2
	v_dual_sub_nc_u32 v25, 32, v3 :: v_dual_cndmask_b32 v23, v23, v22, s3
	s_delay_alu instid0(VALU_DEP_2) | instskip(NEXT) | instid1(VALU_DEP_1)
	v_dual_cndmask_b32 v22, v22, v16, s3 :: v_dual_cndmask_b32 v16, v16, v26, s3
	v_alignbit_b32 v27, v23, v22, v25
	v_cndmask_b32_e32 v2, v24, v2, vcc_lo
	v_cmp_eq_u32_e32 vcc_lo, 0, v3
	s_delay_alu instid0(VALU_DEP_4) | instskip(NEXT) | instid1(VALU_DEP_3)
	v_alignbit_b32 v24, v22, v16, v25
	v_dual_cndmask_b32 v3, v27, v23, vcc_lo :: v_dual_cndmask_b32 v2, v12, v2, s2
	s_delay_alu instid0(VALU_DEP_2) | instskip(NEXT) | instid1(VALU_DEP_2)
	v_cndmask_b32_e32 v12, v24, v22, vcc_lo
	v_bfe_u32 v22, v3, 29, 1
	s_delay_alu instid0(VALU_DEP_1) | instskip(NEXT) | instid1(VALU_DEP_3)
	v_sub_nc_u32_e32 v24, 0, v22
	v_alignbit_b32 v23, v3, v12, 30
	s_delay_alu instid0(VALU_DEP_1) | instskip(NEXT) | instid1(VALU_DEP_1)
	v_dual_cndmask_b32 v2, v26, v2, s3 :: v_dual_bitop2_b32 v23, v23, v24 bitop3:0x14
	v_alignbit_b32 v25, v16, v2, v25
	s_delay_alu instid0(VALU_DEP_1) | instskip(NEXT) | instid1(VALU_DEP_3)
	v_cndmask_b32_e32 v16, v25, v16, vcc_lo
	v_clz_i32_u32_e32 v25, v23
	s_delay_alu instid0(VALU_DEP_2) | instskip(NEXT) | instid1(VALU_DEP_2)
	v_alignbit_b32 v12, v12, v16, 30
	v_min_u32_e32 v25, 32, v25
	v_alignbit_b32 v2, v16, v2, 30
	s_delay_alu instid0(VALU_DEP_2) | instskip(NEXT) | instid1(VALU_DEP_2)
	v_dual_sub_nc_u32 v16, 31, v25 :: v_dual_bitop2_b32 v12, v12, v24 bitop3:0x14
	v_dual_lshrrev_b32 v24, 29, v3 :: v_dual_bitop2_b32 v2, v2, v24 bitop3:0x14
	v_dual_lshlrev_b32 v26, 23, v25 :: v_dual_lshrrev_b32 v3, 30, v3
	s_delay_alu instid0(VALU_DEP_3) | instskip(NEXT) | instid1(VALU_DEP_3)
	v_alignbit_b32 v23, v23, v12, v16
	v_alignbit_b32 v2, v12, v2, v16
	s_delay_alu instid0(VALU_DEP_3) | instskip(NEXT) | instid1(VALU_DEP_2)
	v_dual_lshlrev_b32 v12, 31, v24 :: v_dual_add_nc_u32 v3, v22, v3
	v_alignbit_b32 v16, v23, v2, 9
	s_delay_alu instid0(VALU_DEP_2) | instskip(SKIP_1) | instid1(VALU_DEP_3)
	v_dual_lshrrev_b32 v23, 9, v23 :: v_dual_bitop2_b32 v24, 0.5, v12 bitop3:0x54
	v_or_b32_e32 v12, 0x33000000, v12
	v_clz_i32_u32_e32 v27, v16
	s_delay_alu instid0(VALU_DEP_3) | instskip(NEXT) | instid1(VALU_DEP_2)
	v_sub_nc_u32_e32 v24, v24, v26
	v_min_u32_e32 v26, 32, v27
	s_delay_alu instid0(VALU_DEP_1) | instskip(NEXT) | instid1(VALU_DEP_3)
	v_add_lshl_u32 v25, v26, v25, 23
	v_or_b32_e32 v23, v23, v24
	v_not_b32_e32 v24, v26
	s_delay_alu instid0(VALU_DEP_2) | instskip(NEXT) | instid1(VALU_DEP_2)
	v_dual_mul_f32 v27, 0x3fc90fda, v23 :: v_dual_sub_nc_u32 v12, v12, v25
	v_alignbit_b32 v2, v16, v2, v24
	s_delay_alu instid0(VALU_DEP_2) | instskip(NEXT) | instid1(VALU_DEP_2)
	v_fma_f32 v16, 0x3fc90fda, v23, -v27
	v_lshrrev_b32_e32 v2, 9, v2
	s_delay_alu instid0(VALU_DEP_2) | instskip(NEXT) | instid1(VALU_DEP_2)
	v_fmac_f32_e32 v16, 0x33a22168, v23
	v_or_b32_e32 v2, v12, v2
	s_delay_alu instid0(VALU_DEP_1) | instskip(NEXT) | instid1(VALU_DEP_1)
	v_fmac_f32_e32 v16, 0x3fc90fda, v2
	v_add_f32_e32 v2, v27, v16
	s_and_not1_saveexec_b32 s2, s38
	s_branch .LBB248_167
.LBB248_166:                            ;   in Loop: Header=BB248_4 Depth=1
	s_and_not1_saveexec_b32 s2, s38
.LBB248_167:                            ;   in Loop: Header=BB248_4 Depth=1
	v_mul_f32_e64 v2, 0x3f22f983, |v5|
	s_delay_alu instid0(VALU_DEP_1) | instskip(NEXT) | instid1(VALU_DEP_1)
	v_rndne_f32_e32 v3, v2
	v_fma_f32 v2, 0xbfc90fda, v3, |v5|
	s_delay_alu instid0(VALU_DEP_1) | instskip(NEXT) | instid1(VALU_DEP_1)
	v_fmac_f32_e32 v2, 0xb3a22168, v3
	v_fmac_f32_e32 v2, 0xa7c234c4, v3
	v_cvt_i32_f32_e32 v3, v3
; %bb.168:                              ;   in Loop: Header=BB248_4 Depth=1
	s_or_b32 exec_lo, exec_lo, s2
                                        ; implicit-def: $vgpr16
                                        ; implicit-def: $vgpr12
	s_and_saveexec_b32 s2, s37
	s_delay_alu instid0(SALU_CYCLE_1)
	s_xor_b32 s37, exec_lo, s2
	s_cbranch_execz .LBB248_170
; %bb.169:                              ;   in Loop: Header=BB248_4 Depth=1
	v_and_or_b32 v16, v1, s27, 0x800000
	v_dual_mov_b32 v33, v17 :: v_dual_lshrrev_b32 v12, 23, v1
	v_mov_b32_e32 v35, v17
	s_delay_alu instid0(VALU_DEP_3) | instskip(NEXT) | instid1(VALU_DEP_1)
	v_mul_u64_e32 v[22:23], s[22:23], v[16:17]
	v_dual_mov_b32 v25, v17 :: v_dual_mov_b32 v24, v23
	s_delay_alu instid0(VALU_DEP_1) | instskip(NEXT) | instid1(VALU_DEP_1)
	v_mad_nc_u64_u32 v[24:25], 0x3c439041, v16, v[24:25]
	v_dual_mov_b32 v27, v17 :: v_dual_mov_b32 v26, v25
	s_delay_alu instid0(VALU_DEP_1) | instskip(NEXT) | instid1(VALU_DEP_1)
	v_mad_nc_u64_u32 v[26:27], 0xdb629599, v16, v[26:27]
	;; [unrolled: 3-line block ×4, first 2 shown]
	v_mov_b32_e32 v32, v31
	s_delay_alu instid0(VALU_DEP_1) | instskip(NEXT) | instid1(VALU_DEP_1)
	v_mad_nc_u64_u32 v[32:33], 0x4e441529, v16, v[32:33]
	v_mov_b32_e32 v34, v33
	s_delay_alu instid0(VALU_DEP_1) | instskip(SKIP_1) | instid1(VALU_DEP_1)
	v_mad_nc_u64_u32 v[34:35], 0xa2f9836e, v16, v[34:35]
	v_add_nc_u32_e32 v12, 0xffffff88, v12
	v_cmp_lt_u32_e32 vcc_lo, 63, v12
	v_cndmask_b32_e64 v23, 0, 0xffffffc0, vcc_lo
	s_delay_alu instid0(VALU_DEP_4) | instskip(SKIP_1) | instid1(VALU_DEP_3)
	v_cndmask_b32_e32 v25, v34, v30, vcc_lo
	v_cndmask_b32_e32 v29, v30, v26, vcc_lo
	v_dual_cndmask_b32 v22, v26, v22, vcc_lo :: v_dual_add_nc_u32 v12, v23, v12
	s_delay_alu instid0(VALU_DEP_1) | instskip(SKIP_1) | instid1(VALU_DEP_2)
	v_cmp_lt_u32_e64 s2, 31, v12
	v_cndmask_b32_e32 v27, v35, v32, vcc_lo
	v_cndmask_b32_e64 v23, 0, 0xffffffe0, s2
	s_delay_alu instid0(VALU_DEP_1) | instskip(SKIP_1) | instid1(VALU_DEP_2)
	v_add_nc_u32_e32 v12, v23, v12
	v_cndmask_b32_e32 v23, v32, v28, vcc_lo
	v_cmp_lt_u32_e64 s3, 31, v12
	s_delay_alu instid0(VALU_DEP_1) | instskip(NEXT) | instid1(VALU_DEP_1)
	v_cndmask_b32_e64 v16, 0, 0xffffffe0, s3
	v_add_nc_u32_e32 v12, v16, v12
	s_delay_alu instid0(VALU_DEP_4) | instskip(SKIP_1) | instid1(VALU_DEP_3)
	v_dual_cndmask_b32 v16, v28, v24, vcc_lo :: v_dual_cndmask_b32 v24, v25, v23, s2
	v_cndmask_b32_e64 v25, v27, v25, s2
	v_dual_cndmask_b32 v23, v23, v29, s2 :: v_dual_sub_nc_u32 v27, 32, v12
	v_cmp_eq_u32_e32 vcc_lo, 0, v12
	s_delay_alu instid0(VALU_DEP_3) | instskip(NEXT) | instid1(VALU_DEP_3)
	v_cndmask_b32_e64 v25, v25, v24, s3
	v_dual_cndmask_b32 v28, v29, v16, s2 :: v_dual_cndmask_b32 v24, v24, v23, s3
	s_delay_alu instid0(VALU_DEP_1) | instskip(NEXT) | instid1(VALU_DEP_1)
	v_alignbit_b32 v29, v25, v24, v27
	v_dual_cndmask_b32 v23, v23, v28, s3 :: v_dual_cndmask_b32 v12, v29, v25, vcc_lo
	s_delay_alu instid0(VALU_DEP_1) | instskip(NEXT) | instid1(VALU_DEP_1)
	v_alignbit_b32 v26, v24, v23, v27
	v_dual_cndmask_b32 v16, v16, v22, s2 :: v_dual_cndmask_b32 v22, v26, v24, vcc_lo
	s_delay_alu instid0(VALU_DEP_3) | instskip(NEXT) | instid1(VALU_DEP_2)
	v_bfe_u32 v24, v12, 29, 1
	v_alignbit_b32 v25, v12, v22, 30
	s_delay_alu instid0(VALU_DEP_2) | instskip(NEXT) | instid1(VALU_DEP_1)
	v_sub_nc_u32_e32 v26, 0, v24
	v_dual_cndmask_b32 v16, v28, v16, s3 :: v_dual_bitop2_b32 v25, v25, v26 bitop3:0x14
	s_delay_alu instid0(VALU_DEP_1) | instskip(NEXT) | instid1(VALU_DEP_1)
	v_alignbit_b32 v27, v23, v16, v27
	v_cndmask_b32_e32 v23, v27, v23, vcc_lo
	s_delay_alu instid0(VALU_DEP_3) | instskip(NEXT) | instid1(VALU_DEP_2)
	v_clz_i32_u32_e32 v27, v25
	v_alignbit_b32 v22, v22, v23, 30
	s_delay_alu instid0(VALU_DEP_2) | instskip(SKIP_1) | instid1(VALU_DEP_2)
	v_min_u32_e32 v27, 32, v27
	v_alignbit_b32 v16, v23, v16, 30
	v_dual_sub_nc_u32 v23, 31, v27 :: v_dual_bitop2_b32 v22, v22, v26 bitop3:0x14
	s_delay_alu instid0(VALU_DEP_2) | instskip(SKIP_1) | instid1(VALU_DEP_3)
	v_dual_lshrrev_b32 v26, 29, v12 :: v_dual_bitop2_b32 v16, v16, v26 bitop3:0x14
	v_lshlrev_b32_e32 v28, 23, v27
	v_alignbit_b32 v25, v25, v22, v23
	s_delay_alu instid0(VALU_DEP_3) | instskip(NEXT) | instid1(VALU_DEP_4)
	v_alignbit_b32 v16, v22, v16, v23
	v_lshlrev_b32_e32 v22, 31, v26
	s_delay_alu instid0(VALU_DEP_2) | instskip(NEXT) | instid1(VALU_DEP_2)
	v_alignbit_b32 v23, v25, v16, 9
	v_dual_lshrrev_b32 v25, 9, v25 :: v_dual_bitop2_b32 v26, 0.5, v22 bitop3:0x54
	v_or_b32_e32 v22, 0x33000000, v22
	s_delay_alu instid0(VALU_DEP_3) | instskip(NEXT) | instid1(VALU_DEP_3)
	v_clz_i32_u32_e32 v29, v23
	v_sub_nc_u32_e32 v26, v26, v28
	s_delay_alu instid0(VALU_DEP_2) | instskip(NEXT) | instid1(VALU_DEP_1)
	v_min_u32_e32 v28, 32, v29
	v_add_lshl_u32 v27, v28, v27, 23
	s_delay_alu instid0(VALU_DEP_3) | instskip(SKIP_1) | instid1(VALU_DEP_2)
	v_or_b32_e32 v25, v25, v26
	v_not_b32_e32 v26, v28
	v_dual_mul_f32 v29, 0x3fc90fda, v25 :: v_dual_sub_nc_u32 v22, v22, v27
	s_delay_alu instid0(VALU_DEP_2) | instskip(NEXT) | instid1(VALU_DEP_2)
	v_alignbit_b32 v16, v23, v16, v26
	v_fma_f32 v23, 0x3fc90fda, v25, -v29
	s_delay_alu instid0(VALU_DEP_1) | instskip(NEXT) | instid1(VALU_DEP_1)
	v_dual_fmac_f32 v23, 0x33a22168, v25 :: v_dual_lshrrev_b32 v16, 9, v16
	v_or_b32_e32 v16, v22, v16
	s_delay_alu instid0(VALU_DEP_1) | instskip(SKIP_1) | instid1(VALU_DEP_1)
	v_fmac_f32_e32 v23, 0x3fc90fda, v16
	v_lshrrev_b32_e32 v16, 30, v12
	v_dual_add_nc_u32 v16, v24, v16 :: v_dual_add_f32 v12, v29, v23
	s_and_not1_saveexec_b32 s2, s37
	s_cbranch_execnz .LBB248_171
	s_branch .LBB248_172
.LBB248_170:                            ;   in Loop: Header=BB248_4 Depth=1
	s_and_not1_saveexec_b32 s2, s37
.LBB248_171:                            ;   in Loop: Header=BB248_4 Depth=1
	v_mul_f32_e64 v12, 0x3f22f983, |v5|
	s_delay_alu instid0(VALU_DEP_1) | instskip(NEXT) | instid1(VALU_DEP_1)
	v_rndne_f32_e32 v16, v12
	v_fma_f32 v12, 0xbfc90fda, v16, |v5|
	s_delay_alu instid0(VALU_DEP_1) | instskip(NEXT) | instid1(VALU_DEP_1)
	v_fmac_f32_e32 v12, 0xb3a22168, v16
	v_fmac_f32_e32 v12, 0xa7c234c4, v16
	v_cvt_i32_f32_e32 v16, v16
.LBB248_172:                            ;   in Loop: Header=BB248_4 Depth=1
	s_or_b32 exec_lo, exec_lo, s2
	v_dual_mul_f32 v22, 0xbfb8aa3b, v4 :: v_dual_mul_f32 v23, v2, v2
	s_delay_alu instid0(VALU_DEP_2) | instskip(SKIP_1) | instid1(VALU_DEP_3)
	v_dual_mul_f32 v25, v12, v12 :: v_dual_bitop2_b32 v24, 1, v3 bitop3:0x40
	v_cmp_ngt_f32_e64 s2, 0xc2b17218, v4
	v_rndne_f32_e32 v26, v22
	v_fma_f32 v27, 0xbfb8aa3b, v4, -v22
	v_fmaak_f32 v29, s29, v23, 0xbab64f3b
	v_dual_fmaak_f32 v30, s28, v25, 0x3c0881c4 :: v_dual_lshlrev_b32 v3, 30, v3
	s_delay_alu instid0(VALU_DEP_4) | instskip(SKIP_2) | instid1(VALU_DEP_4)
	v_sub_f32_e32 v22, v22, v26
	v_fmaak_f32 v28, s28, v23, 0x3c0881c4
	v_cvt_i32_f32_e32 v26, v26
	v_fmaak_f32 v30, v25, v30, 0xbe2aaa9d
	v_fmac_f32_e32 v27, 0xb2a5705f, v4
	v_cmp_eq_u32_e32 vcc_lo, 0, v24
	v_fmaak_f32 v28, v23, v28, 0xbe2aaa9d
	s_delay_alu instid0(VALU_DEP_4) | instskip(NEXT) | instid1(VALU_DEP_4)
	v_dual_fmaak_f32 v29, v23, v29, 0x3d2aabf7 :: v_dual_mul_f32 v30, v25, v30
	v_dual_fmaak_f32 v31, s29, v25, 0xbab64f3b :: v_dual_add_f32 v22, v22, v27
	s_delay_alu instid0(VALU_DEP_2) | instskip(NEXT) | instid1(VALU_DEP_2)
	v_dual_mul_f32 v28, v23, v28 :: v_dual_fmaak_f32 v29, v23, v29, 0xbf000004
	v_dual_fmac_f32 v12, v12, v30 :: v_dual_fmaak_f32 v27, v25, v31, 0x3d2aabf7
	s_delay_alu instid0(VALU_DEP_3) | instskip(NEXT) | instid1(VALU_DEP_2)
	v_exp_f32_e32 v22, v22
	v_fmac_f32_e32 v2, v2, v28
	s_delay_alu instid0(VALU_DEP_3) | instskip(NEXT) | instid1(VALU_DEP_3)
	v_fma_f32 v23, v23, v29, 1.0
	v_fmaak_f32 v27, v25, v27, 0xbf000004
	s_delay_alu instid0(TRANS32_DEP_1) | instskip(NEXT) | instid1(VALU_DEP_3)
	v_ldexp_f32 v22, v22, v26
	v_dual_cndmask_b32 v2, -v2, v23, vcc_lo :: v_dual_bitop2_b32 v26, 1, v16 bitop3:0x40
	v_lshlrev_b32_e32 v16, 30, v16
	s_delay_alu instid0(VALU_DEP_4) | instskip(NEXT) | instid1(VALU_DEP_3)
	v_fma_f32 v25, v25, v27, 1.0
	v_cmp_eq_u32_e32 vcc_lo, 0, v26
	s_delay_alu instid0(VALU_DEP_4) | instskip(NEXT) | instid1(VALU_DEP_4)
	v_bitop3_b32 v2, v3, v2, 0x80000000 bitop3:0x6c
	v_and_or_b32 v1, 0x80000000, v16, v1
	s_delay_alu instid0(VALU_DEP_4) | instskip(SKIP_3) | instid1(VALU_DEP_4)
	v_cndmask_b32_e32 v12, v25, v12, vcc_lo
	v_cmp_nlt_f32_e32 vcc_lo, 0x42ce8ed0, v4
	v_cndmask_b32_e32 v16, 0, v22, vcc_lo
	v_cmp_class_f32_e64 vcc_lo, v5, 0x1f8
	v_xor3_b32 v1, v1, v12, v13
	s_delay_alu instid0(VALU_DEP_3) | instskip(SKIP_1) | instid1(VALU_DEP_1)
	v_cndmask_b32_e64 v3, 0x7f800000, v16, s2
	v_cndmask_b32_e32 v2, 0x7fc00000, v2, vcc_lo
	v_dual_cndmask_b32 v1, 0x7fc00000, v1 :: v_dual_mul_f32 v12, v3, v2
	s_delay_alu instid0(VALU_DEP_1)
	v_mul_f32_e32 v13, v3, v1
                                        ; implicit-def: $vgpr2_vgpr3_vgpr4_vgpr5
                                        ; implicit-def: $vgpr1
.LBB248_173:                            ;   in Loop: Header=BB248_4 Depth=1
	s_and_not1_saveexec_b32 s36, s36
	s_cbranch_execz .LBB248_183
; %bb.174:                              ;   in Loop: Header=BB248_4 Depth=1
	v_cmp_ngt_f32_e64 s37, 0x48000000, |v5|
                                        ; implicit-def: $vgpr3
                                        ; implicit-def: $vgpr2
	s_and_saveexec_b32 s2, s37
	s_delay_alu instid0(SALU_CYCLE_1)
	s_xor_b32 s38, exec_lo, s2
	s_cbranch_execz .LBB248_176
; %bb.175:                              ;   in Loop: Header=BB248_4 Depth=1
	v_and_or_b32 v16, v1, s27, 0x800000
	v_dual_mov_b32 v31, v17 :: v_dual_mov_b32 v33, v17
	s_delay_alu instid0(VALU_DEP_2) | instskip(NEXT) | instid1(VALU_DEP_1)
	v_mul_u64_e32 v[2:3], s[22:23], v[16:17]
	v_dual_mov_b32 v23, v17 :: v_dual_mov_b32 v22, v3
	v_lshrrev_b32_e32 v3, 23, v1
	s_delay_alu instid0(VALU_DEP_2) | instskip(SKIP_1) | instid1(VALU_DEP_3)
	v_mad_nc_u64_u32 v[22:23], 0x3c439041, v16, v[22:23]
	v_mov_b32_e32 v25, v17
	v_add_nc_u32_e32 v3, 0xffffff88, v3
	s_delay_alu instid0(VALU_DEP_1) | instskip(NEXT) | instid1(VALU_DEP_4)
	v_cmp_lt_u32_e32 vcc_lo, 63, v3
	v_mov_b32_e32 v24, v23
	v_cndmask_b32_e64 v12, 0, 0xffffffc0, vcc_lo
	s_delay_alu instid0(VALU_DEP_2) | instskip(NEXT) | instid1(VALU_DEP_2)
	v_mad_nc_u64_u32 v[24:25], 0xdb629599, v16, v[24:25]
	v_dual_mov_b32 v27, v17 :: v_dual_add_nc_u32 v3, v12, v3
	s_delay_alu instid0(VALU_DEP_1) | instskip(NEXT) | instid1(VALU_DEP_3)
	v_cmp_lt_u32_e64 s2, 31, v3
	v_mov_b32_e32 v26, v25
	s_delay_alu instid0(VALU_DEP_2) | instskip(NEXT) | instid1(VALU_DEP_2)
	v_cndmask_b32_e64 v12, 0, 0xffffffe0, s2
	v_mad_nc_u64_u32 v[26:27], 0xf534ddc0, v16, v[26:27]
	s_delay_alu instid0(VALU_DEP_2) | instskip(NEXT) | instid1(VALU_DEP_1)
	v_dual_mov_b32 v29, v17 :: v_dual_add_nc_u32 v3, v12, v3
	v_cmp_lt_u32_e64 s3, 31, v3
	s_delay_alu instid0(VALU_DEP_3) | instskip(NEXT) | instid1(VALU_DEP_2)
	v_mov_b32_e32 v28, v27
	v_cndmask_b32_e64 v12, 0, 0xffffffe0, s3
	s_delay_alu instid0(VALU_DEP_2) | instskip(NEXT) | instid1(VALU_DEP_2)
	v_mad_nc_u64_u32 v[28:29], 0xfc2757d1, v16, v[28:29]
	v_dual_cndmask_b32 v12, v26, v22 :: v_dual_add_nc_u32 v3, v12, v3
	s_delay_alu instid0(VALU_DEP_2) | instskip(NEXT) | instid1(VALU_DEP_1)
	v_dual_mov_b32 v30, v29 :: v_dual_cndmask_b32 v27, v28, v24
	v_mad_nc_u64_u32 v[30:31], 0x4e441529, v16, v[30:31]
	s_delay_alu instid0(VALU_DEP_1) | instskip(NEXT) | instid1(VALU_DEP_1)
	v_mov_b32_e32 v32, v31
	v_mad_nc_u64_u32 v[32:33], 0xa2f9836e, v16, v[32:33]
	s_delay_alu instid0(VALU_DEP_3) | instskip(NEXT) | instid1(VALU_DEP_2)
	v_dual_cndmask_b32 v16, v30, v26, vcc_lo :: v_dual_cndmask_b32 v26, v27, v12, s2
	v_dual_cndmask_b32 v23, v32, v28, vcc_lo :: v_dual_cndmask_b32 v25, v33, v30, vcc_lo
	s_delay_alu instid0(VALU_DEP_1) | instskip(SKIP_1) | instid1(VALU_DEP_2)
	v_dual_cndmask_b32 v22, v23, v16, s2 :: v_dual_cndmask_b32 v23, v25, v23, s2
	v_cndmask_b32_e64 v16, v16, v27, s2
	v_dual_sub_nc_u32 v25, 32, v3 :: v_dual_cndmask_b32 v23, v23, v22, s3
	s_delay_alu instid0(VALU_DEP_2) | instskip(NEXT) | instid1(VALU_DEP_1)
	v_dual_cndmask_b32 v22, v22, v16, s3 :: v_dual_cndmask_b32 v16, v16, v26, s3
	v_alignbit_b32 v27, v23, v22, v25
	v_cndmask_b32_e32 v2, v24, v2, vcc_lo
	v_cmp_eq_u32_e32 vcc_lo, 0, v3
	s_delay_alu instid0(VALU_DEP_4) | instskip(NEXT) | instid1(VALU_DEP_3)
	v_alignbit_b32 v24, v22, v16, v25
	v_dual_cndmask_b32 v3, v27, v23, vcc_lo :: v_dual_cndmask_b32 v2, v12, v2, s2
	s_delay_alu instid0(VALU_DEP_2) | instskip(NEXT) | instid1(VALU_DEP_2)
	v_cndmask_b32_e32 v12, v24, v22, vcc_lo
	v_bfe_u32 v22, v3, 29, 1
	s_delay_alu instid0(VALU_DEP_1) | instskip(NEXT) | instid1(VALU_DEP_3)
	v_sub_nc_u32_e32 v24, 0, v22
	v_alignbit_b32 v23, v3, v12, 30
	s_delay_alu instid0(VALU_DEP_1) | instskip(NEXT) | instid1(VALU_DEP_1)
	v_dual_cndmask_b32 v2, v26, v2, s3 :: v_dual_bitop2_b32 v23, v23, v24 bitop3:0x14
	v_alignbit_b32 v25, v16, v2, v25
	s_delay_alu instid0(VALU_DEP_1) | instskip(NEXT) | instid1(VALU_DEP_3)
	v_cndmask_b32_e32 v16, v25, v16, vcc_lo
	v_clz_i32_u32_e32 v25, v23
	s_delay_alu instid0(VALU_DEP_2) | instskip(NEXT) | instid1(VALU_DEP_2)
	v_alignbit_b32 v12, v12, v16, 30
	v_min_u32_e32 v25, 32, v25
	v_alignbit_b32 v2, v16, v2, 30
	s_delay_alu instid0(VALU_DEP_2) | instskip(NEXT) | instid1(VALU_DEP_2)
	v_dual_sub_nc_u32 v16, 31, v25 :: v_dual_bitop2_b32 v12, v12, v24 bitop3:0x14
	v_dual_lshrrev_b32 v24, 29, v3 :: v_dual_bitop2_b32 v2, v2, v24 bitop3:0x14
	v_dual_lshlrev_b32 v26, 23, v25 :: v_dual_lshrrev_b32 v3, 30, v3
	s_delay_alu instid0(VALU_DEP_3) | instskip(NEXT) | instid1(VALU_DEP_3)
	v_alignbit_b32 v23, v23, v12, v16
	v_alignbit_b32 v2, v12, v2, v16
	s_delay_alu instid0(VALU_DEP_3) | instskip(NEXT) | instid1(VALU_DEP_2)
	v_dual_lshlrev_b32 v12, 31, v24 :: v_dual_add_nc_u32 v3, v22, v3
	v_alignbit_b32 v16, v23, v2, 9
	s_delay_alu instid0(VALU_DEP_2) | instskip(SKIP_1) | instid1(VALU_DEP_3)
	v_dual_lshrrev_b32 v23, 9, v23 :: v_dual_bitop2_b32 v24, 0.5, v12 bitop3:0x54
	v_or_b32_e32 v12, 0x33000000, v12
	v_clz_i32_u32_e32 v27, v16
	s_delay_alu instid0(VALU_DEP_3) | instskip(NEXT) | instid1(VALU_DEP_2)
	v_sub_nc_u32_e32 v24, v24, v26
	v_min_u32_e32 v26, 32, v27
	s_delay_alu instid0(VALU_DEP_1) | instskip(NEXT) | instid1(VALU_DEP_3)
	v_add_lshl_u32 v25, v26, v25, 23
	v_or_b32_e32 v23, v23, v24
	v_not_b32_e32 v24, v26
	s_delay_alu instid0(VALU_DEP_2) | instskip(NEXT) | instid1(VALU_DEP_2)
	v_dual_mul_f32 v27, 0x3fc90fda, v23 :: v_dual_sub_nc_u32 v12, v12, v25
	v_alignbit_b32 v2, v16, v2, v24
	s_delay_alu instid0(VALU_DEP_2) | instskip(NEXT) | instid1(VALU_DEP_2)
	v_fma_f32 v16, 0x3fc90fda, v23, -v27
	v_lshrrev_b32_e32 v2, 9, v2
	s_delay_alu instid0(VALU_DEP_2) | instskip(NEXT) | instid1(VALU_DEP_2)
	v_fmac_f32_e32 v16, 0x33a22168, v23
	v_or_b32_e32 v2, v12, v2
	s_delay_alu instid0(VALU_DEP_1) | instskip(NEXT) | instid1(VALU_DEP_1)
	v_fmac_f32_e32 v16, 0x3fc90fda, v2
	v_add_f32_e32 v2, v27, v16
	s_and_not1_saveexec_b32 s2, s38
	s_branch .LBB248_177
.LBB248_176:                            ;   in Loop: Header=BB248_4 Depth=1
	s_and_not1_saveexec_b32 s2, s38
.LBB248_177:                            ;   in Loop: Header=BB248_4 Depth=1
	v_mul_f32_e64 v2, 0x3f22f983, |v5|
	s_delay_alu instid0(VALU_DEP_1) | instskip(NEXT) | instid1(VALU_DEP_1)
	v_rndne_f32_e32 v3, v2
	v_fma_f32 v2, 0xbfc90fda, v3, |v5|
	s_delay_alu instid0(VALU_DEP_1) | instskip(NEXT) | instid1(VALU_DEP_1)
	v_fmac_f32_e32 v2, 0xb3a22168, v3
	v_fmac_f32_e32 v2, 0xa7c234c4, v3
	v_cvt_i32_f32_e32 v3, v3
; %bb.178:                              ;   in Loop: Header=BB248_4 Depth=1
	s_or_b32 exec_lo, exec_lo, s2
                                        ; implicit-def: $vgpr16
                                        ; implicit-def: $vgpr12
	s_and_saveexec_b32 s2, s37
	s_delay_alu instid0(SALU_CYCLE_1)
	s_xor_b32 s37, exec_lo, s2
	s_cbranch_execz .LBB248_180
; %bb.179:                              ;   in Loop: Header=BB248_4 Depth=1
	v_and_or_b32 v16, v1, s27, 0x800000
	v_dual_mov_b32 v33, v17 :: v_dual_lshrrev_b32 v12, 23, v1
	v_mov_b32_e32 v35, v17
	s_delay_alu instid0(VALU_DEP_3) | instskip(NEXT) | instid1(VALU_DEP_1)
	v_mul_u64_e32 v[22:23], s[22:23], v[16:17]
	v_dual_mov_b32 v25, v17 :: v_dual_mov_b32 v24, v23
	s_delay_alu instid0(VALU_DEP_1) | instskip(NEXT) | instid1(VALU_DEP_1)
	v_mad_nc_u64_u32 v[24:25], 0x3c439041, v16, v[24:25]
	v_dual_mov_b32 v27, v17 :: v_dual_mov_b32 v26, v25
	s_delay_alu instid0(VALU_DEP_1) | instskip(NEXT) | instid1(VALU_DEP_1)
	v_mad_nc_u64_u32 v[26:27], 0xdb629599, v16, v[26:27]
	v_dual_mov_b32 v29, v17 :: v_dual_mov_b32 v28, v27
	s_delay_alu instid0(VALU_DEP_1) | instskip(NEXT) | instid1(VALU_DEP_1)
	v_mad_nc_u64_u32 v[28:29], 0xf534ddc0, v16, v[28:29]
	v_dual_mov_b32 v31, v17 :: v_dual_mov_b32 v30, v29
	s_delay_alu instid0(VALU_DEP_1) | instskip(NEXT) | instid1(VALU_DEP_1)
	v_mad_nc_u64_u32 v[30:31], 0xfc2757d1, v16, v[30:31]
	v_mov_b32_e32 v32, v31
	s_delay_alu instid0(VALU_DEP_1) | instskip(NEXT) | instid1(VALU_DEP_1)
	v_mad_nc_u64_u32 v[32:33], 0x4e441529, v16, v[32:33]
	v_mov_b32_e32 v34, v33
	s_delay_alu instid0(VALU_DEP_1) | instskip(SKIP_1) | instid1(VALU_DEP_1)
	v_mad_nc_u64_u32 v[34:35], 0xa2f9836e, v16, v[34:35]
	v_add_nc_u32_e32 v12, 0xffffff88, v12
	v_cmp_lt_u32_e32 vcc_lo, 63, v12
	v_cndmask_b32_e64 v23, 0, 0xffffffc0, vcc_lo
	s_delay_alu instid0(VALU_DEP_4) | instskip(SKIP_1) | instid1(VALU_DEP_3)
	v_cndmask_b32_e32 v25, v34, v30, vcc_lo
	v_cndmask_b32_e32 v29, v30, v26, vcc_lo
	v_dual_cndmask_b32 v22, v26, v22, vcc_lo :: v_dual_add_nc_u32 v12, v23, v12
	s_delay_alu instid0(VALU_DEP_1) | instskip(SKIP_1) | instid1(VALU_DEP_2)
	v_cmp_lt_u32_e64 s2, 31, v12
	v_cndmask_b32_e32 v27, v35, v32, vcc_lo
	v_cndmask_b32_e64 v23, 0, 0xffffffe0, s2
	s_delay_alu instid0(VALU_DEP_1) | instskip(SKIP_1) | instid1(VALU_DEP_2)
	v_add_nc_u32_e32 v12, v23, v12
	v_cndmask_b32_e32 v23, v32, v28, vcc_lo
	v_cmp_lt_u32_e64 s3, 31, v12
	s_delay_alu instid0(VALU_DEP_1) | instskip(NEXT) | instid1(VALU_DEP_1)
	v_cndmask_b32_e64 v16, 0, 0xffffffe0, s3
	v_add_nc_u32_e32 v12, v16, v12
	s_delay_alu instid0(VALU_DEP_4) | instskip(SKIP_1) | instid1(VALU_DEP_3)
	v_dual_cndmask_b32 v16, v28, v24, vcc_lo :: v_dual_cndmask_b32 v24, v25, v23, s2
	v_cndmask_b32_e64 v25, v27, v25, s2
	v_dual_cndmask_b32 v23, v23, v29, s2 :: v_dual_sub_nc_u32 v27, 32, v12
	v_cmp_eq_u32_e32 vcc_lo, 0, v12
	s_delay_alu instid0(VALU_DEP_3) | instskip(NEXT) | instid1(VALU_DEP_3)
	v_cndmask_b32_e64 v25, v25, v24, s3
	v_dual_cndmask_b32 v28, v29, v16, s2 :: v_dual_cndmask_b32 v24, v24, v23, s3
	s_delay_alu instid0(VALU_DEP_1) | instskip(NEXT) | instid1(VALU_DEP_1)
	v_alignbit_b32 v29, v25, v24, v27
	v_dual_cndmask_b32 v23, v23, v28, s3 :: v_dual_cndmask_b32 v12, v29, v25, vcc_lo
	s_delay_alu instid0(VALU_DEP_1) | instskip(NEXT) | instid1(VALU_DEP_1)
	v_alignbit_b32 v26, v24, v23, v27
	v_dual_cndmask_b32 v16, v16, v22, s2 :: v_dual_cndmask_b32 v22, v26, v24, vcc_lo
	s_delay_alu instid0(VALU_DEP_3) | instskip(NEXT) | instid1(VALU_DEP_2)
	v_bfe_u32 v24, v12, 29, 1
	v_alignbit_b32 v25, v12, v22, 30
	s_delay_alu instid0(VALU_DEP_2) | instskip(NEXT) | instid1(VALU_DEP_1)
	v_sub_nc_u32_e32 v26, 0, v24
	v_dual_cndmask_b32 v16, v28, v16, s3 :: v_dual_bitop2_b32 v25, v25, v26 bitop3:0x14
	s_delay_alu instid0(VALU_DEP_1) | instskip(NEXT) | instid1(VALU_DEP_1)
	v_alignbit_b32 v27, v23, v16, v27
	v_cndmask_b32_e32 v23, v27, v23, vcc_lo
	s_delay_alu instid0(VALU_DEP_3) | instskip(NEXT) | instid1(VALU_DEP_2)
	v_clz_i32_u32_e32 v27, v25
	v_alignbit_b32 v22, v22, v23, 30
	s_delay_alu instid0(VALU_DEP_2) | instskip(SKIP_1) | instid1(VALU_DEP_2)
	v_min_u32_e32 v27, 32, v27
	v_alignbit_b32 v16, v23, v16, 30
	v_dual_sub_nc_u32 v23, 31, v27 :: v_dual_bitop2_b32 v22, v22, v26 bitop3:0x14
	s_delay_alu instid0(VALU_DEP_2) | instskip(SKIP_1) | instid1(VALU_DEP_3)
	v_dual_lshrrev_b32 v26, 29, v12 :: v_dual_bitop2_b32 v16, v16, v26 bitop3:0x14
	v_lshlrev_b32_e32 v28, 23, v27
	v_alignbit_b32 v25, v25, v22, v23
	s_delay_alu instid0(VALU_DEP_3) | instskip(NEXT) | instid1(VALU_DEP_4)
	v_alignbit_b32 v16, v22, v16, v23
	v_lshlrev_b32_e32 v22, 31, v26
	s_delay_alu instid0(VALU_DEP_2) | instskip(NEXT) | instid1(VALU_DEP_2)
	v_alignbit_b32 v23, v25, v16, 9
	v_dual_lshrrev_b32 v25, 9, v25 :: v_dual_bitop2_b32 v26, 0.5, v22 bitop3:0x54
	v_or_b32_e32 v22, 0x33000000, v22
	s_delay_alu instid0(VALU_DEP_3) | instskip(NEXT) | instid1(VALU_DEP_3)
	v_clz_i32_u32_e32 v29, v23
	v_sub_nc_u32_e32 v26, v26, v28
	s_delay_alu instid0(VALU_DEP_2) | instskip(NEXT) | instid1(VALU_DEP_1)
	v_min_u32_e32 v28, 32, v29
	v_add_lshl_u32 v27, v28, v27, 23
	s_delay_alu instid0(VALU_DEP_3) | instskip(SKIP_1) | instid1(VALU_DEP_2)
	v_or_b32_e32 v25, v25, v26
	v_not_b32_e32 v26, v28
	v_dual_mul_f32 v29, 0x3fc90fda, v25 :: v_dual_sub_nc_u32 v22, v22, v27
	s_delay_alu instid0(VALU_DEP_2) | instskip(NEXT) | instid1(VALU_DEP_2)
	v_alignbit_b32 v16, v23, v16, v26
	v_fma_f32 v23, 0x3fc90fda, v25, -v29
	s_delay_alu instid0(VALU_DEP_1) | instskip(NEXT) | instid1(VALU_DEP_1)
	v_dual_fmac_f32 v23, 0x33a22168, v25 :: v_dual_lshrrev_b32 v16, 9, v16
	v_or_b32_e32 v16, v22, v16
	s_delay_alu instid0(VALU_DEP_1) | instskip(SKIP_1) | instid1(VALU_DEP_1)
	v_fmac_f32_e32 v23, 0x3fc90fda, v16
	v_lshrrev_b32_e32 v16, 30, v12
	v_dual_add_nc_u32 v16, v24, v16 :: v_dual_add_f32 v12, v29, v23
	s_and_not1_saveexec_b32 s2, s37
	s_cbranch_execnz .LBB248_181
	s_branch .LBB248_182
.LBB248_180:                            ;   in Loop: Header=BB248_4 Depth=1
	s_and_not1_saveexec_b32 s2, s37
.LBB248_181:                            ;   in Loop: Header=BB248_4 Depth=1
	v_mul_f32_e64 v12, 0x3f22f983, |v5|
	s_delay_alu instid0(VALU_DEP_1) | instskip(NEXT) | instid1(VALU_DEP_1)
	v_rndne_f32_e32 v16, v12
	v_fma_f32 v12, 0xbfc90fda, v16, |v5|
	s_delay_alu instid0(VALU_DEP_1) | instskip(NEXT) | instid1(VALU_DEP_1)
	v_fmac_f32_e32 v12, 0xb3a22168, v16
	v_fmac_f32_e32 v12, 0xa7c234c4, v16
	v_cvt_i32_f32_e32 v16, v16
.LBB248_182:                            ;   in Loop: Header=BB248_4 Depth=1
	s_or_b32 exec_lo, exec_lo, s2
	v_sub_f32_e32 v4, 0xc322e3bc, v4
	s_delay_alu instid0(VALU_DEP_2) | instskip(SKIP_1) | instid1(VALU_DEP_3)
	v_dual_lshlrev_b32 v16, 30, v16 :: v_dual_bitop2_b32 v27, 1, v16 bitop3:0x40
	v_dual_mul_f32 v25, v2, v2 :: v_dual_mul_f32 v26, v12, v12
	v_mul_f32_e32 v22, 0x3fb8aa3b, v4
	s_delay_alu instid0(VALU_DEP_3) | instskip(NEXT) | instid1(VALU_DEP_3)
	v_and_or_b32 v1, 0x80000000, v16, v1
	v_dual_fmaak_f32 v28, s28, v25, 0x3c0881c4 :: v_dual_fmaak_f32 v29, s28, v26, 0x3c0881c4
	s_delay_alu instid0(VALU_DEP_3) | instskip(SKIP_1) | instid1(VALU_DEP_3)
	v_fma_f32 v23, 0x3fb8aa3b, v4, -v22
	v_rndne_f32_e32 v24, v22
	v_fmaak_f32 v28, v25, v28, 0xbe2aaa9d
	s_delay_alu instid0(VALU_DEP_4) | instskip(NEXT) | instid1(VALU_DEP_4)
	v_fmaak_f32 v16, v26, v29, 0xbe2aaa9d
	v_fmac_f32_e32 v23, 0x32a5705f, v4
	s_delay_alu instid0(VALU_DEP_4) | instskip(SKIP_1) | instid1(VALU_DEP_4)
	v_sub_f32_e32 v22, v22, v24
	v_cvt_i32_f32_e32 v24, v24
	v_mul_f32_e32 v16, v26, v16
	s_delay_alu instid0(VALU_DEP_3) | instskip(SKIP_2) | instid1(VALU_DEP_4)
	v_add_f32_e32 v22, v22, v23
	v_lshlrev_b32_e32 v23, 30, v3
	v_cmp_ngt_f32_e32 vcc_lo, 0xc2ce8ed0, v4
	v_dual_fmac_f32 v12, v12, v16 :: v_dual_bitop2_b32 v3, 1, v3 bitop3:0x40
	s_delay_alu instid0(VALU_DEP_4) | instskip(SKIP_1) | instid1(TRANS32_DEP_1)
	v_exp_f32_e32 v22, v22
	v_nop
	v_ldexp_f32 v22, v22, v24
	s_delay_alu instid0(VALU_DEP_1) | instskip(SKIP_1) | instid1(VALU_DEP_2)
	v_cndmask_b32_e32 v22, 0, v22, vcc_lo
	v_cmp_nlt_f32_e32 vcc_lo, 0x42b17218, v4
	v_cndmask_b32_e32 v4, 0x7f800000, v22, vcc_lo
	v_fmaak_f32 v24, s29, v25, 0xbab64f3b
	v_cmp_eq_u32_e32 vcc_lo, 0, v27
	s_delay_alu instid0(VALU_DEP_3) | instskip(NEXT) | instid1(VALU_DEP_3)
	v_lshrrev_b32_e32 v29, 23, v4
	v_fmaak_f32 v24, v25, v24, 0x3d2aabf7
	v_and_or_b32 v4, 0x7fffff, v4, s30
	s_delay_alu instid0(VALU_DEP_3) | instskip(SKIP_1) | instid1(VALU_DEP_4)
	v_subrev_nc_u32_e32 v29, 19, v29
	v_fmaak_f32 v30, s29, v26, 0xbab64f3b
	v_fmaak_f32 v24, v25, v24, 0xbf000004
	s_delay_alu instid0(VALU_DEP_2) | instskip(NEXT) | instid1(VALU_DEP_1)
	v_fmaak_f32 v22, v26, v30, 0x3d2aabf7
	v_fmaak_f32 v22, v26, v22, 0xbf000004
	s_delay_alu instid0(VALU_DEP_1) | instskip(NEXT) | instid1(VALU_DEP_4)
	v_fma_f32 v16, v26, v22, 1.0
	v_fma_f32 v22, v25, v24, 1.0
	v_lshrrev_b16 v24, 15, v29
	s_delay_alu instid0(VALU_DEP_3) | instskip(SKIP_2) | instid1(VALU_DEP_4)
	v_cndmask_b32_e32 v12, v16, v12, vcc_lo
	v_cmp_eq_u32_e32 vcc_lo, 0, v3
	v_mul_f32_e32 v28, v25, v28
	v_add_nc_u16 v3, v29, v24
	s_delay_alu instid0(VALU_DEP_4) | instskip(NEXT) | instid1(VALU_DEP_3)
	v_xor3_b32 v1, v1, v12, v13
	v_fmac_f32_e32 v2, v2, v28
	s_delay_alu instid0(VALU_DEP_1) | instskip(SKIP_2) | instid1(VALU_DEP_3)
	v_cndmask_b32_e64 v2, -v2, v22, vcc_lo
	v_cmp_class_f32_e64 vcc_lo, v5, 0x1f8
	v_ashrrev_i16 v5, 1, v3
	v_bitop3_b32 v2, v23, v2, 0x80000000 bitop3:0x6c
	v_cndmask_b32_e32 v3, 0x7fc00000, v1, vcc_lo
	s_delay_alu instid0(VALU_DEP_3) | instskip(NEXT) | instid1(VALU_DEP_3)
	v_bfe_i32 v1, v5, 0, 16
	v_cndmask_b32_e32 v2, 0x7fc00000, v2, vcc_lo
	s_delay_alu instid0(VALU_DEP_1) | instskip(NEXT) | instid1(VALU_DEP_3)
	v_pk_mul_f32 v[2:3], v[2:3], v[4:5] op_sel_hi:[1,0]
	v_sub_nc_u32_e32 v5, v29, v1
	v_lshl_add_u32 v4, v1, 23, 1.0
	s_delay_alu instid0(VALU_DEP_2) | instskip(NEXT) | instid1(VALU_DEP_2)
	v_lshl_add_u32 v12, v5, 23, 1.0
	v_pk_mul_f32 v[2:3], v[2:3], v[4:5] op_sel_hi:[1,0]
	s_delay_alu instid0(VALU_DEP_1)
	v_pk_mul_f32 v[12:13], v[2:3], v[12:13] op_sel_hi:[1,0]
.LBB248_183:                            ;   in Loop: Header=BB248_4 Depth=1
	s_or_b32 exec_lo, exec_lo, s36
                                        ; implicit-def: $vgpr2_vgpr3_vgpr4_vgpr5
                                        ; implicit-def: $vgpr16
                                        ; implicit-def: $vgpr2
.LBB248_184:                            ;   in Loop: Header=BB248_4 Depth=1
	s_and_not1_saveexec_b32 s2, s35
	s_cbranch_execz .LBB248_190
; %bb.185:                              ;   in Loop: Header=BB248_4 Depth=1
	v_sub_f32_e32 v13, v5, v5
	s_mov_b32 s3, exec_lo
	v_cmpx_ne_u32_e32 0x7f800000, v2
	s_xor_b32 s3, exec_lo, s3
; %bb.186:                              ;   in Loop: Header=BB248_4 Depth=1
                                        ; implicit-def: $vgpr16
                                        ; implicit-def: $vgpr2_vgpr3_vgpr4_vgpr5
; %bb.187:                              ;   in Loop: Header=BB248_4 Depth=1
	s_delay_alu instid0(SALU_CYCLE_1)
	s_or_saveexec_b32 s3, s3
	v_mov_b32_e32 v12, v13
	s_xor_b32 exec_lo, exec_lo, s3
; %bb.188:                              ;   in Loop: Header=BB248_4 Depth=1
	v_cmp_lt_i32_e32 vcc_lo, -1, v16
	v_dual_cndmask_b32 v12, 0, -v4, vcc_lo :: v_dual_cndmask_b32 v13, 0, v13, vcc_lo
; %bb.189:                              ;   in Loop: Header=BB248_4 Depth=1
	s_or_b32 exec_lo, exec_lo, s3
.LBB248_190:                            ;   in Loop: Header=BB248_4 Depth=1
	s_delay_alu instid0(SALU_CYCLE_1)
	s_or_b32 exec_lo, exec_lo, s2
                                        ; implicit-def: $vgpr2_vgpr3_vgpr4_vgpr5
                                        ; implicit-def: $vgpr1
.LBB248_191:                            ;   in Loop: Header=BB248_4 Depth=1
	s_and_not1_saveexec_b32 s34, s34
	s_cbranch_execz .LBB248_201
; %bb.192:                              ;   in Loop: Header=BB248_4 Depth=1
	v_lshrrev_b32_e32 v2, 23, v1
	v_cmp_ngt_f32_e64 s35, 0x48000000, |v5|
	v_and_or_b32 v16, v1, s27, 0x800000
                                        ; implicit-def: $vgpr3
	s_delay_alu instid0(VALU_DEP_3) | instskip(SKIP_1) | instid1(SALU_CYCLE_1)
	v_add_nc_u32_e32 v4, 0xffffff88, v2
                                        ; implicit-def: $vgpr2
	s_and_saveexec_b32 s2, s35
	s_xor_b32 s36, exec_lo, s2
	s_cbranch_execz .LBB248_194
; %bb.193:                              ;   in Loop: Header=BB248_4 Depth=1
	v_mul_u64_e32 v[2:3], s[22:23], v[16:17]
	v_mov_b32_e32 v23, v17
	v_cmp_lt_u32_e32 vcc_lo, 63, v4
	s_delay_alu instid0(VALU_DEP_3) | instskip(SKIP_1) | instid1(VALU_DEP_2)
	v_dual_mov_b32 v33, v17 :: v_dual_mov_b32 v22, v3
	v_cndmask_b32_e64 v3, 0, 0xffffffc0, vcc_lo
	v_mad_nc_u64_u32 v[22:23], 0x3c439041, v16, v[22:23]
	s_delay_alu instid0(VALU_DEP_2) | instskip(NEXT) | instid1(VALU_DEP_1)
	v_dual_mov_b32 v25, v17 :: v_dual_add_nc_u32 v3, v3, v4
	v_cmp_lt_u32_e64 s2, 31, v3
	s_delay_alu instid0(VALU_DEP_3) | instskip(NEXT) | instid1(VALU_DEP_2)
	v_mov_b32_e32 v24, v23
	v_cndmask_b32_e64 v12, 0, 0xffffffe0, s2
	s_delay_alu instid0(VALU_DEP_2) | instskip(NEXT) | instid1(VALU_DEP_2)
	v_mad_nc_u64_u32 v[24:25], 0xdb629599, v16, v[24:25]
	v_dual_mov_b32 v27, v17 :: v_dual_add_nc_u32 v3, v12, v3
	s_delay_alu instid0(VALU_DEP_1) | instskip(NEXT) | instid1(VALU_DEP_3)
	v_cmp_lt_u32_e64 s3, 31, v3
	v_mov_b32_e32 v26, v25
	s_delay_alu instid0(VALU_DEP_2) | instskip(SKIP_1) | instid1(VALU_DEP_3)
	v_cndmask_b32_e64 v12, 0, 0xffffffe0, s3
	v_cndmask_b32_e32 v2, v24, v2, vcc_lo
	v_mad_nc_u64_u32 v[26:27], 0xf534ddc0, v16, v[26:27]
	s_delay_alu instid0(VALU_DEP_3) | instskip(NEXT) | instid1(VALU_DEP_2)
	v_dual_mov_b32 v29, v17 :: v_dual_add_nc_u32 v3, v12, v3
	v_dual_cndmask_b32 v12, v26, v22, vcc_lo :: v_dual_mov_b32 v28, v27
	s_delay_alu instid0(VALU_DEP_1) | instskip(NEXT) | instid1(VALU_DEP_1)
	v_mad_nc_u64_u32 v[28:29], 0xfc2757d1, v16, v[28:29]
	v_dual_mov_b32 v31, v17 :: v_dual_mov_b32 v30, v29
	s_delay_alu instid0(VALU_DEP_1) | instskip(NEXT) | instid1(VALU_DEP_1)
	v_mad_nc_u64_u32 v[30:31], 0x4e441529, v16, v[30:31]
	v_mov_b32_e32 v32, v31
	s_delay_alu instid0(VALU_DEP_1) | instskip(NEXT) | instid1(VALU_DEP_3)
	v_mad_nc_u64_u32 v[32:33], 0xa2f9836e, v16, v[32:33]
	v_dual_cndmask_b32 v23, v30, v26 :: v_dual_sub_nc_u32 v26, 32, v3
	s_delay_alu instid0(VALU_DEP_2) | instskip(SKIP_2) | instid1(VALU_DEP_3)
	v_dual_cndmask_b32 v25, v32, v28, vcc_lo :: v_dual_cndmask_b32 v27, v33, v30, vcc_lo
	v_cndmask_b32_e32 v28, v28, v24, vcc_lo
	v_cmp_eq_u32_e32 vcc_lo, 0, v3
	v_dual_cndmask_b32 v22, v25, v23, s2 :: v_dual_cndmask_b32 v25, v27, v25, s2
	s_delay_alu instid0(VALU_DEP_3) | instskip(NEXT) | instid1(VALU_DEP_2)
	v_cndmask_b32_e64 v23, v23, v28, s2
	v_dual_cndmask_b32 v27, v28, v12, s2 :: v_dual_cndmask_b32 v25, v25, v22, s3
	s_delay_alu instid0(VALU_DEP_2) | instskip(NEXT) | instid1(VALU_DEP_1)
	v_cndmask_b32_e64 v22, v22, v23, s3
	v_alignbit_b32 v28, v25, v22, v26
	s_delay_alu instid0(VALU_DEP_1) | instskip(NEXT) | instid1(VALU_DEP_1)
	v_dual_cndmask_b32 v23, v23, v27, s3 :: v_dual_cndmask_b32 v3, v28, v25, vcc_lo
	v_alignbit_b32 v24, v22, v23, v26
	v_cndmask_b32_e64 v2, v12, v2, s2
	s_delay_alu instid0(VALU_DEP_2) | instskip(NEXT) | instid1(VALU_DEP_4)
	v_cndmask_b32_e32 v12, v24, v22, vcc_lo
	v_bfe_u32 v22, v3, 29, 1
	s_delay_alu instid0(VALU_DEP_1) | instskip(NEXT) | instid1(VALU_DEP_3)
	v_sub_nc_u32_e32 v25, 0, v22
	v_alignbit_b32 v24, v3, v12, 30
	s_delay_alu instid0(VALU_DEP_1) | instskip(NEXT) | instid1(VALU_DEP_1)
	v_dual_cndmask_b32 v2, v27, v2, s3 :: v_dual_bitop2_b32 v24, v24, v25 bitop3:0x14
	v_alignbit_b32 v26, v23, v2, v26
	s_delay_alu instid0(VALU_DEP_1) | instskip(NEXT) | instid1(VALU_DEP_3)
	v_cndmask_b32_e32 v23, v26, v23, vcc_lo
	v_clz_i32_u32_e32 v26, v24
	s_delay_alu instid0(VALU_DEP_2) | instskip(NEXT) | instid1(VALU_DEP_2)
	v_alignbit_b32 v12, v12, v23, 30
	v_min_u32_e32 v26, 32, v26
	v_alignbit_b32 v2, v23, v2, 30
	s_delay_alu instid0(VALU_DEP_2) | instskip(NEXT) | instid1(VALU_DEP_2)
	v_dual_sub_nc_u32 v23, 31, v26 :: v_dual_bitop2_b32 v12, v12, v25 bitop3:0x14
	v_dual_lshrrev_b32 v25, 29, v3 :: v_dual_bitop2_b32 v2, v2, v25 bitop3:0x14
	v_dual_lshlrev_b32 v27, 23, v26 :: v_dual_lshrrev_b32 v3, 30, v3
	s_delay_alu instid0(VALU_DEP_3) | instskip(NEXT) | instid1(VALU_DEP_3)
	v_alignbit_b32 v24, v24, v12, v23
	v_alignbit_b32 v2, v12, v2, v23
	s_delay_alu instid0(VALU_DEP_3) | instskip(NEXT) | instid1(VALU_DEP_2)
	v_dual_lshlrev_b32 v12, 31, v25 :: v_dual_add_nc_u32 v3, v22, v3
	v_alignbit_b32 v23, v24, v2, 9
	s_delay_alu instid0(VALU_DEP_2) | instskip(SKIP_2) | instid1(VALU_DEP_4)
	v_or_b32_e32 v25, 0.5, v12
	v_lshrrev_b32_e32 v24, 9, v24
	v_or_b32_e32 v12, 0x33000000, v12
	v_clz_i32_u32_e32 v28, v23
	s_delay_alu instid0(VALU_DEP_4) | instskip(NEXT) | instid1(VALU_DEP_2)
	v_sub_nc_u32_e32 v25, v25, v27
	v_min_u32_e32 v27, 32, v28
	s_delay_alu instid0(VALU_DEP_2) | instskip(NEXT) | instid1(VALU_DEP_2)
	v_or_b32_e32 v24, v24, v25
	v_not_b32_e32 v25, v27
	v_add_lshl_u32 v26, v27, v26, 23
	s_delay_alu instid0(VALU_DEP_2) | instskip(NEXT) | instid1(VALU_DEP_2)
	v_alignbit_b32 v2, v23, v2, v25
	v_sub_nc_u32_e32 v12, v12, v26
	s_delay_alu instid0(VALU_DEP_2) | instskip(NEXT) | instid1(VALU_DEP_1)
	v_lshrrev_b32_e32 v2, 9, v2
	v_or_b32_e32 v2, v12, v2
	v_mul_f32_e32 v28, 0x3fc90fda, v24
	s_delay_alu instid0(VALU_DEP_1) | instskip(NEXT) | instid1(VALU_DEP_1)
	v_fma_f32 v23, 0x3fc90fda, v24, -v28
	v_fmac_f32_e32 v23, 0x33a22168, v24
	s_delay_alu instid0(VALU_DEP_1) | instskip(NEXT) | instid1(VALU_DEP_1)
	v_fmac_f32_e32 v23, 0x3fc90fda, v2
	v_add_f32_e32 v2, v28, v23
.LBB248_194:                            ;   in Loop: Header=BB248_4 Depth=1
	s_or_saveexec_b32 s2, s36
	v_mul_f32_e64 v12, 0x3f22f983, |v5|
	s_delay_alu instid0(VALU_DEP_1)
	v_rndne_f32_e32 v23, v12
	s_xor_b32 exec_lo, exec_lo, s2
; %bb.195:                              ;   in Loop: Header=BB248_4 Depth=1
	s_delay_alu instid0(VALU_DEP_1) | instskip(SKIP_1) | instid1(VALU_DEP_2)
	v_fma_f32 v2, 0xbfc90fda, v23, |v5|
	v_cvt_i32_f32_e32 v3, v23
	v_fmac_f32_e32 v2, 0xb3a22168, v23
	s_delay_alu instid0(VALU_DEP_1)
	v_fmac_f32_e32 v2, 0xa7c234c4, v23
; %bb.196:                              ;   in Loop: Header=BB248_4 Depth=1
	s_or_b32 exec_lo, exec_lo, s2
                                        ; implicit-def: $vgpr22
                                        ; implicit-def: $vgpr12
	s_and_saveexec_b32 s2, s35
	s_delay_alu instid0(SALU_CYCLE_1)
	s_xor_b32 s35, exec_lo, s2
	s_cbranch_execz .LBB248_198
; %bb.197:                              ;   in Loop: Header=BB248_4 Depth=1
	v_mul_u64_e32 v[22:23], s[22:23], v[16:17]
	v_mov_b32_e32 v25, v17
	v_cmp_lt_u32_e32 vcc_lo, 63, v4
	v_mov_b32_e32 v35, v17
	v_cndmask_b32_e64 v12, 0, 0xffffffc0, vcc_lo
	s_delay_alu instid0(VALU_DEP_1) | instskip(NEXT) | instid1(VALU_DEP_1)
	v_add_nc_u32_e32 v4, v12, v4
	v_cmp_lt_u32_e64 s2, 31, v4
	s_delay_alu instid0(VALU_DEP_1) | instskip(NEXT) | instid1(VALU_DEP_1)
	v_cndmask_b32_e64 v12, 0, 0xffffffe0, s2
	v_dual_add_nc_u32 v4, v12, v4 :: v_dual_mov_b32 v24, v23
	s_delay_alu instid0(VALU_DEP_1) | instskip(NEXT) | instid1(VALU_DEP_2)
	v_cmp_lt_u32_e64 s3, 31, v4
	v_mad_nc_u64_u32 v[24:25], 0x3c439041, v16, v[24:25]
	v_mov_b32_e32 v27, v17
	s_delay_alu instid0(VALU_DEP_3) | instskip(NEXT) | instid1(VALU_DEP_3)
	v_cndmask_b32_e64 v12, 0, 0xffffffe0, s3
	v_mov_b32_e32 v26, v25
	s_delay_alu instid0(VALU_DEP_1) | instskip(NEXT) | instid1(VALU_DEP_1)
	v_mad_nc_u64_u32 v[26:27], 0xdb629599, v16, v[26:27]
	v_dual_mov_b32 v29, v17 :: v_dual_mov_b32 v28, v27
	s_delay_alu instid0(VALU_DEP_2) | instskip(NEXT) | instid1(VALU_DEP_2)
	v_cndmask_b32_e32 v22, v26, v22, vcc_lo
	v_mad_nc_u64_u32 v[28:29], 0xf534ddc0, v16, v[28:29]
	s_delay_alu instid0(VALU_DEP_1) | instskip(NEXT) | instid1(VALU_DEP_1)
	v_dual_mov_b32 v31, v17 :: v_dual_mov_b32 v30, v29
	v_mad_nc_u64_u32 v[30:31], 0xfc2757d1, v16, v[30:31]
	s_delay_alu instid0(VALU_DEP_1) | instskip(NEXT) | instid1(VALU_DEP_2)
	v_dual_mov_b32 v33, v17 :: v_dual_mov_b32 v32, v31
	v_cndmask_b32_e32 v27, v30, v26, vcc_lo
	s_delay_alu instid0(VALU_DEP_2) | instskip(NEXT) | instid1(VALU_DEP_1)
	v_mad_nc_u64_u32 v[32:33], 0x4e441529, v16, v[32:33]
	v_mov_b32_e32 v34, v33
	s_delay_alu instid0(VALU_DEP_1) | instskip(NEXT) | instid1(VALU_DEP_1)
	v_mad_nc_u64_u32 v[34:35], 0xa2f9836e, v16, v[34:35]
	v_dual_cndmask_b32 v16, v32, v28 :: v_dual_cndmask_b32 v23, v34, v30
	s_delay_alu instid0(VALU_DEP_2) | instskip(SKIP_2) | instid1(VALU_DEP_4)
	v_cndmask_b32_e32 v25, v35, v32, vcc_lo
	v_add_nc_u32_e32 v4, v12, v4
	v_cndmask_b32_e32 v12, v28, v24, vcc_lo
	v_dual_cndmask_b32 v24, v23, v16, s2 :: v_dual_cndmask_b32 v16, v16, v27, s2
	s_delay_alu instid0(VALU_DEP_4) | instskip(NEXT) | instid1(VALU_DEP_4)
	v_cndmask_b32_e64 v23, v25, v23, s2
	v_cmp_eq_u32_e32 vcc_lo, 0, v4
	s_delay_alu instid0(VALU_DEP_2) | instskip(SKIP_3) | instid1(VALU_DEP_3)
	v_cndmask_b32_e64 v23, v23, v24, s3
	v_cndmask_b32_e64 v27, v27, v12, s2
	v_sub_nc_u32_e32 v25, 32, v4
	v_cndmask_b32_e64 v24, v24, v16, s3
	v_cndmask_b32_e64 v16, v16, v27, s3
	;; [unrolled: 1-line block ×3, first 2 shown]
	s_delay_alu instid0(VALU_DEP_3) | instskip(NEXT) | instid1(VALU_DEP_3)
	v_alignbit_b32 v28, v23, v24, v25
	v_alignbit_b32 v26, v24, v16, v25
	s_delay_alu instid0(VALU_DEP_1) | instskip(NEXT) | instid1(VALU_DEP_1)
	v_dual_cndmask_b32 v4, v28, v23, vcc_lo :: v_dual_cndmask_b32 v22, v26, v24, vcc_lo
	v_bfe_u32 v23, v4, 29, 1
	s_delay_alu instid0(VALU_DEP_2) | instskip(NEXT) | instid1(VALU_DEP_2)
	v_alignbit_b32 v24, v4, v22, 30
	v_dual_sub_nc_u32 v26, 0, v23 :: v_dual_cndmask_b32 v12, v27, v12, s3
	s_delay_alu instid0(VALU_DEP_1) | instskip(NEXT) | instid1(VALU_DEP_2)
	v_xor_b32_e32 v24, v24, v26
	v_alignbit_b32 v25, v16, v12, v25
	s_delay_alu instid0(VALU_DEP_1) | instskip(NEXT) | instid1(VALU_DEP_3)
	v_cndmask_b32_e32 v16, v25, v16, vcc_lo
	v_clz_i32_u32_e32 v25, v24
	s_delay_alu instid0(VALU_DEP_2) | instskip(NEXT) | instid1(VALU_DEP_2)
	v_alignbit_b32 v22, v22, v16, 30
	v_min_u32_e32 v25, 32, v25
	v_alignbit_b32 v12, v16, v12, 30
	s_delay_alu instid0(VALU_DEP_2) | instskip(NEXT) | instid1(VALU_DEP_2)
	v_dual_sub_nc_u32 v22, 31, v25 :: v_dual_bitop2_b32 v16, v22, v26 bitop3:0x14
	v_dual_lshrrev_b32 v26, 29, v4 :: v_dual_bitop2_b32 v12, v12, v26 bitop3:0x14
	v_lshlrev_b32_e32 v27, 23, v25
	s_delay_alu instid0(VALU_DEP_3) | instskip(NEXT) | instid1(VALU_DEP_3)
	v_alignbit_b32 v24, v24, v16, v22
	v_alignbit_b32 v12, v16, v12, v22
	s_delay_alu instid0(VALU_DEP_4) | instskip(NEXT) | instid1(VALU_DEP_2)
	v_lshlrev_b32_e32 v16, 31, v26
	v_alignbit_b32 v22, v24, v12, 9
	s_delay_alu instid0(VALU_DEP_2) | instskip(SKIP_2) | instid1(VALU_DEP_4)
	v_or_b32_e32 v26, 0.5, v16
	v_lshrrev_b32_e32 v24, 9, v24
	v_or_b32_e32 v16, 0x33000000, v16
	v_clz_i32_u32_e32 v28, v22
	s_delay_alu instid0(VALU_DEP_4) | instskip(NEXT) | instid1(VALU_DEP_2)
	v_sub_nc_u32_e32 v26, v26, v27
	v_min_u32_e32 v27, 32, v28
	s_delay_alu instid0(VALU_DEP_2) | instskip(NEXT) | instid1(VALU_DEP_2)
	v_or_b32_e32 v24, v24, v26
	v_not_b32_e32 v26, v27
	v_add_lshl_u32 v25, v27, v25, 23
	s_delay_alu instid0(VALU_DEP_2) | instskip(NEXT) | instid1(VALU_DEP_1)
	v_alignbit_b32 v12, v22, v12, v26
	v_dual_sub_nc_u32 v16, v16, v25 :: v_dual_lshrrev_b32 v12, 9, v12
	v_mul_f32_e32 v28, 0x3fc90fda, v24
	s_delay_alu instid0(VALU_DEP_2) | instskip(NEXT) | instid1(VALU_DEP_2)
	v_or_b32_e32 v12, v16, v12
	v_fma_f32 v22, 0x3fc90fda, v24, -v28
	s_delay_alu instid0(VALU_DEP_1) | instskip(NEXT) | instid1(VALU_DEP_1)
	v_fmac_f32_e32 v22, 0x33a22168, v24
	v_fmac_f32_e32 v22, 0x3fc90fda, v12
	s_delay_alu instid0(VALU_DEP_1) | instskip(NEXT) | instid1(VALU_DEP_1)
	v_dual_lshrrev_b32 v4, 30, v4 :: v_dual_add_f32 v12, v28, v22
	v_add_nc_u32_e32 v22, v23, v4
                                        ; implicit-def: $vgpr23
	s_and_not1_saveexec_b32 s2, s35
	s_cbranch_execnz .LBB248_199
	s_branch .LBB248_200
.LBB248_198:                            ;   in Loop: Header=BB248_4 Depth=1
	s_and_not1_saveexec_b32 s2, s35
.LBB248_199:                            ;   in Loop: Header=BB248_4 Depth=1
	v_fma_f32 v12, 0xbfc90fda, v23, |v5|
	v_cvt_i32_f32_e32 v22, v23
	s_delay_alu instid0(VALU_DEP_2) | instskip(NEXT) | instid1(VALU_DEP_1)
	v_fmac_f32_e32 v12, 0xb3a22168, v23
	v_fmac_f32_e32 v12, 0xa7c234c4, v23
.LBB248_200:                            ;   in Loop: Header=BB248_4 Depth=1
	s_or_b32 exec_lo, exec_lo, s2
	s_delay_alu instid0(VALU_DEP_1) | instskip(SKIP_1) | instid1(VALU_DEP_2)
	v_dual_mul_f32 v4, v2, v2 :: v_dual_mul_f32 v16, v12, v12
	v_dual_lshlrev_b32 v3, 30, v3 :: v_dual_bitop2_b32 v23, 1, v3 bitop3:0x40
	v_fmaak_f32 v24, s28, v4, 0x3c0881c4
	s_delay_alu instid0(VALU_DEP_3) | instskip(SKIP_1) | instid1(VALU_DEP_4)
	v_fmaak_f32 v26, s28, v16, 0x3c0881c4
	v_fmaak_f32 v27, s29, v16, 0xbab64f3b
	v_cmp_eq_u32_e32 vcc_lo, 0, v23
	s_delay_alu instid0(VALU_DEP_4) | instskip(NEXT) | instid1(VALU_DEP_4)
	v_fmaak_f32 v24, v4, v24, 0xbe2aaa9d
	v_fmaak_f32 v26, v16, v26, 0xbe2aaa9d
	;; [unrolled: 1-line block ×3, first 2 shown]
	s_delay_alu instid0(VALU_DEP_3) | instskip(NEXT) | instid1(VALU_DEP_3)
	v_mul_f32_e32 v24, v4, v24
	v_mul_f32_e32 v26, v16, v26
	s_delay_alu instid0(VALU_DEP_2) | instskip(NEXT) | instid1(VALU_DEP_2)
	v_dual_fmaak_f32 v25, v4, v25, 0x3d2aabf7 :: v_dual_fmac_f32 v2, v2, v24
	v_fmac_f32_e32 v12, v12, v26
	s_delay_alu instid0(VALU_DEP_2) | instskip(NEXT) | instid1(VALU_DEP_1)
	v_fmaak_f32 v25, v4, v25, 0xbf000004
	v_fma_f32 v4, v4, v25, 1.0
	v_dual_lshlrev_b32 v22, 30, v22 :: v_dual_bitop2_b32 v28, 1, v22 bitop3:0x40
	v_fmaak_f32 v27, v16, v27, 0x3d2aabf7
	s_delay_alu instid0(VALU_DEP_3) | instskip(NEXT) | instid1(VALU_DEP_3)
	v_cndmask_b32_e64 v2, -v2, v4, vcc_lo
	v_cmp_eq_u32_e32 vcc_lo, 0, v28
	s_delay_alu instid0(VALU_DEP_4) | instskip(NEXT) | instid1(VALU_DEP_4)
	v_and_or_b32 v1, 0x80000000, v22, v1
	v_fmaak_f32 v27, v16, v27, 0xbf000004
	s_delay_alu instid0(VALU_DEP_4) | instskip(NEXT) | instid1(VALU_DEP_2)
	v_bitop3_b32 v2, v3, v2, 0x80000000 bitop3:0x6c
	v_fma_f32 v16, v16, v27, 1.0
	s_delay_alu instid0(VALU_DEP_1) | instskip(SKIP_1) | instid1(VALU_DEP_2)
	v_cndmask_b32_e32 v4, v16, v12, vcc_lo
	v_cmp_class_f32_e64 vcc_lo, v5, 0x1f8
	v_xor3_b32 v1, v1, v4, v13
	v_cndmask_b32_e32 v12, 0x7fc00000, v2, vcc_lo
	s_delay_alu instid0(VALU_DEP_2)
	v_cndmask_b32_e32 v13, 0x7fc00000, v1, vcc_lo
.LBB248_201:                            ;   in Loop: Header=BB248_4 Depth=1
	s_or_b32 exec_lo, exec_lo, s34
                                        ; implicit-def: $vgpr2_vgpr3_vgpr4_vgpr5
.LBB248_202:                            ;   in Loop: Header=BB248_4 Depth=1
	s_and_not1_saveexec_b32 s2, s33
	s_cbranch_execz .LBB248_204
; %bb.203:                              ;   in Loop: Header=BB248_4 Depth=1
	v_mul_f32_e32 v1, 0xbfb8aa3b, v4
	v_cmp_nlt_f32_e32 vcc_lo, 0x42ce8ed0, v4
	s_delay_alu instid0(VALU_DEP_2) | instskip(SKIP_1) | instid1(VALU_DEP_2)
	v_rndne_f32_e32 v2, v1
	v_fma_f32 v3, 0xbfb8aa3b, v4, -v1
	v_sub_f32_e32 v1, v1, v2
	s_delay_alu instid0(VALU_DEP_2) | instskip(SKIP_1) | instid1(VALU_DEP_2)
	v_fmac_f32_e32 v3, 0xb2a5705f, v4
	v_cvt_i32_f32_e32 v2, v2
	v_add_f32_e32 v1, v1, v3
	s_delay_alu instid0(VALU_DEP_1) | instskip(SKIP_1) | instid1(TRANS32_DEP_1)
	v_exp_f32_e32 v1, v1
	v_nop
	v_ldexp_f32 v1, v1, v2
	s_delay_alu instid0(VALU_DEP_1) | instskip(SKIP_1) | instid1(VALU_DEP_2)
	v_cndmask_b32_e32 v1, 0, v1, vcc_lo
	v_cmp_ngt_f32_e32 vcc_lo, 0xc2b17218, v4
	v_cndmask_b32_e32 v12, 0x7f800000, v1, vcc_lo
.LBB248_204:                            ;   in Loop: Header=BB248_4 Depth=1
	s_or_b32 exec_lo, exec_lo, s2
	v_mov_b64_e32 v[2:3], s[6:7]
	s_mov_b32 s2, exec_lo
	s_delay_alu instid0(VALU_DEP_1) | instskip(NEXT) | instid1(VALU_DEP_1)
	v_pk_add_f32 v[2:3], v[12:13], v[2:3]
	v_cmp_gt_f32_e32 vcc_lo, 0, v3
	v_cndmask_b32_e64 v1, v3, -v3, vcc_lo
	s_delay_alu instid0(VALU_DEP_3) | instskip(SKIP_1) | instid1(VALU_DEP_1)
	v_cmp_gt_f32_e32 vcc_lo, 0, v2
	v_cndmask_b32_e64 v4, v2, -v2, vcc_lo
	v_cmpx_ge_f32_e32 v4, v1
	s_xor_b32 s3, exec_lo, s2
	s_cbranch_execz .LBB248_210
; %bb.205:                              ;   in Loop: Header=BB248_4 Depth=1
	v_cmp_neq_f32_e32 vcc_lo, 0, v2
	v_cmp_neq_f32_e64 s2, 0, v3
	s_or_b32 s2, vcc_lo, s2
	s_delay_alu instid0(SALU_CYCLE_1) | instskip(NEXT) | instid1(SALU_CYCLE_1)
	s_and_saveexec_b32 s33, s2
	s_xor_b32 s2, exec_lo, s33
	s_cbranch_execz .LBB248_207
; %bb.206:                              ;   in Loop: Header=BB248_4 Depth=1
	v_div_scale_f32 v1, null, v2, v2, v3
	v_div_scale_f32 v12, vcc_lo, v3, v2, v3
	v_mov_b64_e32 v[22:23], s[20:21]
	s_delay_alu instid0(VALU_DEP_3) | instskip(SKIP_1) | instid1(TRANS32_DEP_1)
	v_rcp_f32_e32 v4, v1
	v_nop
	v_fma_f32 v5, -v1, v4, 1.0
	s_delay_alu instid0(VALU_DEP_1) | instskip(NEXT) | instid1(VALU_DEP_1)
	v_fmac_f32_e32 v4, v5, v4
	v_mul_f32_e32 v5, v12, v4
	s_delay_alu instid0(VALU_DEP_1) | instskip(NEXT) | instid1(VALU_DEP_1)
	v_fma_f32 v13, -v1, v5, v12
	v_fmac_f32_e32 v5, v13, v4
	s_delay_alu instid0(VALU_DEP_1) | instskip(NEXT) | instid1(VALU_DEP_1)
	v_fma_f32 v1, -v1, v5, v12
	v_div_fmas_f32 v1, v1, v4, v5
	s_delay_alu instid0(VALU_DEP_1) | instskip(NEXT) | instid1(VALU_DEP_1)
	v_div_fixup_f32 v4, v1, v2, v3
	v_fmac_f32_e32 v2, v3, v4
	s_delay_alu instid0(VALU_DEP_1) | instskip(SKIP_1) | instid1(VALU_DEP_2)
	v_div_scale_f32 v1, null, v2, v2, 1.0
	v_div_scale_f32 v16, vcc_lo, 1.0, v2, 1.0
	v_rcp_f32_e32 v3, v1
	v_nop
	s_delay_alu instid0(TRANS32_DEP_1) | instskip(NEXT) | instid1(VALU_DEP_1)
	v_fma_f32 v5, -v1, v3, 1.0
	v_fmac_f32_e32 v3, v5, v3
	s_delay_alu instid0(VALU_DEP_1) | instskip(NEXT) | instid1(VALU_DEP_1)
	v_mul_f32_e32 v5, v16, v3
	v_fma_f32 v12, -v1, v5, v16
	s_delay_alu instid0(VALU_DEP_1) | instskip(SKIP_1) | instid1(VALU_DEP_2)
	v_fmac_f32_e32 v5, v12, v3
	v_mov_b64_e32 v[12:13], s[6:7]
	v_fma_f32 v1, -v1, v5, v16
	s_delay_alu instid0(VALU_DEP_2) | instskip(NEXT) | instid1(VALU_DEP_2)
	v_pk_fma_f32 v[24:25], v[4:5], v[22:23], v[12:13] op_sel_hi:[0,1,1] neg_lo:[1,0,0] neg_hi:[1,0,0]
	v_div_fmas_f32 v1, v1, v3, v5
	v_pk_fma_f32 v[4:5], v[4:5], v[22:23], v[12:13]
	s_delay_alu instid0(VALU_DEP_3) | instskip(NEXT) | instid1(VALU_DEP_3)
	v_mov_b32_e32 v5, v25
	v_div_fixup_f32 v2, v1, v2, 1.0
                                        ; implicit-def: $vgpr1
	s_delay_alu instid0(VALU_DEP_1)
	v_pk_mul_f32 v[12:13], v[4:5], v[2:3] op_sel_hi:[1,0]
                                        ; implicit-def: $vgpr4
.LBB248_207:                            ;   in Loop: Header=BB248_4 Depth=1
	s_and_not1_saveexec_b32 s33, s2
	s_cbranch_execz .LBB248_209
; %bb.208:                              ;   in Loop: Header=BB248_4 Depth=1
	v_div_scale_f32 v2, null, v1, v1, s7
	v_div_scale_f32 v3, null, v4, v4, s6
	v_div_scale_f32 v22, vcc_lo, s7, v1, s7
	s_delay_alu instid0(VALU_DEP_3) | instskip(NEXT) | instid1(VALU_DEP_2)
	v_rcp_f32_e32 v5, v2
	v_rcp_f32_e32 v12, v3
	s_delay_alu instid0(TRANS32_DEP_2) | instskip(NEXT) | instid1(TRANS32_DEP_1)
	v_fma_f32 v13, -v2, v5, 1.0
	v_fma_f32 v16, -v3, v12, 1.0
	s_delay_alu instid0(VALU_DEP_1) | instskip(SKIP_1) | instid1(VALU_DEP_1)
	v_dual_fmac_f32 v5, v13, v5 :: v_dual_fmac_f32 v12, v16, v12
	v_div_scale_f32 v13, s2, s6, v4, s6
	v_dual_mul_f32 v16, v22, v5 :: v_dual_mul_f32 v23, v13, v12
	s_delay_alu instid0(VALU_DEP_1) | instskip(NEXT) | instid1(VALU_DEP_1)
	v_dual_fma_f32 v24, -v2, v16, v22 :: v_dual_fma_f32 v25, -v3, v23, v13
	v_dual_fmac_f32 v16, v24, v5 :: v_dual_fmac_f32 v23, v25, v12
	s_delay_alu instid0(VALU_DEP_1) | instskip(NEXT) | instid1(VALU_DEP_1)
	v_dual_fma_f32 v2, -v2, v16, v22 :: v_dual_fma_f32 v3, -v3, v23, v13
	v_div_fmas_f32 v2, v2, v5, v16
	s_mov_b32 vcc_lo, s2
	s_delay_alu instid0(VALU_DEP_2) | instskip(NEXT) | instid1(VALU_DEP_2)
	v_div_fmas_f32 v3, v3, v12, v23
	v_div_fixup_f32 v13, v2, v1, s7
	s_delay_alu instid0(VALU_DEP_2)
	v_div_fixup_f32 v12, v3, v4, s6
.LBB248_209:                            ;   in Loop: Header=BB248_4 Depth=1
	s_or_b32 exec_lo, exec_lo, s33
                                        ; implicit-def: $vgpr2_vgpr3
.LBB248_210:                            ;   in Loop: Header=BB248_4 Depth=1
	s_and_not1_saveexec_b32 s2, s3
	s_cbranch_execz .LBB248_3
; %bb.211:                              ;   in Loop: Header=BB248_4 Depth=1
	v_div_scale_f32 v1, null, v3, v3, v2
	v_div_scale_f32 v12, vcc_lo, v2, v3, v2
	v_mov_b64_e32 v[22:23], s[6:7]
	s_delay_alu instid0(VALU_DEP_3) | instskip(SKIP_1) | instid1(TRANS32_DEP_1)
	v_rcp_f32_e32 v4, v1
	v_nop
	v_fma_f32 v5, -v1, v4, 1.0
	s_delay_alu instid0(VALU_DEP_1) | instskip(NEXT) | instid1(VALU_DEP_1)
	v_fmac_f32_e32 v4, v5, v4
	v_mul_f32_e32 v5, v12, v4
	s_delay_alu instid0(VALU_DEP_1) | instskip(NEXT) | instid1(VALU_DEP_1)
	v_fma_f32 v13, -v1, v5, v12
	v_fmac_f32_e32 v5, v13, v4
	s_delay_alu instid0(VALU_DEP_1) | instskip(NEXT) | instid1(VALU_DEP_1)
	v_fma_f32 v1, -v1, v5, v12
	v_div_fmas_f32 v1, v1, v4, v5
	s_delay_alu instid0(VALU_DEP_1) | instskip(NEXT) | instid1(VALU_DEP_1)
	v_div_fixup_f32 v4, v1, v3, v2
	v_fmac_f32_e32 v3, v2, v4
	s_delay_alu instid0(VALU_DEP_1) | instskip(SKIP_1) | instid1(VALU_DEP_2)
	v_div_scale_f32 v1, null, v3, v3, 1.0
	v_div_scale_f32 v16, vcc_lo, 1.0, v3, 1.0
	v_rcp_f32_e32 v2, v1
	v_nop
	s_delay_alu instid0(TRANS32_DEP_1) | instskip(NEXT) | instid1(VALU_DEP_1)
	v_fma_f32 v5, -v1, v2, 1.0
	v_fmac_f32_e32 v2, v5, v2
	s_delay_alu instid0(VALU_DEP_1) | instskip(NEXT) | instid1(VALU_DEP_1)
	v_mul_f32_e32 v5, v16, v2
	v_fma_f32 v12, -v1, v5, v16
	s_delay_alu instid0(VALU_DEP_1) | instskip(SKIP_1) | instid1(VALU_DEP_2)
	v_fmac_f32_e32 v5, v12, v2
	v_mov_b64_e32 v[12:13], s[20:21]
	v_fma_f32 v1, -v1, v5, v16
	s_delay_alu instid0(VALU_DEP_2) | instskip(NEXT) | instid1(VALU_DEP_2)
	v_pk_fma_f32 v[24:25], v[4:5], v[22:23], v[12:13] op_sel_hi:[0,1,1] neg_lo:[0,0,1] neg_hi:[0,0,1]
	v_div_fmas_f32 v1, v1, v2, v5
	v_pk_fma_f32 v[4:5], v[4:5], v[22:23], v[12:13]
	s_delay_alu instid0(VALU_DEP_3) | instskip(NEXT) | instid1(VALU_DEP_3)
	v_mov_b32_e32 v5, v25
	v_div_fixup_f32 v2, v1, v3, 1.0
	s_delay_alu instid0(VALU_DEP_1)
	v_pk_mul_f32 v[12:13], v[4:5], v[2:3] op_sel_hi:[1,0]
	s_branch .LBB248_3
.LBB248_212:
	s_or_b32 exec_lo, exec_lo, s26
	s_mov_b32 s2, 0
.LBB248_213:
	s_delay_alu instid0(SALU_CYCLE_1)
	s_and_not1_b32 vcc_lo, exec_lo, s2
	s_cbranch_vccnz .LBB248_441
; %bb.214:
	v_cmp_lt_i64_e64 s2, s[10:11], 1
	s_and_b32 vcc_lo, exec_lo, s2
	s_cbranch_vccnz .LBB248_441
; %bb.215:
	s_load_b32 s0, s[0:1], 0xc64
	v_min_i64 v[2:3], 0x10000, s[10:11]
	v_min_u64 v[6:7], 0x10000, s[10:11]
	v_dual_mov_b32 v5, 0 :: v_dual_lshlrev_b32 v4, 3, v0
	s_wait_xcnt 0x0
	s_mov_b32 s1, 0
	s_mov_b32 s10, s7
	;; [unrolled: 1-line block ×3, first 2 shown]
	v_mov_b32_e32 v1, v5
	v_add_nc_u64_e32 v[8:9], s[4:5], v[4:5]
	v_add_nc_u64_e32 v[10:11], s[16:17], v[4:5]
	s_mov_b32 s3, s1
	s_mov_b32 s19, s1
	;; [unrolled: 1-line block ×7, first 2 shown]
	s_wait_kmcnt 0x0
	s_and_b32 s0, s0, 0xffff
	s_delay_alu instid0(SALU_CYCLE_1)
	v_add_nc_u64_e32 v[12:13], s[0:1], v[0:1]
	v_mad_nc_u64_u32 v[24:25], s0, 24, v[4:5]
	s_lshl_b32 s20, s0, 4
	s_lshl_b32 s2, s0, 1
	v_add_nc_u64_e32 v[20:21], s[20:21], v[4:5]
	s_mul_i32 s18, s0, 3
	s_lshl_b32 s12, s0, 2
	v_lshlrev_b32_e32 v4, 3, v12
	v_add_nc_u64_e32 v[14:15], s[18:19], v[0:1]
	v_add_nc_u64_e32 v[16:17], s[2:3], v[0:1]
	s_lshl_b32 s14, s0, 5
	v_add_nc_u64_e32 v[18:19], s[4:5], v[20:21]
	v_add_nc_u64_e32 v[20:21], s[16:17], v[20:21]
	v_add_nc_u64_e32 v[22:23], s[4:5], v[24:25]
	v_add_nc_u64_e32 v[24:25], s[16:17], v[24:25]
	v_add_nc_u64_e32 v[26:27], s[4:5], v[4:5]
	v_add_nc_u64_e32 v[28:29], s[16:17], v[4:5]
	s_mov_b64 s[16:17], 0xfe5163ab
	s_mov_b64 s[18:19], 0
	s_mov_b32 s20, 0x7fffff
	s_mov_b32 s21, 0xb94c1982
	s_branch .LBB248_217
.LBB248_216:                            ;   in Loop: Header=BB248_217 Depth=1
	s_wait_xcnt 0x0
	s_or_b32 exec_lo, exec_lo, s0
	s_add_nc_u64 s[18:19], s[18:19], s[12:13]
	v_add_nc_u64_e32 v[8:9], s[14:15], v[8:9]
	v_cmp_ge_i64_e32 vcc_lo, s[18:19], v[2:3]
	v_add_nc_u64_e32 v[10:11], s[14:15], v[10:11]
	v_add_nc_u64_e32 v[22:23], s[14:15], v[22:23]
	;; [unrolled: 1-line block ×7, first 2 shown]
	s_cbranch_vccnz .LBB248_441
.LBB248_217:                            ; =>This Inner Loop Header: Depth=1
	v_add_nc_u64_e32 v[30:31], s[18:19], v[0:1]
	v_dual_mov_b32 v32, 0 :: v_dual_mov_b32 v33, 0
	s_delay_alu instid0(VALU_DEP_2)
	v_cmp_lt_u64_e64 s0, v[30:31], v[6:7]
	s_and_saveexec_b32 s1, s0
	s_cbranch_execz .LBB248_219
; %bb.218:                              ;   in Loop: Header=BB248_217 Depth=1
	v_add_nc_u64_e32 v[30:31], s[8:9], v[8:9]
	global_load_b64 v[32:33], v[30:31], off
.LBB248_219:                            ;   in Loop: Header=BB248_217 Depth=1
	s_wait_xcnt 0x0
	s_or_b32 exec_lo, exec_lo, s1
	v_add_nc_u64_e32 v[30:31], s[18:19], v[12:13]
	v_dual_mov_b32 v34, 0 :: v_dual_mov_b32 v36, 0
	v_mov_b32_e32 v37, 0
	s_delay_alu instid0(VALU_DEP_3)
	v_cmp_lt_u64_e64 s1, v[30:31], v[6:7]
	s_and_saveexec_b32 s2, s1
	s_cbranch_execz .LBB248_221
; %bb.220:                              ;   in Loop: Header=BB248_217 Depth=1
	v_add_nc_u64_e32 v[30:31], s[8:9], v[26:27]
	global_load_b64 v[36:37], v[30:31], off
.LBB248_221:                            ;   in Loop: Header=BB248_217 Depth=1
	s_wait_xcnt 0x0
	s_or_b32 exec_lo, exec_lo, s2
	v_add_nc_u64_e32 v[30:31], s[18:19], v[16:17]
	v_mov_b32_e32 v35, 0
	s_delay_alu instid0(VALU_DEP_2)
	v_cmp_lt_u64_e64 s2, v[30:31], v[6:7]
	s_and_saveexec_b32 s3, s2
	s_cbranch_execz .LBB248_223
; %bb.222:                              ;   in Loop: Header=BB248_217 Depth=1
	v_add_nc_u64_e32 v[30:31], s[8:9], v[18:19]
	global_load_b64 v[34:35], v[30:31], off
.LBB248_223:                            ;   in Loop: Header=BB248_217 Depth=1
	s_wait_xcnt 0x0
	s_or_b32 exec_lo, exec_lo, s3
	v_add_nc_u64_e32 v[38:39], s[18:19], v[14:15]
	v_mov_b32_e32 v30, 0
	s_delay_alu instid0(VALU_DEP_1) | instskip(NEXT) | instid1(VALU_DEP_3)
	v_mov_b32_e32 v31, v30
	v_cmp_lt_u64_e64 s3, v[38:39], v[6:7]
	s_and_saveexec_b32 s4, s3
	s_cbranch_execz .LBB248_225
; %bb.224:                              ;   in Loop: Header=BB248_217 Depth=1
	v_add_nc_u64_e32 v[30:31], s[8:9], v[22:23]
	global_load_b64 v[30:31], v[30:31], off
.LBB248_225:                            ;   in Loop: Header=BB248_217 Depth=1
	s_wait_xcnt 0x0
	s_or_b32 exec_lo, exec_lo, s4
	s_wait_loadcnt 0x0
	v_and_b32_e32 v40, 0x7fffffff, v33
	v_xor_b32_e32 v39, 0x80000000, v33
	s_mov_b32 s4, exec_lo
	s_delay_alu instid0(VALU_DEP_2)
	v_cmpx_ne_u32_e32 0, v40
	s_xor_b32 s24, exec_lo, s4
	s_cbranch_execz .LBB248_266
; %bb.226:                              ;   in Loop: Header=BB248_217 Depth=1
	v_and_b32_e32 v41, 0x7fffffff, v32
	s_mov_b32 s4, exec_lo
	s_delay_alu instid0(VALU_DEP_1)
	v_cmpx_ne_u32_e32 0, v41
	s_xor_b32 s25, exec_lo, s4
	s_cbranch_execz .LBB248_255
; %bb.227:                              ;   in Loop: Header=BB248_217 Depth=1
	v_xor_b32_e32 v4, 0x80000000, v32
	s_mov_b32 s4, exec_lo
	v_cmpx_gt_u32_e32 0x7f800000, v40
	s_xor_b32 s26, exec_lo, s4
	s_cbranch_execz .LBB248_248
; %bb.228:                              ;   in Loop: Header=BB248_217 Depth=1
	v_add_nc_u32_e32 v4, 0xbd4e8de8, v4
	s_mov_b32 s4, exec_lo
	s_delay_alu instid0(VALU_DEP_1)
	v_cmpx_lt_u32_e32 0x8e8e5c, v4
	s_xor_b32 s27, exec_lo, s4
	s_cbranch_execz .LBB248_238
; %bb.229:                              ;   in Loop: Header=BB248_217 Depth=1
	v_cmp_ngt_f32_e64 s28, 0x48000000, |v33|
                                        ; implicit-def: $vgpr41
                                        ; implicit-def: $vgpr38
	s_and_saveexec_b32 s4, s28
	s_delay_alu instid0(SALU_CYCLE_1)
	s_xor_b32 s29, exec_lo, s4
	s_cbranch_execz .LBB248_231
; %bb.230:                              ;   in Loop: Header=BB248_217 Depth=1
	v_and_or_b32 v4, v40, s20, 0x800000
	v_dual_mov_b32 v53, v5 :: v_dual_lshrrev_b32 v38, 23, v40
	v_mov_b32_e32 v55, v5
	s_delay_alu instid0(VALU_DEP_3) | instskip(NEXT) | instid1(VALU_DEP_3)
	v_mul_u64_e32 v[42:43], s[16:17], v[4:5]
	v_dual_mov_b32 v45, v5 :: v_dual_add_nc_u32 v38, 0xffffff88, v38
	s_delay_alu instid0(VALU_DEP_1) | instskip(SKIP_1) | instid1(VALU_DEP_1)
	v_cmp_lt_u32_e32 vcc_lo, 63, v38
	v_cndmask_b32_e64 v41, 0, 0xffffffc0, vcc_lo
	v_add_nc_u32_e32 v38, v41, v38
	s_delay_alu instid0(VALU_DEP_1) | instskip(NEXT) | instid1(VALU_DEP_1)
	v_cmp_lt_u32_e64 s4, 31, v38
	v_cndmask_b32_e64 v41, 0, 0xffffffe0, s4
	v_mov_b32_e32 v44, v43
	s_delay_alu instid0(VALU_DEP_1) | instskip(NEXT) | instid1(VALU_DEP_1)
	v_mad_nc_u64_u32 v[44:45], 0x3c439041, v4, v[44:45]
	v_dual_mov_b32 v47, v5 :: v_dual_mov_b32 v46, v45
	s_delay_alu instid0(VALU_DEP_1) | instskip(NEXT) | instid1(VALU_DEP_1)
	v_mad_nc_u64_u32 v[46:47], 0xdb629599, v4, v[46:47]
	v_dual_mov_b32 v49, v5 :: v_dual_mov_b32 v48, v47
	;; [unrolled: 3-line block ×3, first 2 shown]
	s_delay_alu instid0(VALU_DEP_1) | instskip(NEXT) | instid1(VALU_DEP_1)
	v_mad_nc_u64_u32 v[50:51], 0xfc2757d1, v4, v[50:51]
	v_mov_b32_e32 v52, v51
	s_delay_alu instid0(VALU_DEP_1) | instskip(NEXT) | instid1(VALU_DEP_1)
	v_mad_nc_u64_u32 v[52:53], 0x4e441529, v4, v[52:53]
	v_mov_b32_e32 v54, v53
	s_delay_alu instid0(VALU_DEP_1) | instskip(NEXT) | instid1(VALU_DEP_3)
	v_mad_nc_u64_u32 v[54:55], 0xa2f9836e, v4, v[54:55]
	v_dual_cndmask_b32 v41, v52, v48 :: v_dual_add_nc_u32 v4, v41, v38
	s_delay_alu instid0(VALU_DEP_2) | instskip(NEXT) | instid1(VALU_DEP_2)
	v_cndmask_b32_e32 v45, v55, v52, vcc_lo
	v_cmp_lt_u32_e64 s5, 31, v4
	s_delay_alu instid0(VALU_DEP_4) | instskip(SKIP_1) | instid1(VALU_DEP_3)
	v_cndmask_b32_e32 v43, v54, v50, vcc_lo
	v_cndmask_b32_e32 v47, v50, v46, vcc_lo
	v_cndmask_b32_e64 v38, 0, 0xffffffe0, s5
	s_delay_alu instid0(VALU_DEP_1) | instskip(NEXT) | instid1(VALU_DEP_4)
	v_add_nc_u32_e32 v4, v38, v4
	v_dual_cndmask_b32 v38, v48, v44, vcc_lo :: v_dual_cndmask_b32 v44, v43, v41, s4
	v_cndmask_b32_e64 v43, v45, v43, s4
	s_delay_alu instid0(VALU_DEP_3) | instskip(NEXT) | instid1(VALU_DEP_3)
	v_dual_cndmask_b32 v41, v41, v47, s4 :: v_dual_sub_nc_u32 v45, 32, v4
	v_cndmask_b32_e64 v47, v47, v38, s4
	s_delay_alu instid0(VALU_DEP_2) | instskip(NEXT) | instid1(VALU_DEP_2)
	v_dual_cndmask_b32 v43, v43, v44, s5 :: v_dual_cndmask_b32 v44, v44, v41, s5
	v_cndmask_b32_e64 v41, v41, v47, s5
	s_delay_alu instid0(VALU_DEP_2) | instskip(SKIP_2) | instid1(VALU_DEP_4)
	v_alignbit_b32 v48, v43, v44, v45
	v_cndmask_b32_e32 v42, v46, v42, vcc_lo
	v_cmp_eq_u32_e32 vcc_lo, 0, v4
	v_alignbit_b32 v46, v44, v41, v45
	s_delay_alu instid0(VALU_DEP_4) | instskip(NEXT) | instid1(VALU_DEP_1)
	v_cndmask_b32_e32 v4, v48, v43, vcc_lo
	v_bfe_u32 v43, v4, 29, 1
	v_cndmask_b32_e64 v38, v38, v42, s4
	s_delay_alu instid0(VALU_DEP_2) | instskip(NEXT) | instid1(VALU_DEP_2)
	v_dual_cndmask_b32 v42, v46, v44, vcc_lo :: v_dual_sub_nc_u32 v46, 0, v43
	v_cndmask_b32_e64 v38, v47, v38, s5
	s_delay_alu instid0(VALU_DEP_2) | instskip(NEXT) | instid1(VALU_DEP_2)
	v_alignbit_b32 v44, v4, v42, 30
	v_alignbit_b32 v45, v41, v38, v45
	s_delay_alu instid0(VALU_DEP_1) | instskip(NEXT) | instid1(VALU_DEP_1)
	v_dual_cndmask_b32 v41, v45, v41, vcc_lo :: v_dual_bitop2_b32 v44, v44, v46 bitop3:0x14
	v_clz_i32_u32_e32 v45, v44
	s_delay_alu instid0(VALU_DEP_2) | instskip(NEXT) | instid1(VALU_DEP_2)
	v_alignbit_b32 v42, v42, v41, 30
	v_min_u32_e32 v45, 32, v45
	v_alignbit_b32 v38, v41, v38, 30
	s_delay_alu instid0(VALU_DEP_2) | instskip(NEXT) | instid1(VALU_DEP_2)
	v_dual_sub_nc_u32 v42, 31, v45 :: v_dual_bitop2_b32 v41, v42, v46 bitop3:0x14
	v_dual_lshrrev_b32 v46, 29, v4 :: v_dual_bitop2_b32 v38, v38, v46 bitop3:0x14
	v_dual_lshlrev_b32 v47, 23, v45 :: v_dual_lshrrev_b32 v4, 30, v4
	s_delay_alu instid0(VALU_DEP_3) | instskip(NEXT) | instid1(VALU_DEP_3)
	v_alignbit_b32 v44, v44, v41, v42
	v_alignbit_b32 v38, v41, v38, v42
	s_delay_alu instid0(VALU_DEP_4) | instskip(NEXT) | instid1(VALU_DEP_2)
	v_lshlrev_b32_e32 v41, 31, v46
	v_alignbit_b32 v42, v44, v38, 9
	s_delay_alu instid0(VALU_DEP_2) | instskip(SKIP_1) | instid1(VALU_DEP_3)
	v_dual_lshrrev_b32 v44, 9, v44 :: v_dual_bitop2_b32 v46, 0.5, v41 bitop3:0x54
	v_or_b32_e32 v41, 0x33000000, v41
	v_clz_i32_u32_e32 v48, v42
	s_delay_alu instid0(VALU_DEP_3) | instskip(NEXT) | instid1(VALU_DEP_2)
	v_sub_nc_u32_e32 v46, v46, v47
	v_min_u32_e32 v47, 32, v48
	s_delay_alu instid0(VALU_DEP_1) | instskip(NEXT) | instid1(VALU_DEP_1)
	v_add_lshl_u32 v45, v47, v45, 23
	v_dual_sub_nc_u32 v41, v41, v45 :: v_dual_bitop2_b32 v44, v44, v46 bitop3:0x54
	v_not_b32_e32 v46, v47
	s_delay_alu instid0(VALU_DEP_2) | instskip(NEXT) | instid1(VALU_DEP_2)
	v_mul_f32_e32 v48, 0x3fc90fda, v44
	v_alignbit_b32 v38, v42, v38, v46
	s_delay_alu instid0(VALU_DEP_2) | instskip(NEXT) | instid1(VALU_DEP_2)
	v_fma_f32 v42, 0x3fc90fda, v44, -v48
	v_lshrrev_b32_e32 v38, 9, v38
	s_delay_alu instid0(VALU_DEP_2) | instskip(NEXT) | instid1(VALU_DEP_2)
	v_fmac_f32_e32 v42, 0x33a22168, v44
	v_dual_add_nc_u32 v41, v43, v4 :: v_dual_bitop2_b32 v38, v41, v38 bitop3:0x54
	s_delay_alu instid0(VALU_DEP_1) | instskip(NEXT) | instid1(VALU_DEP_1)
	v_fmac_f32_e32 v42, 0x3fc90fda, v38
	v_add_f32_e32 v38, v48, v42
	s_and_not1_saveexec_b32 s4, s29
	s_branch .LBB248_232
.LBB248_231:                            ;   in Loop: Header=BB248_217 Depth=1
	s_and_not1_saveexec_b32 s4, s29
.LBB248_232:                            ;   in Loop: Header=BB248_217 Depth=1
	v_mul_f32_e64 v4, 0x3f22f983, |v33|
	s_delay_alu instid0(VALU_DEP_1) | instskip(NEXT) | instid1(VALU_DEP_1)
	v_rndne_f32_e32 v4, v4
	v_fma_f32 v38, 0xbfc90fda, v4, |v33|
	v_cvt_i32_f32_e32 v41, v4
	s_delay_alu instid0(VALU_DEP_2) | instskip(NEXT) | instid1(VALU_DEP_1)
	v_fmac_f32_e32 v38, 0xb3a22168, v4
	v_fmac_f32_e32 v38, 0xa7c234c4, v4
; %bb.233:                              ;   in Loop: Header=BB248_217 Depth=1
	s_or_b32 exec_lo, exec_lo, s4
                                        ; implicit-def: $vgpr42
                                        ; implicit-def: $vgpr4
	s_and_saveexec_b32 s4, s28
	s_delay_alu instid0(SALU_CYCLE_1)
	s_xor_b32 s28, exec_lo, s4
	s_cbranch_execz .LBB248_235
; %bb.234:                              ;   in Loop: Header=BB248_217 Depth=1
	v_and_or_b32 v4, v40, s20, 0x800000
	v_mov_b32_e32 v53, v5
	s_delay_alu instid0(VALU_DEP_2) | instskip(NEXT) | instid1(VALU_DEP_1)
	v_mul_u64_e32 v[42:43], s[16:17], v[4:5]
	v_dual_mov_b32 v45, v5 :: v_dual_mov_b32 v44, v43
	v_lshrrev_b32_e32 v43, 23, v40
	s_delay_alu instid0(VALU_DEP_2) | instskip(SKIP_1) | instid1(VALU_DEP_3)
	v_mad_nc_u64_u32 v[44:45], 0x3c439041, v4, v[44:45]
	v_mov_b32_e32 v47, v5
	v_add_nc_u32_e32 v43, 0xffffff88, v43
	s_delay_alu instid0(VALU_DEP_1) | instskip(NEXT) | instid1(VALU_DEP_4)
	v_cmp_lt_u32_e32 vcc_lo, 63, v43
	v_mov_b32_e32 v46, v45
	v_cndmask_b32_e64 v45, 0, 0xffffffc0, vcc_lo
	s_delay_alu instid0(VALU_DEP_2) | instskip(NEXT) | instid1(VALU_DEP_1)
	v_mad_nc_u64_u32 v[46:47], 0xdb629599, v4, v[46:47]
	v_dual_mov_b32 v49, v5 :: v_dual_mov_b32 v48, v47
	s_delay_alu instid0(VALU_DEP_2) | instskip(NEXT) | instid1(VALU_DEP_2)
	v_cndmask_b32_e32 v42, v46, v42, vcc_lo
	v_mad_nc_u64_u32 v[48:49], 0xf534ddc0, v4, v[48:49]
	s_delay_alu instid0(VALU_DEP_1) | instskip(NEXT) | instid1(VALU_DEP_1)
	v_dual_mov_b32 v51, v5 :: v_dual_mov_b32 v50, v49
	v_mad_nc_u64_u32 v[50:51], 0xfc2757d1, v4, v[50:51]
	s_delay_alu instid0(VALU_DEP_1) | instskip(NEXT) | instid1(VALU_DEP_1)
	v_mov_b32_e32 v52, v51
	v_mad_nc_u64_u32 v[52:53], 0x4e441529, v4, v[52:53]
	v_add_nc_u32_e32 v43, v45, v43
	v_mov_b32_e32 v55, v5
	s_delay_alu instid0(VALU_DEP_2) | instskip(NEXT) | instid1(VALU_DEP_4)
	v_cmp_lt_u32_e64 s4, 31, v43
	v_mov_b32_e32 v54, v53
	s_delay_alu instid0(VALU_DEP_2) | instskip(NEXT) | instid1(VALU_DEP_2)
	v_cndmask_b32_e64 v45, 0, 0xffffffe0, s4
	v_mad_nc_u64_u32 v[54:55], 0xa2f9836e, v4, v[54:55]
	s_delay_alu instid0(VALU_DEP_2) | instskip(NEXT) | instid1(VALU_DEP_2)
	v_dual_cndmask_b32 v45, v52, v48 :: v_dual_add_nc_u32 v4, v45, v43
	v_cndmask_b32_e32 v47, v54, v50, vcc_lo
	s_delay_alu instid0(VALU_DEP_2) | instskip(NEXT) | instid1(VALU_DEP_4)
	v_cmp_lt_u32_e64 s5, 31, v4
	v_dual_cndmask_b32 v49, v55, v52 :: v_dual_cndmask_b32 v50, v50, v46
	s_delay_alu instid0(VALU_DEP_2) | instskip(NEXT) | instid1(VALU_DEP_1)
	v_cndmask_b32_e64 v43, 0, 0xffffffe0, s5
	v_add_nc_u32_e32 v4, v43, v4
	v_dual_cndmask_b32 v43, v48, v44, vcc_lo :: v_dual_cndmask_b32 v44, v47, v45, s4
	s_delay_alu instid0(VALU_DEP_4) | instskip(NEXT) | instid1(VALU_DEP_3)
	v_cndmask_b32_e64 v47, v49, v47, s4
	v_dual_cndmask_b32 v45, v45, v50, s4 :: v_dual_sub_nc_u32 v48, 32, v4
	s_delay_alu instid0(VALU_DEP_3) | instskip(SKIP_1) | instid1(VALU_DEP_3)
	v_cndmask_b32_e64 v49, v50, v43, s4
	v_cmp_eq_u32_e32 vcc_lo, 0, v4
	v_dual_cndmask_b32 v47, v47, v44, s5 :: v_dual_cndmask_b32 v44, v44, v45, s5
	s_delay_alu instid0(VALU_DEP_1) | instskip(NEXT) | instid1(VALU_DEP_1)
	v_alignbit_b32 v50, v47, v44, v48
	v_dual_cndmask_b32 v45, v45, v49, s5 :: v_dual_cndmask_b32 v4, v50, v47, vcc_lo
	s_delay_alu instid0(VALU_DEP_1) | instskip(NEXT) | instid1(VALU_DEP_1)
	v_alignbit_b32 v46, v44, v45, v48
	v_dual_cndmask_b32 v42, v43, v42, s4 :: v_dual_cndmask_b32 v43, v46, v44, vcc_lo
	s_delay_alu instid0(VALU_DEP_3) | instskip(NEXT) | instid1(VALU_DEP_2)
	v_bfe_u32 v44, v4, 29, 1
	v_cndmask_b32_e64 v42, v49, v42, s5
	s_delay_alu instid0(VALU_DEP_3) | instskip(NEXT) | instid1(VALU_DEP_3)
	v_alignbit_b32 v46, v4, v43, 30
	v_sub_nc_u32_e32 v47, 0, v44
	s_delay_alu instid0(VALU_DEP_3) | instskip(NEXT) | instid1(VALU_DEP_1)
	v_alignbit_b32 v48, v45, v42, v48
	v_dual_cndmask_b32 v45, v48, v45, vcc_lo :: v_dual_bitop2_b32 v46, v46, v47 bitop3:0x14
	s_delay_alu instid0(VALU_DEP_1) | instskip(NEXT) | instid1(VALU_DEP_2)
	v_clz_i32_u32_e32 v48, v46
	v_alignbit_b32 v43, v43, v45, 30
	v_alignbit_b32 v42, v45, v42, 30
	s_delay_alu instid0(VALU_DEP_3) | instskip(NEXT) | instid1(VALU_DEP_3)
	v_min_u32_e32 v48, 32, v48
	v_xor_b32_e32 v43, v43, v47
	s_delay_alu instid0(VALU_DEP_3) | instskip(NEXT) | instid1(VALU_DEP_3)
	v_dual_lshrrev_b32 v47, 29, v4 :: v_dual_bitop2_b32 v42, v42, v47 bitop3:0x14
	v_dual_sub_nc_u32 v45, 31, v48 :: v_dual_lshlrev_b32 v49, 23, v48
	s_delay_alu instid0(VALU_DEP_1) | instskip(NEXT) | instid1(VALU_DEP_3)
	v_alignbit_b32 v46, v46, v43, v45
	v_alignbit_b32 v42, v43, v42, v45
	s_delay_alu instid0(VALU_DEP_4) | instskip(NEXT) | instid1(VALU_DEP_2)
	v_lshlrev_b32_e32 v43, 31, v47
	v_alignbit_b32 v45, v46, v42, 9
	s_delay_alu instid0(VALU_DEP_2) | instskip(SKIP_1) | instid1(VALU_DEP_3)
	v_dual_lshrrev_b32 v46, 9, v46 :: v_dual_bitop2_b32 v47, 0.5, v43 bitop3:0x54
	v_or_b32_e32 v43, 0x33000000, v43
	v_clz_i32_u32_e32 v50, v45
	s_delay_alu instid0(VALU_DEP_3) | instskip(NEXT) | instid1(VALU_DEP_2)
	v_sub_nc_u32_e32 v47, v47, v49
	v_min_u32_e32 v49, 32, v50
	s_delay_alu instid0(VALU_DEP_1) | instskip(NEXT) | instid1(VALU_DEP_3)
	v_add_lshl_u32 v48, v49, v48, 23
	v_or_b32_e32 v46, v46, v47
	v_not_b32_e32 v47, v49
	s_delay_alu instid0(VALU_DEP_2) | instskip(NEXT) | instid1(VALU_DEP_2)
	v_dual_mul_f32 v50, 0x3fc90fda, v46 :: v_dual_sub_nc_u32 v43, v43, v48
	v_alignbit_b32 v42, v45, v42, v47
	s_delay_alu instid0(VALU_DEP_2) | instskip(NEXT) | instid1(VALU_DEP_2)
	v_fma_f32 v45, 0x3fc90fda, v46, -v50
	v_lshrrev_b32_e32 v42, 9, v42
	s_delay_alu instid0(VALU_DEP_2) | instskip(NEXT) | instid1(VALU_DEP_2)
	v_fmac_f32_e32 v45, 0x33a22168, v46
	v_or_b32_e32 v42, v43, v42
	s_delay_alu instid0(VALU_DEP_1) | instskip(NEXT) | instid1(VALU_DEP_1)
	v_dual_fmac_f32 v45, 0x3fc90fda, v42 :: v_dual_lshrrev_b32 v42, 30, v4
	v_dual_add_nc_u32 v42, v44, v42 :: v_dual_add_f32 v4, v50, v45
	s_and_not1_saveexec_b32 s4, s28
	s_cbranch_execnz .LBB248_236
	s_branch .LBB248_237
.LBB248_235:                            ;   in Loop: Header=BB248_217 Depth=1
	s_and_not1_saveexec_b32 s4, s28
.LBB248_236:                            ;   in Loop: Header=BB248_217 Depth=1
	v_mul_f32_e64 v4, 0x3f22f983, |v33|
	s_delay_alu instid0(VALU_DEP_1) | instskip(NEXT) | instid1(VALU_DEP_1)
	v_rndne_f32_e32 v42, v4
	v_fma_f32 v4, 0xbfc90fda, v42, |v33|
	s_delay_alu instid0(VALU_DEP_1) | instskip(NEXT) | instid1(VALU_DEP_1)
	v_fmac_f32_e32 v4, 0xb3a22168, v42
	v_fmac_f32_e32 v4, 0xa7c234c4, v42
	v_cvt_i32_f32_e32 v42, v42
.LBB248_237:                            ;   in Loop: Header=BB248_217 Depth=1
	s_or_b32 exec_lo, exec_lo, s4
	s_delay_alu instid0(VALU_DEP_1) | instskip(SKIP_2) | instid1(VALU_DEP_3)
	v_dual_mul_f32 v46, v4, v4 :: v_dual_bitop2_b32 v45, 1, v41 bitop3:0x40
	v_dual_mul_f32 v43, 0xbfb8aa3b, v32 :: v_dual_mul_f32 v44, v38, v38
	v_cmp_ngt_f32_e64 s4, 0xc2b17218, v32
	v_cmp_eq_u32_e32 vcc_lo, 0, v45
	s_delay_alu instid0(VALU_DEP_4) | instskip(NEXT) | instid1(VALU_DEP_4)
	v_fmaak_f32 v51, s21, v46, 0x3c0881c4
	v_rndne_f32_e32 v47, v43
	v_fmaak_f32 v50, s22, v44, 0xbab64f3b
	v_fma_f32 v48, 0xbfb8aa3b, v32, -v43
	v_lshlrev_b32_e32 v41, 30, v41
	v_fmaak_f32 v51, v46, v51, 0xbe2aaa9d
	s_delay_alu instid0(VALU_DEP_4) | instskip(SKIP_1) | instid1(VALU_DEP_3)
	v_dual_sub_f32 v43, v43, v47 :: v_dual_fmaak_f32 v50, v44, v50, 0x3d2aabf7
	v_cvt_i32_f32_e32 v47, v47
	v_mul_f32_e32 v51, v46, v51
	v_fmaak_f32 v49, s21, v44, 0x3c0881c4
	s_delay_alu instid0(VALU_DEP_4) | instskip(NEXT) | instid1(VALU_DEP_3)
	v_fmaak_f32 v50, v44, v50, 0xbf000004
	v_fmac_f32_e32 v4, v4, v51
	s_delay_alu instid0(VALU_DEP_3) | instskip(NEXT) | instid1(VALU_DEP_1)
	v_fmaak_f32 v49, v44, v49, 0xbe2aaa9d
	v_dual_fmac_f32 v48, 0xb2a5705f, v32 :: v_dual_mul_f32 v49, v44, v49
	s_delay_alu instid0(VALU_DEP_1) | instskip(SKIP_1) | instid1(VALU_DEP_3)
	v_dual_fmaak_f32 v52, s22, v46, 0xbab64f3b :: v_dual_add_f32 v43, v43, v48
	v_fma_f32 v44, v44, v50, 1.0
	v_fmac_f32_e32 v38, v38, v49
	s_delay_alu instid0(VALU_DEP_3) | instskip(NEXT) | instid1(VALU_DEP_4)
	v_fmaak_f32 v48, v46, v52, 0x3d2aabf7
	v_exp_f32_e32 v43, v43
	s_delay_alu instid0(VALU_DEP_2) | instskip(NEXT) | instid1(VALU_DEP_2)
	v_cndmask_b32_e64 v38, -v38, v44, vcc_lo
	v_fmaak_f32 v48, v46, v48, 0xbf000004
	s_delay_alu instid0(TRANS32_DEP_1) | instskip(SKIP_1) | instid1(VALU_DEP_3)
	v_ldexp_f32 v43, v43, v47
	v_and_b32_e32 v47, 1, v42
	v_fma_f32 v46, v46, v48, 1.0
	v_lshlrev_b32_e32 v42, 30, v42
	v_bitop3_b32 v38, v41, v38, 0x80000000 bitop3:0x6c
	s_delay_alu instid0(VALU_DEP_4) | instskip(NEXT) | instid1(VALU_DEP_3)
	v_cmp_eq_u32_e32 vcc_lo, 0, v47
	v_and_or_b32 v40, 0x80000000, v42, v40
	v_cndmask_b32_e32 v4, v46, v4, vcc_lo
	v_cmp_nlt_f32_e32 vcc_lo, 0x42ce8ed0, v32
	s_delay_alu instid0(VALU_DEP_2) | instskip(SKIP_2) | instid1(VALU_DEP_2)
	v_xor3_b32 v4, v40, v4, v39
	v_cndmask_b32_e32 v42, 0, v43, vcc_lo
	v_cmp_class_f32_e64 vcc_lo, v33, 0x1f8
                                        ; implicit-def: $vgpr40
	v_cndmask_b32_e64 v32, 0x7f800000, v42, s4
	v_cndmask_b32_e32 v33, 0x7fc00000, v38, vcc_lo
	v_cndmask_b32_e32 v4, 0x7fc00000, v4, vcc_lo
	s_delay_alu instid0(VALU_DEP_1)
	v_dual_mul_f32 v38, v32, v33 :: v_dual_mul_f32 v39, v32, v4
                                        ; implicit-def: $vgpr33
.LBB248_238:                            ;   in Loop: Header=BB248_217 Depth=1
	s_and_not1_saveexec_b32 s27, s27
	s_cbranch_execz .LBB248_282
; %bb.239:                              ;   in Loop: Header=BB248_217 Depth=1
	v_cmp_ngt_f32_e64 s28, 0x48000000, |v33|
                                        ; implicit-def: $vgpr41
                                        ; implicit-def: $vgpr38
	s_and_saveexec_b32 s4, s28
	s_delay_alu instid0(SALU_CYCLE_1)
	s_xor_b32 s29, exec_lo, s4
	s_cbranch_execz .LBB248_241
; %bb.240:                              ;   in Loop: Header=BB248_217 Depth=1
	v_and_or_b32 v4, v40, s20, 0x800000
	v_dual_mov_b32 v53, v5 :: v_dual_lshrrev_b32 v38, 23, v40
	v_mov_b32_e32 v55, v5
	s_delay_alu instid0(VALU_DEP_3) | instskip(NEXT) | instid1(VALU_DEP_3)
	v_mul_u64_e32 v[42:43], s[16:17], v[4:5]
	v_dual_mov_b32 v45, v5 :: v_dual_add_nc_u32 v38, 0xffffff88, v38
	s_delay_alu instid0(VALU_DEP_1) | instskip(SKIP_1) | instid1(VALU_DEP_1)
	v_cmp_lt_u32_e32 vcc_lo, 63, v38
	v_cndmask_b32_e64 v41, 0, 0xffffffc0, vcc_lo
	v_add_nc_u32_e32 v38, v41, v38
	s_delay_alu instid0(VALU_DEP_1) | instskip(NEXT) | instid1(VALU_DEP_1)
	v_cmp_lt_u32_e64 s4, 31, v38
	v_cndmask_b32_e64 v41, 0, 0xffffffe0, s4
	v_mov_b32_e32 v44, v43
	s_delay_alu instid0(VALU_DEP_1) | instskip(NEXT) | instid1(VALU_DEP_1)
	v_mad_nc_u64_u32 v[44:45], 0x3c439041, v4, v[44:45]
	v_dual_mov_b32 v47, v5 :: v_dual_mov_b32 v46, v45
	s_delay_alu instid0(VALU_DEP_1) | instskip(NEXT) | instid1(VALU_DEP_1)
	v_mad_nc_u64_u32 v[46:47], 0xdb629599, v4, v[46:47]
	v_dual_mov_b32 v49, v5 :: v_dual_mov_b32 v48, v47
	;; [unrolled: 3-line block ×3, first 2 shown]
	s_delay_alu instid0(VALU_DEP_1) | instskip(NEXT) | instid1(VALU_DEP_1)
	v_mad_nc_u64_u32 v[50:51], 0xfc2757d1, v4, v[50:51]
	v_mov_b32_e32 v52, v51
	s_delay_alu instid0(VALU_DEP_1) | instskip(NEXT) | instid1(VALU_DEP_1)
	v_mad_nc_u64_u32 v[52:53], 0x4e441529, v4, v[52:53]
	v_mov_b32_e32 v54, v53
	s_delay_alu instid0(VALU_DEP_1) | instskip(NEXT) | instid1(VALU_DEP_3)
	v_mad_nc_u64_u32 v[54:55], 0xa2f9836e, v4, v[54:55]
	v_dual_cndmask_b32 v41, v52, v48 :: v_dual_add_nc_u32 v4, v41, v38
	s_delay_alu instid0(VALU_DEP_2) | instskip(NEXT) | instid1(VALU_DEP_2)
	v_cndmask_b32_e32 v45, v55, v52, vcc_lo
	v_cmp_lt_u32_e64 s5, 31, v4
	s_delay_alu instid0(VALU_DEP_4) | instskip(SKIP_1) | instid1(VALU_DEP_3)
	v_cndmask_b32_e32 v43, v54, v50, vcc_lo
	v_cndmask_b32_e32 v47, v50, v46, vcc_lo
	v_cndmask_b32_e64 v38, 0, 0xffffffe0, s5
	s_delay_alu instid0(VALU_DEP_1) | instskip(NEXT) | instid1(VALU_DEP_4)
	v_add_nc_u32_e32 v4, v38, v4
	v_dual_cndmask_b32 v38, v48, v44, vcc_lo :: v_dual_cndmask_b32 v44, v43, v41, s4
	v_cndmask_b32_e64 v43, v45, v43, s4
	s_delay_alu instid0(VALU_DEP_3) | instskip(NEXT) | instid1(VALU_DEP_3)
	v_dual_cndmask_b32 v41, v41, v47, s4 :: v_dual_sub_nc_u32 v45, 32, v4
	v_cndmask_b32_e64 v47, v47, v38, s4
	s_delay_alu instid0(VALU_DEP_2) | instskip(NEXT) | instid1(VALU_DEP_2)
	v_dual_cndmask_b32 v43, v43, v44, s5 :: v_dual_cndmask_b32 v44, v44, v41, s5
	v_cndmask_b32_e64 v41, v41, v47, s5
	s_delay_alu instid0(VALU_DEP_2) | instskip(SKIP_2) | instid1(VALU_DEP_4)
	v_alignbit_b32 v48, v43, v44, v45
	v_cndmask_b32_e32 v42, v46, v42, vcc_lo
	v_cmp_eq_u32_e32 vcc_lo, 0, v4
	v_alignbit_b32 v46, v44, v41, v45
	s_delay_alu instid0(VALU_DEP_4) | instskip(NEXT) | instid1(VALU_DEP_1)
	v_cndmask_b32_e32 v4, v48, v43, vcc_lo
	v_bfe_u32 v43, v4, 29, 1
	v_cndmask_b32_e64 v38, v38, v42, s4
	s_delay_alu instid0(VALU_DEP_2) | instskip(NEXT) | instid1(VALU_DEP_2)
	v_dual_cndmask_b32 v42, v46, v44, vcc_lo :: v_dual_sub_nc_u32 v46, 0, v43
	v_cndmask_b32_e64 v38, v47, v38, s5
	s_delay_alu instid0(VALU_DEP_2) | instskip(NEXT) | instid1(VALU_DEP_2)
	v_alignbit_b32 v44, v4, v42, 30
	v_alignbit_b32 v45, v41, v38, v45
	s_delay_alu instid0(VALU_DEP_1) | instskip(NEXT) | instid1(VALU_DEP_1)
	v_dual_cndmask_b32 v41, v45, v41, vcc_lo :: v_dual_bitop2_b32 v44, v44, v46 bitop3:0x14
	v_clz_i32_u32_e32 v45, v44
	s_delay_alu instid0(VALU_DEP_2) | instskip(NEXT) | instid1(VALU_DEP_2)
	v_alignbit_b32 v42, v42, v41, 30
	v_min_u32_e32 v45, 32, v45
	v_alignbit_b32 v38, v41, v38, 30
	s_delay_alu instid0(VALU_DEP_2) | instskip(NEXT) | instid1(VALU_DEP_2)
	v_dual_sub_nc_u32 v42, 31, v45 :: v_dual_bitop2_b32 v41, v42, v46 bitop3:0x14
	v_dual_lshrrev_b32 v46, 29, v4 :: v_dual_bitop2_b32 v38, v38, v46 bitop3:0x14
	v_dual_lshlrev_b32 v47, 23, v45 :: v_dual_lshrrev_b32 v4, 30, v4
	s_delay_alu instid0(VALU_DEP_3) | instskip(NEXT) | instid1(VALU_DEP_3)
	v_alignbit_b32 v44, v44, v41, v42
	v_alignbit_b32 v38, v41, v38, v42
	s_delay_alu instid0(VALU_DEP_4) | instskip(NEXT) | instid1(VALU_DEP_2)
	v_lshlrev_b32_e32 v41, 31, v46
	v_alignbit_b32 v42, v44, v38, 9
	s_delay_alu instid0(VALU_DEP_2) | instskip(SKIP_1) | instid1(VALU_DEP_3)
	v_dual_lshrrev_b32 v44, 9, v44 :: v_dual_bitop2_b32 v46, 0.5, v41 bitop3:0x54
	v_or_b32_e32 v41, 0x33000000, v41
	v_clz_i32_u32_e32 v48, v42
	s_delay_alu instid0(VALU_DEP_3) | instskip(NEXT) | instid1(VALU_DEP_2)
	v_sub_nc_u32_e32 v46, v46, v47
	v_min_u32_e32 v47, 32, v48
	s_delay_alu instid0(VALU_DEP_1) | instskip(NEXT) | instid1(VALU_DEP_1)
	v_add_lshl_u32 v45, v47, v45, 23
	v_dual_sub_nc_u32 v41, v41, v45 :: v_dual_bitop2_b32 v44, v44, v46 bitop3:0x54
	v_not_b32_e32 v46, v47
	s_delay_alu instid0(VALU_DEP_2) | instskip(NEXT) | instid1(VALU_DEP_2)
	v_mul_f32_e32 v48, 0x3fc90fda, v44
	v_alignbit_b32 v38, v42, v38, v46
	s_delay_alu instid0(VALU_DEP_2) | instskip(NEXT) | instid1(VALU_DEP_2)
	v_fma_f32 v42, 0x3fc90fda, v44, -v48
	v_lshrrev_b32_e32 v38, 9, v38
	s_delay_alu instid0(VALU_DEP_2) | instskip(NEXT) | instid1(VALU_DEP_2)
	v_fmac_f32_e32 v42, 0x33a22168, v44
	v_dual_add_nc_u32 v41, v43, v4 :: v_dual_bitop2_b32 v38, v41, v38 bitop3:0x54
	s_delay_alu instid0(VALU_DEP_1) | instskip(NEXT) | instid1(VALU_DEP_1)
	v_fmac_f32_e32 v42, 0x3fc90fda, v38
	v_add_f32_e32 v38, v48, v42
	s_and_not1_saveexec_b32 s4, s29
	s_branch .LBB248_242
.LBB248_241:                            ;   in Loop: Header=BB248_217 Depth=1
	s_and_not1_saveexec_b32 s4, s29
.LBB248_242:                            ;   in Loop: Header=BB248_217 Depth=1
	v_mul_f32_e64 v4, 0x3f22f983, |v33|
	s_delay_alu instid0(VALU_DEP_1) | instskip(NEXT) | instid1(VALU_DEP_1)
	v_rndne_f32_e32 v4, v4
	v_fma_f32 v38, 0xbfc90fda, v4, |v33|
	v_cvt_i32_f32_e32 v41, v4
	s_delay_alu instid0(VALU_DEP_2) | instskip(NEXT) | instid1(VALU_DEP_1)
	v_fmac_f32_e32 v38, 0xb3a22168, v4
	v_fmac_f32_e32 v38, 0xa7c234c4, v4
; %bb.243:                              ;   in Loop: Header=BB248_217 Depth=1
	s_or_b32 exec_lo, exec_lo, s4
                                        ; implicit-def: $vgpr42
                                        ; implicit-def: $vgpr4
	s_and_saveexec_b32 s4, s28
	s_delay_alu instid0(SALU_CYCLE_1)
	s_xor_b32 s28, exec_lo, s4
	s_cbranch_execz .LBB248_245
; %bb.244:                              ;   in Loop: Header=BB248_217 Depth=1
	v_and_or_b32 v4, v40, s20, 0x800000
	v_mov_b32_e32 v53, v5
	s_delay_alu instid0(VALU_DEP_2) | instskip(NEXT) | instid1(VALU_DEP_1)
	v_mul_u64_e32 v[42:43], s[16:17], v[4:5]
	v_dual_mov_b32 v45, v5 :: v_dual_mov_b32 v44, v43
	v_lshrrev_b32_e32 v43, 23, v40
	s_delay_alu instid0(VALU_DEP_2) | instskip(SKIP_1) | instid1(VALU_DEP_3)
	v_mad_nc_u64_u32 v[44:45], 0x3c439041, v4, v[44:45]
	v_mov_b32_e32 v47, v5
	v_add_nc_u32_e32 v43, 0xffffff88, v43
	s_delay_alu instid0(VALU_DEP_1) | instskip(NEXT) | instid1(VALU_DEP_4)
	v_cmp_lt_u32_e32 vcc_lo, 63, v43
	v_mov_b32_e32 v46, v45
	v_cndmask_b32_e64 v45, 0, 0xffffffc0, vcc_lo
	s_delay_alu instid0(VALU_DEP_2) | instskip(NEXT) | instid1(VALU_DEP_1)
	v_mad_nc_u64_u32 v[46:47], 0xdb629599, v4, v[46:47]
	v_dual_mov_b32 v49, v5 :: v_dual_mov_b32 v48, v47
	s_delay_alu instid0(VALU_DEP_2) | instskip(NEXT) | instid1(VALU_DEP_2)
	v_cndmask_b32_e32 v42, v46, v42, vcc_lo
	v_mad_nc_u64_u32 v[48:49], 0xf534ddc0, v4, v[48:49]
	s_delay_alu instid0(VALU_DEP_1) | instskip(NEXT) | instid1(VALU_DEP_1)
	v_dual_mov_b32 v51, v5 :: v_dual_mov_b32 v50, v49
	v_mad_nc_u64_u32 v[50:51], 0xfc2757d1, v4, v[50:51]
	s_delay_alu instid0(VALU_DEP_1) | instskip(NEXT) | instid1(VALU_DEP_1)
	v_mov_b32_e32 v52, v51
	v_mad_nc_u64_u32 v[52:53], 0x4e441529, v4, v[52:53]
	v_add_nc_u32_e32 v43, v45, v43
	v_mov_b32_e32 v55, v5
	s_delay_alu instid0(VALU_DEP_2) | instskip(NEXT) | instid1(VALU_DEP_4)
	v_cmp_lt_u32_e64 s4, 31, v43
	v_mov_b32_e32 v54, v53
	s_delay_alu instid0(VALU_DEP_2) | instskip(NEXT) | instid1(VALU_DEP_2)
	v_cndmask_b32_e64 v45, 0, 0xffffffe0, s4
	v_mad_nc_u64_u32 v[54:55], 0xa2f9836e, v4, v[54:55]
	s_delay_alu instid0(VALU_DEP_2) | instskip(NEXT) | instid1(VALU_DEP_2)
	v_dual_cndmask_b32 v45, v52, v48 :: v_dual_add_nc_u32 v4, v45, v43
	v_cndmask_b32_e32 v47, v54, v50, vcc_lo
	s_delay_alu instid0(VALU_DEP_2) | instskip(NEXT) | instid1(VALU_DEP_4)
	v_cmp_lt_u32_e64 s5, 31, v4
	v_dual_cndmask_b32 v49, v55, v52 :: v_dual_cndmask_b32 v50, v50, v46
	s_delay_alu instid0(VALU_DEP_2) | instskip(NEXT) | instid1(VALU_DEP_1)
	v_cndmask_b32_e64 v43, 0, 0xffffffe0, s5
	v_add_nc_u32_e32 v4, v43, v4
	v_dual_cndmask_b32 v43, v48, v44, vcc_lo :: v_dual_cndmask_b32 v44, v47, v45, s4
	s_delay_alu instid0(VALU_DEP_4) | instskip(NEXT) | instid1(VALU_DEP_3)
	v_cndmask_b32_e64 v47, v49, v47, s4
	v_dual_cndmask_b32 v45, v45, v50, s4 :: v_dual_sub_nc_u32 v48, 32, v4
	s_delay_alu instid0(VALU_DEP_3) | instskip(SKIP_1) | instid1(VALU_DEP_3)
	v_cndmask_b32_e64 v49, v50, v43, s4
	v_cmp_eq_u32_e32 vcc_lo, 0, v4
	v_dual_cndmask_b32 v47, v47, v44, s5 :: v_dual_cndmask_b32 v44, v44, v45, s5
	s_delay_alu instid0(VALU_DEP_1) | instskip(NEXT) | instid1(VALU_DEP_1)
	v_alignbit_b32 v50, v47, v44, v48
	v_dual_cndmask_b32 v45, v45, v49, s5 :: v_dual_cndmask_b32 v4, v50, v47, vcc_lo
	s_delay_alu instid0(VALU_DEP_1) | instskip(NEXT) | instid1(VALU_DEP_1)
	v_alignbit_b32 v46, v44, v45, v48
	v_dual_cndmask_b32 v42, v43, v42, s4 :: v_dual_cndmask_b32 v43, v46, v44, vcc_lo
	s_delay_alu instid0(VALU_DEP_3) | instskip(NEXT) | instid1(VALU_DEP_2)
	v_bfe_u32 v44, v4, 29, 1
	v_cndmask_b32_e64 v42, v49, v42, s5
	s_delay_alu instid0(VALU_DEP_3) | instskip(NEXT) | instid1(VALU_DEP_3)
	v_alignbit_b32 v46, v4, v43, 30
	v_sub_nc_u32_e32 v47, 0, v44
	s_delay_alu instid0(VALU_DEP_3) | instskip(NEXT) | instid1(VALU_DEP_1)
	v_alignbit_b32 v48, v45, v42, v48
	v_dual_cndmask_b32 v45, v48, v45, vcc_lo :: v_dual_bitop2_b32 v46, v46, v47 bitop3:0x14
	s_delay_alu instid0(VALU_DEP_1) | instskip(NEXT) | instid1(VALU_DEP_2)
	v_clz_i32_u32_e32 v48, v46
	v_alignbit_b32 v43, v43, v45, 30
	v_alignbit_b32 v42, v45, v42, 30
	s_delay_alu instid0(VALU_DEP_3) | instskip(NEXT) | instid1(VALU_DEP_3)
	v_min_u32_e32 v48, 32, v48
	v_xor_b32_e32 v43, v43, v47
	s_delay_alu instid0(VALU_DEP_3) | instskip(NEXT) | instid1(VALU_DEP_3)
	v_dual_lshrrev_b32 v47, 29, v4 :: v_dual_bitop2_b32 v42, v42, v47 bitop3:0x14
	v_dual_sub_nc_u32 v45, 31, v48 :: v_dual_lshlrev_b32 v49, 23, v48
	s_delay_alu instid0(VALU_DEP_1) | instskip(NEXT) | instid1(VALU_DEP_3)
	v_alignbit_b32 v46, v46, v43, v45
	v_alignbit_b32 v42, v43, v42, v45
	s_delay_alu instid0(VALU_DEP_4) | instskip(NEXT) | instid1(VALU_DEP_2)
	v_lshlrev_b32_e32 v43, 31, v47
	v_alignbit_b32 v45, v46, v42, 9
	s_delay_alu instid0(VALU_DEP_2) | instskip(SKIP_1) | instid1(VALU_DEP_3)
	v_dual_lshrrev_b32 v46, 9, v46 :: v_dual_bitop2_b32 v47, 0.5, v43 bitop3:0x54
	v_or_b32_e32 v43, 0x33000000, v43
	v_clz_i32_u32_e32 v50, v45
	s_delay_alu instid0(VALU_DEP_3) | instskip(NEXT) | instid1(VALU_DEP_2)
	v_sub_nc_u32_e32 v47, v47, v49
	v_min_u32_e32 v49, 32, v50
	s_delay_alu instid0(VALU_DEP_1) | instskip(NEXT) | instid1(VALU_DEP_3)
	v_add_lshl_u32 v48, v49, v48, 23
	v_or_b32_e32 v46, v46, v47
	v_not_b32_e32 v47, v49
	s_delay_alu instid0(VALU_DEP_2) | instskip(NEXT) | instid1(VALU_DEP_2)
	v_dual_mul_f32 v50, 0x3fc90fda, v46 :: v_dual_sub_nc_u32 v43, v43, v48
	v_alignbit_b32 v42, v45, v42, v47
	s_delay_alu instid0(VALU_DEP_2) | instskip(NEXT) | instid1(VALU_DEP_2)
	v_fma_f32 v45, 0x3fc90fda, v46, -v50
	v_lshrrev_b32_e32 v42, 9, v42
	s_delay_alu instid0(VALU_DEP_2) | instskip(NEXT) | instid1(VALU_DEP_2)
	v_fmac_f32_e32 v45, 0x33a22168, v46
	v_or_b32_e32 v42, v43, v42
	s_delay_alu instid0(VALU_DEP_1) | instskip(NEXT) | instid1(VALU_DEP_1)
	v_dual_fmac_f32 v45, 0x3fc90fda, v42 :: v_dual_lshrrev_b32 v42, 30, v4
	v_dual_add_nc_u32 v42, v44, v42 :: v_dual_add_f32 v4, v50, v45
	s_and_not1_saveexec_b32 s4, s28
	s_cbranch_execnz .LBB248_246
	s_branch .LBB248_247
.LBB248_245:                            ;   in Loop: Header=BB248_217 Depth=1
	s_and_not1_saveexec_b32 s4, s28
.LBB248_246:                            ;   in Loop: Header=BB248_217 Depth=1
	v_mul_f32_e64 v4, 0x3f22f983, |v33|
	s_delay_alu instid0(VALU_DEP_1) | instskip(NEXT) | instid1(VALU_DEP_1)
	v_rndne_f32_e32 v42, v4
	v_fma_f32 v4, 0xbfc90fda, v42, |v33|
	s_delay_alu instid0(VALU_DEP_1) | instskip(NEXT) | instid1(VALU_DEP_1)
	v_fmac_f32_e32 v4, 0xb3a22168, v42
	v_fmac_f32_e32 v4, 0xa7c234c4, v42
	v_cvt_i32_f32_e32 v42, v42
.LBB248_247:                            ;   in Loop: Header=BB248_217 Depth=1
	s_or_b32 exec_lo, exec_lo, s4
	v_sub_f32_e32 v32, 0xc322e3bc, v32
	s_delay_alu instid0(VALU_DEP_2) | instskip(NEXT) | instid1(VALU_DEP_3)
	v_dual_mul_f32 v46, v38, v38 :: v_dual_mul_f32 v47, v4, v4
	v_dual_lshlrev_b32 v42, 30, v42 :: v_dual_bitop2_b32 v48, 1, v42 bitop3:0x40
	s_delay_alu instid0(VALU_DEP_3) | instskip(NEXT) | instid1(VALU_DEP_3)
	v_mul_f32_e32 v43, 0x3fb8aa3b, v32
	v_dual_fmaak_f32 v49, s21, v46, 0x3c0881c4 :: v_dual_fmaak_f32 v50, s21, v47, 0x3c0881c4
	s_delay_alu instid0(VALU_DEP_3) | instskip(NEXT) | instid1(VALU_DEP_3)
	v_and_or_b32 v40, 0x80000000, v42, v40
	v_fma_f32 v44, 0x3fb8aa3b, v32, -v43
	v_rndne_f32_e32 v45, v43
	s_delay_alu instid0(VALU_DEP_4) | instskip(NEXT) | instid1(VALU_DEP_2)
	v_fmaak_f32 v49, v46, v49, 0xbe2aaa9d
	v_sub_f32_e32 v43, v43, v45
	v_cmp_ngt_f32_e32 vcc_lo, 0xc2ce8ed0, v32
	v_fmac_f32_e32 v44, 0x32a5705f, v32
	v_cvt_i32_f32_e32 v45, v45
	s_delay_alu instid0(VALU_DEP_2) | instskip(SKIP_1) | instid1(VALU_DEP_2)
	v_dual_mul_f32 v49, v46, v49 :: v_dual_add_f32 v43, v43, v44
	v_dual_lshlrev_b32 v44, 30, v41 :: v_dual_bitop2_b32 v41, 1, v41 bitop3:0x40
	v_fmac_f32_e32 v38, v38, v49
	s_delay_alu instid0(VALU_DEP_3) | instskip(SKIP_1) | instid1(TRANS32_DEP_1)
	v_exp_f32_e32 v43, v43
	v_nop
	v_ldexp_f32 v43, v43, v45
	s_delay_alu instid0(VALU_DEP_1) | instskip(SKIP_3) | instid1(VALU_DEP_4)
	v_cndmask_b32_e32 v43, 0, v43, vcc_lo
	v_cmp_nlt_f32_e32 vcc_lo, 0x42b17218, v32
	v_fmaak_f32 v32, v47, v50, 0xbe2aaa9d
	v_fmaak_f32 v45, s22, v46, 0xbab64f3b
	v_cndmask_b32_e32 v42, 0x7f800000, v43, vcc_lo
	s_delay_alu instid0(VALU_DEP_3) | instskip(SKIP_1) | instid1(VALU_DEP_2)
	v_dual_fmaak_f32 v51, s22, v47, 0xbab64f3b :: v_dual_mul_f32 v32, v47, v32
	v_cmp_eq_u32_e32 vcc_lo, 0, v48
	v_dual_fmaak_f32 v43, v47, v51, 0x3d2aabf7 :: v_dual_lshrrev_b32 v50, 23, v42
	s_delay_alu instid0(VALU_DEP_3) | instskip(NEXT) | instid1(VALU_DEP_2)
	v_fmac_f32_e32 v4, v4, v32
	v_subrev_nc_u32_e32 v50, 19, v50
	s_delay_alu instid0(VALU_DEP_3) | instskip(NEXT) | instid1(VALU_DEP_1)
	v_fmaak_f32 v43, v47, v43, 0xbf000004
	v_fma_f32 v32, v47, v43, 1.0
	s_delay_alu instid0(VALU_DEP_1) | instskip(NEXT) | instid1(VALU_DEP_1)
	v_dual_fmaak_f32 v45, v46, v45, 0x3d2aabf7 :: v_dual_cndmask_b32 v4, v32, v4
	v_fmaak_f32 v45, v46, v45, 0xbf000004
	v_cmp_eq_u32_e32 vcc_lo, 0, v41
	s_delay_alu instid0(VALU_DEP_3) | instskip(NEXT) | instid1(VALU_DEP_3)
	v_xor3_b32 v4, v40, v4, v39
	v_fma_f32 v43, v46, v45, 1.0
	v_lshrrev_b16 v45, 15, v50
	s_delay_alu instid0(VALU_DEP_2) | instskip(NEXT) | instid1(VALU_DEP_2)
	v_cndmask_b32_e64 v32, -v38, v43, vcc_lo
	v_add_nc_u16 v38, v50, v45
	v_cmp_class_f32_e64 vcc_lo, v33, 0x1f8
	s_delay_alu instid0(VALU_DEP_3) | instskip(NEXT) | instid1(VALU_DEP_3)
	v_bitop3_b32 v32, v44, v32, 0x80000000 bitop3:0x6c
	v_ashrrev_i16 v38, 1, v38
	v_cndmask_b32_e32 v33, 0x7fc00000, v4, vcc_lo
	v_and_or_b32 v4, 0x7fffff, v42, s23
	s_delay_alu instid0(VALU_DEP_3) | instskip(NEXT) | instid1(VALU_DEP_1)
	v_bfe_i32 v38, v38, 0, 16
	v_dual_cndmask_b32 v32, 0x7fc00000, v32 :: v_dual_sub_nc_u32 v39, v50, v38
	s_delay_alu instid0(VALU_DEP_1) | instskip(SKIP_1) | instid1(VALU_DEP_3)
	v_pk_mul_f32 v[32:33], v[32:33], v[4:5] op_sel_hi:[1,0]
	v_lshl_add_u32 v4, v38, 23, 1.0
	v_lshl_add_u32 v38, v39, 23, 1.0
	s_delay_alu instid0(VALU_DEP_2) | instskip(NEXT) | instid1(VALU_DEP_1)
	v_pk_mul_f32 v[32:33], v[32:33], v[4:5] op_sel_hi:[1,0]
	v_pk_mul_f32 v[38:39], v[32:33], v[38:39] op_sel_hi:[1,0]
	s_or_b32 exec_lo, exec_lo, s27
                                        ; implicit-def: $vgpr4
                                        ; implicit-def: $vgpr32
                                        ; implicit-def: $vgpr41
.LBB248_248:                            ;   in Loop: Header=BB248_217 Depth=1
	s_and_not1_saveexec_b32 s4, s26
	s_cbranch_execz .LBB248_254
.LBB248_249:                            ;   in Loop: Header=BB248_217 Depth=1
	s_mov_b32 s5, exec_lo
                                        ; implicit-def: $vgpr39
	v_cmpx_ne_u32_e32 0x7f800000, v41
	s_xor_b32 s5, exec_lo, s5
; %bb.250:                              ;   in Loop: Header=BB248_217 Depth=1
	v_sub_f32_e32 v39, v33, v33
                                        ; implicit-def: $vgpr4
                                        ; implicit-def: $vgpr32_vgpr33
	s_delay_alu instid0(VALU_DEP_1)
	v_mov_b32_e32 v38, v39
; %bb.251:                              ;   in Loop: Header=BB248_217 Depth=1
	s_and_not1_saveexec_b32 s5, s5
; %bb.252:                              ;   in Loop: Header=BB248_217 Depth=1
	v_pk_add_f32 v[38:39], v[32:33], v[32:33] neg_lo:[0,1] neg_hi:[0,1]
	v_cmp_lt_i32_e32 vcc_lo, -1, v4
	s_delay_alu instid0(VALU_DEP_2)
	v_dual_cndmask_b32 v38, 0, -v32, vcc_lo :: v_dual_cndmask_b32 v39, 0, v39, vcc_lo
; %bb.253:                              ;   in Loop: Header=BB248_217 Depth=1
	s_or_b32 exec_lo, exec_lo, s5
.LBB248_254:                            ;   in Loop: Header=BB248_217 Depth=1
	s_delay_alu instid0(SALU_CYCLE_1)
	s_or_b32 exec_lo, exec_lo, s4
                                        ; implicit-def: $vgpr33
                                        ; implicit-def: $vgpr40
.LBB248_255:                            ;   in Loop: Header=BB248_217 Depth=1
	s_and_not1_saveexec_b32 s25, s25
	s_cbranch_execz .LBB248_265
; %bb.256:                              ;   in Loop: Header=BB248_217 Depth=1
	v_cmp_ngt_f32_e64 s26, 0x48000000, |v33|
                                        ; implicit-def: $vgpr38
                                        ; implicit-def: $vgpr32
	s_and_saveexec_b32 s4, s26
	s_delay_alu instid0(SALU_CYCLE_1)
	s_xor_b32 s27, exec_lo, s4
	s_cbranch_execz .LBB248_258
; %bb.257:                              ;   in Loop: Header=BB248_217 Depth=1
	v_and_or_b32 v4, v40, s20, 0x800000
	v_dual_mov_b32 v53, v5 :: v_dual_lshrrev_b32 v32, 23, v40
	v_mov_b32_e32 v55, v5
	s_delay_alu instid0(VALU_DEP_3) | instskip(NEXT) | instid1(VALU_DEP_3)
	v_mul_u64_e32 v[42:43], s[16:17], v[4:5]
	v_dual_mov_b32 v45, v5 :: v_dual_add_nc_u32 v32, 0xffffff88, v32
	s_delay_alu instid0(VALU_DEP_1) | instskip(SKIP_1) | instid1(VALU_DEP_1)
	v_cmp_lt_u32_e32 vcc_lo, 63, v32
	v_cndmask_b32_e64 v38, 0, 0xffffffc0, vcc_lo
	v_add_nc_u32_e32 v32, v38, v32
	s_delay_alu instid0(VALU_DEP_1) | instskip(NEXT) | instid1(VALU_DEP_1)
	v_cmp_lt_u32_e64 s4, 31, v32
	v_cndmask_b32_e64 v38, 0, 0xffffffe0, s4
	v_mov_b32_e32 v44, v43
	s_delay_alu instid0(VALU_DEP_1) | instskip(NEXT) | instid1(VALU_DEP_1)
	v_mad_nc_u64_u32 v[44:45], 0x3c439041, v4, v[44:45]
	v_dual_mov_b32 v47, v5 :: v_dual_mov_b32 v46, v45
	s_delay_alu instid0(VALU_DEP_1) | instskip(NEXT) | instid1(VALU_DEP_1)
	v_mad_nc_u64_u32 v[46:47], 0xdb629599, v4, v[46:47]
	v_dual_mov_b32 v49, v5 :: v_dual_mov_b32 v48, v47
	;; [unrolled: 3-line block ×3, first 2 shown]
	s_delay_alu instid0(VALU_DEP_1) | instskip(NEXT) | instid1(VALU_DEP_1)
	v_mad_nc_u64_u32 v[50:51], 0xfc2757d1, v4, v[50:51]
	v_dual_mov_b32 v52, v51 :: v_dual_cndmask_b32 v45, v50, v46
	s_delay_alu instid0(VALU_DEP_1) | instskip(NEXT) | instid1(VALU_DEP_1)
	v_mad_nc_u64_u32 v[52:53], 0x4e441529, v4, v[52:53]
	v_mov_b32_e32 v54, v53
	s_delay_alu instid0(VALU_DEP_1) | instskip(SKIP_1) | instid1(VALU_DEP_4)
	v_mad_nc_u64_u32 v[54:55], 0xa2f9836e, v4, v[54:55]
	v_add_nc_u32_e32 v4, v38, v32
	v_cndmask_b32_e32 v38, v52, v48, vcc_lo
	s_delay_alu instid0(VALU_DEP_2) | instskip(NEXT) | instid1(VALU_DEP_1)
	v_cmp_lt_u32_e64 s5, 31, v4
	v_cndmask_b32_e64 v32, 0, 0xffffffe0, s5
	v_dual_cndmask_b32 v41, v54, v50, vcc_lo :: v_dual_cndmask_b32 v43, v55, v52, vcc_lo
	s_delay_alu instid0(VALU_DEP_2) | instskip(NEXT) | instid1(VALU_DEP_2)
	v_add_nc_u32_e32 v4, v32, v4
	v_dual_cndmask_b32 v32, v48, v44, vcc_lo :: v_dual_cndmask_b32 v44, v41, v38, s4
	s_delay_alu instid0(VALU_DEP_3) | instskip(NEXT) | instid1(VALU_DEP_3)
	v_cndmask_b32_e64 v41, v43, v41, s4
	v_dual_cndmask_b32 v38, v38, v45, s4 :: v_dual_sub_nc_u32 v43, 32, v4
	s_delay_alu instid0(VALU_DEP_3) | instskip(NEXT) | instid1(VALU_DEP_2)
	v_cndmask_b32_e64 v45, v45, v32, s4
	v_dual_cndmask_b32 v41, v41, v44, s5 :: v_dual_cndmask_b32 v44, v44, v38, s5
	s_delay_alu instid0(VALU_DEP_2) | instskip(NEXT) | instid1(VALU_DEP_2)
	v_cndmask_b32_e64 v38, v38, v45, s5
	v_alignbit_b32 v47, v41, v44, v43
	v_cndmask_b32_e32 v42, v46, v42, vcc_lo
	v_cmp_eq_u32_e32 vcc_lo, 0, v4
	s_delay_alu instid0(VALU_DEP_4) | instskip(NEXT) | instid1(VALU_DEP_3)
	v_alignbit_b32 v46, v44, v38, v43
	v_dual_cndmask_b32 v4, v47, v41, vcc_lo :: v_dual_cndmask_b32 v32, v32, v42, s4
	s_delay_alu instid0(VALU_DEP_2) | instskip(NEXT) | instid1(VALU_DEP_2)
	v_cndmask_b32_e32 v41, v46, v44, vcc_lo
	v_bfe_u32 v42, v4, 29, 1
	s_delay_alu instid0(VALU_DEP_3) | instskip(NEXT) | instid1(VALU_DEP_3)
	v_cndmask_b32_e64 v32, v45, v32, s5
	v_alignbit_b32 v44, v4, v41, 30
	s_delay_alu instid0(VALU_DEP_3) | instskip(NEXT) | instid1(VALU_DEP_3)
	v_sub_nc_u32_e32 v45, 0, v42
	v_alignbit_b32 v43, v38, v32, v43
	s_delay_alu instid0(VALU_DEP_1) | instskip(NEXT) | instid1(VALU_DEP_1)
	v_dual_cndmask_b32 v38, v43, v38, vcc_lo :: v_dual_bitop2_b32 v44, v44, v45 bitop3:0x14
	v_clz_i32_u32_e32 v43, v44
	s_delay_alu instid0(VALU_DEP_2) | instskip(SKIP_1) | instid1(VALU_DEP_3)
	v_alignbit_b32 v41, v41, v38, 30
	v_alignbit_b32 v32, v38, v32, 30
	v_min_u32_e32 v43, 32, v43
	s_delay_alu instid0(VALU_DEP_3) | instskip(NEXT) | instid1(VALU_DEP_3)
	v_xor_b32_e32 v38, v41, v45
	v_dual_lshrrev_b32 v45, 29, v4 :: v_dual_bitop2_b32 v32, v32, v45 bitop3:0x14
	s_delay_alu instid0(VALU_DEP_3) | instskip(NEXT) | instid1(VALU_DEP_1)
	v_dual_sub_nc_u32 v41, 31, v43 :: v_dual_lshlrev_b32 v46, 23, v43
	v_alignbit_b32 v44, v44, v38, v41
	s_delay_alu instid0(VALU_DEP_3) | instskip(NEXT) | instid1(VALU_DEP_4)
	v_alignbit_b32 v32, v38, v32, v41
	v_lshlrev_b32_e32 v38, 31, v45
	s_delay_alu instid0(VALU_DEP_2) | instskip(NEXT) | instid1(VALU_DEP_2)
	v_alignbit_b32 v41, v44, v32, 9
	v_dual_lshrrev_b32 v44, 9, v44 :: v_dual_bitop2_b32 v45, 0.5, v38 bitop3:0x54
	v_or_b32_e32 v38, 0x33000000, v38
	s_delay_alu instid0(VALU_DEP_3) | instskip(NEXT) | instid1(VALU_DEP_3)
	v_clz_i32_u32_e32 v47, v41
	v_sub_nc_u32_e32 v45, v45, v46
	s_delay_alu instid0(VALU_DEP_2) | instskip(NEXT) | instid1(VALU_DEP_1)
	v_min_u32_e32 v46, 32, v47
	v_add_lshl_u32 v43, v46, v43, 23
	s_delay_alu instid0(VALU_DEP_1) | instskip(SKIP_1) | instid1(VALU_DEP_1)
	v_dual_sub_nc_u32 v38, v38, v43 :: v_dual_bitop2_b32 v44, v44, v45 bitop3:0x54
	v_not_b32_e32 v45, v46
	v_alignbit_b32 v32, v41, v32, v45
	s_delay_alu instid0(VALU_DEP_1) | instskip(NEXT) | instid1(VALU_DEP_4)
	v_lshrrev_b32_e32 v32, 9, v32
	v_mul_f32_e32 v47, 0x3fc90fda, v44
	s_delay_alu instid0(VALU_DEP_2) | instskip(NEXT) | instid1(VALU_DEP_2)
	v_or_b32_e32 v32, v38, v32
	v_fma_f32 v41, 0x3fc90fda, v44, -v47
	s_delay_alu instid0(VALU_DEP_1) | instskip(NEXT) | instid1(VALU_DEP_1)
	v_fmac_f32_e32 v41, 0x33a22168, v44
	v_fmac_f32_e32 v41, 0x3fc90fda, v32
	s_delay_alu instid0(VALU_DEP_1) | instskip(NEXT) | instid1(VALU_DEP_1)
	v_dual_lshrrev_b32 v4, 30, v4 :: v_dual_add_f32 v32, v47, v41
	v_add_nc_u32_e32 v38, v42, v4
	s_and_not1_saveexec_b32 s4, s27
	s_branch .LBB248_259
.LBB248_258:                            ;   in Loop: Header=BB248_217 Depth=1
	s_and_not1_saveexec_b32 s4, s27
.LBB248_259:                            ;   in Loop: Header=BB248_217 Depth=1
	v_mul_f32_e64 v4, 0x3f22f983, |v33|
	s_delay_alu instid0(VALU_DEP_1) | instskip(NEXT) | instid1(VALU_DEP_1)
	v_rndne_f32_e32 v4, v4
	v_fma_f32 v32, 0xbfc90fda, v4, |v33|
	v_cvt_i32_f32_e32 v38, v4
	s_delay_alu instid0(VALU_DEP_2) | instskip(NEXT) | instid1(VALU_DEP_1)
	v_fmac_f32_e32 v32, 0xb3a22168, v4
	v_fmac_f32_e32 v32, 0xa7c234c4, v4
; %bb.260:                              ;   in Loop: Header=BB248_217 Depth=1
	s_or_b32 exec_lo, exec_lo, s4
                                        ; implicit-def: $vgpr41
                                        ; implicit-def: $vgpr4
	s_and_saveexec_b32 s4, s26
	s_delay_alu instid0(SALU_CYCLE_1)
	s_xor_b32 s26, exec_lo, s4
	s_cbranch_execz .LBB248_262
; %bb.261:                              ;   in Loop: Header=BB248_217 Depth=1
	v_and_or_b32 v4, v40, s20, 0x800000
	v_dual_lshrrev_b32 v41, 23, v40 :: v_dual_mov_b32 v53, v5
	v_mov_b32_e32 v55, v5
	s_delay_alu instid0(VALU_DEP_3) | instskip(SKIP_1) | instid1(VALU_DEP_4)
	v_mul_u64_e32 v[42:43], s[16:17], v[4:5]
	v_mov_b32_e32 v45, v5
	v_add_nc_u32_e32 v41, 0xffffff88, v41
	s_delay_alu instid0(VALU_DEP_1) | instskip(NEXT) | instid1(VALU_DEP_4)
	v_cmp_lt_u32_e32 vcc_lo, 63, v41
	v_mov_b32_e32 v44, v43
	v_cndmask_b32_e64 v43, 0, 0xffffffc0, vcc_lo
	s_delay_alu instid0(VALU_DEP_2) | instskip(NEXT) | instid1(VALU_DEP_2)
	v_mad_nc_u64_u32 v[44:45], 0x3c439041, v4, v[44:45]
	v_dual_mov_b32 v47, v5 :: v_dual_add_nc_u32 v41, v43, v41
	s_delay_alu instid0(VALU_DEP_1) | instskip(NEXT) | instid1(VALU_DEP_3)
	v_cmp_lt_u32_e64 s4, 31, v41
	v_mov_b32_e32 v46, v45
	s_delay_alu instid0(VALU_DEP_2) | instskip(NEXT) | instid1(VALU_DEP_2)
	v_cndmask_b32_e64 v43, 0, 0xffffffe0, s4
	v_mad_nc_u64_u32 v[46:47], 0xdb629599, v4, v[46:47]
	s_delay_alu instid0(VALU_DEP_1) | instskip(NEXT) | instid1(VALU_DEP_2)
	v_dual_mov_b32 v49, v5 :: v_dual_mov_b32 v48, v47
	v_cndmask_b32_e32 v42, v46, v42, vcc_lo
	s_delay_alu instid0(VALU_DEP_2) | instskip(NEXT) | instid1(VALU_DEP_1)
	v_mad_nc_u64_u32 v[48:49], 0xf534ddc0, v4, v[48:49]
	v_dual_mov_b32 v51, v5 :: v_dual_mov_b32 v50, v49
	s_delay_alu instid0(VALU_DEP_1) | instskip(NEXT) | instid1(VALU_DEP_1)
	v_mad_nc_u64_u32 v[50:51], 0xfc2757d1, v4, v[50:51]
	v_dual_mov_b32 v52, v51 :: v_dual_cndmask_b32 v49, v50, v46
	s_delay_alu instid0(VALU_DEP_1) | instskip(NEXT) | instid1(VALU_DEP_1)
	v_mad_nc_u64_u32 v[52:53], 0x4e441529, v4, v[52:53]
	v_mov_b32_e32 v54, v53
	s_delay_alu instid0(VALU_DEP_1) | instskip(NEXT) | instid1(VALU_DEP_3)
	v_mad_nc_u64_u32 v[54:55], 0xa2f9836e, v4, v[54:55]
	v_dual_cndmask_b32 v43, v52, v48 :: v_dual_add_nc_u32 v4, v43, v41
	s_delay_alu instid0(VALU_DEP_1) | instskip(NEXT) | instid1(VALU_DEP_1)
	v_cmp_lt_u32_e64 s5, 31, v4
	v_cndmask_b32_e64 v41, 0, 0xffffffe0, s5
	s_delay_alu instid0(VALU_DEP_4) | instskip(NEXT) | instid1(VALU_DEP_2)
	v_dual_cndmask_b32 v45, v54, v50, vcc_lo :: v_dual_cndmask_b32 v47, v55, v52, vcc_lo
	v_add_nc_u32_e32 v4, v41, v4
	s_delay_alu instid0(VALU_DEP_2) | instskip(NEXT) | instid1(VALU_DEP_3)
	v_dual_cndmask_b32 v41, v48, v44, vcc_lo :: v_dual_cndmask_b32 v44, v45, v43, s4
	v_cndmask_b32_e64 v45, v47, v45, s4
	s_delay_alu instid0(VALU_DEP_3) | instskip(NEXT) | instid1(VALU_DEP_3)
	v_dual_cndmask_b32 v43, v43, v49, s4 :: v_dual_sub_nc_u32 v47, 32, v4
	v_cndmask_b32_e64 v48, v49, v41, s4
	v_cmp_eq_u32_e32 vcc_lo, 0, v4
	s_delay_alu instid0(VALU_DEP_3) | instskip(NEXT) | instid1(VALU_DEP_1)
	v_dual_cndmask_b32 v45, v45, v44, s5 :: v_dual_cndmask_b32 v44, v44, v43, s5
	v_alignbit_b32 v49, v45, v44, v47
	s_delay_alu instid0(VALU_DEP_1) | instskip(NEXT) | instid1(VALU_DEP_1)
	v_dual_cndmask_b32 v43, v43, v48, s5 :: v_dual_cndmask_b32 v4, v49, v45, vcc_lo
	v_alignbit_b32 v46, v44, v43, v47
	s_delay_alu instid0(VALU_DEP_1) | instskip(NEXT) | instid1(VALU_DEP_3)
	v_dual_cndmask_b32 v41, v41, v42, s4 :: v_dual_cndmask_b32 v42, v46, v44, vcc_lo
	v_bfe_u32 v44, v4, 29, 1
	s_delay_alu instid0(VALU_DEP_2) | instskip(NEXT) | instid1(VALU_DEP_3)
	v_cndmask_b32_e64 v41, v48, v41, s5
	v_alignbit_b32 v45, v4, v42, 30
	s_delay_alu instid0(VALU_DEP_3) | instskip(NEXT) | instid1(VALU_DEP_3)
	v_sub_nc_u32_e32 v46, 0, v44
	v_alignbit_b32 v47, v43, v41, v47
	s_delay_alu instid0(VALU_DEP_1) | instskip(NEXT) | instid1(VALU_DEP_1)
	v_dual_cndmask_b32 v43, v47, v43, vcc_lo :: v_dual_bitop2_b32 v45, v45, v46 bitop3:0x14
	v_clz_i32_u32_e32 v47, v45
	s_delay_alu instid0(VALU_DEP_2) | instskip(SKIP_1) | instid1(VALU_DEP_3)
	v_alignbit_b32 v42, v42, v43, 30
	v_alignbit_b32 v41, v43, v41, 30
	v_min_u32_e32 v47, 32, v47
	s_delay_alu instid0(VALU_DEP_3) | instskip(NEXT) | instid1(VALU_DEP_3)
	v_xor_b32_e32 v42, v42, v46
	v_dual_lshrrev_b32 v46, 29, v4 :: v_dual_bitop2_b32 v41, v41, v46 bitop3:0x14
	s_delay_alu instid0(VALU_DEP_3) | instskip(NEXT) | instid1(VALU_DEP_1)
	v_dual_sub_nc_u32 v43, 31, v47 :: v_dual_lshlrev_b32 v48, 23, v47
	v_alignbit_b32 v45, v45, v42, v43
	s_delay_alu instid0(VALU_DEP_3) | instskip(NEXT) | instid1(VALU_DEP_4)
	v_alignbit_b32 v41, v42, v41, v43
	v_lshlrev_b32_e32 v42, 31, v46
	s_delay_alu instid0(VALU_DEP_2) | instskip(NEXT) | instid1(VALU_DEP_2)
	v_alignbit_b32 v43, v45, v41, 9
	v_dual_lshrrev_b32 v45, 9, v45 :: v_dual_bitop2_b32 v46, 0.5, v42 bitop3:0x54
	v_or_b32_e32 v42, 0x33000000, v42
	s_delay_alu instid0(VALU_DEP_3) | instskip(NEXT) | instid1(VALU_DEP_3)
	v_clz_i32_u32_e32 v49, v43
	v_sub_nc_u32_e32 v46, v46, v48
	s_delay_alu instid0(VALU_DEP_2) | instskip(NEXT) | instid1(VALU_DEP_1)
	v_min_u32_e32 v48, 32, v49
	v_add_lshl_u32 v47, v48, v47, 23
	s_delay_alu instid0(VALU_DEP_3) | instskip(SKIP_1) | instid1(VALU_DEP_2)
	v_or_b32_e32 v45, v45, v46
	v_not_b32_e32 v46, v48
	v_dual_mul_f32 v49, 0x3fc90fda, v45 :: v_dual_sub_nc_u32 v42, v42, v47
	s_delay_alu instid0(VALU_DEP_2) | instskip(NEXT) | instid1(VALU_DEP_2)
	v_alignbit_b32 v41, v43, v41, v46
	v_fma_f32 v43, 0x3fc90fda, v45, -v49
	s_delay_alu instid0(VALU_DEP_2) | instskip(NEXT) | instid1(VALU_DEP_2)
	v_lshrrev_b32_e32 v41, 9, v41
	v_fmac_f32_e32 v43, 0x33a22168, v45
	s_delay_alu instid0(VALU_DEP_2) | instskip(NEXT) | instid1(VALU_DEP_1)
	v_or_b32_e32 v41, v42, v41
	v_fmac_f32_e32 v43, 0x3fc90fda, v41
	s_delay_alu instid0(VALU_DEP_1) | instskip(NEXT) | instid1(VALU_DEP_1)
	v_dual_add_f32 v4, v49, v43 :: v_dual_lshrrev_b32 v41, 30, v4
	v_add_nc_u32_e32 v41, v44, v41
	s_and_not1_saveexec_b32 s4, s26
	s_cbranch_execnz .LBB248_263
	s_branch .LBB248_264
.LBB248_262:                            ;   in Loop: Header=BB248_217 Depth=1
	s_and_not1_saveexec_b32 s4, s26
.LBB248_263:                            ;   in Loop: Header=BB248_217 Depth=1
	v_mul_f32_e64 v4, 0x3f22f983, |v33|
	s_delay_alu instid0(VALU_DEP_1) | instskip(NEXT) | instid1(VALU_DEP_1)
	v_rndne_f32_e32 v41, v4
	v_fma_f32 v4, 0xbfc90fda, v41, |v33|
	s_delay_alu instid0(VALU_DEP_1) | instskip(NEXT) | instid1(VALU_DEP_1)
	v_fmac_f32_e32 v4, 0xb3a22168, v41
	v_fmac_f32_e32 v4, 0xa7c234c4, v41
	v_cvt_i32_f32_e32 v41, v41
.LBB248_264:                            ;   in Loop: Header=BB248_217 Depth=1
	s_or_b32 exec_lo, exec_lo, s4
	v_dual_mul_f32 v42, v32, v32 :: v_dual_bitop2_b32 v44, 1, v38 bitop3:0x40
	s_delay_alu instid0(VALU_DEP_3) | instskip(NEXT) | instid1(VALU_DEP_2)
	v_dual_mul_f32 v43, v4, v4 :: v_dual_lshlrev_b32 v38, 30, v38
	v_fmaak_f32 v46, s22, v42, 0xbab64f3b
	s_delay_alu instid0(VALU_DEP_3) | instskip(NEXT) | instid1(VALU_DEP_3)
	v_cmp_eq_u32_e32 vcc_lo, 0, v44
	v_fmaak_f32 v47, s21, v43, 0x3c0881c4
	s_delay_alu instid0(VALU_DEP_1) | instskip(NEXT) | instid1(VALU_DEP_1)
	v_fmaak_f32 v47, v43, v47, 0xbe2aaa9d
	v_dual_fmaak_f32 v46, v42, v46, 0x3d2aabf7 :: v_dual_mul_f32 v47, v43, v47
	v_fmaak_f32 v45, s21, v42, 0x3c0881c4
	s_delay_alu instid0(VALU_DEP_2) | instskip(NEXT) | instid1(VALU_DEP_2)
	v_fmaak_f32 v46, v42, v46, 0xbf000004
	v_dual_fmac_f32 v4, v4, v47 :: v_dual_fmaak_f32 v45, v42, v45, 0xbe2aaa9d
	s_delay_alu instid0(VALU_DEP_1) | instskip(NEXT) | instid1(VALU_DEP_1)
	v_dual_fmaak_f32 v48, s22, v43, 0xbab64f3b :: v_dual_mul_f32 v45, v42, v45
	v_fmaak_f32 v48, v43, v48, 0x3d2aabf7
	s_delay_alu instid0(VALU_DEP_4) | instskip(NEXT) | instid1(VALU_DEP_3)
	v_fma_f32 v42, v42, v46, 1.0
	v_fmac_f32_e32 v32, v32, v45
	v_dual_lshlrev_b32 v41, 30, v41 :: v_dual_bitop2_b32 v49, 1, v41 bitop3:0x40
	s_delay_alu instid0(VALU_DEP_4) | instskip(NEXT) | instid1(VALU_DEP_3)
	v_fmaak_f32 v48, v43, v48, 0xbf000004
	v_cndmask_b32_e64 v32, -v32, v42, vcc_lo
	s_delay_alu instid0(VALU_DEP_3) | instskip(NEXT) | instid1(VALU_DEP_4)
	v_cmp_eq_u32_e32 vcc_lo, 0, v49
	v_and_or_b32 v40, 0x80000000, v41, v40
	s_delay_alu instid0(VALU_DEP_4) | instskip(NEXT) | instid1(VALU_DEP_4)
	v_fma_f32 v43, v43, v48, 1.0
	v_bitop3_b32 v32, v38, v32, 0x80000000 bitop3:0x6c
	s_delay_alu instid0(VALU_DEP_2) | instskip(SKIP_1) | instid1(VALU_DEP_2)
	v_cndmask_b32_e32 v4, v43, v4, vcc_lo
	v_cmp_class_f32_e64 vcc_lo, v33, 0x1f8
	v_xor3_b32 v4, v40, v4, v39
	s_delay_alu instid0(VALU_DEP_4) | instskip(NEXT) | instid1(VALU_DEP_2)
	v_cndmask_b32_e32 v38, 0x7fc00000, v32, vcc_lo
	v_cndmask_b32_e32 v39, 0x7fc00000, v4, vcc_lo
.LBB248_265:                            ;   in Loop: Header=BB248_217 Depth=1
	s_or_b32 exec_lo, exec_lo, s25
                                        ; implicit-def: $vgpr32
.LBB248_266:                            ;   in Loop: Header=BB248_217 Depth=1
	s_and_not1_saveexec_b32 s4, s24
	s_cbranch_execz .LBB248_268
; %bb.267:                              ;   in Loop: Header=BB248_217 Depth=1
	v_mul_f32_e32 v4, 0xbfb8aa3b, v32
	v_cmp_nlt_f32_e32 vcc_lo, 0x42ce8ed0, v32
	s_delay_alu instid0(VALU_DEP_2) | instskip(SKIP_1) | instid1(VALU_DEP_2)
	v_rndne_f32_e32 v33, v4
	v_fma_f32 v38, 0xbfb8aa3b, v32, -v4
	v_sub_f32_e32 v4, v4, v33
	s_delay_alu instid0(VALU_DEP_2) | instskip(SKIP_1) | instid1(VALU_DEP_2)
	v_fmac_f32_e32 v38, 0xb2a5705f, v32
	v_cvt_i32_f32_e32 v33, v33
	v_add_f32_e32 v4, v4, v38
	s_delay_alu instid0(VALU_DEP_1) | instskip(SKIP_1) | instid1(TRANS32_DEP_1)
	v_exp_f32_e32 v4, v4
	v_nop
	v_ldexp_f32 v4, v4, v33
	s_delay_alu instid0(VALU_DEP_1) | instskip(SKIP_1) | instid1(VALU_DEP_2)
	v_cndmask_b32_e32 v4, 0, v4, vcc_lo
	v_cmp_ngt_f32_e32 vcc_lo, 0xc2b17218, v32
	v_cndmask_b32_e32 v38, 0x7f800000, v4, vcc_lo
.LBB248_268:                            ;   in Loop: Header=BB248_217 Depth=1
	s_or_b32 exec_lo, exec_lo, s4
	v_mov_b64_e32 v[32:33], s[6:7]
	s_mov_b32 s4, exec_lo
	s_delay_alu instid0(VALU_DEP_1) | instskip(NEXT) | instid1(VALU_DEP_1)
	v_pk_add_f32 v[38:39], v[38:39], v[32:33]
                                        ; implicit-def: $vgpr32_vgpr33
	v_cmp_gt_f32_e32 vcc_lo, 0, v39
	v_cndmask_b32_e64 v4, v39, -v39, vcc_lo
	s_delay_alu instid0(VALU_DEP_3) | instskip(SKIP_1) | instid1(VALU_DEP_1)
	v_cmp_gt_f32_e32 vcc_lo, 0, v38
	v_cndmask_b32_e64 v40, v38, -v38, vcc_lo
	v_cmpx_ge_f32_e32 v40, v4
	s_xor_b32 s5, exec_lo, s4
	s_cbranch_execz .LBB248_274
; %bb.269:                              ;   in Loop: Header=BB248_217 Depth=1
	v_cmp_neq_f32_e32 vcc_lo, 0, v38
	v_cmp_neq_f32_e64 s4, 0, v39
                                        ; implicit-def: $vgpr32_vgpr33
	s_or_b32 s4, vcc_lo, s4
	s_delay_alu instid0(SALU_CYCLE_1) | instskip(NEXT) | instid1(SALU_CYCLE_1)
	s_and_saveexec_b32 s24, s4
	s_xor_b32 s4, exec_lo, s24
	s_cbranch_execz .LBB248_271
; %bb.270:                              ;   in Loop: Header=BB248_217 Depth=1
	v_div_scale_f32 v4, null, v38, v38, v39
	v_div_scale_f32 v40, vcc_lo, v39, v38, v39
	s_delay_alu instid0(VALU_DEP_2) | instskip(SKIP_1) | instid1(TRANS32_DEP_1)
	v_rcp_f32_e32 v32, v4
	v_nop
	v_fma_f32 v33, -v4, v32, 1.0
	s_delay_alu instid0(VALU_DEP_1) | instskip(NEXT) | instid1(VALU_DEP_1)
	v_fmac_f32_e32 v32, v33, v32
	v_mul_f32_e32 v33, v40, v32
	s_delay_alu instid0(VALU_DEP_1) | instskip(NEXT) | instid1(VALU_DEP_1)
	v_fma_f32 v41, -v4, v33, v40
	v_fmac_f32_e32 v33, v41, v32
	s_delay_alu instid0(VALU_DEP_1) | instskip(NEXT) | instid1(VALU_DEP_1)
	v_fma_f32 v4, -v4, v33, v40
	v_div_fmas_f32 v4, v4, v32, v33
	s_delay_alu instid0(VALU_DEP_1) | instskip(NEXT) | instid1(VALU_DEP_1)
	v_div_fixup_f32 v4, v4, v38, v39
	v_fmac_f32_e32 v38, v39, v4
	s_delay_alu instid0(VALU_DEP_1) | instskip(SKIP_1) | instid1(VALU_DEP_2)
	v_div_scale_f32 v39, null, v38, v38, 1.0
	v_div_scale_f32 v40, vcc_lo, 1.0, v38, 1.0
	v_rcp_f32_e32 v42, v39
	v_nop
	s_delay_alu instid0(TRANS32_DEP_1) | instskip(NEXT) | instid1(VALU_DEP_1)
	v_fma_f32 v32, -v39, v42, 1.0
	v_fmac_f32_e32 v42, v32, v42
	s_delay_alu instid0(VALU_DEP_1) | instskip(NEXT) | instid1(VALU_DEP_1)
	v_mul_f32_e32 v43, v40, v42
	v_fma_f32 v32, -v39, v43, v40
	s_delay_alu instid0(VALU_DEP_1) | instskip(SKIP_1) | instid1(VALU_DEP_2)
	v_fmac_f32_e32 v43, v32, v42
	v_mov_b64_e32 v[32:33], s[6:7]
	v_fma_f32 v39, -v39, v43, v40
	v_mov_b64_e32 v[40:41], s[10:11]
	s_delay_alu instid0(VALU_DEP_2) | instskip(NEXT) | instid1(VALU_DEP_2)
	v_div_fmas_f32 v39, v39, v42, v43
	v_pk_fma_f32 v[42:43], v[4:5], v[40:41], v[32:33] op_sel_hi:[0,1,1] neg_lo:[1,0,0] neg_hi:[1,0,0]
	v_pk_fma_f32 v[32:33], v[4:5], v[40:41], v[32:33]
	s_delay_alu instid0(VALU_DEP_3) | instskip(NEXT) | instid1(VALU_DEP_3)
	v_div_fixup_f32 v4, v39, v38, 1.0
                                        ; implicit-def: $vgpr40
	v_mov_b32_e32 v33, v43
	s_delay_alu instid0(VALU_DEP_1)
	v_pk_mul_f32 v[32:33], v[32:33], v[4:5] op_sel_hi:[1,0]
                                        ; implicit-def: $vgpr4
.LBB248_271:                            ;   in Loop: Header=BB248_217 Depth=1
	s_and_not1_saveexec_b32 s24, s4
	s_cbranch_execz .LBB248_273
; %bb.272:                              ;   in Loop: Header=BB248_217 Depth=1
	v_div_scale_f32 v32, null, v4, v4, s7
	v_div_scale_f32 v33, null, v40, v40, s6
	v_div_scale_f32 v43, vcc_lo, s7, v4, s7
	s_delay_alu instid0(VALU_DEP_3) | instskip(NEXT) | instid1(VALU_DEP_2)
	v_rcp_f32_e32 v38, v32
	v_rcp_f32_e32 v39, v33
	s_delay_alu instid0(TRANS32_DEP_2) | instskip(NEXT) | instid1(TRANS32_DEP_1)
	v_fma_f32 v41, -v32, v38, 1.0
	v_fma_f32 v42, -v33, v39, 1.0
	s_delay_alu instid0(VALU_DEP_1) | instskip(SKIP_1) | instid1(VALU_DEP_1)
	v_dual_fmac_f32 v38, v41, v38 :: v_dual_fmac_f32 v39, v42, v39
	v_div_scale_f32 v41, s4, s6, v40, s6
	v_dual_mul_f32 v42, v43, v38 :: v_dual_mul_f32 v44, v41, v39
	s_delay_alu instid0(VALU_DEP_1) | instskip(NEXT) | instid1(VALU_DEP_1)
	v_dual_fma_f32 v45, -v32, v42, v43 :: v_dual_fma_f32 v46, -v33, v44, v41
	v_dual_fmac_f32 v42, v45, v38 :: v_dual_fmac_f32 v44, v46, v39
	s_delay_alu instid0(VALU_DEP_1) | instskip(NEXT) | instid1(VALU_DEP_1)
	v_dual_fma_f32 v32, -v32, v42, v43 :: v_dual_fma_f32 v33, -v33, v44, v41
	v_div_fmas_f32 v32, v32, v38, v42
	s_mov_b32 vcc_lo, s4
	s_delay_alu instid0(VALU_DEP_2) | instskip(NEXT) | instid1(VALU_DEP_2)
	v_div_fmas_f32 v38, v33, v39, v44
	v_div_fixup_f32 v33, v32, v4, s7
	s_delay_alu instid0(VALU_DEP_2)
	v_div_fixup_f32 v32, v38, v40, s6
.LBB248_273:                            ;   in Loop: Header=BB248_217 Depth=1
	s_or_b32 exec_lo, exec_lo, s24
                                        ; implicit-def: $vgpr38_vgpr39
.LBB248_274:                            ;   in Loop: Header=BB248_217 Depth=1
	s_and_not1_saveexec_b32 s4, s5
	s_cbranch_execz .LBB248_276
; %bb.275:                              ;   in Loop: Header=BB248_217 Depth=1
	v_div_scale_f32 v4, null, v39, v39, v38
	v_div_scale_f32 v40, vcc_lo, v38, v39, v38
	s_delay_alu instid0(VALU_DEP_2) | instskip(SKIP_1) | instid1(TRANS32_DEP_1)
	v_rcp_f32_e32 v32, v4
	v_nop
	v_fma_f32 v33, -v4, v32, 1.0
	s_delay_alu instid0(VALU_DEP_1) | instskip(NEXT) | instid1(VALU_DEP_1)
	v_fmac_f32_e32 v32, v33, v32
	v_mul_f32_e32 v33, v40, v32
	s_delay_alu instid0(VALU_DEP_1) | instskip(NEXT) | instid1(VALU_DEP_1)
	v_fma_f32 v41, -v4, v33, v40
	v_fmac_f32_e32 v33, v41, v32
	s_delay_alu instid0(VALU_DEP_1) | instskip(NEXT) | instid1(VALU_DEP_1)
	v_fma_f32 v4, -v4, v33, v40
	v_div_fmas_f32 v4, v4, v32, v33
	s_delay_alu instid0(VALU_DEP_1) | instskip(NEXT) | instid1(VALU_DEP_1)
	v_div_fixup_f32 v4, v4, v39, v38
	v_fmac_f32_e32 v39, v38, v4
	s_delay_alu instid0(VALU_DEP_1) | instskip(SKIP_1) | instid1(VALU_DEP_2)
	v_div_scale_f32 v38, null, v39, v39, 1.0
	v_div_scale_f32 v40, vcc_lo, 1.0, v39, 1.0
	v_rcp_f32_e32 v42, v38
	v_nop
	s_delay_alu instid0(TRANS32_DEP_1) | instskip(NEXT) | instid1(VALU_DEP_1)
	v_fma_f32 v32, -v38, v42, 1.0
	v_fmac_f32_e32 v42, v32, v42
	s_delay_alu instid0(VALU_DEP_1) | instskip(NEXT) | instid1(VALU_DEP_1)
	v_mul_f32_e32 v43, v40, v42
	v_fma_f32 v32, -v38, v43, v40
	s_delay_alu instid0(VALU_DEP_1) | instskip(SKIP_1) | instid1(VALU_DEP_2)
	v_fmac_f32_e32 v43, v32, v42
	v_mov_b64_e32 v[32:33], s[10:11]
	v_fma_f32 v38, -v38, v43, v40
	v_mov_b64_e32 v[40:41], s[6:7]
	s_delay_alu instid0(VALU_DEP_2) | instskip(NEXT) | instid1(VALU_DEP_2)
	v_div_fmas_f32 v38, v38, v42, v43
	v_pk_fma_f32 v[42:43], v[4:5], v[40:41], v[32:33] op_sel_hi:[0,1,1] neg_lo:[0,0,1] neg_hi:[0,0,1]
	v_pk_fma_f32 v[32:33], v[4:5], v[40:41], v[32:33]
	s_delay_alu instid0(VALU_DEP_3) | instskip(NEXT) | instid1(VALU_DEP_3)
	v_div_fixup_f32 v4, v38, v39, 1.0
	v_mov_b32_e32 v33, v43
	s_delay_alu instid0(VALU_DEP_1)
	v_pk_mul_f32 v[32:33], v[32:33], v[4:5] op_sel_hi:[1,0]
.LBB248_276:                            ;   in Loop: Header=BB248_217 Depth=1
	s_or_b32 exec_lo, exec_lo, s4
	v_and_b32_e32 v40, 0x7fffffff, v37
	v_xor_b32_e32 v39, 0x80000000, v37
	s_mov_b32 s4, exec_lo
	s_delay_alu instid0(VALU_DEP_2)
	v_cmpx_ne_u32_e32 0, v40
	s_xor_b32 s24, exec_lo, s4
	s_cbranch_execz .LBB248_319
; %bb.277:                              ;   in Loop: Header=BB248_217 Depth=1
	v_and_b32_e32 v41, 0x7fffffff, v36
	s_mov_b32 s4, exec_lo
	s_delay_alu instid0(VALU_DEP_1)
	v_cmpx_ne_u32_e32 0, v41
	s_xor_b32 s25, exec_lo, s4
	s_cbranch_execz .LBB248_308
; %bb.278:                              ;   in Loop: Header=BB248_217 Depth=1
	v_xor_b32_e32 v4, 0x80000000, v36
	s_mov_b32 s4, exec_lo
	v_cmpx_gt_u32_e32 0x7f800000, v40
	s_xor_b32 s26, exec_lo, s4
	s_cbranch_execz .LBB248_301
; %bb.279:                              ;   in Loop: Header=BB248_217 Depth=1
	v_add_nc_u32_e32 v4, 0xbd4e8de8, v4
	s_mov_b32 s4, exec_lo
	s_delay_alu instid0(VALU_DEP_1)
	v_cmpx_lt_u32_e32 0x8e8e5c, v4
	s_xor_b32 s27, exec_lo, s4
	s_cbranch_execz .LBB248_290
; %bb.280:                              ;   in Loop: Header=BB248_217 Depth=1
	v_cmp_ngt_f32_e64 s28, 0x48000000, |v37|
                                        ; implicit-def: $vgpr41
                                        ; implicit-def: $vgpr38
	s_and_saveexec_b32 s4, s28
	s_delay_alu instid0(SALU_CYCLE_1)
	s_xor_b32 s29, exec_lo, s4
	s_cbranch_execz .LBB248_283
; %bb.281:                              ;   in Loop: Header=BB248_217 Depth=1
	v_and_or_b32 v4, v40, s20, 0x800000
	v_dual_mov_b32 v53, v5 :: v_dual_lshrrev_b32 v38, 23, v40
	v_mov_b32_e32 v55, v5
	s_delay_alu instid0(VALU_DEP_3) | instskip(NEXT) | instid1(VALU_DEP_3)
	v_mul_u64_e32 v[42:43], s[16:17], v[4:5]
	v_dual_mov_b32 v45, v5 :: v_dual_add_nc_u32 v38, 0xffffff88, v38
	s_delay_alu instid0(VALU_DEP_1) | instskip(SKIP_1) | instid1(VALU_DEP_1)
	v_cmp_lt_u32_e32 vcc_lo, 63, v38
	v_cndmask_b32_e64 v41, 0, 0xffffffc0, vcc_lo
	v_add_nc_u32_e32 v38, v41, v38
	s_delay_alu instid0(VALU_DEP_1) | instskip(NEXT) | instid1(VALU_DEP_1)
	v_cmp_lt_u32_e64 s4, 31, v38
	v_cndmask_b32_e64 v41, 0, 0xffffffe0, s4
	v_mov_b32_e32 v44, v43
	s_delay_alu instid0(VALU_DEP_1) | instskip(NEXT) | instid1(VALU_DEP_1)
	v_mad_nc_u64_u32 v[44:45], 0x3c439041, v4, v[44:45]
	v_dual_mov_b32 v47, v5 :: v_dual_mov_b32 v46, v45
	s_delay_alu instid0(VALU_DEP_1) | instskip(NEXT) | instid1(VALU_DEP_1)
	v_mad_nc_u64_u32 v[46:47], 0xdb629599, v4, v[46:47]
	v_dual_mov_b32 v49, v5 :: v_dual_mov_b32 v48, v47
	;; [unrolled: 3-line block ×3, first 2 shown]
	s_delay_alu instid0(VALU_DEP_1) | instskip(NEXT) | instid1(VALU_DEP_1)
	v_mad_nc_u64_u32 v[50:51], 0xfc2757d1, v4, v[50:51]
	v_mov_b32_e32 v52, v51
	s_delay_alu instid0(VALU_DEP_1) | instskip(NEXT) | instid1(VALU_DEP_1)
	v_mad_nc_u64_u32 v[52:53], 0x4e441529, v4, v[52:53]
	v_mov_b32_e32 v54, v53
	s_delay_alu instid0(VALU_DEP_1) | instskip(NEXT) | instid1(VALU_DEP_3)
	v_mad_nc_u64_u32 v[54:55], 0xa2f9836e, v4, v[54:55]
	v_dual_cndmask_b32 v41, v52, v48 :: v_dual_add_nc_u32 v4, v41, v38
	s_delay_alu instid0(VALU_DEP_2) | instskip(NEXT) | instid1(VALU_DEP_2)
	v_cndmask_b32_e32 v45, v55, v52, vcc_lo
	v_cmp_lt_u32_e64 s5, 31, v4
	s_delay_alu instid0(VALU_DEP_4) | instskip(SKIP_1) | instid1(VALU_DEP_3)
	v_cndmask_b32_e32 v43, v54, v50, vcc_lo
	v_cndmask_b32_e32 v47, v50, v46, vcc_lo
	v_cndmask_b32_e64 v38, 0, 0xffffffe0, s5
	s_delay_alu instid0(VALU_DEP_1) | instskip(NEXT) | instid1(VALU_DEP_4)
	v_add_nc_u32_e32 v4, v38, v4
	v_dual_cndmask_b32 v38, v48, v44, vcc_lo :: v_dual_cndmask_b32 v44, v43, v41, s4
	v_cndmask_b32_e64 v43, v45, v43, s4
	s_delay_alu instid0(VALU_DEP_3) | instskip(NEXT) | instid1(VALU_DEP_3)
	v_dual_cndmask_b32 v41, v41, v47, s4 :: v_dual_sub_nc_u32 v45, 32, v4
	v_cndmask_b32_e64 v47, v47, v38, s4
	s_delay_alu instid0(VALU_DEP_2) | instskip(NEXT) | instid1(VALU_DEP_2)
	v_dual_cndmask_b32 v43, v43, v44, s5 :: v_dual_cndmask_b32 v44, v44, v41, s5
	v_cndmask_b32_e64 v41, v41, v47, s5
	s_delay_alu instid0(VALU_DEP_2) | instskip(SKIP_2) | instid1(VALU_DEP_4)
	v_alignbit_b32 v48, v43, v44, v45
	v_cndmask_b32_e32 v42, v46, v42, vcc_lo
	v_cmp_eq_u32_e32 vcc_lo, 0, v4
	v_alignbit_b32 v46, v44, v41, v45
	s_delay_alu instid0(VALU_DEP_4) | instskip(NEXT) | instid1(VALU_DEP_1)
	v_cndmask_b32_e32 v4, v48, v43, vcc_lo
	v_bfe_u32 v43, v4, 29, 1
	v_cndmask_b32_e64 v38, v38, v42, s4
	s_delay_alu instid0(VALU_DEP_2) | instskip(NEXT) | instid1(VALU_DEP_2)
	v_dual_cndmask_b32 v42, v46, v44, vcc_lo :: v_dual_sub_nc_u32 v46, 0, v43
	v_cndmask_b32_e64 v38, v47, v38, s5
	s_delay_alu instid0(VALU_DEP_2) | instskip(NEXT) | instid1(VALU_DEP_2)
	v_alignbit_b32 v44, v4, v42, 30
	v_alignbit_b32 v45, v41, v38, v45
	s_delay_alu instid0(VALU_DEP_1) | instskip(NEXT) | instid1(VALU_DEP_1)
	v_dual_cndmask_b32 v41, v45, v41, vcc_lo :: v_dual_bitop2_b32 v44, v44, v46 bitop3:0x14
	v_clz_i32_u32_e32 v45, v44
	s_delay_alu instid0(VALU_DEP_2) | instskip(NEXT) | instid1(VALU_DEP_2)
	v_alignbit_b32 v42, v42, v41, 30
	v_min_u32_e32 v45, 32, v45
	v_alignbit_b32 v38, v41, v38, 30
	s_delay_alu instid0(VALU_DEP_2) | instskip(NEXT) | instid1(VALU_DEP_2)
	v_dual_sub_nc_u32 v42, 31, v45 :: v_dual_bitop2_b32 v41, v42, v46 bitop3:0x14
	v_dual_lshrrev_b32 v46, 29, v4 :: v_dual_bitop2_b32 v38, v38, v46 bitop3:0x14
	v_dual_lshlrev_b32 v47, 23, v45 :: v_dual_lshrrev_b32 v4, 30, v4
	s_delay_alu instid0(VALU_DEP_3) | instskip(NEXT) | instid1(VALU_DEP_3)
	v_alignbit_b32 v44, v44, v41, v42
	v_alignbit_b32 v38, v41, v38, v42
	s_delay_alu instid0(VALU_DEP_4) | instskip(NEXT) | instid1(VALU_DEP_2)
	v_lshlrev_b32_e32 v41, 31, v46
	v_alignbit_b32 v42, v44, v38, 9
	s_delay_alu instid0(VALU_DEP_2) | instskip(SKIP_1) | instid1(VALU_DEP_3)
	v_dual_lshrrev_b32 v44, 9, v44 :: v_dual_bitop2_b32 v46, 0.5, v41 bitop3:0x54
	v_or_b32_e32 v41, 0x33000000, v41
	v_clz_i32_u32_e32 v48, v42
	s_delay_alu instid0(VALU_DEP_3) | instskip(NEXT) | instid1(VALU_DEP_2)
	v_sub_nc_u32_e32 v46, v46, v47
	v_min_u32_e32 v47, 32, v48
	s_delay_alu instid0(VALU_DEP_1) | instskip(NEXT) | instid1(VALU_DEP_1)
	v_add_lshl_u32 v45, v47, v45, 23
	v_dual_sub_nc_u32 v41, v41, v45 :: v_dual_bitop2_b32 v44, v44, v46 bitop3:0x54
	v_not_b32_e32 v46, v47
	s_delay_alu instid0(VALU_DEP_2) | instskip(NEXT) | instid1(VALU_DEP_2)
	v_mul_f32_e32 v48, 0x3fc90fda, v44
	v_alignbit_b32 v38, v42, v38, v46
	s_delay_alu instid0(VALU_DEP_2) | instskip(NEXT) | instid1(VALU_DEP_2)
	v_fma_f32 v42, 0x3fc90fda, v44, -v48
	v_lshrrev_b32_e32 v38, 9, v38
	s_delay_alu instid0(VALU_DEP_2) | instskip(NEXT) | instid1(VALU_DEP_2)
	v_fmac_f32_e32 v42, 0x33a22168, v44
	v_dual_add_nc_u32 v41, v43, v4 :: v_dual_bitop2_b32 v38, v41, v38 bitop3:0x54
	s_delay_alu instid0(VALU_DEP_1) | instskip(NEXT) | instid1(VALU_DEP_1)
	v_fmac_f32_e32 v42, 0x3fc90fda, v38
	v_add_f32_e32 v38, v48, v42
	s_and_not1_saveexec_b32 s4, s29
	s_branch .LBB248_284
.LBB248_282:                            ;   in Loop: Header=BB248_217 Depth=1
	s_or_b32 exec_lo, exec_lo, s27
                                        ; implicit-def: $vgpr4
                                        ; implicit-def: $vgpr32
                                        ; implicit-def: $vgpr41
	s_and_not1_saveexec_b32 s4, s26
	s_cbranch_execnz .LBB248_249
	s_branch .LBB248_254
.LBB248_283:                            ;   in Loop: Header=BB248_217 Depth=1
	s_and_not1_saveexec_b32 s4, s29
.LBB248_284:                            ;   in Loop: Header=BB248_217 Depth=1
	v_mul_f32_e64 v4, 0x3f22f983, |v37|
	s_delay_alu instid0(VALU_DEP_1) | instskip(NEXT) | instid1(VALU_DEP_1)
	v_rndne_f32_e32 v4, v4
	v_fma_f32 v38, 0xbfc90fda, v4, |v37|
	v_cvt_i32_f32_e32 v41, v4
	s_delay_alu instid0(VALU_DEP_2) | instskip(NEXT) | instid1(VALU_DEP_1)
	v_fmac_f32_e32 v38, 0xb3a22168, v4
	v_fmac_f32_e32 v38, 0xa7c234c4, v4
; %bb.285:                              ;   in Loop: Header=BB248_217 Depth=1
	s_or_b32 exec_lo, exec_lo, s4
                                        ; implicit-def: $vgpr42
                                        ; implicit-def: $vgpr4
	s_and_saveexec_b32 s4, s28
	s_delay_alu instid0(SALU_CYCLE_1)
	s_xor_b32 s28, exec_lo, s4
	s_cbranch_execz .LBB248_287
; %bb.286:                              ;   in Loop: Header=BB248_217 Depth=1
	v_and_or_b32 v4, v40, s20, 0x800000
	v_mov_b32_e32 v53, v5
	s_delay_alu instid0(VALU_DEP_2) | instskip(NEXT) | instid1(VALU_DEP_1)
	v_mul_u64_e32 v[42:43], s[16:17], v[4:5]
	v_dual_mov_b32 v45, v5 :: v_dual_mov_b32 v44, v43
	v_lshrrev_b32_e32 v43, 23, v40
	s_delay_alu instid0(VALU_DEP_2) | instskip(SKIP_1) | instid1(VALU_DEP_3)
	v_mad_nc_u64_u32 v[44:45], 0x3c439041, v4, v[44:45]
	v_mov_b32_e32 v47, v5
	v_add_nc_u32_e32 v43, 0xffffff88, v43
	s_delay_alu instid0(VALU_DEP_1) | instskip(NEXT) | instid1(VALU_DEP_4)
	v_cmp_lt_u32_e32 vcc_lo, 63, v43
	v_mov_b32_e32 v46, v45
	v_cndmask_b32_e64 v45, 0, 0xffffffc0, vcc_lo
	s_delay_alu instid0(VALU_DEP_2) | instskip(NEXT) | instid1(VALU_DEP_1)
	v_mad_nc_u64_u32 v[46:47], 0xdb629599, v4, v[46:47]
	v_dual_mov_b32 v49, v5 :: v_dual_mov_b32 v48, v47
	s_delay_alu instid0(VALU_DEP_2) | instskip(NEXT) | instid1(VALU_DEP_2)
	v_cndmask_b32_e32 v42, v46, v42, vcc_lo
	v_mad_nc_u64_u32 v[48:49], 0xf534ddc0, v4, v[48:49]
	s_delay_alu instid0(VALU_DEP_1) | instskip(NEXT) | instid1(VALU_DEP_1)
	v_dual_mov_b32 v51, v5 :: v_dual_mov_b32 v50, v49
	v_mad_nc_u64_u32 v[50:51], 0xfc2757d1, v4, v[50:51]
	s_delay_alu instid0(VALU_DEP_1) | instskip(NEXT) | instid1(VALU_DEP_1)
	v_mov_b32_e32 v52, v51
	v_mad_nc_u64_u32 v[52:53], 0x4e441529, v4, v[52:53]
	v_add_nc_u32_e32 v43, v45, v43
	v_mov_b32_e32 v55, v5
	s_delay_alu instid0(VALU_DEP_2) | instskip(NEXT) | instid1(VALU_DEP_4)
	v_cmp_lt_u32_e64 s4, 31, v43
	v_mov_b32_e32 v54, v53
	s_delay_alu instid0(VALU_DEP_2) | instskip(NEXT) | instid1(VALU_DEP_2)
	v_cndmask_b32_e64 v45, 0, 0xffffffe0, s4
	v_mad_nc_u64_u32 v[54:55], 0xa2f9836e, v4, v[54:55]
	s_delay_alu instid0(VALU_DEP_2) | instskip(NEXT) | instid1(VALU_DEP_2)
	v_dual_cndmask_b32 v45, v52, v48 :: v_dual_add_nc_u32 v4, v45, v43
	v_cndmask_b32_e32 v47, v54, v50, vcc_lo
	s_delay_alu instid0(VALU_DEP_2) | instskip(NEXT) | instid1(VALU_DEP_4)
	v_cmp_lt_u32_e64 s5, 31, v4
	v_dual_cndmask_b32 v49, v55, v52 :: v_dual_cndmask_b32 v50, v50, v46
	s_delay_alu instid0(VALU_DEP_2) | instskip(NEXT) | instid1(VALU_DEP_1)
	v_cndmask_b32_e64 v43, 0, 0xffffffe0, s5
	v_add_nc_u32_e32 v4, v43, v4
	v_dual_cndmask_b32 v43, v48, v44, vcc_lo :: v_dual_cndmask_b32 v44, v47, v45, s4
	s_delay_alu instid0(VALU_DEP_4) | instskip(NEXT) | instid1(VALU_DEP_3)
	v_cndmask_b32_e64 v47, v49, v47, s4
	v_dual_cndmask_b32 v45, v45, v50, s4 :: v_dual_sub_nc_u32 v48, 32, v4
	s_delay_alu instid0(VALU_DEP_3) | instskip(SKIP_1) | instid1(VALU_DEP_3)
	v_cndmask_b32_e64 v49, v50, v43, s4
	v_cmp_eq_u32_e32 vcc_lo, 0, v4
	v_dual_cndmask_b32 v47, v47, v44, s5 :: v_dual_cndmask_b32 v44, v44, v45, s5
	s_delay_alu instid0(VALU_DEP_1) | instskip(NEXT) | instid1(VALU_DEP_1)
	v_alignbit_b32 v50, v47, v44, v48
	v_dual_cndmask_b32 v45, v45, v49, s5 :: v_dual_cndmask_b32 v4, v50, v47, vcc_lo
	s_delay_alu instid0(VALU_DEP_1) | instskip(NEXT) | instid1(VALU_DEP_1)
	v_alignbit_b32 v46, v44, v45, v48
	v_dual_cndmask_b32 v42, v43, v42, s4 :: v_dual_cndmask_b32 v43, v46, v44, vcc_lo
	s_delay_alu instid0(VALU_DEP_3) | instskip(NEXT) | instid1(VALU_DEP_2)
	v_bfe_u32 v44, v4, 29, 1
	v_cndmask_b32_e64 v42, v49, v42, s5
	s_delay_alu instid0(VALU_DEP_3) | instskip(NEXT) | instid1(VALU_DEP_3)
	v_alignbit_b32 v46, v4, v43, 30
	v_sub_nc_u32_e32 v47, 0, v44
	s_delay_alu instid0(VALU_DEP_3) | instskip(NEXT) | instid1(VALU_DEP_1)
	v_alignbit_b32 v48, v45, v42, v48
	v_dual_cndmask_b32 v45, v48, v45, vcc_lo :: v_dual_bitop2_b32 v46, v46, v47 bitop3:0x14
	s_delay_alu instid0(VALU_DEP_1) | instskip(NEXT) | instid1(VALU_DEP_2)
	v_clz_i32_u32_e32 v48, v46
	v_alignbit_b32 v43, v43, v45, 30
	v_alignbit_b32 v42, v45, v42, 30
	s_delay_alu instid0(VALU_DEP_3) | instskip(NEXT) | instid1(VALU_DEP_3)
	v_min_u32_e32 v48, 32, v48
	v_xor_b32_e32 v43, v43, v47
	s_delay_alu instid0(VALU_DEP_3) | instskip(NEXT) | instid1(VALU_DEP_3)
	v_dual_lshrrev_b32 v47, 29, v4 :: v_dual_bitop2_b32 v42, v42, v47 bitop3:0x14
	v_dual_sub_nc_u32 v45, 31, v48 :: v_dual_lshlrev_b32 v49, 23, v48
	s_delay_alu instid0(VALU_DEP_1) | instskip(NEXT) | instid1(VALU_DEP_3)
	v_alignbit_b32 v46, v46, v43, v45
	v_alignbit_b32 v42, v43, v42, v45
	s_delay_alu instid0(VALU_DEP_4) | instskip(NEXT) | instid1(VALU_DEP_2)
	v_lshlrev_b32_e32 v43, 31, v47
	v_alignbit_b32 v45, v46, v42, 9
	s_delay_alu instid0(VALU_DEP_2) | instskip(SKIP_1) | instid1(VALU_DEP_3)
	v_dual_lshrrev_b32 v46, 9, v46 :: v_dual_bitop2_b32 v47, 0.5, v43 bitop3:0x54
	v_or_b32_e32 v43, 0x33000000, v43
	v_clz_i32_u32_e32 v50, v45
	s_delay_alu instid0(VALU_DEP_3) | instskip(NEXT) | instid1(VALU_DEP_2)
	v_sub_nc_u32_e32 v47, v47, v49
	v_min_u32_e32 v49, 32, v50
	s_delay_alu instid0(VALU_DEP_1) | instskip(NEXT) | instid1(VALU_DEP_3)
	v_add_lshl_u32 v48, v49, v48, 23
	v_or_b32_e32 v46, v46, v47
	v_not_b32_e32 v47, v49
	s_delay_alu instid0(VALU_DEP_2) | instskip(NEXT) | instid1(VALU_DEP_2)
	v_dual_mul_f32 v50, 0x3fc90fda, v46 :: v_dual_sub_nc_u32 v43, v43, v48
	v_alignbit_b32 v42, v45, v42, v47
	s_delay_alu instid0(VALU_DEP_2) | instskip(NEXT) | instid1(VALU_DEP_2)
	v_fma_f32 v45, 0x3fc90fda, v46, -v50
	v_lshrrev_b32_e32 v42, 9, v42
	s_delay_alu instid0(VALU_DEP_2) | instskip(NEXT) | instid1(VALU_DEP_2)
	v_fmac_f32_e32 v45, 0x33a22168, v46
	v_or_b32_e32 v42, v43, v42
	s_delay_alu instid0(VALU_DEP_1) | instskip(NEXT) | instid1(VALU_DEP_1)
	v_dual_fmac_f32 v45, 0x3fc90fda, v42 :: v_dual_lshrrev_b32 v42, 30, v4
	v_dual_add_nc_u32 v42, v44, v42 :: v_dual_add_f32 v4, v50, v45
	s_and_not1_saveexec_b32 s4, s28
	s_cbranch_execnz .LBB248_288
	s_branch .LBB248_289
.LBB248_287:                            ;   in Loop: Header=BB248_217 Depth=1
	s_and_not1_saveexec_b32 s4, s28
.LBB248_288:                            ;   in Loop: Header=BB248_217 Depth=1
	v_mul_f32_e64 v4, 0x3f22f983, |v37|
	s_delay_alu instid0(VALU_DEP_1) | instskip(NEXT) | instid1(VALU_DEP_1)
	v_rndne_f32_e32 v42, v4
	v_fma_f32 v4, 0xbfc90fda, v42, |v37|
	s_delay_alu instid0(VALU_DEP_1) | instskip(NEXT) | instid1(VALU_DEP_1)
	v_fmac_f32_e32 v4, 0xb3a22168, v42
	v_fmac_f32_e32 v4, 0xa7c234c4, v42
	v_cvt_i32_f32_e32 v42, v42
.LBB248_289:                            ;   in Loop: Header=BB248_217 Depth=1
	s_or_b32 exec_lo, exec_lo, s4
	s_delay_alu instid0(VALU_DEP_1) | instskip(SKIP_2) | instid1(VALU_DEP_3)
	v_dual_mul_f32 v46, v4, v4 :: v_dual_bitop2_b32 v45, 1, v41 bitop3:0x40
	v_dual_mul_f32 v43, 0xbfb8aa3b, v36 :: v_dual_mul_f32 v44, v38, v38
	v_cmp_ngt_f32_e64 s4, 0xc2b17218, v36
	v_cmp_eq_u32_e32 vcc_lo, 0, v45
	s_delay_alu instid0(VALU_DEP_4) | instskip(NEXT) | instid1(VALU_DEP_4)
	v_fmaak_f32 v51, s21, v46, 0x3c0881c4
	v_rndne_f32_e32 v47, v43
	v_fmaak_f32 v50, s22, v44, 0xbab64f3b
	v_fma_f32 v48, 0xbfb8aa3b, v36, -v43
	v_lshlrev_b32_e32 v41, 30, v41
	v_fmaak_f32 v51, v46, v51, 0xbe2aaa9d
	s_delay_alu instid0(VALU_DEP_4) | instskip(SKIP_1) | instid1(VALU_DEP_3)
	v_dual_sub_f32 v43, v43, v47 :: v_dual_fmaak_f32 v50, v44, v50, 0x3d2aabf7
	v_cvt_i32_f32_e32 v47, v47
	v_mul_f32_e32 v51, v46, v51
	v_fmaak_f32 v49, s21, v44, 0x3c0881c4
	s_delay_alu instid0(VALU_DEP_4) | instskip(NEXT) | instid1(VALU_DEP_3)
	v_fmaak_f32 v50, v44, v50, 0xbf000004
	v_fmac_f32_e32 v4, v4, v51
	s_delay_alu instid0(VALU_DEP_3) | instskip(NEXT) | instid1(VALU_DEP_1)
	v_fmaak_f32 v49, v44, v49, 0xbe2aaa9d
	v_dual_fmac_f32 v48, 0xb2a5705f, v36 :: v_dual_mul_f32 v49, v44, v49
	s_delay_alu instid0(VALU_DEP_1) | instskip(SKIP_1) | instid1(VALU_DEP_3)
	v_dual_fmaak_f32 v52, s22, v46, 0xbab64f3b :: v_dual_add_f32 v43, v43, v48
	v_fma_f32 v44, v44, v50, 1.0
	v_fmac_f32_e32 v38, v38, v49
	s_delay_alu instid0(VALU_DEP_3) | instskip(NEXT) | instid1(VALU_DEP_4)
	v_fmaak_f32 v48, v46, v52, 0x3d2aabf7
	v_exp_f32_e32 v43, v43
	s_delay_alu instid0(VALU_DEP_2) | instskip(NEXT) | instid1(VALU_DEP_2)
	v_cndmask_b32_e64 v38, -v38, v44, vcc_lo
	v_fmaak_f32 v48, v46, v48, 0xbf000004
	s_delay_alu instid0(TRANS32_DEP_1) | instskip(SKIP_1) | instid1(VALU_DEP_3)
	v_ldexp_f32 v43, v43, v47
	v_and_b32_e32 v47, 1, v42
	v_fma_f32 v46, v46, v48, 1.0
	v_lshlrev_b32_e32 v42, 30, v42
	v_bitop3_b32 v38, v41, v38, 0x80000000 bitop3:0x6c
	s_delay_alu instid0(VALU_DEP_4) | instskip(NEXT) | instid1(VALU_DEP_3)
	v_cmp_eq_u32_e32 vcc_lo, 0, v47
	v_and_or_b32 v40, 0x80000000, v42, v40
	v_cndmask_b32_e32 v4, v46, v4, vcc_lo
	v_cmp_nlt_f32_e32 vcc_lo, 0x42ce8ed0, v36
	s_delay_alu instid0(VALU_DEP_2) | instskip(SKIP_2) | instid1(VALU_DEP_2)
	v_xor3_b32 v4, v40, v4, v39
	v_cndmask_b32_e32 v42, 0, v43, vcc_lo
	v_cmp_class_f32_e64 vcc_lo, v37, 0x1f8
                                        ; implicit-def: $vgpr40
	v_cndmask_b32_e64 v36, 0x7f800000, v42, s4
	v_cndmask_b32_e32 v37, 0x7fc00000, v38, vcc_lo
	v_cndmask_b32_e32 v4, 0x7fc00000, v4, vcc_lo
	s_delay_alu instid0(VALU_DEP_1)
	v_dual_mul_f32 v38, v36, v37 :: v_dual_mul_f32 v39, v36, v4
                                        ; implicit-def: $vgpr37
.LBB248_290:                            ;   in Loop: Header=BB248_217 Depth=1
	s_and_not1_saveexec_b32 s27, s27
	s_cbranch_execz .LBB248_300
; %bb.291:                              ;   in Loop: Header=BB248_217 Depth=1
	v_cmp_ngt_f32_e64 s28, 0x48000000, |v37|
                                        ; implicit-def: $vgpr41
                                        ; implicit-def: $vgpr38
	s_and_saveexec_b32 s4, s28
	s_delay_alu instid0(SALU_CYCLE_1)
	s_xor_b32 s29, exec_lo, s4
	s_cbranch_execz .LBB248_293
; %bb.292:                              ;   in Loop: Header=BB248_217 Depth=1
	v_and_or_b32 v4, v40, s20, 0x800000
	v_dual_mov_b32 v53, v5 :: v_dual_lshrrev_b32 v38, 23, v40
	v_mov_b32_e32 v55, v5
	s_delay_alu instid0(VALU_DEP_3) | instskip(NEXT) | instid1(VALU_DEP_3)
	v_mul_u64_e32 v[42:43], s[16:17], v[4:5]
	v_dual_mov_b32 v45, v5 :: v_dual_add_nc_u32 v38, 0xffffff88, v38
	s_delay_alu instid0(VALU_DEP_1) | instskip(SKIP_1) | instid1(VALU_DEP_1)
	v_cmp_lt_u32_e32 vcc_lo, 63, v38
	v_cndmask_b32_e64 v41, 0, 0xffffffc0, vcc_lo
	v_add_nc_u32_e32 v38, v41, v38
	s_delay_alu instid0(VALU_DEP_1) | instskip(NEXT) | instid1(VALU_DEP_1)
	v_cmp_lt_u32_e64 s4, 31, v38
	v_cndmask_b32_e64 v41, 0, 0xffffffe0, s4
	v_mov_b32_e32 v44, v43
	s_delay_alu instid0(VALU_DEP_1) | instskip(NEXT) | instid1(VALU_DEP_1)
	v_mad_nc_u64_u32 v[44:45], 0x3c439041, v4, v[44:45]
	v_dual_mov_b32 v47, v5 :: v_dual_mov_b32 v46, v45
	s_delay_alu instid0(VALU_DEP_1) | instskip(NEXT) | instid1(VALU_DEP_1)
	v_mad_nc_u64_u32 v[46:47], 0xdb629599, v4, v[46:47]
	v_dual_mov_b32 v49, v5 :: v_dual_mov_b32 v48, v47
	;; [unrolled: 3-line block ×3, first 2 shown]
	s_delay_alu instid0(VALU_DEP_1) | instskip(NEXT) | instid1(VALU_DEP_1)
	v_mad_nc_u64_u32 v[50:51], 0xfc2757d1, v4, v[50:51]
	v_mov_b32_e32 v52, v51
	s_delay_alu instid0(VALU_DEP_1) | instskip(NEXT) | instid1(VALU_DEP_1)
	v_mad_nc_u64_u32 v[52:53], 0x4e441529, v4, v[52:53]
	v_mov_b32_e32 v54, v53
	s_delay_alu instid0(VALU_DEP_1) | instskip(NEXT) | instid1(VALU_DEP_3)
	v_mad_nc_u64_u32 v[54:55], 0xa2f9836e, v4, v[54:55]
	v_dual_cndmask_b32 v41, v52, v48 :: v_dual_add_nc_u32 v4, v41, v38
	s_delay_alu instid0(VALU_DEP_2) | instskip(NEXT) | instid1(VALU_DEP_2)
	v_cndmask_b32_e32 v45, v55, v52, vcc_lo
	v_cmp_lt_u32_e64 s5, 31, v4
	s_delay_alu instid0(VALU_DEP_4) | instskip(SKIP_1) | instid1(VALU_DEP_3)
	v_cndmask_b32_e32 v43, v54, v50, vcc_lo
	v_cndmask_b32_e32 v47, v50, v46, vcc_lo
	v_cndmask_b32_e64 v38, 0, 0xffffffe0, s5
	s_delay_alu instid0(VALU_DEP_1) | instskip(NEXT) | instid1(VALU_DEP_4)
	v_add_nc_u32_e32 v4, v38, v4
	v_dual_cndmask_b32 v38, v48, v44, vcc_lo :: v_dual_cndmask_b32 v44, v43, v41, s4
	v_cndmask_b32_e64 v43, v45, v43, s4
	s_delay_alu instid0(VALU_DEP_3) | instskip(NEXT) | instid1(VALU_DEP_3)
	v_dual_cndmask_b32 v41, v41, v47, s4 :: v_dual_sub_nc_u32 v45, 32, v4
	v_cndmask_b32_e64 v47, v47, v38, s4
	s_delay_alu instid0(VALU_DEP_2) | instskip(NEXT) | instid1(VALU_DEP_2)
	v_dual_cndmask_b32 v43, v43, v44, s5 :: v_dual_cndmask_b32 v44, v44, v41, s5
	v_cndmask_b32_e64 v41, v41, v47, s5
	s_delay_alu instid0(VALU_DEP_2) | instskip(SKIP_2) | instid1(VALU_DEP_4)
	v_alignbit_b32 v48, v43, v44, v45
	v_cndmask_b32_e32 v42, v46, v42, vcc_lo
	v_cmp_eq_u32_e32 vcc_lo, 0, v4
	v_alignbit_b32 v46, v44, v41, v45
	s_delay_alu instid0(VALU_DEP_4) | instskip(NEXT) | instid1(VALU_DEP_1)
	v_cndmask_b32_e32 v4, v48, v43, vcc_lo
	v_bfe_u32 v43, v4, 29, 1
	v_cndmask_b32_e64 v38, v38, v42, s4
	s_delay_alu instid0(VALU_DEP_2) | instskip(NEXT) | instid1(VALU_DEP_2)
	v_dual_cndmask_b32 v42, v46, v44, vcc_lo :: v_dual_sub_nc_u32 v46, 0, v43
	v_cndmask_b32_e64 v38, v47, v38, s5
	s_delay_alu instid0(VALU_DEP_2) | instskip(NEXT) | instid1(VALU_DEP_2)
	v_alignbit_b32 v44, v4, v42, 30
	v_alignbit_b32 v45, v41, v38, v45
	s_delay_alu instid0(VALU_DEP_1) | instskip(NEXT) | instid1(VALU_DEP_1)
	v_dual_cndmask_b32 v41, v45, v41, vcc_lo :: v_dual_bitop2_b32 v44, v44, v46 bitop3:0x14
	v_clz_i32_u32_e32 v45, v44
	s_delay_alu instid0(VALU_DEP_2) | instskip(NEXT) | instid1(VALU_DEP_2)
	v_alignbit_b32 v42, v42, v41, 30
	v_min_u32_e32 v45, 32, v45
	v_alignbit_b32 v38, v41, v38, 30
	s_delay_alu instid0(VALU_DEP_2) | instskip(NEXT) | instid1(VALU_DEP_2)
	v_dual_sub_nc_u32 v42, 31, v45 :: v_dual_bitop2_b32 v41, v42, v46 bitop3:0x14
	v_dual_lshrrev_b32 v46, 29, v4 :: v_dual_bitop2_b32 v38, v38, v46 bitop3:0x14
	v_dual_lshlrev_b32 v47, 23, v45 :: v_dual_lshrrev_b32 v4, 30, v4
	s_delay_alu instid0(VALU_DEP_3) | instskip(NEXT) | instid1(VALU_DEP_3)
	v_alignbit_b32 v44, v44, v41, v42
	v_alignbit_b32 v38, v41, v38, v42
	s_delay_alu instid0(VALU_DEP_4) | instskip(NEXT) | instid1(VALU_DEP_2)
	v_lshlrev_b32_e32 v41, 31, v46
	v_alignbit_b32 v42, v44, v38, 9
	s_delay_alu instid0(VALU_DEP_2) | instskip(SKIP_1) | instid1(VALU_DEP_3)
	v_dual_lshrrev_b32 v44, 9, v44 :: v_dual_bitop2_b32 v46, 0.5, v41 bitop3:0x54
	v_or_b32_e32 v41, 0x33000000, v41
	v_clz_i32_u32_e32 v48, v42
	s_delay_alu instid0(VALU_DEP_3) | instskip(NEXT) | instid1(VALU_DEP_2)
	v_sub_nc_u32_e32 v46, v46, v47
	v_min_u32_e32 v47, 32, v48
	s_delay_alu instid0(VALU_DEP_1) | instskip(NEXT) | instid1(VALU_DEP_1)
	v_add_lshl_u32 v45, v47, v45, 23
	v_dual_sub_nc_u32 v41, v41, v45 :: v_dual_bitop2_b32 v44, v44, v46 bitop3:0x54
	v_not_b32_e32 v46, v47
	s_delay_alu instid0(VALU_DEP_2) | instskip(NEXT) | instid1(VALU_DEP_2)
	v_mul_f32_e32 v48, 0x3fc90fda, v44
	v_alignbit_b32 v38, v42, v38, v46
	s_delay_alu instid0(VALU_DEP_2) | instskip(NEXT) | instid1(VALU_DEP_2)
	v_fma_f32 v42, 0x3fc90fda, v44, -v48
	v_lshrrev_b32_e32 v38, 9, v38
	s_delay_alu instid0(VALU_DEP_2) | instskip(NEXT) | instid1(VALU_DEP_2)
	v_fmac_f32_e32 v42, 0x33a22168, v44
	v_dual_add_nc_u32 v41, v43, v4 :: v_dual_bitop2_b32 v38, v41, v38 bitop3:0x54
	s_delay_alu instid0(VALU_DEP_1) | instskip(NEXT) | instid1(VALU_DEP_1)
	v_fmac_f32_e32 v42, 0x3fc90fda, v38
	v_add_f32_e32 v38, v48, v42
	s_and_not1_saveexec_b32 s4, s29
	s_branch .LBB248_294
.LBB248_293:                            ;   in Loop: Header=BB248_217 Depth=1
	s_and_not1_saveexec_b32 s4, s29
.LBB248_294:                            ;   in Loop: Header=BB248_217 Depth=1
	v_mul_f32_e64 v4, 0x3f22f983, |v37|
	s_delay_alu instid0(VALU_DEP_1) | instskip(NEXT) | instid1(VALU_DEP_1)
	v_rndne_f32_e32 v4, v4
	v_fma_f32 v38, 0xbfc90fda, v4, |v37|
	v_cvt_i32_f32_e32 v41, v4
	s_delay_alu instid0(VALU_DEP_2) | instskip(NEXT) | instid1(VALU_DEP_1)
	v_fmac_f32_e32 v38, 0xb3a22168, v4
	v_fmac_f32_e32 v38, 0xa7c234c4, v4
; %bb.295:                              ;   in Loop: Header=BB248_217 Depth=1
	s_or_b32 exec_lo, exec_lo, s4
                                        ; implicit-def: $vgpr42
                                        ; implicit-def: $vgpr4
	s_and_saveexec_b32 s4, s28
	s_delay_alu instid0(SALU_CYCLE_1)
	s_xor_b32 s28, exec_lo, s4
	s_cbranch_execz .LBB248_297
; %bb.296:                              ;   in Loop: Header=BB248_217 Depth=1
	v_and_or_b32 v4, v40, s20, 0x800000
	v_mov_b32_e32 v53, v5
	s_delay_alu instid0(VALU_DEP_2) | instskip(NEXT) | instid1(VALU_DEP_1)
	v_mul_u64_e32 v[42:43], s[16:17], v[4:5]
	v_dual_mov_b32 v45, v5 :: v_dual_mov_b32 v44, v43
	v_lshrrev_b32_e32 v43, 23, v40
	s_delay_alu instid0(VALU_DEP_2) | instskip(SKIP_1) | instid1(VALU_DEP_3)
	v_mad_nc_u64_u32 v[44:45], 0x3c439041, v4, v[44:45]
	v_mov_b32_e32 v47, v5
	v_add_nc_u32_e32 v43, 0xffffff88, v43
	s_delay_alu instid0(VALU_DEP_1) | instskip(NEXT) | instid1(VALU_DEP_4)
	v_cmp_lt_u32_e32 vcc_lo, 63, v43
	v_mov_b32_e32 v46, v45
	v_cndmask_b32_e64 v45, 0, 0xffffffc0, vcc_lo
	s_delay_alu instid0(VALU_DEP_2) | instskip(NEXT) | instid1(VALU_DEP_1)
	v_mad_nc_u64_u32 v[46:47], 0xdb629599, v4, v[46:47]
	v_dual_mov_b32 v49, v5 :: v_dual_mov_b32 v48, v47
	s_delay_alu instid0(VALU_DEP_2) | instskip(NEXT) | instid1(VALU_DEP_2)
	v_cndmask_b32_e32 v42, v46, v42, vcc_lo
	v_mad_nc_u64_u32 v[48:49], 0xf534ddc0, v4, v[48:49]
	s_delay_alu instid0(VALU_DEP_1) | instskip(NEXT) | instid1(VALU_DEP_1)
	v_dual_mov_b32 v51, v5 :: v_dual_mov_b32 v50, v49
	v_mad_nc_u64_u32 v[50:51], 0xfc2757d1, v4, v[50:51]
	s_delay_alu instid0(VALU_DEP_1) | instskip(NEXT) | instid1(VALU_DEP_1)
	v_mov_b32_e32 v52, v51
	v_mad_nc_u64_u32 v[52:53], 0x4e441529, v4, v[52:53]
	v_add_nc_u32_e32 v43, v45, v43
	v_mov_b32_e32 v55, v5
	s_delay_alu instid0(VALU_DEP_2) | instskip(NEXT) | instid1(VALU_DEP_4)
	v_cmp_lt_u32_e64 s4, 31, v43
	v_mov_b32_e32 v54, v53
	s_delay_alu instid0(VALU_DEP_2) | instskip(NEXT) | instid1(VALU_DEP_2)
	v_cndmask_b32_e64 v45, 0, 0xffffffe0, s4
	v_mad_nc_u64_u32 v[54:55], 0xa2f9836e, v4, v[54:55]
	s_delay_alu instid0(VALU_DEP_2) | instskip(NEXT) | instid1(VALU_DEP_2)
	v_dual_cndmask_b32 v45, v52, v48 :: v_dual_add_nc_u32 v4, v45, v43
	v_cndmask_b32_e32 v47, v54, v50, vcc_lo
	s_delay_alu instid0(VALU_DEP_2) | instskip(NEXT) | instid1(VALU_DEP_4)
	v_cmp_lt_u32_e64 s5, 31, v4
	v_dual_cndmask_b32 v49, v55, v52 :: v_dual_cndmask_b32 v50, v50, v46
	s_delay_alu instid0(VALU_DEP_2) | instskip(NEXT) | instid1(VALU_DEP_1)
	v_cndmask_b32_e64 v43, 0, 0xffffffe0, s5
	v_add_nc_u32_e32 v4, v43, v4
	v_dual_cndmask_b32 v43, v48, v44, vcc_lo :: v_dual_cndmask_b32 v44, v47, v45, s4
	s_delay_alu instid0(VALU_DEP_4) | instskip(NEXT) | instid1(VALU_DEP_3)
	v_cndmask_b32_e64 v47, v49, v47, s4
	v_dual_cndmask_b32 v45, v45, v50, s4 :: v_dual_sub_nc_u32 v48, 32, v4
	s_delay_alu instid0(VALU_DEP_3) | instskip(SKIP_1) | instid1(VALU_DEP_3)
	v_cndmask_b32_e64 v49, v50, v43, s4
	v_cmp_eq_u32_e32 vcc_lo, 0, v4
	v_dual_cndmask_b32 v47, v47, v44, s5 :: v_dual_cndmask_b32 v44, v44, v45, s5
	s_delay_alu instid0(VALU_DEP_1) | instskip(NEXT) | instid1(VALU_DEP_1)
	v_alignbit_b32 v50, v47, v44, v48
	v_dual_cndmask_b32 v45, v45, v49, s5 :: v_dual_cndmask_b32 v4, v50, v47, vcc_lo
	s_delay_alu instid0(VALU_DEP_1) | instskip(NEXT) | instid1(VALU_DEP_1)
	v_alignbit_b32 v46, v44, v45, v48
	v_dual_cndmask_b32 v42, v43, v42, s4 :: v_dual_cndmask_b32 v43, v46, v44, vcc_lo
	s_delay_alu instid0(VALU_DEP_3) | instskip(NEXT) | instid1(VALU_DEP_2)
	v_bfe_u32 v44, v4, 29, 1
	v_cndmask_b32_e64 v42, v49, v42, s5
	s_delay_alu instid0(VALU_DEP_3) | instskip(NEXT) | instid1(VALU_DEP_3)
	v_alignbit_b32 v46, v4, v43, 30
	v_sub_nc_u32_e32 v47, 0, v44
	s_delay_alu instid0(VALU_DEP_3) | instskip(NEXT) | instid1(VALU_DEP_1)
	v_alignbit_b32 v48, v45, v42, v48
	v_dual_cndmask_b32 v45, v48, v45, vcc_lo :: v_dual_bitop2_b32 v46, v46, v47 bitop3:0x14
	s_delay_alu instid0(VALU_DEP_1) | instskip(NEXT) | instid1(VALU_DEP_2)
	v_clz_i32_u32_e32 v48, v46
	v_alignbit_b32 v43, v43, v45, 30
	v_alignbit_b32 v42, v45, v42, 30
	s_delay_alu instid0(VALU_DEP_3) | instskip(NEXT) | instid1(VALU_DEP_3)
	v_min_u32_e32 v48, 32, v48
	v_xor_b32_e32 v43, v43, v47
	s_delay_alu instid0(VALU_DEP_3) | instskip(NEXT) | instid1(VALU_DEP_3)
	v_dual_lshrrev_b32 v47, 29, v4 :: v_dual_bitop2_b32 v42, v42, v47 bitop3:0x14
	v_dual_sub_nc_u32 v45, 31, v48 :: v_dual_lshlrev_b32 v49, 23, v48
	s_delay_alu instid0(VALU_DEP_1) | instskip(NEXT) | instid1(VALU_DEP_3)
	v_alignbit_b32 v46, v46, v43, v45
	v_alignbit_b32 v42, v43, v42, v45
	s_delay_alu instid0(VALU_DEP_4) | instskip(NEXT) | instid1(VALU_DEP_2)
	v_lshlrev_b32_e32 v43, 31, v47
	v_alignbit_b32 v45, v46, v42, 9
	s_delay_alu instid0(VALU_DEP_2) | instskip(SKIP_1) | instid1(VALU_DEP_3)
	v_dual_lshrrev_b32 v46, 9, v46 :: v_dual_bitop2_b32 v47, 0.5, v43 bitop3:0x54
	v_or_b32_e32 v43, 0x33000000, v43
	v_clz_i32_u32_e32 v50, v45
	s_delay_alu instid0(VALU_DEP_3) | instskip(NEXT) | instid1(VALU_DEP_2)
	v_sub_nc_u32_e32 v47, v47, v49
	v_min_u32_e32 v49, 32, v50
	s_delay_alu instid0(VALU_DEP_1) | instskip(NEXT) | instid1(VALU_DEP_3)
	v_add_lshl_u32 v48, v49, v48, 23
	v_or_b32_e32 v46, v46, v47
	v_not_b32_e32 v47, v49
	s_delay_alu instid0(VALU_DEP_2) | instskip(NEXT) | instid1(VALU_DEP_2)
	v_dual_mul_f32 v50, 0x3fc90fda, v46 :: v_dual_sub_nc_u32 v43, v43, v48
	v_alignbit_b32 v42, v45, v42, v47
	s_delay_alu instid0(VALU_DEP_2) | instskip(NEXT) | instid1(VALU_DEP_2)
	v_fma_f32 v45, 0x3fc90fda, v46, -v50
	v_lshrrev_b32_e32 v42, 9, v42
	s_delay_alu instid0(VALU_DEP_2) | instskip(NEXT) | instid1(VALU_DEP_2)
	v_fmac_f32_e32 v45, 0x33a22168, v46
	v_or_b32_e32 v42, v43, v42
	s_delay_alu instid0(VALU_DEP_1) | instskip(NEXT) | instid1(VALU_DEP_1)
	v_dual_fmac_f32 v45, 0x3fc90fda, v42 :: v_dual_lshrrev_b32 v42, 30, v4
	v_dual_add_nc_u32 v42, v44, v42 :: v_dual_add_f32 v4, v50, v45
	s_and_not1_saveexec_b32 s4, s28
	s_cbranch_execnz .LBB248_298
	s_branch .LBB248_299
.LBB248_297:                            ;   in Loop: Header=BB248_217 Depth=1
	s_and_not1_saveexec_b32 s4, s28
.LBB248_298:                            ;   in Loop: Header=BB248_217 Depth=1
	v_mul_f32_e64 v4, 0x3f22f983, |v37|
	s_delay_alu instid0(VALU_DEP_1) | instskip(NEXT) | instid1(VALU_DEP_1)
	v_rndne_f32_e32 v42, v4
	v_fma_f32 v4, 0xbfc90fda, v42, |v37|
	s_delay_alu instid0(VALU_DEP_1) | instskip(NEXT) | instid1(VALU_DEP_1)
	v_fmac_f32_e32 v4, 0xb3a22168, v42
	v_fmac_f32_e32 v4, 0xa7c234c4, v42
	v_cvt_i32_f32_e32 v42, v42
.LBB248_299:                            ;   in Loop: Header=BB248_217 Depth=1
	s_or_b32 exec_lo, exec_lo, s4
	v_sub_f32_e32 v36, 0xc322e3bc, v36
	s_delay_alu instid0(VALU_DEP_2) | instskip(NEXT) | instid1(VALU_DEP_3)
	v_dual_mul_f32 v46, v38, v38 :: v_dual_mul_f32 v47, v4, v4
	v_dual_lshlrev_b32 v42, 30, v42 :: v_dual_bitop2_b32 v48, 1, v42 bitop3:0x40
	s_delay_alu instid0(VALU_DEP_3) | instskip(NEXT) | instid1(VALU_DEP_3)
	v_mul_f32_e32 v43, 0x3fb8aa3b, v36
	v_dual_fmaak_f32 v49, s21, v46, 0x3c0881c4 :: v_dual_fmaak_f32 v50, s21, v47, 0x3c0881c4
	s_delay_alu instid0(VALU_DEP_3) | instskip(NEXT) | instid1(VALU_DEP_3)
	v_and_or_b32 v40, 0x80000000, v42, v40
	v_fma_f32 v44, 0x3fb8aa3b, v36, -v43
	v_rndne_f32_e32 v45, v43
	s_delay_alu instid0(VALU_DEP_4) | instskip(NEXT) | instid1(VALU_DEP_2)
	v_fmaak_f32 v49, v46, v49, 0xbe2aaa9d
	v_sub_f32_e32 v43, v43, v45
	v_cmp_ngt_f32_e32 vcc_lo, 0xc2ce8ed0, v36
	v_fmac_f32_e32 v44, 0x32a5705f, v36
	v_cvt_i32_f32_e32 v45, v45
	s_delay_alu instid0(VALU_DEP_2) | instskip(SKIP_1) | instid1(VALU_DEP_2)
	v_dual_mul_f32 v49, v46, v49 :: v_dual_add_f32 v43, v43, v44
	v_dual_lshlrev_b32 v44, 30, v41 :: v_dual_bitop2_b32 v41, 1, v41 bitop3:0x40
	v_fmac_f32_e32 v38, v38, v49
	s_delay_alu instid0(VALU_DEP_3) | instskip(SKIP_1) | instid1(TRANS32_DEP_1)
	v_exp_f32_e32 v43, v43
	v_nop
	v_ldexp_f32 v43, v43, v45
	s_delay_alu instid0(VALU_DEP_1) | instskip(SKIP_3) | instid1(VALU_DEP_4)
	v_cndmask_b32_e32 v43, 0, v43, vcc_lo
	v_cmp_nlt_f32_e32 vcc_lo, 0x42b17218, v36
	v_fmaak_f32 v36, v47, v50, 0xbe2aaa9d
	v_fmaak_f32 v45, s22, v46, 0xbab64f3b
	v_cndmask_b32_e32 v42, 0x7f800000, v43, vcc_lo
	s_delay_alu instid0(VALU_DEP_3) | instskip(SKIP_1) | instid1(VALU_DEP_2)
	v_dual_fmaak_f32 v51, s22, v47, 0xbab64f3b :: v_dual_mul_f32 v36, v47, v36
	v_cmp_eq_u32_e32 vcc_lo, 0, v48
	v_dual_fmaak_f32 v43, v47, v51, 0x3d2aabf7 :: v_dual_lshrrev_b32 v50, 23, v42
	s_delay_alu instid0(VALU_DEP_3) | instskip(NEXT) | instid1(VALU_DEP_2)
	v_fmac_f32_e32 v4, v4, v36
	v_subrev_nc_u32_e32 v50, 19, v50
	s_delay_alu instid0(VALU_DEP_3) | instskip(NEXT) | instid1(VALU_DEP_1)
	v_fmaak_f32 v43, v47, v43, 0xbf000004
	v_fma_f32 v36, v47, v43, 1.0
	s_delay_alu instid0(VALU_DEP_1) | instskip(NEXT) | instid1(VALU_DEP_1)
	v_dual_fmaak_f32 v45, v46, v45, 0x3d2aabf7 :: v_dual_cndmask_b32 v4, v36, v4
	v_fmaak_f32 v45, v46, v45, 0xbf000004
	v_cmp_eq_u32_e32 vcc_lo, 0, v41
	s_delay_alu instid0(VALU_DEP_3) | instskip(NEXT) | instid1(VALU_DEP_3)
	v_xor3_b32 v4, v40, v4, v39
	v_fma_f32 v43, v46, v45, 1.0
	v_lshrrev_b16 v45, 15, v50
	s_delay_alu instid0(VALU_DEP_2) | instskip(NEXT) | instid1(VALU_DEP_2)
	v_cndmask_b32_e64 v36, -v38, v43, vcc_lo
	v_add_nc_u16 v38, v50, v45
	v_cmp_class_f32_e64 vcc_lo, v37, 0x1f8
	s_delay_alu instid0(VALU_DEP_3) | instskip(NEXT) | instid1(VALU_DEP_3)
	v_bitop3_b32 v36, v44, v36, 0x80000000 bitop3:0x6c
	v_ashrrev_i16 v38, 1, v38
	v_cndmask_b32_e32 v37, 0x7fc00000, v4, vcc_lo
	v_and_or_b32 v4, 0x7fffff, v42, s23
	s_delay_alu instid0(VALU_DEP_3) | instskip(NEXT) | instid1(VALU_DEP_1)
	v_bfe_i32 v38, v38, 0, 16
	v_dual_cndmask_b32 v36, 0x7fc00000, v36 :: v_dual_sub_nc_u32 v39, v50, v38
	s_delay_alu instid0(VALU_DEP_1) | instskip(SKIP_1) | instid1(VALU_DEP_3)
	v_pk_mul_f32 v[36:37], v[36:37], v[4:5] op_sel_hi:[1,0]
	v_lshl_add_u32 v4, v38, 23, 1.0
	v_lshl_add_u32 v38, v39, 23, 1.0
	s_delay_alu instid0(VALU_DEP_2) | instskip(NEXT) | instid1(VALU_DEP_1)
	v_pk_mul_f32 v[36:37], v[36:37], v[4:5] op_sel_hi:[1,0]
	v_pk_mul_f32 v[38:39], v[36:37], v[38:39] op_sel_hi:[1,0]
.LBB248_300:                            ;   in Loop: Header=BB248_217 Depth=1
	s_or_b32 exec_lo, exec_lo, s27
                                        ; implicit-def: $vgpr4
                                        ; implicit-def: $vgpr36
                                        ; implicit-def: $vgpr41
.LBB248_301:                            ;   in Loop: Header=BB248_217 Depth=1
	s_and_not1_saveexec_b32 s4, s26
	s_cbranch_execz .LBB248_307
; %bb.302:                              ;   in Loop: Header=BB248_217 Depth=1
	s_mov_b32 s5, exec_lo
                                        ; implicit-def: $vgpr39
	v_cmpx_ne_u32_e32 0x7f800000, v41
	s_xor_b32 s5, exec_lo, s5
; %bb.303:                              ;   in Loop: Header=BB248_217 Depth=1
	v_sub_f32_e32 v39, v37, v37
                                        ; implicit-def: $vgpr4
                                        ; implicit-def: $vgpr36_vgpr37
	s_delay_alu instid0(VALU_DEP_1)
	v_mov_b32_e32 v38, v39
; %bb.304:                              ;   in Loop: Header=BB248_217 Depth=1
	s_and_not1_saveexec_b32 s5, s5
; %bb.305:                              ;   in Loop: Header=BB248_217 Depth=1
	v_pk_add_f32 v[38:39], v[36:37], v[36:37] neg_lo:[0,1] neg_hi:[0,1]
	v_cmp_lt_i32_e32 vcc_lo, -1, v4
	s_delay_alu instid0(VALU_DEP_2)
	v_dual_cndmask_b32 v38, 0, -v36, vcc_lo :: v_dual_cndmask_b32 v39, 0, v39, vcc_lo
; %bb.306:                              ;   in Loop: Header=BB248_217 Depth=1
	s_or_b32 exec_lo, exec_lo, s5
.LBB248_307:                            ;   in Loop: Header=BB248_217 Depth=1
	s_delay_alu instid0(SALU_CYCLE_1)
	s_or_b32 exec_lo, exec_lo, s4
                                        ; implicit-def: $vgpr37
                                        ; implicit-def: $vgpr40
.LBB248_308:                            ;   in Loop: Header=BB248_217 Depth=1
	s_and_not1_saveexec_b32 s25, s25
	s_cbranch_execz .LBB248_318
; %bb.309:                              ;   in Loop: Header=BB248_217 Depth=1
	v_cmp_ngt_f32_e64 s26, 0x48000000, |v37|
                                        ; implicit-def: $vgpr38
                                        ; implicit-def: $vgpr36
	s_and_saveexec_b32 s4, s26
	s_delay_alu instid0(SALU_CYCLE_1)
	s_xor_b32 s27, exec_lo, s4
	s_cbranch_execz .LBB248_311
; %bb.310:                              ;   in Loop: Header=BB248_217 Depth=1
	v_and_or_b32 v4, v40, s20, 0x800000
	v_dual_mov_b32 v53, v5 :: v_dual_lshrrev_b32 v36, 23, v40
	v_mov_b32_e32 v55, v5
	s_delay_alu instid0(VALU_DEP_3) | instskip(NEXT) | instid1(VALU_DEP_3)
	v_mul_u64_e32 v[42:43], s[16:17], v[4:5]
	v_dual_mov_b32 v45, v5 :: v_dual_add_nc_u32 v36, 0xffffff88, v36
	s_delay_alu instid0(VALU_DEP_1) | instskip(SKIP_1) | instid1(VALU_DEP_1)
	v_cmp_lt_u32_e32 vcc_lo, 63, v36
	v_cndmask_b32_e64 v38, 0, 0xffffffc0, vcc_lo
	v_add_nc_u32_e32 v36, v38, v36
	s_delay_alu instid0(VALU_DEP_1) | instskip(NEXT) | instid1(VALU_DEP_1)
	v_cmp_lt_u32_e64 s4, 31, v36
	v_cndmask_b32_e64 v38, 0, 0xffffffe0, s4
	v_mov_b32_e32 v44, v43
	s_delay_alu instid0(VALU_DEP_1) | instskip(NEXT) | instid1(VALU_DEP_1)
	v_mad_nc_u64_u32 v[44:45], 0x3c439041, v4, v[44:45]
	v_dual_mov_b32 v47, v5 :: v_dual_mov_b32 v46, v45
	s_delay_alu instid0(VALU_DEP_1) | instskip(NEXT) | instid1(VALU_DEP_1)
	v_mad_nc_u64_u32 v[46:47], 0xdb629599, v4, v[46:47]
	v_dual_mov_b32 v49, v5 :: v_dual_mov_b32 v48, v47
	;; [unrolled: 3-line block ×3, first 2 shown]
	s_delay_alu instid0(VALU_DEP_1) | instskip(NEXT) | instid1(VALU_DEP_1)
	v_mad_nc_u64_u32 v[50:51], 0xfc2757d1, v4, v[50:51]
	v_dual_mov_b32 v52, v51 :: v_dual_cndmask_b32 v45, v50, v46
	s_delay_alu instid0(VALU_DEP_1) | instskip(NEXT) | instid1(VALU_DEP_1)
	v_mad_nc_u64_u32 v[52:53], 0x4e441529, v4, v[52:53]
	v_mov_b32_e32 v54, v53
	s_delay_alu instid0(VALU_DEP_1) | instskip(SKIP_1) | instid1(VALU_DEP_4)
	v_mad_nc_u64_u32 v[54:55], 0xa2f9836e, v4, v[54:55]
	v_add_nc_u32_e32 v4, v38, v36
	v_cndmask_b32_e32 v38, v52, v48, vcc_lo
	s_delay_alu instid0(VALU_DEP_2) | instskip(NEXT) | instid1(VALU_DEP_1)
	v_cmp_lt_u32_e64 s5, 31, v4
	v_cndmask_b32_e64 v36, 0, 0xffffffe0, s5
	v_dual_cndmask_b32 v41, v54, v50, vcc_lo :: v_dual_cndmask_b32 v43, v55, v52, vcc_lo
	s_delay_alu instid0(VALU_DEP_2) | instskip(NEXT) | instid1(VALU_DEP_2)
	v_add_nc_u32_e32 v4, v36, v4
	v_dual_cndmask_b32 v36, v48, v44, vcc_lo :: v_dual_cndmask_b32 v44, v41, v38, s4
	s_delay_alu instid0(VALU_DEP_3) | instskip(NEXT) | instid1(VALU_DEP_3)
	v_cndmask_b32_e64 v41, v43, v41, s4
	v_dual_cndmask_b32 v38, v38, v45, s4 :: v_dual_sub_nc_u32 v43, 32, v4
	s_delay_alu instid0(VALU_DEP_3) | instskip(NEXT) | instid1(VALU_DEP_2)
	v_cndmask_b32_e64 v45, v45, v36, s4
	v_dual_cndmask_b32 v41, v41, v44, s5 :: v_dual_cndmask_b32 v44, v44, v38, s5
	s_delay_alu instid0(VALU_DEP_2) | instskip(NEXT) | instid1(VALU_DEP_2)
	v_cndmask_b32_e64 v38, v38, v45, s5
	v_alignbit_b32 v47, v41, v44, v43
	v_cndmask_b32_e32 v42, v46, v42, vcc_lo
	v_cmp_eq_u32_e32 vcc_lo, 0, v4
	s_delay_alu instid0(VALU_DEP_4) | instskip(NEXT) | instid1(VALU_DEP_3)
	v_alignbit_b32 v46, v44, v38, v43
	v_dual_cndmask_b32 v4, v47, v41, vcc_lo :: v_dual_cndmask_b32 v36, v36, v42, s4
	s_delay_alu instid0(VALU_DEP_2) | instskip(NEXT) | instid1(VALU_DEP_2)
	v_cndmask_b32_e32 v41, v46, v44, vcc_lo
	v_bfe_u32 v42, v4, 29, 1
	s_delay_alu instid0(VALU_DEP_3) | instskip(NEXT) | instid1(VALU_DEP_3)
	v_cndmask_b32_e64 v36, v45, v36, s5
	v_alignbit_b32 v44, v4, v41, 30
	s_delay_alu instid0(VALU_DEP_3) | instskip(NEXT) | instid1(VALU_DEP_3)
	v_sub_nc_u32_e32 v45, 0, v42
	v_alignbit_b32 v43, v38, v36, v43
	s_delay_alu instid0(VALU_DEP_1) | instskip(NEXT) | instid1(VALU_DEP_1)
	v_dual_cndmask_b32 v38, v43, v38, vcc_lo :: v_dual_bitop2_b32 v44, v44, v45 bitop3:0x14
	v_clz_i32_u32_e32 v43, v44
	s_delay_alu instid0(VALU_DEP_2) | instskip(SKIP_1) | instid1(VALU_DEP_3)
	v_alignbit_b32 v41, v41, v38, 30
	v_alignbit_b32 v36, v38, v36, 30
	v_min_u32_e32 v43, 32, v43
	s_delay_alu instid0(VALU_DEP_3) | instskip(NEXT) | instid1(VALU_DEP_3)
	v_xor_b32_e32 v38, v41, v45
	v_dual_lshrrev_b32 v45, 29, v4 :: v_dual_bitop2_b32 v36, v36, v45 bitop3:0x14
	s_delay_alu instid0(VALU_DEP_3) | instskip(NEXT) | instid1(VALU_DEP_1)
	v_dual_sub_nc_u32 v41, 31, v43 :: v_dual_lshlrev_b32 v46, 23, v43
	v_alignbit_b32 v44, v44, v38, v41
	s_delay_alu instid0(VALU_DEP_3) | instskip(NEXT) | instid1(VALU_DEP_4)
	v_alignbit_b32 v36, v38, v36, v41
	v_lshlrev_b32_e32 v38, 31, v45
	s_delay_alu instid0(VALU_DEP_2) | instskip(NEXT) | instid1(VALU_DEP_2)
	v_alignbit_b32 v41, v44, v36, 9
	v_dual_lshrrev_b32 v44, 9, v44 :: v_dual_bitop2_b32 v45, 0.5, v38 bitop3:0x54
	v_or_b32_e32 v38, 0x33000000, v38
	s_delay_alu instid0(VALU_DEP_3) | instskip(NEXT) | instid1(VALU_DEP_3)
	v_clz_i32_u32_e32 v47, v41
	v_sub_nc_u32_e32 v45, v45, v46
	s_delay_alu instid0(VALU_DEP_2) | instskip(NEXT) | instid1(VALU_DEP_1)
	v_min_u32_e32 v46, 32, v47
	v_add_lshl_u32 v43, v46, v43, 23
	s_delay_alu instid0(VALU_DEP_1) | instskip(SKIP_1) | instid1(VALU_DEP_1)
	v_dual_sub_nc_u32 v38, v38, v43 :: v_dual_bitop2_b32 v44, v44, v45 bitop3:0x54
	v_not_b32_e32 v45, v46
	v_alignbit_b32 v36, v41, v36, v45
	s_delay_alu instid0(VALU_DEP_1) | instskip(NEXT) | instid1(VALU_DEP_4)
	v_lshrrev_b32_e32 v36, 9, v36
	v_mul_f32_e32 v47, 0x3fc90fda, v44
	s_delay_alu instid0(VALU_DEP_2) | instskip(NEXT) | instid1(VALU_DEP_2)
	v_or_b32_e32 v36, v38, v36
	v_fma_f32 v41, 0x3fc90fda, v44, -v47
	s_delay_alu instid0(VALU_DEP_1) | instskip(NEXT) | instid1(VALU_DEP_1)
	v_fmac_f32_e32 v41, 0x33a22168, v44
	v_fmac_f32_e32 v41, 0x3fc90fda, v36
	s_delay_alu instid0(VALU_DEP_1) | instskip(NEXT) | instid1(VALU_DEP_1)
	v_dual_lshrrev_b32 v4, 30, v4 :: v_dual_add_f32 v36, v47, v41
	v_add_nc_u32_e32 v38, v42, v4
	s_and_not1_saveexec_b32 s4, s27
	s_branch .LBB248_312
.LBB248_311:                            ;   in Loop: Header=BB248_217 Depth=1
	s_and_not1_saveexec_b32 s4, s27
.LBB248_312:                            ;   in Loop: Header=BB248_217 Depth=1
	v_mul_f32_e64 v4, 0x3f22f983, |v37|
	s_delay_alu instid0(VALU_DEP_1) | instskip(NEXT) | instid1(VALU_DEP_1)
	v_rndne_f32_e32 v4, v4
	v_fma_f32 v36, 0xbfc90fda, v4, |v37|
	v_cvt_i32_f32_e32 v38, v4
	s_delay_alu instid0(VALU_DEP_2) | instskip(NEXT) | instid1(VALU_DEP_1)
	v_fmac_f32_e32 v36, 0xb3a22168, v4
	v_fmac_f32_e32 v36, 0xa7c234c4, v4
; %bb.313:                              ;   in Loop: Header=BB248_217 Depth=1
	s_or_b32 exec_lo, exec_lo, s4
                                        ; implicit-def: $vgpr41
                                        ; implicit-def: $vgpr4
	s_and_saveexec_b32 s4, s26
	s_delay_alu instid0(SALU_CYCLE_1)
	s_xor_b32 s26, exec_lo, s4
	s_cbranch_execz .LBB248_315
; %bb.314:                              ;   in Loop: Header=BB248_217 Depth=1
	v_and_or_b32 v4, v40, s20, 0x800000
	v_dual_lshrrev_b32 v41, 23, v40 :: v_dual_mov_b32 v53, v5
	v_mov_b32_e32 v55, v5
	s_delay_alu instid0(VALU_DEP_3) | instskip(SKIP_1) | instid1(VALU_DEP_4)
	v_mul_u64_e32 v[42:43], s[16:17], v[4:5]
	v_mov_b32_e32 v45, v5
	v_add_nc_u32_e32 v41, 0xffffff88, v41
	s_delay_alu instid0(VALU_DEP_1) | instskip(NEXT) | instid1(VALU_DEP_4)
	v_cmp_lt_u32_e32 vcc_lo, 63, v41
	v_mov_b32_e32 v44, v43
	v_cndmask_b32_e64 v43, 0, 0xffffffc0, vcc_lo
	s_delay_alu instid0(VALU_DEP_2) | instskip(NEXT) | instid1(VALU_DEP_2)
	v_mad_nc_u64_u32 v[44:45], 0x3c439041, v4, v[44:45]
	v_dual_mov_b32 v47, v5 :: v_dual_add_nc_u32 v41, v43, v41
	s_delay_alu instid0(VALU_DEP_1) | instskip(NEXT) | instid1(VALU_DEP_3)
	v_cmp_lt_u32_e64 s4, 31, v41
	v_mov_b32_e32 v46, v45
	s_delay_alu instid0(VALU_DEP_2) | instskip(NEXT) | instid1(VALU_DEP_2)
	v_cndmask_b32_e64 v43, 0, 0xffffffe0, s4
	v_mad_nc_u64_u32 v[46:47], 0xdb629599, v4, v[46:47]
	s_delay_alu instid0(VALU_DEP_1) | instskip(NEXT) | instid1(VALU_DEP_2)
	v_dual_mov_b32 v49, v5 :: v_dual_mov_b32 v48, v47
	v_cndmask_b32_e32 v42, v46, v42, vcc_lo
	s_delay_alu instid0(VALU_DEP_2) | instskip(NEXT) | instid1(VALU_DEP_1)
	v_mad_nc_u64_u32 v[48:49], 0xf534ddc0, v4, v[48:49]
	v_dual_mov_b32 v51, v5 :: v_dual_mov_b32 v50, v49
	s_delay_alu instid0(VALU_DEP_1) | instskip(NEXT) | instid1(VALU_DEP_1)
	v_mad_nc_u64_u32 v[50:51], 0xfc2757d1, v4, v[50:51]
	v_dual_mov_b32 v52, v51 :: v_dual_cndmask_b32 v49, v50, v46
	s_delay_alu instid0(VALU_DEP_1) | instskip(NEXT) | instid1(VALU_DEP_1)
	v_mad_nc_u64_u32 v[52:53], 0x4e441529, v4, v[52:53]
	v_mov_b32_e32 v54, v53
	s_delay_alu instid0(VALU_DEP_1) | instskip(NEXT) | instid1(VALU_DEP_3)
	v_mad_nc_u64_u32 v[54:55], 0xa2f9836e, v4, v[54:55]
	v_dual_cndmask_b32 v43, v52, v48 :: v_dual_add_nc_u32 v4, v43, v41
	s_delay_alu instid0(VALU_DEP_1) | instskip(NEXT) | instid1(VALU_DEP_1)
	v_cmp_lt_u32_e64 s5, 31, v4
	v_cndmask_b32_e64 v41, 0, 0xffffffe0, s5
	s_delay_alu instid0(VALU_DEP_4) | instskip(NEXT) | instid1(VALU_DEP_2)
	v_dual_cndmask_b32 v45, v54, v50, vcc_lo :: v_dual_cndmask_b32 v47, v55, v52, vcc_lo
	v_add_nc_u32_e32 v4, v41, v4
	s_delay_alu instid0(VALU_DEP_2) | instskip(NEXT) | instid1(VALU_DEP_3)
	v_dual_cndmask_b32 v41, v48, v44, vcc_lo :: v_dual_cndmask_b32 v44, v45, v43, s4
	v_cndmask_b32_e64 v45, v47, v45, s4
	s_delay_alu instid0(VALU_DEP_3) | instskip(NEXT) | instid1(VALU_DEP_3)
	v_dual_cndmask_b32 v43, v43, v49, s4 :: v_dual_sub_nc_u32 v47, 32, v4
	v_cndmask_b32_e64 v48, v49, v41, s4
	v_cmp_eq_u32_e32 vcc_lo, 0, v4
	s_delay_alu instid0(VALU_DEP_3) | instskip(NEXT) | instid1(VALU_DEP_1)
	v_dual_cndmask_b32 v45, v45, v44, s5 :: v_dual_cndmask_b32 v44, v44, v43, s5
	v_alignbit_b32 v49, v45, v44, v47
	s_delay_alu instid0(VALU_DEP_1) | instskip(NEXT) | instid1(VALU_DEP_1)
	v_dual_cndmask_b32 v43, v43, v48, s5 :: v_dual_cndmask_b32 v4, v49, v45, vcc_lo
	v_alignbit_b32 v46, v44, v43, v47
	s_delay_alu instid0(VALU_DEP_1) | instskip(NEXT) | instid1(VALU_DEP_3)
	v_dual_cndmask_b32 v41, v41, v42, s4 :: v_dual_cndmask_b32 v42, v46, v44, vcc_lo
	v_bfe_u32 v44, v4, 29, 1
	s_delay_alu instid0(VALU_DEP_2) | instskip(NEXT) | instid1(VALU_DEP_3)
	v_cndmask_b32_e64 v41, v48, v41, s5
	v_alignbit_b32 v45, v4, v42, 30
	s_delay_alu instid0(VALU_DEP_3) | instskip(NEXT) | instid1(VALU_DEP_3)
	v_sub_nc_u32_e32 v46, 0, v44
	v_alignbit_b32 v47, v43, v41, v47
	s_delay_alu instid0(VALU_DEP_1) | instskip(NEXT) | instid1(VALU_DEP_1)
	v_dual_cndmask_b32 v43, v47, v43, vcc_lo :: v_dual_bitop2_b32 v45, v45, v46 bitop3:0x14
	v_clz_i32_u32_e32 v47, v45
	s_delay_alu instid0(VALU_DEP_2) | instskip(SKIP_1) | instid1(VALU_DEP_3)
	v_alignbit_b32 v42, v42, v43, 30
	v_alignbit_b32 v41, v43, v41, 30
	v_min_u32_e32 v47, 32, v47
	s_delay_alu instid0(VALU_DEP_3) | instskip(NEXT) | instid1(VALU_DEP_3)
	v_xor_b32_e32 v42, v42, v46
	v_dual_lshrrev_b32 v46, 29, v4 :: v_dual_bitop2_b32 v41, v41, v46 bitop3:0x14
	s_delay_alu instid0(VALU_DEP_3) | instskip(NEXT) | instid1(VALU_DEP_1)
	v_dual_sub_nc_u32 v43, 31, v47 :: v_dual_lshlrev_b32 v48, 23, v47
	v_alignbit_b32 v45, v45, v42, v43
	s_delay_alu instid0(VALU_DEP_3) | instskip(NEXT) | instid1(VALU_DEP_4)
	v_alignbit_b32 v41, v42, v41, v43
	v_lshlrev_b32_e32 v42, 31, v46
	s_delay_alu instid0(VALU_DEP_2) | instskip(NEXT) | instid1(VALU_DEP_2)
	v_alignbit_b32 v43, v45, v41, 9
	v_dual_lshrrev_b32 v45, 9, v45 :: v_dual_bitop2_b32 v46, 0.5, v42 bitop3:0x54
	v_or_b32_e32 v42, 0x33000000, v42
	s_delay_alu instid0(VALU_DEP_3) | instskip(NEXT) | instid1(VALU_DEP_3)
	v_clz_i32_u32_e32 v49, v43
	v_sub_nc_u32_e32 v46, v46, v48
	s_delay_alu instid0(VALU_DEP_2) | instskip(NEXT) | instid1(VALU_DEP_1)
	v_min_u32_e32 v48, 32, v49
	v_add_lshl_u32 v47, v48, v47, 23
	s_delay_alu instid0(VALU_DEP_3) | instskip(SKIP_1) | instid1(VALU_DEP_2)
	v_or_b32_e32 v45, v45, v46
	v_not_b32_e32 v46, v48
	v_dual_mul_f32 v49, 0x3fc90fda, v45 :: v_dual_sub_nc_u32 v42, v42, v47
	s_delay_alu instid0(VALU_DEP_2) | instskip(NEXT) | instid1(VALU_DEP_2)
	v_alignbit_b32 v41, v43, v41, v46
	v_fma_f32 v43, 0x3fc90fda, v45, -v49
	s_delay_alu instid0(VALU_DEP_2) | instskip(NEXT) | instid1(VALU_DEP_2)
	v_lshrrev_b32_e32 v41, 9, v41
	v_fmac_f32_e32 v43, 0x33a22168, v45
	s_delay_alu instid0(VALU_DEP_2) | instskip(NEXT) | instid1(VALU_DEP_1)
	v_or_b32_e32 v41, v42, v41
	v_fmac_f32_e32 v43, 0x3fc90fda, v41
	s_delay_alu instid0(VALU_DEP_1) | instskip(NEXT) | instid1(VALU_DEP_1)
	v_dual_add_f32 v4, v49, v43 :: v_dual_lshrrev_b32 v41, 30, v4
	v_add_nc_u32_e32 v41, v44, v41
	s_and_not1_saveexec_b32 s4, s26
	s_cbranch_execnz .LBB248_316
	s_branch .LBB248_317
.LBB248_315:                            ;   in Loop: Header=BB248_217 Depth=1
	s_and_not1_saveexec_b32 s4, s26
.LBB248_316:                            ;   in Loop: Header=BB248_217 Depth=1
	v_mul_f32_e64 v4, 0x3f22f983, |v37|
	s_delay_alu instid0(VALU_DEP_1) | instskip(NEXT) | instid1(VALU_DEP_1)
	v_rndne_f32_e32 v41, v4
	v_fma_f32 v4, 0xbfc90fda, v41, |v37|
	s_delay_alu instid0(VALU_DEP_1) | instskip(NEXT) | instid1(VALU_DEP_1)
	v_fmac_f32_e32 v4, 0xb3a22168, v41
	v_fmac_f32_e32 v4, 0xa7c234c4, v41
	v_cvt_i32_f32_e32 v41, v41
.LBB248_317:                            ;   in Loop: Header=BB248_217 Depth=1
	s_or_b32 exec_lo, exec_lo, s4
	v_dual_mul_f32 v42, v36, v36 :: v_dual_bitop2_b32 v44, 1, v38 bitop3:0x40
	s_delay_alu instid0(VALU_DEP_3) | instskip(NEXT) | instid1(VALU_DEP_2)
	v_dual_mul_f32 v43, v4, v4 :: v_dual_lshlrev_b32 v38, 30, v38
	v_fmaak_f32 v46, s22, v42, 0xbab64f3b
	s_delay_alu instid0(VALU_DEP_3) | instskip(NEXT) | instid1(VALU_DEP_3)
	v_cmp_eq_u32_e32 vcc_lo, 0, v44
	v_fmaak_f32 v47, s21, v43, 0x3c0881c4
	s_delay_alu instid0(VALU_DEP_1) | instskip(NEXT) | instid1(VALU_DEP_1)
	v_fmaak_f32 v47, v43, v47, 0xbe2aaa9d
	v_dual_fmaak_f32 v46, v42, v46, 0x3d2aabf7 :: v_dual_mul_f32 v47, v43, v47
	v_fmaak_f32 v45, s21, v42, 0x3c0881c4
	s_delay_alu instid0(VALU_DEP_2) | instskip(NEXT) | instid1(VALU_DEP_2)
	v_fmaak_f32 v46, v42, v46, 0xbf000004
	v_dual_fmac_f32 v4, v4, v47 :: v_dual_fmaak_f32 v45, v42, v45, 0xbe2aaa9d
	s_delay_alu instid0(VALU_DEP_1) | instskip(NEXT) | instid1(VALU_DEP_1)
	v_dual_fmaak_f32 v48, s22, v43, 0xbab64f3b :: v_dual_mul_f32 v45, v42, v45
	v_fmaak_f32 v48, v43, v48, 0x3d2aabf7
	s_delay_alu instid0(VALU_DEP_4) | instskip(NEXT) | instid1(VALU_DEP_3)
	v_fma_f32 v42, v42, v46, 1.0
	v_fmac_f32_e32 v36, v36, v45
	v_dual_lshlrev_b32 v41, 30, v41 :: v_dual_bitop2_b32 v49, 1, v41 bitop3:0x40
	s_delay_alu instid0(VALU_DEP_4) | instskip(NEXT) | instid1(VALU_DEP_3)
	v_fmaak_f32 v48, v43, v48, 0xbf000004
	v_cndmask_b32_e64 v36, -v36, v42, vcc_lo
	s_delay_alu instid0(VALU_DEP_3) | instskip(NEXT) | instid1(VALU_DEP_4)
	v_cmp_eq_u32_e32 vcc_lo, 0, v49
	v_and_or_b32 v40, 0x80000000, v41, v40
	s_delay_alu instid0(VALU_DEP_4) | instskip(NEXT) | instid1(VALU_DEP_4)
	v_fma_f32 v43, v43, v48, 1.0
	v_bitop3_b32 v36, v38, v36, 0x80000000 bitop3:0x6c
	s_delay_alu instid0(VALU_DEP_2) | instskip(SKIP_1) | instid1(VALU_DEP_2)
	v_cndmask_b32_e32 v4, v43, v4, vcc_lo
	v_cmp_class_f32_e64 vcc_lo, v37, 0x1f8
	v_xor3_b32 v4, v40, v4, v39
	s_delay_alu instid0(VALU_DEP_4) | instskip(NEXT) | instid1(VALU_DEP_2)
	v_cndmask_b32_e32 v38, 0x7fc00000, v36, vcc_lo
	v_cndmask_b32_e32 v39, 0x7fc00000, v4, vcc_lo
.LBB248_318:                            ;   in Loop: Header=BB248_217 Depth=1
	s_or_b32 exec_lo, exec_lo, s25
                                        ; implicit-def: $vgpr36
.LBB248_319:                            ;   in Loop: Header=BB248_217 Depth=1
	s_and_not1_saveexec_b32 s4, s24
	s_cbranch_execz .LBB248_321
; %bb.320:                              ;   in Loop: Header=BB248_217 Depth=1
	v_mul_f32_e32 v4, 0xbfb8aa3b, v36
	v_cmp_nlt_f32_e32 vcc_lo, 0x42ce8ed0, v36
	s_delay_alu instid0(VALU_DEP_2) | instskip(SKIP_1) | instid1(VALU_DEP_2)
	v_rndne_f32_e32 v37, v4
	v_fma_f32 v38, 0xbfb8aa3b, v36, -v4
	v_sub_f32_e32 v4, v4, v37
	s_delay_alu instid0(VALU_DEP_2) | instskip(SKIP_1) | instid1(VALU_DEP_2)
	v_fmac_f32_e32 v38, 0xb2a5705f, v36
	v_cvt_i32_f32_e32 v37, v37
	v_add_f32_e32 v4, v4, v38
	s_delay_alu instid0(VALU_DEP_1) | instskip(SKIP_1) | instid1(TRANS32_DEP_1)
	v_exp_f32_e32 v4, v4
	v_nop
	v_ldexp_f32 v4, v4, v37
	s_delay_alu instid0(VALU_DEP_1) | instskip(SKIP_1) | instid1(VALU_DEP_2)
	v_cndmask_b32_e32 v4, 0, v4, vcc_lo
	v_cmp_ngt_f32_e32 vcc_lo, 0xc2b17218, v36
	v_cndmask_b32_e32 v38, 0x7f800000, v4, vcc_lo
.LBB248_321:                            ;   in Loop: Header=BB248_217 Depth=1
	s_or_b32 exec_lo, exec_lo, s4
	v_mov_b64_e32 v[36:37], s[6:7]
	s_mov_b32 s4, exec_lo
	s_delay_alu instid0(VALU_DEP_1) | instskip(NEXT) | instid1(VALU_DEP_1)
	v_pk_add_f32 v[38:39], v[38:39], v[36:37]
                                        ; implicit-def: $vgpr36_vgpr37
	v_cmp_gt_f32_e32 vcc_lo, 0, v39
	v_cndmask_b32_e64 v4, v39, -v39, vcc_lo
	s_delay_alu instid0(VALU_DEP_3) | instskip(SKIP_1) | instid1(VALU_DEP_1)
	v_cmp_gt_f32_e32 vcc_lo, 0, v38
	v_cndmask_b32_e64 v40, v38, -v38, vcc_lo
	v_cmpx_ge_f32_e32 v40, v4
	s_xor_b32 s5, exec_lo, s4
	s_cbranch_execz .LBB248_327
; %bb.322:                              ;   in Loop: Header=BB248_217 Depth=1
	v_cmp_neq_f32_e32 vcc_lo, 0, v38
	v_cmp_neq_f32_e64 s4, 0, v39
                                        ; implicit-def: $vgpr36_vgpr37
	s_or_b32 s4, vcc_lo, s4
	s_delay_alu instid0(SALU_CYCLE_1) | instskip(NEXT) | instid1(SALU_CYCLE_1)
	s_and_saveexec_b32 s24, s4
	s_xor_b32 s4, exec_lo, s24
	s_cbranch_execz .LBB248_324
; %bb.323:                              ;   in Loop: Header=BB248_217 Depth=1
	v_div_scale_f32 v4, null, v38, v38, v39
	v_div_scale_f32 v40, vcc_lo, v39, v38, v39
	s_delay_alu instid0(VALU_DEP_2) | instskip(SKIP_1) | instid1(TRANS32_DEP_1)
	v_rcp_f32_e32 v36, v4
	v_nop
	v_fma_f32 v37, -v4, v36, 1.0
	s_delay_alu instid0(VALU_DEP_1) | instskip(NEXT) | instid1(VALU_DEP_1)
	v_fmac_f32_e32 v36, v37, v36
	v_mul_f32_e32 v37, v40, v36
	s_delay_alu instid0(VALU_DEP_1) | instskip(NEXT) | instid1(VALU_DEP_1)
	v_fma_f32 v41, -v4, v37, v40
	v_fmac_f32_e32 v37, v41, v36
	s_delay_alu instid0(VALU_DEP_1) | instskip(NEXT) | instid1(VALU_DEP_1)
	v_fma_f32 v4, -v4, v37, v40
	v_div_fmas_f32 v4, v4, v36, v37
	s_delay_alu instid0(VALU_DEP_1) | instskip(NEXT) | instid1(VALU_DEP_1)
	v_div_fixup_f32 v4, v4, v38, v39
	v_fmac_f32_e32 v38, v39, v4
	s_delay_alu instid0(VALU_DEP_1) | instskip(SKIP_1) | instid1(VALU_DEP_2)
	v_div_scale_f32 v39, null, v38, v38, 1.0
	v_div_scale_f32 v40, vcc_lo, 1.0, v38, 1.0
	v_rcp_f32_e32 v42, v39
	v_nop
	s_delay_alu instid0(TRANS32_DEP_1) | instskip(NEXT) | instid1(VALU_DEP_1)
	v_fma_f32 v36, -v39, v42, 1.0
	v_fmac_f32_e32 v42, v36, v42
	s_delay_alu instid0(VALU_DEP_1) | instskip(NEXT) | instid1(VALU_DEP_1)
	v_mul_f32_e32 v43, v40, v42
	v_fma_f32 v36, -v39, v43, v40
	s_delay_alu instid0(VALU_DEP_1) | instskip(SKIP_1) | instid1(VALU_DEP_2)
	v_fmac_f32_e32 v43, v36, v42
	v_mov_b64_e32 v[36:37], s[6:7]
	v_fma_f32 v39, -v39, v43, v40
	v_mov_b64_e32 v[40:41], s[10:11]
	s_delay_alu instid0(VALU_DEP_2) | instskip(NEXT) | instid1(VALU_DEP_2)
	v_div_fmas_f32 v39, v39, v42, v43
	v_pk_fma_f32 v[42:43], v[4:5], v[40:41], v[36:37] op_sel_hi:[0,1,1] neg_lo:[1,0,0] neg_hi:[1,0,0]
	v_pk_fma_f32 v[36:37], v[4:5], v[40:41], v[36:37]
	s_delay_alu instid0(VALU_DEP_3) | instskip(NEXT) | instid1(VALU_DEP_3)
	v_div_fixup_f32 v4, v39, v38, 1.0
                                        ; implicit-def: $vgpr40
	v_mov_b32_e32 v37, v43
	s_delay_alu instid0(VALU_DEP_1)
	v_pk_mul_f32 v[36:37], v[36:37], v[4:5] op_sel_hi:[1,0]
                                        ; implicit-def: $vgpr4
.LBB248_324:                            ;   in Loop: Header=BB248_217 Depth=1
	s_and_not1_saveexec_b32 s24, s4
	s_cbranch_execz .LBB248_326
; %bb.325:                              ;   in Loop: Header=BB248_217 Depth=1
	v_div_scale_f32 v36, null, v4, v4, s7
	v_div_scale_f32 v37, null, v40, v40, s6
	v_div_scale_f32 v43, vcc_lo, s7, v4, s7
	s_delay_alu instid0(VALU_DEP_3) | instskip(NEXT) | instid1(VALU_DEP_2)
	v_rcp_f32_e32 v38, v36
	v_rcp_f32_e32 v39, v37
	s_delay_alu instid0(TRANS32_DEP_2) | instskip(NEXT) | instid1(TRANS32_DEP_1)
	v_fma_f32 v41, -v36, v38, 1.0
	v_fma_f32 v42, -v37, v39, 1.0
	s_delay_alu instid0(VALU_DEP_1) | instskip(SKIP_1) | instid1(VALU_DEP_1)
	v_dual_fmac_f32 v38, v41, v38 :: v_dual_fmac_f32 v39, v42, v39
	v_div_scale_f32 v41, s4, s6, v40, s6
	v_dual_mul_f32 v42, v43, v38 :: v_dual_mul_f32 v44, v41, v39
	s_delay_alu instid0(VALU_DEP_1) | instskip(NEXT) | instid1(VALU_DEP_1)
	v_dual_fma_f32 v45, -v36, v42, v43 :: v_dual_fma_f32 v46, -v37, v44, v41
	v_dual_fmac_f32 v42, v45, v38 :: v_dual_fmac_f32 v44, v46, v39
	s_delay_alu instid0(VALU_DEP_1) | instskip(NEXT) | instid1(VALU_DEP_1)
	v_dual_fma_f32 v36, -v36, v42, v43 :: v_dual_fma_f32 v37, -v37, v44, v41
	v_div_fmas_f32 v36, v36, v38, v42
	s_mov_b32 vcc_lo, s4
	s_delay_alu instid0(VALU_DEP_2) | instskip(NEXT) | instid1(VALU_DEP_2)
	v_div_fmas_f32 v38, v37, v39, v44
	v_div_fixup_f32 v37, v36, v4, s7
	s_delay_alu instid0(VALU_DEP_2)
	v_div_fixup_f32 v36, v38, v40, s6
.LBB248_326:                            ;   in Loop: Header=BB248_217 Depth=1
	s_or_b32 exec_lo, exec_lo, s24
                                        ; implicit-def: $vgpr38_vgpr39
.LBB248_327:                            ;   in Loop: Header=BB248_217 Depth=1
	s_and_not1_saveexec_b32 s4, s5
	s_cbranch_execz .LBB248_329
; %bb.328:                              ;   in Loop: Header=BB248_217 Depth=1
	v_div_scale_f32 v4, null, v39, v39, v38
	v_div_scale_f32 v40, vcc_lo, v38, v39, v38
	s_delay_alu instid0(VALU_DEP_2) | instskip(SKIP_1) | instid1(TRANS32_DEP_1)
	v_rcp_f32_e32 v36, v4
	v_nop
	v_fma_f32 v37, -v4, v36, 1.0
	s_delay_alu instid0(VALU_DEP_1) | instskip(NEXT) | instid1(VALU_DEP_1)
	v_fmac_f32_e32 v36, v37, v36
	v_mul_f32_e32 v37, v40, v36
	s_delay_alu instid0(VALU_DEP_1) | instskip(NEXT) | instid1(VALU_DEP_1)
	v_fma_f32 v41, -v4, v37, v40
	v_fmac_f32_e32 v37, v41, v36
	s_delay_alu instid0(VALU_DEP_1) | instskip(NEXT) | instid1(VALU_DEP_1)
	v_fma_f32 v4, -v4, v37, v40
	v_div_fmas_f32 v4, v4, v36, v37
	s_delay_alu instid0(VALU_DEP_1) | instskip(NEXT) | instid1(VALU_DEP_1)
	v_div_fixup_f32 v4, v4, v39, v38
	v_fmac_f32_e32 v39, v38, v4
	s_delay_alu instid0(VALU_DEP_1) | instskip(SKIP_1) | instid1(VALU_DEP_2)
	v_div_scale_f32 v38, null, v39, v39, 1.0
	v_div_scale_f32 v40, vcc_lo, 1.0, v39, 1.0
	v_rcp_f32_e32 v42, v38
	v_nop
	s_delay_alu instid0(TRANS32_DEP_1) | instskip(NEXT) | instid1(VALU_DEP_1)
	v_fma_f32 v36, -v38, v42, 1.0
	v_fmac_f32_e32 v42, v36, v42
	s_delay_alu instid0(VALU_DEP_1) | instskip(NEXT) | instid1(VALU_DEP_1)
	v_mul_f32_e32 v43, v40, v42
	v_fma_f32 v36, -v38, v43, v40
	s_delay_alu instid0(VALU_DEP_1) | instskip(SKIP_1) | instid1(VALU_DEP_2)
	v_fmac_f32_e32 v43, v36, v42
	v_mov_b64_e32 v[36:37], s[10:11]
	v_fma_f32 v38, -v38, v43, v40
	v_mov_b64_e32 v[40:41], s[6:7]
	s_delay_alu instid0(VALU_DEP_2) | instskip(NEXT) | instid1(VALU_DEP_2)
	v_div_fmas_f32 v38, v38, v42, v43
	v_pk_fma_f32 v[42:43], v[4:5], v[40:41], v[36:37] op_sel_hi:[0,1,1] neg_lo:[0,0,1] neg_hi:[0,0,1]
	v_pk_fma_f32 v[36:37], v[4:5], v[40:41], v[36:37]
	s_delay_alu instid0(VALU_DEP_3) | instskip(NEXT) | instid1(VALU_DEP_3)
	v_div_fixup_f32 v4, v38, v39, 1.0
	v_mov_b32_e32 v37, v43
	s_delay_alu instid0(VALU_DEP_1)
	v_pk_mul_f32 v[36:37], v[36:37], v[4:5] op_sel_hi:[1,0]
.LBB248_329:                            ;   in Loop: Header=BB248_217 Depth=1
	s_or_b32 exec_lo, exec_lo, s4
	v_and_b32_e32 v40, 0x7fffffff, v35
	v_xor_b32_e32 v39, 0x80000000, v35
	s_mov_b32 s4, exec_lo
	s_delay_alu instid0(VALU_DEP_2)
	v_cmpx_ne_u32_e32 0, v40
	s_xor_b32 s24, exec_lo, s4
	s_cbranch_execz .LBB248_371
; %bb.330:                              ;   in Loop: Header=BB248_217 Depth=1
	v_and_b32_e32 v41, 0x7fffffff, v34
	s_mov_b32 s4, exec_lo
	s_delay_alu instid0(VALU_DEP_1)
	v_cmpx_ne_u32_e32 0, v41
	s_xor_b32 s25, exec_lo, s4
	s_cbranch_execz .LBB248_360
; %bb.331:                              ;   in Loop: Header=BB248_217 Depth=1
	v_xor_b32_e32 v4, 0x80000000, v34
	s_mov_b32 s4, exec_lo
	v_cmpx_gt_u32_e32 0x7f800000, v40
	s_xor_b32 s26, exec_lo, s4
	s_cbranch_execz .LBB248_353
; %bb.332:                              ;   in Loop: Header=BB248_217 Depth=1
	v_add_nc_u32_e32 v4, 0xbd4e8de8, v4
	s_mov_b32 s4, exec_lo
	s_delay_alu instid0(VALU_DEP_1)
	v_cmpx_lt_u32_e32 0x8e8e5c, v4
	s_xor_b32 s27, exec_lo, s4
	s_cbranch_execz .LBB248_342
; %bb.333:                              ;   in Loop: Header=BB248_217 Depth=1
	v_cmp_ngt_f32_e64 s28, 0x48000000, |v35|
                                        ; implicit-def: $vgpr41
                                        ; implicit-def: $vgpr38
	s_and_saveexec_b32 s4, s28
	s_delay_alu instid0(SALU_CYCLE_1)
	s_xor_b32 s29, exec_lo, s4
	s_cbranch_execz .LBB248_335
; %bb.334:                              ;   in Loop: Header=BB248_217 Depth=1
	v_and_or_b32 v4, v40, s20, 0x800000
	v_dual_mov_b32 v53, v5 :: v_dual_lshrrev_b32 v38, 23, v40
	v_mov_b32_e32 v55, v5
	s_delay_alu instid0(VALU_DEP_3) | instskip(NEXT) | instid1(VALU_DEP_3)
	v_mul_u64_e32 v[42:43], s[16:17], v[4:5]
	v_dual_mov_b32 v45, v5 :: v_dual_add_nc_u32 v38, 0xffffff88, v38
	s_delay_alu instid0(VALU_DEP_1) | instskip(SKIP_1) | instid1(VALU_DEP_1)
	v_cmp_lt_u32_e32 vcc_lo, 63, v38
	v_cndmask_b32_e64 v41, 0, 0xffffffc0, vcc_lo
	v_add_nc_u32_e32 v38, v41, v38
	s_delay_alu instid0(VALU_DEP_1) | instskip(NEXT) | instid1(VALU_DEP_1)
	v_cmp_lt_u32_e64 s4, 31, v38
	v_cndmask_b32_e64 v41, 0, 0xffffffe0, s4
	v_mov_b32_e32 v44, v43
	s_delay_alu instid0(VALU_DEP_1) | instskip(NEXT) | instid1(VALU_DEP_1)
	v_mad_nc_u64_u32 v[44:45], 0x3c439041, v4, v[44:45]
	v_dual_mov_b32 v47, v5 :: v_dual_mov_b32 v46, v45
	s_delay_alu instid0(VALU_DEP_1) | instskip(NEXT) | instid1(VALU_DEP_1)
	v_mad_nc_u64_u32 v[46:47], 0xdb629599, v4, v[46:47]
	v_dual_mov_b32 v49, v5 :: v_dual_mov_b32 v48, v47
	;; [unrolled: 3-line block ×3, first 2 shown]
	s_delay_alu instid0(VALU_DEP_1) | instskip(NEXT) | instid1(VALU_DEP_1)
	v_mad_nc_u64_u32 v[50:51], 0xfc2757d1, v4, v[50:51]
	v_mov_b32_e32 v52, v51
	s_delay_alu instid0(VALU_DEP_1) | instskip(NEXT) | instid1(VALU_DEP_1)
	v_mad_nc_u64_u32 v[52:53], 0x4e441529, v4, v[52:53]
	v_mov_b32_e32 v54, v53
	s_delay_alu instid0(VALU_DEP_1) | instskip(NEXT) | instid1(VALU_DEP_3)
	v_mad_nc_u64_u32 v[54:55], 0xa2f9836e, v4, v[54:55]
	v_dual_cndmask_b32 v41, v52, v48 :: v_dual_add_nc_u32 v4, v41, v38
	s_delay_alu instid0(VALU_DEP_2) | instskip(NEXT) | instid1(VALU_DEP_2)
	v_cndmask_b32_e32 v45, v55, v52, vcc_lo
	v_cmp_lt_u32_e64 s5, 31, v4
	s_delay_alu instid0(VALU_DEP_4) | instskip(SKIP_1) | instid1(VALU_DEP_3)
	v_cndmask_b32_e32 v43, v54, v50, vcc_lo
	v_cndmask_b32_e32 v47, v50, v46, vcc_lo
	v_cndmask_b32_e64 v38, 0, 0xffffffe0, s5
	s_delay_alu instid0(VALU_DEP_1) | instskip(NEXT) | instid1(VALU_DEP_4)
	v_add_nc_u32_e32 v4, v38, v4
	v_dual_cndmask_b32 v38, v48, v44, vcc_lo :: v_dual_cndmask_b32 v44, v43, v41, s4
	v_cndmask_b32_e64 v43, v45, v43, s4
	s_delay_alu instid0(VALU_DEP_3) | instskip(NEXT) | instid1(VALU_DEP_3)
	v_dual_cndmask_b32 v41, v41, v47, s4 :: v_dual_sub_nc_u32 v45, 32, v4
	v_cndmask_b32_e64 v47, v47, v38, s4
	s_delay_alu instid0(VALU_DEP_2) | instskip(NEXT) | instid1(VALU_DEP_2)
	v_dual_cndmask_b32 v43, v43, v44, s5 :: v_dual_cndmask_b32 v44, v44, v41, s5
	v_cndmask_b32_e64 v41, v41, v47, s5
	s_delay_alu instid0(VALU_DEP_2) | instskip(SKIP_2) | instid1(VALU_DEP_4)
	v_alignbit_b32 v48, v43, v44, v45
	v_cndmask_b32_e32 v42, v46, v42, vcc_lo
	v_cmp_eq_u32_e32 vcc_lo, 0, v4
	v_alignbit_b32 v46, v44, v41, v45
	s_delay_alu instid0(VALU_DEP_4) | instskip(NEXT) | instid1(VALU_DEP_1)
	v_cndmask_b32_e32 v4, v48, v43, vcc_lo
	v_bfe_u32 v43, v4, 29, 1
	v_cndmask_b32_e64 v38, v38, v42, s4
	s_delay_alu instid0(VALU_DEP_2) | instskip(NEXT) | instid1(VALU_DEP_2)
	v_dual_cndmask_b32 v42, v46, v44, vcc_lo :: v_dual_sub_nc_u32 v46, 0, v43
	v_cndmask_b32_e64 v38, v47, v38, s5
	s_delay_alu instid0(VALU_DEP_2) | instskip(NEXT) | instid1(VALU_DEP_2)
	v_alignbit_b32 v44, v4, v42, 30
	v_alignbit_b32 v45, v41, v38, v45
	s_delay_alu instid0(VALU_DEP_1) | instskip(NEXT) | instid1(VALU_DEP_1)
	v_dual_cndmask_b32 v41, v45, v41, vcc_lo :: v_dual_bitop2_b32 v44, v44, v46 bitop3:0x14
	v_clz_i32_u32_e32 v45, v44
	s_delay_alu instid0(VALU_DEP_2) | instskip(NEXT) | instid1(VALU_DEP_2)
	v_alignbit_b32 v42, v42, v41, 30
	v_min_u32_e32 v45, 32, v45
	v_alignbit_b32 v38, v41, v38, 30
	s_delay_alu instid0(VALU_DEP_2) | instskip(NEXT) | instid1(VALU_DEP_2)
	v_dual_sub_nc_u32 v42, 31, v45 :: v_dual_bitop2_b32 v41, v42, v46 bitop3:0x14
	v_dual_lshrrev_b32 v46, 29, v4 :: v_dual_bitop2_b32 v38, v38, v46 bitop3:0x14
	v_dual_lshlrev_b32 v47, 23, v45 :: v_dual_lshrrev_b32 v4, 30, v4
	s_delay_alu instid0(VALU_DEP_3) | instskip(NEXT) | instid1(VALU_DEP_3)
	v_alignbit_b32 v44, v44, v41, v42
	v_alignbit_b32 v38, v41, v38, v42
	s_delay_alu instid0(VALU_DEP_4) | instskip(NEXT) | instid1(VALU_DEP_2)
	v_lshlrev_b32_e32 v41, 31, v46
	v_alignbit_b32 v42, v44, v38, 9
	s_delay_alu instid0(VALU_DEP_2) | instskip(SKIP_1) | instid1(VALU_DEP_3)
	v_dual_lshrrev_b32 v44, 9, v44 :: v_dual_bitop2_b32 v46, 0.5, v41 bitop3:0x54
	v_or_b32_e32 v41, 0x33000000, v41
	v_clz_i32_u32_e32 v48, v42
	s_delay_alu instid0(VALU_DEP_3) | instskip(NEXT) | instid1(VALU_DEP_2)
	v_sub_nc_u32_e32 v46, v46, v47
	v_min_u32_e32 v47, 32, v48
	s_delay_alu instid0(VALU_DEP_1) | instskip(NEXT) | instid1(VALU_DEP_1)
	v_add_lshl_u32 v45, v47, v45, 23
	v_dual_sub_nc_u32 v41, v41, v45 :: v_dual_bitop2_b32 v44, v44, v46 bitop3:0x54
	v_not_b32_e32 v46, v47
	s_delay_alu instid0(VALU_DEP_2) | instskip(NEXT) | instid1(VALU_DEP_2)
	v_mul_f32_e32 v48, 0x3fc90fda, v44
	v_alignbit_b32 v38, v42, v38, v46
	s_delay_alu instid0(VALU_DEP_2) | instskip(NEXT) | instid1(VALU_DEP_2)
	v_fma_f32 v42, 0x3fc90fda, v44, -v48
	v_lshrrev_b32_e32 v38, 9, v38
	s_delay_alu instid0(VALU_DEP_2) | instskip(NEXT) | instid1(VALU_DEP_2)
	v_fmac_f32_e32 v42, 0x33a22168, v44
	v_dual_add_nc_u32 v41, v43, v4 :: v_dual_bitop2_b32 v38, v41, v38 bitop3:0x54
	s_delay_alu instid0(VALU_DEP_1) | instskip(NEXT) | instid1(VALU_DEP_1)
	v_fmac_f32_e32 v42, 0x3fc90fda, v38
	v_add_f32_e32 v38, v48, v42
	s_and_not1_saveexec_b32 s4, s29
	s_branch .LBB248_336
.LBB248_335:                            ;   in Loop: Header=BB248_217 Depth=1
	s_and_not1_saveexec_b32 s4, s29
.LBB248_336:                            ;   in Loop: Header=BB248_217 Depth=1
	v_mul_f32_e64 v4, 0x3f22f983, |v35|
	s_delay_alu instid0(VALU_DEP_1) | instskip(NEXT) | instid1(VALU_DEP_1)
	v_rndne_f32_e32 v4, v4
	v_fma_f32 v38, 0xbfc90fda, v4, |v35|
	v_cvt_i32_f32_e32 v41, v4
	s_delay_alu instid0(VALU_DEP_2) | instskip(NEXT) | instid1(VALU_DEP_1)
	v_fmac_f32_e32 v38, 0xb3a22168, v4
	v_fmac_f32_e32 v38, 0xa7c234c4, v4
; %bb.337:                              ;   in Loop: Header=BB248_217 Depth=1
	s_or_b32 exec_lo, exec_lo, s4
                                        ; implicit-def: $vgpr42
                                        ; implicit-def: $vgpr4
	s_and_saveexec_b32 s4, s28
	s_delay_alu instid0(SALU_CYCLE_1)
	s_xor_b32 s28, exec_lo, s4
	s_cbranch_execz .LBB248_339
; %bb.338:                              ;   in Loop: Header=BB248_217 Depth=1
	v_and_or_b32 v4, v40, s20, 0x800000
	v_mov_b32_e32 v53, v5
	s_delay_alu instid0(VALU_DEP_2) | instskip(NEXT) | instid1(VALU_DEP_1)
	v_mul_u64_e32 v[42:43], s[16:17], v[4:5]
	v_dual_mov_b32 v45, v5 :: v_dual_mov_b32 v44, v43
	v_lshrrev_b32_e32 v43, 23, v40
	s_delay_alu instid0(VALU_DEP_2) | instskip(SKIP_1) | instid1(VALU_DEP_3)
	v_mad_nc_u64_u32 v[44:45], 0x3c439041, v4, v[44:45]
	v_mov_b32_e32 v47, v5
	v_add_nc_u32_e32 v43, 0xffffff88, v43
	s_delay_alu instid0(VALU_DEP_1) | instskip(NEXT) | instid1(VALU_DEP_4)
	v_cmp_lt_u32_e32 vcc_lo, 63, v43
	v_mov_b32_e32 v46, v45
	v_cndmask_b32_e64 v45, 0, 0xffffffc0, vcc_lo
	s_delay_alu instid0(VALU_DEP_2) | instskip(NEXT) | instid1(VALU_DEP_1)
	v_mad_nc_u64_u32 v[46:47], 0xdb629599, v4, v[46:47]
	v_dual_mov_b32 v49, v5 :: v_dual_mov_b32 v48, v47
	s_delay_alu instid0(VALU_DEP_2) | instskip(NEXT) | instid1(VALU_DEP_2)
	v_cndmask_b32_e32 v42, v46, v42, vcc_lo
	v_mad_nc_u64_u32 v[48:49], 0xf534ddc0, v4, v[48:49]
	s_delay_alu instid0(VALU_DEP_1) | instskip(NEXT) | instid1(VALU_DEP_1)
	v_dual_mov_b32 v51, v5 :: v_dual_mov_b32 v50, v49
	v_mad_nc_u64_u32 v[50:51], 0xfc2757d1, v4, v[50:51]
	s_delay_alu instid0(VALU_DEP_1) | instskip(NEXT) | instid1(VALU_DEP_1)
	v_mov_b32_e32 v52, v51
	v_mad_nc_u64_u32 v[52:53], 0x4e441529, v4, v[52:53]
	v_add_nc_u32_e32 v43, v45, v43
	v_mov_b32_e32 v55, v5
	s_delay_alu instid0(VALU_DEP_2) | instskip(NEXT) | instid1(VALU_DEP_4)
	v_cmp_lt_u32_e64 s4, 31, v43
	v_mov_b32_e32 v54, v53
	s_delay_alu instid0(VALU_DEP_2) | instskip(NEXT) | instid1(VALU_DEP_2)
	v_cndmask_b32_e64 v45, 0, 0xffffffe0, s4
	v_mad_nc_u64_u32 v[54:55], 0xa2f9836e, v4, v[54:55]
	s_delay_alu instid0(VALU_DEP_2) | instskip(NEXT) | instid1(VALU_DEP_2)
	v_dual_cndmask_b32 v45, v52, v48 :: v_dual_add_nc_u32 v4, v45, v43
	v_cndmask_b32_e32 v47, v54, v50, vcc_lo
	s_delay_alu instid0(VALU_DEP_2) | instskip(NEXT) | instid1(VALU_DEP_4)
	v_cmp_lt_u32_e64 s5, 31, v4
	v_dual_cndmask_b32 v49, v55, v52 :: v_dual_cndmask_b32 v50, v50, v46
	s_delay_alu instid0(VALU_DEP_2) | instskip(NEXT) | instid1(VALU_DEP_1)
	v_cndmask_b32_e64 v43, 0, 0xffffffe0, s5
	v_add_nc_u32_e32 v4, v43, v4
	v_dual_cndmask_b32 v43, v48, v44, vcc_lo :: v_dual_cndmask_b32 v44, v47, v45, s4
	s_delay_alu instid0(VALU_DEP_4) | instskip(NEXT) | instid1(VALU_DEP_3)
	v_cndmask_b32_e64 v47, v49, v47, s4
	v_dual_cndmask_b32 v45, v45, v50, s4 :: v_dual_sub_nc_u32 v48, 32, v4
	s_delay_alu instid0(VALU_DEP_3) | instskip(SKIP_1) | instid1(VALU_DEP_3)
	v_cndmask_b32_e64 v49, v50, v43, s4
	v_cmp_eq_u32_e32 vcc_lo, 0, v4
	v_dual_cndmask_b32 v47, v47, v44, s5 :: v_dual_cndmask_b32 v44, v44, v45, s5
	s_delay_alu instid0(VALU_DEP_1) | instskip(NEXT) | instid1(VALU_DEP_1)
	v_alignbit_b32 v50, v47, v44, v48
	v_dual_cndmask_b32 v45, v45, v49, s5 :: v_dual_cndmask_b32 v4, v50, v47, vcc_lo
	s_delay_alu instid0(VALU_DEP_1) | instskip(NEXT) | instid1(VALU_DEP_1)
	v_alignbit_b32 v46, v44, v45, v48
	v_dual_cndmask_b32 v42, v43, v42, s4 :: v_dual_cndmask_b32 v43, v46, v44, vcc_lo
	s_delay_alu instid0(VALU_DEP_3) | instskip(NEXT) | instid1(VALU_DEP_2)
	v_bfe_u32 v44, v4, 29, 1
	v_cndmask_b32_e64 v42, v49, v42, s5
	s_delay_alu instid0(VALU_DEP_3) | instskip(NEXT) | instid1(VALU_DEP_3)
	v_alignbit_b32 v46, v4, v43, 30
	v_sub_nc_u32_e32 v47, 0, v44
	s_delay_alu instid0(VALU_DEP_3) | instskip(NEXT) | instid1(VALU_DEP_1)
	v_alignbit_b32 v48, v45, v42, v48
	v_dual_cndmask_b32 v45, v48, v45, vcc_lo :: v_dual_bitop2_b32 v46, v46, v47 bitop3:0x14
	s_delay_alu instid0(VALU_DEP_1) | instskip(NEXT) | instid1(VALU_DEP_2)
	v_clz_i32_u32_e32 v48, v46
	v_alignbit_b32 v43, v43, v45, 30
	v_alignbit_b32 v42, v45, v42, 30
	s_delay_alu instid0(VALU_DEP_3) | instskip(NEXT) | instid1(VALU_DEP_3)
	v_min_u32_e32 v48, 32, v48
	v_xor_b32_e32 v43, v43, v47
	s_delay_alu instid0(VALU_DEP_3) | instskip(NEXT) | instid1(VALU_DEP_3)
	v_dual_lshrrev_b32 v47, 29, v4 :: v_dual_bitop2_b32 v42, v42, v47 bitop3:0x14
	v_dual_sub_nc_u32 v45, 31, v48 :: v_dual_lshlrev_b32 v49, 23, v48
	s_delay_alu instid0(VALU_DEP_1) | instskip(NEXT) | instid1(VALU_DEP_3)
	v_alignbit_b32 v46, v46, v43, v45
	v_alignbit_b32 v42, v43, v42, v45
	s_delay_alu instid0(VALU_DEP_4) | instskip(NEXT) | instid1(VALU_DEP_2)
	v_lshlrev_b32_e32 v43, 31, v47
	v_alignbit_b32 v45, v46, v42, 9
	s_delay_alu instid0(VALU_DEP_2) | instskip(SKIP_1) | instid1(VALU_DEP_3)
	v_dual_lshrrev_b32 v46, 9, v46 :: v_dual_bitop2_b32 v47, 0.5, v43 bitop3:0x54
	v_or_b32_e32 v43, 0x33000000, v43
	v_clz_i32_u32_e32 v50, v45
	s_delay_alu instid0(VALU_DEP_3) | instskip(NEXT) | instid1(VALU_DEP_2)
	v_sub_nc_u32_e32 v47, v47, v49
	v_min_u32_e32 v49, 32, v50
	s_delay_alu instid0(VALU_DEP_1) | instskip(NEXT) | instid1(VALU_DEP_3)
	v_add_lshl_u32 v48, v49, v48, 23
	v_or_b32_e32 v46, v46, v47
	v_not_b32_e32 v47, v49
	s_delay_alu instid0(VALU_DEP_2) | instskip(NEXT) | instid1(VALU_DEP_2)
	v_dual_mul_f32 v50, 0x3fc90fda, v46 :: v_dual_sub_nc_u32 v43, v43, v48
	v_alignbit_b32 v42, v45, v42, v47
	s_delay_alu instid0(VALU_DEP_2) | instskip(NEXT) | instid1(VALU_DEP_2)
	v_fma_f32 v45, 0x3fc90fda, v46, -v50
	v_lshrrev_b32_e32 v42, 9, v42
	s_delay_alu instid0(VALU_DEP_2) | instskip(NEXT) | instid1(VALU_DEP_2)
	v_fmac_f32_e32 v45, 0x33a22168, v46
	v_or_b32_e32 v42, v43, v42
	s_delay_alu instid0(VALU_DEP_1) | instskip(NEXT) | instid1(VALU_DEP_1)
	v_dual_fmac_f32 v45, 0x3fc90fda, v42 :: v_dual_lshrrev_b32 v42, 30, v4
	v_dual_add_nc_u32 v42, v44, v42 :: v_dual_add_f32 v4, v50, v45
	s_and_not1_saveexec_b32 s4, s28
	s_cbranch_execnz .LBB248_340
	s_branch .LBB248_341
.LBB248_339:                            ;   in Loop: Header=BB248_217 Depth=1
	s_and_not1_saveexec_b32 s4, s28
.LBB248_340:                            ;   in Loop: Header=BB248_217 Depth=1
	v_mul_f32_e64 v4, 0x3f22f983, |v35|
	s_delay_alu instid0(VALU_DEP_1) | instskip(NEXT) | instid1(VALU_DEP_1)
	v_rndne_f32_e32 v42, v4
	v_fma_f32 v4, 0xbfc90fda, v42, |v35|
	s_delay_alu instid0(VALU_DEP_1) | instskip(NEXT) | instid1(VALU_DEP_1)
	v_fmac_f32_e32 v4, 0xb3a22168, v42
	v_fmac_f32_e32 v4, 0xa7c234c4, v42
	v_cvt_i32_f32_e32 v42, v42
.LBB248_341:                            ;   in Loop: Header=BB248_217 Depth=1
	s_or_b32 exec_lo, exec_lo, s4
	s_delay_alu instid0(VALU_DEP_1) | instskip(SKIP_2) | instid1(VALU_DEP_3)
	v_dual_mul_f32 v43, 0xbfb8aa3b, v34 :: v_dual_mul_f32 v46, v4, v4
	v_dual_mul_f32 v44, v38, v38 :: v_dual_bitop2_b32 v45, 1, v41 bitop3:0x40
	v_cmp_ngt_f32_e64 s4, 0xc2b17218, v34
	v_rndne_f32_e32 v47, v43
	s_delay_alu instid0(VALU_DEP_4) | instskip(NEXT) | instid1(VALU_DEP_4)
	v_fmaak_f32 v51, s21, v46, 0x3c0881c4
	v_fmaak_f32 v50, s22, v44, 0xbab64f3b
	v_fma_f32 v48, 0xbfb8aa3b, v34, -v43
	v_cmp_eq_u32_e32 vcc_lo, 0, v45
	v_sub_f32_e32 v43, v43, v47
	v_fmaak_f32 v51, v46, v51, 0xbe2aaa9d
	v_fmaak_f32 v50, v44, v50, 0x3d2aabf7
	v_cvt_i32_f32_e32 v47, v47
	s_delay_alu instid0(VALU_DEP_3) | instskip(SKIP_1) | instid1(VALU_DEP_4)
	v_dual_lshlrev_b32 v41, 30, v41 :: v_dual_mul_f32 v51, v46, v51
	v_fmaak_f32 v49, s21, v44, 0x3c0881c4
	v_fmaak_f32 v50, v44, v50, 0xbf000004
	s_delay_alu instid0(VALU_DEP_3) | instskip(NEXT) | instid1(VALU_DEP_3)
	v_fmac_f32_e32 v4, v4, v51
	v_fmaak_f32 v49, v44, v49, 0xbe2aaa9d
	s_delay_alu instid0(VALU_DEP_1) | instskip(NEXT) | instid1(VALU_DEP_1)
	v_dual_fmac_f32 v48, 0xb2a5705f, v34 :: v_dual_mul_f32 v49, v44, v49
	v_dual_fmaak_f32 v52, s22, v46, 0xbab64f3b :: v_dual_add_f32 v43, v43, v48
	v_fma_f32 v44, v44, v50, 1.0
	s_delay_alu instid0(VALU_DEP_3) | instskip(NEXT) | instid1(VALU_DEP_3)
	v_fmac_f32_e32 v38, v38, v49
	v_fmaak_f32 v48, v46, v52, 0x3d2aabf7
	s_delay_alu instid0(VALU_DEP_4) | instskip(NEXT) | instid1(VALU_DEP_2)
	v_exp_f32_e32 v43, v43
	v_cndmask_b32_e64 v38, -v38, v44, vcc_lo
	s_delay_alu instid0(VALU_DEP_2) | instskip(NEXT) | instid1(TRANS32_DEP_1)
	v_fmaak_f32 v48, v46, v48, 0xbf000004
	v_ldexp_f32 v43, v43, v47
	v_and_b32_e32 v47, 1, v42
	s_delay_alu instid0(VALU_DEP_3) | instskip(SKIP_2) | instid1(VALU_DEP_4)
	v_fma_f32 v46, v46, v48, 1.0
	v_lshlrev_b32_e32 v42, 30, v42
	v_bitop3_b32 v38, v41, v38, 0x80000000 bitop3:0x6c
	v_cmp_eq_u32_e32 vcc_lo, 0, v47
	s_delay_alu instid0(VALU_DEP_3) | instskip(SKIP_2) | instid1(VALU_DEP_2)
	v_and_or_b32 v40, 0x80000000, v42, v40
	v_cndmask_b32_e32 v4, v46, v4, vcc_lo
	v_cmp_nlt_f32_e32 vcc_lo, 0x42ce8ed0, v34
	v_xor3_b32 v4, v40, v4, v39
	v_cndmask_b32_e32 v42, 0, v43, vcc_lo
	v_cmp_class_f32_e64 vcc_lo, v35, 0x1f8
                                        ; implicit-def: $vgpr40
	s_delay_alu instid0(VALU_DEP_2) | instskip(SKIP_2) | instid1(VALU_DEP_1)
	v_cndmask_b32_e64 v34, 0x7f800000, v42, s4
	v_cndmask_b32_e32 v35, 0x7fc00000, v38, vcc_lo
	v_cndmask_b32_e32 v4, 0x7fc00000, v4, vcc_lo
	v_dual_mul_f32 v38, v34, v35 :: v_dual_mul_f32 v39, v34, v4
                                        ; implicit-def: $vgpr35
.LBB248_342:                            ;   in Loop: Header=BB248_217 Depth=1
	s_and_not1_saveexec_b32 s27, s27
	s_cbranch_execz .LBB248_352
; %bb.343:                              ;   in Loop: Header=BB248_217 Depth=1
	v_cmp_ngt_f32_e64 s28, 0x48000000, |v35|
                                        ; implicit-def: $vgpr41
                                        ; implicit-def: $vgpr38
	s_and_saveexec_b32 s4, s28
	s_delay_alu instid0(SALU_CYCLE_1)
	s_xor_b32 s29, exec_lo, s4
	s_cbranch_execz .LBB248_345
; %bb.344:                              ;   in Loop: Header=BB248_217 Depth=1
	v_and_or_b32 v4, v40, s20, 0x800000
	v_dual_mov_b32 v53, v5 :: v_dual_lshrrev_b32 v38, 23, v40
	v_mov_b32_e32 v55, v5
	s_delay_alu instid0(VALU_DEP_3) | instskip(NEXT) | instid1(VALU_DEP_3)
	v_mul_u64_e32 v[42:43], s[16:17], v[4:5]
	v_dual_mov_b32 v45, v5 :: v_dual_add_nc_u32 v38, 0xffffff88, v38
	s_delay_alu instid0(VALU_DEP_1) | instskip(SKIP_1) | instid1(VALU_DEP_1)
	v_cmp_lt_u32_e32 vcc_lo, 63, v38
	v_cndmask_b32_e64 v41, 0, 0xffffffc0, vcc_lo
	v_add_nc_u32_e32 v38, v41, v38
	s_delay_alu instid0(VALU_DEP_1) | instskip(NEXT) | instid1(VALU_DEP_1)
	v_cmp_lt_u32_e64 s4, 31, v38
	v_cndmask_b32_e64 v41, 0, 0xffffffe0, s4
	v_mov_b32_e32 v44, v43
	s_delay_alu instid0(VALU_DEP_1) | instskip(NEXT) | instid1(VALU_DEP_1)
	v_mad_nc_u64_u32 v[44:45], 0x3c439041, v4, v[44:45]
	v_dual_mov_b32 v47, v5 :: v_dual_mov_b32 v46, v45
	s_delay_alu instid0(VALU_DEP_1) | instskip(NEXT) | instid1(VALU_DEP_1)
	v_mad_nc_u64_u32 v[46:47], 0xdb629599, v4, v[46:47]
	v_dual_mov_b32 v49, v5 :: v_dual_mov_b32 v48, v47
	;; [unrolled: 3-line block ×3, first 2 shown]
	s_delay_alu instid0(VALU_DEP_1) | instskip(NEXT) | instid1(VALU_DEP_1)
	v_mad_nc_u64_u32 v[50:51], 0xfc2757d1, v4, v[50:51]
	v_mov_b32_e32 v52, v51
	s_delay_alu instid0(VALU_DEP_1) | instskip(NEXT) | instid1(VALU_DEP_1)
	v_mad_nc_u64_u32 v[52:53], 0x4e441529, v4, v[52:53]
	v_mov_b32_e32 v54, v53
	s_delay_alu instid0(VALU_DEP_1) | instskip(NEXT) | instid1(VALU_DEP_3)
	v_mad_nc_u64_u32 v[54:55], 0xa2f9836e, v4, v[54:55]
	v_dual_cndmask_b32 v41, v52, v48 :: v_dual_add_nc_u32 v4, v41, v38
	s_delay_alu instid0(VALU_DEP_2) | instskip(NEXT) | instid1(VALU_DEP_2)
	v_cndmask_b32_e32 v45, v55, v52, vcc_lo
	v_cmp_lt_u32_e64 s5, 31, v4
	s_delay_alu instid0(VALU_DEP_4) | instskip(SKIP_1) | instid1(VALU_DEP_3)
	v_cndmask_b32_e32 v43, v54, v50, vcc_lo
	v_cndmask_b32_e32 v47, v50, v46, vcc_lo
	v_cndmask_b32_e64 v38, 0, 0xffffffe0, s5
	s_delay_alu instid0(VALU_DEP_1) | instskip(NEXT) | instid1(VALU_DEP_4)
	v_add_nc_u32_e32 v4, v38, v4
	v_dual_cndmask_b32 v38, v48, v44, vcc_lo :: v_dual_cndmask_b32 v44, v43, v41, s4
	v_cndmask_b32_e64 v43, v45, v43, s4
	s_delay_alu instid0(VALU_DEP_3) | instskip(NEXT) | instid1(VALU_DEP_3)
	v_dual_cndmask_b32 v41, v41, v47, s4 :: v_dual_sub_nc_u32 v45, 32, v4
	v_cndmask_b32_e64 v47, v47, v38, s4
	s_delay_alu instid0(VALU_DEP_2) | instskip(NEXT) | instid1(VALU_DEP_2)
	v_dual_cndmask_b32 v43, v43, v44, s5 :: v_dual_cndmask_b32 v44, v44, v41, s5
	v_cndmask_b32_e64 v41, v41, v47, s5
	s_delay_alu instid0(VALU_DEP_2) | instskip(SKIP_2) | instid1(VALU_DEP_4)
	v_alignbit_b32 v48, v43, v44, v45
	v_cndmask_b32_e32 v42, v46, v42, vcc_lo
	v_cmp_eq_u32_e32 vcc_lo, 0, v4
	v_alignbit_b32 v46, v44, v41, v45
	s_delay_alu instid0(VALU_DEP_4) | instskip(NEXT) | instid1(VALU_DEP_1)
	v_cndmask_b32_e32 v4, v48, v43, vcc_lo
	v_bfe_u32 v43, v4, 29, 1
	v_cndmask_b32_e64 v38, v38, v42, s4
	s_delay_alu instid0(VALU_DEP_2) | instskip(NEXT) | instid1(VALU_DEP_2)
	v_dual_cndmask_b32 v42, v46, v44, vcc_lo :: v_dual_sub_nc_u32 v46, 0, v43
	v_cndmask_b32_e64 v38, v47, v38, s5
	s_delay_alu instid0(VALU_DEP_2) | instskip(NEXT) | instid1(VALU_DEP_2)
	v_alignbit_b32 v44, v4, v42, 30
	v_alignbit_b32 v45, v41, v38, v45
	s_delay_alu instid0(VALU_DEP_1) | instskip(NEXT) | instid1(VALU_DEP_1)
	v_dual_cndmask_b32 v41, v45, v41, vcc_lo :: v_dual_bitop2_b32 v44, v44, v46 bitop3:0x14
	v_clz_i32_u32_e32 v45, v44
	s_delay_alu instid0(VALU_DEP_2) | instskip(NEXT) | instid1(VALU_DEP_2)
	v_alignbit_b32 v42, v42, v41, 30
	v_min_u32_e32 v45, 32, v45
	v_alignbit_b32 v38, v41, v38, 30
	s_delay_alu instid0(VALU_DEP_2) | instskip(NEXT) | instid1(VALU_DEP_2)
	v_dual_sub_nc_u32 v42, 31, v45 :: v_dual_bitop2_b32 v41, v42, v46 bitop3:0x14
	v_dual_lshrrev_b32 v46, 29, v4 :: v_dual_bitop2_b32 v38, v38, v46 bitop3:0x14
	v_dual_lshlrev_b32 v47, 23, v45 :: v_dual_lshrrev_b32 v4, 30, v4
	s_delay_alu instid0(VALU_DEP_3) | instskip(NEXT) | instid1(VALU_DEP_3)
	v_alignbit_b32 v44, v44, v41, v42
	v_alignbit_b32 v38, v41, v38, v42
	s_delay_alu instid0(VALU_DEP_4) | instskip(NEXT) | instid1(VALU_DEP_2)
	v_lshlrev_b32_e32 v41, 31, v46
	v_alignbit_b32 v42, v44, v38, 9
	s_delay_alu instid0(VALU_DEP_2) | instskip(SKIP_1) | instid1(VALU_DEP_3)
	v_dual_lshrrev_b32 v44, 9, v44 :: v_dual_bitop2_b32 v46, 0.5, v41 bitop3:0x54
	v_or_b32_e32 v41, 0x33000000, v41
	v_clz_i32_u32_e32 v48, v42
	s_delay_alu instid0(VALU_DEP_3) | instskip(NEXT) | instid1(VALU_DEP_2)
	v_sub_nc_u32_e32 v46, v46, v47
	v_min_u32_e32 v47, 32, v48
	s_delay_alu instid0(VALU_DEP_1) | instskip(NEXT) | instid1(VALU_DEP_1)
	v_add_lshl_u32 v45, v47, v45, 23
	v_dual_sub_nc_u32 v41, v41, v45 :: v_dual_bitop2_b32 v44, v44, v46 bitop3:0x54
	v_not_b32_e32 v46, v47
	s_delay_alu instid0(VALU_DEP_2) | instskip(NEXT) | instid1(VALU_DEP_2)
	v_mul_f32_e32 v48, 0x3fc90fda, v44
	v_alignbit_b32 v38, v42, v38, v46
	s_delay_alu instid0(VALU_DEP_2) | instskip(NEXT) | instid1(VALU_DEP_2)
	v_fma_f32 v42, 0x3fc90fda, v44, -v48
	v_lshrrev_b32_e32 v38, 9, v38
	s_delay_alu instid0(VALU_DEP_2) | instskip(NEXT) | instid1(VALU_DEP_2)
	v_fmac_f32_e32 v42, 0x33a22168, v44
	v_dual_add_nc_u32 v41, v43, v4 :: v_dual_bitop2_b32 v38, v41, v38 bitop3:0x54
	s_delay_alu instid0(VALU_DEP_1) | instskip(NEXT) | instid1(VALU_DEP_1)
	v_fmac_f32_e32 v42, 0x3fc90fda, v38
	v_add_f32_e32 v38, v48, v42
	s_and_not1_saveexec_b32 s4, s29
	s_branch .LBB248_346
.LBB248_345:                            ;   in Loop: Header=BB248_217 Depth=1
	s_and_not1_saveexec_b32 s4, s29
.LBB248_346:                            ;   in Loop: Header=BB248_217 Depth=1
	v_mul_f32_e64 v4, 0x3f22f983, |v35|
	s_delay_alu instid0(VALU_DEP_1) | instskip(NEXT) | instid1(VALU_DEP_1)
	v_rndne_f32_e32 v4, v4
	v_fma_f32 v38, 0xbfc90fda, v4, |v35|
	v_cvt_i32_f32_e32 v41, v4
	s_delay_alu instid0(VALU_DEP_2) | instskip(NEXT) | instid1(VALU_DEP_1)
	v_fmac_f32_e32 v38, 0xb3a22168, v4
	v_fmac_f32_e32 v38, 0xa7c234c4, v4
; %bb.347:                              ;   in Loop: Header=BB248_217 Depth=1
	s_or_b32 exec_lo, exec_lo, s4
                                        ; implicit-def: $vgpr42
                                        ; implicit-def: $vgpr4
	s_and_saveexec_b32 s4, s28
	s_delay_alu instid0(SALU_CYCLE_1)
	s_xor_b32 s28, exec_lo, s4
	s_cbranch_execz .LBB248_349
; %bb.348:                              ;   in Loop: Header=BB248_217 Depth=1
	v_and_or_b32 v4, v40, s20, 0x800000
	v_mov_b32_e32 v53, v5
	s_delay_alu instid0(VALU_DEP_2) | instskip(NEXT) | instid1(VALU_DEP_1)
	v_mul_u64_e32 v[42:43], s[16:17], v[4:5]
	v_dual_mov_b32 v45, v5 :: v_dual_mov_b32 v44, v43
	v_lshrrev_b32_e32 v43, 23, v40
	s_delay_alu instid0(VALU_DEP_2) | instskip(SKIP_1) | instid1(VALU_DEP_3)
	v_mad_nc_u64_u32 v[44:45], 0x3c439041, v4, v[44:45]
	v_mov_b32_e32 v47, v5
	v_add_nc_u32_e32 v43, 0xffffff88, v43
	s_delay_alu instid0(VALU_DEP_1) | instskip(NEXT) | instid1(VALU_DEP_4)
	v_cmp_lt_u32_e32 vcc_lo, 63, v43
	v_mov_b32_e32 v46, v45
	v_cndmask_b32_e64 v45, 0, 0xffffffc0, vcc_lo
	s_delay_alu instid0(VALU_DEP_2) | instskip(NEXT) | instid1(VALU_DEP_1)
	v_mad_nc_u64_u32 v[46:47], 0xdb629599, v4, v[46:47]
	v_dual_mov_b32 v49, v5 :: v_dual_mov_b32 v48, v47
	s_delay_alu instid0(VALU_DEP_2) | instskip(NEXT) | instid1(VALU_DEP_2)
	v_cndmask_b32_e32 v42, v46, v42, vcc_lo
	v_mad_nc_u64_u32 v[48:49], 0xf534ddc0, v4, v[48:49]
	s_delay_alu instid0(VALU_DEP_1) | instskip(NEXT) | instid1(VALU_DEP_1)
	v_dual_mov_b32 v51, v5 :: v_dual_mov_b32 v50, v49
	v_mad_nc_u64_u32 v[50:51], 0xfc2757d1, v4, v[50:51]
	s_delay_alu instid0(VALU_DEP_1) | instskip(NEXT) | instid1(VALU_DEP_1)
	v_mov_b32_e32 v52, v51
	v_mad_nc_u64_u32 v[52:53], 0x4e441529, v4, v[52:53]
	v_add_nc_u32_e32 v43, v45, v43
	v_mov_b32_e32 v55, v5
	s_delay_alu instid0(VALU_DEP_2) | instskip(NEXT) | instid1(VALU_DEP_4)
	v_cmp_lt_u32_e64 s4, 31, v43
	v_mov_b32_e32 v54, v53
	s_delay_alu instid0(VALU_DEP_2) | instskip(NEXT) | instid1(VALU_DEP_2)
	v_cndmask_b32_e64 v45, 0, 0xffffffe0, s4
	v_mad_nc_u64_u32 v[54:55], 0xa2f9836e, v4, v[54:55]
	s_delay_alu instid0(VALU_DEP_2) | instskip(NEXT) | instid1(VALU_DEP_2)
	v_dual_cndmask_b32 v45, v52, v48 :: v_dual_add_nc_u32 v4, v45, v43
	v_cndmask_b32_e32 v47, v54, v50, vcc_lo
	s_delay_alu instid0(VALU_DEP_2) | instskip(NEXT) | instid1(VALU_DEP_4)
	v_cmp_lt_u32_e64 s5, 31, v4
	v_dual_cndmask_b32 v49, v55, v52 :: v_dual_cndmask_b32 v50, v50, v46
	s_delay_alu instid0(VALU_DEP_2) | instskip(NEXT) | instid1(VALU_DEP_1)
	v_cndmask_b32_e64 v43, 0, 0xffffffe0, s5
	v_add_nc_u32_e32 v4, v43, v4
	v_dual_cndmask_b32 v43, v48, v44, vcc_lo :: v_dual_cndmask_b32 v44, v47, v45, s4
	s_delay_alu instid0(VALU_DEP_4) | instskip(NEXT) | instid1(VALU_DEP_3)
	v_cndmask_b32_e64 v47, v49, v47, s4
	v_dual_cndmask_b32 v45, v45, v50, s4 :: v_dual_sub_nc_u32 v48, 32, v4
	s_delay_alu instid0(VALU_DEP_3) | instskip(SKIP_1) | instid1(VALU_DEP_3)
	v_cndmask_b32_e64 v49, v50, v43, s4
	v_cmp_eq_u32_e32 vcc_lo, 0, v4
	v_dual_cndmask_b32 v47, v47, v44, s5 :: v_dual_cndmask_b32 v44, v44, v45, s5
	s_delay_alu instid0(VALU_DEP_1) | instskip(NEXT) | instid1(VALU_DEP_1)
	v_alignbit_b32 v50, v47, v44, v48
	v_dual_cndmask_b32 v45, v45, v49, s5 :: v_dual_cndmask_b32 v4, v50, v47, vcc_lo
	s_delay_alu instid0(VALU_DEP_1) | instskip(NEXT) | instid1(VALU_DEP_1)
	v_alignbit_b32 v46, v44, v45, v48
	v_dual_cndmask_b32 v42, v43, v42, s4 :: v_dual_cndmask_b32 v43, v46, v44, vcc_lo
	s_delay_alu instid0(VALU_DEP_3) | instskip(NEXT) | instid1(VALU_DEP_2)
	v_bfe_u32 v44, v4, 29, 1
	v_cndmask_b32_e64 v42, v49, v42, s5
	s_delay_alu instid0(VALU_DEP_3) | instskip(NEXT) | instid1(VALU_DEP_3)
	v_alignbit_b32 v46, v4, v43, 30
	v_sub_nc_u32_e32 v47, 0, v44
	s_delay_alu instid0(VALU_DEP_3) | instskip(NEXT) | instid1(VALU_DEP_1)
	v_alignbit_b32 v48, v45, v42, v48
	v_dual_cndmask_b32 v45, v48, v45, vcc_lo :: v_dual_bitop2_b32 v46, v46, v47 bitop3:0x14
	s_delay_alu instid0(VALU_DEP_1) | instskip(NEXT) | instid1(VALU_DEP_2)
	v_clz_i32_u32_e32 v48, v46
	v_alignbit_b32 v43, v43, v45, 30
	v_alignbit_b32 v42, v45, v42, 30
	s_delay_alu instid0(VALU_DEP_3) | instskip(NEXT) | instid1(VALU_DEP_3)
	v_min_u32_e32 v48, 32, v48
	v_xor_b32_e32 v43, v43, v47
	s_delay_alu instid0(VALU_DEP_3) | instskip(NEXT) | instid1(VALU_DEP_3)
	v_dual_lshrrev_b32 v47, 29, v4 :: v_dual_bitop2_b32 v42, v42, v47 bitop3:0x14
	v_dual_sub_nc_u32 v45, 31, v48 :: v_dual_lshlrev_b32 v49, 23, v48
	s_delay_alu instid0(VALU_DEP_1) | instskip(NEXT) | instid1(VALU_DEP_3)
	v_alignbit_b32 v46, v46, v43, v45
	v_alignbit_b32 v42, v43, v42, v45
	s_delay_alu instid0(VALU_DEP_4) | instskip(NEXT) | instid1(VALU_DEP_2)
	v_lshlrev_b32_e32 v43, 31, v47
	v_alignbit_b32 v45, v46, v42, 9
	s_delay_alu instid0(VALU_DEP_2) | instskip(SKIP_1) | instid1(VALU_DEP_3)
	v_dual_lshrrev_b32 v46, 9, v46 :: v_dual_bitop2_b32 v47, 0.5, v43 bitop3:0x54
	v_or_b32_e32 v43, 0x33000000, v43
	v_clz_i32_u32_e32 v50, v45
	s_delay_alu instid0(VALU_DEP_3) | instskip(NEXT) | instid1(VALU_DEP_2)
	v_sub_nc_u32_e32 v47, v47, v49
	v_min_u32_e32 v49, 32, v50
	s_delay_alu instid0(VALU_DEP_1) | instskip(NEXT) | instid1(VALU_DEP_3)
	v_add_lshl_u32 v48, v49, v48, 23
	v_or_b32_e32 v46, v46, v47
	v_not_b32_e32 v47, v49
	s_delay_alu instid0(VALU_DEP_2) | instskip(NEXT) | instid1(VALU_DEP_2)
	v_dual_mul_f32 v50, 0x3fc90fda, v46 :: v_dual_sub_nc_u32 v43, v43, v48
	v_alignbit_b32 v42, v45, v42, v47
	s_delay_alu instid0(VALU_DEP_2) | instskip(NEXT) | instid1(VALU_DEP_2)
	v_fma_f32 v45, 0x3fc90fda, v46, -v50
	v_lshrrev_b32_e32 v42, 9, v42
	s_delay_alu instid0(VALU_DEP_2) | instskip(NEXT) | instid1(VALU_DEP_2)
	v_fmac_f32_e32 v45, 0x33a22168, v46
	v_or_b32_e32 v42, v43, v42
	s_delay_alu instid0(VALU_DEP_1) | instskip(NEXT) | instid1(VALU_DEP_1)
	v_dual_fmac_f32 v45, 0x3fc90fda, v42 :: v_dual_lshrrev_b32 v42, 30, v4
	v_dual_add_nc_u32 v42, v44, v42 :: v_dual_add_f32 v4, v50, v45
	s_and_not1_saveexec_b32 s4, s28
	s_cbranch_execnz .LBB248_350
	s_branch .LBB248_351
.LBB248_349:                            ;   in Loop: Header=BB248_217 Depth=1
	s_and_not1_saveexec_b32 s4, s28
.LBB248_350:                            ;   in Loop: Header=BB248_217 Depth=1
	v_mul_f32_e64 v4, 0x3f22f983, |v35|
	s_delay_alu instid0(VALU_DEP_1) | instskip(NEXT) | instid1(VALU_DEP_1)
	v_rndne_f32_e32 v42, v4
	v_fma_f32 v4, 0xbfc90fda, v42, |v35|
	s_delay_alu instid0(VALU_DEP_1) | instskip(NEXT) | instid1(VALU_DEP_1)
	v_fmac_f32_e32 v4, 0xb3a22168, v42
	v_fmac_f32_e32 v4, 0xa7c234c4, v42
	v_cvt_i32_f32_e32 v42, v42
.LBB248_351:                            ;   in Loop: Header=BB248_217 Depth=1
	s_or_b32 exec_lo, exec_lo, s4
	v_sub_f32_e32 v34, 0xc322e3bc, v34
	s_delay_alu instid0(VALU_DEP_2) | instskip(SKIP_1) | instid1(VALU_DEP_3)
	v_dual_lshlrev_b32 v42, 30, v42 :: v_dual_bitop2_b32 v48, 1, v42 bitop3:0x40
	v_mul_f32_e32 v47, v4, v4
	v_mul_f32_e32 v43, 0x3fb8aa3b, v34
	s_delay_alu instid0(VALU_DEP_3) | instskip(NEXT) | instid1(VALU_DEP_3)
	v_and_or_b32 v40, 0x80000000, v42, v40
	v_fmaak_f32 v50, s21, v47, 0x3c0881c4
	s_delay_alu instid0(VALU_DEP_3) | instskip(SKIP_1) | instid1(VALU_DEP_1)
	v_fma_f32 v44, 0x3fb8aa3b, v34, -v43
	v_rndne_f32_e32 v45, v43
	v_dual_sub_f32 v43, v43, v45 :: v_dual_fmac_f32 v44, 0x32a5705f, v34
	v_cvt_i32_f32_e32 v45, v45
	v_cmp_ngt_f32_e32 vcc_lo, 0xc2ce8ed0, v34
	s_delay_alu instid0(VALU_DEP_3) | instskip(SKIP_1) | instid1(VALU_DEP_2)
	v_dual_add_f32 v43, v43, v44 :: v_dual_lshlrev_b32 v44, 30, v41
	v_and_b32_e32 v41, 1, v41
	v_exp_f32_e32 v43, v43
	v_nop
	s_delay_alu instid0(TRANS32_DEP_1) | instskip(NEXT) | instid1(VALU_DEP_1)
	v_ldexp_f32 v43, v43, v45
	v_dual_mul_f32 v46, v38, v38 :: v_dual_cndmask_b32 v43, 0, v43
	s_delay_alu instid0(VALU_DEP_1) | instskip(SKIP_1) | instid1(VALU_DEP_2)
	v_fmaak_f32 v49, s21, v46, 0x3c0881c4
	v_cmp_nlt_f32_e32 vcc_lo, 0x42b17218, v34
	v_dual_fmaak_f32 v34, v47, v50, 0xbe2aaa9d :: v_dual_fmaak_f32 v49, v46, v49, 0xbe2aaa9d
	s_delay_alu instid0(VALU_DEP_4) | instskip(SKIP_1) | instid1(VALU_DEP_3)
	v_cndmask_b32_e32 v42, 0x7f800000, v43, vcc_lo
	v_cmp_eq_u32_e32 vcc_lo, 0, v48
	v_dual_mul_f32 v34, v47, v34 :: v_dual_mul_f32 v49, v46, v49
	s_delay_alu instid0(VALU_DEP_3) | instskip(SKIP_1) | instid1(VALU_DEP_3)
	v_dual_fmaak_f32 v51, s22, v47, 0xbab64f3b :: v_dual_lshrrev_b32 v50, 23, v42
	v_fmaak_f32 v45, s22, v46, 0xbab64f3b
	v_dual_fmac_f32 v4, v4, v34 :: v_dual_fmac_f32 v38, v38, v49
	s_delay_alu instid0(VALU_DEP_3) | instskip(NEXT) | instid1(VALU_DEP_4)
	v_fmaak_f32 v43, v47, v51, 0x3d2aabf7
	v_subrev_nc_u32_e32 v50, 19, v50
	s_delay_alu instid0(VALU_DEP_4) | instskip(NEXT) | instid1(VALU_DEP_3)
	v_fmaak_f32 v45, v46, v45, 0x3d2aabf7
	v_fmaak_f32 v43, v47, v43, 0xbf000004
	s_delay_alu instid0(VALU_DEP_2) | instskip(NEXT) | instid1(VALU_DEP_2)
	v_fmaak_f32 v45, v46, v45, 0xbf000004
	v_fma_f32 v34, v47, v43, 1.0
	s_delay_alu instid0(VALU_DEP_2) | instskip(SKIP_1) | instid1(VALU_DEP_3)
	v_fma_f32 v43, v46, v45, 1.0
	v_lshrrev_b16 v45, 15, v50
	v_cndmask_b32_e32 v4, v34, v4, vcc_lo
	v_cmp_eq_u32_e32 vcc_lo, 0, v41
	s_delay_alu instid0(VALU_DEP_2) | instskip(SKIP_3) | instid1(VALU_DEP_3)
	v_xor3_b32 v4, v40, v4, v39
	v_cndmask_b32_e64 v34, -v38, v43, vcc_lo
	v_add_nc_u16 v38, v50, v45
	v_cmp_class_f32_e64 vcc_lo, v35, 0x1f8
	v_bitop3_b32 v34, v44, v34, 0x80000000 bitop3:0x6c
	s_delay_alu instid0(VALU_DEP_3) | instskip(SKIP_2) | instid1(VALU_DEP_4)
	v_ashrrev_i16 v38, 1, v38
	v_cndmask_b32_e32 v35, 0x7fc00000, v4, vcc_lo
	v_and_or_b32 v4, 0x7fffff, v42, s23
	v_cndmask_b32_e32 v34, 0x7fc00000, v34, vcc_lo
	s_delay_alu instid0(VALU_DEP_4) | instskip(NEXT) | instid1(VALU_DEP_2)
	v_bfe_i32 v38, v38, 0, 16
	v_pk_mul_f32 v[34:35], v[34:35], v[4:5] op_sel_hi:[1,0]
	s_delay_alu instid0(VALU_DEP_2) | instskip(SKIP_1) | instid1(VALU_DEP_2)
	v_sub_nc_u32_e32 v39, v50, v38
	v_lshl_add_u32 v4, v38, 23, 1.0
	v_lshl_add_u32 v38, v39, 23, 1.0
	s_delay_alu instid0(VALU_DEP_2) | instskip(NEXT) | instid1(VALU_DEP_1)
	v_pk_mul_f32 v[34:35], v[34:35], v[4:5] op_sel_hi:[1,0]
	v_pk_mul_f32 v[38:39], v[34:35], v[38:39] op_sel_hi:[1,0]
.LBB248_352:                            ;   in Loop: Header=BB248_217 Depth=1
	s_or_b32 exec_lo, exec_lo, s27
                                        ; implicit-def: $vgpr4
                                        ; implicit-def: $vgpr34
                                        ; implicit-def: $vgpr41
.LBB248_353:                            ;   in Loop: Header=BB248_217 Depth=1
	s_and_not1_saveexec_b32 s4, s26
	s_cbranch_execz .LBB248_359
; %bb.354:                              ;   in Loop: Header=BB248_217 Depth=1
	s_mov_b32 s5, exec_lo
                                        ; implicit-def: $vgpr39
	v_cmpx_ne_u32_e32 0x7f800000, v41
	s_xor_b32 s5, exec_lo, s5
; %bb.355:                              ;   in Loop: Header=BB248_217 Depth=1
	v_sub_f32_e32 v39, v35, v35
                                        ; implicit-def: $vgpr4
                                        ; implicit-def: $vgpr34_vgpr35
	s_delay_alu instid0(VALU_DEP_1)
	v_mov_b32_e32 v38, v39
; %bb.356:                              ;   in Loop: Header=BB248_217 Depth=1
	s_and_not1_saveexec_b32 s5, s5
; %bb.357:                              ;   in Loop: Header=BB248_217 Depth=1
	v_pk_add_f32 v[38:39], v[34:35], v[34:35] neg_lo:[0,1] neg_hi:[0,1]
	v_cmp_lt_i32_e32 vcc_lo, -1, v4
	s_delay_alu instid0(VALU_DEP_2)
	v_dual_cndmask_b32 v38, 0, -v34, vcc_lo :: v_dual_cndmask_b32 v39, 0, v39, vcc_lo
; %bb.358:                              ;   in Loop: Header=BB248_217 Depth=1
	s_or_b32 exec_lo, exec_lo, s5
.LBB248_359:                            ;   in Loop: Header=BB248_217 Depth=1
	s_delay_alu instid0(SALU_CYCLE_1)
	s_or_b32 exec_lo, exec_lo, s4
                                        ; implicit-def: $vgpr35
                                        ; implicit-def: $vgpr40
.LBB248_360:                            ;   in Loop: Header=BB248_217 Depth=1
	s_and_not1_saveexec_b32 s25, s25
	s_cbranch_execz .LBB248_370
; %bb.361:                              ;   in Loop: Header=BB248_217 Depth=1
	v_cmp_ngt_f32_e64 s26, 0x48000000, |v35|
                                        ; implicit-def: $vgpr38
                                        ; implicit-def: $vgpr34
	s_and_saveexec_b32 s4, s26
	s_delay_alu instid0(SALU_CYCLE_1)
	s_xor_b32 s27, exec_lo, s4
	s_cbranch_execz .LBB248_363
; %bb.362:                              ;   in Loop: Header=BB248_217 Depth=1
	v_and_or_b32 v4, v40, s20, 0x800000
	v_dual_mov_b32 v53, v5 :: v_dual_lshrrev_b32 v34, 23, v40
	v_mov_b32_e32 v55, v5
	s_delay_alu instid0(VALU_DEP_3) | instskip(NEXT) | instid1(VALU_DEP_3)
	v_mul_u64_e32 v[42:43], s[16:17], v[4:5]
	v_dual_mov_b32 v45, v5 :: v_dual_add_nc_u32 v34, 0xffffff88, v34
	s_delay_alu instid0(VALU_DEP_1) | instskip(SKIP_1) | instid1(VALU_DEP_1)
	v_cmp_lt_u32_e32 vcc_lo, 63, v34
	v_cndmask_b32_e64 v38, 0, 0xffffffc0, vcc_lo
	v_add_nc_u32_e32 v34, v38, v34
	s_delay_alu instid0(VALU_DEP_1) | instskip(NEXT) | instid1(VALU_DEP_1)
	v_cmp_lt_u32_e64 s4, 31, v34
	v_cndmask_b32_e64 v38, 0, 0xffffffe0, s4
	v_mov_b32_e32 v44, v43
	s_delay_alu instid0(VALU_DEP_1) | instskip(NEXT) | instid1(VALU_DEP_1)
	v_mad_nc_u64_u32 v[44:45], 0x3c439041, v4, v[44:45]
	v_dual_mov_b32 v47, v5 :: v_dual_mov_b32 v46, v45
	s_delay_alu instid0(VALU_DEP_1) | instskip(NEXT) | instid1(VALU_DEP_1)
	v_mad_nc_u64_u32 v[46:47], 0xdb629599, v4, v[46:47]
	v_dual_mov_b32 v49, v5 :: v_dual_mov_b32 v48, v47
	;; [unrolled: 3-line block ×3, first 2 shown]
	s_delay_alu instid0(VALU_DEP_1) | instskip(NEXT) | instid1(VALU_DEP_1)
	v_mad_nc_u64_u32 v[50:51], 0xfc2757d1, v4, v[50:51]
	v_dual_mov_b32 v52, v51 :: v_dual_cndmask_b32 v45, v50, v46
	s_delay_alu instid0(VALU_DEP_1) | instskip(NEXT) | instid1(VALU_DEP_1)
	v_mad_nc_u64_u32 v[52:53], 0x4e441529, v4, v[52:53]
	v_mov_b32_e32 v54, v53
	s_delay_alu instid0(VALU_DEP_1) | instskip(NEXT) | instid1(VALU_DEP_3)
	v_mad_nc_u64_u32 v[54:55], 0xa2f9836e, v4, v[54:55]
	v_dual_add_nc_u32 v4, v38, v34 :: v_dual_cndmask_b32 v38, v52, v48, vcc_lo
	s_delay_alu instid0(VALU_DEP_1) | instskip(NEXT) | instid1(VALU_DEP_1)
	v_cmp_lt_u32_e64 s5, 31, v4
	v_cndmask_b32_e64 v34, 0, 0xffffffe0, s5
	s_delay_alu instid0(VALU_DEP_4) | instskip(NEXT) | instid1(VALU_DEP_2)
	v_dual_cndmask_b32 v41, v54, v50, vcc_lo :: v_dual_cndmask_b32 v43, v55, v52, vcc_lo
	v_add_nc_u32_e32 v4, v34, v4
	s_delay_alu instid0(VALU_DEP_2) | instskip(NEXT) | instid1(VALU_DEP_3)
	v_dual_cndmask_b32 v34, v48, v44, vcc_lo :: v_dual_cndmask_b32 v44, v41, v38, s4
	v_cndmask_b32_e64 v41, v43, v41, s4
	s_delay_alu instid0(VALU_DEP_3) | instskip(NEXT) | instid1(VALU_DEP_1)
	v_dual_cndmask_b32 v38, v38, v45, s4 :: v_dual_sub_nc_u32 v43, 32, v4
	v_dual_cndmask_b32 v41, v41, v44, s5 :: v_dual_cndmask_b32 v44, v44, v38, s5
	v_cndmask_b32_e32 v42, v46, v42, vcc_lo
	v_cmp_eq_u32_e32 vcc_lo, 0, v4
	s_delay_alu instid0(VALU_DEP_3) | instskip(SKIP_1) | instid1(VALU_DEP_2)
	v_alignbit_b32 v47, v41, v44, v43
	v_cndmask_b32_e64 v45, v45, v34, s4
	v_dual_cndmask_b32 v34, v34, v42, s4 :: v_dual_cndmask_b32 v4, v47, v41, vcc_lo
	s_delay_alu instid0(VALU_DEP_1) | instskip(NEXT) | instid1(VALU_DEP_2)
	v_dual_cndmask_b32 v38, v38, v45, s5 :: v_dual_cndmask_b32 v34, v45, v34, s5
	v_bfe_u32 v42, v4, 29, 1
	s_delay_alu instid0(VALU_DEP_2) | instskip(NEXT) | instid1(VALU_DEP_3)
	v_alignbit_b32 v46, v44, v38, v43
	v_alignbit_b32 v43, v38, v34, v43
	s_delay_alu instid0(VALU_DEP_2) | instskip(NEXT) | instid1(VALU_DEP_2)
	v_dual_sub_nc_u32 v45, 0, v42 :: v_dual_cndmask_b32 v41, v46, v44, vcc_lo
	v_cndmask_b32_e32 v38, v43, v38, vcc_lo
	s_delay_alu instid0(VALU_DEP_2) | instskip(NEXT) | instid1(VALU_DEP_2)
	v_alignbit_b32 v44, v4, v41, 30
	v_alignbit_b32 v41, v41, v38, 30
	;; [unrolled: 1-line block ×3, first 2 shown]
	s_delay_alu instid0(VALU_DEP_3) | instskip(NEXT) | instid1(VALU_DEP_2)
	v_xor_b32_e32 v44, v44, v45
	v_xor_b32_e32 v34, v34, v45
	s_delay_alu instid0(VALU_DEP_2) | instskip(NEXT) | instid1(VALU_DEP_1)
	v_clz_i32_u32_e32 v43, v44
	v_min_u32_e32 v43, 32, v43
	v_dual_lshrrev_b32 v45, 29, v4 :: v_dual_bitop2_b32 v38, v41, v45 bitop3:0x14
	s_delay_alu instid0(VALU_DEP_2) | instskip(SKIP_1) | instid1(VALU_DEP_2)
	v_dual_lshrrev_b32 v4, 30, v4 :: v_dual_sub_nc_u32 v41, 31, v43
	v_lshlrev_b32_e32 v46, 23, v43
	v_alignbit_b32 v44, v44, v38, v41
	v_alignbit_b32 v34, v38, v34, v41
	v_lshlrev_b32_e32 v38, 31, v45
	s_delay_alu instid0(VALU_DEP_2) | instskip(NEXT) | instid1(VALU_DEP_2)
	v_alignbit_b32 v41, v44, v34, 9
	v_dual_lshrrev_b32 v44, 9, v44 :: v_dual_bitop2_b32 v45, 0.5, v38 bitop3:0x54
	v_or_b32_e32 v38, 0x33000000, v38
	s_delay_alu instid0(VALU_DEP_3) | instskip(NEXT) | instid1(VALU_DEP_3)
	v_clz_i32_u32_e32 v47, v41
	v_sub_nc_u32_e32 v45, v45, v46
	s_delay_alu instid0(VALU_DEP_2) | instskip(NEXT) | instid1(VALU_DEP_1)
	v_min_u32_e32 v46, 32, v47
	v_add_lshl_u32 v43, v46, v43, 23
	s_delay_alu instid0(VALU_DEP_1) | instskip(SKIP_1) | instid1(VALU_DEP_1)
	v_dual_sub_nc_u32 v38, v38, v43 :: v_dual_bitop2_b32 v44, v44, v45 bitop3:0x54
	v_not_b32_e32 v45, v46
	v_alignbit_b32 v34, v41, v34, v45
	s_delay_alu instid0(VALU_DEP_1) | instskip(NEXT) | instid1(VALU_DEP_1)
	v_dual_mul_f32 v47, 0x3fc90fda, v44 :: v_dual_lshrrev_b32 v34, 9, v34
	v_or_b32_e32 v34, v38, v34
	s_delay_alu instid0(VALU_DEP_2) | instskip(SKIP_1) | instid1(VALU_DEP_2)
	v_fma_f32 v41, 0x3fc90fda, v44, -v47
	v_add_nc_u32_e32 v38, v42, v4
	v_fmac_f32_e32 v41, 0x33a22168, v44
	s_delay_alu instid0(VALU_DEP_1) | instskip(NEXT) | instid1(VALU_DEP_1)
	v_fmac_f32_e32 v41, 0x3fc90fda, v34
	v_add_f32_e32 v34, v47, v41
	s_and_not1_saveexec_b32 s4, s27
	s_branch .LBB248_364
.LBB248_363:                            ;   in Loop: Header=BB248_217 Depth=1
	s_and_not1_saveexec_b32 s4, s27
.LBB248_364:                            ;   in Loop: Header=BB248_217 Depth=1
	v_mul_f32_e64 v4, 0x3f22f983, |v35|
	s_delay_alu instid0(VALU_DEP_1) | instskip(NEXT) | instid1(VALU_DEP_1)
	v_rndne_f32_e32 v4, v4
	v_fma_f32 v34, 0xbfc90fda, v4, |v35|
	v_cvt_i32_f32_e32 v38, v4
	s_delay_alu instid0(VALU_DEP_2) | instskip(NEXT) | instid1(VALU_DEP_1)
	v_fmac_f32_e32 v34, 0xb3a22168, v4
	v_fmac_f32_e32 v34, 0xa7c234c4, v4
; %bb.365:                              ;   in Loop: Header=BB248_217 Depth=1
	s_or_b32 exec_lo, exec_lo, s4
                                        ; implicit-def: $vgpr41
                                        ; implicit-def: $vgpr4
	s_and_saveexec_b32 s4, s26
	s_delay_alu instid0(SALU_CYCLE_1)
	s_xor_b32 s26, exec_lo, s4
	s_cbranch_execz .LBB248_367
; %bb.366:                              ;   in Loop: Header=BB248_217 Depth=1
	v_and_or_b32 v4, v40, s20, 0x800000
	v_dual_lshrrev_b32 v41, 23, v40 :: v_dual_mov_b32 v53, v5
	v_mov_b32_e32 v55, v5
	s_delay_alu instid0(VALU_DEP_3) | instskip(SKIP_1) | instid1(VALU_DEP_4)
	v_mul_u64_e32 v[42:43], s[16:17], v[4:5]
	v_mov_b32_e32 v45, v5
	v_add_nc_u32_e32 v41, 0xffffff88, v41
	s_delay_alu instid0(VALU_DEP_1) | instskip(NEXT) | instid1(VALU_DEP_4)
	v_cmp_lt_u32_e32 vcc_lo, 63, v41
	v_mov_b32_e32 v44, v43
	v_cndmask_b32_e64 v43, 0, 0xffffffc0, vcc_lo
	s_delay_alu instid0(VALU_DEP_2) | instskip(NEXT) | instid1(VALU_DEP_2)
	v_mad_nc_u64_u32 v[44:45], 0x3c439041, v4, v[44:45]
	v_dual_mov_b32 v47, v5 :: v_dual_add_nc_u32 v41, v43, v41
	s_delay_alu instid0(VALU_DEP_1) | instskip(NEXT) | instid1(VALU_DEP_3)
	v_cmp_lt_u32_e64 s4, 31, v41
	v_mov_b32_e32 v46, v45
	s_delay_alu instid0(VALU_DEP_2) | instskip(NEXT) | instid1(VALU_DEP_2)
	v_cndmask_b32_e64 v43, 0, 0xffffffe0, s4
	v_mad_nc_u64_u32 v[46:47], 0xdb629599, v4, v[46:47]
	s_delay_alu instid0(VALU_DEP_1) | instskip(NEXT) | instid1(VALU_DEP_2)
	v_dual_mov_b32 v49, v5 :: v_dual_mov_b32 v48, v47
	v_cndmask_b32_e32 v42, v46, v42, vcc_lo
	s_delay_alu instid0(VALU_DEP_2) | instskip(NEXT) | instid1(VALU_DEP_1)
	v_mad_nc_u64_u32 v[48:49], 0xf534ddc0, v4, v[48:49]
	v_dual_mov_b32 v51, v5 :: v_dual_mov_b32 v50, v49
	s_delay_alu instid0(VALU_DEP_1) | instskip(NEXT) | instid1(VALU_DEP_1)
	v_mad_nc_u64_u32 v[50:51], 0xfc2757d1, v4, v[50:51]
	v_dual_mov_b32 v52, v51 :: v_dual_cndmask_b32 v49, v50, v46
	s_delay_alu instid0(VALU_DEP_1) | instskip(NEXT) | instid1(VALU_DEP_1)
	v_mad_nc_u64_u32 v[52:53], 0x4e441529, v4, v[52:53]
	v_mov_b32_e32 v54, v53
	s_delay_alu instid0(VALU_DEP_1) | instskip(NEXT) | instid1(VALU_DEP_3)
	v_mad_nc_u64_u32 v[54:55], 0xa2f9836e, v4, v[54:55]
	v_dual_cndmask_b32 v43, v52, v48 :: v_dual_add_nc_u32 v4, v43, v41
	s_delay_alu instid0(VALU_DEP_1) | instskip(NEXT) | instid1(VALU_DEP_1)
	v_cmp_lt_u32_e64 s5, 31, v4
	v_cndmask_b32_e64 v41, 0, 0xffffffe0, s5
	s_delay_alu instid0(VALU_DEP_4) | instskip(NEXT) | instid1(VALU_DEP_2)
	v_dual_cndmask_b32 v45, v54, v50, vcc_lo :: v_dual_cndmask_b32 v47, v55, v52, vcc_lo
	v_add_nc_u32_e32 v4, v41, v4
	s_delay_alu instid0(VALU_DEP_2) | instskip(NEXT) | instid1(VALU_DEP_3)
	v_dual_cndmask_b32 v41, v48, v44, vcc_lo :: v_dual_cndmask_b32 v44, v45, v43, s4
	v_cndmask_b32_e64 v45, v47, v45, s4
	s_delay_alu instid0(VALU_DEP_3) | instskip(NEXT) | instid1(VALU_DEP_3)
	v_dual_cndmask_b32 v43, v43, v49, s4 :: v_dual_sub_nc_u32 v47, 32, v4
	v_cndmask_b32_e64 v48, v49, v41, s4
	v_cmp_eq_u32_e32 vcc_lo, 0, v4
	s_delay_alu instid0(VALU_DEP_3) | instskip(NEXT) | instid1(VALU_DEP_1)
	v_dual_cndmask_b32 v45, v45, v44, s5 :: v_dual_cndmask_b32 v44, v44, v43, s5
	v_alignbit_b32 v49, v45, v44, v47
	s_delay_alu instid0(VALU_DEP_1) | instskip(NEXT) | instid1(VALU_DEP_1)
	v_dual_cndmask_b32 v43, v43, v48, s5 :: v_dual_cndmask_b32 v4, v49, v45, vcc_lo
	v_alignbit_b32 v46, v44, v43, v47
	s_delay_alu instid0(VALU_DEP_1) | instskip(NEXT) | instid1(VALU_DEP_3)
	v_dual_cndmask_b32 v41, v41, v42, s4 :: v_dual_cndmask_b32 v42, v46, v44, vcc_lo
	v_bfe_u32 v44, v4, 29, 1
	s_delay_alu instid0(VALU_DEP_2) | instskip(NEXT) | instid1(VALU_DEP_3)
	v_cndmask_b32_e64 v41, v48, v41, s5
	v_alignbit_b32 v45, v4, v42, 30
	s_delay_alu instid0(VALU_DEP_3) | instskip(NEXT) | instid1(VALU_DEP_3)
	v_sub_nc_u32_e32 v46, 0, v44
	v_alignbit_b32 v47, v43, v41, v47
	s_delay_alu instid0(VALU_DEP_1) | instskip(NEXT) | instid1(VALU_DEP_1)
	v_dual_cndmask_b32 v43, v47, v43, vcc_lo :: v_dual_bitop2_b32 v45, v45, v46 bitop3:0x14
	v_clz_i32_u32_e32 v47, v45
	s_delay_alu instid0(VALU_DEP_2) | instskip(SKIP_1) | instid1(VALU_DEP_3)
	v_alignbit_b32 v42, v42, v43, 30
	v_alignbit_b32 v41, v43, v41, 30
	v_min_u32_e32 v47, 32, v47
	s_delay_alu instid0(VALU_DEP_3) | instskip(NEXT) | instid1(VALU_DEP_3)
	v_xor_b32_e32 v42, v42, v46
	v_dual_lshrrev_b32 v46, 29, v4 :: v_dual_bitop2_b32 v41, v41, v46 bitop3:0x14
	s_delay_alu instid0(VALU_DEP_3) | instskip(NEXT) | instid1(VALU_DEP_1)
	v_dual_sub_nc_u32 v43, 31, v47 :: v_dual_lshlrev_b32 v48, 23, v47
	v_alignbit_b32 v45, v45, v42, v43
	s_delay_alu instid0(VALU_DEP_3) | instskip(NEXT) | instid1(VALU_DEP_4)
	v_alignbit_b32 v41, v42, v41, v43
	v_lshlrev_b32_e32 v42, 31, v46
	s_delay_alu instid0(VALU_DEP_2) | instskip(NEXT) | instid1(VALU_DEP_2)
	v_alignbit_b32 v43, v45, v41, 9
	v_dual_lshrrev_b32 v45, 9, v45 :: v_dual_bitop2_b32 v46, 0.5, v42 bitop3:0x54
	v_or_b32_e32 v42, 0x33000000, v42
	s_delay_alu instid0(VALU_DEP_3) | instskip(NEXT) | instid1(VALU_DEP_3)
	v_clz_i32_u32_e32 v49, v43
	v_sub_nc_u32_e32 v46, v46, v48
	s_delay_alu instid0(VALU_DEP_2) | instskip(NEXT) | instid1(VALU_DEP_1)
	v_min_u32_e32 v48, 32, v49
	v_add_lshl_u32 v47, v48, v47, 23
	s_delay_alu instid0(VALU_DEP_3) | instskip(SKIP_1) | instid1(VALU_DEP_2)
	v_or_b32_e32 v45, v45, v46
	v_not_b32_e32 v46, v48
	v_dual_mul_f32 v49, 0x3fc90fda, v45 :: v_dual_sub_nc_u32 v42, v42, v47
	s_delay_alu instid0(VALU_DEP_2) | instskip(NEXT) | instid1(VALU_DEP_2)
	v_alignbit_b32 v41, v43, v41, v46
	v_fma_f32 v43, 0x3fc90fda, v45, -v49
	s_delay_alu instid0(VALU_DEP_2) | instskip(NEXT) | instid1(VALU_DEP_2)
	v_lshrrev_b32_e32 v41, 9, v41
	v_fmac_f32_e32 v43, 0x33a22168, v45
	s_delay_alu instid0(VALU_DEP_2) | instskip(NEXT) | instid1(VALU_DEP_1)
	v_or_b32_e32 v41, v42, v41
	v_fmac_f32_e32 v43, 0x3fc90fda, v41
	s_delay_alu instid0(VALU_DEP_1) | instskip(NEXT) | instid1(VALU_DEP_1)
	v_dual_add_f32 v4, v49, v43 :: v_dual_lshrrev_b32 v41, 30, v4
	v_add_nc_u32_e32 v41, v44, v41
	s_and_not1_saveexec_b32 s4, s26
	s_cbranch_execnz .LBB248_368
	s_branch .LBB248_369
.LBB248_367:                            ;   in Loop: Header=BB248_217 Depth=1
	s_and_not1_saveexec_b32 s4, s26
.LBB248_368:                            ;   in Loop: Header=BB248_217 Depth=1
	v_mul_f32_e64 v4, 0x3f22f983, |v35|
	s_delay_alu instid0(VALU_DEP_1) | instskip(NEXT) | instid1(VALU_DEP_1)
	v_rndne_f32_e32 v41, v4
	v_fma_f32 v4, 0xbfc90fda, v41, |v35|
	s_delay_alu instid0(VALU_DEP_1) | instskip(NEXT) | instid1(VALU_DEP_1)
	v_fmac_f32_e32 v4, 0xb3a22168, v41
	v_fmac_f32_e32 v4, 0xa7c234c4, v41
	v_cvt_i32_f32_e32 v41, v41
.LBB248_369:                            ;   in Loop: Header=BB248_217 Depth=1
	s_or_b32 exec_lo, exec_lo, s4
	s_delay_alu instid0(VALU_DEP_2) | instskip(SKIP_1) | instid1(VALU_DEP_2)
	v_dual_mul_f32 v42, v34, v34 :: v_dual_mul_f32 v43, v4, v4
	v_dual_lshlrev_b32 v38, 30, v38 :: v_dual_bitop2_b32 v44, 1, v38 bitop3:0x40
	v_fmaak_f32 v47, s21, v43, 0x3c0881c4
	v_fmaak_f32 v48, s22, v43, 0xbab64f3b
	s_delay_alu instid0(VALU_DEP_3) | instskip(SKIP_1) | instid1(VALU_DEP_4)
	v_cmp_eq_u32_e32 vcc_lo, 0, v44
	v_dual_lshlrev_b32 v41, 30, v41 :: v_dual_bitop2_b32 v49, 1, v41 bitop3:0x40
	v_fmaak_f32 v47, v43, v47, 0xbe2aaa9d
	s_delay_alu instid0(VALU_DEP_4) | instskip(NEXT) | instid1(VALU_DEP_3)
	v_fmaak_f32 v48, v43, v48, 0x3d2aabf7
	v_and_or_b32 v40, 0x80000000, v41, v40
	s_delay_alu instid0(VALU_DEP_3) | instskip(SKIP_1) | instid1(VALU_DEP_4)
	v_mul_f32_e32 v47, v43, v47
	v_fmaak_f32 v45, s21, v42, 0x3c0881c4
	v_fmaak_f32 v48, v43, v48, 0xbf000004
	s_delay_alu instid0(VALU_DEP_3) | instskip(NEXT) | instid1(VALU_DEP_2)
	v_fmac_f32_e32 v4, v4, v47
	v_fma_f32 v43, v43, v48, 1.0
	s_delay_alu instid0(VALU_DEP_4) | instskip(NEXT) | instid1(VALU_DEP_1)
	v_fmaak_f32 v45, v42, v45, 0xbe2aaa9d
	v_dual_fmaak_f32 v46, s22, v42, 0xbab64f3b :: v_dual_mul_f32 v45, v42, v45
	s_delay_alu instid0(VALU_DEP_1) | instskip(NEXT) | instid1(VALU_DEP_2)
	v_fmaak_f32 v46, v42, v46, 0x3d2aabf7
	v_fmac_f32_e32 v34, v34, v45
	s_delay_alu instid0(VALU_DEP_2) | instskip(NEXT) | instid1(VALU_DEP_1)
	v_fmaak_f32 v46, v42, v46, 0xbf000004
	v_fma_f32 v42, v42, v46, 1.0
	s_delay_alu instid0(VALU_DEP_1) | instskip(SKIP_1) | instid1(VALU_DEP_2)
	v_cndmask_b32_e64 v34, -v34, v42, vcc_lo
	v_cmp_eq_u32_e32 vcc_lo, 0, v49
	v_bitop3_b32 v34, v38, v34, 0x80000000 bitop3:0x6c
	v_cndmask_b32_e32 v4, v43, v4, vcc_lo
	v_cmp_class_f32_e64 vcc_lo, v35, 0x1f8
	s_delay_alu instid0(VALU_DEP_2) | instskip(NEXT) | instid1(VALU_DEP_4)
	v_xor3_b32 v4, v40, v4, v39
	v_cndmask_b32_e32 v38, 0x7fc00000, v34, vcc_lo
	s_delay_alu instid0(VALU_DEP_2)
	v_cndmask_b32_e32 v39, 0x7fc00000, v4, vcc_lo
.LBB248_370:                            ;   in Loop: Header=BB248_217 Depth=1
	s_or_b32 exec_lo, exec_lo, s25
                                        ; implicit-def: $vgpr34
.LBB248_371:                            ;   in Loop: Header=BB248_217 Depth=1
	s_and_not1_saveexec_b32 s4, s24
	s_cbranch_execz .LBB248_373
; %bb.372:                              ;   in Loop: Header=BB248_217 Depth=1
	v_mul_f32_e32 v4, 0xbfb8aa3b, v34
	v_cmp_nlt_f32_e32 vcc_lo, 0x42ce8ed0, v34
	s_delay_alu instid0(VALU_DEP_2) | instskip(SKIP_1) | instid1(VALU_DEP_2)
	v_rndne_f32_e32 v35, v4
	v_fma_f32 v38, 0xbfb8aa3b, v34, -v4
	v_sub_f32_e32 v4, v4, v35
	s_delay_alu instid0(VALU_DEP_2) | instskip(SKIP_1) | instid1(VALU_DEP_2)
	v_fmac_f32_e32 v38, 0xb2a5705f, v34
	v_cvt_i32_f32_e32 v35, v35
	v_add_f32_e32 v4, v4, v38
	s_delay_alu instid0(VALU_DEP_1) | instskip(SKIP_1) | instid1(TRANS32_DEP_1)
	v_exp_f32_e32 v4, v4
	v_nop
	v_ldexp_f32 v4, v4, v35
	s_delay_alu instid0(VALU_DEP_1) | instskip(SKIP_1) | instid1(VALU_DEP_2)
	v_cndmask_b32_e32 v4, 0, v4, vcc_lo
	v_cmp_ngt_f32_e32 vcc_lo, 0xc2b17218, v34
	v_cndmask_b32_e32 v38, 0x7f800000, v4, vcc_lo
.LBB248_373:                            ;   in Loop: Header=BB248_217 Depth=1
	s_or_b32 exec_lo, exec_lo, s4
	v_mov_b64_e32 v[34:35], s[6:7]
	s_mov_b32 s4, exec_lo
	s_delay_alu instid0(VALU_DEP_1) | instskip(NEXT) | instid1(VALU_DEP_1)
	v_pk_add_f32 v[38:39], v[38:39], v[34:35]
                                        ; implicit-def: $vgpr34_vgpr35
	v_cmp_gt_f32_e32 vcc_lo, 0, v39
	v_cndmask_b32_e64 v4, v39, -v39, vcc_lo
	s_delay_alu instid0(VALU_DEP_3) | instskip(SKIP_1) | instid1(VALU_DEP_1)
	v_cmp_gt_f32_e32 vcc_lo, 0, v38
	v_cndmask_b32_e64 v40, v38, -v38, vcc_lo
	v_cmpx_ge_f32_e32 v40, v4
	s_xor_b32 s5, exec_lo, s4
	s_cbranch_execz .LBB248_379
; %bb.374:                              ;   in Loop: Header=BB248_217 Depth=1
	v_cmp_neq_f32_e32 vcc_lo, 0, v38
	v_cmp_neq_f32_e64 s4, 0, v39
                                        ; implicit-def: $vgpr34_vgpr35
	s_or_b32 s4, vcc_lo, s4
	s_delay_alu instid0(SALU_CYCLE_1) | instskip(NEXT) | instid1(SALU_CYCLE_1)
	s_and_saveexec_b32 s24, s4
	s_xor_b32 s4, exec_lo, s24
	s_cbranch_execz .LBB248_376
; %bb.375:                              ;   in Loop: Header=BB248_217 Depth=1
	v_div_scale_f32 v4, null, v38, v38, v39
	v_div_scale_f32 v40, vcc_lo, v39, v38, v39
	s_delay_alu instid0(VALU_DEP_2) | instskip(SKIP_1) | instid1(TRANS32_DEP_1)
	v_rcp_f32_e32 v34, v4
	v_nop
	v_fma_f32 v35, -v4, v34, 1.0
	s_delay_alu instid0(VALU_DEP_1) | instskip(NEXT) | instid1(VALU_DEP_1)
	v_fmac_f32_e32 v34, v35, v34
	v_mul_f32_e32 v35, v40, v34
	s_delay_alu instid0(VALU_DEP_1) | instskip(NEXT) | instid1(VALU_DEP_1)
	v_fma_f32 v41, -v4, v35, v40
	v_fmac_f32_e32 v35, v41, v34
	s_delay_alu instid0(VALU_DEP_1) | instskip(NEXT) | instid1(VALU_DEP_1)
	v_fma_f32 v4, -v4, v35, v40
	v_div_fmas_f32 v4, v4, v34, v35
	s_delay_alu instid0(VALU_DEP_1) | instskip(NEXT) | instid1(VALU_DEP_1)
	v_div_fixup_f32 v4, v4, v38, v39
	v_fmac_f32_e32 v38, v39, v4
	s_delay_alu instid0(VALU_DEP_1) | instskip(SKIP_1) | instid1(VALU_DEP_2)
	v_div_scale_f32 v39, null, v38, v38, 1.0
	v_div_scale_f32 v40, vcc_lo, 1.0, v38, 1.0
	v_rcp_f32_e32 v42, v39
	v_nop
	s_delay_alu instid0(TRANS32_DEP_1) | instskip(NEXT) | instid1(VALU_DEP_1)
	v_fma_f32 v34, -v39, v42, 1.0
	v_fmac_f32_e32 v42, v34, v42
	s_delay_alu instid0(VALU_DEP_1) | instskip(NEXT) | instid1(VALU_DEP_1)
	v_mul_f32_e32 v43, v40, v42
	v_fma_f32 v34, -v39, v43, v40
	s_delay_alu instid0(VALU_DEP_1) | instskip(SKIP_1) | instid1(VALU_DEP_2)
	v_fmac_f32_e32 v43, v34, v42
	v_mov_b64_e32 v[34:35], s[6:7]
	v_fma_f32 v39, -v39, v43, v40
	v_mov_b64_e32 v[40:41], s[10:11]
	s_delay_alu instid0(VALU_DEP_2) | instskip(NEXT) | instid1(VALU_DEP_2)
	v_div_fmas_f32 v39, v39, v42, v43
	v_pk_fma_f32 v[42:43], v[4:5], v[40:41], v[34:35] op_sel_hi:[0,1,1] neg_lo:[1,0,0] neg_hi:[1,0,0]
	v_pk_fma_f32 v[34:35], v[4:5], v[40:41], v[34:35]
	s_delay_alu instid0(VALU_DEP_3) | instskip(NEXT) | instid1(VALU_DEP_3)
	v_div_fixup_f32 v4, v39, v38, 1.0
                                        ; implicit-def: $vgpr40
	v_mov_b32_e32 v35, v43
	s_delay_alu instid0(VALU_DEP_1)
	v_pk_mul_f32 v[34:35], v[34:35], v[4:5] op_sel_hi:[1,0]
                                        ; implicit-def: $vgpr4
.LBB248_376:                            ;   in Loop: Header=BB248_217 Depth=1
	s_and_not1_saveexec_b32 s24, s4
	s_cbranch_execz .LBB248_378
; %bb.377:                              ;   in Loop: Header=BB248_217 Depth=1
	v_div_scale_f32 v34, null, v4, v4, s7
	v_div_scale_f32 v35, null, v40, v40, s6
	v_div_scale_f32 v43, vcc_lo, s7, v4, s7
	s_delay_alu instid0(VALU_DEP_3) | instskip(NEXT) | instid1(VALU_DEP_2)
	v_rcp_f32_e32 v38, v34
	v_rcp_f32_e32 v39, v35
	s_delay_alu instid0(TRANS32_DEP_2) | instskip(NEXT) | instid1(TRANS32_DEP_1)
	v_fma_f32 v41, -v34, v38, 1.0
	v_fma_f32 v42, -v35, v39, 1.0
	s_delay_alu instid0(VALU_DEP_1) | instskip(SKIP_1) | instid1(VALU_DEP_1)
	v_dual_fmac_f32 v38, v41, v38 :: v_dual_fmac_f32 v39, v42, v39
	v_div_scale_f32 v41, s4, s6, v40, s6
	v_dual_mul_f32 v42, v43, v38 :: v_dual_mul_f32 v44, v41, v39
	s_delay_alu instid0(VALU_DEP_1) | instskip(NEXT) | instid1(VALU_DEP_1)
	v_dual_fma_f32 v45, -v34, v42, v43 :: v_dual_fma_f32 v46, -v35, v44, v41
	v_dual_fmac_f32 v42, v45, v38 :: v_dual_fmac_f32 v44, v46, v39
	s_delay_alu instid0(VALU_DEP_1) | instskip(NEXT) | instid1(VALU_DEP_1)
	v_dual_fma_f32 v34, -v34, v42, v43 :: v_dual_fma_f32 v35, -v35, v44, v41
	v_div_fmas_f32 v34, v34, v38, v42
	s_mov_b32 vcc_lo, s4
	s_delay_alu instid0(VALU_DEP_2) | instskip(NEXT) | instid1(VALU_DEP_2)
	v_div_fmas_f32 v38, v35, v39, v44
	v_div_fixup_f32 v35, v34, v4, s7
	s_delay_alu instid0(VALU_DEP_2)
	v_div_fixup_f32 v34, v38, v40, s6
.LBB248_378:                            ;   in Loop: Header=BB248_217 Depth=1
	s_or_b32 exec_lo, exec_lo, s24
                                        ; implicit-def: $vgpr38_vgpr39
.LBB248_379:                            ;   in Loop: Header=BB248_217 Depth=1
	s_and_not1_saveexec_b32 s4, s5
	s_cbranch_execz .LBB248_381
; %bb.380:                              ;   in Loop: Header=BB248_217 Depth=1
	v_div_scale_f32 v4, null, v39, v39, v38
	v_div_scale_f32 v40, vcc_lo, v38, v39, v38
	s_delay_alu instid0(VALU_DEP_2) | instskip(SKIP_1) | instid1(TRANS32_DEP_1)
	v_rcp_f32_e32 v34, v4
	v_nop
	v_fma_f32 v35, -v4, v34, 1.0
	s_delay_alu instid0(VALU_DEP_1) | instskip(NEXT) | instid1(VALU_DEP_1)
	v_fmac_f32_e32 v34, v35, v34
	v_mul_f32_e32 v35, v40, v34
	s_delay_alu instid0(VALU_DEP_1) | instskip(NEXT) | instid1(VALU_DEP_1)
	v_fma_f32 v41, -v4, v35, v40
	v_fmac_f32_e32 v35, v41, v34
	s_delay_alu instid0(VALU_DEP_1) | instskip(NEXT) | instid1(VALU_DEP_1)
	v_fma_f32 v4, -v4, v35, v40
	v_div_fmas_f32 v4, v4, v34, v35
	s_delay_alu instid0(VALU_DEP_1) | instskip(NEXT) | instid1(VALU_DEP_1)
	v_div_fixup_f32 v4, v4, v39, v38
	v_fmac_f32_e32 v39, v38, v4
	s_delay_alu instid0(VALU_DEP_1) | instskip(SKIP_1) | instid1(VALU_DEP_2)
	v_div_scale_f32 v38, null, v39, v39, 1.0
	v_div_scale_f32 v40, vcc_lo, 1.0, v39, 1.0
	v_rcp_f32_e32 v42, v38
	v_nop
	s_delay_alu instid0(TRANS32_DEP_1) | instskip(NEXT) | instid1(VALU_DEP_1)
	v_fma_f32 v34, -v38, v42, 1.0
	v_fmac_f32_e32 v42, v34, v42
	s_delay_alu instid0(VALU_DEP_1) | instskip(NEXT) | instid1(VALU_DEP_1)
	v_mul_f32_e32 v43, v40, v42
	v_fma_f32 v34, -v38, v43, v40
	s_delay_alu instid0(VALU_DEP_1) | instskip(SKIP_1) | instid1(VALU_DEP_2)
	v_fmac_f32_e32 v43, v34, v42
	v_mov_b64_e32 v[34:35], s[10:11]
	v_fma_f32 v38, -v38, v43, v40
	v_mov_b64_e32 v[40:41], s[6:7]
	s_delay_alu instid0(VALU_DEP_2) | instskip(NEXT) | instid1(VALU_DEP_2)
	v_div_fmas_f32 v38, v38, v42, v43
	v_pk_fma_f32 v[42:43], v[4:5], v[40:41], v[34:35] op_sel_hi:[0,1,1] neg_lo:[0,0,1] neg_hi:[0,0,1]
	v_pk_fma_f32 v[34:35], v[4:5], v[40:41], v[34:35]
	s_delay_alu instid0(VALU_DEP_3) | instskip(NEXT) | instid1(VALU_DEP_3)
	v_div_fixup_f32 v4, v38, v39, 1.0
	v_mov_b32_e32 v35, v43
	s_delay_alu instid0(VALU_DEP_1)
	v_pk_mul_f32 v[34:35], v[34:35], v[4:5] op_sel_hi:[1,0]
.LBB248_381:                            ;   in Loop: Header=BB248_217 Depth=1
	s_or_b32 exec_lo, exec_lo, s4
	v_and_b32_e32 v40, 0x7fffffff, v31
	v_xor_b32_e32 v39, 0x80000000, v31
	s_mov_b32 s4, exec_lo
	s_delay_alu instid0(VALU_DEP_2)
	v_cmpx_ne_u32_e32 0, v40
	s_xor_b32 s24, exec_lo, s4
	s_cbranch_execz .LBB248_423
; %bb.382:                              ;   in Loop: Header=BB248_217 Depth=1
	v_and_b32_e32 v41, 0x7fffffff, v30
	s_mov_b32 s4, exec_lo
	s_delay_alu instid0(VALU_DEP_1)
	v_cmpx_ne_u32_e32 0, v41
	s_xor_b32 s25, exec_lo, s4
	s_cbranch_execz .LBB248_412
; %bb.383:                              ;   in Loop: Header=BB248_217 Depth=1
	v_xor_b32_e32 v4, 0x80000000, v30
	s_mov_b32 s4, exec_lo
	v_cmpx_gt_u32_e32 0x7f800000, v40
	s_xor_b32 s26, exec_lo, s4
	s_cbranch_execz .LBB248_405
; %bb.384:                              ;   in Loop: Header=BB248_217 Depth=1
	v_add_nc_u32_e32 v4, 0xbd4e8de8, v4
	s_mov_b32 s4, exec_lo
	s_delay_alu instid0(VALU_DEP_1)
	v_cmpx_lt_u32_e32 0x8e8e5c, v4
	s_xor_b32 s27, exec_lo, s4
	s_cbranch_execz .LBB248_394
; %bb.385:                              ;   in Loop: Header=BB248_217 Depth=1
	v_cmp_ngt_f32_e64 s28, 0x48000000, |v31|
                                        ; implicit-def: $vgpr41
                                        ; implicit-def: $vgpr38
	s_and_saveexec_b32 s4, s28
	s_delay_alu instid0(SALU_CYCLE_1)
	s_xor_b32 s29, exec_lo, s4
	s_cbranch_execz .LBB248_387
; %bb.386:                              ;   in Loop: Header=BB248_217 Depth=1
	v_and_or_b32 v4, v40, s20, 0x800000
	v_dual_mov_b32 v53, v5 :: v_dual_lshrrev_b32 v38, 23, v40
	v_mov_b32_e32 v55, v5
	s_delay_alu instid0(VALU_DEP_3) | instskip(NEXT) | instid1(VALU_DEP_3)
	v_mul_u64_e32 v[42:43], s[16:17], v[4:5]
	v_dual_mov_b32 v45, v5 :: v_dual_add_nc_u32 v38, 0xffffff88, v38
	s_delay_alu instid0(VALU_DEP_1) | instskip(SKIP_1) | instid1(VALU_DEP_1)
	v_cmp_lt_u32_e32 vcc_lo, 63, v38
	v_cndmask_b32_e64 v41, 0, 0xffffffc0, vcc_lo
	v_add_nc_u32_e32 v38, v41, v38
	s_delay_alu instid0(VALU_DEP_1) | instskip(NEXT) | instid1(VALU_DEP_1)
	v_cmp_lt_u32_e64 s4, 31, v38
	v_cndmask_b32_e64 v41, 0, 0xffffffe0, s4
	v_mov_b32_e32 v44, v43
	s_delay_alu instid0(VALU_DEP_1) | instskip(NEXT) | instid1(VALU_DEP_1)
	v_mad_nc_u64_u32 v[44:45], 0x3c439041, v4, v[44:45]
	v_dual_mov_b32 v47, v5 :: v_dual_mov_b32 v46, v45
	s_delay_alu instid0(VALU_DEP_1) | instskip(NEXT) | instid1(VALU_DEP_1)
	v_mad_nc_u64_u32 v[46:47], 0xdb629599, v4, v[46:47]
	v_dual_mov_b32 v49, v5 :: v_dual_mov_b32 v48, v47
	;; [unrolled: 3-line block ×3, first 2 shown]
	s_delay_alu instid0(VALU_DEP_1) | instskip(NEXT) | instid1(VALU_DEP_1)
	v_mad_nc_u64_u32 v[50:51], 0xfc2757d1, v4, v[50:51]
	v_mov_b32_e32 v52, v51
	s_delay_alu instid0(VALU_DEP_1) | instskip(NEXT) | instid1(VALU_DEP_1)
	v_mad_nc_u64_u32 v[52:53], 0x4e441529, v4, v[52:53]
	v_mov_b32_e32 v54, v53
	s_delay_alu instid0(VALU_DEP_1) | instskip(NEXT) | instid1(VALU_DEP_3)
	v_mad_nc_u64_u32 v[54:55], 0xa2f9836e, v4, v[54:55]
	v_dual_cndmask_b32 v41, v52, v48 :: v_dual_add_nc_u32 v4, v41, v38
	s_delay_alu instid0(VALU_DEP_2) | instskip(NEXT) | instid1(VALU_DEP_2)
	v_cndmask_b32_e32 v45, v55, v52, vcc_lo
	v_cmp_lt_u32_e64 s5, 31, v4
	s_delay_alu instid0(VALU_DEP_4) | instskip(SKIP_1) | instid1(VALU_DEP_3)
	v_cndmask_b32_e32 v43, v54, v50, vcc_lo
	v_cndmask_b32_e32 v47, v50, v46, vcc_lo
	v_cndmask_b32_e64 v38, 0, 0xffffffe0, s5
	s_delay_alu instid0(VALU_DEP_1) | instskip(NEXT) | instid1(VALU_DEP_4)
	v_add_nc_u32_e32 v4, v38, v4
	v_dual_cndmask_b32 v38, v48, v44, vcc_lo :: v_dual_cndmask_b32 v44, v43, v41, s4
	v_cndmask_b32_e64 v43, v45, v43, s4
	s_delay_alu instid0(VALU_DEP_3) | instskip(NEXT) | instid1(VALU_DEP_3)
	v_dual_cndmask_b32 v41, v41, v47, s4 :: v_dual_sub_nc_u32 v45, 32, v4
	v_cndmask_b32_e64 v47, v47, v38, s4
	s_delay_alu instid0(VALU_DEP_2) | instskip(NEXT) | instid1(VALU_DEP_2)
	v_dual_cndmask_b32 v43, v43, v44, s5 :: v_dual_cndmask_b32 v44, v44, v41, s5
	v_cndmask_b32_e64 v41, v41, v47, s5
	s_delay_alu instid0(VALU_DEP_2) | instskip(SKIP_2) | instid1(VALU_DEP_4)
	v_alignbit_b32 v48, v43, v44, v45
	v_cndmask_b32_e32 v42, v46, v42, vcc_lo
	v_cmp_eq_u32_e32 vcc_lo, 0, v4
	v_alignbit_b32 v46, v44, v41, v45
	s_delay_alu instid0(VALU_DEP_4) | instskip(NEXT) | instid1(VALU_DEP_1)
	v_cndmask_b32_e32 v4, v48, v43, vcc_lo
	v_bfe_u32 v43, v4, 29, 1
	v_cndmask_b32_e64 v38, v38, v42, s4
	s_delay_alu instid0(VALU_DEP_2) | instskip(NEXT) | instid1(VALU_DEP_2)
	v_dual_cndmask_b32 v42, v46, v44, vcc_lo :: v_dual_sub_nc_u32 v46, 0, v43
	v_cndmask_b32_e64 v38, v47, v38, s5
	s_delay_alu instid0(VALU_DEP_2) | instskip(NEXT) | instid1(VALU_DEP_2)
	v_alignbit_b32 v44, v4, v42, 30
	v_alignbit_b32 v45, v41, v38, v45
	s_delay_alu instid0(VALU_DEP_1) | instskip(NEXT) | instid1(VALU_DEP_1)
	v_dual_cndmask_b32 v41, v45, v41, vcc_lo :: v_dual_bitop2_b32 v44, v44, v46 bitop3:0x14
	v_clz_i32_u32_e32 v45, v44
	s_delay_alu instid0(VALU_DEP_2) | instskip(NEXT) | instid1(VALU_DEP_2)
	v_alignbit_b32 v42, v42, v41, 30
	v_min_u32_e32 v45, 32, v45
	v_alignbit_b32 v38, v41, v38, 30
	s_delay_alu instid0(VALU_DEP_2) | instskip(NEXT) | instid1(VALU_DEP_2)
	v_dual_sub_nc_u32 v42, 31, v45 :: v_dual_bitop2_b32 v41, v42, v46 bitop3:0x14
	v_dual_lshrrev_b32 v46, 29, v4 :: v_dual_bitop2_b32 v38, v38, v46 bitop3:0x14
	v_dual_lshlrev_b32 v47, 23, v45 :: v_dual_lshrrev_b32 v4, 30, v4
	s_delay_alu instid0(VALU_DEP_3) | instskip(NEXT) | instid1(VALU_DEP_3)
	v_alignbit_b32 v44, v44, v41, v42
	v_alignbit_b32 v38, v41, v38, v42
	s_delay_alu instid0(VALU_DEP_4) | instskip(NEXT) | instid1(VALU_DEP_2)
	v_lshlrev_b32_e32 v41, 31, v46
	v_alignbit_b32 v42, v44, v38, 9
	s_delay_alu instid0(VALU_DEP_2) | instskip(SKIP_1) | instid1(VALU_DEP_3)
	v_dual_lshrrev_b32 v44, 9, v44 :: v_dual_bitop2_b32 v46, 0.5, v41 bitop3:0x54
	v_or_b32_e32 v41, 0x33000000, v41
	v_clz_i32_u32_e32 v48, v42
	s_delay_alu instid0(VALU_DEP_3) | instskip(NEXT) | instid1(VALU_DEP_2)
	v_sub_nc_u32_e32 v46, v46, v47
	v_min_u32_e32 v47, 32, v48
	s_delay_alu instid0(VALU_DEP_1) | instskip(NEXT) | instid1(VALU_DEP_1)
	v_add_lshl_u32 v45, v47, v45, 23
	v_dual_sub_nc_u32 v41, v41, v45 :: v_dual_bitop2_b32 v44, v44, v46 bitop3:0x54
	v_not_b32_e32 v46, v47
	s_delay_alu instid0(VALU_DEP_2) | instskip(NEXT) | instid1(VALU_DEP_2)
	v_mul_f32_e32 v48, 0x3fc90fda, v44
	v_alignbit_b32 v38, v42, v38, v46
	s_delay_alu instid0(VALU_DEP_2) | instskip(NEXT) | instid1(VALU_DEP_2)
	v_fma_f32 v42, 0x3fc90fda, v44, -v48
	v_lshrrev_b32_e32 v38, 9, v38
	s_delay_alu instid0(VALU_DEP_2) | instskip(NEXT) | instid1(VALU_DEP_2)
	v_fmac_f32_e32 v42, 0x33a22168, v44
	v_dual_add_nc_u32 v41, v43, v4 :: v_dual_bitop2_b32 v38, v41, v38 bitop3:0x54
	s_delay_alu instid0(VALU_DEP_1) | instskip(NEXT) | instid1(VALU_DEP_1)
	v_fmac_f32_e32 v42, 0x3fc90fda, v38
	v_add_f32_e32 v38, v48, v42
	s_and_not1_saveexec_b32 s4, s29
	s_branch .LBB248_388
.LBB248_387:                            ;   in Loop: Header=BB248_217 Depth=1
	s_and_not1_saveexec_b32 s4, s29
.LBB248_388:                            ;   in Loop: Header=BB248_217 Depth=1
	v_mul_f32_e64 v4, 0x3f22f983, |v31|
	s_delay_alu instid0(VALU_DEP_1) | instskip(NEXT) | instid1(VALU_DEP_1)
	v_rndne_f32_e32 v4, v4
	v_fma_f32 v38, 0xbfc90fda, v4, |v31|
	v_cvt_i32_f32_e32 v41, v4
	s_delay_alu instid0(VALU_DEP_2) | instskip(NEXT) | instid1(VALU_DEP_1)
	v_fmac_f32_e32 v38, 0xb3a22168, v4
	v_fmac_f32_e32 v38, 0xa7c234c4, v4
; %bb.389:                              ;   in Loop: Header=BB248_217 Depth=1
	s_or_b32 exec_lo, exec_lo, s4
                                        ; implicit-def: $vgpr42
                                        ; implicit-def: $vgpr4
	s_and_saveexec_b32 s4, s28
	s_delay_alu instid0(SALU_CYCLE_1)
	s_xor_b32 s28, exec_lo, s4
	s_cbranch_execz .LBB248_391
; %bb.390:                              ;   in Loop: Header=BB248_217 Depth=1
	v_and_or_b32 v4, v40, s20, 0x800000
	v_mov_b32_e32 v53, v5
	s_delay_alu instid0(VALU_DEP_2) | instskip(NEXT) | instid1(VALU_DEP_1)
	v_mul_u64_e32 v[42:43], s[16:17], v[4:5]
	v_dual_mov_b32 v45, v5 :: v_dual_mov_b32 v44, v43
	v_lshrrev_b32_e32 v43, 23, v40
	s_delay_alu instid0(VALU_DEP_2) | instskip(SKIP_1) | instid1(VALU_DEP_3)
	v_mad_nc_u64_u32 v[44:45], 0x3c439041, v4, v[44:45]
	v_mov_b32_e32 v47, v5
	v_add_nc_u32_e32 v43, 0xffffff88, v43
	s_delay_alu instid0(VALU_DEP_1) | instskip(NEXT) | instid1(VALU_DEP_4)
	v_cmp_lt_u32_e32 vcc_lo, 63, v43
	v_mov_b32_e32 v46, v45
	v_cndmask_b32_e64 v45, 0, 0xffffffc0, vcc_lo
	s_delay_alu instid0(VALU_DEP_2) | instskip(NEXT) | instid1(VALU_DEP_1)
	v_mad_nc_u64_u32 v[46:47], 0xdb629599, v4, v[46:47]
	v_dual_mov_b32 v49, v5 :: v_dual_mov_b32 v48, v47
	s_delay_alu instid0(VALU_DEP_2) | instskip(NEXT) | instid1(VALU_DEP_2)
	v_cndmask_b32_e32 v42, v46, v42, vcc_lo
	v_mad_nc_u64_u32 v[48:49], 0xf534ddc0, v4, v[48:49]
	s_delay_alu instid0(VALU_DEP_1) | instskip(NEXT) | instid1(VALU_DEP_1)
	v_dual_mov_b32 v51, v5 :: v_dual_mov_b32 v50, v49
	v_mad_nc_u64_u32 v[50:51], 0xfc2757d1, v4, v[50:51]
	s_delay_alu instid0(VALU_DEP_1) | instskip(NEXT) | instid1(VALU_DEP_1)
	v_mov_b32_e32 v52, v51
	v_mad_nc_u64_u32 v[52:53], 0x4e441529, v4, v[52:53]
	v_add_nc_u32_e32 v43, v45, v43
	v_mov_b32_e32 v55, v5
	s_delay_alu instid0(VALU_DEP_2) | instskip(NEXT) | instid1(VALU_DEP_4)
	v_cmp_lt_u32_e64 s4, 31, v43
	v_mov_b32_e32 v54, v53
	s_delay_alu instid0(VALU_DEP_2) | instskip(NEXT) | instid1(VALU_DEP_2)
	v_cndmask_b32_e64 v45, 0, 0xffffffe0, s4
	v_mad_nc_u64_u32 v[54:55], 0xa2f9836e, v4, v[54:55]
	s_delay_alu instid0(VALU_DEP_2) | instskip(NEXT) | instid1(VALU_DEP_2)
	v_dual_cndmask_b32 v45, v52, v48 :: v_dual_add_nc_u32 v4, v45, v43
	v_cndmask_b32_e32 v47, v54, v50, vcc_lo
	s_delay_alu instid0(VALU_DEP_2) | instskip(NEXT) | instid1(VALU_DEP_4)
	v_cmp_lt_u32_e64 s5, 31, v4
	v_dual_cndmask_b32 v49, v55, v52 :: v_dual_cndmask_b32 v50, v50, v46
	s_delay_alu instid0(VALU_DEP_2) | instskip(NEXT) | instid1(VALU_DEP_1)
	v_cndmask_b32_e64 v43, 0, 0xffffffe0, s5
	v_add_nc_u32_e32 v4, v43, v4
	v_dual_cndmask_b32 v43, v48, v44, vcc_lo :: v_dual_cndmask_b32 v44, v47, v45, s4
	s_delay_alu instid0(VALU_DEP_4) | instskip(NEXT) | instid1(VALU_DEP_3)
	v_cndmask_b32_e64 v47, v49, v47, s4
	v_dual_cndmask_b32 v45, v45, v50, s4 :: v_dual_sub_nc_u32 v48, 32, v4
	s_delay_alu instid0(VALU_DEP_3) | instskip(SKIP_1) | instid1(VALU_DEP_3)
	v_cndmask_b32_e64 v49, v50, v43, s4
	v_cmp_eq_u32_e32 vcc_lo, 0, v4
	v_dual_cndmask_b32 v47, v47, v44, s5 :: v_dual_cndmask_b32 v44, v44, v45, s5
	s_delay_alu instid0(VALU_DEP_1) | instskip(NEXT) | instid1(VALU_DEP_1)
	v_alignbit_b32 v50, v47, v44, v48
	v_dual_cndmask_b32 v45, v45, v49, s5 :: v_dual_cndmask_b32 v4, v50, v47, vcc_lo
	s_delay_alu instid0(VALU_DEP_1) | instskip(NEXT) | instid1(VALU_DEP_1)
	v_alignbit_b32 v46, v44, v45, v48
	v_dual_cndmask_b32 v42, v43, v42, s4 :: v_dual_cndmask_b32 v43, v46, v44, vcc_lo
	s_delay_alu instid0(VALU_DEP_3) | instskip(NEXT) | instid1(VALU_DEP_2)
	v_bfe_u32 v44, v4, 29, 1
	v_cndmask_b32_e64 v42, v49, v42, s5
	s_delay_alu instid0(VALU_DEP_3) | instskip(NEXT) | instid1(VALU_DEP_3)
	v_alignbit_b32 v46, v4, v43, 30
	v_sub_nc_u32_e32 v47, 0, v44
	s_delay_alu instid0(VALU_DEP_3) | instskip(NEXT) | instid1(VALU_DEP_1)
	v_alignbit_b32 v48, v45, v42, v48
	v_dual_cndmask_b32 v45, v48, v45, vcc_lo :: v_dual_bitop2_b32 v46, v46, v47 bitop3:0x14
	s_delay_alu instid0(VALU_DEP_1) | instskip(NEXT) | instid1(VALU_DEP_2)
	v_clz_i32_u32_e32 v48, v46
	v_alignbit_b32 v43, v43, v45, 30
	v_alignbit_b32 v42, v45, v42, 30
	s_delay_alu instid0(VALU_DEP_3) | instskip(NEXT) | instid1(VALU_DEP_3)
	v_min_u32_e32 v48, 32, v48
	v_xor_b32_e32 v43, v43, v47
	s_delay_alu instid0(VALU_DEP_3) | instskip(NEXT) | instid1(VALU_DEP_3)
	v_dual_lshrrev_b32 v47, 29, v4 :: v_dual_bitop2_b32 v42, v42, v47 bitop3:0x14
	v_dual_sub_nc_u32 v45, 31, v48 :: v_dual_lshlrev_b32 v49, 23, v48
	s_delay_alu instid0(VALU_DEP_1) | instskip(NEXT) | instid1(VALU_DEP_3)
	v_alignbit_b32 v46, v46, v43, v45
	v_alignbit_b32 v42, v43, v42, v45
	s_delay_alu instid0(VALU_DEP_4) | instskip(NEXT) | instid1(VALU_DEP_2)
	v_lshlrev_b32_e32 v43, 31, v47
	v_alignbit_b32 v45, v46, v42, 9
	s_delay_alu instid0(VALU_DEP_2) | instskip(SKIP_1) | instid1(VALU_DEP_3)
	v_dual_lshrrev_b32 v46, 9, v46 :: v_dual_bitop2_b32 v47, 0.5, v43 bitop3:0x54
	v_or_b32_e32 v43, 0x33000000, v43
	v_clz_i32_u32_e32 v50, v45
	s_delay_alu instid0(VALU_DEP_3) | instskip(NEXT) | instid1(VALU_DEP_2)
	v_sub_nc_u32_e32 v47, v47, v49
	v_min_u32_e32 v49, 32, v50
	s_delay_alu instid0(VALU_DEP_1) | instskip(NEXT) | instid1(VALU_DEP_3)
	v_add_lshl_u32 v48, v49, v48, 23
	v_or_b32_e32 v46, v46, v47
	v_not_b32_e32 v47, v49
	s_delay_alu instid0(VALU_DEP_2) | instskip(NEXT) | instid1(VALU_DEP_2)
	v_dual_mul_f32 v50, 0x3fc90fda, v46 :: v_dual_sub_nc_u32 v43, v43, v48
	v_alignbit_b32 v42, v45, v42, v47
	s_delay_alu instid0(VALU_DEP_2) | instskip(NEXT) | instid1(VALU_DEP_2)
	v_fma_f32 v45, 0x3fc90fda, v46, -v50
	v_lshrrev_b32_e32 v42, 9, v42
	s_delay_alu instid0(VALU_DEP_2) | instskip(NEXT) | instid1(VALU_DEP_2)
	v_fmac_f32_e32 v45, 0x33a22168, v46
	v_or_b32_e32 v42, v43, v42
	s_delay_alu instid0(VALU_DEP_1) | instskip(NEXT) | instid1(VALU_DEP_1)
	v_dual_fmac_f32 v45, 0x3fc90fda, v42 :: v_dual_lshrrev_b32 v42, 30, v4
	v_dual_add_nc_u32 v42, v44, v42 :: v_dual_add_f32 v4, v50, v45
	s_and_not1_saveexec_b32 s4, s28
	s_cbranch_execnz .LBB248_392
	s_branch .LBB248_393
.LBB248_391:                            ;   in Loop: Header=BB248_217 Depth=1
	s_and_not1_saveexec_b32 s4, s28
.LBB248_392:                            ;   in Loop: Header=BB248_217 Depth=1
	v_mul_f32_e64 v4, 0x3f22f983, |v31|
	s_delay_alu instid0(VALU_DEP_1) | instskip(NEXT) | instid1(VALU_DEP_1)
	v_rndne_f32_e32 v42, v4
	v_fma_f32 v4, 0xbfc90fda, v42, |v31|
	s_delay_alu instid0(VALU_DEP_1) | instskip(NEXT) | instid1(VALU_DEP_1)
	v_fmac_f32_e32 v4, 0xb3a22168, v42
	v_fmac_f32_e32 v4, 0xa7c234c4, v42
	v_cvt_i32_f32_e32 v42, v42
.LBB248_393:                            ;   in Loop: Header=BB248_217 Depth=1
	s_or_b32 exec_lo, exec_lo, s4
	s_delay_alu instid0(VALU_DEP_1) | instskip(SKIP_2) | instid1(VALU_DEP_3)
	v_dual_mul_f32 v43, 0xbfb8aa3b, v30 :: v_dual_mul_f32 v46, v4, v4
	v_dual_mul_f32 v44, v38, v38 :: v_dual_bitop2_b32 v45, 1, v41 bitop3:0x40
	v_cmp_ngt_f32_e64 s4, 0xc2b17218, v30
	v_rndne_f32_e32 v47, v43
	s_delay_alu instid0(VALU_DEP_4) | instskip(NEXT) | instid1(VALU_DEP_4)
	v_fmaak_f32 v51, s21, v46, 0x3c0881c4
	v_fmaak_f32 v50, s22, v44, 0xbab64f3b
	v_fma_f32 v48, 0xbfb8aa3b, v30, -v43
	v_cmp_eq_u32_e32 vcc_lo, 0, v45
	v_sub_f32_e32 v43, v43, v47
	v_fmaak_f32 v51, v46, v51, 0xbe2aaa9d
	v_fmaak_f32 v50, v44, v50, 0x3d2aabf7
	v_cvt_i32_f32_e32 v47, v47
	s_delay_alu instid0(VALU_DEP_3) | instskip(SKIP_1) | instid1(VALU_DEP_4)
	v_dual_lshlrev_b32 v41, 30, v41 :: v_dual_mul_f32 v51, v46, v51
	v_fmaak_f32 v49, s21, v44, 0x3c0881c4
	v_fmaak_f32 v50, v44, v50, 0xbf000004
	s_delay_alu instid0(VALU_DEP_3) | instskip(NEXT) | instid1(VALU_DEP_3)
	v_fmac_f32_e32 v4, v4, v51
	v_fmaak_f32 v49, v44, v49, 0xbe2aaa9d
	s_delay_alu instid0(VALU_DEP_1) | instskip(NEXT) | instid1(VALU_DEP_1)
	v_dual_fmac_f32 v48, 0xb2a5705f, v30 :: v_dual_mul_f32 v49, v44, v49
	v_dual_fmaak_f32 v52, s22, v46, 0xbab64f3b :: v_dual_add_f32 v43, v43, v48
	v_fma_f32 v44, v44, v50, 1.0
	s_delay_alu instid0(VALU_DEP_3) | instskip(NEXT) | instid1(VALU_DEP_3)
	v_fmac_f32_e32 v38, v38, v49
	v_fmaak_f32 v48, v46, v52, 0x3d2aabf7
	s_delay_alu instid0(VALU_DEP_4) | instskip(NEXT) | instid1(VALU_DEP_2)
	v_exp_f32_e32 v43, v43
	v_cndmask_b32_e64 v38, -v38, v44, vcc_lo
	s_delay_alu instid0(VALU_DEP_2) | instskip(NEXT) | instid1(TRANS32_DEP_1)
	v_fmaak_f32 v48, v46, v48, 0xbf000004
	v_ldexp_f32 v43, v43, v47
	v_and_b32_e32 v47, 1, v42
	s_delay_alu instid0(VALU_DEP_3) | instskip(SKIP_2) | instid1(VALU_DEP_4)
	v_fma_f32 v46, v46, v48, 1.0
	v_lshlrev_b32_e32 v42, 30, v42
	v_bitop3_b32 v38, v41, v38, 0x80000000 bitop3:0x6c
	v_cmp_eq_u32_e32 vcc_lo, 0, v47
	s_delay_alu instid0(VALU_DEP_3) | instskip(SKIP_2) | instid1(VALU_DEP_2)
	v_and_or_b32 v40, 0x80000000, v42, v40
	v_cndmask_b32_e32 v4, v46, v4, vcc_lo
	v_cmp_nlt_f32_e32 vcc_lo, 0x42ce8ed0, v30
	v_xor3_b32 v4, v40, v4, v39
	v_cndmask_b32_e32 v42, 0, v43, vcc_lo
	v_cmp_class_f32_e64 vcc_lo, v31, 0x1f8
                                        ; implicit-def: $vgpr40
	s_delay_alu instid0(VALU_DEP_2) | instskip(SKIP_2) | instid1(VALU_DEP_1)
	v_cndmask_b32_e64 v30, 0x7f800000, v42, s4
	v_cndmask_b32_e32 v31, 0x7fc00000, v38, vcc_lo
	v_cndmask_b32_e32 v4, 0x7fc00000, v4, vcc_lo
	v_dual_mul_f32 v38, v30, v31 :: v_dual_mul_f32 v39, v30, v4
                                        ; implicit-def: $vgpr31
.LBB248_394:                            ;   in Loop: Header=BB248_217 Depth=1
	s_and_not1_saveexec_b32 s27, s27
	s_cbranch_execz .LBB248_404
; %bb.395:                              ;   in Loop: Header=BB248_217 Depth=1
	v_cmp_ngt_f32_e64 s28, 0x48000000, |v31|
                                        ; implicit-def: $vgpr41
                                        ; implicit-def: $vgpr38
	s_and_saveexec_b32 s4, s28
	s_delay_alu instid0(SALU_CYCLE_1)
	s_xor_b32 s29, exec_lo, s4
	s_cbranch_execz .LBB248_397
; %bb.396:                              ;   in Loop: Header=BB248_217 Depth=1
	v_and_or_b32 v4, v40, s20, 0x800000
	v_dual_mov_b32 v53, v5 :: v_dual_lshrrev_b32 v38, 23, v40
	v_mov_b32_e32 v55, v5
	s_delay_alu instid0(VALU_DEP_3) | instskip(NEXT) | instid1(VALU_DEP_3)
	v_mul_u64_e32 v[42:43], s[16:17], v[4:5]
	v_dual_mov_b32 v45, v5 :: v_dual_add_nc_u32 v38, 0xffffff88, v38
	s_delay_alu instid0(VALU_DEP_1) | instskip(SKIP_1) | instid1(VALU_DEP_1)
	v_cmp_lt_u32_e32 vcc_lo, 63, v38
	v_cndmask_b32_e64 v41, 0, 0xffffffc0, vcc_lo
	v_add_nc_u32_e32 v38, v41, v38
	s_delay_alu instid0(VALU_DEP_1) | instskip(NEXT) | instid1(VALU_DEP_1)
	v_cmp_lt_u32_e64 s4, 31, v38
	v_cndmask_b32_e64 v41, 0, 0xffffffe0, s4
	v_mov_b32_e32 v44, v43
	s_delay_alu instid0(VALU_DEP_1) | instskip(NEXT) | instid1(VALU_DEP_1)
	v_mad_nc_u64_u32 v[44:45], 0x3c439041, v4, v[44:45]
	v_dual_mov_b32 v47, v5 :: v_dual_mov_b32 v46, v45
	s_delay_alu instid0(VALU_DEP_1) | instskip(NEXT) | instid1(VALU_DEP_1)
	v_mad_nc_u64_u32 v[46:47], 0xdb629599, v4, v[46:47]
	v_dual_mov_b32 v49, v5 :: v_dual_mov_b32 v48, v47
	;; [unrolled: 3-line block ×3, first 2 shown]
	s_delay_alu instid0(VALU_DEP_1) | instskip(NEXT) | instid1(VALU_DEP_1)
	v_mad_nc_u64_u32 v[50:51], 0xfc2757d1, v4, v[50:51]
	v_mov_b32_e32 v52, v51
	s_delay_alu instid0(VALU_DEP_1) | instskip(NEXT) | instid1(VALU_DEP_1)
	v_mad_nc_u64_u32 v[52:53], 0x4e441529, v4, v[52:53]
	v_mov_b32_e32 v54, v53
	s_delay_alu instid0(VALU_DEP_1) | instskip(NEXT) | instid1(VALU_DEP_3)
	v_mad_nc_u64_u32 v[54:55], 0xa2f9836e, v4, v[54:55]
	v_dual_cndmask_b32 v41, v52, v48 :: v_dual_add_nc_u32 v4, v41, v38
	s_delay_alu instid0(VALU_DEP_2) | instskip(NEXT) | instid1(VALU_DEP_2)
	v_cndmask_b32_e32 v45, v55, v52, vcc_lo
	v_cmp_lt_u32_e64 s5, 31, v4
	s_delay_alu instid0(VALU_DEP_4) | instskip(SKIP_1) | instid1(VALU_DEP_3)
	v_cndmask_b32_e32 v43, v54, v50, vcc_lo
	v_cndmask_b32_e32 v47, v50, v46, vcc_lo
	v_cndmask_b32_e64 v38, 0, 0xffffffe0, s5
	s_delay_alu instid0(VALU_DEP_1) | instskip(NEXT) | instid1(VALU_DEP_4)
	v_add_nc_u32_e32 v4, v38, v4
	v_dual_cndmask_b32 v38, v48, v44, vcc_lo :: v_dual_cndmask_b32 v44, v43, v41, s4
	v_cndmask_b32_e64 v43, v45, v43, s4
	s_delay_alu instid0(VALU_DEP_3) | instskip(NEXT) | instid1(VALU_DEP_3)
	v_dual_cndmask_b32 v41, v41, v47, s4 :: v_dual_sub_nc_u32 v45, 32, v4
	v_cndmask_b32_e64 v47, v47, v38, s4
	s_delay_alu instid0(VALU_DEP_2) | instskip(NEXT) | instid1(VALU_DEP_2)
	v_dual_cndmask_b32 v43, v43, v44, s5 :: v_dual_cndmask_b32 v44, v44, v41, s5
	v_cndmask_b32_e64 v41, v41, v47, s5
	s_delay_alu instid0(VALU_DEP_2) | instskip(SKIP_2) | instid1(VALU_DEP_4)
	v_alignbit_b32 v48, v43, v44, v45
	v_cndmask_b32_e32 v42, v46, v42, vcc_lo
	v_cmp_eq_u32_e32 vcc_lo, 0, v4
	v_alignbit_b32 v46, v44, v41, v45
	s_delay_alu instid0(VALU_DEP_4) | instskip(NEXT) | instid1(VALU_DEP_1)
	v_cndmask_b32_e32 v4, v48, v43, vcc_lo
	v_bfe_u32 v43, v4, 29, 1
	v_cndmask_b32_e64 v38, v38, v42, s4
	s_delay_alu instid0(VALU_DEP_2) | instskip(NEXT) | instid1(VALU_DEP_2)
	v_dual_cndmask_b32 v42, v46, v44, vcc_lo :: v_dual_sub_nc_u32 v46, 0, v43
	v_cndmask_b32_e64 v38, v47, v38, s5
	s_delay_alu instid0(VALU_DEP_2) | instskip(NEXT) | instid1(VALU_DEP_2)
	v_alignbit_b32 v44, v4, v42, 30
	v_alignbit_b32 v45, v41, v38, v45
	s_delay_alu instid0(VALU_DEP_1) | instskip(NEXT) | instid1(VALU_DEP_1)
	v_dual_cndmask_b32 v41, v45, v41, vcc_lo :: v_dual_bitop2_b32 v44, v44, v46 bitop3:0x14
	v_clz_i32_u32_e32 v45, v44
	s_delay_alu instid0(VALU_DEP_2) | instskip(NEXT) | instid1(VALU_DEP_2)
	v_alignbit_b32 v42, v42, v41, 30
	v_min_u32_e32 v45, 32, v45
	v_alignbit_b32 v38, v41, v38, 30
	s_delay_alu instid0(VALU_DEP_2) | instskip(NEXT) | instid1(VALU_DEP_2)
	v_dual_sub_nc_u32 v42, 31, v45 :: v_dual_bitop2_b32 v41, v42, v46 bitop3:0x14
	v_dual_lshrrev_b32 v46, 29, v4 :: v_dual_bitop2_b32 v38, v38, v46 bitop3:0x14
	v_dual_lshlrev_b32 v47, 23, v45 :: v_dual_lshrrev_b32 v4, 30, v4
	s_delay_alu instid0(VALU_DEP_3) | instskip(NEXT) | instid1(VALU_DEP_3)
	v_alignbit_b32 v44, v44, v41, v42
	v_alignbit_b32 v38, v41, v38, v42
	s_delay_alu instid0(VALU_DEP_4) | instskip(NEXT) | instid1(VALU_DEP_2)
	v_lshlrev_b32_e32 v41, 31, v46
	v_alignbit_b32 v42, v44, v38, 9
	s_delay_alu instid0(VALU_DEP_2) | instskip(SKIP_1) | instid1(VALU_DEP_3)
	v_dual_lshrrev_b32 v44, 9, v44 :: v_dual_bitop2_b32 v46, 0.5, v41 bitop3:0x54
	v_or_b32_e32 v41, 0x33000000, v41
	v_clz_i32_u32_e32 v48, v42
	s_delay_alu instid0(VALU_DEP_3) | instskip(NEXT) | instid1(VALU_DEP_2)
	v_sub_nc_u32_e32 v46, v46, v47
	v_min_u32_e32 v47, 32, v48
	s_delay_alu instid0(VALU_DEP_1) | instskip(NEXT) | instid1(VALU_DEP_1)
	v_add_lshl_u32 v45, v47, v45, 23
	v_dual_sub_nc_u32 v41, v41, v45 :: v_dual_bitop2_b32 v44, v44, v46 bitop3:0x54
	v_not_b32_e32 v46, v47
	s_delay_alu instid0(VALU_DEP_2) | instskip(NEXT) | instid1(VALU_DEP_2)
	v_mul_f32_e32 v48, 0x3fc90fda, v44
	v_alignbit_b32 v38, v42, v38, v46
	s_delay_alu instid0(VALU_DEP_2) | instskip(NEXT) | instid1(VALU_DEP_2)
	v_fma_f32 v42, 0x3fc90fda, v44, -v48
	v_lshrrev_b32_e32 v38, 9, v38
	s_delay_alu instid0(VALU_DEP_2) | instskip(NEXT) | instid1(VALU_DEP_2)
	v_fmac_f32_e32 v42, 0x33a22168, v44
	v_dual_add_nc_u32 v41, v43, v4 :: v_dual_bitop2_b32 v38, v41, v38 bitop3:0x54
	s_delay_alu instid0(VALU_DEP_1) | instskip(NEXT) | instid1(VALU_DEP_1)
	v_fmac_f32_e32 v42, 0x3fc90fda, v38
	v_add_f32_e32 v38, v48, v42
	s_and_not1_saveexec_b32 s4, s29
	s_branch .LBB248_398
.LBB248_397:                            ;   in Loop: Header=BB248_217 Depth=1
	s_and_not1_saveexec_b32 s4, s29
.LBB248_398:                            ;   in Loop: Header=BB248_217 Depth=1
	v_mul_f32_e64 v4, 0x3f22f983, |v31|
	s_delay_alu instid0(VALU_DEP_1) | instskip(NEXT) | instid1(VALU_DEP_1)
	v_rndne_f32_e32 v4, v4
	v_fma_f32 v38, 0xbfc90fda, v4, |v31|
	v_cvt_i32_f32_e32 v41, v4
	s_delay_alu instid0(VALU_DEP_2) | instskip(NEXT) | instid1(VALU_DEP_1)
	v_fmac_f32_e32 v38, 0xb3a22168, v4
	v_fmac_f32_e32 v38, 0xa7c234c4, v4
; %bb.399:                              ;   in Loop: Header=BB248_217 Depth=1
	s_or_b32 exec_lo, exec_lo, s4
                                        ; implicit-def: $vgpr42
                                        ; implicit-def: $vgpr4
	s_and_saveexec_b32 s4, s28
	s_delay_alu instid0(SALU_CYCLE_1)
	s_xor_b32 s28, exec_lo, s4
	s_cbranch_execz .LBB248_401
; %bb.400:                              ;   in Loop: Header=BB248_217 Depth=1
	v_and_or_b32 v4, v40, s20, 0x800000
	v_mov_b32_e32 v53, v5
	s_delay_alu instid0(VALU_DEP_2) | instskip(NEXT) | instid1(VALU_DEP_1)
	v_mul_u64_e32 v[42:43], s[16:17], v[4:5]
	v_dual_mov_b32 v45, v5 :: v_dual_mov_b32 v44, v43
	v_lshrrev_b32_e32 v43, 23, v40
	s_delay_alu instid0(VALU_DEP_2) | instskip(SKIP_1) | instid1(VALU_DEP_3)
	v_mad_nc_u64_u32 v[44:45], 0x3c439041, v4, v[44:45]
	v_mov_b32_e32 v47, v5
	v_add_nc_u32_e32 v43, 0xffffff88, v43
	s_delay_alu instid0(VALU_DEP_1) | instskip(NEXT) | instid1(VALU_DEP_4)
	v_cmp_lt_u32_e32 vcc_lo, 63, v43
	v_mov_b32_e32 v46, v45
	v_cndmask_b32_e64 v45, 0, 0xffffffc0, vcc_lo
	s_delay_alu instid0(VALU_DEP_2) | instskip(NEXT) | instid1(VALU_DEP_1)
	v_mad_nc_u64_u32 v[46:47], 0xdb629599, v4, v[46:47]
	v_dual_mov_b32 v49, v5 :: v_dual_mov_b32 v48, v47
	s_delay_alu instid0(VALU_DEP_2) | instskip(NEXT) | instid1(VALU_DEP_2)
	v_cndmask_b32_e32 v42, v46, v42, vcc_lo
	v_mad_nc_u64_u32 v[48:49], 0xf534ddc0, v4, v[48:49]
	s_delay_alu instid0(VALU_DEP_1) | instskip(NEXT) | instid1(VALU_DEP_1)
	v_dual_mov_b32 v51, v5 :: v_dual_mov_b32 v50, v49
	v_mad_nc_u64_u32 v[50:51], 0xfc2757d1, v4, v[50:51]
	s_delay_alu instid0(VALU_DEP_1) | instskip(NEXT) | instid1(VALU_DEP_1)
	v_mov_b32_e32 v52, v51
	v_mad_nc_u64_u32 v[52:53], 0x4e441529, v4, v[52:53]
	v_add_nc_u32_e32 v43, v45, v43
	v_mov_b32_e32 v55, v5
	s_delay_alu instid0(VALU_DEP_2) | instskip(NEXT) | instid1(VALU_DEP_4)
	v_cmp_lt_u32_e64 s4, 31, v43
	v_mov_b32_e32 v54, v53
	s_delay_alu instid0(VALU_DEP_2) | instskip(NEXT) | instid1(VALU_DEP_2)
	v_cndmask_b32_e64 v45, 0, 0xffffffe0, s4
	v_mad_nc_u64_u32 v[54:55], 0xa2f9836e, v4, v[54:55]
	s_delay_alu instid0(VALU_DEP_2) | instskip(NEXT) | instid1(VALU_DEP_2)
	v_dual_cndmask_b32 v45, v52, v48 :: v_dual_add_nc_u32 v4, v45, v43
	v_cndmask_b32_e32 v47, v54, v50, vcc_lo
	s_delay_alu instid0(VALU_DEP_2) | instskip(NEXT) | instid1(VALU_DEP_4)
	v_cmp_lt_u32_e64 s5, 31, v4
	v_dual_cndmask_b32 v49, v55, v52 :: v_dual_cndmask_b32 v50, v50, v46
	s_delay_alu instid0(VALU_DEP_2) | instskip(NEXT) | instid1(VALU_DEP_1)
	v_cndmask_b32_e64 v43, 0, 0xffffffe0, s5
	v_add_nc_u32_e32 v4, v43, v4
	v_dual_cndmask_b32 v43, v48, v44, vcc_lo :: v_dual_cndmask_b32 v44, v47, v45, s4
	s_delay_alu instid0(VALU_DEP_4) | instskip(NEXT) | instid1(VALU_DEP_3)
	v_cndmask_b32_e64 v47, v49, v47, s4
	v_dual_cndmask_b32 v45, v45, v50, s4 :: v_dual_sub_nc_u32 v48, 32, v4
	s_delay_alu instid0(VALU_DEP_3) | instskip(SKIP_1) | instid1(VALU_DEP_3)
	v_cndmask_b32_e64 v49, v50, v43, s4
	v_cmp_eq_u32_e32 vcc_lo, 0, v4
	v_dual_cndmask_b32 v47, v47, v44, s5 :: v_dual_cndmask_b32 v44, v44, v45, s5
	s_delay_alu instid0(VALU_DEP_1) | instskip(NEXT) | instid1(VALU_DEP_1)
	v_alignbit_b32 v50, v47, v44, v48
	v_dual_cndmask_b32 v45, v45, v49, s5 :: v_dual_cndmask_b32 v4, v50, v47, vcc_lo
	s_delay_alu instid0(VALU_DEP_1) | instskip(NEXT) | instid1(VALU_DEP_1)
	v_alignbit_b32 v46, v44, v45, v48
	v_dual_cndmask_b32 v42, v43, v42, s4 :: v_dual_cndmask_b32 v43, v46, v44, vcc_lo
	s_delay_alu instid0(VALU_DEP_3) | instskip(NEXT) | instid1(VALU_DEP_2)
	v_bfe_u32 v44, v4, 29, 1
	v_cndmask_b32_e64 v42, v49, v42, s5
	s_delay_alu instid0(VALU_DEP_3) | instskip(NEXT) | instid1(VALU_DEP_3)
	v_alignbit_b32 v46, v4, v43, 30
	v_sub_nc_u32_e32 v47, 0, v44
	s_delay_alu instid0(VALU_DEP_3) | instskip(NEXT) | instid1(VALU_DEP_1)
	v_alignbit_b32 v48, v45, v42, v48
	v_dual_cndmask_b32 v45, v48, v45, vcc_lo :: v_dual_bitop2_b32 v46, v46, v47 bitop3:0x14
	s_delay_alu instid0(VALU_DEP_1) | instskip(NEXT) | instid1(VALU_DEP_2)
	v_clz_i32_u32_e32 v48, v46
	v_alignbit_b32 v43, v43, v45, 30
	v_alignbit_b32 v42, v45, v42, 30
	s_delay_alu instid0(VALU_DEP_3) | instskip(NEXT) | instid1(VALU_DEP_3)
	v_min_u32_e32 v48, 32, v48
	v_xor_b32_e32 v43, v43, v47
	s_delay_alu instid0(VALU_DEP_3) | instskip(NEXT) | instid1(VALU_DEP_3)
	v_dual_lshrrev_b32 v47, 29, v4 :: v_dual_bitop2_b32 v42, v42, v47 bitop3:0x14
	v_dual_sub_nc_u32 v45, 31, v48 :: v_dual_lshlrev_b32 v49, 23, v48
	s_delay_alu instid0(VALU_DEP_1) | instskip(NEXT) | instid1(VALU_DEP_3)
	v_alignbit_b32 v46, v46, v43, v45
	v_alignbit_b32 v42, v43, v42, v45
	s_delay_alu instid0(VALU_DEP_4) | instskip(NEXT) | instid1(VALU_DEP_2)
	v_lshlrev_b32_e32 v43, 31, v47
	v_alignbit_b32 v45, v46, v42, 9
	s_delay_alu instid0(VALU_DEP_2) | instskip(SKIP_1) | instid1(VALU_DEP_3)
	v_dual_lshrrev_b32 v46, 9, v46 :: v_dual_bitop2_b32 v47, 0.5, v43 bitop3:0x54
	v_or_b32_e32 v43, 0x33000000, v43
	v_clz_i32_u32_e32 v50, v45
	s_delay_alu instid0(VALU_DEP_3) | instskip(NEXT) | instid1(VALU_DEP_2)
	v_sub_nc_u32_e32 v47, v47, v49
	v_min_u32_e32 v49, 32, v50
	s_delay_alu instid0(VALU_DEP_1) | instskip(NEXT) | instid1(VALU_DEP_3)
	v_add_lshl_u32 v48, v49, v48, 23
	v_or_b32_e32 v46, v46, v47
	v_not_b32_e32 v47, v49
	s_delay_alu instid0(VALU_DEP_2) | instskip(NEXT) | instid1(VALU_DEP_2)
	v_dual_mul_f32 v50, 0x3fc90fda, v46 :: v_dual_sub_nc_u32 v43, v43, v48
	v_alignbit_b32 v42, v45, v42, v47
	s_delay_alu instid0(VALU_DEP_2) | instskip(NEXT) | instid1(VALU_DEP_2)
	v_fma_f32 v45, 0x3fc90fda, v46, -v50
	v_lshrrev_b32_e32 v42, 9, v42
	s_delay_alu instid0(VALU_DEP_2) | instskip(NEXT) | instid1(VALU_DEP_2)
	v_fmac_f32_e32 v45, 0x33a22168, v46
	v_or_b32_e32 v42, v43, v42
	s_delay_alu instid0(VALU_DEP_1) | instskip(NEXT) | instid1(VALU_DEP_1)
	v_dual_fmac_f32 v45, 0x3fc90fda, v42 :: v_dual_lshrrev_b32 v42, 30, v4
	v_dual_add_nc_u32 v42, v44, v42 :: v_dual_add_f32 v4, v50, v45
	s_and_not1_saveexec_b32 s4, s28
	s_cbranch_execnz .LBB248_402
	s_branch .LBB248_403
.LBB248_401:                            ;   in Loop: Header=BB248_217 Depth=1
	s_and_not1_saveexec_b32 s4, s28
.LBB248_402:                            ;   in Loop: Header=BB248_217 Depth=1
	v_mul_f32_e64 v4, 0x3f22f983, |v31|
	s_delay_alu instid0(VALU_DEP_1) | instskip(NEXT) | instid1(VALU_DEP_1)
	v_rndne_f32_e32 v42, v4
	v_fma_f32 v4, 0xbfc90fda, v42, |v31|
	s_delay_alu instid0(VALU_DEP_1) | instskip(NEXT) | instid1(VALU_DEP_1)
	v_fmac_f32_e32 v4, 0xb3a22168, v42
	v_fmac_f32_e32 v4, 0xa7c234c4, v42
	v_cvt_i32_f32_e32 v42, v42
.LBB248_403:                            ;   in Loop: Header=BB248_217 Depth=1
	s_or_b32 exec_lo, exec_lo, s4
	v_sub_f32_e32 v30, 0xc322e3bc, v30
	s_delay_alu instid0(VALU_DEP_2) | instskip(SKIP_1) | instid1(VALU_DEP_3)
	v_dual_lshlrev_b32 v42, 30, v42 :: v_dual_bitop2_b32 v48, 1, v42 bitop3:0x40
	v_mul_f32_e32 v47, v4, v4
	v_mul_f32_e32 v43, 0x3fb8aa3b, v30
	s_delay_alu instid0(VALU_DEP_3) | instskip(NEXT) | instid1(VALU_DEP_3)
	v_and_or_b32 v40, 0x80000000, v42, v40
	v_fmaak_f32 v50, s21, v47, 0x3c0881c4
	s_delay_alu instid0(VALU_DEP_3) | instskip(SKIP_1) | instid1(VALU_DEP_1)
	v_fma_f32 v44, 0x3fb8aa3b, v30, -v43
	v_rndne_f32_e32 v45, v43
	v_dual_sub_f32 v43, v43, v45 :: v_dual_fmac_f32 v44, 0x32a5705f, v30
	v_cvt_i32_f32_e32 v45, v45
	v_cmp_ngt_f32_e32 vcc_lo, 0xc2ce8ed0, v30
	s_delay_alu instid0(VALU_DEP_3) | instskip(SKIP_1) | instid1(VALU_DEP_2)
	v_dual_add_f32 v43, v43, v44 :: v_dual_lshlrev_b32 v44, 30, v41
	v_and_b32_e32 v41, 1, v41
	v_exp_f32_e32 v43, v43
	v_nop
	s_delay_alu instid0(TRANS32_DEP_1) | instskip(NEXT) | instid1(VALU_DEP_1)
	v_ldexp_f32 v43, v43, v45
	v_dual_mul_f32 v46, v38, v38 :: v_dual_cndmask_b32 v43, 0, v43
	s_delay_alu instid0(VALU_DEP_1) | instskip(SKIP_1) | instid1(VALU_DEP_2)
	v_fmaak_f32 v49, s21, v46, 0x3c0881c4
	v_cmp_nlt_f32_e32 vcc_lo, 0x42b17218, v30
	v_dual_fmaak_f32 v30, v47, v50, 0xbe2aaa9d :: v_dual_fmaak_f32 v49, v46, v49, 0xbe2aaa9d
	s_delay_alu instid0(VALU_DEP_4) | instskip(SKIP_1) | instid1(VALU_DEP_3)
	v_cndmask_b32_e32 v42, 0x7f800000, v43, vcc_lo
	v_cmp_eq_u32_e32 vcc_lo, 0, v48
	v_dual_mul_f32 v30, v47, v30 :: v_dual_mul_f32 v49, v46, v49
	s_delay_alu instid0(VALU_DEP_3) | instskip(SKIP_1) | instid1(VALU_DEP_3)
	v_dual_fmaak_f32 v51, s22, v47, 0xbab64f3b :: v_dual_lshrrev_b32 v50, 23, v42
	v_fmaak_f32 v45, s22, v46, 0xbab64f3b
	v_dual_fmac_f32 v4, v4, v30 :: v_dual_fmac_f32 v38, v38, v49
	s_delay_alu instid0(VALU_DEP_3) | instskip(NEXT) | instid1(VALU_DEP_4)
	v_fmaak_f32 v43, v47, v51, 0x3d2aabf7
	v_subrev_nc_u32_e32 v50, 19, v50
	s_delay_alu instid0(VALU_DEP_4) | instskip(NEXT) | instid1(VALU_DEP_3)
	v_fmaak_f32 v45, v46, v45, 0x3d2aabf7
	v_fmaak_f32 v43, v47, v43, 0xbf000004
	s_delay_alu instid0(VALU_DEP_2) | instskip(NEXT) | instid1(VALU_DEP_2)
	v_fmaak_f32 v45, v46, v45, 0xbf000004
	v_fma_f32 v30, v47, v43, 1.0
	s_delay_alu instid0(VALU_DEP_2) | instskip(SKIP_1) | instid1(VALU_DEP_3)
	v_fma_f32 v43, v46, v45, 1.0
	v_lshrrev_b16 v45, 15, v50
	v_cndmask_b32_e32 v4, v30, v4, vcc_lo
	v_cmp_eq_u32_e32 vcc_lo, 0, v41
	s_delay_alu instid0(VALU_DEP_2) | instskip(SKIP_3) | instid1(VALU_DEP_3)
	v_xor3_b32 v4, v40, v4, v39
	v_cndmask_b32_e64 v30, -v38, v43, vcc_lo
	v_add_nc_u16 v38, v50, v45
	v_cmp_class_f32_e64 vcc_lo, v31, 0x1f8
	v_bitop3_b32 v30, v44, v30, 0x80000000 bitop3:0x6c
	s_delay_alu instid0(VALU_DEP_3) | instskip(SKIP_2) | instid1(VALU_DEP_4)
	v_ashrrev_i16 v38, 1, v38
	v_cndmask_b32_e32 v31, 0x7fc00000, v4, vcc_lo
	v_and_or_b32 v4, 0x7fffff, v42, s23
	v_cndmask_b32_e32 v30, 0x7fc00000, v30, vcc_lo
	s_delay_alu instid0(VALU_DEP_4) | instskip(NEXT) | instid1(VALU_DEP_2)
	v_bfe_i32 v38, v38, 0, 16
	v_pk_mul_f32 v[30:31], v[30:31], v[4:5] op_sel_hi:[1,0]
	s_delay_alu instid0(VALU_DEP_2) | instskip(SKIP_1) | instid1(VALU_DEP_2)
	v_sub_nc_u32_e32 v39, v50, v38
	v_lshl_add_u32 v4, v38, 23, 1.0
	v_lshl_add_u32 v38, v39, 23, 1.0
	s_delay_alu instid0(VALU_DEP_2) | instskip(NEXT) | instid1(VALU_DEP_1)
	v_pk_mul_f32 v[30:31], v[30:31], v[4:5] op_sel_hi:[1,0]
	v_pk_mul_f32 v[38:39], v[30:31], v[38:39] op_sel_hi:[1,0]
.LBB248_404:                            ;   in Loop: Header=BB248_217 Depth=1
	s_or_b32 exec_lo, exec_lo, s27
                                        ; implicit-def: $vgpr4
                                        ; implicit-def: $vgpr30
                                        ; implicit-def: $vgpr41
.LBB248_405:                            ;   in Loop: Header=BB248_217 Depth=1
	s_and_not1_saveexec_b32 s4, s26
	s_cbranch_execz .LBB248_411
; %bb.406:                              ;   in Loop: Header=BB248_217 Depth=1
	s_mov_b32 s5, exec_lo
                                        ; implicit-def: $vgpr39
	v_cmpx_ne_u32_e32 0x7f800000, v41
	s_xor_b32 s5, exec_lo, s5
; %bb.407:                              ;   in Loop: Header=BB248_217 Depth=1
	v_sub_f32_e32 v39, v31, v31
                                        ; implicit-def: $vgpr4
                                        ; implicit-def: $vgpr30_vgpr31
	s_delay_alu instid0(VALU_DEP_1)
	v_mov_b32_e32 v38, v39
; %bb.408:                              ;   in Loop: Header=BB248_217 Depth=1
	s_and_not1_saveexec_b32 s5, s5
; %bb.409:                              ;   in Loop: Header=BB248_217 Depth=1
	v_pk_add_f32 v[38:39], v[30:31], v[30:31] neg_lo:[0,1] neg_hi:[0,1]
	v_cmp_lt_i32_e32 vcc_lo, -1, v4
	s_delay_alu instid0(VALU_DEP_2)
	v_dual_cndmask_b32 v38, 0, -v30, vcc_lo :: v_dual_cndmask_b32 v39, 0, v39, vcc_lo
; %bb.410:                              ;   in Loop: Header=BB248_217 Depth=1
	s_or_b32 exec_lo, exec_lo, s5
.LBB248_411:                            ;   in Loop: Header=BB248_217 Depth=1
	s_delay_alu instid0(SALU_CYCLE_1)
	s_or_b32 exec_lo, exec_lo, s4
                                        ; implicit-def: $vgpr31
                                        ; implicit-def: $vgpr40
.LBB248_412:                            ;   in Loop: Header=BB248_217 Depth=1
	s_and_not1_saveexec_b32 s25, s25
	s_cbranch_execz .LBB248_422
; %bb.413:                              ;   in Loop: Header=BB248_217 Depth=1
	v_cmp_ngt_f32_e64 s26, 0x48000000, |v31|
                                        ; implicit-def: $vgpr38
                                        ; implicit-def: $vgpr30
	s_and_saveexec_b32 s4, s26
	s_delay_alu instid0(SALU_CYCLE_1)
	s_xor_b32 s27, exec_lo, s4
	s_cbranch_execz .LBB248_415
; %bb.414:                              ;   in Loop: Header=BB248_217 Depth=1
	v_and_or_b32 v4, v40, s20, 0x800000
	v_dual_mov_b32 v53, v5 :: v_dual_lshrrev_b32 v30, 23, v40
	v_mov_b32_e32 v55, v5
	s_delay_alu instid0(VALU_DEP_3) | instskip(NEXT) | instid1(VALU_DEP_3)
	v_mul_u64_e32 v[42:43], s[16:17], v[4:5]
	v_dual_mov_b32 v45, v5 :: v_dual_add_nc_u32 v30, 0xffffff88, v30
	s_delay_alu instid0(VALU_DEP_1) | instskip(SKIP_1) | instid1(VALU_DEP_1)
	v_cmp_lt_u32_e32 vcc_lo, 63, v30
	v_cndmask_b32_e64 v38, 0, 0xffffffc0, vcc_lo
	v_add_nc_u32_e32 v30, v38, v30
	s_delay_alu instid0(VALU_DEP_1) | instskip(NEXT) | instid1(VALU_DEP_1)
	v_cmp_lt_u32_e64 s4, 31, v30
	v_cndmask_b32_e64 v38, 0, 0xffffffe0, s4
	v_mov_b32_e32 v44, v43
	s_delay_alu instid0(VALU_DEP_1) | instskip(NEXT) | instid1(VALU_DEP_1)
	v_mad_nc_u64_u32 v[44:45], 0x3c439041, v4, v[44:45]
	v_dual_mov_b32 v47, v5 :: v_dual_mov_b32 v46, v45
	s_delay_alu instid0(VALU_DEP_1) | instskip(NEXT) | instid1(VALU_DEP_1)
	v_mad_nc_u64_u32 v[46:47], 0xdb629599, v4, v[46:47]
	v_dual_mov_b32 v49, v5 :: v_dual_mov_b32 v48, v47
	;; [unrolled: 3-line block ×3, first 2 shown]
	s_delay_alu instid0(VALU_DEP_1) | instskip(NEXT) | instid1(VALU_DEP_1)
	v_mad_nc_u64_u32 v[50:51], 0xfc2757d1, v4, v[50:51]
	v_dual_mov_b32 v52, v51 :: v_dual_cndmask_b32 v45, v50, v46
	s_delay_alu instid0(VALU_DEP_1) | instskip(NEXT) | instid1(VALU_DEP_1)
	v_mad_nc_u64_u32 v[52:53], 0x4e441529, v4, v[52:53]
	v_mov_b32_e32 v54, v53
	s_delay_alu instid0(VALU_DEP_1) | instskip(NEXT) | instid1(VALU_DEP_3)
	v_mad_nc_u64_u32 v[54:55], 0xa2f9836e, v4, v[54:55]
	v_dual_add_nc_u32 v4, v38, v30 :: v_dual_cndmask_b32 v38, v52, v48, vcc_lo
	s_delay_alu instid0(VALU_DEP_1) | instskip(NEXT) | instid1(VALU_DEP_1)
	v_cmp_lt_u32_e64 s5, 31, v4
	v_cndmask_b32_e64 v30, 0, 0xffffffe0, s5
	s_delay_alu instid0(VALU_DEP_4) | instskip(NEXT) | instid1(VALU_DEP_2)
	v_dual_cndmask_b32 v41, v54, v50, vcc_lo :: v_dual_cndmask_b32 v43, v55, v52, vcc_lo
	v_add_nc_u32_e32 v4, v30, v4
	s_delay_alu instid0(VALU_DEP_2) | instskip(NEXT) | instid1(VALU_DEP_3)
	v_dual_cndmask_b32 v30, v48, v44, vcc_lo :: v_dual_cndmask_b32 v44, v41, v38, s4
	v_cndmask_b32_e64 v41, v43, v41, s4
	s_delay_alu instid0(VALU_DEP_3) | instskip(NEXT) | instid1(VALU_DEP_1)
	v_dual_cndmask_b32 v38, v38, v45, s4 :: v_dual_sub_nc_u32 v43, 32, v4
	v_dual_cndmask_b32 v41, v41, v44, s5 :: v_dual_cndmask_b32 v44, v44, v38, s5
	v_cndmask_b32_e32 v42, v46, v42, vcc_lo
	v_cmp_eq_u32_e32 vcc_lo, 0, v4
	s_delay_alu instid0(VALU_DEP_3) | instskip(SKIP_1) | instid1(VALU_DEP_2)
	v_alignbit_b32 v47, v41, v44, v43
	v_cndmask_b32_e64 v45, v45, v30, s4
	v_dual_cndmask_b32 v30, v30, v42, s4 :: v_dual_cndmask_b32 v4, v47, v41, vcc_lo
	s_delay_alu instid0(VALU_DEP_1) | instskip(NEXT) | instid1(VALU_DEP_2)
	v_dual_cndmask_b32 v38, v38, v45, s5 :: v_dual_cndmask_b32 v30, v45, v30, s5
	v_bfe_u32 v42, v4, 29, 1
	s_delay_alu instid0(VALU_DEP_2) | instskip(NEXT) | instid1(VALU_DEP_3)
	v_alignbit_b32 v46, v44, v38, v43
	v_alignbit_b32 v43, v38, v30, v43
	s_delay_alu instid0(VALU_DEP_2) | instskip(NEXT) | instid1(VALU_DEP_2)
	v_dual_sub_nc_u32 v45, 0, v42 :: v_dual_cndmask_b32 v41, v46, v44, vcc_lo
	v_cndmask_b32_e32 v38, v43, v38, vcc_lo
	s_delay_alu instid0(VALU_DEP_2) | instskip(NEXT) | instid1(VALU_DEP_2)
	v_alignbit_b32 v44, v4, v41, 30
	v_alignbit_b32 v41, v41, v38, 30
	;; [unrolled: 1-line block ×3, first 2 shown]
	s_delay_alu instid0(VALU_DEP_3) | instskip(NEXT) | instid1(VALU_DEP_2)
	v_xor_b32_e32 v44, v44, v45
	v_xor_b32_e32 v30, v30, v45
	s_delay_alu instid0(VALU_DEP_2) | instskip(NEXT) | instid1(VALU_DEP_1)
	v_clz_i32_u32_e32 v43, v44
	v_min_u32_e32 v43, 32, v43
	v_dual_lshrrev_b32 v45, 29, v4 :: v_dual_bitop2_b32 v38, v41, v45 bitop3:0x14
	s_delay_alu instid0(VALU_DEP_2) | instskip(SKIP_1) | instid1(VALU_DEP_2)
	v_dual_lshrrev_b32 v4, 30, v4 :: v_dual_sub_nc_u32 v41, 31, v43
	v_lshlrev_b32_e32 v46, 23, v43
	v_alignbit_b32 v44, v44, v38, v41
	v_alignbit_b32 v30, v38, v30, v41
	v_lshlrev_b32_e32 v38, 31, v45
	s_delay_alu instid0(VALU_DEP_2) | instskip(NEXT) | instid1(VALU_DEP_2)
	v_alignbit_b32 v41, v44, v30, 9
	v_dual_lshrrev_b32 v44, 9, v44 :: v_dual_bitop2_b32 v45, 0.5, v38 bitop3:0x54
	v_or_b32_e32 v38, 0x33000000, v38
	s_delay_alu instid0(VALU_DEP_3) | instskip(NEXT) | instid1(VALU_DEP_3)
	v_clz_i32_u32_e32 v47, v41
	v_sub_nc_u32_e32 v45, v45, v46
	s_delay_alu instid0(VALU_DEP_2) | instskip(NEXT) | instid1(VALU_DEP_1)
	v_min_u32_e32 v46, 32, v47
	v_add_lshl_u32 v43, v46, v43, 23
	s_delay_alu instid0(VALU_DEP_1) | instskip(SKIP_1) | instid1(VALU_DEP_1)
	v_dual_sub_nc_u32 v38, v38, v43 :: v_dual_bitop2_b32 v44, v44, v45 bitop3:0x54
	v_not_b32_e32 v45, v46
	v_alignbit_b32 v30, v41, v30, v45
	s_delay_alu instid0(VALU_DEP_1) | instskip(NEXT) | instid1(VALU_DEP_1)
	v_dual_mul_f32 v47, 0x3fc90fda, v44 :: v_dual_lshrrev_b32 v30, 9, v30
	v_or_b32_e32 v30, v38, v30
	s_delay_alu instid0(VALU_DEP_2) | instskip(SKIP_1) | instid1(VALU_DEP_2)
	v_fma_f32 v41, 0x3fc90fda, v44, -v47
	v_add_nc_u32_e32 v38, v42, v4
	v_fmac_f32_e32 v41, 0x33a22168, v44
	s_delay_alu instid0(VALU_DEP_1) | instskip(NEXT) | instid1(VALU_DEP_1)
	v_fmac_f32_e32 v41, 0x3fc90fda, v30
	v_add_f32_e32 v30, v47, v41
	s_and_not1_saveexec_b32 s4, s27
	s_branch .LBB248_416
.LBB248_415:                            ;   in Loop: Header=BB248_217 Depth=1
	s_and_not1_saveexec_b32 s4, s27
.LBB248_416:                            ;   in Loop: Header=BB248_217 Depth=1
	v_mul_f32_e64 v4, 0x3f22f983, |v31|
	s_delay_alu instid0(VALU_DEP_1) | instskip(NEXT) | instid1(VALU_DEP_1)
	v_rndne_f32_e32 v4, v4
	v_fma_f32 v30, 0xbfc90fda, v4, |v31|
	v_cvt_i32_f32_e32 v38, v4
	s_delay_alu instid0(VALU_DEP_2) | instskip(NEXT) | instid1(VALU_DEP_1)
	v_fmac_f32_e32 v30, 0xb3a22168, v4
	v_fmac_f32_e32 v30, 0xa7c234c4, v4
; %bb.417:                              ;   in Loop: Header=BB248_217 Depth=1
	s_or_b32 exec_lo, exec_lo, s4
                                        ; implicit-def: $vgpr41
                                        ; implicit-def: $vgpr4
	s_and_saveexec_b32 s4, s26
	s_delay_alu instid0(SALU_CYCLE_1)
	s_xor_b32 s26, exec_lo, s4
	s_cbranch_execz .LBB248_419
; %bb.418:                              ;   in Loop: Header=BB248_217 Depth=1
	v_and_or_b32 v4, v40, s20, 0x800000
	v_dual_lshrrev_b32 v41, 23, v40 :: v_dual_mov_b32 v53, v5
	v_mov_b32_e32 v55, v5
	s_delay_alu instid0(VALU_DEP_3) | instskip(SKIP_1) | instid1(VALU_DEP_4)
	v_mul_u64_e32 v[42:43], s[16:17], v[4:5]
	v_mov_b32_e32 v45, v5
	v_add_nc_u32_e32 v41, 0xffffff88, v41
	s_delay_alu instid0(VALU_DEP_1) | instskip(NEXT) | instid1(VALU_DEP_4)
	v_cmp_lt_u32_e32 vcc_lo, 63, v41
	v_mov_b32_e32 v44, v43
	v_cndmask_b32_e64 v43, 0, 0xffffffc0, vcc_lo
	s_delay_alu instid0(VALU_DEP_2) | instskip(NEXT) | instid1(VALU_DEP_2)
	v_mad_nc_u64_u32 v[44:45], 0x3c439041, v4, v[44:45]
	v_dual_mov_b32 v47, v5 :: v_dual_add_nc_u32 v41, v43, v41
	s_delay_alu instid0(VALU_DEP_1) | instskip(NEXT) | instid1(VALU_DEP_3)
	v_cmp_lt_u32_e64 s4, 31, v41
	v_mov_b32_e32 v46, v45
	s_delay_alu instid0(VALU_DEP_2) | instskip(NEXT) | instid1(VALU_DEP_2)
	v_cndmask_b32_e64 v43, 0, 0xffffffe0, s4
	v_mad_nc_u64_u32 v[46:47], 0xdb629599, v4, v[46:47]
	s_delay_alu instid0(VALU_DEP_1) | instskip(NEXT) | instid1(VALU_DEP_2)
	v_dual_mov_b32 v49, v5 :: v_dual_mov_b32 v48, v47
	v_cndmask_b32_e32 v42, v46, v42, vcc_lo
	s_delay_alu instid0(VALU_DEP_2) | instskip(NEXT) | instid1(VALU_DEP_1)
	v_mad_nc_u64_u32 v[48:49], 0xf534ddc0, v4, v[48:49]
	v_dual_mov_b32 v51, v5 :: v_dual_mov_b32 v50, v49
	s_delay_alu instid0(VALU_DEP_1) | instskip(NEXT) | instid1(VALU_DEP_1)
	v_mad_nc_u64_u32 v[50:51], 0xfc2757d1, v4, v[50:51]
	v_dual_mov_b32 v52, v51 :: v_dual_cndmask_b32 v49, v50, v46
	s_delay_alu instid0(VALU_DEP_1) | instskip(NEXT) | instid1(VALU_DEP_1)
	v_mad_nc_u64_u32 v[52:53], 0x4e441529, v4, v[52:53]
	v_mov_b32_e32 v54, v53
	s_delay_alu instid0(VALU_DEP_1) | instskip(NEXT) | instid1(VALU_DEP_3)
	v_mad_nc_u64_u32 v[54:55], 0xa2f9836e, v4, v[54:55]
	v_dual_cndmask_b32 v43, v52, v48 :: v_dual_add_nc_u32 v4, v43, v41
	s_delay_alu instid0(VALU_DEP_1) | instskip(NEXT) | instid1(VALU_DEP_1)
	v_cmp_lt_u32_e64 s5, 31, v4
	v_cndmask_b32_e64 v41, 0, 0xffffffe0, s5
	s_delay_alu instid0(VALU_DEP_4) | instskip(NEXT) | instid1(VALU_DEP_2)
	v_dual_cndmask_b32 v45, v54, v50, vcc_lo :: v_dual_cndmask_b32 v47, v55, v52, vcc_lo
	v_add_nc_u32_e32 v4, v41, v4
	s_delay_alu instid0(VALU_DEP_2) | instskip(NEXT) | instid1(VALU_DEP_3)
	v_dual_cndmask_b32 v41, v48, v44, vcc_lo :: v_dual_cndmask_b32 v44, v45, v43, s4
	v_cndmask_b32_e64 v45, v47, v45, s4
	s_delay_alu instid0(VALU_DEP_3) | instskip(NEXT) | instid1(VALU_DEP_3)
	v_dual_cndmask_b32 v43, v43, v49, s4 :: v_dual_sub_nc_u32 v47, 32, v4
	v_cndmask_b32_e64 v48, v49, v41, s4
	v_cmp_eq_u32_e32 vcc_lo, 0, v4
	s_delay_alu instid0(VALU_DEP_3) | instskip(NEXT) | instid1(VALU_DEP_1)
	v_dual_cndmask_b32 v45, v45, v44, s5 :: v_dual_cndmask_b32 v44, v44, v43, s5
	v_alignbit_b32 v49, v45, v44, v47
	s_delay_alu instid0(VALU_DEP_1) | instskip(NEXT) | instid1(VALU_DEP_1)
	v_dual_cndmask_b32 v43, v43, v48, s5 :: v_dual_cndmask_b32 v4, v49, v45, vcc_lo
	v_alignbit_b32 v46, v44, v43, v47
	s_delay_alu instid0(VALU_DEP_1) | instskip(NEXT) | instid1(VALU_DEP_3)
	v_dual_cndmask_b32 v41, v41, v42, s4 :: v_dual_cndmask_b32 v42, v46, v44, vcc_lo
	v_bfe_u32 v44, v4, 29, 1
	s_delay_alu instid0(VALU_DEP_2) | instskip(NEXT) | instid1(VALU_DEP_3)
	v_cndmask_b32_e64 v41, v48, v41, s5
	v_alignbit_b32 v45, v4, v42, 30
	s_delay_alu instid0(VALU_DEP_3) | instskip(NEXT) | instid1(VALU_DEP_3)
	v_sub_nc_u32_e32 v46, 0, v44
	v_alignbit_b32 v47, v43, v41, v47
	s_delay_alu instid0(VALU_DEP_1) | instskip(NEXT) | instid1(VALU_DEP_1)
	v_dual_cndmask_b32 v43, v47, v43, vcc_lo :: v_dual_bitop2_b32 v45, v45, v46 bitop3:0x14
	v_clz_i32_u32_e32 v47, v45
	s_delay_alu instid0(VALU_DEP_2) | instskip(SKIP_1) | instid1(VALU_DEP_3)
	v_alignbit_b32 v42, v42, v43, 30
	v_alignbit_b32 v41, v43, v41, 30
	v_min_u32_e32 v47, 32, v47
	s_delay_alu instid0(VALU_DEP_3) | instskip(NEXT) | instid1(VALU_DEP_3)
	v_xor_b32_e32 v42, v42, v46
	v_dual_lshrrev_b32 v46, 29, v4 :: v_dual_bitop2_b32 v41, v41, v46 bitop3:0x14
	s_delay_alu instid0(VALU_DEP_3) | instskip(NEXT) | instid1(VALU_DEP_1)
	v_dual_sub_nc_u32 v43, 31, v47 :: v_dual_lshlrev_b32 v48, 23, v47
	v_alignbit_b32 v45, v45, v42, v43
	s_delay_alu instid0(VALU_DEP_3) | instskip(NEXT) | instid1(VALU_DEP_4)
	v_alignbit_b32 v41, v42, v41, v43
	v_lshlrev_b32_e32 v42, 31, v46
	s_delay_alu instid0(VALU_DEP_2) | instskip(NEXT) | instid1(VALU_DEP_2)
	v_alignbit_b32 v43, v45, v41, 9
	v_dual_lshrrev_b32 v45, 9, v45 :: v_dual_bitop2_b32 v46, 0.5, v42 bitop3:0x54
	v_or_b32_e32 v42, 0x33000000, v42
	s_delay_alu instid0(VALU_DEP_3) | instskip(NEXT) | instid1(VALU_DEP_3)
	v_clz_i32_u32_e32 v49, v43
	v_sub_nc_u32_e32 v46, v46, v48
	s_delay_alu instid0(VALU_DEP_2) | instskip(NEXT) | instid1(VALU_DEP_1)
	v_min_u32_e32 v48, 32, v49
	v_add_lshl_u32 v47, v48, v47, 23
	s_delay_alu instid0(VALU_DEP_3) | instskip(SKIP_1) | instid1(VALU_DEP_2)
	v_or_b32_e32 v45, v45, v46
	v_not_b32_e32 v46, v48
	v_dual_mul_f32 v49, 0x3fc90fda, v45 :: v_dual_sub_nc_u32 v42, v42, v47
	s_delay_alu instid0(VALU_DEP_2) | instskip(NEXT) | instid1(VALU_DEP_2)
	v_alignbit_b32 v41, v43, v41, v46
	v_fma_f32 v43, 0x3fc90fda, v45, -v49
	s_delay_alu instid0(VALU_DEP_2) | instskip(NEXT) | instid1(VALU_DEP_2)
	v_lshrrev_b32_e32 v41, 9, v41
	v_fmac_f32_e32 v43, 0x33a22168, v45
	s_delay_alu instid0(VALU_DEP_2) | instskip(NEXT) | instid1(VALU_DEP_1)
	v_or_b32_e32 v41, v42, v41
	v_fmac_f32_e32 v43, 0x3fc90fda, v41
	s_delay_alu instid0(VALU_DEP_1) | instskip(NEXT) | instid1(VALU_DEP_1)
	v_dual_add_f32 v4, v49, v43 :: v_dual_lshrrev_b32 v41, 30, v4
	v_add_nc_u32_e32 v41, v44, v41
	s_and_not1_saveexec_b32 s4, s26
	s_cbranch_execnz .LBB248_420
	s_branch .LBB248_421
.LBB248_419:                            ;   in Loop: Header=BB248_217 Depth=1
	s_and_not1_saveexec_b32 s4, s26
.LBB248_420:                            ;   in Loop: Header=BB248_217 Depth=1
	v_mul_f32_e64 v4, 0x3f22f983, |v31|
	s_delay_alu instid0(VALU_DEP_1) | instskip(NEXT) | instid1(VALU_DEP_1)
	v_rndne_f32_e32 v41, v4
	v_fma_f32 v4, 0xbfc90fda, v41, |v31|
	s_delay_alu instid0(VALU_DEP_1) | instskip(NEXT) | instid1(VALU_DEP_1)
	v_fmac_f32_e32 v4, 0xb3a22168, v41
	v_fmac_f32_e32 v4, 0xa7c234c4, v41
	v_cvt_i32_f32_e32 v41, v41
.LBB248_421:                            ;   in Loop: Header=BB248_217 Depth=1
	s_or_b32 exec_lo, exec_lo, s4
	s_delay_alu instid0(VALU_DEP_2) | instskip(SKIP_1) | instid1(VALU_DEP_2)
	v_dual_mul_f32 v42, v30, v30 :: v_dual_mul_f32 v43, v4, v4
	v_dual_lshlrev_b32 v38, 30, v38 :: v_dual_bitop2_b32 v44, 1, v38 bitop3:0x40
	v_fmaak_f32 v47, s21, v43, 0x3c0881c4
	v_fmaak_f32 v48, s22, v43, 0xbab64f3b
	s_delay_alu instid0(VALU_DEP_3) | instskip(SKIP_1) | instid1(VALU_DEP_4)
	v_cmp_eq_u32_e32 vcc_lo, 0, v44
	v_dual_lshlrev_b32 v41, 30, v41 :: v_dual_bitop2_b32 v49, 1, v41 bitop3:0x40
	v_fmaak_f32 v47, v43, v47, 0xbe2aaa9d
	s_delay_alu instid0(VALU_DEP_4) | instskip(NEXT) | instid1(VALU_DEP_3)
	v_fmaak_f32 v48, v43, v48, 0x3d2aabf7
	v_and_or_b32 v40, 0x80000000, v41, v40
	s_delay_alu instid0(VALU_DEP_3) | instskip(SKIP_1) | instid1(VALU_DEP_4)
	v_mul_f32_e32 v47, v43, v47
	v_fmaak_f32 v45, s21, v42, 0x3c0881c4
	v_fmaak_f32 v48, v43, v48, 0xbf000004
	s_delay_alu instid0(VALU_DEP_3) | instskip(NEXT) | instid1(VALU_DEP_2)
	v_fmac_f32_e32 v4, v4, v47
	v_fma_f32 v43, v43, v48, 1.0
	s_delay_alu instid0(VALU_DEP_4) | instskip(NEXT) | instid1(VALU_DEP_1)
	v_fmaak_f32 v45, v42, v45, 0xbe2aaa9d
	v_dual_fmaak_f32 v46, s22, v42, 0xbab64f3b :: v_dual_mul_f32 v45, v42, v45
	s_delay_alu instid0(VALU_DEP_1) | instskip(NEXT) | instid1(VALU_DEP_2)
	v_fmaak_f32 v46, v42, v46, 0x3d2aabf7
	v_fmac_f32_e32 v30, v30, v45
	s_delay_alu instid0(VALU_DEP_2) | instskip(NEXT) | instid1(VALU_DEP_1)
	v_fmaak_f32 v46, v42, v46, 0xbf000004
	v_fma_f32 v42, v42, v46, 1.0
	s_delay_alu instid0(VALU_DEP_1) | instskip(SKIP_1) | instid1(VALU_DEP_2)
	v_cndmask_b32_e64 v30, -v30, v42, vcc_lo
	v_cmp_eq_u32_e32 vcc_lo, 0, v49
	v_bitop3_b32 v30, v38, v30, 0x80000000 bitop3:0x6c
	v_cndmask_b32_e32 v4, v43, v4, vcc_lo
	v_cmp_class_f32_e64 vcc_lo, v31, 0x1f8
	s_delay_alu instid0(VALU_DEP_2) | instskip(NEXT) | instid1(VALU_DEP_4)
	v_xor3_b32 v4, v40, v4, v39
	v_cndmask_b32_e32 v38, 0x7fc00000, v30, vcc_lo
	s_delay_alu instid0(VALU_DEP_2)
	v_cndmask_b32_e32 v39, 0x7fc00000, v4, vcc_lo
.LBB248_422:                            ;   in Loop: Header=BB248_217 Depth=1
	s_or_b32 exec_lo, exec_lo, s25
                                        ; implicit-def: $vgpr30
.LBB248_423:                            ;   in Loop: Header=BB248_217 Depth=1
	s_and_not1_saveexec_b32 s4, s24
	s_cbranch_execz .LBB248_425
; %bb.424:                              ;   in Loop: Header=BB248_217 Depth=1
	v_mul_f32_e32 v4, 0xbfb8aa3b, v30
	v_cmp_nlt_f32_e32 vcc_lo, 0x42ce8ed0, v30
	s_delay_alu instid0(VALU_DEP_2) | instskip(SKIP_1) | instid1(VALU_DEP_2)
	v_rndne_f32_e32 v31, v4
	v_fma_f32 v38, 0xbfb8aa3b, v30, -v4
	v_sub_f32_e32 v4, v4, v31
	s_delay_alu instid0(VALU_DEP_2) | instskip(SKIP_1) | instid1(VALU_DEP_2)
	v_fmac_f32_e32 v38, 0xb2a5705f, v30
	v_cvt_i32_f32_e32 v31, v31
	v_add_f32_e32 v4, v4, v38
	s_delay_alu instid0(VALU_DEP_1) | instskip(SKIP_1) | instid1(TRANS32_DEP_1)
	v_exp_f32_e32 v4, v4
	v_nop
	v_ldexp_f32 v4, v4, v31
	s_delay_alu instid0(VALU_DEP_1) | instskip(SKIP_1) | instid1(VALU_DEP_2)
	v_cndmask_b32_e32 v4, 0, v4, vcc_lo
	v_cmp_ngt_f32_e32 vcc_lo, 0xc2b17218, v30
	v_cndmask_b32_e32 v38, 0x7f800000, v4, vcc_lo
.LBB248_425:                            ;   in Loop: Header=BB248_217 Depth=1
	s_or_b32 exec_lo, exec_lo, s4
	v_mov_b64_e32 v[30:31], s[6:7]
	s_mov_b32 s4, exec_lo
	s_delay_alu instid0(VALU_DEP_1) | instskip(NEXT) | instid1(VALU_DEP_1)
	v_pk_add_f32 v[30:31], v[38:39], v[30:31]
                                        ; implicit-def: $vgpr38_vgpr39
	v_cmp_gt_f32_e32 vcc_lo, 0, v31
	v_cndmask_b32_e64 v4, v31, -v31, vcc_lo
	s_delay_alu instid0(VALU_DEP_3) | instskip(SKIP_1) | instid1(VALU_DEP_1)
	v_cmp_gt_f32_e32 vcc_lo, 0, v30
	v_cndmask_b32_e64 v40, v30, -v30, vcc_lo
	v_cmpx_ge_f32_e32 v40, v4
	s_xor_b32 s5, exec_lo, s4
	s_cbranch_execz .LBB248_435
; %bb.426:                              ;   in Loop: Header=BB248_217 Depth=1
	v_cmp_neq_f32_e32 vcc_lo, 0, v30
	v_cmp_neq_f32_e64 s4, 0, v31
                                        ; implicit-def: $vgpr38_vgpr39
	s_or_b32 s4, vcc_lo, s4
	s_delay_alu instid0(SALU_CYCLE_1) | instskip(NEXT) | instid1(SALU_CYCLE_1)
	s_and_saveexec_b32 s24, s4
	s_xor_b32 s4, exec_lo, s24
	s_cbranch_execz .LBB248_428
; %bb.427:                              ;   in Loop: Header=BB248_217 Depth=1
	v_div_scale_f32 v4, null, v30, v30, v31
	v_div_scale_f32 v40, vcc_lo, v31, v30, v31
	s_delay_alu instid0(VALU_DEP_2) | instskip(SKIP_1) | instid1(TRANS32_DEP_1)
	v_rcp_f32_e32 v38, v4
	v_nop
	v_fma_f32 v39, -v4, v38, 1.0
	s_delay_alu instid0(VALU_DEP_1) | instskip(NEXT) | instid1(VALU_DEP_1)
	v_fmac_f32_e32 v38, v39, v38
	v_mul_f32_e32 v39, v40, v38
	s_delay_alu instid0(VALU_DEP_1) | instskip(NEXT) | instid1(VALU_DEP_1)
	v_fma_f32 v41, -v4, v39, v40
	v_fmac_f32_e32 v39, v41, v38
	s_delay_alu instid0(VALU_DEP_1) | instskip(NEXT) | instid1(VALU_DEP_1)
	v_fma_f32 v4, -v4, v39, v40
	v_div_fmas_f32 v4, v4, v38, v39
	s_delay_alu instid0(VALU_DEP_1) | instskip(NEXT) | instid1(VALU_DEP_1)
	v_div_fixup_f32 v4, v4, v30, v31
	v_fmac_f32_e32 v30, v31, v4
	s_delay_alu instid0(VALU_DEP_1) | instskip(SKIP_1) | instid1(VALU_DEP_2)
	v_div_scale_f32 v31, null, v30, v30, 1.0
	v_div_scale_f32 v40, vcc_lo, 1.0, v30, 1.0
	v_rcp_f32_e32 v42, v31
	v_nop
	s_delay_alu instid0(TRANS32_DEP_1) | instskip(NEXT) | instid1(VALU_DEP_1)
	v_fma_f32 v38, -v31, v42, 1.0
	v_fmac_f32_e32 v42, v38, v42
	s_delay_alu instid0(VALU_DEP_1) | instskip(NEXT) | instid1(VALU_DEP_1)
	v_mul_f32_e32 v43, v40, v42
	v_fma_f32 v38, -v31, v43, v40
	s_delay_alu instid0(VALU_DEP_1) | instskip(SKIP_1) | instid1(VALU_DEP_2)
	v_fmac_f32_e32 v43, v38, v42
	v_mov_b64_e32 v[38:39], s[6:7]
	v_fma_f32 v31, -v31, v43, v40
	v_mov_b64_e32 v[40:41], s[10:11]
	s_delay_alu instid0(VALU_DEP_2) | instskip(NEXT) | instid1(VALU_DEP_2)
	v_div_fmas_f32 v31, v31, v42, v43
	v_pk_fma_f32 v[42:43], v[4:5], v[40:41], v[38:39] op_sel_hi:[0,1,1] neg_lo:[1,0,0] neg_hi:[1,0,0]
	v_pk_fma_f32 v[38:39], v[4:5], v[40:41], v[38:39]
	s_delay_alu instid0(VALU_DEP_3) | instskip(NEXT) | instid1(VALU_DEP_3)
	v_div_fixup_f32 v4, v31, v30, 1.0
                                        ; implicit-def: $vgpr40
	v_mov_b32_e32 v39, v43
	s_delay_alu instid0(VALU_DEP_1)
	v_pk_mul_f32 v[38:39], v[38:39], v[4:5] op_sel_hi:[1,0]
                                        ; implicit-def: $vgpr4
.LBB248_428:                            ;   in Loop: Header=BB248_217 Depth=1
	s_and_not1_saveexec_b32 s24, s4
	s_cbranch_execz .LBB248_430
; %bb.429:                              ;   in Loop: Header=BB248_217 Depth=1
	v_div_scale_f32 v30, null, v4, v4, s7
	v_div_scale_f32 v31, null, v40, v40, s6
	v_div_scale_f32 v43, vcc_lo, s7, v4, s7
	s_delay_alu instid0(VALU_DEP_3) | instskip(NEXT) | instid1(VALU_DEP_2)
	v_rcp_f32_e32 v38, v30
	v_rcp_f32_e32 v39, v31
	s_delay_alu instid0(TRANS32_DEP_2) | instskip(NEXT) | instid1(TRANS32_DEP_1)
	v_fma_f32 v41, -v30, v38, 1.0
	v_fma_f32 v42, -v31, v39, 1.0
	s_delay_alu instid0(VALU_DEP_1) | instskip(SKIP_1) | instid1(VALU_DEP_1)
	v_dual_fmac_f32 v38, v41, v38 :: v_dual_fmac_f32 v39, v42, v39
	v_div_scale_f32 v41, s4, s6, v40, s6
	v_dual_mul_f32 v42, v43, v38 :: v_dual_mul_f32 v44, v41, v39
	s_delay_alu instid0(VALU_DEP_1) | instskip(NEXT) | instid1(VALU_DEP_1)
	v_dual_fma_f32 v45, -v30, v42, v43 :: v_dual_fma_f32 v46, -v31, v44, v41
	v_dual_fmac_f32 v42, v45, v38 :: v_dual_fmac_f32 v44, v46, v39
	s_delay_alu instid0(VALU_DEP_1) | instskip(NEXT) | instid1(VALU_DEP_1)
	v_dual_fma_f32 v30, -v30, v42, v43 :: v_dual_fma_f32 v31, -v31, v44, v41
	v_div_fmas_f32 v30, v30, v38, v42
	s_mov_b32 vcc_lo, s4
	s_delay_alu instid0(VALU_DEP_2) | instskip(NEXT) | instid1(VALU_DEP_2)
	v_div_fmas_f32 v31, v31, v39, v44
	v_div_fixup_f32 v39, v30, v4, s7
	s_delay_alu instid0(VALU_DEP_2)
	v_div_fixup_f32 v38, v31, v40, s6
.LBB248_430:                            ;   in Loop: Header=BB248_217 Depth=1
	s_or_b32 exec_lo, exec_lo, s24
                                        ; implicit-def: $vgpr30_vgpr31
	s_and_not1_saveexec_b32 s4, s5
	s_cbranch_execnz .LBB248_436
.LBB248_431:                            ;   in Loop: Header=BB248_217 Depth=1
	s_or_b32 exec_lo, exec_lo, s4
	s_and_saveexec_b32 s4, s0
	s_delay_alu instid0(SALU_CYCLE_1)
	s_xor_b32 s0, exec_lo, s4
	s_cbranch_execz .LBB248_437
.LBB248_432:                            ;   in Loop: Header=BB248_217 Depth=1
	v_add_nc_u64_e32 v[30:31], s[8:9], v[10:11]
	global_store_b64 v[30:31], v[32:33], off
	s_wait_xcnt 0x0
	s_or_b32 exec_lo, exec_lo, s0
	s_and_saveexec_b32 s0, s1
	s_cbranch_execnz .LBB248_438
.LBB248_433:                            ;   in Loop: Header=BB248_217 Depth=1
	s_or_b32 exec_lo, exec_lo, s0
	s_and_saveexec_b32 s0, s2
	s_cbranch_execz .LBB248_439
.LBB248_434:                            ;   in Loop: Header=BB248_217 Depth=1
	v_add_nc_u64_e32 v[30:31], s[8:9], v[20:21]
	global_store_b64 v[30:31], v[34:35], off
	s_wait_xcnt 0x0
	s_or_b32 exec_lo, exec_lo, s0
	s_and_saveexec_b32 s0, s3
	s_cbranch_execz .LBB248_216
	s_branch .LBB248_440
.LBB248_435:                            ;   in Loop: Header=BB248_217 Depth=1
	s_and_not1_saveexec_b32 s4, s5
	s_cbranch_execz .LBB248_431
.LBB248_436:                            ;   in Loop: Header=BB248_217 Depth=1
	v_div_scale_f32 v4, null, v31, v31, v30
	v_div_scale_f32 v40, vcc_lo, v30, v31, v30
	s_delay_alu instid0(VALU_DEP_2) | instskip(SKIP_1) | instid1(TRANS32_DEP_1)
	v_rcp_f32_e32 v38, v4
	v_nop
	v_fma_f32 v39, -v4, v38, 1.0
	s_delay_alu instid0(VALU_DEP_1) | instskip(NEXT) | instid1(VALU_DEP_1)
	v_fmac_f32_e32 v38, v39, v38
	v_mul_f32_e32 v39, v40, v38
	s_delay_alu instid0(VALU_DEP_1) | instskip(NEXT) | instid1(VALU_DEP_1)
	v_fma_f32 v41, -v4, v39, v40
	v_fmac_f32_e32 v39, v41, v38
	s_delay_alu instid0(VALU_DEP_1) | instskip(NEXT) | instid1(VALU_DEP_1)
	v_fma_f32 v4, -v4, v39, v40
	v_div_fmas_f32 v4, v4, v38, v39
	s_delay_alu instid0(VALU_DEP_1) | instskip(NEXT) | instid1(VALU_DEP_1)
	v_div_fixup_f32 v4, v4, v31, v30
	v_fmac_f32_e32 v31, v30, v4
	s_delay_alu instid0(VALU_DEP_1) | instskip(SKIP_1) | instid1(VALU_DEP_2)
	v_div_scale_f32 v30, null, v31, v31, 1.0
	v_div_scale_f32 v40, vcc_lo, 1.0, v31, 1.0
	v_rcp_f32_e32 v42, v30
	v_nop
	s_delay_alu instid0(TRANS32_DEP_1) | instskip(NEXT) | instid1(VALU_DEP_1)
	v_fma_f32 v38, -v30, v42, 1.0
	v_fmac_f32_e32 v42, v38, v42
	s_delay_alu instid0(VALU_DEP_1) | instskip(NEXT) | instid1(VALU_DEP_1)
	v_mul_f32_e32 v43, v40, v42
	v_fma_f32 v38, -v30, v43, v40
	s_delay_alu instid0(VALU_DEP_1) | instskip(SKIP_1) | instid1(VALU_DEP_2)
	v_fmac_f32_e32 v43, v38, v42
	v_mov_b64_e32 v[38:39], s[10:11]
	v_fma_f32 v30, -v30, v43, v40
	v_mov_b64_e32 v[40:41], s[6:7]
	s_delay_alu instid0(VALU_DEP_2) | instskip(NEXT) | instid1(VALU_DEP_2)
	v_div_fmas_f32 v30, v30, v42, v43
	v_pk_fma_f32 v[42:43], v[4:5], v[40:41], v[38:39] op_sel_hi:[0,1,1] neg_lo:[0,0,1] neg_hi:[0,0,1]
	v_pk_fma_f32 v[38:39], v[4:5], v[40:41], v[38:39]
	s_delay_alu instid0(VALU_DEP_3) | instskip(NEXT) | instid1(VALU_DEP_3)
	v_div_fixup_f32 v4, v30, v31, 1.0
	v_mov_b32_e32 v39, v43
	s_delay_alu instid0(VALU_DEP_1) | instskip(SKIP_2) | instid1(SALU_CYCLE_1)
	v_pk_mul_f32 v[38:39], v[38:39], v[4:5] op_sel_hi:[1,0]
	s_or_b32 exec_lo, exec_lo, s4
	s_and_saveexec_b32 s4, s0
	s_xor_b32 s0, exec_lo, s4
	s_cbranch_execnz .LBB248_432
.LBB248_437:                            ;   in Loop: Header=BB248_217 Depth=1
	s_or_b32 exec_lo, exec_lo, s0
	s_and_saveexec_b32 s0, s1
	s_cbranch_execz .LBB248_433
.LBB248_438:                            ;   in Loop: Header=BB248_217 Depth=1
	v_add_nc_u64_e32 v[30:31], s[8:9], v[28:29]
	global_store_b64 v[30:31], v[36:37], off
	s_wait_xcnt 0x0
	s_or_b32 exec_lo, exec_lo, s0
	s_and_saveexec_b32 s0, s2
	s_cbranch_execnz .LBB248_434
.LBB248_439:                            ;   in Loop: Header=BB248_217 Depth=1
	s_or_b32 exec_lo, exec_lo, s0
	s_and_saveexec_b32 s0, s3
	s_cbranch_execz .LBB248_216
.LBB248_440:                            ;   in Loop: Header=BB248_217 Depth=1
	v_add_nc_u64_e32 v[30:31], s[8:9], v[24:25]
	global_store_b64 v[30:31], v[38:39], off
	s_branch .LBB248_216
.LBB248_441:
	s_endpgm
	.section	.rodata,"a",@progbits
	.p2align	6, 0x0
	.amdhsa_kernel _ZN2at6native12_GLOBAL__N_125multi_tensor_apply_kernelINS1_18TensorListMetadataILi2EEENS1_14UnaryOpFunctorIN3c107complexIfEELi2ELi1ELi1EEEJNS0_7SigmoidIS8_EEEEEvT_T0_DpT1_
		.amdhsa_group_segment_fixed_size 0
		.amdhsa_private_segment_fixed_size 0
		.amdhsa_kernarg_size 3416
		.amdhsa_user_sgpr_count 2
		.amdhsa_user_sgpr_dispatch_ptr 0
		.amdhsa_user_sgpr_queue_ptr 0
		.amdhsa_user_sgpr_kernarg_segment_ptr 1
		.amdhsa_user_sgpr_dispatch_id 0
		.amdhsa_user_sgpr_kernarg_preload_length 0
		.amdhsa_user_sgpr_kernarg_preload_offset 0
		.amdhsa_user_sgpr_private_segment_size 0
		.amdhsa_wavefront_size32 1
		.amdhsa_uses_dynamic_stack 0
		.amdhsa_enable_private_segment 0
		.amdhsa_system_sgpr_workgroup_id_x 1
		.amdhsa_system_sgpr_workgroup_id_y 0
		.amdhsa_system_sgpr_workgroup_id_z 0
		.amdhsa_system_sgpr_workgroup_info 0
		.amdhsa_system_vgpr_workitem_id 0
		.amdhsa_next_free_vgpr 56
		.amdhsa_next_free_sgpr 39
		.amdhsa_named_barrier_count 0
		.amdhsa_reserve_vcc 1
		.amdhsa_float_round_mode_32 0
		.amdhsa_float_round_mode_16_64 0
		.amdhsa_float_denorm_mode_32 3
		.amdhsa_float_denorm_mode_16_64 3
		.amdhsa_fp16_overflow 0
		.amdhsa_memory_ordered 1
		.amdhsa_forward_progress 1
		.amdhsa_inst_pref_size 255
		.amdhsa_round_robin_scheduling 0
		.amdhsa_exception_fp_ieee_invalid_op 0
		.amdhsa_exception_fp_denorm_src 0
		.amdhsa_exception_fp_ieee_div_zero 0
		.amdhsa_exception_fp_ieee_overflow 0
		.amdhsa_exception_fp_ieee_underflow 0
		.amdhsa_exception_fp_ieee_inexact 0
		.amdhsa_exception_int_div_zero 0
	.end_amdhsa_kernel
	.section	.text._ZN2at6native12_GLOBAL__N_125multi_tensor_apply_kernelINS1_18TensorListMetadataILi2EEENS1_14UnaryOpFunctorIN3c107complexIfEELi2ELi1ELi1EEEJNS0_7SigmoidIS8_EEEEEvT_T0_DpT1_,"axG",@progbits,_ZN2at6native12_GLOBAL__N_125multi_tensor_apply_kernelINS1_18TensorListMetadataILi2EEENS1_14UnaryOpFunctorIN3c107complexIfEELi2ELi1ELi1EEEJNS0_7SigmoidIS8_EEEEEvT_T0_DpT1_,comdat
.Lfunc_end248:
	.size	_ZN2at6native12_GLOBAL__N_125multi_tensor_apply_kernelINS1_18TensorListMetadataILi2EEENS1_14UnaryOpFunctorIN3c107complexIfEELi2ELi1ELi1EEEJNS0_7SigmoidIS8_EEEEEvT_T0_DpT1_, .Lfunc_end248-_ZN2at6native12_GLOBAL__N_125multi_tensor_apply_kernelINS1_18TensorListMetadataILi2EEENS1_14UnaryOpFunctorIN3c107complexIfEELi2ELi1ELi1EEEJNS0_7SigmoidIS8_EEEEEvT_T0_DpT1_
                                        ; -- End function
	.set _ZN2at6native12_GLOBAL__N_125multi_tensor_apply_kernelINS1_18TensorListMetadataILi2EEENS1_14UnaryOpFunctorIN3c107complexIfEELi2ELi1ELi1EEEJNS0_7SigmoidIS8_EEEEEvT_T0_DpT1_.num_vgpr, 56
	.set _ZN2at6native12_GLOBAL__N_125multi_tensor_apply_kernelINS1_18TensorListMetadataILi2EEENS1_14UnaryOpFunctorIN3c107complexIfEELi2ELi1ELi1EEEJNS0_7SigmoidIS8_EEEEEvT_T0_DpT1_.num_agpr, 0
	.set _ZN2at6native12_GLOBAL__N_125multi_tensor_apply_kernelINS1_18TensorListMetadataILi2EEENS1_14UnaryOpFunctorIN3c107complexIfEELi2ELi1ELi1EEEJNS0_7SigmoidIS8_EEEEEvT_T0_DpT1_.numbered_sgpr, 39
	.set _ZN2at6native12_GLOBAL__N_125multi_tensor_apply_kernelINS1_18TensorListMetadataILi2EEENS1_14UnaryOpFunctorIN3c107complexIfEELi2ELi1ELi1EEEJNS0_7SigmoidIS8_EEEEEvT_T0_DpT1_.num_named_barrier, 0
	.set _ZN2at6native12_GLOBAL__N_125multi_tensor_apply_kernelINS1_18TensorListMetadataILi2EEENS1_14UnaryOpFunctorIN3c107complexIfEELi2ELi1ELi1EEEJNS0_7SigmoidIS8_EEEEEvT_T0_DpT1_.private_seg_size, 0
	.set _ZN2at6native12_GLOBAL__N_125multi_tensor_apply_kernelINS1_18TensorListMetadataILi2EEENS1_14UnaryOpFunctorIN3c107complexIfEELi2ELi1ELi1EEEJNS0_7SigmoidIS8_EEEEEvT_T0_DpT1_.uses_vcc, 1
	.set _ZN2at6native12_GLOBAL__N_125multi_tensor_apply_kernelINS1_18TensorListMetadataILi2EEENS1_14UnaryOpFunctorIN3c107complexIfEELi2ELi1ELi1EEEJNS0_7SigmoidIS8_EEEEEvT_T0_DpT1_.uses_flat_scratch, 0
	.set _ZN2at6native12_GLOBAL__N_125multi_tensor_apply_kernelINS1_18TensorListMetadataILi2EEENS1_14UnaryOpFunctorIN3c107complexIfEELi2ELi1ELi1EEEJNS0_7SigmoidIS8_EEEEEvT_T0_DpT1_.has_dyn_sized_stack, 0
	.set _ZN2at6native12_GLOBAL__N_125multi_tensor_apply_kernelINS1_18TensorListMetadataILi2EEENS1_14UnaryOpFunctorIN3c107complexIfEELi2ELi1ELi1EEEJNS0_7SigmoidIS8_EEEEEvT_T0_DpT1_.has_recursion, 0
	.set _ZN2at6native12_GLOBAL__N_125multi_tensor_apply_kernelINS1_18TensorListMetadataILi2EEENS1_14UnaryOpFunctorIN3c107complexIfEELi2ELi1ELi1EEEJNS0_7SigmoidIS8_EEEEEvT_T0_DpT1_.has_indirect_call, 0
	.section	.AMDGPU.csdata,"",@progbits
; Kernel info:
; codeLenInByte = 57312
; TotalNumSgprs: 41
; NumVgprs: 56
; ScratchSize: 0
; MemoryBound: 0
; FloatMode: 240
; IeeeMode: 1
; LDSByteSize: 0 bytes/workgroup (compile time only)
; SGPRBlocks: 0
; VGPRBlocks: 3
; NumSGPRsForWavesPerEU: 41
; NumVGPRsForWavesPerEU: 56
; NamedBarCnt: 0
; Occupancy: 16
; WaveLimiterHint : 0
; COMPUTE_PGM_RSRC2:SCRATCH_EN: 0
; COMPUTE_PGM_RSRC2:USER_SGPR: 2
; COMPUTE_PGM_RSRC2:TRAP_HANDLER: 0
; COMPUTE_PGM_RSRC2:TGID_X_EN: 1
; COMPUTE_PGM_RSRC2:TGID_Y_EN: 0
; COMPUTE_PGM_RSRC2:TGID_Z_EN: 0
; COMPUTE_PGM_RSRC2:TIDIG_COMP_CNT: 0
	.section	.text._ZN2at6native12_GLOBAL__N_125multi_tensor_apply_kernelINS1_18TensorListMetadataILi2EEENS1_14UnaryOpFunctorIN3c104HalfELi2ELi1ELi1EEEJNS0_7SigmoidIfEEEEEvT_T0_DpT1_,"axG",@progbits,_ZN2at6native12_GLOBAL__N_125multi_tensor_apply_kernelINS1_18TensorListMetadataILi2EEENS1_14UnaryOpFunctorIN3c104HalfELi2ELi1ELi1EEEJNS0_7SigmoidIfEEEEEvT_T0_DpT1_,comdat
	.globl	_ZN2at6native12_GLOBAL__N_125multi_tensor_apply_kernelINS1_18TensorListMetadataILi2EEENS1_14UnaryOpFunctorIN3c104HalfELi2ELi1ELi1EEEJNS0_7SigmoidIfEEEEEvT_T0_DpT1_ ; -- Begin function _ZN2at6native12_GLOBAL__N_125multi_tensor_apply_kernelINS1_18TensorListMetadataILi2EEENS1_14UnaryOpFunctorIN3c104HalfELi2ELi1ELi1EEEJNS0_7SigmoidIfEEEEEvT_T0_DpT1_
	.p2align	8
	.type	_ZN2at6native12_GLOBAL__N_125multi_tensor_apply_kernelINS1_18TensorListMetadataILi2EEENS1_14UnaryOpFunctorIN3c104HalfELi2ELi1ELi1EEEJNS0_7SigmoidIfEEEEEvT_T0_DpT1_,@function
_ZN2at6native12_GLOBAL__N_125multi_tensor_apply_kernelINS1_18TensorListMetadataILi2EEENS1_14UnaryOpFunctorIN3c104HalfELi2ELi1ELi1EEEJNS0_7SigmoidIfEEEEEvT_T0_DpT1_: ; @_ZN2at6native12_GLOBAL__N_125multi_tensor_apply_kernelINS1_18TensorListMetadataILi2EEENS1_14UnaryOpFunctorIN3c104HalfELi2ELi1ELi1EEEJNS0_7SigmoidIfEEEEEvT_T0_DpT1_
; %bb.0:
	s_bfe_u32 s2, ttmp6, 0x4000c
	s_and_b32 s3, ttmp6, 15
	s_add_co_i32 s2, s2, 1
	s_getreg_b32 s4, hwreg(HW_REG_IB_STS2, 6, 4)
	s_mul_i32 s2, ttmp9, s2
	s_delay_alu instid0(SALU_CYCLE_1)
	s_add_co_i32 s3, s3, s2
	s_cmp_eq_u32 s4, 0
	s_cselect_b32 s2, ttmp9, s3
	s_mov_b32 s3, 0
	s_load_u8 s13, s[0:1], s2 offset:0x600
	s_add_nc_u64 s[4:5], s[0:1], s[2:3]
	s_mul_u64 s[6:7], s[2:3], 3
	s_delay_alu instid0(SALU_CYCLE_1)
	s_add_nc_u64 s[4:5], s[4:5], s[6:7]
	s_load_b32 s12, s[4:5], 0x740
	s_wait_kmcnt 0x0
	s_clause 0x3
	s_load_b64 s[8:9], s[0:1], s13 offset:0x0 scale_offset
	s_load_b64 s[10:11], s[0:1], s13 offset:0x200 scale_offset
	;; [unrolled: 1-line block ×3, first 2 shown]
	s_load_b32 s18, s[0:1], 0xc4c
	s_mov_b32 s5, s3
	s_wait_xcnt 0x0
	s_ashr_i32 s13, s12, 31
	s_delay_alu instid0(SALU_CYCLE_1)
	s_lshl_b64 s[6:7], s[12:13], 17
	s_wait_kmcnt 0x0
	s_and_b64 s[20:21], s[10:11], 7
	s_add_nc_u64 s[16:17], s[8:9], s[6:7]
	s_and_b32 s4, s14, 3
	s_and_b32 s2, s16, 7
	s_or_b64 s[4:5], s[20:21], s[4:5]
	s_lshl_b64 s[12:13], s[12:13], 16
	s_or_b64 s[2:3], s[4:5], s[2:3]
	s_sub_nc_u64 s[12:13], s[14:15], s[12:13]
	s_cmp_eq_u64 s[2:3], 0
	s_mov_b32 s2, -1
	s_cbranch_scc0 .LBB249_5
; %bb.1:
	v_min_i64 v[2:3], 0x10000, s[12:13]
	v_dual_mov_b32 v5, 0 :: v_dual_lshlrev_b32 v4, 2, v0
	s_mov_b32 s5, exec_lo
	s_delay_alu instid0(VALU_DEP_1)
	v_cmpx_lt_i64_e64 v[4:5], v[2:3]
	s_cbranch_execz .LBB249_4
; %bb.2:
	s_load_b32 s2, s[0:1], 0xc5c
	v_dual_mov_b32 v1, v5 :: v_dual_lshlrev_b32 v4, 3, v0
	s_mov_b32 s15, 0
	s_mov_b32 s19, 0x3fb8aa3b
	;; [unrolled: 1-line block ×3, first 2 shown]
	s_delay_alu instid0(VALU_DEP_1)
	v_add_nc_u64_e32 v[4:5], s[6:7], v[4:5]
	v_mov_b64_e32 v[6:7], v[0:1]
	s_mov_b32 s17, s15
	s_mov_b32 s21, s15
	s_wait_kmcnt 0x0
	s_and_b32 s14, s2, 0xffff
	s_delay_alu instid0(SALU_CYCLE_1)
	s_lshl_b32 s16, s14, 3
.LBB249_3:                              ; =>This Inner Loop Header: Depth=1
	v_add_nc_u64_e32 v[8:9], s[8:9], v[4:5]
	v_add_nc_u64_e32 v[6:7], s[14:15], v[6:7]
	global_load_b64 v[8:9], v[8:9], off
	v_lshlrev_b64_e32 v[10:11], 2, v[6:7]
	s_wait_loadcnt 0x0
	v_cvt_f32_f16_e64 v1, -v8
	v_dual_lshrrev_b32 v12, 16, v8 :: v_dual_lshrrev_b32 v14, 16, v9
	v_cvt_f32_f16_e64 v13, -v9
	s_delay_alu instid0(VALU_DEP_3) | instskip(NEXT) | instid1(VALU_DEP_3)
	v_cmp_ngt_f32_e64 s2, 0xc2ce8ed0, v1
	v_cvt_f32_f16_e64 v12, -v12
	s_delay_alu instid0(VALU_DEP_4) | instskip(SKIP_3) | instid1(VALU_DEP_4)
	v_cvt_f32_f16_e64 v14, -v14
	v_mul_f32_e32 v15, 0x3fb8aa3b, v1
	v_mul_f32_e32 v16, 0x3fb8aa3b, v13
	v_cmp_nlt_f32_e64 s4, 0x42b17218, v1
	v_dual_mul_f32 v19, 0x3fb8aa3b, v12 :: v_dual_mul_f32 v22, 0x3fb8aa3b, v14
	s_delay_alu instid0(VALU_DEP_4)
	v_fma_mix_f32 v17, -v8, s19, -v15 op_sel_hi:[1,0,0]
	v_rndne_f32_e32 v18, v15
	v_rndne_f32_e32 v21, v16
	v_fma_mix_f32 v20, -v9, s19, -v16 op_sel_hi:[1,0,0]
	v_rndne_f32_e32 v26, v22
	v_fma_mix_f32 v17, -v8, s20, v17 op_sel_hi:[1,0,0]
	s_delay_alu instid0(VALU_DEP_4) | instskip(SKIP_1) | instid1(VALU_DEP_4)
	v_dual_sub_f32 v15, v15, v18 :: v_dual_sub_f32 v16, v16, v21
	v_fma_mix_f32 v25, -v9, s19, -v22 op_sel:[1,0,0] op_sel_hi:[1,0,0]
	v_sub_f32_e32 v22, v22, v26
	v_cvt_i32_f32_e32 v18, v18
	s_delay_alu instid0(VALU_DEP_4)
	v_add_f32_e32 v15, v15, v17
	v_fma_mix_f32 v20, -v9, s20, v20 op_sel_hi:[1,0,0]
	v_rndne_f32_e32 v24, v19
	s_wait_xcnt 0x0
	v_fma_mix_f32 v9, -v9, s20, v25 op_sel:[1,0,0] op_sel_hi:[1,0,0]
	v_fma_mix_f32 v23, -v8, s19, -v19 op_sel:[1,0,0] op_sel_hi:[1,0,0]
	v_exp_f32_e32 v15, v15
	v_cvt_i32_f32_e32 v21, v21
	s_delay_alu instid0(VALU_DEP_3) | instskip(NEXT) | instid1(VALU_DEP_3)
	v_dual_sub_f32 v17, v19, v24 :: v_dual_add_f32 v9, v22, v9
	v_fma_mix_f32 v8, -v8, s20, v23 op_sel:[1,0,0] op_sel_hi:[1,0,0]
	v_cmp_ngt_f32_e32 vcc_lo, 0xc2ce8ed0, v13
	v_cmp_ngt_f32_e64 s3, 0xc2ce8ed0, v14
	s_delay_alu instid0(TRANS32_DEP_1)
	v_ldexp_f32 v15, v15, v18
	v_add_f32_e32 v16, v16, v20
	v_exp_f32_e32 v9, v9
	v_cvt_i32_f32_e32 v20, v26
	v_cvt_i32_f32_e32 v19, v24
	v_cndmask_b32_e64 v15, 0, v15, s2
	v_exp_f32_e32 v16, v16
	v_cmp_ngt_f32_e64 s2, 0xc2ce8ed0, v12
	s_delay_alu instid0(TRANS32_DEP_2) | instskip(NEXT) | instid1(VALU_DEP_3)
	v_ldexp_f32 v9, v9, v20
	v_cndmask_b32_e64 v1, 0x7f800000, v15, s4
	v_add_f32_e32 v8, v17, v8
	s_delay_alu instid0(TRANS32_DEP_1) | instskip(NEXT) | instid1(VALU_DEP_4)
	v_ldexp_f32 v16, v16, v21
	v_cndmask_b32_e64 v9, 0, v9, s3
	s_delay_alu instid0(VALU_DEP_4) | instskip(NEXT) | instid1(VALU_DEP_4)
	v_add_f32_e32 v1, s18, v1
	v_exp_f32_e32 v8, v8
	s_delay_alu instid0(VALU_DEP_3) | instskip(SKIP_1) | instid1(VALU_DEP_3)
	v_cndmask_b32_e32 v16, 0, v16, vcc_lo
	v_cmp_nlt_f32_e32 vcc_lo, 0x42b17218, v13
	v_div_scale_f32 v13, null, v1, v1, s18
	s_delay_alu instid0(TRANS32_DEP_1) | instskip(NEXT) | instid1(VALU_DEP_2)
	v_ldexp_f32 v8, v8, v19
	v_rcp_f32_e32 v17, v13
	s_delay_alu instid0(VALU_DEP_1) | instskip(SKIP_1) | instid1(TRANS32_DEP_1)
	v_cndmask_b32_e64 v8, 0, v8, s2
	v_cmp_nlt_f32_e64 s2, 0x42b17218, v12
	v_fma_f32 v25, -v13, v17, 1.0
	v_cndmask_b32_e32 v12, 0x7f800000, v16, vcc_lo
	v_cmp_nlt_f32_e32 vcc_lo, 0x42b17218, v14
	s_delay_alu instid0(VALU_DEP_3) | instskip(SKIP_2) | instid1(VALU_DEP_2)
	v_fmac_f32_e32 v17, v25, v17
	v_cndmask_b32_e32 v9, 0x7f800000, v9, vcc_lo
	v_div_scale_f32 v14, vcc_lo, s18, v1, s18
	v_add_f32_e32 v9, s18, v9
	v_cndmask_b32_e64 v8, 0x7f800000, v8, s2
	s_delay_alu instid0(VALU_DEP_2) | instskip(NEXT) | instid1(VALU_DEP_2)
	v_div_scale_f32 v21, null, v9, v9, s18
	v_add_f32_e32 v8, s18, v8
	v_div_scale_f32 v22, s4, s18, v9, s18
	s_delay_alu instid0(VALU_DEP_3) | instskip(NEXT) | instid1(VALU_DEP_2)
	v_rcp_f32_e32 v24, v21
	v_div_scale_f32 v18, null, v8, v8, s18
	s_delay_alu instid0(VALU_DEP_1) | instskip(NEXT) | instid1(TRANS32_DEP_2)
	v_rcp_f32_e32 v23, v18
	v_fma_f32 v25, -v21, v24, 1.0
	s_delay_alu instid0(TRANS32_DEP_1) | instskip(NEXT) | instid1(VALU_DEP_1)
	v_fma_f32 v27, -v18, v23, 1.0
	v_dual_add_f32 v12, s18, v12 :: v_dual_fmac_f32 v23, v27, v23
	s_delay_alu instid0(VALU_DEP_1) | instskip(SKIP_1) | instid1(VALU_DEP_2)
	v_div_scale_f32 v15, null, v12, v12, s18
	v_div_scale_f32 v16, s2, s18, v12, s18
	v_rcp_f32_e32 v20, v15
	v_nop
	s_delay_alu instid0(TRANS32_DEP_1) | instskip(NEXT) | instid1(VALU_DEP_1)
	v_fma_f32 v26, -v15, v20, 1.0
	v_fmac_f32_e32 v20, v26, v20
	v_mul_f32_e32 v26, v14, v17
	v_div_scale_f32 v19, s3, s18, v8, s18
	v_fmac_f32_e32 v24, v25, v24
	s_delay_alu instid0(VALU_DEP_2) | instskip(NEXT) | instid1(VALU_DEP_1)
	v_dual_mul_f32 v27, v16, v20 :: v_dual_mul_f32 v25, v19, v23
	v_dual_fma_f32 v28, -v13, v26, v14 :: v_dual_fma_f32 v29, -v15, v27, v16
	s_delay_alu instid0(VALU_DEP_2) | instskip(NEXT) | instid1(VALU_DEP_2)
	v_fma_f32 v31, -v18, v25, v19
	v_dual_mul_f32 v30, v22, v24 :: v_dual_fmac_f32 v26, v28, v17
	s_delay_alu instid0(VALU_DEP_2) | instskip(NEXT) | instid1(VALU_DEP_2)
	v_dual_fmac_f32 v27, v29, v20 :: v_dual_fmac_f32 v25, v31, v23
	v_fma_f32 v28, -v21, v30, v22
	s_delay_alu instid0(VALU_DEP_2) | instskip(NEXT) | instid1(VALU_DEP_2)
	v_dual_fma_f32 v13, -v13, v26, v14 :: v_dual_fma_f32 v14, -v15, v27, v16
	v_dual_fma_f32 v15, -v18, v25, v19 :: v_dual_fmac_f32 v30, v28, v24
	s_delay_alu instid0(VALU_DEP_2) | instskip(SKIP_1) | instid1(VALU_DEP_2)
	v_div_fmas_f32 v13, v13, v17, v26
	s_mov_b32 vcc_lo, s3
	v_div_fmas_f32 v15, v15, v23, v25
	s_delay_alu instid0(VALU_DEP_3)
	v_fma_f32 v16, -v21, v30, v22
	s_mov_b32 vcc_lo, s2
	v_div_fixup_f32 v1, v13, v1, s18
	v_div_fmas_f32 v14, v14, v20, v27
	s_mov_b32 vcc_lo, s4
	v_div_fixup_f32 v13, v15, v8, s18
	v_div_fmas_f32 v16, v16, v24, v30
	v_cmp_ge_i64_e32 vcc_lo, v[10:11], v[2:3]
	v_div_fixup_f32 v12, v14, v12, s18
	s_delay_alu instid0(VALU_DEP_4) | instskip(NEXT) | instid1(VALU_DEP_4)
	v_cvt_pk_f16_f32 v10, v1, v13
	v_div_fixup_f32 v14, v16, v9, s18
	v_add_nc_u64_e32 v[8:9], s[10:11], v[4:5]
	v_add_nc_u64_e32 v[4:5], s[16:17], v[4:5]
	s_or_b32 s21, vcc_lo, s21
	s_delay_alu instid0(VALU_DEP_3)
	v_cvt_pk_f16_f32 v11, v12, v14
	global_store_b64 v[8:9], v[10:11], off
	s_wait_xcnt 0x0
	s_and_not1_b32 exec_lo, exec_lo, s21
	s_cbranch_execnz .LBB249_3
.LBB249_4:
	s_or_b32 exec_lo, exec_lo, s5
	s_mov_b32 s2, 0
.LBB249_5:
	s_delay_alu instid0(SALU_CYCLE_1)
	s_and_not1_b32 vcc_lo, exec_lo, s2
	s_cbranch_vccnz .LBB249_25
; %bb.6:
	v_cmp_lt_i64_e64 s2, s[12:13], 1
	s_and_b32 vcc_lo, exec_lo, s2
	s_cbranch_vccnz .LBB249_25
; %bb.7:
	s_load_b32 s0, s[0:1], 0xc5c
	v_min_i64 v[2:3], 0x10000, s[12:13]
	v_min_u64 v[4:5], 0x10000, s[12:13]
	v_dual_mov_b32 v1, 0 :: v_dual_lshlrev_b32 v10, 1, v0
	s_wait_xcnt 0x0
	s_mov_b32 s1, 0
	s_delay_alu instid0(SALU_CYCLE_1) | instskip(NEXT) | instid1(VALU_DEP_1)
	s_mov_b32 s5, s1
	v_dual_mov_b32 v11, v1 :: v_dual_mov_b32 v27, v1
	s_mov_b32 s3, s1
	s_mov_b32 s13, s1
	s_delay_alu instid0(VALU_DEP_1) | instskip(SKIP_2) | instid1(SALU_CYCLE_1)
	v_add_nc_u64_e32 v[6:7], s[8:9], v[10:11]
	s_wait_kmcnt 0x0
	s_and_b32 s0, s0, 0xffff
	v_add_nc_u64_e32 v[8:9], s[0:1], v[0:1]
	v_mad_nc_u64_u32 v[22:23], s0, 6, v[10:11]
	s_lshl_b32 s4, s0, 2
	s_mul_i32 s12, s0, 3
	v_add_nc_u64_e32 v[18:19], s[4:5], v[10:11]
	s_lshl_b32 s2, s0, 1
	v_add_nc_u64_e32 v[10:11], s[10:11], v[10:11]
	v_lshlrev_b32_e32 v26, 1, v8
	v_add_nc_u64_e32 v[12:13], s[12:13], v[0:1]
	v_add_nc_u64_e32 v[14:15], s[2:3], v[0:1]
	;; [unrolled: 1-line block ×8, first 2 shown]
	s_lshl_b32 s8, s0, 3
	s_mov_b32 s9, s1
	s_mov_b64 s[10:11], 0
	s_branch .LBB249_9
.LBB249_8:                              ;   in Loop: Header=BB249_9 Depth=1
	s_wait_xcnt 0x0
	s_or_b32 exec_lo, exec_lo, s1
	s_add_nc_u64 s[10:11], s[10:11], s[4:5]
	v_add_nc_u64_e32 v[6:7], s[8:9], v[6:7]
	v_cmp_ge_i64_e32 vcc_lo, s[10:11], v[2:3]
	v_add_nc_u64_e32 v[10:11], s[8:9], v[10:11]
	v_add_nc_u64_e32 v[20:21], s[8:9], v[20:21]
	;; [unrolled: 1-line block ×7, first 2 shown]
	s_cbranch_vccnz .LBB249_25
.LBB249_9:                              ; =>This Inner Loop Header: Depth=1
	v_add_nc_u64_e32 v[28:29], s[10:11], v[0:1]
	v_mov_b32_e32 v31, 0
	s_delay_alu instid0(VALU_DEP_2)
	v_cmp_lt_u64_e32 vcc_lo, v[28:29], v[4:5]
	s_and_saveexec_b32 s0, vcc_lo
	s_cbranch_execz .LBB249_11
; %bb.10:                               ;   in Loop: Header=BB249_9 Depth=1
	v_add_nc_u64_e32 v[28:29], s[6:7], v[6:7]
	global_load_u16 v28, v[28:29], off
	s_wait_loadcnt 0x0
	v_cvt_f32_f16_e32 v31, v28
.LBB249_11:                             ;   in Loop: Header=BB249_9 Depth=1
	s_wait_xcnt 0x0
	s_or_b32 exec_lo, exec_lo, s0
	v_add_nc_u64_e32 v[28:29], s[10:11], v[8:9]
	v_mov_b32_e32 v30, 0
	s_delay_alu instid0(VALU_DEP_2)
	v_cmp_lt_u64_e64 s2, v[28:29], v[4:5]
	v_mov_b32_e32 v29, 0
	s_and_saveexec_b32 s0, s2
	s_cbranch_execz .LBB249_13
; %bb.12:                               ;   in Loop: Header=BB249_9 Depth=1
	v_add_nc_u64_e32 v[32:33], s[6:7], v[24:25]
	global_load_u16 v28, v[32:33], off
	s_wait_loadcnt 0x0
	v_cvt_f32_f16_e32 v30, v28
.LBB249_13:                             ;   in Loop: Header=BB249_9 Depth=1
	s_wait_xcnt 0x0
	s_or_b32 exec_lo, exec_lo, s0
	v_add_nc_u64_e32 v[32:33], s[10:11], v[14:15]
	s_delay_alu instid0(VALU_DEP_1)
	v_cmp_lt_u64_e64 s1, v[32:33], v[4:5]
	s_and_saveexec_b32 s0, s1
	s_cbranch_execz .LBB249_15
; %bb.14:                               ;   in Loop: Header=BB249_9 Depth=1
	v_add_nc_u64_e32 v[28:29], s[6:7], v[16:17]
	global_load_u16 v28, v[28:29], off
	s_wait_loadcnt 0x0
	v_cvt_f32_f16_e32 v29, v28
.LBB249_15:                             ;   in Loop: Header=BB249_9 Depth=1
	s_or_b32 exec_lo, exec_lo, s0
	v_add_nc_u64_e32 v[32:33], s[10:11], v[12:13]
	v_mov_b32_e32 v28, 0
	s_delay_alu instid0(VALU_DEP_2)
	v_cmp_lt_u64_e64 s0, v[32:33], v[4:5]
	s_and_saveexec_b32 s3, s0
	s_cbranch_execnz .LBB249_20
; %bb.16:                               ;   in Loop: Header=BB249_9 Depth=1
	s_or_b32 exec_lo, exec_lo, s3
	s_and_saveexec_b32 s3, vcc_lo
	s_cbranch_execnz .LBB249_21
.LBB249_17:                             ;   in Loop: Header=BB249_9 Depth=1
	s_or_b32 exec_lo, exec_lo, s3
	s_and_saveexec_b32 s3, s2
	s_cbranch_execnz .LBB249_22
.LBB249_18:                             ;   in Loop: Header=BB249_9 Depth=1
	s_or_b32 exec_lo, exec_lo, s3
	s_and_saveexec_b32 s2, s1
	s_cbranch_execnz .LBB249_23
.LBB249_19:                             ;   in Loop: Header=BB249_9 Depth=1
	s_or_b32 exec_lo, exec_lo, s2
	s_and_saveexec_b32 s1, s0
	s_cbranch_execz .LBB249_8
	s_branch .LBB249_24
.LBB249_20:                             ;   in Loop: Header=BB249_9 Depth=1
	v_add_nc_u64_e32 v[32:33], s[6:7], v[20:21]
	global_load_u16 v28, v[32:33], off
	s_wait_loadcnt 0x0
	v_cvt_f32_f16_e32 v28, v28
	s_wait_xcnt 0x0
	s_or_b32 exec_lo, exec_lo, s3
	s_and_saveexec_b32 s3, vcc_lo
	s_cbranch_execz .LBB249_17
.LBB249_21:                             ;   in Loop: Header=BB249_9 Depth=1
	v_mul_f32_e32 v32, 0xbfb8aa3b, v31
	v_cmp_nlt_f32_e32 vcc_lo, 0x42ce8ed0, v31
	s_delay_alu instid0(VALU_DEP_2) | instskip(SKIP_1) | instid1(VALU_DEP_2)
	v_rndne_f32_e32 v33, v32
	v_fma_f32 v34, 0xbfb8aa3b, v31, -v32
	v_sub_f32_e32 v32, v32, v33
	s_delay_alu instid0(VALU_DEP_2) | instskip(SKIP_1) | instid1(VALU_DEP_2)
	v_fmac_f32_e32 v34, 0xb2a5705f, v31
	v_cvt_i32_f32_e32 v33, v33
	v_add_f32_e32 v32, v32, v34
	s_delay_alu instid0(VALU_DEP_1) | instskip(SKIP_1) | instid1(TRANS32_DEP_1)
	v_exp_f32_e32 v32, v32
	v_nop
	v_ldexp_f32 v32, v32, v33
	s_delay_alu instid0(VALU_DEP_1) | instskip(SKIP_1) | instid1(VALU_DEP_2)
	v_cndmask_b32_e32 v32, 0, v32, vcc_lo
	v_cmp_ngt_f32_e32 vcc_lo, 0xc2b17218, v31
	v_cndmask_b32_e32 v31, 0x7f800000, v32, vcc_lo
	s_delay_alu instid0(VALU_DEP_1) | instskip(NEXT) | instid1(VALU_DEP_1)
	v_add_f32_e32 v31, s18, v31
	v_div_scale_f32 v32, null, v31, v31, s18
	s_delay_alu instid0(VALU_DEP_1) | instskip(SKIP_1) | instid1(TRANS32_DEP_1)
	v_rcp_f32_e32 v33, v32
	v_nop
	v_fma_f32 v34, -v32, v33, 1.0
	s_delay_alu instid0(VALU_DEP_1) | instskip(SKIP_1) | instid1(VALU_DEP_1)
	v_fmac_f32_e32 v33, v34, v33
	v_div_scale_f32 v34, vcc_lo, s18, v31, s18
	v_mul_f32_e32 v35, v34, v33
	s_delay_alu instid0(VALU_DEP_1) | instskip(NEXT) | instid1(VALU_DEP_1)
	v_fma_f32 v36, -v32, v35, v34
	v_fmac_f32_e32 v35, v36, v33
	s_delay_alu instid0(VALU_DEP_1) | instskip(NEXT) | instid1(VALU_DEP_1)
	v_fma_f32 v32, -v32, v35, v34
	v_div_fmas_f32 v32, v32, v33, v35
	s_delay_alu instid0(VALU_DEP_1) | instskip(SKIP_1) | instid1(VALU_DEP_2)
	v_div_fixup_f32 v31, v32, v31, s18
	v_add_nc_u64_e32 v[32:33], s[6:7], v[10:11]
	v_cvt_f16_f32_e32 v31, v31
	global_store_b16 v[32:33], v31, off
	s_wait_xcnt 0x0
	s_or_b32 exec_lo, exec_lo, s3
	s_and_saveexec_b32 s3, s2
	s_cbranch_execz .LBB249_18
.LBB249_22:                             ;   in Loop: Header=BB249_9 Depth=1
	v_mul_f32_e32 v31, 0xbfb8aa3b, v30
	v_cmp_nlt_f32_e32 vcc_lo, 0x42ce8ed0, v30
	s_delay_alu instid0(VALU_DEP_2) | instskip(SKIP_1) | instid1(VALU_DEP_2)
	v_rndne_f32_e32 v32, v31
	v_fma_f32 v33, 0xbfb8aa3b, v30, -v31
	v_sub_f32_e32 v31, v31, v32
	s_delay_alu instid0(VALU_DEP_2) | instskip(SKIP_1) | instid1(VALU_DEP_2)
	v_fmac_f32_e32 v33, 0xb2a5705f, v30
	v_cvt_i32_f32_e32 v32, v32
	v_add_f32_e32 v31, v31, v33
	s_delay_alu instid0(VALU_DEP_1) | instskip(SKIP_1) | instid1(TRANS32_DEP_1)
	v_exp_f32_e32 v31, v31
	v_nop
	v_ldexp_f32 v31, v31, v32
	s_delay_alu instid0(VALU_DEP_1) | instskip(SKIP_1) | instid1(VALU_DEP_2)
	v_cndmask_b32_e32 v31, 0, v31, vcc_lo
	v_cmp_ngt_f32_e32 vcc_lo, 0xc2b17218, v30
	v_cndmask_b32_e32 v30, 0x7f800000, v31, vcc_lo
	s_delay_alu instid0(VALU_DEP_1) | instskip(NEXT) | instid1(VALU_DEP_1)
	v_add_f32_e32 v30, s18, v30
	v_div_scale_f32 v31, null, v30, v30, s18
	s_delay_alu instid0(VALU_DEP_1) | instskip(SKIP_1) | instid1(TRANS32_DEP_1)
	v_rcp_f32_e32 v32, v31
	v_nop
	v_fma_f32 v33, -v31, v32, 1.0
	s_delay_alu instid0(VALU_DEP_1) | instskip(SKIP_1) | instid1(VALU_DEP_1)
	v_fmac_f32_e32 v32, v33, v32
	v_div_scale_f32 v33, vcc_lo, s18, v30, s18
	v_mul_f32_e32 v34, v33, v32
	s_delay_alu instid0(VALU_DEP_1) | instskip(NEXT) | instid1(VALU_DEP_1)
	v_fma_f32 v35, -v31, v34, v33
	v_fmac_f32_e32 v34, v35, v32
	s_delay_alu instid0(VALU_DEP_1) | instskip(NEXT) | instid1(VALU_DEP_1)
	v_fma_f32 v31, -v31, v34, v33
	v_div_fmas_f32 v31, v31, v32, v34
	s_delay_alu instid0(VALU_DEP_1) | instskip(SKIP_1) | instid1(VALU_DEP_2)
	v_div_fixup_f32 v32, v31, v30, s18
	v_add_nc_u64_e32 v[30:31], s[6:7], v[26:27]
	v_cvt_f16_f32_e32 v32, v32
	global_store_b16 v[30:31], v32, off
	s_wait_xcnt 0x0
	s_or_b32 exec_lo, exec_lo, s3
	s_and_saveexec_b32 s2, s1
	s_cbranch_execz .LBB249_19
.LBB249_23:                             ;   in Loop: Header=BB249_9 Depth=1
	v_mul_f32_e32 v30, 0xbfb8aa3b, v29
	v_cmp_nlt_f32_e32 vcc_lo, 0x42ce8ed0, v29
	s_delay_alu instid0(VALU_DEP_2) | instskip(SKIP_1) | instid1(VALU_DEP_2)
	v_rndne_f32_e32 v31, v30
	v_fma_f32 v32, 0xbfb8aa3b, v29, -v30
	v_sub_f32_e32 v30, v30, v31
	s_delay_alu instid0(VALU_DEP_2) | instskip(SKIP_1) | instid1(VALU_DEP_2)
	v_fmac_f32_e32 v32, 0xb2a5705f, v29
	v_cvt_i32_f32_e32 v31, v31
	v_add_f32_e32 v30, v30, v32
	s_delay_alu instid0(VALU_DEP_1) | instskip(SKIP_1) | instid1(TRANS32_DEP_1)
	v_exp_f32_e32 v30, v30
	v_nop
	v_ldexp_f32 v30, v30, v31
	s_delay_alu instid0(VALU_DEP_1) | instskip(SKIP_1) | instid1(VALU_DEP_2)
	v_cndmask_b32_e32 v30, 0, v30, vcc_lo
	v_cmp_ngt_f32_e32 vcc_lo, 0xc2b17218, v29
	v_cndmask_b32_e32 v29, 0x7f800000, v30, vcc_lo
	s_delay_alu instid0(VALU_DEP_1) | instskip(NEXT) | instid1(VALU_DEP_1)
	v_add_f32_e32 v29, s18, v29
	v_div_scale_f32 v30, null, v29, v29, s18
	s_delay_alu instid0(VALU_DEP_1) | instskip(SKIP_1) | instid1(TRANS32_DEP_1)
	v_rcp_f32_e32 v31, v30
	v_nop
	v_fma_f32 v32, -v30, v31, 1.0
	s_delay_alu instid0(VALU_DEP_1) | instskip(SKIP_1) | instid1(VALU_DEP_1)
	v_fmac_f32_e32 v31, v32, v31
	v_div_scale_f32 v32, vcc_lo, s18, v29, s18
	v_mul_f32_e32 v33, v32, v31
	s_delay_alu instid0(VALU_DEP_1) | instskip(NEXT) | instid1(VALU_DEP_1)
	v_fma_f32 v34, -v30, v33, v32
	v_fmac_f32_e32 v33, v34, v31
	s_delay_alu instid0(VALU_DEP_1) | instskip(NEXT) | instid1(VALU_DEP_1)
	v_fma_f32 v30, -v30, v33, v32
	v_div_fmas_f32 v30, v30, v31, v33
	s_delay_alu instid0(VALU_DEP_1) | instskip(SKIP_1) | instid1(VALU_DEP_2)
	v_div_fixup_f32 v29, v30, v29, s18
	v_add_nc_u64_e32 v[30:31], s[6:7], v[18:19]
	v_cvt_f16_f32_e32 v29, v29
	global_store_b16 v[30:31], v29, off
	s_wait_xcnt 0x0
	s_or_b32 exec_lo, exec_lo, s2
	s_and_saveexec_b32 s1, s0
	s_cbranch_execz .LBB249_8
.LBB249_24:                             ;   in Loop: Header=BB249_9 Depth=1
	v_mul_f32_e32 v29, 0xbfb8aa3b, v28
	v_cmp_nlt_f32_e32 vcc_lo, 0x42ce8ed0, v28
	s_delay_alu instid0(VALU_DEP_2) | instskip(SKIP_1) | instid1(VALU_DEP_2)
	v_rndne_f32_e32 v30, v29
	v_fma_f32 v31, 0xbfb8aa3b, v28, -v29
	v_sub_f32_e32 v29, v29, v30
	s_delay_alu instid0(VALU_DEP_2) | instskip(SKIP_1) | instid1(VALU_DEP_2)
	v_fmac_f32_e32 v31, 0xb2a5705f, v28
	v_cvt_i32_f32_e32 v30, v30
	v_add_f32_e32 v29, v29, v31
	s_delay_alu instid0(VALU_DEP_1) | instskip(SKIP_1) | instid1(TRANS32_DEP_1)
	v_exp_f32_e32 v29, v29
	v_nop
	v_ldexp_f32 v29, v29, v30
	s_delay_alu instid0(VALU_DEP_1) | instskip(SKIP_1) | instid1(VALU_DEP_2)
	v_cndmask_b32_e32 v29, 0, v29, vcc_lo
	v_cmp_ngt_f32_e32 vcc_lo, 0xc2b17218, v28
	v_cndmask_b32_e32 v28, 0x7f800000, v29, vcc_lo
	s_delay_alu instid0(VALU_DEP_1) | instskip(NEXT) | instid1(VALU_DEP_1)
	v_add_f32_e32 v28, s18, v28
	v_div_scale_f32 v29, null, v28, v28, s18
	s_delay_alu instid0(VALU_DEP_1) | instskip(SKIP_1) | instid1(TRANS32_DEP_1)
	v_rcp_f32_e32 v30, v29
	v_nop
	v_fma_f32 v31, -v29, v30, 1.0
	s_delay_alu instid0(VALU_DEP_1) | instskip(SKIP_1) | instid1(VALU_DEP_1)
	v_fmac_f32_e32 v30, v31, v30
	v_div_scale_f32 v31, vcc_lo, s18, v28, s18
	v_mul_f32_e32 v32, v31, v30
	s_delay_alu instid0(VALU_DEP_1) | instskip(NEXT) | instid1(VALU_DEP_1)
	v_fma_f32 v33, -v29, v32, v31
	v_fmac_f32_e32 v32, v33, v30
	s_delay_alu instid0(VALU_DEP_1) | instskip(NEXT) | instid1(VALU_DEP_1)
	v_fma_f32 v29, -v29, v32, v31
	v_div_fmas_f32 v29, v29, v30, v32
	s_delay_alu instid0(VALU_DEP_1) | instskip(SKIP_1) | instid1(VALU_DEP_2)
	v_div_fixup_f32 v30, v29, v28, s18
	v_add_nc_u64_e32 v[28:29], s[6:7], v[22:23]
	v_cvt_f16_f32_e32 v30, v30
	global_store_b16 v[28:29], v30, off
	s_branch .LBB249_8
.LBB249_25:
	s_endpgm
	.section	.rodata,"a",@progbits
	.p2align	6, 0x0
	.amdhsa_kernel _ZN2at6native12_GLOBAL__N_125multi_tensor_apply_kernelINS1_18TensorListMetadataILi2EEENS1_14UnaryOpFunctorIN3c104HalfELi2ELi1ELi1EEEJNS0_7SigmoidIfEEEEEvT_T0_DpT1_
		.amdhsa_group_segment_fixed_size 0
		.amdhsa_private_segment_fixed_size 0
		.amdhsa_kernarg_size 3408
		.amdhsa_user_sgpr_count 2
		.amdhsa_user_sgpr_dispatch_ptr 0
		.amdhsa_user_sgpr_queue_ptr 0
		.amdhsa_user_sgpr_kernarg_segment_ptr 1
		.amdhsa_user_sgpr_dispatch_id 0
		.amdhsa_user_sgpr_kernarg_preload_length 0
		.amdhsa_user_sgpr_kernarg_preload_offset 0
		.amdhsa_user_sgpr_private_segment_size 0
		.amdhsa_wavefront_size32 1
		.amdhsa_uses_dynamic_stack 0
		.amdhsa_enable_private_segment 0
		.amdhsa_system_sgpr_workgroup_id_x 1
		.amdhsa_system_sgpr_workgroup_id_y 0
		.amdhsa_system_sgpr_workgroup_id_z 0
		.amdhsa_system_sgpr_workgroup_info 0
		.amdhsa_system_vgpr_workitem_id 0
		.amdhsa_next_free_vgpr 37
		.amdhsa_next_free_sgpr 22
		.amdhsa_named_barrier_count 0
		.amdhsa_reserve_vcc 1
		.amdhsa_float_round_mode_32 0
		.amdhsa_float_round_mode_16_64 0
		.amdhsa_float_denorm_mode_32 3
		.amdhsa_float_denorm_mode_16_64 3
		.amdhsa_fp16_overflow 0
		.amdhsa_memory_ordered 1
		.amdhsa_forward_progress 1
		.amdhsa_inst_pref_size 22
		.amdhsa_round_robin_scheduling 0
		.amdhsa_exception_fp_ieee_invalid_op 0
		.amdhsa_exception_fp_denorm_src 0
		.amdhsa_exception_fp_ieee_div_zero 0
		.amdhsa_exception_fp_ieee_overflow 0
		.amdhsa_exception_fp_ieee_underflow 0
		.amdhsa_exception_fp_ieee_inexact 0
		.amdhsa_exception_int_div_zero 0
	.end_amdhsa_kernel
	.section	.text._ZN2at6native12_GLOBAL__N_125multi_tensor_apply_kernelINS1_18TensorListMetadataILi2EEENS1_14UnaryOpFunctorIN3c104HalfELi2ELi1ELi1EEEJNS0_7SigmoidIfEEEEEvT_T0_DpT1_,"axG",@progbits,_ZN2at6native12_GLOBAL__N_125multi_tensor_apply_kernelINS1_18TensorListMetadataILi2EEENS1_14UnaryOpFunctorIN3c104HalfELi2ELi1ELi1EEEJNS0_7SigmoidIfEEEEEvT_T0_DpT1_,comdat
.Lfunc_end249:
	.size	_ZN2at6native12_GLOBAL__N_125multi_tensor_apply_kernelINS1_18TensorListMetadataILi2EEENS1_14UnaryOpFunctorIN3c104HalfELi2ELi1ELi1EEEJNS0_7SigmoidIfEEEEEvT_T0_DpT1_, .Lfunc_end249-_ZN2at6native12_GLOBAL__N_125multi_tensor_apply_kernelINS1_18TensorListMetadataILi2EEENS1_14UnaryOpFunctorIN3c104HalfELi2ELi1ELi1EEEJNS0_7SigmoidIfEEEEEvT_T0_DpT1_
                                        ; -- End function
	.set _ZN2at6native12_GLOBAL__N_125multi_tensor_apply_kernelINS1_18TensorListMetadataILi2EEENS1_14UnaryOpFunctorIN3c104HalfELi2ELi1ELi1EEEJNS0_7SigmoidIfEEEEEvT_T0_DpT1_.num_vgpr, 37
	.set _ZN2at6native12_GLOBAL__N_125multi_tensor_apply_kernelINS1_18TensorListMetadataILi2EEENS1_14UnaryOpFunctorIN3c104HalfELi2ELi1ELi1EEEJNS0_7SigmoidIfEEEEEvT_T0_DpT1_.num_agpr, 0
	.set _ZN2at6native12_GLOBAL__N_125multi_tensor_apply_kernelINS1_18TensorListMetadataILi2EEENS1_14UnaryOpFunctorIN3c104HalfELi2ELi1ELi1EEEJNS0_7SigmoidIfEEEEEvT_T0_DpT1_.numbered_sgpr, 22
	.set _ZN2at6native12_GLOBAL__N_125multi_tensor_apply_kernelINS1_18TensorListMetadataILi2EEENS1_14UnaryOpFunctorIN3c104HalfELi2ELi1ELi1EEEJNS0_7SigmoidIfEEEEEvT_T0_DpT1_.num_named_barrier, 0
	.set _ZN2at6native12_GLOBAL__N_125multi_tensor_apply_kernelINS1_18TensorListMetadataILi2EEENS1_14UnaryOpFunctorIN3c104HalfELi2ELi1ELi1EEEJNS0_7SigmoidIfEEEEEvT_T0_DpT1_.private_seg_size, 0
	.set _ZN2at6native12_GLOBAL__N_125multi_tensor_apply_kernelINS1_18TensorListMetadataILi2EEENS1_14UnaryOpFunctorIN3c104HalfELi2ELi1ELi1EEEJNS0_7SigmoidIfEEEEEvT_T0_DpT1_.uses_vcc, 1
	.set _ZN2at6native12_GLOBAL__N_125multi_tensor_apply_kernelINS1_18TensorListMetadataILi2EEENS1_14UnaryOpFunctorIN3c104HalfELi2ELi1ELi1EEEJNS0_7SigmoidIfEEEEEvT_T0_DpT1_.uses_flat_scratch, 0
	.set _ZN2at6native12_GLOBAL__N_125multi_tensor_apply_kernelINS1_18TensorListMetadataILi2EEENS1_14UnaryOpFunctorIN3c104HalfELi2ELi1ELi1EEEJNS0_7SigmoidIfEEEEEvT_T0_DpT1_.has_dyn_sized_stack, 0
	.set _ZN2at6native12_GLOBAL__N_125multi_tensor_apply_kernelINS1_18TensorListMetadataILi2EEENS1_14UnaryOpFunctorIN3c104HalfELi2ELi1ELi1EEEJNS0_7SigmoidIfEEEEEvT_T0_DpT1_.has_recursion, 0
	.set _ZN2at6native12_GLOBAL__N_125multi_tensor_apply_kernelINS1_18TensorListMetadataILi2EEENS1_14UnaryOpFunctorIN3c104HalfELi2ELi1ELi1EEEJNS0_7SigmoidIfEEEEEvT_T0_DpT1_.has_indirect_call, 0
	.section	.AMDGPU.csdata,"",@progbits
; Kernel info:
; codeLenInByte = 2756
; TotalNumSgprs: 24
; NumVgprs: 37
; ScratchSize: 0
; MemoryBound: 0
; FloatMode: 240
; IeeeMode: 1
; LDSByteSize: 0 bytes/workgroup (compile time only)
; SGPRBlocks: 0
; VGPRBlocks: 2
; NumSGPRsForWavesPerEU: 24
; NumVGPRsForWavesPerEU: 37
; NamedBarCnt: 0
; Occupancy: 16
; WaveLimiterHint : 0
; COMPUTE_PGM_RSRC2:SCRATCH_EN: 0
; COMPUTE_PGM_RSRC2:USER_SGPR: 2
; COMPUTE_PGM_RSRC2:TRAP_HANDLER: 0
; COMPUTE_PGM_RSRC2:TGID_X_EN: 1
; COMPUTE_PGM_RSRC2:TGID_Y_EN: 0
; COMPUTE_PGM_RSRC2:TGID_Z_EN: 0
; COMPUTE_PGM_RSRC2:TIDIG_COMP_CNT: 0
	.section	.text._ZN2at6native12_GLOBAL__N_125multi_tensor_apply_kernelINS1_18TensorListMetadataILi2EEENS1_14UnaryOpFunctorIN3c108BFloat16ELi2ELi1ELi1EEEJNS0_7SigmoidIfEEEEEvT_T0_DpT1_,"axG",@progbits,_ZN2at6native12_GLOBAL__N_125multi_tensor_apply_kernelINS1_18TensorListMetadataILi2EEENS1_14UnaryOpFunctorIN3c108BFloat16ELi2ELi1ELi1EEEJNS0_7SigmoidIfEEEEEvT_T0_DpT1_,comdat
	.globl	_ZN2at6native12_GLOBAL__N_125multi_tensor_apply_kernelINS1_18TensorListMetadataILi2EEENS1_14UnaryOpFunctorIN3c108BFloat16ELi2ELi1ELi1EEEJNS0_7SigmoidIfEEEEEvT_T0_DpT1_ ; -- Begin function _ZN2at6native12_GLOBAL__N_125multi_tensor_apply_kernelINS1_18TensorListMetadataILi2EEENS1_14UnaryOpFunctorIN3c108BFloat16ELi2ELi1ELi1EEEJNS0_7SigmoidIfEEEEEvT_T0_DpT1_
	.p2align	8
	.type	_ZN2at6native12_GLOBAL__N_125multi_tensor_apply_kernelINS1_18TensorListMetadataILi2EEENS1_14UnaryOpFunctorIN3c108BFloat16ELi2ELi1ELi1EEEJNS0_7SigmoidIfEEEEEvT_T0_DpT1_,@function
_ZN2at6native12_GLOBAL__N_125multi_tensor_apply_kernelINS1_18TensorListMetadataILi2EEENS1_14UnaryOpFunctorIN3c108BFloat16ELi2ELi1ELi1EEEJNS0_7SigmoidIfEEEEEvT_T0_DpT1_: ; @_ZN2at6native12_GLOBAL__N_125multi_tensor_apply_kernelINS1_18TensorListMetadataILi2EEENS1_14UnaryOpFunctorIN3c108BFloat16ELi2ELi1ELi1EEEJNS0_7SigmoidIfEEEEEvT_T0_DpT1_
; %bb.0:
	s_bfe_u32 s2, ttmp6, 0x4000c
	s_and_b32 s3, ttmp6, 15
	s_add_co_i32 s2, s2, 1
	s_getreg_b32 s4, hwreg(HW_REG_IB_STS2, 6, 4)
	s_mul_i32 s2, ttmp9, s2
	s_delay_alu instid0(SALU_CYCLE_1)
	s_add_co_i32 s3, s3, s2
	s_cmp_eq_u32 s4, 0
	s_cselect_b32 s2, ttmp9, s3
	s_mov_b32 s3, 0
	s_load_u8 s13, s[0:1], s2 offset:0x600
	s_add_nc_u64 s[4:5], s[0:1], s[2:3]
	s_mul_u64 s[6:7], s[2:3], 3
	s_delay_alu instid0(SALU_CYCLE_1)
	s_add_nc_u64 s[4:5], s[4:5], s[6:7]
	s_load_b32 s12, s[4:5], 0x740
	s_wait_kmcnt 0x0
	s_clause 0x3
	s_load_b64 s[8:9], s[0:1], s13 offset:0x0 scale_offset
	s_load_b64 s[10:11], s[0:1], s13 offset:0x200 scale_offset
	;; [unrolled: 1-line block ×3, first 2 shown]
	s_load_b32 s18, s[0:1], 0xc4c
	s_mov_b32 s5, s3
	s_wait_xcnt 0x0
	s_ashr_i32 s13, s12, 31
	s_delay_alu instid0(SALU_CYCLE_1)
	s_lshl_b64 s[6:7], s[12:13], 17
	s_wait_kmcnt 0x0
	s_and_b64 s[20:21], s[10:11], 7
	s_add_nc_u64 s[16:17], s[8:9], s[6:7]
	s_and_b32 s4, s14, 3
	s_and_b32 s2, s16, 7
	s_or_b64 s[4:5], s[20:21], s[4:5]
	s_lshl_b64 s[12:13], s[12:13], 16
	s_or_b64 s[2:3], s[4:5], s[2:3]
	s_sub_nc_u64 s[12:13], s[14:15], s[12:13]
	s_cmp_eq_u64 s[2:3], 0
	s_mov_b32 s2, -1
	s_cbranch_scc0 .LBB250_5
; %bb.1:
	v_min_i64 v[2:3], 0x10000, s[12:13]
	v_dual_mov_b32 v5, 0 :: v_dual_lshlrev_b32 v4, 2, v0
	s_mov_b32 s5, exec_lo
	s_delay_alu instid0(VALU_DEP_1)
	v_cmpx_lt_i64_e64 v[4:5], v[2:3]
	s_cbranch_execz .LBB250_4
; %bb.2:
	s_load_b32 s2, s[0:1], 0xc5c
	v_dual_mov_b32 v1, v5 :: v_dual_lshlrev_b32 v4, 3, v0
	s_mov_b32 s15, 0
	s_mov_b32 s19, 0xbfb8aa3b
	;; [unrolled: 1-line block ×3, first 2 shown]
	s_delay_alu instid0(VALU_DEP_1)
	v_add_nc_u64_e32 v[4:5], s[6:7], v[4:5]
	v_mov_b64_e32 v[6:7], v[0:1]
	s_mov_b32 s17, s15
	s_mov_b32 s21, s15
	s_wait_kmcnt 0x0
	s_and_b32 s14, s2, 0xffff
	s_delay_alu instid0(SALU_CYCLE_1)
	s_lshl_b32 s16, s14, 3
.LBB250_3:                              ; =>This Inner Loop Header: Depth=1
	v_add_nc_u64_e32 v[8:9], s[8:9], v[4:5]
	v_add_nc_u64_e32 v[6:7], s[14:15], v[6:7]
	global_load_b64 v[8:9], v[8:9], off
	v_lshlrev_b64_e32 v[10:11], 2, v[6:7]
	s_wait_loadcnt 0x0
	v_and_b32_e32 v14, 0xffff0000, v9
	v_lshlrev_b32_e32 v1, 16, v8
	v_and_b32_e32 v12, 0xffff0000, v8
	v_alignbit_b32 v13, v9, v8, 16
	s_delay_alu instid0(VALU_DEP_3) | instskip(NEXT) | instid1(VALU_DEP_3)
	v_dual_mul_f32 v18, 0xbfb8aa3b, v14 :: v_dual_mul_f32 v15, 0xbfb8aa3b, v1
	v_mul_f32_e32 v16, 0xbfb8aa3b, v12
	s_delay_alu instid0(VALU_DEP_3) | instskip(SKIP_1) | instid1(VALU_DEP_4)
	v_and_b32_e32 v17, 0xffff0000, v13
	v_cmp_nlt_f32_e64 s3, 0x42ce8ed0, v1
	v_rndne_f32_e32 v25, v18
	v_fma_mix_f32_bf16 v19, v8, s19, -v15 op_sel_hi:[1,0,0]
	v_rndne_f32_e32 v20, v15
	v_fma_mix_f32_bf16 v21, v8, s19, -v16 op_sel:[1,0,0] op_sel_hi:[1,0,0]
	v_rndne_f32_e32 v22, v16
	v_mul_f32_e32 v23, 0xbfb8aa3b, v17
	v_fma_mix_f32_bf16 v19, v8, s20, v19 op_sel_hi:[1,0,0]
	v_sub_f32_e32 v15, v15, v20
	v_fma_mix_f32_bf16 v24, v9, s19, -v18 op_sel:[1,0,0] op_sel_hi:[1,0,0]
	s_wait_xcnt 0x0
	v_fma_mix_f32_bf16 v8, v8, s20, v21 op_sel:[1,0,0] op_sel_hi:[1,0,0]
	v_dual_sub_f32 v16, v16, v22 :: v_dual_sub_f32 v18, v18, v25
	v_add_f32_e32 v15, v15, v19
	v_cvt_i32_f32_e32 v21, v22
	v_fma_mix_f32_bf16 v22, v13, s19, -v23 op_sel:[1,0,0] op_sel_hi:[1,0,0]
	v_rndne_f32_e32 v26, v23
	v_add_f32_e32 v8, v16, v8
	v_exp_f32_e32 v15, v15
	v_cvt_i32_f32_e32 v20, v20
	v_fma_mix_f32_bf16 v9, v9, s20, v24 op_sel:[1,0,0] op_sel_hi:[1,0,0]
	v_fma_mix_f32_bf16 v13, v13, s20, v22 op_sel:[1,0,0] op_sel_hi:[1,0,0]
	v_sub_f32_e32 v16, v23, v26
	v_exp_f32_e32 v8, v8
	v_cvt_i32_f32_e32 v24, v25
	v_add_f32_e32 v9, v18, v9
	v_ldexp_f32 v15, v15, v20
	v_add_f32_e32 v13, v16, v13
	v_cvt_i32_f32_e32 v19, v26
	v_cmp_nlt_f32_e32 vcc_lo, 0x42ce8ed0, v12
	v_exp_f32_e32 v9, v9
	v_cndmask_b32_e64 v15, 0, v15, s3
	v_exp_f32_e32 v13, v13
	v_ldexp_f32 v8, v8, v21
	v_cmp_ngt_f32_e64 s4, 0xc2b17218, v1
	v_cmp_nlt_f32_e64 s2, 0x42ce8ed0, v14
	v_cmp_nlt_f32_e64 s3, 0x42ce8ed0, v17
	v_ldexp_f32 v9, v9, v24
	v_cndmask_b32_e32 v8, 0, v8, vcc_lo
	v_cmp_ngt_f32_e32 vcc_lo, 0xc2b17218, v12
	v_ldexp_f32 v12, v13, v19
	v_cndmask_b32_e64 v1, 0x7f800000, v15, s4
	v_cndmask_b32_e64 v9, 0, v9, s2
	v_cmp_ngt_f32_e64 s2, 0xc2b17218, v14
	s_delay_alu instid0(VALU_DEP_3) | instskip(NEXT) | instid1(VALU_DEP_2)
	v_dual_cndmask_b32 v12, 0, v12, s3 :: v_dual_add_f32 v1, s18, v1
	v_cndmask_b32_e64 v9, 0x7f800000, v9, s2
	s_delay_alu instid0(VALU_DEP_2) | instskip(NEXT) | instid1(VALU_DEP_2)
	v_div_scale_f32 v13, null, v1, v1, s18
	v_add_f32_e32 v9, s18, v9
	s_delay_alu instid0(VALU_DEP_2) | instskip(NEXT) | instid1(VALU_DEP_1)
	v_rcp_f32_e32 v19, v13
	v_div_scale_f32 v18, s3, s18, v9, s18
	s_delay_alu instid0(TRANS32_DEP_1) | instskip(SKIP_3) | instid1(VALU_DEP_3)
	v_fma_f32 v25, -v13, v19, 1.0
	v_cndmask_b32_e32 v8, 0x7f800000, v8, vcc_lo
	v_cmp_ngt_f32_e32 vcc_lo, 0xc2b17218, v17
	v_div_scale_f32 v17, null, v9, v9, s18
	v_dual_fmac_f32 v19, v25, v19 :: v_dual_add_f32 v8, s18, v8
	s_delay_alu instid0(VALU_DEP_2) | instskip(NEXT) | instid1(VALU_DEP_1)
	v_rcp_f32_e32 v22, v17
	v_div_scale_f32 v15, null, v8, v8, s18
	v_div_scale_f32 v16, s2, s18, v8, s18
	s_delay_alu instid0(TRANS32_DEP_1) | instskip(NEXT) | instid1(VALU_DEP_3)
	v_fma_f32 v27, -v17, v22, 1.0
	v_rcp_f32_e32 v20, v15
	s_delay_alu instid0(VALU_DEP_1) | instskip(SKIP_2) | instid1(TRANS32_DEP_1)
	v_fmac_f32_e32 v22, v27, v22
	v_cndmask_b32_e32 v12, 0x7f800000, v12, vcc_lo
	v_div_scale_f32 v14, vcc_lo, s18, v1, s18
	v_fma_f32 v26, -v15, v20, 1.0
	s_delay_alu instid0(VALU_DEP_3) | instskip(NEXT) | instid1(VALU_DEP_2)
	v_add_f32_e32 v12, s18, v12
	v_fmac_f32_e32 v20, v26, v20
	s_delay_alu instid0(VALU_DEP_4) | instskip(NEXT) | instid1(VALU_DEP_3)
	v_mul_f32_e32 v26, v14, v19
	v_div_scale_f32 v21, null, v12, v12, s18
	v_div_scale_f32 v23, s4, s18, v12, s18
	s_delay_alu instid0(VALU_DEP_3) | instskip(NEXT) | instid1(VALU_DEP_3)
	v_dual_mul_f32 v27, v16, v20 :: v_dual_fma_f32 v28, -v13, v26, v14
	v_rcp_f32_e32 v24, v21
	s_delay_alu instid0(VALU_DEP_1) | instskip(NEXT) | instid1(TRANS32_DEP_1)
	v_fmac_f32_e32 v26, v28, v19
	v_fma_f32 v25, -v21, v24, 1.0
	s_delay_alu instid0(VALU_DEP_2) | instskip(NEXT) | instid1(VALU_DEP_2)
	v_fma_f32 v13, -v13, v26, v14
	v_dual_fmac_f32 v24, v25, v24 :: v_dual_mul_f32 v25, v18, v22
	v_fma_f32 v29, -v15, v27, v16
	s_delay_alu instid0(VALU_DEP_3) | instskip(SKIP_1) | instid1(VALU_DEP_3)
	v_div_fmas_f32 v13, v13, v19, v26
	s_mov_b32 vcc_lo, s2
	v_dual_mul_f32 v30, v23, v24 :: v_dual_fma_f32 v31, -v17, v25, v18
	s_delay_alu instid0(VALU_DEP_3) | instskip(NEXT) | instid1(VALU_DEP_3)
	v_fmac_f32_e32 v27, v29, v20
	v_div_fixup_f32 v1, v13, v1, s18
	s_delay_alu instid0(VALU_DEP_3) | instskip(NEXT) | instid1(VALU_DEP_3)
	v_fmac_f32_e32 v25, v31, v22
	v_dual_fma_f32 v28, -v21, v30, v23 :: v_dual_fma_f32 v14, -v15, v27, v16
	s_delay_alu instid0(VALU_DEP_2) | instskip(NEXT) | instid1(VALU_DEP_2)
	v_fma_f32 v15, -v17, v25, v18
	v_div_fmas_f32 v14, v14, v20, v27
	s_mov_b32 vcc_lo, s4
	s_delay_alu instid0(VALU_DEP_1) | instskip(SKIP_1) | instid1(VALU_DEP_2)
	v_div_fixup_f32 v8, v14, v8, s18
	v_bfe_u32 v14, v1, 16, 1
	v_cmp_o_f32_e64 s2, v8, v8
	s_delay_alu instid0(VALU_DEP_2) | instskip(NEXT) | instid1(VALU_DEP_1)
	v_add3_u32 v14, v1, v14, 0x7fff
	v_dual_fmac_f32 v30, v28, v24 :: v_dual_lshrrev_b32 v14, 16, v14
	s_delay_alu instid0(VALU_DEP_1) | instskip(NEXT) | instid1(VALU_DEP_1)
	v_fma_f32 v16, -v21, v30, v23
	v_div_fmas_f32 v13, v16, v24, v30
	s_mov_b32 vcc_lo, s3
	v_div_fmas_f32 v15, v15, v22, v25
	v_cmp_o_f32_e32 vcc_lo, v1, v1
	s_delay_alu instid0(VALU_DEP_3) | instskip(SKIP_1) | instid1(VALU_DEP_4)
	v_div_fixup_f32 v12, v13, v12, s18
	v_bfe_u32 v13, v8, 16, 1
	v_div_fixup_f32 v9, v15, v9, s18
	v_cndmask_b32_e32 v14, 0x7fc0, v14, vcc_lo
	s_delay_alu instid0(VALU_DEP_4) | instskip(NEXT) | instid1(VALU_DEP_4)
	v_bfe_u32 v15, v12, 16, 1
	v_add3_u32 v13, v8, v13, 0x7fff
	v_cmp_o_f32_e32 vcc_lo, v12, v12
	v_bfe_u32 v16, v9, 16, 1
	s_delay_alu instid0(VALU_DEP_4) | instskip(NEXT) | instid1(VALU_DEP_4)
	v_add3_u32 v15, v12, v15, 0x7fff
	v_and_b32_e32 v13, 0xffff0000, v13
	s_delay_alu instid0(VALU_DEP_3) | instskip(NEXT) | instid1(VALU_DEP_3)
	v_add3_u32 v1, v9, v16, 0x7fff
	v_lshrrev_b32_e32 v8, 16, v15
	s_delay_alu instid0(VALU_DEP_3) | instskip(SKIP_1) | instid1(VALU_DEP_4)
	v_cndmask_b32_e64 v13, 0x7fc00000, v13, s2
	v_cmp_o_f32_e64 s2, v9, v9
	v_and_b32_e32 v1, 0xffff0000, v1
	s_delay_alu instid0(VALU_DEP_4) | instskip(NEXT) | instid1(VALU_DEP_4)
	v_cndmask_b32_e32 v12, 0x7fc0, v8, vcc_lo
	v_or_b32_e32 v13, v14, v13
	v_cmp_ge_i64_e32 vcc_lo, v[10:11], v[2:3]
	s_delay_alu instid0(VALU_DEP_4) | instskip(SKIP_3) | instid1(VALU_DEP_4)
	v_cndmask_b32_e64 v1, 0x7fc00000, v1, s2
	v_add_nc_u64_e32 v[8:9], s[10:11], v[4:5]
	v_add_nc_u64_e32 v[4:5], s[16:17], v[4:5]
	v_or3_b32 v10, v13, 0, 0
	v_or3_b32 v11, 0, v12, v1
	s_or_b32 s21, vcc_lo, s21
	global_store_b64 v[8:9], v[10:11], off
	s_wait_xcnt 0x0
	s_and_not1_b32 exec_lo, exec_lo, s21
	s_cbranch_execnz .LBB250_3
.LBB250_4:
	s_or_b32 exec_lo, exec_lo, s5
	s_mov_b32 s2, 0
.LBB250_5:
	s_delay_alu instid0(SALU_CYCLE_1)
	s_and_not1_b32 vcc_lo, exec_lo, s2
	s_cbranch_vccnz .LBB250_25
; %bb.6:
	v_cmp_lt_i64_e64 s2, s[12:13], 1
	s_and_b32 vcc_lo, exec_lo, s2
	s_cbranch_vccnz .LBB250_25
; %bb.7:
	s_load_b32 s0, s[0:1], 0xc5c
	v_min_i64 v[2:3], 0x10000, s[12:13]
	v_min_u64 v[4:5], 0x10000, s[12:13]
	v_dual_mov_b32 v1, 0 :: v_dual_lshlrev_b32 v10, 1, v0
	s_wait_xcnt 0x0
	s_mov_b32 s1, 0
	s_delay_alu instid0(SALU_CYCLE_1) | instskip(NEXT) | instid1(VALU_DEP_1)
	s_mov_b32 s5, s1
	v_dual_mov_b32 v11, v1 :: v_dual_mov_b32 v27, v1
	s_mov_b32 s3, s1
	s_mov_b32 s13, s1
	s_delay_alu instid0(VALU_DEP_1) | instskip(SKIP_2) | instid1(SALU_CYCLE_1)
	v_add_nc_u64_e32 v[6:7], s[8:9], v[10:11]
	s_wait_kmcnt 0x0
	s_and_b32 s0, s0, 0xffff
	v_add_nc_u64_e32 v[8:9], s[0:1], v[0:1]
	v_mad_nc_u64_u32 v[22:23], s0, 6, v[10:11]
	s_lshl_b32 s4, s0, 2
	s_mul_i32 s12, s0, 3
	v_add_nc_u64_e32 v[18:19], s[4:5], v[10:11]
	s_lshl_b32 s2, s0, 1
	v_add_nc_u64_e32 v[10:11], s[10:11], v[10:11]
	v_lshlrev_b32_e32 v26, 1, v8
	v_add_nc_u64_e32 v[12:13], s[12:13], v[0:1]
	v_add_nc_u64_e32 v[14:15], s[2:3], v[0:1]
	;; [unrolled: 1-line block ×8, first 2 shown]
	s_lshl_b32 s8, s0, 3
	s_mov_b32 s9, s1
	s_mov_b64 s[10:11], 0
	s_branch .LBB250_9
.LBB250_8:                              ;   in Loop: Header=BB250_9 Depth=1
	s_wait_xcnt 0x0
	s_or_b32 exec_lo, exec_lo, s1
	s_add_nc_u64 s[10:11], s[10:11], s[4:5]
	v_add_nc_u64_e32 v[6:7], s[8:9], v[6:7]
	v_cmp_ge_i64_e32 vcc_lo, s[10:11], v[2:3]
	v_add_nc_u64_e32 v[10:11], s[8:9], v[10:11]
	v_add_nc_u64_e32 v[20:21], s[8:9], v[20:21]
	;; [unrolled: 1-line block ×7, first 2 shown]
	s_cbranch_vccnz .LBB250_25
.LBB250_9:                              ; =>This Inner Loop Header: Depth=1
	v_add_nc_u64_e32 v[28:29], s[10:11], v[0:1]
	v_mov_b32_e32 v31, 0
	s_delay_alu instid0(VALU_DEP_2)
	v_cmp_lt_u64_e32 vcc_lo, v[28:29], v[4:5]
	s_and_saveexec_b32 s0, vcc_lo
	s_cbranch_execz .LBB250_11
; %bb.10:                               ;   in Loop: Header=BB250_9 Depth=1
	v_add_nc_u64_e32 v[28:29], s[6:7], v[6:7]
	global_load_u16 v28, v[28:29], off
	s_wait_loadcnt 0x0
	v_lshlrev_b32_e32 v31, 16, v28
.LBB250_11:                             ;   in Loop: Header=BB250_9 Depth=1
	s_wait_xcnt 0x0
	s_or_b32 exec_lo, exec_lo, s0
	v_add_nc_u64_e32 v[28:29], s[10:11], v[8:9]
	v_mov_b32_e32 v30, 0
	s_delay_alu instid0(VALU_DEP_2)
	v_cmp_lt_u64_e64 s2, v[28:29], v[4:5]
	v_mov_b32_e32 v29, 0
	s_and_saveexec_b32 s0, s2
	s_cbranch_execz .LBB250_13
; %bb.12:                               ;   in Loop: Header=BB250_9 Depth=1
	v_add_nc_u64_e32 v[32:33], s[6:7], v[24:25]
	global_load_u16 v28, v[32:33], off
	s_wait_loadcnt 0x0
	v_lshlrev_b32_e32 v30, 16, v28
.LBB250_13:                             ;   in Loop: Header=BB250_9 Depth=1
	s_wait_xcnt 0x0
	s_or_b32 exec_lo, exec_lo, s0
	v_add_nc_u64_e32 v[32:33], s[10:11], v[14:15]
	s_delay_alu instid0(VALU_DEP_1)
	v_cmp_lt_u64_e64 s1, v[32:33], v[4:5]
	s_and_saveexec_b32 s0, s1
	s_cbranch_execz .LBB250_15
; %bb.14:                               ;   in Loop: Header=BB250_9 Depth=1
	v_add_nc_u64_e32 v[28:29], s[6:7], v[16:17]
	global_load_u16 v28, v[28:29], off
	s_wait_loadcnt 0x0
	v_lshlrev_b32_e32 v29, 16, v28
.LBB250_15:                             ;   in Loop: Header=BB250_9 Depth=1
	s_or_b32 exec_lo, exec_lo, s0
	v_add_nc_u64_e32 v[32:33], s[10:11], v[12:13]
	v_mov_b32_e32 v28, 0
	s_delay_alu instid0(VALU_DEP_2)
	v_cmp_lt_u64_e64 s0, v[32:33], v[4:5]
	s_and_saveexec_b32 s3, s0
	s_cbranch_execnz .LBB250_20
; %bb.16:                               ;   in Loop: Header=BB250_9 Depth=1
	s_or_b32 exec_lo, exec_lo, s3
	s_and_saveexec_b32 s3, vcc_lo
	s_cbranch_execnz .LBB250_21
.LBB250_17:                             ;   in Loop: Header=BB250_9 Depth=1
	s_or_b32 exec_lo, exec_lo, s3
	s_and_saveexec_b32 s3, s2
	s_cbranch_execnz .LBB250_22
.LBB250_18:                             ;   in Loop: Header=BB250_9 Depth=1
	s_or_b32 exec_lo, exec_lo, s3
	s_and_saveexec_b32 s2, s1
	s_cbranch_execnz .LBB250_23
.LBB250_19:                             ;   in Loop: Header=BB250_9 Depth=1
	s_or_b32 exec_lo, exec_lo, s2
	s_and_saveexec_b32 s1, s0
	s_cbranch_execz .LBB250_8
	s_branch .LBB250_24
.LBB250_20:                             ;   in Loop: Header=BB250_9 Depth=1
	v_add_nc_u64_e32 v[32:33], s[6:7], v[20:21]
	global_load_u16 v28, v[32:33], off
	s_wait_loadcnt 0x0
	v_lshlrev_b32_e32 v28, 16, v28
	s_wait_xcnt 0x0
	s_or_b32 exec_lo, exec_lo, s3
	s_and_saveexec_b32 s3, vcc_lo
	s_cbranch_execz .LBB250_17
.LBB250_21:                             ;   in Loop: Header=BB250_9 Depth=1
	v_mul_f32_e32 v32, 0xbfb8aa3b, v31
	v_cmp_nlt_f32_e32 vcc_lo, 0x42ce8ed0, v31
	s_delay_alu instid0(VALU_DEP_2) | instskip(SKIP_1) | instid1(VALU_DEP_2)
	v_rndne_f32_e32 v33, v32
	v_fma_f32 v34, 0xbfb8aa3b, v31, -v32
	v_sub_f32_e32 v32, v32, v33
	s_delay_alu instid0(VALU_DEP_2) | instskip(SKIP_1) | instid1(VALU_DEP_2)
	v_fmac_f32_e32 v34, 0xb2a5705f, v31
	v_cvt_i32_f32_e32 v33, v33
	v_add_f32_e32 v32, v32, v34
	s_delay_alu instid0(VALU_DEP_1) | instskip(SKIP_1) | instid1(TRANS32_DEP_1)
	v_exp_f32_e32 v32, v32
	v_nop
	v_ldexp_f32 v32, v32, v33
	s_delay_alu instid0(VALU_DEP_1) | instskip(SKIP_1) | instid1(VALU_DEP_2)
	v_cndmask_b32_e32 v32, 0, v32, vcc_lo
	v_cmp_ngt_f32_e32 vcc_lo, 0xc2b17218, v31
	v_cndmask_b32_e32 v31, 0x7f800000, v32, vcc_lo
	s_delay_alu instid0(VALU_DEP_1) | instskip(NEXT) | instid1(VALU_DEP_1)
	v_add_f32_e32 v31, s18, v31
	v_div_scale_f32 v32, null, v31, v31, s18
	s_delay_alu instid0(VALU_DEP_1) | instskip(SKIP_1) | instid1(TRANS32_DEP_1)
	v_rcp_f32_e32 v33, v32
	v_nop
	v_fma_f32 v34, -v32, v33, 1.0
	s_delay_alu instid0(VALU_DEP_1) | instskip(SKIP_1) | instid1(VALU_DEP_1)
	v_fmac_f32_e32 v33, v34, v33
	v_div_scale_f32 v34, vcc_lo, s18, v31, s18
	v_mul_f32_e32 v35, v34, v33
	s_delay_alu instid0(VALU_DEP_1) | instskip(NEXT) | instid1(VALU_DEP_1)
	v_fma_f32 v36, -v32, v35, v34
	v_fmac_f32_e32 v35, v36, v33
	s_delay_alu instid0(VALU_DEP_1) | instskip(NEXT) | instid1(VALU_DEP_1)
	v_fma_f32 v32, -v32, v35, v34
	v_div_fmas_f32 v32, v32, v33, v35
	s_delay_alu instid0(VALU_DEP_1) | instskip(NEXT) | instid1(VALU_DEP_1)
	v_div_fixup_f32 v31, v32, v31, s18
	v_bfe_u32 v32, v31, 16, 1
	v_cmp_o_f32_e32 vcc_lo, v31, v31
	s_delay_alu instid0(VALU_DEP_2) | instskip(NEXT) | instid1(VALU_DEP_1)
	v_add3_u32 v32, v31, v32, 0x7fff
	v_lshrrev_b32_e32 v34, 16, v32
	v_add_nc_u64_e32 v[32:33], s[6:7], v[10:11]
	s_delay_alu instid0(VALU_DEP_2)
	v_cndmask_b32_e32 v31, 0x7fc0, v34, vcc_lo
	global_store_b16 v[32:33], v31, off
	s_wait_xcnt 0x0
	s_or_b32 exec_lo, exec_lo, s3
	s_and_saveexec_b32 s3, s2
	s_cbranch_execz .LBB250_18
.LBB250_22:                             ;   in Loop: Header=BB250_9 Depth=1
	v_mul_f32_e32 v31, 0xbfb8aa3b, v30
	v_cmp_nlt_f32_e32 vcc_lo, 0x42ce8ed0, v30
	s_delay_alu instid0(VALU_DEP_2) | instskip(SKIP_1) | instid1(VALU_DEP_2)
	v_rndne_f32_e32 v32, v31
	v_fma_f32 v33, 0xbfb8aa3b, v30, -v31
	v_sub_f32_e32 v31, v31, v32
	s_delay_alu instid0(VALU_DEP_2) | instskip(SKIP_1) | instid1(VALU_DEP_2)
	v_fmac_f32_e32 v33, 0xb2a5705f, v30
	v_cvt_i32_f32_e32 v32, v32
	v_add_f32_e32 v31, v31, v33
	s_delay_alu instid0(VALU_DEP_1) | instskip(SKIP_1) | instid1(TRANS32_DEP_1)
	v_exp_f32_e32 v31, v31
	v_nop
	v_ldexp_f32 v31, v31, v32
	s_delay_alu instid0(VALU_DEP_1) | instskip(SKIP_1) | instid1(VALU_DEP_2)
	v_cndmask_b32_e32 v31, 0, v31, vcc_lo
	v_cmp_ngt_f32_e32 vcc_lo, 0xc2b17218, v30
	v_cndmask_b32_e32 v30, 0x7f800000, v31, vcc_lo
	s_delay_alu instid0(VALU_DEP_1) | instskip(NEXT) | instid1(VALU_DEP_1)
	v_add_f32_e32 v30, s18, v30
	v_div_scale_f32 v31, null, v30, v30, s18
	s_delay_alu instid0(VALU_DEP_1) | instskip(SKIP_1) | instid1(TRANS32_DEP_1)
	v_rcp_f32_e32 v32, v31
	v_nop
	v_fma_f32 v33, -v31, v32, 1.0
	s_delay_alu instid0(VALU_DEP_1) | instskip(SKIP_1) | instid1(VALU_DEP_1)
	v_fmac_f32_e32 v32, v33, v32
	v_div_scale_f32 v33, vcc_lo, s18, v30, s18
	v_mul_f32_e32 v34, v33, v32
	s_delay_alu instid0(VALU_DEP_1) | instskip(NEXT) | instid1(VALU_DEP_1)
	v_fma_f32 v35, -v31, v34, v33
	v_fmac_f32_e32 v34, v35, v32
	s_delay_alu instid0(VALU_DEP_1) | instskip(NEXT) | instid1(VALU_DEP_1)
	v_fma_f32 v31, -v31, v34, v33
	v_div_fmas_f32 v31, v31, v32, v34
	s_delay_alu instid0(VALU_DEP_1) | instskip(NEXT) | instid1(VALU_DEP_1)
	v_div_fixup_f32 v32, v31, v30, s18
	v_bfe_u32 v30, v32, 16, 1
	v_cmp_o_f32_e32 vcc_lo, v32, v32
	s_delay_alu instid0(VALU_DEP_2) | instskip(NEXT) | instid1(VALU_DEP_1)
	v_add3_u32 v30, v32, v30, 0x7fff
	v_lshrrev_b32_e32 v33, 16, v30
	v_add_nc_u64_e32 v[30:31], s[6:7], v[26:27]
	s_delay_alu instid0(VALU_DEP_2)
	v_cndmask_b32_e32 v32, 0x7fc0, v33, vcc_lo
	global_store_b16 v[30:31], v32, off
	s_wait_xcnt 0x0
	s_or_b32 exec_lo, exec_lo, s3
	s_and_saveexec_b32 s2, s1
	s_cbranch_execz .LBB250_19
.LBB250_23:                             ;   in Loop: Header=BB250_9 Depth=1
	v_mul_f32_e32 v30, 0xbfb8aa3b, v29
	v_cmp_nlt_f32_e32 vcc_lo, 0x42ce8ed0, v29
	s_delay_alu instid0(VALU_DEP_2) | instskip(SKIP_1) | instid1(VALU_DEP_2)
	v_rndne_f32_e32 v31, v30
	v_fma_f32 v32, 0xbfb8aa3b, v29, -v30
	v_sub_f32_e32 v30, v30, v31
	s_delay_alu instid0(VALU_DEP_2) | instskip(SKIP_1) | instid1(VALU_DEP_2)
	v_fmac_f32_e32 v32, 0xb2a5705f, v29
	v_cvt_i32_f32_e32 v31, v31
	v_add_f32_e32 v30, v30, v32
	s_delay_alu instid0(VALU_DEP_1) | instskip(SKIP_1) | instid1(TRANS32_DEP_1)
	v_exp_f32_e32 v30, v30
	v_nop
	v_ldexp_f32 v30, v30, v31
	s_delay_alu instid0(VALU_DEP_1) | instskip(SKIP_1) | instid1(VALU_DEP_2)
	v_cndmask_b32_e32 v30, 0, v30, vcc_lo
	v_cmp_ngt_f32_e32 vcc_lo, 0xc2b17218, v29
	v_cndmask_b32_e32 v29, 0x7f800000, v30, vcc_lo
	s_delay_alu instid0(VALU_DEP_1) | instskip(NEXT) | instid1(VALU_DEP_1)
	v_add_f32_e32 v29, s18, v29
	v_div_scale_f32 v30, null, v29, v29, s18
	s_delay_alu instid0(VALU_DEP_1) | instskip(SKIP_1) | instid1(TRANS32_DEP_1)
	v_rcp_f32_e32 v31, v30
	v_nop
	v_fma_f32 v32, -v30, v31, 1.0
	s_delay_alu instid0(VALU_DEP_1) | instskip(SKIP_1) | instid1(VALU_DEP_1)
	v_fmac_f32_e32 v31, v32, v31
	v_div_scale_f32 v32, vcc_lo, s18, v29, s18
	v_mul_f32_e32 v33, v32, v31
	s_delay_alu instid0(VALU_DEP_1) | instskip(NEXT) | instid1(VALU_DEP_1)
	v_fma_f32 v34, -v30, v33, v32
	v_fmac_f32_e32 v33, v34, v31
	s_delay_alu instid0(VALU_DEP_1) | instskip(NEXT) | instid1(VALU_DEP_1)
	v_fma_f32 v30, -v30, v33, v32
	v_div_fmas_f32 v30, v30, v31, v33
	s_delay_alu instid0(VALU_DEP_1) | instskip(NEXT) | instid1(VALU_DEP_1)
	v_div_fixup_f32 v29, v30, v29, s18
	v_bfe_u32 v30, v29, 16, 1
	v_cmp_o_f32_e32 vcc_lo, v29, v29
	s_delay_alu instid0(VALU_DEP_2) | instskip(NEXT) | instid1(VALU_DEP_1)
	v_add3_u32 v30, v29, v30, 0x7fff
	v_lshrrev_b32_e32 v32, 16, v30
	v_add_nc_u64_e32 v[30:31], s[6:7], v[18:19]
	s_delay_alu instid0(VALU_DEP_2)
	v_cndmask_b32_e32 v29, 0x7fc0, v32, vcc_lo
	global_store_b16 v[30:31], v29, off
	s_wait_xcnt 0x0
	s_or_b32 exec_lo, exec_lo, s2
	s_and_saveexec_b32 s1, s0
	s_cbranch_execz .LBB250_8
.LBB250_24:                             ;   in Loop: Header=BB250_9 Depth=1
	v_mul_f32_e32 v29, 0xbfb8aa3b, v28
	v_cmp_nlt_f32_e32 vcc_lo, 0x42ce8ed0, v28
	s_delay_alu instid0(VALU_DEP_2) | instskip(SKIP_1) | instid1(VALU_DEP_2)
	v_rndne_f32_e32 v30, v29
	v_fma_f32 v31, 0xbfb8aa3b, v28, -v29
	v_sub_f32_e32 v29, v29, v30
	s_delay_alu instid0(VALU_DEP_2) | instskip(SKIP_1) | instid1(VALU_DEP_2)
	v_fmac_f32_e32 v31, 0xb2a5705f, v28
	v_cvt_i32_f32_e32 v30, v30
	v_add_f32_e32 v29, v29, v31
	s_delay_alu instid0(VALU_DEP_1) | instskip(SKIP_1) | instid1(TRANS32_DEP_1)
	v_exp_f32_e32 v29, v29
	v_nop
	v_ldexp_f32 v29, v29, v30
	s_delay_alu instid0(VALU_DEP_1) | instskip(SKIP_1) | instid1(VALU_DEP_2)
	v_cndmask_b32_e32 v29, 0, v29, vcc_lo
	v_cmp_ngt_f32_e32 vcc_lo, 0xc2b17218, v28
	v_cndmask_b32_e32 v28, 0x7f800000, v29, vcc_lo
	s_delay_alu instid0(VALU_DEP_1) | instskip(NEXT) | instid1(VALU_DEP_1)
	v_add_f32_e32 v28, s18, v28
	v_div_scale_f32 v29, null, v28, v28, s18
	s_delay_alu instid0(VALU_DEP_1) | instskip(SKIP_1) | instid1(TRANS32_DEP_1)
	v_rcp_f32_e32 v30, v29
	v_nop
	v_fma_f32 v31, -v29, v30, 1.0
	s_delay_alu instid0(VALU_DEP_1) | instskip(SKIP_1) | instid1(VALU_DEP_1)
	v_fmac_f32_e32 v30, v31, v30
	v_div_scale_f32 v31, vcc_lo, s18, v28, s18
	v_mul_f32_e32 v32, v31, v30
	s_delay_alu instid0(VALU_DEP_1) | instskip(NEXT) | instid1(VALU_DEP_1)
	v_fma_f32 v33, -v29, v32, v31
	v_fmac_f32_e32 v32, v33, v30
	s_delay_alu instid0(VALU_DEP_1) | instskip(NEXT) | instid1(VALU_DEP_1)
	v_fma_f32 v29, -v29, v32, v31
	v_div_fmas_f32 v29, v29, v30, v32
	s_delay_alu instid0(VALU_DEP_1) | instskip(NEXT) | instid1(VALU_DEP_1)
	v_div_fixup_f32 v30, v29, v28, s18
	v_bfe_u32 v28, v30, 16, 1
	v_cmp_o_f32_e32 vcc_lo, v30, v30
	s_delay_alu instid0(VALU_DEP_2) | instskip(NEXT) | instid1(VALU_DEP_1)
	v_add3_u32 v28, v30, v28, 0x7fff
	v_lshrrev_b32_e32 v31, 16, v28
	v_add_nc_u64_e32 v[28:29], s[6:7], v[22:23]
	s_delay_alu instid0(VALU_DEP_2)
	v_cndmask_b32_e32 v30, 0x7fc0, v31, vcc_lo
	global_store_b16 v[28:29], v30, off
	s_branch .LBB250_8
.LBB250_25:
	s_endpgm
	.section	.rodata,"a",@progbits
	.p2align	6, 0x0
	.amdhsa_kernel _ZN2at6native12_GLOBAL__N_125multi_tensor_apply_kernelINS1_18TensorListMetadataILi2EEENS1_14UnaryOpFunctorIN3c108BFloat16ELi2ELi1ELi1EEEJNS0_7SigmoidIfEEEEEvT_T0_DpT1_
		.amdhsa_group_segment_fixed_size 0
		.amdhsa_private_segment_fixed_size 0
		.amdhsa_kernarg_size 3408
		.amdhsa_user_sgpr_count 2
		.amdhsa_user_sgpr_dispatch_ptr 0
		.amdhsa_user_sgpr_queue_ptr 0
		.amdhsa_user_sgpr_kernarg_segment_ptr 1
		.amdhsa_user_sgpr_dispatch_id 0
		.amdhsa_user_sgpr_kernarg_preload_length 0
		.amdhsa_user_sgpr_kernarg_preload_offset 0
		.amdhsa_user_sgpr_private_segment_size 0
		.amdhsa_wavefront_size32 1
		.amdhsa_uses_dynamic_stack 0
		.amdhsa_enable_private_segment 0
		.amdhsa_system_sgpr_workgroup_id_x 1
		.amdhsa_system_sgpr_workgroup_id_y 0
		.amdhsa_system_sgpr_workgroup_id_z 0
		.amdhsa_system_sgpr_workgroup_info 0
		.amdhsa_system_vgpr_workitem_id 0
		.amdhsa_next_free_vgpr 37
		.amdhsa_next_free_sgpr 22
		.amdhsa_named_barrier_count 0
		.amdhsa_reserve_vcc 1
		.amdhsa_float_round_mode_32 0
		.amdhsa_float_round_mode_16_64 0
		.amdhsa_float_denorm_mode_32 3
		.amdhsa_float_denorm_mode_16_64 3
		.amdhsa_fp16_overflow 0
		.amdhsa_memory_ordered 1
		.amdhsa_forward_progress 1
		.amdhsa_inst_pref_size 24
		.amdhsa_round_robin_scheduling 0
		.amdhsa_exception_fp_ieee_invalid_op 0
		.amdhsa_exception_fp_denorm_src 0
		.amdhsa_exception_fp_ieee_div_zero 0
		.amdhsa_exception_fp_ieee_overflow 0
		.amdhsa_exception_fp_ieee_underflow 0
		.amdhsa_exception_fp_ieee_inexact 0
		.amdhsa_exception_int_div_zero 0
	.end_amdhsa_kernel
	.section	.text._ZN2at6native12_GLOBAL__N_125multi_tensor_apply_kernelINS1_18TensorListMetadataILi2EEENS1_14UnaryOpFunctorIN3c108BFloat16ELi2ELi1ELi1EEEJNS0_7SigmoidIfEEEEEvT_T0_DpT1_,"axG",@progbits,_ZN2at6native12_GLOBAL__N_125multi_tensor_apply_kernelINS1_18TensorListMetadataILi2EEENS1_14UnaryOpFunctorIN3c108BFloat16ELi2ELi1ELi1EEEJNS0_7SigmoidIfEEEEEvT_T0_DpT1_,comdat
.Lfunc_end250:
	.size	_ZN2at6native12_GLOBAL__N_125multi_tensor_apply_kernelINS1_18TensorListMetadataILi2EEENS1_14UnaryOpFunctorIN3c108BFloat16ELi2ELi1ELi1EEEJNS0_7SigmoidIfEEEEEvT_T0_DpT1_, .Lfunc_end250-_ZN2at6native12_GLOBAL__N_125multi_tensor_apply_kernelINS1_18TensorListMetadataILi2EEENS1_14UnaryOpFunctorIN3c108BFloat16ELi2ELi1ELi1EEEJNS0_7SigmoidIfEEEEEvT_T0_DpT1_
                                        ; -- End function
	.set _ZN2at6native12_GLOBAL__N_125multi_tensor_apply_kernelINS1_18TensorListMetadataILi2EEENS1_14UnaryOpFunctorIN3c108BFloat16ELi2ELi1ELi1EEEJNS0_7SigmoidIfEEEEEvT_T0_DpT1_.num_vgpr, 37
	.set _ZN2at6native12_GLOBAL__N_125multi_tensor_apply_kernelINS1_18TensorListMetadataILi2EEENS1_14UnaryOpFunctorIN3c108BFloat16ELi2ELi1ELi1EEEJNS0_7SigmoidIfEEEEEvT_T0_DpT1_.num_agpr, 0
	.set _ZN2at6native12_GLOBAL__N_125multi_tensor_apply_kernelINS1_18TensorListMetadataILi2EEENS1_14UnaryOpFunctorIN3c108BFloat16ELi2ELi1ELi1EEEJNS0_7SigmoidIfEEEEEvT_T0_DpT1_.numbered_sgpr, 22
	.set _ZN2at6native12_GLOBAL__N_125multi_tensor_apply_kernelINS1_18TensorListMetadataILi2EEENS1_14UnaryOpFunctorIN3c108BFloat16ELi2ELi1ELi1EEEJNS0_7SigmoidIfEEEEEvT_T0_DpT1_.num_named_barrier, 0
	.set _ZN2at6native12_GLOBAL__N_125multi_tensor_apply_kernelINS1_18TensorListMetadataILi2EEENS1_14UnaryOpFunctorIN3c108BFloat16ELi2ELi1ELi1EEEJNS0_7SigmoidIfEEEEEvT_T0_DpT1_.private_seg_size, 0
	.set _ZN2at6native12_GLOBAL__N_125multi_tensor_apply_kernelINS1_18TensorListMetadataILi2EEENS1_14UnaryOpFunctorIN3c108BFloat16ELi2ELi1ELi1EEEJNS0_7SigmoidIfEEEEEvT_T0_DpT1_.uses_vcc, 1
	.set _ZN2at6native12_GLOBAL__N_125multi_tensor_apply_kernelINS1_18TensorListMetadataILi2EEENS1_14UnaryOpFunctorIN3c108BFloat16ELi2ELi1ELi1EEEJNS0_7SigmoidIfEEEEEvT_T0_DpT1_.uses_flat_scratch, 0
	.set _ZN2at6native12_GLOBAL__N_125multi_tensor_apply_kernelINS1_18TensorListMetadataILi2EEENS1_14UnaryOpFunctorIN3c108BFloat16ELi2ELi1ELi1EEEJNS0_7SigmoidIfEEEEEvT_T0_DpT1_.has_dyn_sized_stack, 0
	.set _ZN2at6native12_GLOBAL__N_125multi_tensor_apply_kernelINS1_18TensorListMetadataILi2EEENS1_14UnaryOpFunctorIN3c108BFloat16ELi2ELi1ELi1EEEJNS0_7SigmoidIfEEEEEvT_T0_DpT1_.has_recursion, 0
	.set _ZN2at6native12_GLOBAL__N_125multi_tensor_apply_kernelINS1_18TensorListMetadataILi2EEENS1_14UnaryOpFunctorIN3c108BFloat16ELi2ELi1ELi1EEEJNS0_7SigmoidIfEEEEEvT_T0_DpT1_.has_indirect_call, 0
	.section	.AMDGPU.csdata,"",@progbits
; Kernel info:
; codeLenInByte = 3072
; TotalNumSgprs: 24
; NumVgprs: 37
; ScratchSize: 0
; MemoryBound: 0
; FloatMode: 240
; IeeeMode: 1
; LDSByteSize: 0 bytes/workgroup (compile time only)
; SGPRBlocks: 0
; VGPRBlocks: 2
; NumSGPRsForWavesPerEU: 24
; NumVGPRsForWavesPerEU: 37
; NamedBarCnt: 0
; Occupancy: 16
; WaveLimiterHint : 0
; COMPUTE_PGM_RSRC2:SCRATCH_EN: 0
; COMPUTE_PGM_RSRC2:USER_SGPR: 2
; COMPUTE_PGM_RSRC2:TRAP_HANDLER: 0
; COMPUTE_PGM_RSRC2:TGID_X_EN: 1
; COMPUTE_PGM_RSRC2:TGID_Y_EN: 0
; COMPUTE_PGM_RSRC2:TGID_Z_EN: 0
; COMPUTE_PGM_RSRC2:TIDIG_COMP_CNT: 0
	.section	.text._ZN2at6native12_GLOBAL__N_125multi_tensor_apply_kernelINS1_18TensorListMetadataILi1EEENS1_14UnaryOpFunctorIdLi1ELi1ELi0EEEJNS0_7SigmoidIdEEEEEvT_T0_DpT1_,"axG",@progbits,_ZN2at6native12_GLOBAL__N_125multi_tensor_apply_kernelINS1_18TensorListMetadataILi1EEENS1_14UnaryOpFunctorIdLi1ELi1ELi0EEEJNS0_7SigmoidIdEEEEEvT_T0_DpT1_,comdat
	.globl	_ZN2at6native12_GLOBAL__N_125multi_tensor_apply_kernelINS1_18TensorListMetadataILi1EEENS1_14UnaryOpFunctorIdLi1ELi1ELi0EEEJNS0_7SigmoidIdEEEEEvT_T0_DpT1_ ; -- Begin function _ZN2at6native12_GLOBAL__N_125multi_tensor_apply_kernelINS1_18TensorListMetadataILi1EEENS1_14UnaryOpFunctorIdLi1ELi1ELi0EEEJNS0_7SigmoidIdEEEEEvT_T0_DpT1_
	.p2align	8
	.type	_ZN2at6native12_GLOBAL__N_125multi_tensor_apply_kernelINS1_18TensorListMetadataILi1EEENS1_14UnaryOpFunctorIdLi1ELi1ELi0EEEJNS0_7SigmoidIdEEEEEvT_T0_DpT1_,@function
_ZN2at6native12_GLOBAL__N_125multi_tensor_apply_kernelINS1_18TensorListMetadataILi1EEENS1_14UnaryOpFunctorIdLi1ELi1ELi0EEEJNS0_7SigmoidIdEEEEEvT_T0_DpT1_: ; @_ZN2at6native12_GLOBAL__N_125multi_tensor_apply_kernelINS1_18TensorListMetadataILi1EEENS1_14UnaryOpFunctorIdLi1ELi1ELi0EEEJNS0_7SigmoidIdEEEEEvT_T0_DpT1_
; %bb.0:
	s_bfe_u32 s2, ttmp6, 0x4000c
	s_and_b32 s3, ttmp6, 15
	s_add_co_i32 s2, s2, 1
	s_getreg_b32 s4, hwreg(HW_REG_IB_STS2, 6, 4)
	s_mul_i32 s2, ttmp9, s2
	s_delay_alu instid0(SALU_CYCLE_1)
	s_add_co_i32 s3, s3, s2
	s_cmp_eq_u32 s4, 0
	s_cselect_b32 s2, ttmp9, s3
	s_mov_b32 s3, 0
	s_load_u8 s10, s[0:1], s2 offset:0x6e0
	s_add_nc_u64 s[4:5], s[0:1], s[2:3]
	s_mul_u64 s[6:7], s[2:3], 3
	s_delay_alu instid0(SALU_CYCLE_1)
	s_add_nc_u64 s[4:5], s[4:5], s[6:7]
	s_load_b32 s12, s[4:5], 0x820
	s_wait_kmcnt 0x0
	s_clause 0x2
	s_load_b64 s[6:7], s[0:1], s10 offset:0x0 scale_offset
	s_load_b64 s[14:15], s[0:1], s10 offset:0x370 scale_offset
	s_load_b64 s[8:9], s[0:1], 0xd30
	s_ashr_i32 s13, s12, 31
	s_wait_kmcnt 0x0
	s_and_b64 s[4:5], s[6:7], 31
	s_and_b32 s2, s14, 3
	s_lshl_b64 s[10:11], s[12:13], 19
	s_or_b64 s[2:3], s[4:5], s[2:3]
	s_lshl_b64 s[4:5], s[12:13], 16
	s_cmp_eq_u64 s[2:3], 0
	s_sub_nc_u64 s[12:13], s[14:15], s[4:5]
	s_cbranch_scc1 .LBB251_21
; %bb.1:
	v_cmp_lt_i64_e64 s2, s[12:13], 1
	s_and_b32 vcc_lo, exec_lo, s2
	s_cbranch_vccnz .LBB251_20
; %bb.2:
	s_load_b32 s4, s[0:1], 0xd44
	v_min_i64 v[2:3], 0x10000, s[12:13]
	v_min_u64 v[4:5], 0x10000, s[12:13]
	v_dual_mov_b32 v1, 0 :: v_dual_lshlrev_b32 v8, 3, v0
	s_mov_b32 s23, 0
	s_add_nc_u64 s[2:3], s[6:7], s[10:11]
	s_mov_b32 s5, s23
	s_delay_alu instid0(VALU_DEP_1) | instskip(SKIP_3) | instid1(VALU_DEP_2)
	v_dual_mov_b32 v9, v1 :: v_dual_mov_b32 v15, v1
	s_mov_b32 s21, s23
	v_mov_b64_e32 v[16:17], 0x3e928af3fca7ab0c
	s_mov_b64 s[14:15], 0xbfe62e42fefa39ef
	v_add_nc_u64_e32 v[8:9], s[2:3], v[8:9]
	s_mov_b32 s17, s23
	s_mov_b32 s19, s23
	s_mov_b64 s[24:25], 0
                                        ; implicit-def: $vgpr18_vgpr19
                                        ; implicit-def: $vgpr18_vgpr19
	;; [unrolled: 1-line block ×8, first 2 shown]
	s_wait_kmcnt 0x0
	s_and_b32 s22, s4, 0xffff
	s_delay_alu instid0(SALU_CYCLE_1)
	v_add_nc_u64_e32 v[6:7], s[22:23], v[0:1]
	s_lshl_b32 s4, s22, 1
	s_mul_i32 s20, s22, 3
	v_add_nc_u64_e32 v[12:13], s[4:5], v[0:1]
	v_add_nc_u64_e32 v[10:11], s[20:21], v[0:1]
	s_lshl_b32 s16, s22, 2
	s_lshl_b32 s18, s22, 5
	v_lshlrev_b32_e32 v14, 3, v6
	s_mul_u64 s[20:21], s[22:23], 24
	s_lshl_b32 s22, s22, 4
	s_delay_alu instid0(VALU_DEP_1)
	v_add_nc_u64_e32 v[14:15], s[2:3], v[14:15]
	s_branch .LBB251_4
.LBB251_3:                              ;   in Loop: Header=BB251_4 Depth=1
	s_wait_xcnt 0x0
	s_or_b32 exec_lo, exec_lo, s3
	s_add_nc_u64 s[24:25], s[24:25], s[16:17]
	v_add_nc_u64_e32 v[8:9], s[18:19], v[8:9]
	v_cmp_lt_i64_e32 vcc_lo, s[24:25], v[2:3]
	v_add_nc_u64_e32 v[14:15], s[18:19], v[14:15]
	s_cbranch_vccz .LBB251_20
.LBB251_4:                              ; =>This Inner Loop Header: Depth=1
	v_add_nc_u64_e32 v[18:19], s[24:25], v[0:1]
	s_wait_loadcnt 0x0
	v_mov_b64_e32 v[26:27], 0
	v_mov_b64_e32 v[28:29], 0
	s_delay_alu instid0(VALU_DEP_3)
	v_cmp_lt_u64_e32 vcc_lo, v[18:19], v[4:5]
	s_and_saveexec_b32 s2, vcc_lo
	s_cbranch_execz .LBB251_6
; %bb.5:                                ;   in Loop: Header=BB251_4 Depth=1
	global_load_b64 v[28:29], v[8:9], off
.LBB251_6:                              ;   in Loop: Header=BB251_4 Depth=1
	s_wait_xcnt 0x0
	s_or_b32 exec_lo, exec_lo, s2
	v_add_nc_u64_e32 v[18:19], s[24:25], v[6:7]
	s_delay_alu instid0(VALU_DEP_1)
	v_cmp_lt_u64_e64 s4, v[18:19], v[4:5]
	s_and_saveexec_b32 s2, s4
	s_cbranch_execz .LBB251_8
; %bb.7:                                ;   in Loop: Header=BB251_4 Depth=1
	global_load_b64 v[26:27], v[14:15], off
.LBB251_8:                              ;   in Loop: Header=BB251_4 Depth=1
	s_wait_xcnt 0x0
	s_or_b32 exec_lo, exec_lo, s2
	v_add_nc_u64_e32 v[18:19], s[24:25], v[12:13]
	v_mov_b64_e32 v[20:21], 0
	v_add_nc_u64_e32 v[22:23], s[22:23], v[8:9]
	v_mov_b64_e32 v[24:25], 0
	s_delay_alu instid0(VALU_DEP_4)
	v_cmp_lt_u64_e64 s3, v[18:19], v[4:5]
	s_and_saveexec_b32 s2, s3
	s_cbranch_execz .LBB251_10
; %bb.9:                                ;   in Loop: Header=BB251_4 Depth=1
	global_load_b64 v[24:25], v[22:23], off
.LBB251_10:                             ;   in Loop: Header=BB251_4 Depth=1
	s_wait_xcnt 0x0
	s_or_b32 exec_lo, exec_lo, s2
	v_add_nc_u64_e32 v[18:19], s[24:25], v[10:11]
	s_delay_alu instid0(VALU_DEP_1)
	v_cmp_lt_u64_e64 s2, v[18:19], v[4:5]
	v_add_nc_u64_e32 v[18:19], s[20:21], v[8:9]
	s_and_saveexec_b32 s5, s2
	s_cbranch_execnz .LBB251_15
; %bb.11:                               ;   in Loop: Header=BB251_4 Depth=1
	s_or_b32 exec_lo, exec_lo, s5
	s_and_saveexec_b32 s26, vcc_lo
	s_cbranch_execnz .LBB251_16
.LBB251_12:                             ;   in Loop: Header=BB251_4 Depth=1
	s_or_b32 exec_lo, exec_lo, s26
	s_and_saveexec_b32 s5, s4
	s_cbranch_execnz .LBB251_17
.LBB251_13:                             ;   in Loop: Header=BB251_4 Depth=1
	s_or_b32 exec_lo, exec_lo, s5
	s_and_saveexec_b32 s4, s3
	s_cbranch_execnz .LBB251_18
.LBB251_14:                             ;   in Loop: Header=BB251_4 Depth=1
	s_or_b32 exec_lo, exec_lo, s4
	s_and_saveexec_b32 s3, s2
	s_cbranch_execz .LBB251_3
	s_branch .LBB251_19
.LBB251_15:                             ;   in Loop: Header=BB251_4 Depth=1
	global_load_b64 v[20:21], v[18:19], off
	s_wait_xcnt 0x0
	s_or_b32 exec_lo, exec_lo, s5
	s_and_saveexec_b32 s26, vcc_lo
	s_cbranch_execz .LBB251_12
.LBB251_16:                             ;   in Loop: Header=BB251_4 Depth=1
	s_wait_loadcnt 0x0
	v_mul_f64_e32 v[30:31], 0xbff71547652b82fe, v[28:29]
	v_cmp_ngt_f64_e32 vcc_lo, 0xc0900000, v[28:29]
	v_cmp_nlt_f64_e64 s5, 0x4090cc00, v[28:29]
	s_delay_alu instid0(VALU_DEP_3) | instskip(NEXT) | instid1(VALU_DEP_1)
	v_rndne_f64_e32 v[30:31], v[30:31]
	v_fma_f64 v[32:33], v[30:31], s[14:15], -v[28:29]
	v_cvt_i32_f64_e32 v36, v[30:31]
	s_delay_alu instid0(VALU_DEP_2) | instskip(NEXT) | instid1(VALU_DEP_1)
	v_fmac_f64_e32 v[32:33], 0xbc7abc9e3b39803f, v[30:31]
	v_fmamk_f64 v[34:35], v[32:33], 0x3e5ade156a5dcb37, v[16:17]
	s_delay_alu instid0(VALU_DEP_1) | instskip(NEXT) | instid1(VALU_DEP_1)
	v_fmaak_f64 v[34:35], v[32:33], v[34:35], 0x3ec71dee623fde64
	v_fmaak_f64 v[34:35], v[32:33], v[34:35], 0x3efa01997c89e6b0
	s_delay_alu instid0(VALU_DEP_1) | instskip(NEXT) | instid1(VALU_DEP_1)
	v_fmaak_f64 v[34:35], v[32:33], v[34:35], 0x3f2a01a014761f6e
	v_fmaak_f64 v[34:35], v[32:33], v[34:35], 0x3f56c16c1852b7b0
	;; [unrolled: 3-line block ×4, first 2 shown]
	s_delay_alu instid0(VALU_DEP_1) | instskip(NEXT) | instid1(VALU_DEP_1)
	v_fma_f64 v[34:35], v[32:33], v[34:35], 1.0
	v_fma_f64 v[30:31], v[32:33], v[34:35], 1.0
	s_delay_alu instid0(VALU_DEP_1) | instskip(NEXT) | instid1(VALU_DEP_1)
	v_ldexp_f64 v[30:31], v[30:31], v36
	v_cndmask_b32_e32 v31, 0x7ff00000, v31, vcc_lo
	s_and_b32 vcc_lo, s5, vcc_lo
	s_delay_alu instid0(VALU_DEP_1) | instid1(SALU_CYCLE_1)
	v_dual_cndmask_b32 v28, 0, v30, vcc_lo :: v_dual_cndmask_b32 v29, 0, v31, s5
	s_delay_alu instid0(VALU_DEP_1) | instskip(NEXT) | instid1(VALU_DEP_1)
	v_add_f64_e32 v[28:29], s[8:9], v[28:29]
	v_div_scale_f64 v[30:31], null, v[28:29], v[28:29], s[8:9]
	s_delay_alu instid0(VALU_DEP_1) | instskip(SKIP_1) | instid1(TRANS32_DEP_1)
	v_rcp_f64_e32 v[32:33], v[30:31]
	v_nop
	v_fma_f64 v[34:35], -v[30:31], v[32:33], 1.0
	s_delay_alu instid0(VALU_DEP_1) | instskip(NEXT) | instid1(VALU_DEP_1)
	v_fmac_f64_e32 v[32:33], v[32:33], v[34:35]
	v_fma_f64 v[34:35], -v[30:31], v[32:33], 1.0
	s_delay_alu instid0(VALU_DEP_1) | instskip(SKIP_1) | instid1(VALU_DEP_1)
	v_fmac_f64_e32 v[32:33], v[32:33], v[34:35]
	v_div_scale_f64 v[34:35], vcc_lo, s[8:9], v[28:29], s[8:9]
	v_mul_f64_e32 v[36:37], v[34:35], v[32:33]
	s_delay_alu instid0(VALU_DEP_1) | instskip(NEXT) | instid1(VALU_DEP_1)
	v_fma_f64 v[30:31], -v[30:31], v[36:37], v[34:35]
	v_div_fmas_f64 v[30:31], v[30:31], v[32:33], v[36:37]
	s_delay_alu instid0(VALU_DEP_1)
	v_div_fixup_f64 v[28:29], v[30:31], v[28:29], s[8:9]
	global_store_b64 v[8:9], v[28:29], off
	s_wait_xcnt 0x0
	s_or_b32 exec_lo, exec_lo, s26
	s_and_saveexec_b32 s5, s4
	s_cbranch_execz .LBB251_13
.LBB251_17:                             ;   in Loop: Header=BB251_4 Depth=1
	s_wait_loadcnt 0x0
	v_mul_f64_e32 v[28:29], 0xbff71547652b82fe, v[26:27]
	v_cmp_ngt_f64_e32 vcc_lo, 0xc0900000, v[26:27]
	v_cmp_nlt_f64_e64 s4, 0x4090cc00, v[26:27]
	s_delay_alu instid0(VALU_DEP_3) | instskip(NEXT) | instid1(VALU_DEP_1)
	v_rndne_f64_e32 v[28:29], v[28:29]
	v_fma_f64 v[30:31], v[28:29], s[14:15], -v[26:27]
	v_cvt_i32_f64_e32 v34, v[28:29]
	s_delay_alu instid0(VALU_DEP_2) | instskip(NEXT) | instid1(VALU_DEP_1)
	v_fmac_f64_e32 v[30:31], 0xbc7abc9e3b39803f, v[28:29]
	v_fmamk_f64 v[32:33], v[30:31], 0x3e5ade156a5dcb37, v[16:17]
	s_delay_alu instid0(VALU_DEP_1) | instskip(NEXT) | instid1(VALU_DEP_1)
	v_fmaak_f64 v[32:33], v[30:31], v[32:33], 0x3ec71dee623fde64
	v_fmaak_f64 v[32:33], v[30:31], v[32:33], 0x3efa01997c89e6b0
	s_delay_alu instid0(VALU_DEP_1) | instskip(NEXT) | instid1(VALU_DEP_1)
	v_fmaak_f64 v[32:33], v[30:31], v[32:33], 0x3f2a01a014761f6e
	v_fmaak_f64 v[32:33], v[30:31], v[32:33], 0x3f56c16c1852b7b0
	;; [unrolled: 3-line block ×4, first 2 shown]
	s_delay_alu instid0(VALU_DEP_1) | instskip(NEXT) | instid1(VALU_DEP_1)
	v_fma_f64 v[32:33], v[30:31], v[32:33], 1.0
	v_fma_f64 v[28:29], v[30:31], v[32:33], 1.0
	s_delay_alu instid0(VALU_DEP_1) | instskip(NEXT) | instid1(VALU_DEP_1)
	v_ldexp_f64 v[28:29], v[28:29], v34
	v_cndmask_b32_e32 v29, 0x7ff00000, v29, vcc_lo
	s_and_b32 vcc_lo, s4, vcc_lo
	s_delay_alu instid0(VALU_DEP_1) | instid1(SALU_CYCLE_1)
	v_dual_cndmask_b32 v26, 0, v28, vcc_lo :: v_dual_cndmask_b32 v27, 0, v29, s4
	s_delay_alu instid0(VALU_DEP_1) | instskip(NEXT) | instid1(VALU_DEP_1)
	v_add_f64_e32 v[26:27], s[8:9], v[26:27]
	v_div_scale_f64 v[28:29], null, v[26:27], v[26:27], s[8:9]
	s_delay_alu instid0(VALU_DEP_1) | instskip(SKIP_1) | instid1(TRANS32_DEP_1)
	v_rcp_f64_e32 v[30:31], v[28:29]
	v_nop
	v_fma_f64 v[32:33], -v[28:29], v[30:31], 1.0
	s_delay_alu instid0(VALU_DEP_1) | instskip(NEXT) | instid1(VALU_DEP_1)
	v_fmac_f64_e32 v[30:31], v[30:31], v[32:33]
	v_fma_f64 v[32:33], -v[28:29], v[30:31], 1.0
	s_delay_alu instid0(VALU_DEP_1) | instskip(SKIP_1) | instid1(VALU_DEP_1)
	v_fmac_f64_e32 v[30:31], v[30:31], v[32:33]
	v_div_scale_f64 v[32:33], vcc_lo, s[8:9], v[26:27], s[8:9]
	v_mul_f64_e32 v[34:35], v[32:33], v[30:31]
	s_delay_alu instid0(VALU_DEP_1) | instskip(NEXT) | instid1(VALU_DEP_1)
	v_fma_f64 v[28:29], -v[28:29], v[34:35], v[32:33]
	v_div_fmas_f64 v[28:29], v[28:29], v[30:31], v[34:35]
	s_delay_alu instid0(VALU_DEP_1)
	v_div_fixup_f64 v[26:27], v[28:29], v[26:27], s[8:9]
	global_store_b64 v[14:15], v[26:27], off
	s_wait_xcnt 0x0
	s_or_b32 exec_lo, exec_lo, s5
	s_and_saveexec_b32 s4, s3
	s_cbranch_execz .LBB251_14
.LBB251_18:                             ;   in Loop: Header=BB251_4 Depth=1
	s_wait_loadcnt 0x0
	v_mul_f64_e32 v[26:27], 0xbff71547652b82fe, v[24:25]
	v_cmp_ngt_f64_e32 vcc_lo, 0xc0900000, v[24:25]
	v_cmp_nlt_f64_e64 s3, 0x4090cc00, v[24:25]
	s_delay_alu instid0(VALU_DEP_3) | instskip(NEXT) | instid1(VALU_DEP_1)
	v_rndne_f64_e32 v[26:27], v[26:27]
	v_fma_f64 v[28:29], v[26:27], s[14:15], -v[24:25]
	v_cvt_i32_f64_e32 v32, v[26:27]
	s_delay_alu instid0(VALU_DEP_2) | instskip(NEXT) | instid1(VALU_DEP_1)
	v_fmac_f64_e32 v[28:29], 0xbc7abc9e3b39803f, v[26:27]
	v_fmamk_f64 v[30:31], v[28:29], 0x3e5ade156a5dcb37, v[16:17]
	s_delay_alu instid0(VALU_DEP_1) | instskip(NEXT) | instid1(VALU_DEP_1)
	v_fmaak_f64 v[30:31], v[28:29], v[30:31], 0x3ec71dee623fde64
	v_fmaak_f64 v[30:31], v[28:29], v[30:31], 0x3efa01997c89e6b0
	s_delay_alu instid0(VALU_DEP_1) | instskip(NEXT) | instid1(VALU_DEP_1)
	v_fmaak_f64 v[30:31], v[28:29], v[30:31], 0x3f2a01a014761f6e
	v_fmaak_f64 v[30:31], v[28:29], v[30:31], 0x3f56c16c1852b7b0
	;; [unrolled: 3-line block ×4, first 2 shown]
	s_delay_alu instid0(VALU_DEP_1) | instskip(NEXT) | instid1(VALU_DEP_1)
	v_fma_f64 v[30:31], v[28:29], v[30:31], 1.0
	v_fma_f64 v[26:27], v[28:29], v[30:31], 1.0
	s_delay_alu instid0(VALU_DEP_1) | instskip(NEXT) | instid1(VALU_DEP_1)
	v_ldexp_f64 v[26:27], v[26:27], v32
	v_cndmask_b32_e32 v27, 0x7ff00000, v27, vcc_lo
	s_and_b32 vcc_lo, s3, vcc_lo
	s_delay_alu instid0(VALU_DEP_1) | instid1(SALU_CYCLE_1)
	v_dual_cndmask_b32 v24, 0, v26, vcc_lo :: v_dual_cndmask_b32 v25, 0, v27, s3
	s_delay_alu instid0(VALU_DEP_1) | instskip(NEXT) | instid1(VALU_DEP_1)
	v_add_f64_e32 v[24:25], s[8:9], v[24:25]
	v_div_scale_f64 v[26:27], null, v[24:25], v[24:25], s[8:9]
	s_delay_alu instid0(VALU_DEP_1) | instskip(SKIP_1) | instid1(TRANS32_DEP_1)
	v_rcp_f64_e32 v[28:29], v[26:27]
	v_nop
	v_fma_f64 v[30:31], -v[26:27], v[28:29], 1.0
	s_delay_alu instid0(VALU_DEP_1) | instskip(NEXT) | instid1(VALU_DEP_1)
	v_fmac_f64_e32 v[28:29], v[28:29], v[30:31]
	v_fma_f64 v[30:31], -v[26:27], v[28:29], 1.0
	s_delay_alu instid0(VALU_DEP_1) | instskip(SKIP_1) | instid1(VALU_DEP_1)
	v_fmac_f64_e32 v[28:29], v[28:29], v[30:31]
	v_div_scale_f64 v[30:31], vcc_lo, s[8:9], v[24:25], s[8:9]
	v_mul_f64_e32 v[32:33], v[30:31], v[28:29]
	s_delay_alu instid0(VALU_DEP_1) | instskip(NEXT) | instid1(VALU_DEP_1)
	v_fma_f64 v[26:27], -v[26:27], v[32:33], v[30:31]
	v_div_fmas_f64 v[26:27], v[26:27], v[28:29], v[32:33]
	s_delay_alu instid0(VALU_DEP_1)
	v_div_fixup_f64 v[24:25], v[26:27], v[24:25], s[8:9]
	global_store_b64 v[22:23], v[24:25], off
	s_wait_xcnt 0x0
	s_or_b32 exec_lo, exec_lo, s4
	s_and_saveexec_b32 s3, s2
	s_cbranch_execz .LBB251_3
.LBB251_19:                             ;   in Loop: Header=BB251_4 Depth=1
	s_wait_loadcnt 0x0
	v_mul_f64_e32 v[22:23], 0xbff71547652b82fe, v[20:21]
	v_cmp_ngt_f64_e32 vcc_lo, 0xc0900000, v[20:21]
	v_cmp_nlt_f64_e64 s2, 0x4090cc00, v[20:21]
	s_delay_alu instid0(VALU_DEP_3) | instskip(NEXT) | instid1(VALU_DEP_1)
	v_rndne_f64_e32 v[22:23], v[22:23]
	v_fma_f64 v[24:25], v[22:23], s[14:15], -v[20:21]
	v_cvt_i32_f64_e32 v28, v[22:23]
	s_delay_alu instid0(VALU_DEP_2) | instskip(NEXT) | instid1(VALU_DEP_1)
	v_fmac_f64_e32 v[24:25], 0xbc7abc9e3b39803f, v[22:23]
	v_fmamk_f64 v[26:27], v[24:25], 0x3e5ade156a5dcb37, v[16:17]
	s_delay_alu instid0(VALU_DEP_1) | instskip(NEXT) | instid1(VALU_DEP_1)
	v_fmaak_f64 v[26:27], v[24:25], v[26:27], 0x3ec71dee623fde64
	v_fmaak_f64 v[26:27], v[24:25], v[26:27], 0x3efa01997c89e6b0
	s_delay_alu instid0(VALU_DEP_1) | instskip(NEXT) | instid1(VALU_DEP_1)
	v_fmaak_f64 v[26:27], v[24:25], v[26:27], 0x3f2a01a014761f6e
	v_fmaak_f64 v[26:27], v[24:25], v[26:27], 0x3f56c16c1852b7b0
	;; [unrolled: 3-line block ×4, first 2 shown]
	s_delay_alu instid0(VALU_DEP_1) | instskip(NEXT) | instid1(VALU_DEP_1)
	v_fma_f64 v[26:27], v[24:25], v[26:27], 1.0
	v_fma_f64 v[22:23], v[24:25], v[26:27], 1.0
	s_delay_alu instid0(VALU_DEP_1) | instskip(NEXT) | instid1(VALU_DEP_1)
	v_ldexp_f64 v[22:23], v[22:23], v28
	v_cndmask_b32_e32 v23, 0x7ff00000, v23, vcc_lo
	s_and_b32 vcc_lo, s2, vcc_lo
	s_delay_alu instid0(VALU_DEP_1) | instid1(SALU_CYCLE_1)
	v_dual_cndmask_b32 v20, 0, v22, vcc_lo :: v_dual_cndmask_b32 v21, 0, v23, s2
	s_delay_alu instid0(VALU_DEP_1) | instskip(NEXT) | instid1(VALU_DEP_1)
	v_add_f64_e32 v[20:21], s[8:9], v[20:21]
	v_div_scale_f64 v[22:23], null, v[20:21], v[20:21], s[8:9]
	s_delay_alu instid0(VALU_DEP_1) | instskip(SKIP_1) | instid1(TRANS32_DEP_1)
	v_rcp_f64_e32 v[24:25], v[22:23]
	v_nop
	v_fma_f64 v[26:27], -v[22:23], v[24:25], 1.0
	s_delay_alu instid0(VALU_DEP_1) | instskip(NEXT) | instid1(VALU_DEP_1)
	v_fmac_f64_e32 v[24:25], v[24:25], v[26:27]
	v_fma_f64 v[26:27], -v[22:23], v[24:25], 1.0
	s_delay_alu instid0(VALU_DEP_1) | instskip(SKIP_1) | instid1(VALU_DEP_1)
	v_fmac_f64_e32 v[24:25], v[24:25], v[26:27]
	v_div_scale_f64 v[26:27], vcc_lo, s[8:9], v[20:21], s[8:9]
	v_mul_f64_e32 v[28:29], v[26:27], v[24:25]
	s_delay_alu instid0(VALU_DEP_1) | instskip(NEXT) | instid1(VALU_DEP_1)
	v_fma_f64 v[22:23], -v[22:23], v[28:29], v[26:27]
	v_div_fmas_f64 v[22:23], v[22:23], v[24:25], v[28:29]
	s_delay_alu instid0(VALU_DEP_1)
	v_div_fixup_f64 v[20:21], v[22:23], v[20:21], s[8:9]
	global_store_b64 v[18:19], v[20:21], off
	s_branch .LBB251_3
.LBB251_20:
	s_cbranch_execz .LBB251_22
	s_branch .LBB251_25
.LBB251_21:
.LBB251_22:
	v_min_i64 v[2:3], 0x10000, s[12:13]
	v_dual_mov_b32 v5, 0 :: v_dual_lshlrev_b32 v4, 2, v0
	s_mov_b32 s2, exec_lo
	s_delay_alu instid0(VALU_DEP_1)
	v_cmpx_lt_i64_e64 v[4:5], v[2:3]
	s_cbranch_execz .LBB251_25
; %bb.23:
	s_load_b32 s2, s[0:1], 0xd44
	v_dual_mov_b32 v1, v5 :: v_dual_lshlrev_b32 v4, 5, v0
	s_wait_xcnt 0x0
	s_add_nc_u64 s[0:1], s[6:7], s[10:11]
	s_mov_b32 s13, 0
	s_mov_b64 s[10:11], 0xbfe62e42fefa39ef
	v_add_nc_u64_e32 v[6:7], s[0:1], v[4:5]
	v_mov_b64_e32 v[4:5], 0x3e928af3fca7ab0c
	s_mov_b32 s15, s13
	s_mov_b32 s7, s13
                                        ; implicit-def: $vgpr8_vgpr9
                                        ; implicit-def: $vgpr8_vgpr9
	;; [unrolled: 1-line block ×8, first 2 shown]
	s_delay_alu instid0(VALU_DEP_2) | instskip(SKIP_2) | instid1(SALU_CYCLE_1)
	v_add_nc_u64_e32 v[6:7], 16, v[6:7]
	s_wait_kmcnt 0x0
	s_and_b32 s12, s2, 0xffff
	s_lshl_b32 s14, s12, 5
.LBB251_24:                             ; =>This Inner Loop Header: Depth=1
	s_clause 0x1
	global_load_b128 v[8:11], v[6:7], off offset:-16
	global_load_b128 v[12:15], v[6:7], off
	v_add_nc_u64_e32 v[0:1], s[12:13], v[0:1]
	s_wait_loadcnt 0x1
	v_mul_f64_e32 v[16:17], 0xbff71547652b82fe, v[8:9]
	v_mul_f64_e32 v[18:19], 0xbff71547652b82fe, v[10:11]
	s_wait_loadcnt 0x0
	v_mul_f64_e32 v[20:21], 0xbff71547652b82fe, v[12:13]
	v_mul_f64_e32 v[22:23], 0xbff71547652b82fe, v[14:15]
	v_cmp_ngt_f64_e32 vcc_lo, 0xc0900000, v[8:9]
	v_cmp_ngt_f64_e64 s1, 0xc0900000, v[10:11]
	v_cmp_ngt_f64_e64 s3, 0xc0900000, v[12:13]
	v_cmp_nlt_f64_e64 s0, 0x4090cc00, v[8:9]
	v_cmp_ngt_f64_e64 s5, 0xc0900000, v[14:15]
	v_cmp_nlt_f64_e64 s2, 0x4090cc00, v[10:11]
	v_cmp_nlt_f64_e64 s4, 0x4090cc00, v[12:13]
	;; [unrolled: 1-line block ×3, first 2 shown]
	v_rndne_f64_e32 v[16:17], v[16:17]
	v_rndne_f64_e32 v[18:19], v[18:19]
	v_rndne_f64_e32 v[20:21], v[20:21]
	v_rndne_f64_e32 v[22:23], v[22:23]
	s_delay_alu instid0(VALU_DEP_4) | instskip(NEXT) | instid1(VALU_DEP_4)
	v_fma_f64 v[24:25], v[16:17], s[10:11], -v[8:9]
	v_fma_f64 v[26:27], v[18:19], s[10:11], -v[10:11]
	s_delay_alu instid0(VALU_DEP_4) | instskip(NEXT) | instid1(VALU_DEP_4)
	v_fma_f64 v[28:29], v[20:21], s[10:11], -v[12:13]
	v_fma_f64 v[30:31], v[22:23], s[10:11], -v[14:15]
	v_cvt_i32_f64_e32 v40, v[16:17]
	v_fmac_f64_e32 v[24:25], 0xbc7abc9e3b39803f, v[16:17]
	v_fmac_f64_e32 v[26:27], 0xbc7abc9e3b39803f, v[18:19]
	;; [unrolled: 1-line block ×4, first 2 shown]
	s_delay_alu instid0(VALU_DEP_4) | instskip(NEXT) | instid1(VALU_DEP_4)
	v_fmamk_f64 v[32:33], v[24:25], 0x3e5ade156a5dcb37, v[4:5]
	v_fmamk_f64 v[34:35], v[26:27], 0x3e5ade156a5dcb37, v[4:5]
	s_delay_alu instid0(VALU_DEP_4) | instskip(NEXT) | instid1(VALU_DEP_4)
	v_fmamk_f64 v[36:37], v[28:29], 0x3e5ade156a5dcb37, v[4:5]
	v_fmamk_f64 v[38:39], v[30:31], 0x3e5ade156a5dcb37, v[4:5]
	s_delay_alu instid0(VALU_DEP_4) | instskip(NEXT) | instid1(VALU_DEP_4)
	v_fmaak_f64 v[32:33], v[24:25], v[32:33], 0x3ec71dee623fde64
	v_fmaak_f64 v[34:35], v[26:27], v[34:35], 0x3ec71dee623fde64
	s_delay_alu instid0(VALU_DEP_4) | instskip(NEXT) | instid1(VALU_DEP_4)
	v_fmaak_f64 v[36:37], v[28:29], v[36:37], 0x3ec71dee623fde64
	v_fmaak_f64 v[38:39], v[30:31], v[38:39], 0x3ec71dee623fde64
	;; [unrolled: 3-line block ×16, first 2 shown]
	s_delay_alu instid0(VALU_DEP_4) | instskip(NEXT) | instid1(VALU_DEP_4)
	v_fma_f64 v[32:33], v[24:25], v[32:33], 1.0
	v_fma_f64 v[34:35], v[26:27], v[34:35], 1.0
	s_delay_alu instid0(VALU_DEP_4) | instskip(NEXT) | instid1(VALU_DEP_4)
	v_fma_f64 v[36:37], v[28:29], v[36:37], 1.0
	v_fma_f64 v[38:39], v[30:31], v[38:39], 1.0
	s_delay_alu instid0(VALU_DEP_4)
	v_fma_f64 v[16:17], v[24:25], v[32:33], 1.0
	v_cvt_i32_f64_e32 v24, v[18:19]
	v_fma_f64 v[18:19], v[26:27], v[34:35], 1.0
	v_cvt_i32_f64_e32 v25, v[20:21]
	;; [unrolled: 2-line block ×3, first 2 shown]
	v_fma_f64 v[22:23], v[30:31], v[38:39], 1.0
	v_ldexp_f64 v[16:17], v[16:17], v40
	v_ldexp_f64 v[18:19], v[18:19], v24
	;; [unrolled: 1-line block ×3, first 2 shown]
	s_delay_alu instid0(VALU_DEP_4) | instskip(NEXT) | instid1(VALU_DEP_4)
	v_ldexp_f64 v[22:23], v[22:23], v26
	v_cndmask_b32_e32 v17, 0x7ff00000, v17, vcc_lo
	s_and_b32 vcc_lo, s0, vcc_lo
	s_delay_alu instid0(VALU_DEP_4) | instskip(NEXT) | instid1(VALU_DEP_4)
	v_cndmask_b32_e64 v8, 0x7ff00000, v19, s1
	v_cndmask_b32_e64 v10, 0x7ff00000, v21, s3
	s_delay_alu instid0(VALU_DEP_3) | instskip(SKIP_1) | instid1(VALU_DEP_4)
	v_cndmask_b32_e64 v9, 0, v17, s0
	v_cndmask_b32_e64 v12, 0x7ff00000, v23, s5
	;; [unrolled: 1-line block ×3, first 2 shown]
	s_delay_alu instid0(VALU_DEP_4)
	v_dual_cndmask_b32 v8, 0, v16, vcc_lo :: v_dual_cndmask_b32 v13, 0, v10, s4
	s_and_b32 vcc_lo, s2, s1
	s_delay_alu instid0(VALU_DEP_3) | instid1(SALU_CYCLE_1)
	v_dual_cndmask_b32 v15, 0, v12, s6 :: v_dual_cndmask_b32 v10, 0, v18, vcc_lo
	s_and_b32 vcc_lo, s4, s3
	v_cndmask_b32_e32 v12, 0, v20, vcc_lo
	s_and_b32 vcc_lo, s6, s5
	s_delay_alu instid0(SALU_CYCLE_1) | instskip(SKIP_1) | instid1(VALU_DEP_3)
	v_dual_add_f64 v[8:9], s[8:9], v[8:9] :: v_dual_cndmask_b32 v14, 0, v22, vcc_lo
	v_add_f64_e32 v[10:11], s[8:9], v[10:11]
	v_add_f64_e32 v[12:13], s[8:9], v[12:13]
	s_delay_alu instid0(VALU_DEP_3) | instskip(NEXT) | instid1(VALU_DEP_4)
	v_add_f64_e32 v[14:15], s[8:9], v[14:15]
	v_div_scale_f64 v[16:17], null, v[8:9], v[8:9], s[8:9]
	s_delay_alu instid0(VALU_DEP_4) | instskip(NEXT) | instid1(VALU_DEP_4)
	v_div_scale_f64 v[18:19], null, v[10:11], v[10:11], s[8:9]
	v_div_scale_f64 v[20:21], null, v[12:13], v[12:13], s[8:9]
	s_delay_alu instid0(VALU_DEP_4) | instskip(SKIP_2) | instid1(VALU_DEP_4)
	v_div_scale_f64 v[22:23], null, v[14:15], v[14:15], s[8:9]
	v_div_scale_f64 v[40:41], vcc_lo, s[8:9], v[8:9], s[8:9]
	v_rcp_f64_e32 v[24:25], v[16:17]
	v_rcp_f64_e32 v[26:27], v[18:19]
	s_delay_alu instid0(VALU_DEP_3) | instskip(NEXT) | instid1(VALU_DEP_2)
	v_rcp_f64_e32 v[28:29], v[20:21]
	v_rcp_f64_e32 v[30:31], v[22:23]
	v_fma_f64 v[32:33], -v[16:17], v[24:25], 1.0
	s_delay_alu instid0(TRANS32_DEP_3) | instskip(NEXT) | instid1(TRANS32_DEP_2)
	v_fma_f64 v[34:35], -v[18:19], v[26:27], 1.0
	v_fma_f64 v[36:37], -v[20:21], v[28:29], 1.0
	s_delay_alu instid0(TRANS32_DEP_1) | instskip(NEXT) | instid1(VALU_DEP_4)
	v_fma_f64 v[38:39], -v[22:23], v[30:31], 1.0
	v_fmac_f64_e32 v[24:25], v[24:25], v[32:33]
	s_delay_alu instid0(VALU_DEP_4) | instskip(NEXT) | instid1(VALU_DEP_4)
	v_fmac_f64_e32 v[26:27], v[26:27], v[34:35]
	v_fmac_f64_e32 v[28:29], v[28:29], v[36:37]
	s_delay_alu instid0(VALU_DEP_4) | instskip(NEXT) | instid1(VALU_DEP_4)
	v_fmac_f64_e32 v[30:31], v[30:31], v[38:39]
	v_fma_f64 v[32:33], -v[16:17], v[24:25], 1.0
	s_delay_alu instid0(VALU_DEP_4) | instskip(NEXT) | instid1(VALU_DEP_4)
	v_fma_f64 v[34:35], -v[18:19], v[26:27], 1.0
	v_fma_f64 v[36:37], -v[20:21], v[28:29], 1.0
	s_delay_alu instid0(VALU_DEP_4) | instskip(NEXT) | instid1(VALU_DEP_4)
	v_fma_f64 v[38:39], -v[22:23], v[30:31], 1.0
	v_fmac_f64_e32 v[24:25], v[24:25], v[32:33]
	v_div_scale_f64 v[32:33], s0, s[8:9], v[10:11], s[8:9]
	v_fmac_f64_e32 v[26:27], v[26:27], v[34:35]
	v_div_scale_f64 v[34:35], s1, s[8:9], v[12:13], s[8:9]
	;; [unrolled: 2-line block ×3, first 2 shown]
	v_fmac_f64_e32 v[30:31], v[30:31], v[38:39]
	v_mul_f64_e32 v[38:39], v[40:41], v[24:25]
	v_mul_f64_e32 v[42:43], v[32:33], v[26:27]
	;; [unrolled: 1-line block ×3, first 2 shown]
	s_delay_alu instid0(VALU_DEP_4) | instskip(NEXT) | instid1(VALU_DEP_4)
	v_mul_f64_e32 v[46:47], v[36:37], v[30:31]
	v_fma_f64 v[16:17], -v[16:17], v[38:39], v[40:41]
	s_delay_alu instid0(VALU_DEP_4) | instskip(NEXT) | instid1(VALU_DEP_4)
	v_fma_f64 v[18:19], -v[18:19], v[42:43], v[32:33]
	v_fma_f64 v[20:21], -v[20:21], v[44:45], v[34:35]
	s_delay_alu instid0(VALU_DEP_4) | instskip(NEXT) | instid1(VALU_DEP_4)
	v_fma_f64 v[22:23], -v[22:23], v[46:47], v[36:37]
	v_div_fmas_f64 v[16:17], v[16:17], v[24:25], v[38:39]
	s_mov_b32 vcc_lo, s0
	s_delay_alu instid0(VALU_DEP_4) | instskip(SKIP_1) | instid1(VALU_DEP_4)
	v_div_fmas_f64 v[18:19], v[18:19], v[26:27], v[42:43]
	s_mov_b32 vcc_lo, s1
	v_div_fmas_f64 v[20:21], v[20:21], v[28:29], v[44:45]
	s_mov_b32 vcc_lo, s2
	s_delay_alu instid0(VALU_DEP_4) | instskip(NEXT) | instid1(VALU_DEP_4)
	v_div_fmas_f64 v[22:23], v[22:23], v[30:31], v[46:47]
	v_div_fixup_f64 v[8:9], v[16:17], v[8:9], s[8:9]
	v_lshlrev_b64_e32 v[16:17], 2, v[0:1]
	v_div_fixup_f64 v[10:11], v[18:19], v[10:11], s[8:9]
	v_div_fixup_f64 v[12:13], v[20:21], v[12:13], s[8:9]
	s_delay_alu instid0(VALU_DEP_3)
	v_cmp_ge_i64_e32 vcc_lo, v[16:17], v[2:3]
	v_div_fixup_f64 v[14:15], v[22:23], v[14:15], s[8:9]
	s_clause 0x1
	global_store_b128 v[6:7], v[8:11], off offset:-16
	global_store_b128 v[6:7], v[12:15], off
	s_wait_xcnt 0x0
	v_add_nc_u64_e32 v[6:7], s[14:15], v[6:7]
	s_or_b32 s7, vcc_lo, s7
	s_delay_alu instid0(SALU_CYCLE_1)
	s_and_not1_b32 exec_lo, exec_lo, s7
	s_cbranch_execnz .LBB251_24
.LBB251_25:
	s_endpgm
	.section	.rodata,"a",@progbits
	.p2align	6, 0x0
	.amdhsa_kernel _ZN2at6native12_GLOBAL__N_125multi_tensor_apply_kernelINS1_18TensorListMetadataILi1EEENS1_14UnaryOpFunctorIdLi1ELi1ELi0EEEJNS0_7SigmoidIdEEEEEvT_T0_DpT1_
		.amdhsa_group_segment_fixed_size 0
		.amdhsa_private_segment_fixed_size 0
		.amdhsa_kernarg_size 3640
		.amdhsa_user_sgpr_count 2
		.amdhsa_user_sgpr_dispatch_ptr 0
		.amdhsa_user_sgpr_queue_ptr 0
		.amdhsa_user_sgpr_kernarg_segment_ptr 1
		.amdhsa_user_sgpr_dispatch_id 0
		.amdhsa_user_sgpr_kernarg_preload_length 0
		.amdhsa_user_sgpr_kernarg_preload_offset 0
		.amdhsa_user_sgpr_private_segment_size 0
		.amdhsa_wavefront_size32 1
		.amdhsa_uses_dynamic_stack 0
		.amdhsa_enable_private_segment 0
		.amdhsa_system_sgpr_workgroup_id_x 1
		.amdhsa_system_sgpr_workgroup_id_y 0
		.amdhsa_system_sgpr_workgroup_id_z 0
		.amdhsa_system_sgpr_workgroup_info 0
		.amdhsa_system_vgpr_workitem_id 0
		.amdhsa_next_free_vgpr 48
		.amdhsa_next_free_sgpr 27
		.amdhsa_named_barrier_count 0
		.amdhsa_reserve_vcc 1
		.amdhsa_float_round_mode_32 0
		.amdhsa_float_round_mode_16_64 0
		.amdhsa_float_denorm_mode_32 3
		.amdhsa_float_denorm_mode_16_64 3
		.amdhsa_fp16_overflow 0
		.amdhsa_memory_ordered 1
		.amdhsa_forward_progress 1
		.amdhsa_inst_pref_size 30
		.amdhsa_round_robin_scheduling 0
		.amdhsa_exception_fp_ieee_invalid_op 0
		.amdhsa_exception_fp_denorm_src 0
		.amdhsa_exception_fp_ieee_div_zero 0
		.amdhsa_exception_fp_ieee_overflow 0
		.amdhsa_exception_fp_ieee_underflow 0
		.amdhsa_exception_fp_ieee_inexact 0
		.amdhsa_exception_int_div_zero 0
	.end_amdhsa_kernel
	.section	.text._ZN2at6native12_GLOBAL__N_125multi_tensor_apply_kernelINS1_18TensorListMetadataILi1EEENS1_14UnaryOpFunctorIdLi1ELi1ELi0EEEJNS0_7SigmoidIdEEEEEvT_T0_DpT1_,"axG",@progbits,_ZN2at6native12_GLOBAL__N_125multi_tensor_apply_kernelINS1_18TensorListMetadataILi1EEENS1_14UnaryOpFunctorIdLi1ELi1ELi0EEEJNS0_7SigmoidIdEEEEEvT_T0_DpT1_,comdat
.Lfunc_end251:
	.size	_ZN2at6native12_GLOBAL__N_125multi_tensor_apply_kernelINS1_18TensorListMetadataILi1EEENS1_14UnaryOpFunctorIdLi1ELi1ELi0EEEJNS0_7SigmoidIdEEEEEvT_T0_DpT1_, .Lfunc_end251-_ZN2at6native12_GLOBAL__N_125multi_tensor_apply_kernelINS1_18TensorListMetadataILi1EEENS1_14UnaryOpFunctorIdLi1ELi1ELi0EEEJNS0_7SigmoidIdEEEEEvT_T0_DpT1_
                                        ; -- End function
	.set _ZN2at6native12_GLOBAL__N_125multi_tensor_apply_kernelINS1_18TensorListMetadataILi1EEENS1_14UnaryOpFunctorIdLi1ELi1ELi0EEEJNS0_7SigmoidIdEEEEEvT_T0_DpT1_.num_vgpr, 48
	.set _ZN2at6native12_GLOBAL__N_125multi_tensor_apply_kernelINS1_18TensorListMetadataILi1EEENS1_14UnaryOpFunctorIdLi1ELi1ELi0EEEJNS0_7SigmoidIdEEEEEvT_T0_DpT1_.num_agpr, 0
	.set _ZN2at6native12_GLOBAL__N_125multi_tensor_apply_kernelINS1_18TensorListMetadataILi1EEENS1_14UnaryOpFunctorIdLi1ELi1ELi0EEEJNS0_7SigmoidIdEEEEEvT_T0_DpT1_.numbered_sgpr, 27
	.set _ZN2at6native12_GLOBAL__N_125multi_tensor_apply_kernelINS1_18TensorListMetadataILi1EEENS1_14UnaryOpFunctorIdLi1ELi1ELi0EEEJNS0_7SigmoidIdEEEEEvT_T0_DpT1_.num_named_barrier, 0
	.set _ZN2at6native12_GLOBAL__N_125multi_tensor_apply_kernelINS1_18TensorListMetadataILi1EEENS1_14UnaryOpFunctorIdLi1ELi1ELi0EEEJNS0_7SigmoidIdEEEEEvT_T0_DpT1_.private_seg_size, 0
	.set _ZN2at6native12_GLOBAL__N_125multi_tensor_apply_kernelINS1_18TensorListMetadataILi1EEENS1_14UnaryOpFunctorIdLi1ELi1ELi0EEEJNS0_7SigmoidIdEEEEEvT_T0_DpT1_.uses_vcc, 1
	.set _ZN2at6native12_GLOBAL__N_125multi_tensor_apply_kernelINS1_18TensorListMetadataILi1EEENS1_14UnaryOpFunctorIdLi1ELi1ELi0EEEJNS0_7SigmoidIdEEEEEvT_T0_DpT1_.uses_flat_scratch, 0
	.set _ZN2at6native12_GLOBAL__N_125multi_tensor_apply_kernelINS1_18TensorListMetadataILi1EEENS1_14UnaryOpFunctorIdLi1ELi1ELi0EEEJNS0_7SigmoidIdEEEEEvT_T0_DpT1_.has_dyn_sized_stack, 0
	.set _ZN2at6native12_GLOBAL__N_125multi_tensor_apply_kernelINS1_18TensorListMetadataILi1EEENS1_14UnaryOpFunctorIdLi1ELi1ELi0EEEJNS0_7SigmoidIdEEEEEvT_T0_DpT1_.has_recursion, 0
	.set _ZN2at6native12_GLOBAL__N_125multi_tensor_apply_kernelINS1_18TensorListMetadataILi1EEENS1_14UnaryOpFunctorIdLi1ELi1ELi0EEEJNS0_7SigmoidIdEEEEEvT_T0_DpT1_.has_indirect_call, 0
	.section	.AMDGPU.csdata,"",@progbits
; Kernel info:
; codeLenInByte = 3800
; TotalNumSgprs: 29
; NumVgprs: 48
; ScratchSize: 0
; MemoryBound: 0
; FloatMode: 240
; IeeeMode: 1
; LDSByteSize: 0 bytes/workgroup (compile time only)
; SGPRBlocks: 0
; VGPRBlocks: 2
; NumSGPRsForWavesPerEU: 29
; NumVGPRsForWavesPerEU: 48
; NamedBarCnt: 0
; Occupancy: 16
; WaveLimiterHint : 0
; COMPUTE_PGM_RSRC2:SCRATCH_EN: 0
; COMPUTE_PGM_RSRC2:USER_SGPR: 2
; COMPUTE_PGM_RSRC2:TRAP_HANDLER: 0
; COMPUTE_PGM_RSRC2:TGID_X_EN: 1
; COMPUTE_PGM_RSRC2:TGID_Y_EN: 0
; COMPUTE_PGM_RSRC2:TGID_Z_EN: 0
; COMPUTE_PGM_RSRC2:TIDIG_COMP_CNT: 0
	.section	.text._ZN2at6native12_GLOBAL__N_125multi_tensor_apply_kernelINS1_18TensorListMetadataILi1EEENS1_14UnaryOpFunctorIfLi1ELi1ELi0EEEJNS0_7SigmoidIfEEEEEvT_T0_DpT1_,"axG",@progbits,_ZN2at6native12_GLOBAL__N_125multi_tensor_apply_kernelINS1_18TensorListMetadataILi1EEENS1_14UnaryOpFunctorIfLi1ELi1ELi0EEEJNS0_7SigmoidIfEEEEEvT_T0_DpT1_,comdat
	.globl	_ZN2at6native12_GLOBAL__N_125multi_tensor_apply_kernelINS1_18TensorListMetadataILi1EEENS1_14UnaryOpFunctorIfLi1ELi1ELi0EEEJNS0_7SigmoidIfEEEEEvT_T0_DpT1_ ; -- Begin function _ZN2at6native12_GLOBAL__N_125multi_tensor_apply_kernelINS1_18TensorListMetadataILi1EEENS1_14UnaryOpFunctorIfLi1ELi1ELi0EEEJNS0_7SigmoidIfEEEEEvT_T0_DpT1_
	.p2align	8
	.type	_ZN2at6native12_GLOBAL__N_125multi_tensor_apply_kernelINS1_18TensorListMetadataILi1EEENS1_14UnaryOpFunctorIfLi1ELi1ELi0EEEJNS0_7SigmoidIfEEEEEvT_T0_DpT1_,@function
_ZN2at6native12_GLOBAL__N_125multi_tensor_apply_kernelINS1_18TensorListMetadataILi1EEENS1_14UnaryOpFunctorIfLi1ELi1ELi0EEEJNS0_7SigmoidIfEEEEEvT_T0_DpT1_: ; @_ZN2at6native12_GLOBAL__N_125multi_tensor_apply_kernelINS1_18TensorListMetadataILi1EEENS1_14UnaryOpFunctorIfLi1ELi1ELi0EEEJNS0_7SigmoidIfEEEEEvT_T0_DpT1_
; %bb.0:
	s_bfe_u32 s2, ttmp6, 0x4000c
	s_and_b32 s3, ttmp6, 15
	s_add_co_i32 s2, s2, 1
	s_getreg_b32 s4, hwreg(HW_REG_IB_STS2, 6, 4)
	s_mul_i32 s2, ttmp9, s2
	s_delay_alu instid0(SALU_CYCLE_1)
	s_add_co_i32 s3, s3, s2
	s_cmp_eq_u32 s4, 0
	s_cselect_b32 s2, ttmp9, s3
	s_mov_b32 s3, 0
	s_load_u8 s9, s[0:1], s2 offset:0x6e0
	s_add_nc_u64 s[4:5], s[0:1], s[2:3]
	s_mul_u64 s[6:7], s[2:3], 3
	s_delay_alu instid0(SALU_CYCLE_1)
	s_add_nc_u64 s[4:5], s[4:5], s[6:7]
	s_load_b32 s6, s[4:5], 0x820
	s_wait_kmcnt 0x0
	s_clause 0x2
	s_load_b64 s[10:11], s[0:1], s9 offset:0x0 scale_offset
	s_load_b64 s[14:15], s[0:1], s9 offset:0x370 scale_offset
	s_load_b32 s8, s[0:1], 0xd2c
	s_ashr_i32 s7, s6, 31
	s_wait_kmcnt 0x0
	s_and_b64 s[4:5], s[10:11], 15
	s_and_b32 s2, s14, 3
	s_lshl_b64 s[12:13], s[6:7], 18
	s_or_b64 s[2:3], s[4:5], s[2:3]
	s_lshl_b64 s[4:5], s[6:7], 16
	s_cmp_eq_u64 s[2:3], 0
	s_sub_nc_u64 s[6:7], s[14:15], s[4:5]
	s_cbranch_scc1 .LBB252_21
; %bb.1:
	v_cmp_lt_i64_e64 s2, s[6:7], 1
	s_and_b32 vcc_lo, exec_lo, s2
	s_cbranch_vccnz .LBB252_20
; %bb.2:
	s_load_b32 s4, s[0:1], 0xd3c
	v_min_i64 v[2:3], 0x10000, s[6:7]
	v_min_u64 v[4:5], 0x10000, s[6:7]
	v_dual_mov_b32 v1, 0 :: v_dual_lshlrev_b32 v8, 2, v0
	s_mov_b32 s21, 0
	s_add_nc_u64 s[2:3], s[10:11], s[12:13]
	s_mov_b32 s5, s21
	s_delay_alu instid0(VALU_DEP_1)
	v_mov_b32_e32 v15, v1
	s_mov_b32 s19, s21
	s_mov_b32 s15, s21
	;; [unrolled: 1-line block ×3, first 2 shown]
	s_mov_b64 s[22:23], 0
	s_wait_kmcnt 0x0
	s_and_b32 s20, s4, 0xffff
	s_delay_alu instid0(SALU_CYCLE_1)
	v_add_nc_u64_e32 v[6:7], s[20:21], v[0:1]
	v_mov_b32_e32 v9, v1
	s_lshl_b32 s4, s20, 1
	s_mul_i32 s18, s20, 3
	v_add_nc_u64_e32 v[12:13], s[4:5], v[0:1]
	v_add_nc_u64_e32 v[10:11], s[18:19], v[0:1]
	s_lshl_b32 s14, s20, 2
	v_lshlrev_b32_e32 v14, 2, v6
	v_add_nc_u64_e32 v[8:9], s[2:3], v[8:9]
	s_lshl_b32 s16, s20, 4
	s_mul_u64 s[18:19], s[20:21], 12
	s_lshl_b32 s20, s20, 3
	v_add_nc_u64_e32 v[14:15], s[2:3], v[14:15]
	s_branch .LBB252_4
.LBB252_3:                              ;   in Loop: Header=BB252_4 Depth=1
	s_wait_xcnt 0x0
	s_or_b32 exec_lo, exec_lo, s3
	s_add_nc_u64 s[22:23], s[22:23], s[14:15]
	v_add_nc_u64_e32 v[8:9], s[16:17], v[8:9]
	v_cmp_lt_i64_e32 vcc_lo, s[22:23], v[2:3]
	v_add_nc_u64_e32 v[14:15], s[16:17], v[14:15]
	s_cbranch_vccz .LBB252_20
.LBB252_4:                              ; =>This Inner Loop Header: Depth=1
	v_add_nc_u64_e32 v[16:17], s[22:23], v[0:1]
	s_wait_loadcnt 0x0
	v_mov_b32_e32 v23, 0
	s_delay_alu instid0(VALU_DEP_2)
	v_cmp_lt_u64_e32 vcc_lo, v[16:17], v[4:5]
	s_and_saveexec_b32 s2, vcc_lo
	s_cbranch_execz .LBB252_6
; %bb.5:                                ;   in Loop: Header=BB252_4 Depth=1
	global_load_b32 v23, v[8:9], off
.LBB252_6:                              ;   in Loop: Header=BB252_4 Depth=1
	s_wait_xcnt 0x0
	s_or_b32 exec_lo, exec_lo, s2
	v_add_nc_u64_e32 v[16:17], s[22:23], v[6:7]
	v_dual_mov_b32 v21, 0 :: v_dual_mov_b32 v22, 0
	s_delay_alu instid0(VALU_DEP_2)
	v_cmp_lt_u64_e64 s4, v[16:17], v[4:5]
	s_and_saveexec_b32 s2, s4
	s_cbranch_execz .LBB252_8
; %bb.7:                                ;   in Loop: Header=BB252_4 Depth=1
	global_load_b32 v22, v[14:15], off
.LBB252_8:                              ;   in Loop: Header=BB252_4 Depth=1
	s_wait_xcnt 0x0
	s_or_b32 exec_lo, exec_lo, s2
	v_add_nc_u64_e32 v[16:17], s[22:23], v[12:13]
	v_add_nc_u64_e32 v[18:19], s[20:21], v[8:9]
	s_delay_alu instid0(VALU_DEP_2)
	v_cmp_lt_u64_e64 s3, v[16:17], v[4:5]
	s_and_saveexec_b32 s2, s3
	s_cbranch_execz .LBB252_10
; %bb.9:                                ;   in Loop: Header=BB252_4 Depth=1
	global_load_b32 v21, v[18:19], off
.LBB252_10:                             ;   in Loop: Header=BB252_4 Depth=1
	s_wait_xcnt 0x0
	s_or_b32 exec_lo, exec_lo, s2
	v_add_nc_u64_e32 v[16:17], s[22:23], v[10:11]
	v_mov_b32_e32 v20, 0
	s_delay_alu instid0(VALU_DEP_2)
	v_cmp_lt_u64_e64 s2, v[16:17], v[4:5]
	v_add_nc_u64_e32 v[16:17], s[18:19], v[8:9]
	s_and_saveexec_b32 s5, s2
	s_cbranch_execnz .LBB252_15
; %bb.11:                               ;   in Loop: Header=BB252_4 Depth=1
	s_or_b32 exec_lo, exec_lo, s5
	s_and_saveexec_b32 s5, vcc_lo
	s_cbranch_execnz .LBB252_16
.LBB252_12:                             ;   in Loop: Header=BB252_4 Depth=1
	s_or_b32 exec_lo, exec_lo, s5
	s_and_saveexec_b32 s5, s4
	s_cbranch_execnz .LBB252_17
.LBB252_13:                             ;   in Loop: Header=BB252_4 Depth=1
	s_or_b32 exec_lo, exec_lo, s5
	s_and_saveexec_b32 s4, s3
	s_cbranch_execnz .LBB252_18
.LBB252_14:                             ;   in Loop: Header=BB252_4 Depth=1
	s_or_b32 exec_lo, exec_lo, s4
	s_and_saveexec_b32 s3, s2
	s_cbranch_execz .LBB252_3
	s_branch .LBB252_19
.LBB252_15:                             ;   in Loop: Header=BB252_4 Depth=1
	global_load_b32 v20, v[16:17], off
	s_wait_xcnt 0x0
	s_or_b32 exec_lo, exec_lo, s5
	s_and_saveexec_b32 s5, vcc_lo
	s_cbranch_execz .LBB252_12
.LBB252_16:                             ;   in Loop: Header=BB252_4 Depth=1
	s_wait_loadcnt 0x0
	v_mul_f32_e32 v24, 0xbfb8aa3b, v23
	v_cmp_nlt_f32_e32 vcc_lo, 0x42ce8ed0, v23
	s_delay_alu instid0(VALU_DEP_2) | instskip(SKIP_1) | instid1(VALU_DEP_2)
	v_rndne_f32_e32 v25, v24
	v_fma_f32 v26, 0xbfb8aa3b, v23, -v24
	v_sub_f32_e32 v24, v24, v25
	s_delay_alu instid0(VALU_DEP_2) | instskip(SKIP_1) | instid1(VALU_DEP_2)
	v_fmac_f32_e32 v26, 0xb2a5705f, v23
	v_cvt_i32_f32_e32 v25, v25
	v_add_f32_e32 v24, v24, v26
	s_delay_alu instid0(VALU_DEP_1) | instskip(SKIP_1) | instid1(TRANS32_DEP_1)
	v_exp_f32_e32 v24, v24
	v_nop
	v_ldexp_f32 v24, v24, v25
	s_delay_alu instid0(VALU_DEP_1) | instskip(SKIP_1) | instid1(VALU_DEP_2)
	v_cndmask_b32_e32 v24, 0, v24, vcc_lo
	v_cmp_ngt_f32_e32 vcc_lo, 0xc2b17218, v23
	v_cndmask_b32_e32 v23, 0x7f800000, v24, vcc_lo
	s_delay_alu instid0(VALU_DEP_1) | instskip(NEXT) | instid1(VALU_DEP_1)
	v_add_f32_e32 v23, s8, v23
	v_div_scale_f32 v24, null, v23, v23, s8
	s_delay_alu instid0(VALU_DEP_1) | instskip(SKIP_1) | instid1(TRANS32_DEP_1)
	v_rcp_f32_e32 v25, v24
	v_nop
	v_fma_f32 v26, -v24, v25, 1.0
	s_delay_alu instid0(VALU_DEP_1) | instskip(SKIP_1) | instid1(VALU_DEP_1)
	v_fmac_f32_e32 v25, v26, v25
	v_div_scale_f32 v26, vcc_lo, s8, v23, s8
	v_mul_f32_e32 v27, v26, v25
	s_delay_alu instid0(VALU_DEP_1) | instskip(NEXT) | instid1(VALU_DEP_1)
	v_fma_f32 v28, -v24, v27, v26
	v_fmac_f32_e32 v27, v28, v25
	s_delay_alu instid0(VALU_DEP_1) | instskip(NEXT) | instid1(VALU_DEP_1)
	v_fma_f32 v24, -v24, v27, v26
	v_div_fmas_f32 v24, v24, v25, v27
	s_delay_alu instid0(VALU_DEP_1)
	v_div_fixup_f32 v23, v24, v23, s8
	global_store_b32 v[8:9], v23, off
	s_wait_xcnt 0x0
	s_or_b32 exec_lo, exec_lo, s5
	s_and_saveexec_b32 s5, s4
	s_cbranch_execz .LBB252_13
.LBB252_17:                             ;   in Loop: Header=BB252_4 Depth=1
	s_wait_loadcnt 0x0
	v_mul_f32_e32 v23, 0xbfb8aa3b, v22
	v_cmp_nlt_f32_e32 vcc_lo, 0x42ce8ed0, v22
	s_delay_alu instid0(VALU_DEP_2) | instskip(SKIP_1) | instid1(VALU_DEP_2)
	v_rndne_f32_e32 v24, v23
	v_fma_f32 v25, 0xbfb8aa3b, v22, -v23
	v_sub_f32_e32 v23, v23, v24
	s_delay_alu instid0(VALU_DEP_2) | instskip(SKIP_1) | instid1(VALU_DEP_2)
	v_fmac_f32_e32 v25, 0xb2a5705f, v22
	v_cvt_i32_f32_e32 v24, v24
	v_add_f32_e32 v23, v23, v25
	s_delay_alu instid0(VALU_DEP_1) | instskip(SKIP_1) | instid1(TRANS32_DEP_1)
	v_exp_f32_e32 v23, v23
	v_nop
	v_ldexp_f32 v23, v23, v24
	s_delay_alu instid0(VALU_DEP_1) | instskip(SKIP_1) | instid1(VALU_DEP_2)
	v_cndmask_b32_e32 v23, 0, v23, vcc_lo
	v_cmp_ngt_f32_e32 vcc_lo, 0xc2b17218, v22
	v_cndmask_b32_e32 v22, 0x7f800000, v23, vcc_lo
	s_delay_alu instid0(VALU_DEP_1) | instskip(NEXT) | instid1(VALU_DEP_1)
	v_add_f32_e32 v22, s8, v22
	v_div_scale_f32 v23, null, v22, v22, s8
	s_delay_alu instid0(VALU_DEP_1) | instskip(SKIP_1) | instid1(TRANS32_DEP_1)
	v_rcp_f32_e32 v24, v23
	v_nop
	v_fma_f32 v25, -v23, v24, 1.0
	s_delay_alu instid0(VALU_DEP_1) | instskip(SKIP_1) | instid1(VALU_DEP_1)
	v_fmac_f32_e32 v24, v25, v24
	v_div_scale_f32 v25, vcc_lo, s8, v22, s8
	v_mul_f32_e32 v26, v25, v24
	s_delay_alu instid0(VALU_DEP_1) | instskip(NEXT) | instid1(VALU_DEP_1)
	v_fma_f32 v27, -v23, v26, v25
	v_fmac_f32_e32 v26, v27, v24
	s_delay_alu instid0(VALU_DEP_1) | instskip(NEXT) | instid1(VALU_DEP_1)
	v_fma_f32 v23, -v23, v26, v25
	v_div_fmas_f32 v23, v23, v24, v26
	s_delay_alu instid0(VALU_DEP_1)
	v_div_fixup_f32 v22, v23, v22, s8
	global_store_b32 v[14:15], v22, off
	s_wait_xcnt 0x0
	s_or_b32 exec_lo, exec_lo, s5
	s_and_saveexec_b32 s4, s3
	s_cbranch_execz .LBB252_14
.LBB252_18:                             ;   in Loop: Header=BB252_4 Depth=1
	s_wait_loadcnt 0x0
	v_mul_f32_e32 v22, 0xbfb8aa3b, v21
	v_cmp_nlt_f32_e32 vcc_lo, 0x42ce8ed0, v21
	s_delay_alu instid0(VALU_DEP_2) | instskip(SKIP_1) | instid1(VALU_DEP_2)
	v_rndne_f32_e32 v23, v22
	v_fma_f32 v24, 0xbfb8aa3b, v21, -v22
	v_sub_f32_e32 v22, v22, v23
	s_delay_alu instid0(VALU_DEP_2) | instskip(SKIP_1) | instid1(VALU_DEP_2)
	v_fmac_f32_e32 v24, 0xb2a5705f, v21
	v_cvt_i32_f32_e32 v23, v23
	v_add_f32_e32 v22, v22, v24
	s_delay_alu instid0(VALU_DEP_1) | instskip(SKIP_1) | instid1(TRANS32_DEP_1)
	v_exp_f32_e32 v22, v22
	v_nop
	v_ldexp_f32 v22, v22, v23
	s_delay_alu instid0(VALU_DEP_1) | instskip(SKIP_1) | instid1(VALU_DEP_2)
	v_cndmask_b32_e32 v22, 0, v22, vcc_lo
	v_cmp_ngt_f32_e32 vcc_lo, 0xc2b17218, v21
	v_cndmask_b32_e32 v21, 0x7f800000, v22, vcc_lo
	s_delay_alu instid0(VALU_DEP_1) | instskip(NEXT) | instid1(VALU_DEP_1)
	v_add_f32_e32 v21, s8, v21
	v_div_scale_f32 v22, null, v21, v21, s8
	s_delay_alu instid0(VALU_DEP_1) | instskip(SKIP_1) | instid1(TRANS32_DEP_1)
	v_rcp_f32_e32 v23, v22
	v_nop
	v_fma_f32 v24, -v22, v23, 1.0
	s_delay_alu instid0(VALU_DEP_1) | instskip(SKIP_1) | instid1(VALU_DEP_1)
	v_fmac_f32_e32 v23, v24, v23
	v_div_scale_f32 v24, vcc_lo, s8, v21, s8
	v_mul_f32_e32 v25, v24, v23
	s_delay_alu instid0(VALU_DEP_1) | instskip(NEXT) | instid1(VALU_DEP_1)
	v_fma_f32 v26, -v22, v25, v24
	v_fmac_f32_e32 v25, v26, v23
	s_delay_alu instid0(VALU_DEP_1) | instskip(NEXT) | instid1(VALU_DEP_1)
	v_fma_f32 v22, -v22, v25, v24
	v_div_fmas_f32 v22, v22, v23, v25
	s_delay_alu instid0(VALU_DEP_1)
	v_div_fixup_f32 v21, v22, v21, s8
	global_store_b32 v[18:19], v21, off
	s_wait_xcnt 0x0
	s_or_b32 exec_lo, exec_lo, s4
	s_and_saveexec_b32 s3, s2
	s_cbranch_execz .LBB252_3
.LBB252_19:                             ;   in Loop: Header=BB252_4 Depth=1
	s_wait_loadcnt 0x0
	v_mul_f32_e32 v18, 0xbfb8aa3b, v20
	v_cmp_nlt_f32_e32 vcc_lo, 0x42ce8ed0, v20
	s_delay_alu instid0(VALU_DEP_2) | instskip(SKIP_1) | instid1(VALU_DEP_1)
	v_rndne_f32_e32 v19, v18
	v_fma_f32 v21, 0xbfb8aa3b, v20, -v18
	v_dual_sub_f32 v18, v18, v19 :: v_dual_fmac_f32 v21, 0xb2a5705f, v20
	v_cvt_i32_f32_e32 v19, v19
	s_delay_alu instid0(VALU_DEP_2) | instskip(NEXT) | instid1(VALU_DEP_1)
	v_add_f32_e32 v18, v18, v21
	v_exp_f32_e32 v18, v18
	v_nop
	s_delay_alu instid0(TRANS32_DEP_1) | instskip(NEXT) | instid1(VALU_DEP_1)
	v_ldexp_f32 v18, v18, v19
	v_cndmask_b32_e32 v18, 0, v18, vcc_lo
	v_cmp_ngt_f32_e32 vcc_lo, 0xc2b17218, v20
	s_delay_alu instid0(VALU_DEP_2) | instskip(NEXT) | instid1(VALU_DEP_1)
	v_cndmask_b32_e32 v18, 0x7f800000, v18, vcc_lo
	v_add_f32_e32 v18, s8, v18
	s_delay_alu instid0(VALU_DEP_1) | instskip(NEXT) | instid1(VALU_DEP_1)
	v_div_scale_f32 v19, null, v18, v18, s8
	v_rcp_f32_e32 v20, v19
	v_nop
	s_delay_alu instid0(TRANS32_DEP_1) | instskip(NEXT) | instid1(VALU_DEP_1)
	v_fma_f32 v21, -v19, v20, 1.0
	v_fmac_f32_e32 v20, v21, v20
	v_div_scale_f32 v21, vcc_lo, s8, v18, s8
	s_delay_alu instid0(VALU_DEP_1) | instskip(NEXT) | instid1(VALU_DEP_1)
	v_mul_f32_e32 v22, v21, v20
	v_fma_f32 v23, -v19, v22, v21
	s_delay_alu instid0(VALU_DEP_1) | instskip(NEXT) | instid1(VALU_DEP_1)
	v_fmac_f32_e32 v22, v23, v20
	v_fma_f32 v19, -v19, v22, v21
	s_delay_alu instid0(VALU_DEP_1) | instskip(NEXT) | instid1(VALU_DEP_1)
	v_div_fmas_f32 v19, v19, v20, v22
	v_div_fixup_f32 v18, v19, v18, s8
	global_store_b32 v[16:17], v18, off
	s_branch .LBB252_3
.LBB252_20:
	s_cbranch_execz .LBB252_22
	s_branch .LBB252_32
.LBB252_21:
.LBB252_22:
	v_min_i64 v[10:11], 0x10000, s[6:7]
	v_dual_mov_b32 v3, 0 :: v_dual_lshlrev_b32 v2, 2, v0
	s_mov_b32 s2, exec_lo
	s_delay_alu instid0(VALU_DEP_1)
	v_cmpx_lt_i64_e64 v[2:3], v[10:11]
	s_cbranch_execz .LBB252_32
; %bb.23:
	v_dual_mov_b32 v5, v3 :: v_dual_add_nc_u32 v4, 4, v2
	s_mov_b32 s7, 0
	s_load_b32 s0, s[0:1], 0xd3c
	v_dual_mov_b32 v1, v3 :: v_dual_mov_b32 v7, s7
	s_delay_alu instid0(VALU_DEP_2) | instskip(SKIP_2) | instid1(SALU_CYCLE_1)
	v_max_i64 v[4:5], v[10:11], v[4:5]
	s_wait_kmcnt 0x0
	s_and_b32 s14, s0, 0xffff
	s_cmp_lg_u32 s14, 1
	s_cselect_b32 s0, -1, 0
	s_delay_alu instid0(VALU_DEP_1) | instskip(NEXT) | instid1(VALU_DEP_1)
	v_add_nc_u64_e32 v[4:5], -4, v[4:5]
	v_cmp_ne_u64_e32 vcc_lo, v[4:5], v[2:3]
	v_cndmask_b32_e64 v6, 0, 1, vcc_lo
	s_delay_alu instid0(VALU_DEP_1) | instskip(NEXT) | instid1(VALU_DEP_1)
	v_or_b32_e32 v2, v2, v6
	v_sub_nc_u64_e32 v[4:5], v[4:5], v[2:3]
	s_delay_alu instid0(VALU_DEP_1) | instskip(NEXT) | instid1(VALU_DEP_1)
	v_lshrrev_b64 v[4:5], 2, v[4:5]
	v_add_nc_u64_e32 v[4:5], v[4:5], v[6:7]
	s_delay_alu instid0(VALU_DEP_1) | instskip(SKIP_1) | instid1(SALU_CYCLE_1)
	v_cmp_eq_u64_e32 vcc_lo, 0, v[4:5]
	s_or_b32 s0, vcc_lo, s0
	s_and_saveexec_b32 s1, s0
	s_delay_alu instid0(SALU_CYCLE_1)
	s_xor_b32 s0, exec_lo, s1
	s_cbranch_execnz .LBB252_26
; %bb.24:
	s_or_saveexec_b32 s15, s0
	v_mov_b64_e32 v[2:3], s[8:9]
	s_xor_b32 exec_lo, exec_lo, s15
	s_cbranch_execnz .LBB252_27
.LBB252_25:
	s_or_b32 exec_lo, exec_lo, s15
	s_delay_alu instid0(SALU_CYCLE_1)
	s_and_b32 exec_lo, exec_lo, s7
	s_cbranch_execnz .LBB252_30
	s_branch .LBB252_32
.LBB252_26:
	s_mov_b32 s7, exec_lo
                                        ; implicit-def: $vgpr4_vgpr5
	s_or_saveexec_b32 s15, s0
	v_mov_b64_e32 v[2:3], s[8:9]
	s_xor_b32 exec_lo, exec_lo, s15
	s_cbranch_execz .LBB252_25
.LBB252_27:
	v_dual_mov_b32 v3, 0 :: v_dual_lshlrev_b32 v2, 4, v0
	v_add_nc_u64_e32 v[12:13], 1, v[4:5]
	s_add_nc_u64 s[0:1], s[10:11], s[12:13]
	s_mov_b32 s9, s8
	s_mov_b32 s16, 0
	v_add_nc_u64_e32 v[2:3], s[0:1], v[2:3]
	v_mov_b64_e32 v[18:19], s[8:9]
	s_delay_alu instid0(VALU_DEP_3) | instskip(NEXT) | instid1(VALU_DEP_3)
	v_dual_mov_b32 v15, v13 :: v_dual_bitop2_b32 v14, -2, v12 bitop3:0x40
	v_add_nc_u64_e32 v[16:17], 28, v[2:3]
	s_wait_loadcnt 0x0
	s_delay_alu instid0(VALU_DEP_2)
	v_mov_b64_e32 v[20:21], v[14:15]
.LBB252_28:                             ; =>This Inner Loop Header: Depth=1
	s_clause 0x1
	global_load_b128 v[6:9], v[16:17], off offset:-12
	global_load_b128 v[2:5], v[16:17], off offset:-28
	v_add_nc_u64_e32 v[20:21], -2, v[20:21]
	s_wait_loadcnt 0x0
	v_dual_mul_f32 v22, 0xbfb8aa3b, v6 :: v_dual_mul_f32 v25, 0xbfb8aa3b, v3
	v_dual_mul_f32 v23, 0xbfb8aa3b, v2 :: v_dual_mul_f32 v24, 0xbfb8aa3b, v7
	;; [unrolled: 1-line block ×3, first 2 shown]
	s_delay_alu instid0(VALU_DEP_3) | instskip(SKIP_1) | instid1(VALU_DEP_4)
	v_rndne_f32_e32 v30, v22
	v_fma_f32 v31, 0xbfb8aa3b, v6, -v22
	v_rndne_f32_e32 v34, v24
	v_fma_f32 v35, 0xbfb8aa3b, v7, -v24
	;; [unrolled: 2-line block ×3, first 2 shown]
	v_sub_f32_e32 v22, v22, v30
	s_delay_alu instid0(VALU_DEP_4)
	v_dual_sub_f32 v24, v24, v34 :: v_dual_fmac_f32 v35, 0xb2a5705f, v7
	v_fmac_f32_e32 v31, 0xb2a5705f, v6
	v_rndne_f32_e32 v44, v29
	v_sub_f32_e32 v23, v23, v32
	v_dual_mul_f32 v27, 0xbfb8aa3b, v4 :: v_dual_mul_f32 v28, 0xbfb8aa3b, v9
	v_dual_add_f32 v24, v24, v35 :: v_dual_fmac_f32 v33, 0xb2a5705f, v2
	v_add_f32_e32 v22, v22, v31
	v_fma_f32 v45, 0xbfb8aa3b, v5, -v29
	v_sub_f32_e32 v29, v29, v44
	v_rndne_f32_e32 v36, v25
	v_add_f32_e32 v23, v23, v33
	v_exp_f32_e32 v22, v22
	v_fma_f32 v37, 0xbfb8aa3b, v3, -v25
	v_rndne_f32_e32 v42, v28
	v_fma_f32 v43, 0xbfb8aa3b, v9, -v28
	v_cvt_i32_f32_e32 v30, v30
	v_exp_f32_e32 v23, v23
	v_rndne_f32_e32 v38, v26
	v_fma_f32 v39, 0xbfb8aa3b, v8, -v26
	v_rndne_f32_e32 v40, v27
	v_fma_f32 v41, 0xbfb8aa3b, v4, -v27
	v_cvt_i32_f32_e32 v32, v32
	v_dual_sub_f32 v25, v25, v36 :: v_dual_sub_f32 v26, v26, v38
	v_dual_fmac_f32 v37, 0xb2a5705f, v3 :: v_dual_sub_f32 v28, v28, v42
	v_ldexp_f32 v22, v22, v30
	v_cmp_nlt_f32_e32 vcc_lo, 0x42ce8ed0, v6
	v_fmac_f32_e32 v43, 0xb2a5705f, v9
	v_exp_f32_e32 v24, v24
	v_cvt_i32_f32_e32 v34, v34
	v_dual_sub_f32 v27, v27, v40 :: v_dual_add_f32 v25, v25, v37
	v_ldexp_f32 v23, v23, v32
	v_dual_cndmask_b32 v22, 0, v22 :: v_dual_fmac_f32 v39, 0xb2a5705f, v8
	v_dual_add_f32 v28, v28, v43 :: v_dual_fmac_f32 v41, 0xb2a5705f, v4
	v_cmp_nlt_f32_e32 vcc_lo, 0x42ce8ed0, v2
	s_delay_alu instid0(VALU_DEP_3)
	v_dual_fmac_f32 v45, 0xb2a5705f, v5 :: v_dual_add_f32 v26, v26, v39
	v_exp_f32_e32 v25, v25
	v_ldexp_f32 v24, v24, v34
	v_cndmask_b32_e32 v30, 0, v23, vcc_lo
	v_cmp_nlt_f32_e32 vcc_lo, 0x42ce8ed0, v7
	v_add_f32_e32 v27, v27, v41
	v_cvt_i32_f32_e32 v36, v36
	v_exp_f32_e32 v26, v26
	v_cvt_i32_f32_e32 v38, v38
	v_cndmask_b32_e32 v24, 0, v24, vcc_lo
	v_exp_f32_e32 v27, v27
	v_cvt_i32_f32_e32 v40, v40
	v_ldexp_f32 v25, v25, v36
	v_cmp_nlt_f32_e32 vcc_lo, 0x42ce8ed0, v3
	v_ldexp_f32 v26, v26, v38
	v_exp_f32_e32 v28, v28
	v_cvt_i32_f32_e32 v42, v42
	v_ldexp_f32 v27, v27, v40
	v_cndmask_b32_e32 v25, 0, v25, vcc_lo
	v_cmp_nlt_f32_e32 vcc_lo, 0x42ce8ed0, v8
	v_add_f32_e32 v29, v29, v45
	v_cvt_i32_f32_e32 v44, v44
	v_ldexp_f32 v28, v28, v42
	v_cndmask_b32_e32 v26, 0, v26, vcc_lo
	v_cmp_nlt_f32_e32 vcc_lo, 0x42ce8ed0, v4
	v_exp_f32_e32 v29, v29
	v_cndmask_b32_e32 v27, 0, v27, vcc_lo
	v_cmp_nlt_f32_e32 vcc_lo, 0x42ce8ed0, v9
	s_delay_alu instid0(TRANS32_DEP_1) | instskip(SKIP_2) | instid1(VALU_DEP_3)
	v_ldexp_f32 v29, v29, v44
	v_cndmask_b32_e32 v28, 0, v28, vcc_lo
	v_cmp_nlt_f32_e32 vcc_lo, 0x42ce8ed0, v5
	v_cndmask_b32_e32 v29, 0, v29, vcc_lo
	v_cmp_ngt_f32_e32 vcc_lo, 0xc2b17218, v6
	v_cndmask_b32_e32 v23, 0x7f800000, v22, vcc_lo
	v_cmp_ngt_f32_e32 vcc_lo, 0xc2b17218, v2
	;; [unrolled: 2-line block ×8, first 2 shown]
	v_pk_add_f32 v[4:5], v[18:19], v[22:23]
	v_cndmask_b32_e32 v8, 0x7f800000, v29, vcc_lo
	s_delay_alu instid0(VALU_DEP_1) | instskip(NEXT) | instid1(VALU_DEP_1)
	v_pk_add_f32 v[26:27], v[18:19], v[8:9]
	v_div_scale_f32 v34, null, v27, v27, s9
	s_delay_alu instid0(VALU_DEP_2) | instskip(SKIP_1) | instid1(VALU_DEP_3)
	v_div_scale_f32 v36, null, v26, v26, s8
	v_div_scale_f32 v37, s6, s8, v26, s8
	v_rcp_f32_e32 v44, v34
	s_delay_alu instid0(VALU_DEP_2) | instskip(SKIP_1) | instid1(TRANS32_DEP_2)
	v_rcp_f32_e32 v45, v36
	v_div_scale_f32 v35, s5, s9, v27, s9
	v_fma_f32 v52, -v34, v44, 1.0
	s_delay_alu instid0(TRANS32_DEP_1) | instskip(NEXT) | instid1(VALU_DEP_2)
	v_fma_f32 v53, -v36, v45, 1.0
	v_fmac_f32_e32 v44, v52, v44
	v_pk_add_f32 v[24:25], v[18:19], v[2:3]
	v_div_scale_f32 v2, null, v5, v5, s9
	v_div_scale_f32 v3, vcc_lo, s9, v5, s9
	s_delay_alu instid0(VALU_DEP_3) | instskip(NEXT) | instid1(VALU_DEP_3)
	v_div_scale_f32 v32, null, v24, v24, s8
	v_rcp_f32_e32 v38, v2
	v_div_scale_f32 v30, null, v25, v25, s9
	s_delay_alu instid0(VALU_DEP_2) | instskip(SKIP_1) | instid1(VALU_DEP_2)
	v_rcp_f32_e32 v43, v32
	v_div_scale_f32 v33, s4, s8, v24, s8
	v_rcp_f32_e32 v42, v30
	s_delay_alu instid0(TRANS32_DEP_3) | instskip(SKIP_1) | instid1(TRANS32_DEP_2)
	v_fma_f32 v46, -v2, v38, 1.0
	v_div_scale_f32 v31, s3, s9, v25, s9
	v_fma_f32 v51, -v32, v43, 1.0
	s_delay_alu instid0(VALU_DEP_3) | instskip(NEXT) | instid1(TRANS32_DEP_1)
	v_dual_mul_f32 v52, v35, v44 :: v_dual_fmac_f32 v38, v46, v38
	v_fma_f32 v50, -v30, v42, 1.0
	s_delay_alu instid0(VALU_DEP_3) | instskip(SKIP_3) | instid1(VALU_DEP_3)
	v_dual_fmac_f32 v45, v53, v45 :: v_dual_fmac_f32 v43, v51, v43
	v_pk_add_f32 v[22:23], v[18:19], v[6:7]
	v_div_scale_f32 v6, null, v4, v4, s8
	v_div_scale_f32 v7, s0, s8, v4, s8
	v_div_scale_f32 v8, null, v23, v23, s9
	s_delay_alu instid0(VALU_DEP_4) | instskip(NEXT) | instid1(VALU_DEP_4)
	v_div_scale_f32 v28, null, v22, v22, s8
	v_rcp_f32_e32 v39, v6
	s_delay_alu instid0(VALU_DEP_2) | instskip(SKIP_1) | instid1(VALU_DEP_2)
	v_rcp_f32_e32 v40, v8
	v_div_scale_f32 v9, s1, s9, v23, s9
	v_rcp_f32_e32 v41, v28
	v_div_scale_f32 v29, s2, s8, v22, s8
	s_delay_alu instid0(TRANS32_DEP_3) | instskip(NEXT) | instid1(TRANS32_DEP_2)
	v_fma_f32 v47, -v6, v39, 1.0
	v_fma_f32 v48, -v8, v40, 1.0
	v_mul_f32_e32 v46, v3, v38
	v_fmac_f32_e32 v42, v50, v42
	s_delay_alu instid0(TRANS32_DEP_1) | instskip(NEXT) | instid1(VALU_DEP_4)
	v_fma_f32 v49, -v28, v41, 1.0
	v_dual_fmac_f32 v39, v47, v39 :: v_dual_fmac_f32 v40, v48, v40
	s_delay_alu instid0(VALU_DEP_4) | instskip(NEXT) | instid1(VALU_DEP_2)
	v_dual_mul_f32 v51, v33, v43 :: v_dual_fma_f32 v54, -v2, v46, v3
	v_dual_fmac_f32 v41, v49, v41 :: v_dual_mul_f32 v47, v7, v39
	s_delay_alu instid0(VALU_DEP_3) | instskip(SKIP_1) | instid1(VALU_DEP_3)
	v_dual_mul_f32 v48, v9, v40 :: v_dual_mul_f32 v50, v31, v42
	v_mul_f32_e32 v53, v37, v45
	v_dual_mul_f32 v49, v29, v41 :: v_dual_fma_f32 v55, -v6, v47, v7
	s_delay_alu instid0(VALU_DEP_3) | instskip(SKIP_1) | instid1(VALU_DEP_3)
	v_dual_fma_f32 v56, -v8, v48, v9 :: v_dual_fma_f32 v58, -v30, v50, v31
	v_dual_fma_f32 v59, -v32, v51, v33 :: v_dual_fmac_f32 v46, v54, v38
	v_dual_fma_f32 v57, -v28, v49, v29 :: v_dual_fma_f32 v60, -v34, v52, v35
	s_delay_alu instid0(VALU_DEP_4) | instskip(NEXT) | instid1(VALU_DEP_2)
	v_dual_fma_f32 v61, -v36, v53, v37 :: v_dual_fmac_f32 v47, v55, v39
	v_dual_fmac_f32 v48, v56, v40 :: v_dual_fmac_f32 v49, v57, v41
	s_delay_alu instid0(VALU_DEP_4) | instskip(SKIP_1) | instid1(VALU_DEP_3)
	v_fma_f32 v2, -v2, v46, v3
	v_dual_fmac_f32 v50, v58, v42 :: v_dual_fmac_f32 v51, v59, v43
	v_dual_fma_f32 v3, -v6, v47, v7 :: v_dual_fma_f32 v7, -v28, v49, v29
	s_delay_alu instid0(VALU_DEP_4) | instskip(NEXT) | instid1(VALU_DEP_4)
	v_fma_f32 v6, -v8, v48, v9
	v_div_fmas_f32 v2, v2, v38, v46
	s_mov_b32 vcc_lo, s0
	v_dual_fmac_f32 v52, v60, v44 :: v_dual_fmac_f32 v53, v61, v45
	v_div_fmas_f32 v3, v3, v39, v47
	s_mov_b32 vcc_lo, s1
	v_dual_fma_f32 v8, -v30, v50, v31 :: v_dual_fma_f32 v9, -v32, v51, v33
	v_div_fmas_f32 v30, v6, v40, v48
	s_mov_b32 vcc_lo, s2
	v_div_fixup_f32 v2, v2, v5, s9
	v_div_fmas_f32 v5, v7, v41, v49
	s_mov_b32 vcc_lo, s3
	v_dual_fma_f32 v28, -v34, v52, v35 :: v_dual_fma_f32 v29, -v36, v53, v37
	v_div_fixup_f32 v6, v3, v4, s8
	v_div_fmas_f32 v4, v8, v42, v50
	s_mov_b32 vcc_lo, s4
	v_div_fixup_f32 v7, v5, v22, s8
	v_div_fmas_f32 v8, v9, v43, v51
	s_mov_b32 vcc_lo, s5
	;; [unrolled: 3-line block ×3, first 2 shown]
	v_div_fixup_f32 v8, v8, v24, s8
	v_div_fmas_f32 v9, v29, v45, v53
	v_div_fixup_f32 v4, v4, v25, s9
	v_div_fixup_f32 v5, v28, v27, s9
	v_cmp_eq_u64_e32 vcc_lo, 0, v[20:21]
	s_delay_alu instid0(VALU_DEP_4)
	v_div_fixup_f32 v9, v9, v26, s8
	s_clause 0x1
	global_store_b128 v[16:17], v[6:9], off offset:-28
	global_store_b128 v[16:17], v[2:5], off offset:-12
	s_wait_xcnt 0x0
	v_add_nc_u64_e32 v[16:17], 32, v[16:17]
	s_or_b32 s16, vcc_lo, s16
	s_delay_alu instid0(SALU_CYCLE_1)
	s_and_not1_b32 exec_lo, exec_lo, s16
	s_cbranch_execnz .LBB252_28
; %bb.29:
	s_or_b32 exec_lo, exec_lo, s16
	v_cmp_ne_u64_e32 vcc_lo, v[12:13], v[14:15]
	v_add_nc_u64_e32 v[0:1], v[14:15], v[0:1]
	v_mov_b64_e32 v[2:3], s[8:9]
	s_and_not1_b32 s0, s7, exec_lo
	s_and_b32 s1, vcc_lo, exec_lo
	s_delay_alu instid0(SALU_CYCLE_1) | instskip(SKIP_1) | instid1(SALU_CYCLE_1)
	s_or_b32 s7, s0, s1
	s_or_b32 exec_lo, exec_lo, s15
	s_and_b32 exec_lo, exec_lo, s7
	s_cbranch_execz .LBB252_32
.LBB252_30:
	s_add_nc_u64 s[0:1], s[10:11], s[12:13]
	v_mov_b32_e32 v3, s8
	v_lshl_add_u64 v[4:5], v[0:1], 4, s[0:1]
	s_mov_b32 s15, 0
	s_lshl_b32 s4, s14, 4
	s_mov_b32 s5, s15
	s_mov_b32 s3, s15
	v_add_nc_u64_e32 v[4:5], 8, v[4:5]
.LBB252_31:                             ; =>This Inner Loop Header: Depth=1
	global_load_b128 v[6:9], v[4:5], off offset:-8
	v_add_nc_u64_e32 v[0:1], s[14:15], v[0:1]
	s_wait_loadcnt 0x0
	v_dual_mul_f32 v12, 0xbfb8aa3b, v6 :: v_dual_mul_f32 v13, 0xbfb8aa3b, v7
	v_dual_mul_f32 v14, 0xbfb8aa3b, v8 :: v_dual_mul_f32 v15, 0xbfb8aa3b, v9
	v_cmp_nlt_f32_e32 vcc_lo, 0x42ce8ed0, v6
	s_delay_alu instid0(VALU_DEP_3) | instskip(SKIP_4) | instid1(VALU_DEP_4)
	v_rndne_f32_e32 v16, v12
	v_fma_f32 v17, 0xbfb8aa3b, v6, -v12
	v_rndne_f32_e32 v18, v13
	v_fma_f32 v19, 0xbfb8aa3b, v7, -v13
	v_rndne_f32_e32 v20, v14
	v_dual_sub_f32 v12, v12, v16 :: v_dual_fmac_f32 v17, 0xb2a5705f, v6
	v_rndne_f32_e32 v22, v15
	v_sub_f32_e32 v13, v13, v18
	v_fmac_f32_e32 v19, 0xb2a5705f, v7
	v_fma_f32 v21, 0xbfb8aa3b, v8, -v14
	v_add_f32_e32 v12, v12, v17
	v_fma_f32 v23, 0xbfb8aa3b, v9, -v15
	v_dual_sub_f32 v14, v14, v20 :: v_dual_sub_f32 v15, v15, v22
	v_add_f32_e32 v13, v13, v19
	s_delay_alu instid0(VALU_DEP_4)
	v_exp_f32_e32 v12, v12
	v_cvt_i32_f32_e32 v16, v16
	v_cvt_i32_f32_e32 v17, v18
	;; [unrolled: 1-line block ×3, first 2 shown]
	v_exp_f32_e32 v13, v13
	v_cvt_i32_f32_e32 v19, v22
	s_delay_alu instid0(TRANS32_DEP_2) | instskip(SKIP_1) | instid1(TRANS32_DEP_1)
	v_ldexp_f32 v12, v12, v16
	v_fmac_f32_e32 v23, 0xb2a5705f, v9
	v_ldexp_f32 v13, v13, v17
	s_delay_alu instid0(VALU_DEP_3) | instskip(SKIP_1) | instid1(VALU_DEP_3)
	v_cndmask_b32_e32 v12, 0, v12, vcc_lo
	v_cmp_nlt_f32_e32 vcc_lo, 0x42ce8ed0, v7
	v_dual_add_f32 v15, v15, v23 :: v_dual_cndmask_b32 v13, 0, v13, vcc_lo
	v_cmp_nlt_f32_e32 vcc_lo, 0x42ce8ed0, v8
	v_fmac_f32_e32 v21, 0xb2a5705f, v8
	s_delay_alu instid0(VALU_DEP_3) | instskip(NEXT) | instid1(VALU_DEP_1)
	v_exp_f32_e32 v15, v15
	v_add_f32_e32 v14, v14, v21
	s_delay_alu instid0(TRANS32_DEP_1) | instskip(NEXT) | instid1(VALU_DEP_2)
	v_ldexp_f32 v15, v15, v19
	v_exp_f32_e32 v14, v14
	v_nop
	s_delay_alu instid0(TRANS32_DEP_1) | instskip(NEXT) | instid1(VALU_DEP_1)
	v_ldexp_f32 v14, v14, v18
	v_cndmask_b32_e32 v14, 0, v14, vcc_lo
	v_cmp_nlt_f32_e32 vcc_lo, 0x42ce8ed0, v9
	v_cndmask_b32_e32 v15, 0, v15, vcc_lo
	v_cmp_ngt_f32_e32 vcc_lo, 0xc2b17218, v6
	v_cndmask_b32_e32 v6, 0x7f800000, v12, vcc_lo
	v_cmp_ngt_f32_e32 vcc_lo, 0xc2b17218, v7
	;; [unrolled: 2-line block ×3, first 2 shown]
	s_delay_alu instid0(VALU_DEP_2) | instskip(SKIP_2) | instid1(VALU_DEP_3)
	v_pk_add_f32 v[6:7], v[2:3], v[6:7]
	v_cndmask_b32_e32 v8, 0x7f800000, v14, vcc_lo
	v_cmp_ngt_f32_e32 vcc_lo, 0xc2b17218, v9
	v_div_scale_f32 v12, null, v7, v7, v3
	v_cndmask_b32_e32 v9, 0x7f800000, v15, vcc_lo
	v_div_scale_f32 v13, null, v6, v6, v2
	s_delay_alu instid0(VALU_DEP_3) | instskip(SKIP_1) | instid1(VALU_DEP_3)
	v_rcp_f32_e32 v17, v12
	v_div_scale_f32 v16, vcc_lo, v3, v7, v3
	v_pk_add_f32 v[8:9], v[2:3], v[8:9]
	s_delay_alu instid0(VALU_DEP_3) | instskip(SKIP_1) | instid1(TRANS32_DEP_2)
	v_rcp_f32_e32 v18, v13
	v_div_scale_f32 v21, s0, v2, v6, v2
	v_fma_f32 v23, -v12, v17, 1.0
	s_delay_alu instid0(VALU_DEP_3) | instskip(SKIP_1) | instid1(TRANS32_DEP_1)
	v_div_scale_f32 v14, null, v9, v9, v3
	v_div_scale_f32 v15, null, v8, v8, v2
	v_fma_f32 v24, -v13, v18, 1.0
	s_delay_alu instid0(VALU_DEP_3) | instskip(SKIP_1) | instid1(VALU_DEP_3)
	v_rcp_f32_e32 v19, v14
	v_fmac_f32_e32 v17, v23, v17
	v_rcp_f32_e32 v20, v15
	v_div_scale_f32 v22, s1, v3, v9, v3
	v_fmac_f32_e32 v18, v24, v18
	s_delay_alu instid0(VALU_DEP_3) | instskip(NEXT) | instid1(TRANS32_DEP_2)
	v_mul_f32_e32 v23, v16, v17
	v_fma_f32 v25, -v14, v19, 1.0
	v_div_scale_f32 v27, s2, v2, v8, v2
	s_delay_alu instid0(TRANS32_DEP_1) | instskip(SKIP_1) | instid1(VALU_DEP_4)
	v_fma_f32 v26, -v15, v20, 1.0
	v_mul_f32_e32 v24, v21, v18
	v_fmac_f32_e32 v19, v25, v19
	v_fma_f32 v28, -v12, v23, v16
	s_delay_alu instid0(VALU_DEP_4) | instskip(NEXT) | instid1(VALU_DEP_3)
	v_fmac_f32_e32 v20, v26, v20
	v_dual_fma_f32 v29, -v13, v24, v21 :: v_dual_mul_f32 v25, v22, v19
	s_delay_alu instid0(VALU_DEP_2) | instskip(NEXT) | instid1(VALU_DEP_2)
	v_dual_fmac_f32 v23, v28, v17 :: v_dual_mul_f32 v26, v27, v20
	v_dual_fmac_f32 v24, v29, v18 :: v_dual_fma_f32 v30, -v14, v25, v22
	s_delay_alu instid0(VALU_DEP_2) | instskip(NEXT) | instid1(VALU_DEP_2)
	v_dual_fma_f32 v12, -v12, v23, v16 :: v_dual_fma_f32 v31, -v15, v26, v27
	v_fma_f32 v13, -v13, v24, v21
	s_delay_alu instid0(VALU_DEP_3) | instskip(NEXT) | instid1(VALU_DEP_3)
	v_fmac_f32_e32 v25, v30, v19
	v_div_fmas_f32 v16, v12, v17, v23
	s_mov_b32 vcc_lo, s0
	v_fmac_f32_e32 v26, v31, v20
	v_div_fmas_f32 v17, v13, v18, v24
	v_fma_f32 v14, -v14, v25, v22
	s_mov_b32 vcc_lo, s1
	v_lshlrev_b64_e32 v[12:13], 2, v[0:1]
	v_fma_f32 v15, -v15, v26, v27
	v_div_fixup_f32 v7, v16, v7, v3
	v_div_fmas_f32 v14, v14, v19, v25
	s_mov_b32 vcc_lo, s2
	v_div_fixup_f32 v6, v17, v6, v2
	v_div_fmas_f32 v15, v15, v20, v26
	v_cmp_ge_i64_e32 vcc_lo, v[12:13], v[10:11]
	v_div_fixup_f32 v9, v14, v9, v3
	s_delay_alu instid0(VALU_DEP_3)
	v_div_fixup_f32 v8, v15, v8, v2
	s_or_b32 s3, vcc_lo, s3
	global_store_b128 v[4:5], v[6:9], off offset:-8
	s_wait_xcnt 0x0
	v_add_nc_u64_e32 v[4:5], s[4:5], v[4:5]
	s_and_not1_b32 exec_lo, exec_lo, s3
	s_cbranch_execnz .LBB252_31
.LBB252_32:
	s_endpgm
	.section	.rodata,"a",@progbits
	.p2align	6, 0x0
	.amdhsa_kernel _ZN2at6native12_GLOBAL__N_125multi_tensor_apply_kernelINS1_18TensorListMetadataILi1EEENS1_14UnaryOpFunctorIfLi1ELi1ELi0EEEJNS0_7SigmoidIfEEEEEvT_T0_DpT1_
		.amdhsa_group_segment_fixed_size 0
		.amdhsa_private_segment_fixed_size 0
		.amdhsa_kernarg_size 3632
		.amdhsa_user_sgpr_count 2
		.amdhsa_user_sgpr_dispatch_ptr 0
		.amdhsa_user_sgpr_queue_ptr 0
		.amdhsa_user_sgpr_kernarg_segment_ptr 1
		.amdhsa_user_sgpr_dispatch_id 0
		.amdhsa_user_sgpr_kernarg_preload_length 0
		.amdhsa_user_sgpr_kernarg_preload_offset 0
		.amdhsa_user_sgpr_private_segment_size 0
		.amdhsa_wavefront_size32 1
		.amdhsa_uses_dynamic_stack 0
		.amdhsa_enable_private_segment 0
		.amdhsa_system_sgpr_workgroup_id_x 1
		.amdhsa_system_sgpr_workgroup_id_y 0
		.amdhsa_system_sgpr_workgroup_id_z 0
		.amdhsa_system_sgpr_workgroup_info 0
		.amdhsa_system_vgpr_workitem_id 0
		.amdhsa_next_free_vgpr 62
		.amdhsa_next_free_sgpr 24
		.amdhsa_named_barrier_count 0
		.amdhsa_reserve_vcc 1
		.amdhsa_float_round_mode_32 0
		.amdhsa_float_round_mode_16_64 0
		.amdhsa_float_denorm_mode_32 3
		.amdhsa_float_denorm_mode_16_64 3
		.amdhsa_fp16_overflow 0
		.amdhsa_memory_ordered 1
		.amdhsa_forward_progress 1
		.amdhsa_inst_pref_size 33
		.amdhsa_round_robin_scheduling 0
		.amdhsa_exception_fp_ieee_invalid_op 0
		.amdhsa_exception_fp_denorm_src 0
		.amdhsa_exception_fp_ieee_div_zero 0
		.amdhsa_exception_fp_ieee_overflow 0
		.amdhsa_exception_fp_ieee_underflow 0
		.amdhsa_exception_fp_ieee_inexact 0
		.amdhsa_exception_int_div_zero 0
	.end_amdhsa_kernel
	.section	.text._ZN2at6native12_GLOBAL__N_125multi_tensor_apply_kernelINS1_18TensorListMetadataILi1EEENS1_14UnaryOpFunctorIfLi1ELi1ELi0EEEJNS0_7SigmoidIfEEEEEvT_T0_DpT1_,"axG",@progbits,_ZN2at6native12_GLOBAL__N_125multi_tensor_apply_kernelINS1_18TensorListMetadataILi1EEENS1_14UnaryOpFunctorIfLi1ELi1ELi0EEEJNS0_7SigmoidIfEEEEEvT_T0_DpT1_,comdat
.Lfunc_end252:
	.size	_ZN2at6native12_GLOBAL__N_125multi_tensor_apply_kernelINS1_18TensorListMetadataILi1EEENS1_14UnaryOpFunctorIfLi1ELi1ELi0EEEJNS0_7SigmoidIfEEEEEvT_T0_DpT1_, .Lfunc_end252-_ZN2at6native12_GLOBAL__N_125multi_tensor_apply_kernelINS1_18TensorListMetadataILi1EEENS1_14UnaryOpFunctorIfLi1ELi1ELi0EEEJNS0_7SigmoidIfEEEEEvT_T0_DpT1_
                                        ; -- End function
	.set _ZN2at6native12_GLOBAL__N_125multi_tensor_apply_kernelINS1_18TensorListMetadataILi1EEENS1_14UnaryOpFunctorIfLi1ELi1ELi0EEEJNS0_7SigmoidIfEEEEEvT_T0_DpT1_.num_vgpr, 62
	.set _ZN2at6native12_GLOBAL__N_125multi_tensor_apply_kernelINS1_18TensorListMetadataILi1EEENS1_14UnaryOpFunctorIfLi1ELi1ELi0EEEJNS0_7SigmoidIfEEEEEvT_T0_DpT1_.num_agpr, 0
	.set _ZN2at6native12_GLOBAL__N_125multi_tensor_apply_kernelINS1_18TensorListMetadataILi1EEENS1_14UnaryOpFunctorIfLi1ELi1ELi0EEEJNS0_7SigmoidIfEEEEEvT_T0_DpT1_.numbered_sgpr, 24
	.set _ZN2at6native12_GLOBAL__N_125multi_tensor_apply_kernelINS1_18TensorListMetadataILi1EEENS1_14UnaryOpFunctorIfLi1ELi1ELi0EEEJNS0_7SigmoidIfEEEEEvT_T0_DpT1_.num_named_barrier, 0
	.set _ZN2at6native12_GLOBAL__N_125multi_tensor_apply_kernelINS1_18TensorListMetadataILi1EEENS1_14UnaryOpFunctorIfLi1ELi1ELi0EEEJNS0_7SigmoidIfEEEEEvT_T0_DpT1_.private_seg_size, 0
	.set _ZN2at6native12_GLOBAL__N_125multi_tensor_apply_kernelINS1_18TensorListMetadataILi1EEENS1_14UnaryOpFunctorIfLi1ELi1ELi0EEEJNS0_7SigmoidIfEEEEEvT_T0_DpT1_.uses_vcc, 1
	.set _ZN2at6native12_GLOBAL__N_125multi_tensor_apply_kernelINS1_18TensorListMetadataILi1EEENS1_14UnaryOpFunctorIfLi1ELi1ELi0EEEJNS0_7SigmoidIfEEEEEvT_T0_DpT1_.uses_flat_scratch, 0
	.set _ZN2at6native12_GLOBAL__N_125multi_tensor_apply_kernelINS1_18TensorListMetadataILi1EEENS1_14UnaryOpFunctorIfLi1ELi1ELi0EEEJNS0_7SigmoidIfEEEEEvT_T0_DpT1_.has_dyn_sized_stack, 0
	.set _ZN2at6native12_GLOBAL__N_125multi_tensor_apply_kernelINS1_18TensorListMetadataILi1EEENS1_14UnaryOpFunctorIfLi1ELi1ELi0EEEJNS0_7SigmoidIfEEEEEvT_T0_DpT1_.has_recursion, 0
	.set _ZN2at6native12_GLOBAL__N_125multi_tensor_apply_kernelINS1_18TensorListMetadataILi1EEENS1_14UnaryOpFunctorIfLi1ELi1ELi0EEEJNS0_7SigmoidIfEEEEEvT_T0_DpT1_.has_indirect_call, 0
	.section	.AMDGPU.csdata,"",@progbits
; Kernel info:
; codeLenInByte = 4200
; TotalNumSgprs: 26
; NumVgprs: 62
; ScratchSize: 0
; MemoryBound: 0
; FloatMode: 240
; IeeeMode: 1
; LDSByteSize: 0 bytes/workgroup (compile time only)
; SGPRBlocks: 0
; VGPRBlocks: 3
; NumSGPRsForWavesPerEU: 26
; NumVGPRsForWavesPerEU: 62
; NamedBarCnt: 0
; Occupancy: 16
; WaveLimiterHint : 0
; COMPUTE_PGM_RSRC2:SCRATCH_EN: 0
; COMPUTE_PGM_RSRC2:USER_SGPR: 2
; COMPUTE_PGM_RSRC2:TRAP_HANDLER: 0
; COMPUTE_PGM_RSRC2:TGID_X_EN: 1
; COMPUTE_PGM_RSRC2:TGID_Y_EN: 0
; COMPUTE_PGM_RSRC2:TGID_Z_EN: 0
; COMPUTE_PGM_RSRC2:TIDIG_COMP_CNT: 0
	.section	.text._ZN2at6native12_GLOBAL__N_125multi_tensor_apply_kernelINS1_18TensorListMetadataILi1EEENS1_14UnaryOpFunctorIN3c107complexIdEELi1ELi1ELi0EEEJNS0_7SigmoidIS8_EEEEEvT_T0_DpT1_,"axG",@progbits,_ZN2at6native12_GLOBAL__N_125multi_tensor_apply_kernelINS1_18TensorListMetadataILi1EEENS1_14UnaryOpFunctorIN3c107complexIdEELi1ELi1ELi0EEEJNS0_7SigmoidIS8_EEEEEvT_T0_DpT1_,comdat
	.globl	_ZN2at6native12_GLOBAL__N_125multi_tensor_apply_kernelINS1_18TensorListMetadataILi1EEENS1_14UnaryOpFunctorIN3c107complexIdEELi1ELi1ELi0EEEJNS0_7SigmoidIS8_EEEEEvT_T0_DpT1_ ; -- Begin function _ZN2at6native12_GLOBAL__N_125multi_tensor_apply_kernelINS1_18TensorListMetadataILi1EEENS1_14UnaryOpFunctorIN3c107complexIdEELi1ELi1ELi0EEEJNS0_7SigmoidIS8_EEEEEvT_T0_DpT1_
	.p2align	8
	.type	_ZN2at6native12_GLOBAL__N_125multi_tensor_apply_kernelINS1_18TensorListMetadataILi1EEENS1_14UnaryOpFunctorIN3c107complexIdEELi1ELi1ELi0EEEJNS0_7SigmoidIS8_EEEEEvT_T0_DpT1_,@function
_ZN2at6native12_GLOBAL__N_125multi_tensor_apply_kernelINS1_18TensorListMetadataILi1EEENS1_14UnaryOpFunctorIN3c107complexIdEELi1ELi1ELi0EEEJNS0_7SigmoidIS8_EEEEEvT_T0_DpT1_: ; @_ZN2at6native12_GLOBAL__N_125multi_tensor_apply_kernelINS1_18TensorListMetadataILi1EEENS1_14UnaryOpFunctorIN3c107complexIdEELi1ELi1ELi0EEEJNS0_7SigmoidIS8_EEEEEvT_T0_DpT1_
; %bb.0:
	s_bfe_u32 s2, ttmp6, 0x4000c
	s_and_b32 s3, ttmp6, 15
	s_add_co_i32 s2, s2, 1
	s_getreg_b32 s4, hwreg(HW_REG_IB_STS2, 6, 4)
	s_mul_i32 s2, ttmp9, s2
	s_delay_alu instid0(SALU_CYCLE_1) | instskip(SKIP_3) | instid1(SALU_CYCLE_1)
	s_add_co_i32 s2, s3, s2
	s_cmp_eq_u32 s4, 0
	s_mov_b32 s3, 0
	s_cselect_b32 s2, ttmp9, s2
	s_add_nc_u64 s[4:5], s[0:1], s[2:3]
	s_mul_u64 s[6:7], s[2:3], 3
	s_delay_alu instid0(SALU_CYCLE_1)
	s_add_nc_u64 s[4:5], s[4:5], s[6:7]
	s_clause 0x1
	s_load_b32 s6, s[4:5], 0x820
	s_load_u8 s7, s[0:1], s2 offset:0x6e0
	s_wait_kmcnt 0x0
	s_clause 0x2
	s_load_b64 s[10:11], s[0:1], s7 offset:0x0 scale_offset
	s_load_b64 s[4:5], s[0:1], s7 offset:0x370 scale_offset
	s_load_b128 s[12:15], s[0:1], 0xd30
	s_wait_xcnt 0x0
	s_ashr_i32 s7, s6, 31
	s_delay_alu instid0(SALU_CYCLE_1)
	s_lshl_b64 s[16:17], s[6:7], 20
	s_lshl_b64 s[6:7], s[6:7], 16
	s_wait_kmcnt 0x0
	s_add_nc_u64 s[20:21], s[10:11], s[16:17]
	s_and_b32 s2, s4, 3
	s_and_b64 s[8:9], s[20:21], 63
	s_sub_nc_u64 s[18:19], s[4:5], s[6:7]
	s_or_b64 s[2:3], s[8:9], s[2:3]
	s_delay_alu instid0(SALU_CYCLE_1)
	s_cmp_eq_u64 s[2:3], 0
	s_cbranch_scc1 .LBB253_229
; %bb.1:
	v_cmp_lt_i64_e64 s2, s[18:19], 1
	s_and_b32 vcc_lo, exec_lo, s2
	s_cbranch_vccnz .LBB253_228
; %bb.2:
	s_load_b32 s2, s[0:1], 0xd4c
	v_min_i64 v[18:19], 0x10000, s[18:19]
	v_min_u64 v[22:23], 0x10000, s[18:19]
	v_dual_mov_b32 v20, 0 :: v_dual_lshlrev_b32 v24, 4, v0
	s_mov_b32 s3, 0
	v_mov_b64_e32 v[26:27], 0x3e928af3fca7ab0c
	s_mov_b32 s5, s3
	s_delay_alu instid0(VALU_DEP_2)
	v_dual_mov_b32 v25, v20 :: v_dual_mov_b32 v1, v20
	s_mov_b32 s7, s3
	v_mov_b64_e32 v[28:29], 0x3e21eeb69037ab78
	v_mov_b64_e32 v[42:43], 0xbe5ae600b42fdfa7
	s_mov_b64 s[22:23], 0x3ff921fb54442d18
	s_mov_b64 s[24:25], 0x3fe45f306dc9c883
	;; [unrolled: 1-line block ×4, first 2 shown]
	s_mov_b32 s31, s3
	s_mov_b64 s[36:37], 0xc0937be319ba0da4
	s_mov_b32 s35, s3
	s_wait_kmcnt 0x0
	s_and_b32 s2, s2, 0xffff
	s_mov_b64 s[38:39], 0
	v_mad_nc_u64_u32 v[30:31], s2, 48, v[24:25]
	s_lshl_b32 s4, s2, 1
	s_mul_i32 s6, s2, 3
	v_add_nc_u64_e32 v[32:33], s[2:3], v[0:1]
	s_lshl_b32 s30, s2, 2
	s_lshl_b32 s34, s2, 6
	;; [unrolled: 1-line block ×3, first 2 shown]
	v_add_nc_u64_e32 v[34:35], s[6:7], v[0:1]
	v_add_nc_u64_e32 v[36:37], s[2:3], v[24:25]
	;; [unrolled: 1-line block ×3, first 2 shown]
	v_dual_lshlrev_b32 v40, 4, v32 :: v_dual_bitop2_b32 v30, 8, v30 bitop3:0x54
	v_mov_b32_e32 v41, v20
	s_mov_b32 s33, 0xfffff
                                        ; implicit-def: $vgpr2_vgpr3
                                        ; implicit-def: $vgpr2_vgpr3
	;; [unrolled: 1-line block ×15, first 2 shown]
	s_delay_alu instid0(VALU_DEP_4)
	v_or_b32_e32 v36, 8, v36
	s_branch .LBB253_4
.LBB253_3:                              ;   in Loop: Header=BB253_4 Depth=1
	s_wait_xcnt 0x0
	s_or_b32 exec_lo, exec_lo, s2
	s_add_nc_u64 s[38:39], s[38:39], s[30:31]
	s_add_nc_u64 s[20:21], s[20:21], s[34:35]
	v_cmp_ge_i64_e32 vcc_lo, s[38:39], v[18:19]
	s_cbranch_vccnz .LBB253_228
.LBB253_4:                              ; =>This Inner Loop Header: Depth=1
	v_add_nc_u64_e32 v[2:3], s[38:39], v[0:1]
	v_mov_b64_e32 v[16:17], 0
	v_add_nc_u64_e32 v[44:45], s[20:21], v[24:25]
	v_mov_b64_e32 v[8:9], 0
	v_mov_b64_e32 v[6:7], 0
	v_cmp_lt_u64_e64 s2, v[2:3], v[22:23]
	s_and_saveexec_b32 s3, s2
	s_cbranch_execz .LBB253_6
; %bb.5:                                ;   in Loop: Header=BB253_4 Depth=1
	global_load_b128 v[6:9], v[44:45], off
.LBB253_6:                              ;   in Loop: Header=BB253_4 Depth=1
	s_wait_xcnt 0x0
	s_or_b32 exec_lo, exec_lo, s3
	v_add_nc_u64_e32 v[2:3], s[38:39], v[32:33]
	v_add_nc_u64_e32 v[46:47], s[20:21], v[40:41]
	v_mov_b64_e32 v[14:15], 0
	s_delay_alu instid0(VALU_DEP_3)
	v_cmp_lt_u64_e64 s3, v[2:3], v[22:23]
	s_and_saveexec_b32 s4, s3
	s_cbranch_execz .LBB253_8
; %bb.7:                                ;   in Loop: Header=BB253_4 Depth=1
	global_load_b128 v[14:17], v[46:47], off
.LBB253_8:                              ;   in Loop: Header=BB253_4 Depth=1
	s_wait_xcnt 0x0
	s_or_b32 exec_lo, exec_lo, s4
	v_add_nc_u64_e32 v[2:3], s[38:39], v[38:39]
	v_mov_b64_e32 v[4:5], 0
	v_add_nc_u64_e32 v[48:49], s[20:21], v[36:37]
	v_mov_b64_e32 v[12:13], 0
	v_mov_b64_e32 v[10:11], 0
	v_cmp_lt_u64_e64 s4, v[2:3], v[22:23]
	s_and_saveexec_b32 s5, s4
	s_cbranch_execz .LBB253_10
; %bb.9:                                ;   in Loop: Header=BB253_4 Depth=1
	global_load_b128 v[10:13], v[48:49], off offset:-8
.LBB253_10:                             ;   in Loop: Header=BB253_4 Depth=1
	s_wait_xcnt 0x0
	s_or_b32 exec_lo, exec_lo, s5
	v_add_nc_u64_e32 v[2:3], s[38:39], v[34:35]
	v_add_nc_u64_e32 v[50:51], s[20:21], v[30:31]
	s_delay_alu instid0(VALU_DEP_2)
	v_cmp_lt_u64_e64 s5, v[2:3], v[22:23]
	v_mov_b64_e32 v[2:3], 0
	s_and_saveexec_b32 s6, s5
	s_cbranch_execz .LBB253_12
; %bb.11:                               ;   in Loop: Header=BB253_4 Depth=1
	global_load_b128 v[2:5], v[50:51], off offset:-8
.LBB253_12:                             ;   in Loop: Header=BB253_4 Depth=1
	s_wait_xcnt 0x0
	s_or_b32 exec_lo, exec_lo, s6
	s_wait_loadcnt 0x0
	v_xor_b32_e32 v53, 0x80000000, v9
                                        ; implicit-def: $vgpr54_vgpr55
	s_mov_b32 s6, exec_lo
	v_mov_b32_e32 v52, v8
	s_delay_alu instid0(VALU_DEP_2) | instskip(NEXT) | instid1(VALU_DEP_1)
	v_and_b32_e32 v58, 0x7fffffff, v53
	v_or_b32_e32 v21, v58, v8
	s_delay_alu instid0(VALU_DEP_1)
	v_cmpx_ne_u32_e32 0, v21
	s_xor_b32 s40, exec_lo, s6
	s_cbranch_execz .LBB253_54
; %bb.13:                               ;   in Loop: Header=BB253_4 Depth=1
	v_xor_b32_e32 v57, 0x80000000, v7
                                        ; implicit-def: $vgpr54_vgpr55
	s_mov_b32 s6, exec_lo
	v_mov_b32_e32 v56, v6
	s_delay_alu instid0(VALU_DEP_2) | instskip(NEXT) | instid1(VALU_DEP_1)
	v_and_b32_e32 v21, 0x7fffffff, v57
	v_or_b32_e32 v52, v21, v6
	s_delay_alu instid0(VALU_DEP_1)
	v_cmpx_ne_u32_e32 0, v52
	s_xor_b32 s41, exec_lo, s6
	s_cbranch_execz .LBB253_43
; %bb.14:                               ;   in Loop: Header=BB253_4 Depth=1
                                        ; implicit-def: $vgpr54_vgpr55
	s_mov_b32 s6, exec_lo
	v_cmpx_gt_u32_e32 0x7ff00000, v58
	s_xor_b32 s42, exec_lo, s6
	s_cbranch_execz .LBB253_36
; %bb.15:                               ;   in Loop: Header=BB253_4 Depth=1
	v_add_nc_u32_e32 v21, 0xbf79d1be, v57
                                        ; implicit-def: $vgpr54_vgpr55
	s_mov_b32 s6, exec_lo
	s_delay_alu instid0(VALU_DEP_1)
	v_cmpx_lt_u32_e32 0x108aa2, v21
	s_xor_b32 s43, exec_lo, s6
	s_cbranch_execz .LBB253_25
; %bb.16:                               ;   in Loop: Header=BB253_4 Depth=1
	v_cmp_ngt_f64_e64 s6, 0x41d00000, |v[8:9]|
                                        ; implicit-def: $vgpr52
                                        ; implicit-def: $vgpr54_vgpr55
                                        ; implicit-def: $vgpr56_vgpr57
	s_and_saveexec_b32 s7, s6
	s_delay_alu instid0(SALU_CYCLE_1)
	s_xor_b32 s7, exec_lo, s7
	s_cbranch_execz .LBB253_18
; %bb.17:                               ;   in Loop: Header=BB253_4 Depth=1
	v_ldexp_f64 v[54:55], |v[8:9]|, 0xffffff80
	v_cmp_le_f64_e64 vcc_lo, 0x7b000000, |v[8:9]|
	v_trig_preop_f64 v[56:57], |v[8:9]|, 0
	v_and_b32_e32 v21, 0x7fffffff, v9
	v_trig_preop_f64 v[58:59], |v[8:9]|, 1
	v_trig_preop_f64 v[68:69], |v[8:9]|, 2
	s_delay_alu instid0(VALU_DEP_3) | instskip(NEXT) | instid1(VALU_DEP_1)
	v_dual_cndmask_b32 v55, v21, v55 :: v_dual_cndmask_b32 v54, v8, v54
	v_mul_f64_e32 v[60:61], v[56:57], v[54:55]
	s_delay_alu instid0(VALU_DEP_4) | instskip(NEXT) | instid1(VALU_DEP_4)
	v_mul_f64_e32 v[62:63], v[58:59], v[54:55]
	v_mul_f64_e32 v[74:75], v[68:69], v[54:55]
	s_delay_alu instid0(VALU_DEP_3) | instskip(NEXT) | instid1(VALU_DEP_3)
	v_fma_f64 v[56:57], v[56:57], v[54:55], -v[60:61]
	v_fma_f64 v[58:59], v[58:59], v[54:55], -v[62:63]
	s_delay_alu instid0(VALU_DEP_3) | instskip(NEXT) | instid1(VALU_DEP_3)
	v_fma_f64 v[54:55], v[68:69], v[54:55], -v[74:75]
	v_add_f64_e32 v[64:65], v[62:63], v[56:57]
	s_delay_alu instid0(VALU_DEP_1) | instskip(SKIP_1) | instid1(VALU_DEP_2)
	v_add_f64_e64 v[66:67], v[64:65], -v[62:63]
	v_add_f64_e32 v[72:73], v[60:61], v[64:65]
	v_add_f64_e64 v[70:71], v[64:65], -v[66:67]
	v_add_f64_e64 v[56:57], v[56:57], -v[66:67]
	s_delay_alu instid0(VALU_DEP_3) | instskip(NEXT) | instid1(VALU_DEP_3)
	v_ldexp_f64 v[66:67], v[72:73], -2
	v_add_f64_e64 v[62:63], v[62:63], -v[70:71]
	v_add_f64_e32 v[70:71], v[74:75], v[58:59]
	s_delay_alu instid0(VALU_DEP_3) | instskip(NEXT) | instid1(VALU_DEP_3)
	v_cmp_neq_f64_e64 vcc_lo, 0x7ff00000, |v[66:67]|
	v_add_f64_e32 v[56:57], v[56:57], v[62:63]
	v_fract_f64_e32 v[62:63], v[66:67]
	s_delay_alu instid0(VALU_DEP_1) | instskip(NEXT) | instid1(VALU_DEP_1)
	v_ldexp_f64 v[62:63], v[62:63], 2
	v_dual_add_f64 v[60:61], v[72:73], -v[60:61] :: v_dual_cndmask_b32 v62, 0, v62, vcc_lo
	s_delay_alu instid0(VALU_DEP_1) | instskip(SKIP_1) | instid1(VALU_DEP_1)
	v_dual_add_f64 v[60:61], v[64:65], -v[60:61] :: v_dual_cndmask_b32 v63, 0, v63, vcc_lo
	v_add_f64_e32 v[64:65], v[70:71], v[56:57]
	v_add_f64_e32 v[66:67], v[60:61], v[64:65]
	v_add_f64_e64 v[76:77], v[64:65], -v[70:71]
	s_delay_alu instid0(VALU_DEP_2) | instskip(NEXT) | instid1(VALU_DEP_2)
	v_add_f64_e32 v[72:73], v[66:67], v[62:63]
	v_add_f64_e64 v[82:83], v[64:65], -v[76:77]
	v_add_f64_e64 v[56:57], v[56:57], -v[76:77]
	;; [unrolled: 1-line block ×3, first 2 shown]
	s_delay_alu instid0(VALU_DEP_4) | instskip(SKIP_1) | instid1(VALU_DEP_3)
	v_cmp_gt_f64_e32 vcc_lo, 0, v[72:73]
	v_add_f64_e64 v[72:73], v[70:71], -v[74:75]
	v_add_f64_e64 v[60:61], v[64:65], -v[60:61]
	v_cndmask_b32_e64 v21, 0, 0x40100000, vcc_lo
	s_delay_alu instid0(VALU_DEP_3) | instskip(SKIP_2) | instid1(VALU_DEP_4)
	v_add_f64_e64 v[80:81], v[70:71], -v[72:73]
	v_add_f64_e64 v[58:59], v[58:59], -v[72:73]
	;; [unrolled: 1-line block ×3, first 2 shown]
	v_add_f64_e32 v[62:63], v[62:63], v[20:21]
	s_delay_alu instid0(VALU_DEP_4) | instskip(NEXT) | instid1(VALU_DEP_3)
	v_add_f64_e64 v[72:73], v[74:75], -v[80:81]
	v_add_f64_e32 v[56:57], v[56:57], v[70:71]
	s_delay_alu instid0(VALU_DEP_3) | instskip(NEXT) | instid1(VALU_DEP_3)
	v_add_f64_e32 v[78:79], v[66:67], v[62:63]
	v_add_f64_e32 v[58:59], v[58:59], v[72:73]
	s_delay_alu instid0(VALU_DEP_2) | instskip(NEXT) | instid1(VALU_DEP_2)
	v_cvt_i32_f64_e32 v21, v[78:79]
	v_add_f64_e32 v[56:57], v[58:59], v[56:57]
	s_delay_alu instid0(VALU_DEP_2) | instskip(NEXT) | instid1(VALU_DEP_2)
	v_cvt_f64_i32_e32 v[76:77], v21
	v_add_f64_e32 v[54:55], v[54:55], v[56:57]
	s_delay_alu instid0(VALU_DEP_2) | instskip(NEXT) | instid1(VALU_DEP_2)
	v_add_f64_e64 v[62:63], v[62:63], -v[76:77]
	v_add_f64_e32 v[54:55], v[60:61], v[54:55]
	s_delay_alu instid0(VALU_DEP_2) | instskip(NEXT) | instid1(VALU_DEP_1)
	v_add_f64_e32 v[58:59], v[66:67], v[62:63]
	v_add_f64_e64 v[56:57], v[58:59], -v[62:63]
	v_cmp_le_f64_e32 vcc_lo, 0.5, v[58:59]
	s_delay_alu instid0(VALU_DEP_2) | instskip(SKIP_2) | instid1(VALU_DEP_3)
	v_add_f64_e64 v[56:57], v[66:67], -v[56:57]
	v_add_co_ci_u32_e64 v52, null, 0, v21, vcc_lo
	v_cndmask_b32_e64 v21, 0, 0x3ff00000, vcc_lo
	v_add_f64_e32 v[54:55], v[54:55], v[56:57]
	s_delay_alu instid0(VALU_DEP_2) | instskip(NEXT) | instid1(VALU_DEP_1)
	v_add_f64_e64 v[56:57], v[58:59], -v[20:21]
	v_add_f64_e32 v[58:59], v[56:57], v[54:55]
	s_delay_alu instid0(VALU_DEP_1) | instskip(SKIP_1) | instid1(VALU_DEP_2)
	v_mul_f64_e32 v[60:61], 0x3ff921fb54442d18, v[58:59]
	v_add_f64_e64 v[56:57], v[58:59], -v[56:57]
	v_fma_f64 v[62:63], v[58:59], s[22:23], -v[60:61]
	s_delay_alu instid0(VALU_DEP_2) | instskip(NEXT) | instid1(VALU_DEP_2)
	v_add_f64_e64 v[54:55], v[54:55], -v[56:57]
	v_fmac_f64_e32 v[62:63], 0x3c91a62633145c07, v[58:59]
	s_delay_alu instid0(VALU_DEP_1) | instskip(NEXT) | instid1(VALU_DEP_1)
	v_fmac_f64_e32 v[62:63], 0x3ff921fb54442d18, v[54:55]
	v_add_f64_e32 v[54:55], v[60:61], v[62:63]
	s_delay_alu instid0(VALU_DEP_1) | instskip(NEXT) | instid1(VALU_DEP_1)
	v_add_f64_e64 v[56:57], v[54:55], -v[60:61]
	v_add_f64_e64 v[56:57], v[62:63], -v[56:57]
	s_and_not1_saveexec_b32 s7, s7
	s_cbranch_execz .LBB253_20
	s_branch .LBB253_19
.LBB253_18:                             ;   in Loop: Header=BB253_4 Depth=1
	s_and_not1_saveexec_b32 s7, s7
	s_cbranch_execz .LBB253_20
.LBB253_19:                             ;   in Loop: Header=BB253_4 Depth=1
	v_mul_f64_e64 v[54:55], |v[8:9]|, s[24:25]
	s_delay_alu instid0(VALU_DEP_1) | instskip(NEXT) | instid1(VALU_DEP_1)
	v_rndne_f64_e32 v[58:59], v[54:55]
	v_fma_f64 v[54:55], v[58:59], s[26:27], |v[8:9]|
	v_mul_f64_e32 v[56:57], 0xbc91a62633145c00, v[58:59]
	v_cvt_i32_f64_e32 v52, v[58:59]
	s_delay_alu instid0(VALU_DEP_3) | instskip(NEXT) | instid1(VALU_DEP_3)
	v_fmamk_f64 v[64:65], v[58:59], 0xbc91a62633145c00, v[54:55]
	v_add_f64_e32 v[60:61], v[54:55], v[56:57]
	s_delay_alu instid0(VALU_DEP_1) | instskip(NEXT) | instid1(VALU_DEP_3)
	v_add_f64_e64 v[62:63], v[54:55], -v[60:61]
	v_add_f64_e64 v[54:55], v[60:61], -v[64:65]
	s_delay_alu instid0(VALU_DEP_2) | instskip(SKIP_1) | instid1(VALU_DEP_2)
	v_add_f64_e32 v[60:61], v[62:63], v[56:57]
	v_fmamk_f64 v[56:57], v[58:59], 0x3c91a62633145c00, v[56:57]
	v_add_f64_e32 v[54:55], v[54:55], v[60:61]
	s_delay_alu instid0(VALU_DEP_1) | instskip(NEXT) | instid1(VALU_DEP_1)
	v_add_f64_e64 v[56:57], v[54:55], -v[56:57]
	v_fmac_f64_e32 v[56:57], 0xb97b839a252049c0, v[58:59]
	s_delay_alu instid0(VALU_DEP_1) | instskip(NEXT) | instid1(VALU_DEP_1)
	v_add_f64_e32 v[54:55], v[64:65], v[56:57]
	v_add_f64_e64 v[60:61], v[54:55], -v[64:65]
	s_delay_alu instid0(VALU_DEP_1)
	v_add_f64_e64 v[56:57], v[56:57], -v[60:61]
.LBB253_20:                             ;   in Loop: Header=BB253_4 Depth=1
	s_or_b32 exec_lo, exec_lo, s7
                                        ; implicit-def: $vgpr62
                                        ; implicit-def: $vgpr58_vgpr59
                                        ; implicit-def: $vgpr60_vgpr61
	s_and_saveexec_b32 s7, s6
	s_delay_alu instid0(SALU_CYCLE_1)
	s_xor_b32 s6, exec_lo, s7
	s_cbranch_execz .LBB253_22
; %bb.21:                               ;   in Loop: Header=BB253_4 Depth=1
	v_ldexp_f64 v[58:59], |v[8:9]|, 0xffffff80
	v_cmp_le_f64_e64 vcc_lo, 0x7b000000, |v[8:9]|
	v_trig_preop_f64 v[60:61], |v[8:9]|, 0
	v_and_b32_e32 v21, 0x7fffffff, v9
	v_trig_preop_f64 v[62:63], |v[8:9]|, 1
	v_trig_preop_f64 v[72:73], |v[8:9]|, 2
	s_delay_alu instid0(VALU_DEP_3) | instskip(NEXT) | instid1(VALU_DEP_1)
	v_dual_cndmask_b32 v59, v21, v59 :: v_dual_cndmask_b32 v58, v8, v58
	v_mul_f64_e32 v[64:65], v[60:61], v[58:59]
	s_delay_alu instid0(VALU_DEP_4) | instskip(NEXT) | instid1(VALU_DEP_4)
	v_mul_f64_e32 v[66:67], v[62:63], v[58:59]
	v_mul_f64_e32 v[78:79], v[72:73], v[58:59]
	s_delay_alu instid0(VALU_DEP_3) | instskip(NEXT) | instid1(VALU_DEP_3)
	v_fma_f64 v[60:61], v[60:61], v[58:59], -v[64:65]
	v_fma_f64 v[62:63], v[62:63], v[58:59], -v[66:67]
	s_delay_alu instid0(VALU_DEP_3) | instskip(NEXT) | instid1(VALU_DEP_3)
	v_fma_f64 v[58:59], v[72:73], v[58:59], -v[78:79]
	v_add_f64_e32 v[68:69], v[66:67], v[60:61]
	s_delay_alu instid0(VALU_DEP_1) | instskip(SKIP_1) | instid1(VALU_DEP_2)
	v_add_f64_e64 v[70:71], v[68:69], -v[66:67]
	v_add_f64_e32 v[76:77], v[64:65], v[68:69]
	v_add_f64_e64 v[74:75], v[68:69], -v[70:71]
	v_add_f64_e64 v[60:61], v[60:61], -v[70:71]
	s_delay_alu instid0(VALU_DEP_3) | instskip(NEXT) | instid1(VALU_DEP_3)
	v_ldexp_f64 v[70:71], v[76:77], -2
	v_add_f64_e64 v[66:67], v[66:67], -v[74:75]
	v_add_f64_e32 v[74:75], v[78:79], v[62:63]
	s_delay_alu instid0(VALU_DEP_3) | instskip(NEXT) | instid1(VALU_DEP_3)
	v_cmp_neq_f64_e64 vcc_lo, 0x7ff00000, |v[70:71]|
	v_add_f64_e32 v[60:61], v[60:61], v[66:67]
	v_fract_f64_e32 v[66:67], v[70:71]
	s_delay_alu instid0(VALU_DEP_1) | instskip(NEXT) | instid1(VALU_DEP_1)
	v_ldexp_f64 v[66:67], v[66:67], 2
	v_dual_add_f64 v[64:65], v[76:77], -v[64:65] :: v_dual_cndmask_b32 v66, 0, v66, vcc_lo
	s_delay_alu instid0(VALU_DEP_1) | instskip(SKIP_1) | instid1(VALU_DEP_1)
	v_dual_add_f64 v[64:65], v[68:69], -v[64:65] :: v_dual_cndmask_b32 v67, 0, v67, vcc_lo
	v_add_f64_e32 v[68:69], v[74:75], v[60:61]
	v_add_f64_e32 v[70:71], v[64:65], v[68:69]
	v_add_f64_e64 v[80:81], v[68:69], -v[74:75]
	s_delay_alu instid0(VALU_DEP_2) | instskip(NEXT) | instid1(VALU_DEP_2)
	v_add_f64_e32 v[76:77], v[70:71], v[66:67]
	v_add_f64_e64 v[86:87], v[68:69], -v[80:81]
	v_add_f64_e64 v[60:61], v[60:61], -v[80:81]
	;; [unrolled: 1-line block ×3, first 2 shown]
	s_delay_alu instid0(VALU_DEP_4) | instskip(SKIP_2) | instid1(VALU_DEP_2)
	v_cmp_gt_f64_e32 vcc_lo, 0, v[76:77]
	v_add_f64_e64 v[76:77], v[74:75], -v[78:79]
	v_cndmask_b32_e64 v21, 0, 0x40100000, vcc_lo
	v_add_f64_e64 v[84:85], v[74:75], -v[76:77]
	v_add_f64_e64 v[62:63], v[62:63], -v[76:77]
	;; [unrolled: 1-line block ×3, first 2 shown]
	s_delay_alu instid0(VALU_DEP_4) | instskip(NEXT) | instid1(VALU_DEP_4)
	v_add_f64_e32 v[66:67], v[66:67], v[20:21]
	v_add_f64_e64 v[76:77], v[78:79], -v[84:85]
	s_delay_alu instid0(VALU_DEP_3) | instskip(NEXT) | instid1(VALU_DEP_3)
	v_add_f64_e32 v[60:61], v[60:61], v[74:75]
	v_add_f64_e32 v[82:83], v[70:71], v[66:67]
	s_delay_alu instid0(VALU_DEP_3) | instskip(NEXT) | instid1(VALU_DEP_2)
	v_add_f64_e32 v[62:63], v[62:63], v[76:77]
	v_cvt_i32_f64_e32 v21, v[82:83]
	s_delay_alu instid0(VALU_DEP_2) | instskip(SKIP_1) | instid1(VALU_DEP_3)
	v_add_f64_e32 v[60:61], v[62:63], v[60:61]
	v_add_f64_e64 v[62:63], v[68:69], -v[64:65]
	v_cvt_f64_i32_e32 v[80:81], v21
	s_delay_alu instid0(VALU_DEP_3) | instskip(NEXT) | instid1(VALU_DEP_2)
	v_add_f64_e32 v[58:59], v[58:59], v[60:61]
	v_add_f64_e64 v[66:67], v[66:67], -v[80:81]
	s_delay_alu instid0(VALU_DEP_2) | instskip(NEXT) | instid1(VALU_DEP_2)
	v_add_f64_e32 v[58:59], v[62:63], v[58:59]
	v_add_f64_e32 v[72:73], v[70:71], v[66:67]
	s_delay_alu instid0(VALU_DEP_1) | instskip(SKIP_1) | instid1(VALU_DEP_2)
	v_add_f64_e64 v[60:61], v[72:73], -v[66:67]
	v_cmp_le_f64_e32 vcc_lo, 0.5, v[72:73]
	v_add_f64_e64 v[60:61], v[70:71], -v[60:61]
	v_add_co_ci_u32_e64 v62, null, 0, v21, vcc_lo
	v_cndmask_b32_e64 v21, 0, 0x3ff00000, vcc_lo
	s_delay_alu instid0(VALU_DEP_3) | instskip(NEXT) | instid1(VALU_DEP_2)
	v_add_f64_e32 v[58:59], v[58:59], v[60:61]
	v_add_f64_e64 v[60:61], v[72:73], -v[20:21]
	s_delay_alu instid0(VALU_DEP_1) | instskip(NEXT) | instid1(VALU_DEP_1)
	v_add_f64_e32 v[64:65], v[60:61], v[58:59]
	v_mul_f64_e32 v[66:67], 0x3ff921fb54442d18, v[64:65]
	v_add_f64_e64 v[60:61], v[64:65], -v[60:61]
	s_delay_alu instid0(VALU_DEP_2) | instskip(NEXT) | instid1(VALU_DEP_2)
	v_fma_f64 v[68:69], v[64:65], s[22:23], -v[66:67]
	v_add_f64_e64 v[58:59], v[58:59], -v[60:61]
	s_delay_alu instid0(VALU_DEP_2) | instskip(NEXT) | instid1(VALU_DEP_1)
	v_fmac_f64_e32 v[68:69], 0x3c91a62633145c07, v[64:65]
	v_fmac_f64_e32 v[68:69], 0x3ff921fb54442d18, v[58:59]
	s_delay_alu instid0(VALU_DEP_1) | instskip(NEXT) | instid1(VALU_DEP_1)
	v_add_f64_e32 v[58:59], v[66:67], v[68:69]
	v_add_f64_e64 v[60:61], v[58:59], -v[66:67]
	s_delay_alu instid0(VALU_DEP_1)
	v_add_f64_e64 v[60:61], v[68:69], -v[60:61]
	s_and_not1_saveexec_b32 s6, s6
	s_cbranch_execnz .LBB253_23
	s_branch .LBB253_24
.LBB253_22:                             ;   in Loop: Header=BB253_4 Depth=1
	s_and_not1_saveexec_b32 s6, s6
	s_cbranch_execz .LBB253_24
.LBB253_23:                             ;   in Loop: Header=BB253_4 Depth=1
	v_mul_f64_e64 v[58:59], |v[8:9]|, s[24:25]
	s_delay_alu instid0(VALU_DEP_1) | instskip(NEXT) | instid1(VALU_DEP_1)
	v_rndne_f64_e32 v[62:63], v[58:59]
	v_fma_f64 v[58:59], v[62:63], s[26:27], |v[8:9]|
	v_mul_f64_e32 v[60:61], 0xbc91a62633145c00, v[62:63]
	s_delay_alu instid0(VALU_DEP_2) | instskip(NEXT) | instid1(VALU_DEP_2)
	v_fmamk_f64 v[68:69], v[62:63], 0xbc91a62633145c00, v[58:59]
	v_add_f64_e32 v[64:65], v[58:59], v[60:61]
	s_delay_alu instid0(VALU_DEP_1) | instskip(NEXT) | instid1(VALU_DEP_3)
	v_add_f64_e64 v[66:67], v[58:59], -v[64:65]
	v_add_f64_e64 v[58:59], v[64:65], -v[68:69]
	s_delay_alu instid0(VALU_DEP_2) | instskip(SKIP_1) | instid1(VALU_DEP_2)
	v_add_f64_e32 v[64:65], v[66:67], v[60:61]
	v_fmamk_f64 v[60:61], v[62:63], 0x3c91a62633145c00, v[60:61]
	v_add_f64_e32 v[58:59], v[58:59], v[64:65]
	s_delay_alu instid0(VALU_DEP_1) | instskip(NEXT) | instid1(VALU_DEP_1)
	v_add_f64_e64 v[60:61], v[58:59], -v[60:61]
	v_fmac_f64_e32 v[60:61], 0xb97b839a252049c0, v[62:63]
	v_cvt_i32_f64_e32 v62, v[62:63]
	s_delay_alu instid0(VALU_DEP_2) | instskip(NEXT) | instid1(VALU_DEP_1)
	v_add_f64_e32 v[58:59], v[68:69], v[60:61]
	v_add_f64_e64 v[64:65], v[58:59], -v[68:69]
	s_delay_alu instid0(VALU_DEP_1)
	v_add_f64_e64 v[60:61], v[60:61], -v[64:65]
.LBB253_24:                             ;   in Loop: Header=BB253_4 Depth=1
	s_or_b32 exec_lo, exec_lo, s6
	v_mul_f64_e32 v[64:65], 0xbff71547652b82fe, v[6:7]
	v_mul_f64_e32 v[66:67], v[54:55], v[54:55]
	;; [unrolled: 1-line block ×3, first 2 shown]
	s_delay_alu instid0(VALU_DEP_4)
	v_mul_f64_e32 v[80:81], 0.5, v[56:57]
	v_cmp_class_f64_e64 s6, v[8:9], 0x1f8
	v_lshlrev_b32_e32 v8, 30, v62
	v_cmp_ngt_f64_e64 s7, 0xc0900000, v[6:7]
	v_cmp_nlt_f64_e64 s8, 0x4090cc00, v[6:7]
	v_rndne_f64_e32 v[64:65], v[64:65]
	v_mul_f64_e32 v[70:71], 0.5, v[66:67]
	s_delay_alu instid0(VALU_DEP_2) | instskip(NEXT) | instid1(VALU_DEP_2)
	v_fma_f64 v[72:73], v[64:65], s[28:29], -v[6:7]
	v_add_f64_e64 v[76:77], -v[70:71], 1.0
	v_cvt_i32_f64_e32 v21, v[64:65]
	v_and_b32_e32 v6, 1, v62
	s_delay_alu instid0(VALU_DEP_1) | instskip(SKIP_3) | instid1(VALU_DEP_2)
	v_cmp_eq_u32_e64 s9, 0, v6
	v_mul_f64_e32 v[90:91], 0.5, v[60:61]
	v_fmac_f64_e32 v[72:73], 0xbc7abc9e3b39803f, v[64:65]
	v_add_f64_e64 v[84:85], -v[76:77], 1.0
	v_fmamk_f64 v[88:89], v[72:73], 0x3e5ade156a5dcb37, v[26:27]
	s_delay_alu instid0(VALU_DEP_2) | instskip(NEXT) | instid1(VALU_DEP_2)
	v_add_f64_e64 v[70:71], v[84:85], -v[70:71]
	v_fmaak_f64 v[88:89], v[72:73], v[88:89], 0x3ec71dee623fde64
	s_delay_alu instid0(VALU_DEP_1) | instskip(NEXT) | instid1(VALU_DEP_1)
	v_fmaak_f64 v[88:89], v[72:73], v[88:89], 0x3efa01997c89e6b0
	v_fmaak_f64 v[88:89], v[72:73], v[88:89], 0x3f2a01a014761f6e
	s_delay_alu instid0(VALU_DEP_1) | instskip(NEXT) | instid1(VALU_DEP_1)
	v_fmaak_f64 v[84:85], v[72:73], v[88:89], 0x3f56c16c1852b7b0
	;; [unrolled: 3-line block ×4, first 2 shown]
	v_fma_f64 v[84:85], v[72:73], v[84:85], 1.0
	s_delay_alu instid0(VALU_DEP_1) | instskip(NEXT) | instid1(VALU_DEP_1)
	v_fma_f64 v[64:65], v[72:73], v[84:85], 1.0
	v_ldexp_f64 v[64:65], v[64:65], v21
	v_dual_mul_f64 v[82:83], v[54:55], -v[66:67] :: v_dual_bitop2_b32 v21, 1, v52 bitop3:0x40
	v_fmamk_f64 v[86:87], v[66:67], 0x3de5e0b2f9a43bb8, v[42:43]
	v_lshlrev_b32_e32 v52, 30, v52
	v_mul_f64_e32 v[74:75], 0.5, v[68:69]
	v_mul_f64_e64 v[92:93], v[58:59], -v[68:69]
	v_fmamk_f64 v[96:97], v[68:69], 0x3de5e0b2f9a43bb8, v[42:43]
	v_mul_f64_e32 v[88:89], v[66:67], v[66:67]
	v_cmp_eq_u32_e32 vcc_lo, 0, v21
	v_fmaak_f64 v[86:87], v[66:67], v[86:87], 0x3ec71de3796cde01
	s_delay_alu instid0(VALU_DEP_1) | instskip(NEXT) | instid1(VALU_DEP_1)
	v_fmaak_f64 v[86:87], v[66:67], v[86:87], 0xbf2a01a019e83e5c
	v_fmaak_f64 v[86:87], v[66:67], v[86:87], 0x3f81111111110bb3
	v_cndmask_b32_e64 v9, 0x7ff00000, v65, s7
	s_delay_alu instid0(VALU_DEP_2) | instskip(SKIP_2) | instid1(VALU_DEP_2)
	v_fmac_f64_e32 v[80:81], v[82:83], v[86:87]
	v_fmaak_f64 v[86:87], v[68:69], v[96:97], 0x3ec71de3796cde01
	v_add_f64_e64 v[78:79], -v[74:75], 1.0
	v_fmaak_f64 v[86:87], v[68:69], v[86:87], 0xbf2a01a019e83e5c
	s_delay_alu instid0(VALU_DEP_1) | instskip(NEXT) | instid1(VALU_DEP_1)
	v_fmaak_f64 v[86:87], v[68:69], v[86:87], 0x3f81111111110bb3
	v_fmac_f64_e32 v[90:91], v[92:93], v[86:87]
	v_fmamk_f64 v[86:87], v[66:67], 0xbda907db46cc5e42, v[28:29]
	v_fma_f64 v[80:81], v[66:67], v[80:81], -v[56:57]
	v_fma_f64 v[56:57], v[54:55], -v[56:57], v[70:71]
	s_delay_alu instid0(VALU_DEP_3) | instskip(SKIP_2) | instid1(VALU_DEP_3)
	v_fmaak_f64 v[70:71], v[66:67], v[86:87], 0xbe927e4fa17f65f6
	v_add_f64_e64 v[94:95], -v[78:79], 1.0
	v_mul_f64_e32 v[86:87], v[68:69], v[68:69]
	v_fmaak_f64 v[70:71], v[66:67], v[70:71], 0x3efa01a019f4ec90
	s_delay_alu instid0(VALU_DEP_1) | instskip(NEXT) | instid1(VALU_DEP_1)
	v_fmaak_f64 v[70:71], v[66:67], v[70:71], 0xbf56c16c16c16967
	v_fmaak_f64 v[66:67], v[66:67], v[70:71], 0x3fa5555555555555
	v_fma_f64 v[70:71], v[68:69], v[90:91], -v[60:61]
	v_fmac_f64_e32 v[80:81], 0xbfc5555555555555, v[82:83]
	s_delay_alu instid0(VALU_DEP_3) | instskip(NEXT) | instid1(VALU_DEP_3)
	v_fmac_f64_e32 v[56:57], v[88:89], v[66:67]
	v_fmac_f64_e32 v[70:71], 0xbfc5555555555555, v[92:93]
	s_delay_alu instid0(VALU_DEP_3) | instskip(NEXT) | instid1(VALU_DEP_3)
	v_add_f64_e64 v[54:55], v[54:55], -v[80:81]
	v_add_f64_e32 v[56:57], v[76:77], v[56:57]
	s_delay_alu instid0(VALU_DEP_2) | instskip(NEXT) | instid1(VALU_DEP_2)
	v_xor_b32_e32 v7, 0x80000000, v55
	v_cndmask_b32_e32 v21, v54, v56, vcc_lo
	v_add_f64_e64 v[74:75], v[94:95], -v[74:75]
	v_fmamk_f64 v[94:95], v[68:69], 0xbda907db46cc5e42, v[28:29]
	s_delay_alu instid0(VALU_DEP_4) | instskip(SKIP_2) | instid1(VALU_DEP_2)
	v_cndmask_b32_e32 v6, v7, v57, vcc_lo
	s_and_b32 vcc_lo, s8, s7
	v_xor_b32_e32 v7, v8, v53
	v_bitop3_b32 v52, v6, v52, 0x80000000 bitop3:0x78
	v_cndmask_b32_e64 v6, 0, v21, s6
	v_fma_f64 v[60:61], v[58:59], -v[60:61], v[74:75]
	v_fmaak_f64 v[74:75], v[68:69], v[94:95], 0xbe927e4fa17f65f6
	v_add_f64_e64 v[58:59], v[58:59], -v[70:71]
	s_delay_alu instid0(VALU_DEP_2) | instskip(NEXT) | instid1(VALU_DEP_1)
	v_fmaak_f64 v[66:67], v[68:69], v[74:75], 0x3efa01a019f4ec90
	v_fmaak_f64 v[66:67], v[68:69], v[66:67], 0xbf56c16c16c16967
	s_delay_alu instid0(VALU_DEP_1) | instskip(NEXT) | instid1(VALU_DEP_1)
	v_fmaak_f64 v[66:67], v[68:69], v[66:67], 0x3fa5555555555555
	v_fmac_f64_e32 v[60:61], v[86:87], v[66:67]
	s_delay_alu instid0(VALU_DEP_1) | instskip(NEXT) | instid1(VALU_DEP_1)
	v_add_f64_e32 v[60:61], v[78:79], v[60:61]
	v_cndmask_b32_e64 v53, v61, v59, s9
	s_delay_alu instid0(VALU_DEP_1) | instskip(SKIP_1) | instid1(VALU_DEP_4)
	v_bitop3_b32 v21, v53, v7, 0x80000000 bitop3:0x78
	v_cndmask_b32_e64 v7, 0x7ff80000, v52, s6
	v_dual_cndmask_b32 v52, 0, v64, vcc_lo :: v_dual_cndmask_b32 v8, v60, v58, s9
	v_cndmask_b32_e64 v53, 0, v9, s8
	s_delay_alu instid0(VALU_DEP_4) | instskip(NEXT) | instid1(VALU_DEP_2)
	v_cndmask_b32_e64 v9, 0x7ff80000, v21, s6
	v_dual_mul_f64 v[54:55], v[52:53], v[6:7] :: v_dual_cndmask_b32 v8, 0, v8, s6
	s_delay_alu instid0(VALU_DEP_1)
	v_mul_f64_e32 v[52:53], v[52:53], v[8:9]
                                        ; implicit-def: $vgpr8_vgpr9
.LBB253_25:                             ;   in Loop: Header=BB253_4 Depth=1
	s_and_not1_saveexec_b32 s43, s43
	s_cbranch_execz .LBB253_28
; %bb.26:                               ;   in Loop: Header=BB253_4 Depth=1
	v_cmp_ngt_f64_e64 s6, 0x41d00000, |v[8:9]|
                                        ; implicit-def: $vgpr52
                                        ; implicit-def: $vgpr54_vgpr55
                                        ; implicit-def: $vgpr56_vgpr57
	s_and_saveexec_b32 s7, s6
	s_delay_alu instid0(SALU_CYCLE_1)
	s_xor_b32 s7, exec_lo, s7
	s_cbranch_execz .LBB253_29
; %bb.27:                               ;   in Loop: Header=BB253_4 Depth=1
	v_ldexp_f64 v[54:55], |v[8:9]|, 0xffffff80
	v_cmp_le_f64_e64 vcc_lo, 0x7b000000, |v[8:9]|
	v_trig_preop_f64 v[56:57], |v[8:9]|, 0
	v_and_b32_e32 v21, 0x7fffffff, v9
	v_trig_preop_f64 v[58:59], |v[8:9]|, 1
	v_trig_preop_f64 v[68:69], |v[8:9]|, 2
	s_delay_alu instid0(VALU_DEP_3) | instskip(NEXT) | instid1(VALU_DEP_1)
	v_dual_cndmask_b32 v55, v21, v55 :: v_dual_cndmask_b32 v54, v8, v54
	v_mul_f64_e32 v[60:61], v[56:57], v[54:55]
	s_delay_alu instid0(VALU_DEP_4) | instskip(NEXT) | instid1(VALU_DEP_4)
	v_mul_f64_e32 v[62:63], v[58:59], v[54:55]
	v_mul_f64_e32 v[74:75], v[68:69], v[54:55]
	s_delay_alu instid0(VALU_DEP_3) | instskip(NEXT) | instid1(VALU_DEP_3)
	v_fma_f64 v[56:57], v[56:57], v[54:55], -v[60:61]
	v_fma_f64 v[58:59], v[58:59], v[54:55], -v[62:63]
	s_delay_alu instid0(VALU_DEP_3) | instskip(NEXT) | instid1(VALU_DEP_3)
	v_fma_f64 v[54:55], v[68:69], v[54:55], -v[74:75]
	v_add_f64_e32 v[64:65], v[62:63], v[56:57]
	s_delay_alu instid0(VALU_DEP_1) | instskip(SKIP_1) | instid1(VALU_DEP_2)
	v_add_f64_e64 v[66:67], v[64:65], -v[62:63]
	v_add_f64_e32 v[72:73], v[60:61], v[64:65]
	v_add_f64_e64 v[70:71], v[64:65], -v[66:67]
	v_add_f64_e64 v[56:57], v[56:57], -v[66:67]
	s_delay_alu instid0(VALU_DEP_3) | instskip(NEXT) | instid1(VALU_DEP_3)
	v_ldexp_f64 v[66:67], v[72:73], -2
	v_add_f64_e64 v[62:63], v[62:63], -v[70:71]
	v_add_f64_e32 v[70:71], v[74:75], v[58:59]
	s_delay_alu instid0(VALU_DEP_3) | instskip(NEXT) | instid1(VALU_DEP_3)
	v_cmp_neq_f64_e64 vcc_lo, 0x7ff00000, |v[66:67]|
	v_add_f64_e32 v[56:57], v[56:57], v[62:63]
	v_fract_f64_e32 v[62:63], v[66:67]
	s_delay_alu instid0(VALU_DEP_1) | instskip(NEXT) | instid1(VALU_DEP_1)
	v_ldexp_f64 v[62:63], v[62:63], 2
	v_dual_add_f64 v[60:61], v[72:73], -v[60:61] :: v_dual_cndmask_b32 v62, 0, v62, vcc_lo
	s_delay_alu instid0(VALU_DEP_1) | instskip(SKIP_1) | instid1(VALU_DEP_1)
	v_dual_add_f64 v[60:61], v[64:65], -v[60:61] :: v_dual_cndmask_b32 v63, 0, v63, vcc_lo
	v_add_f64_e32 v[64:65], v[70:71], v[56:57]
	v_add_f64_e32 v[66:67], v[60:61], v[64:65]
	v_add_f64_e64 v[76:77], v[64:65], -v[70:71]
	s_delay_alu instid0(VALU_DEP_2) | instskip(NEXT) | instid1(VALU_DEP_2)
	v_add_f64_e32 v[72:73], v[66:67], v[62:63]
	v_add_f64_e64 v[82:83], v[64:65], -v[76:77]
	v_add_f64_e64 v[56:57], v[56:57], -v[76:77]
	;; [unrolled: 1-line block ×3, first 2 shown]
	s_delay_alu instid0(VALU_DEP_4) | instskip(SKIP_1) | instid1(VALU_DEP_3)
	v_cmp_gt_f64_e32 vcc_lo, 0, v[72:73]
	v_add_f64_e64 v[72:73], v[70:71], -v[74:75]
	v_add_f64_e64 v[60:61], v[64:65], -v[60:61]
	v_cndmask_b32_e64 v21, 0, 0x40100000, vcc_lo
	s_delay_alu instid0(VALU_DEP_3) | instskip(SKIP_2) | instid1(VALU_DEP_4)
	v_add_f64_e64 v[80:81], v[70:71], -v[72:73]
	v_add_f64_e64 v[58:59], v[58:59], -v[72:73]
	;; [unrolled: 1-line block ×3, first 2 shown]
	v_add_f64_e32 v[62:63], v[62:63], v[20:21]
	s_delay_alu instid0(VALU_DEP_4) | instskip(NEXT) | instid1(VALU_DEP_3)
	v_add_f64_e64 v[72:73], v[74:75], -v[80:81]
	v_add_f64_e32 v[56:57], v[56:57], v[70:71]
	s_delay_alu instid0(VALU_DEP_3) | instskip(NEXT) | instid1(VALU_DEP_3)
	v_add_f64_e32 v[78:79], v[66:67], v[62:63]
	v_add_f64_e32 v[58:59], v[58:59], v[72:73]
	s_delay_alu instid0(VALU_DEP_2) | instskip(NEXT) | instid1(VALU_DEP_2)
	v_cvt_i32_f64_e32 v21, v[78:79]
	v_add_f64_e32 v[56:57], v[58:59], v[56:57]
	s_delay_alu instid0(VALU_DEP_2) | instskip(NEXT) | instid1(VALU_DEP_2)
	v_cvt_f64_i32_e32 v[76:77], v21
	v_add_f64_e32 v[54:55], v[54:55], v[56:57]
	s_delay_alu instid0(VALU_DEP_2) | instskip(NEXT) | instid1(VALU_DEP_2)
	v_add_f64_e64 v[62:63], v[62:63], -v[76:77]
	v_add_f64_e32 v[54:55], v[60:61], v[54:55]
	s_delay_alu instid0(VALU_DEP_2) | instskip(NEXT) | instid1(VALU_DEP_1)
	v_add_f64_e32 v[58:59], v[66:67], v[62:63]
	v_add_f64_e64 v[56:57], v[58:59], -v[62:63]
	v_cmp_le_f64_e32 vcc_lo, 0.5, v[58:59]
	s_delay_alu instid0(VALU_DEP_2) | instskip(SKIP_2) | instid1(VALU_DEP_3)
	v_add_f64_e64 v[56:57], v[66:67], -v[56:57]
	v_add_co_ci_u32_e64 v52, null, 0, v21, vcc_lo
	v_cndmask_b32_e64 v21, 0, 0x3ff00000, vcc_lo
	v_add_f64_e32 v[54:55], v[54:55], v[56:57]
	s_delay_alu instid0(VALU_DEP_2) | instskip(NEXT) | instid1(VALU_DEP_1)
	v_add_f64_e64 v[56:57], v[58:59], -v[20:21]
	v_add_f64_e32 v[58:59], v[56:57], v[54:55]
	s_delay_alu instid0(VALU_DEP_1) | instskip(SKIP_1) | instid1(VALU_DEP_2)
	v_mul_f64_e32 v[60:61], 0x3ff921fb54442d18, v[58:59]
	v_add_f64_e64 v[56:57], v[58:59], -v[56:57]
	v_fma_f64 v[62:63], v[58:59], s[22:23], -v[60:61]
	s_delay_alu instid0(VALU_DEP_2) | instskip(NEXT) | instid1(VALU_DEP_2)
	v_add_f64_e64 v[54:55], v[54:55], -v[56:57]
	v_fmac_f64_e32 v[62:63], 0x3c91a62633145c07, v[58:59]
	s_delay_alu instid0(VALU_DEP_1) | instskip(NEXT) | instid1(VALU_DEP_1)
	v_fmac_f64_e32 v[62:63], 0x3ff921fb54442d18, v[54:55]
	v_add_f64_e32 v[54:55], v[60:61], v[62:63]
	s_delay_alu instid0(VALU_DEP_1) | instskip(NEXT) | instid1(VALU_DEP_1)
	v_add_f64_e64 v[56:57], v[54:55], -v[60:61]
	v_add_f64_e64 v[56:57], v[62:63], -v[56:57]
	s_and_not1_saveexec_b32 s7, s7
	s_cbranch_execz .LBB253_31
	s_branch .LBB253_30
.LBB253_28:                             ;   in Loop: Header=BB253_4 Depth=1
	s_or_b32 exec_lo, exec_lo, s43
                                        ; implicit-def: $vgpr56_vgpr57
                                        ; implicit-def: $vgpr6_vgpr7
                                        ; implicit-def: $vgpr21
	s_and_not1_saveexec_b32 s7, s42
	s_cbranch_execnz .LBB253_37
	s_branch .LBB253_42
.LBB253_29:                             ;   in Loop: Header=BB253_4 Depth=1
	s_and_not1_saveexec_b32 s7, s7
	s_cbranch_execz .LBB253_31
.LBB253_30:                             ;   in Loop: Header=BB253_4 Depth=1
	v_mul_f64_e64 v[54:55], |v[8:9]|, s[24:25]
	s_delay_alu instid0(VALU_DEP_1) | instskip(NEXT) | instid1(VALU_DEP_1)
	v_rndne_f64_e32 v[58:59], v[54:55]
	v_fma_f64 v[54:55], v[58:59], s[26:27], |v[8:9]|
	v_mul_f64_e32 v[56:57], 0xbc91a62633145c00, v[58:59]
	v_cvt_i32_f64_e32 v52, v[58:59]
	s_delay_alu instid0(VALU_DEP_3) | instskip(NEXT) | instid1(VALU_DEP_3)
	v_fmamk_f64 v[64:65], v[58:59], 0xbc91a62633145c00, v[54:55]
	v_add_f64_e32 v[60:61], v[54:55], v[56:57]
	s_delay_alu instid0(VALU_DEP_1) | instskip(NEXT) | instid1(VALU_DEP_3)
	v_add_f64_e64 v[62:63], v[54:55], -v[60:61]
	v_add_f64_e64 v[54:55], v[60:61], -v[64:65]
	s_delay_alu instid0(VALU_DEP_2) | instskip(SKIP_1) | instid1(VALU_DEP_2)
	v_add_f64_e32 v[60:61], v[62:63], v[56:57]
	v_fmamk_f64 v[56:57], v[58:59], 0x3c91a62633145c00, v[56:57]
	v_add_f64_e32 v[54:55], v[54:55], v[60:61]
	s_delay_alu instid0(VALU_DEP_1) | instskip(NEXT) | instid1(VALU_DEP_1)
	v_add_f64_e64 v[56:57], v[54:55], -v[56:57]
	v_fmac_f64_e32 v[56:57], 0xb97b839a252049c0, v[58:59]
	s_delay_alu instid0(VALU_DEP_1) | instskip(NEXT) | instid1(VALU_DEP_1)
	v_add_f64_e32 v[54:55], v[64:65], v[56:57]
	v_add_f64_e64 v[60:61], v[54:55], -v[64:65]
	s_delay_alu instid0(VALU_DEP_1)
	v_add_f64_e64 v[56:57], v[56:57], -v[60:61]
.LBB253_31:                             ;   in Loop: Header=BB253_4 Depth=1
	s_or_b32 exec_lo, exec_lo, s7
                                        ; implicit-def: $vgpr62
                                        ; implicit-def: $vgpr58_vgpr59
                                        ; implicit-def: $vgpr60_vgpr61
	s_and_saveexec_b32 s7, s6
	s_delay_alu instid0(SALU_CYCLE_1)
	s_xor_b32 s6, exec_lo, s7
	s_cbranch_execz .LBB253_33
; %bb.32:                               ;   in Loop: Header=BB253_4 Depth=1
	v_ldexp_f64 v[58:59], |v[8:9]|, 0xffffff80
	v_cmp_le_f64_e64 vcc_lo, 0x7b000000, |v[8:9]|
	v_trig_preop_f64 v[60:61], |v[8:9]|, 0
	v_and_b32_e32 v21, 0x7fffffff, v9
	v_trig_preop_f64 v[62:63], |v[8:9]|, 1
	v_trig_preop_f64 v[72:73], |v[8:9]|, 2
	s_delay_alu instid0(VALU_DEP_3) | instskip(NEXT) | instid1(VALU_DEP_1)
	v_dual_cndmask_b32 v59, v21, v59 :: v_dual_cndmask_b32 v58, v8, v58
	v_mul_f64_e32 v[64:65], v[60:61], v[58:59]
	s_delay_alu instid0(VALU_DEP_4) | instskip(NEXT) | instid1(VALU_DEP_4)
	v_mul_f64_e32 v[66:67], v[62:63], v[58:59]
	v_mul_f64_e32 v[78:79], v[72:73], v[58:59]
	s_delay_alu instid0(VALU_DEP_3) | instskip(NEXT) | instid1(VALU_DEP_3)
	v_fma_f64 v[60:61], v[60:61], v[58:59], -v[64:65]
	v_fma_f64 v[62:63], v[62:63], v[58:59], -v[66:67]
	s_delay_alu instid0(VALU_DEP_3) | instskip(NEXT) | instid1(VALU_DEP_3)
	v_fma_f64 v[58:59], v[72:73], v[58:59], -v[78:79]
	v_add_f64_e32 v[68:69], v[66:67], v[60:61]
	s_delay_alu instid0(VALU_DEP_1) | instskip(SKIP_1) | instid1(VALU_DEP_2)
	v_add_f64_e64 v[70:71], v[68:69], -v[66:67]
	v_add_f64_e32 v[76:77], v[64:65], v[68:69]
	v_add_f64_e64 v[74:75], v[68:69], -v[70:71]
	v_add_f64_e64 v[60:61], v[60:61], -v[70:71]
	s_delay_alu instid0(VALU_DEP_3) | instskip(NEXT) | instid1(VALU_DEP_3)
	v_ldexp_f64 v[70:71], v[76:77], -2
	v_add_f64_e64 v[66:67], v[66:67], -v[74:75]
	v_add_f64_e32 v[74:75], v[78:79], v[62:63]
	s_delay_alu instid0(VALU_DEP_3) | instskip(NEXT) | instid1(VALU_DEP_3)
	v_cmp_neq_f64_e64 vcc_lo, 0x7ff00000, |v[70:71]|
	v_add_f64_e32 v[60:61], v[60:61], v[66:67]
	v_fract_f64_e32 v[66:67], v[70:71]
	s_delay_alu instid0(VALU_DEP_1) | instskip(NEXT) | instid1(VALU_DEP_1)
	v_ldexp_f64 v[66:67], v[66:67], 2
	v_dual_add_f64 v[64:65], v[76:77], -v[64:65] :: v_dual_cndmask_b32 v66, 0, v66, vcc_lo
	s_delay_alu instid0(VALU_DEP_1) | instskip(SKIP_1) | instid1(VALU_DEP_1)
	v_dual_add_f64 v[64:65], v[68:69], -v[64:65] :: v_dual_cndmask_b32 v67, 0, v67, vcc_lo
	v_add_f64_e32 v[68:69], v[74:75], v[60:61]
	v_add_f64_e32 v[70:71], v[64:65], v[68:69]
	v_add_f64_e64 v[80:81], v[68:69], -v[74:75]
	s_delay_alu instid0(VALU_DEP_2) | instskip(NEXT) | instid1(VALU_DEP_2)
	v_add_f64_e32 v[76:77], v[70:71], v[66:67]
	v_add_f64_e64 v[86:87], v[68:69], -v[80:81]
	v_add_f64_e64 v[60:61], v[60:61], -v[80:81]
	;; [unrolled: 1-line block ×3, first 2 shown]
	s_delay_alu instid0(VALU_DEP_4) | instskip(SKIP_2) | instid1(VALU_DEP_2)
	v_cmp_gt_f64_e32 vcc_lo, 0, v[76:77]
	v_add_f64_e64 v[76:77], v[74:75], -v[78:79]
	v_cndmask_b32_e64 v21, 0, 0x40100000, vcc_lo
	v_add_f64_e64 v[84:85], v[74:75], -v[76:77]
	v_add_f64_e64 v[62:63], v[62:63], -v[76:77]
	;; [unrolled: 1-line block ×3, first 2 shown]
	s_delay_alu instid0(VALU_DEP_4) | instskip(NEXT) | instid1(VALU_DEP_4)
	v_add_f64_e32 v[66:67], v[66:67], v[20:21]
	v_add_f64_e64 v[76:77], v[78:79], -v[84:85]
	s_delay_alu instid0(VALU_DEP_3) | instskip(NEXT) | instid1(VALU_DEP_3)
	v_add_f64_e32 v[60:61], v[60:61], v[74:75]
	v_add_f64_e32 v[82:83], v[70:71], v[66:67]
	s_delay_alu instid0(VALU_DEP_3) | instskip(NEXT) | instid1(VALU_DEP_2)
	v_add_f64_e32 v[62:63], v[62:63], v[76:77]
	v_cvt_i32_f64_e32 v21, v[82:83]
	s_delay_alu instid0(VALU_DEP_2) | instskip(SKIP_1) | instid1(VALU_DEP_3)
	v_add_f64_e32 v[60:61], v[62:63], v[60:61]
	v_add_f64_e64 v[62:63], v[68:69], -v[64:65]
	v_cvt_f64_i32_e32 v[80:81], v21
	s_delay_alu instid0(VALU_DEP_3) | instskip(NEXT) | instid1(VALU_DEP_2)
	v_add_f64_e32 v[58:59], v[58:59], v[60:61]
	v_add_f64_e64 v[66:67], v[66:67], -v[80:81]
	s_delay_alu instid0(VALU_DEP_2) | instskip(NEXT) | instid1(VALU_DEP_2)
	v_add_f64_e32 v[58:59], v[62:63], v[58:59]
	v_add_f64_e32 v[72:73], v[70:71], v[66:67]
	s_delay_alu instid0(VALU_DEP_1) | instskip(SKIP_1) | instid1(VALU_DEP_2)
	v_add_f64_e64 v[60:61], v[72:73], -v[66:67]
	v_cmp_le_f64_e32 vcc_lo, 0.5, v[72:73]
	v_add_f64_e64 v[60:61], v[70:71], -v[60:61]
	v_add_co_ci_u32_e64 v62, null, 0, v21, vcc_lo
	v_cndmask_b32_e64 v21, 0, 0x3ff00000, vcc_lo
	s_delay_alu instid0(VALU_DEP_3) | instskip(NEXT) | instid1(VALU_DEP_2)
	v_add_f64_e32 v[58:59], v[58:59], v[60:61]
	v_add_f64_e64 v[60:61], v[72:73], -v[20:21]
	s_delay_alu instid0(VALU_DEP_1) | instskip(NEXT) | instid1(VALU_DEP_1)
	v_add_f64_e32 v[64:65], v[60:61], v[58:59]
	v_mul_f64_e32 v[66:67], 0x3ff921fb54442d18, v[64:65]
	v_add_f64_e64 v[60:61], v[64:65], -v[60:61]
	s_delay_alu instid0(VALU_DEP_2) | instskip(NEXT) | instid1(VALU_DEP_2)
	v_fma_f64 v[68:69], v[64:65], s[22:23], -v[66:67]
	v_add_f64_e64 v[58:59], v[58:59], -v[60:61]
	s_delay_alu instid0(VALU_DEP_2) | instskip(NEXT) | instid1(VALU_DEP_1)
	v_fmac_f64_e32 v[68:69], 0x3c91a62633145c07, v[64:65]
	v_fmac_f64_e32 v[68:69], 0x3ff921fb54442d18, v[58:59]
	s_delay_alu instid0(VALU_DEP_1) | instskip(NEXT) | instid1(VALU_DEP_1)
	v_add_f64_e32 v[58:59], v[66:67], v[68:69]
	v_add_f64_e64 v[60:61], v[58:59], -v[66:67]
	s_delay_alu instid0(VALU_DEP_1)
	v_add_f64_e64 v[60:61], v[68:69], -v[60:61]
	s_and_not1_saveexec_b32 s6, s6
	s_cbranch_execnz .LBB253_34
	s_branch .LBB253_35
.LBB253_33:                             ;   in Loop: Header=BB253_4 Depth=1
	s_and_not1_saveexec_b32 s6, s6
	s_cbranch_execz .LBB253_35
.LBB253_34:                             ;   in Loop: Header=BB253_4 Depth=1
	v_mul_f64_e64 v[58:59], |v[8:9]|, s[24:25]
	s_delay_alu instid0(VALU_DEP_1) | instskip(NEXT) | instid1(VALU_DEP_1)
	v_rndne_f64_e32 v[62:63], v[58:59]
	v_fma_f64 v[58:59], v[62:63], s[26:27], |v[8:9]|
	v_mul_f64_e32 v[60:61], 0xbc91a62633145c00, v[62:63]
	s_delay_alu instid0(VALU_DEP_2) | instskip(NEXT) | instid1(VALU_DEP_2)
	v_fmamk_f64 v[68:69], v[62:63], 0xbc91a62633145c00, v[58:59]
	v_add_f64_e32 v[64:65], v[58:59], v[60:61]
	s_delay_alu instid0(VALU_DEP_1) | instskip(NEXT) | instid1(VALU_DEP_3)
	v_add_f64_e64 v[66:67], v[58:59], -v[64:65]
	v_add_f64_e64 v[58:59], v[64:65], -v[68:69]
	s_delay_alu instid0(VALU_DEP_2) | instskip(SKIP_1) | instid1(VALU_DEP_2)
	v_add_f64_e32 v[64:65], v[66:67], v[60:61]
	v_fmamk_f64 v[60:61], v[62:63], 0x3c91a62633145c00, v[60:61]
	v_add_f64_e32 v[58:59], v[58:59], v[64:65]
	s_delay_alu instid0(VALU_DEP_1) | instskip(NEXT) | instid1(VALU_DEP_1)
	v_add_f64_e64 v[60:61], v[58:59], -v[60:61]
	v_fmac_f64_e32 v[60:61], 0xb97b839a252049c0, v[62:63]
	v_cvt_i32_f64_e32 v62, v[62:63]
	s_delay_alu instid0(VALU_DEP_2) | instskip(NEXT) | instid1(VALU_DEP_1)
	v_add_f64_e32 v[58:59], v[68:69], v[60:61]
	v_add_f64_e64 v[64:65], v[58:59], -v[68:69]
	s_delay_alu instid0(VALU_DEP_1)
	v_add_f64_e64 v[60:61], v[60:61], -v[64:65]
.LBB253_35:                             ;   in Loop: Header=BB253_4 Depth=1
	s_or_b32 exec_lo, exec_lo, s6
	v_add_f64_e64 v[6:7], -v[6:7], s[36:37]
	v_mul_f64_e32 v[66:67], v[54:55], v[54:55]
	v_mul_f64_e32 v[68:69], v[58:59], v[58:59]
	s_delay_alu instid0(VALU_DEP_4)
	v_mul_f64_e32 v[80:81], 0.5, v[56:57]
	v_cmp_class_f64_e64 s6, v[8:9], 0x1f8
	v_lshlrev_b32_e32 v9, 30, v62
	v_mul_f64_e32 v[64:65], 0x3ff71547652b82fe, v[6:7]
	v_mul_f64_e32 v[70:71], 0.5, v[66:67]
	v_cmp_nlt_f64_e64 s7, 0x40900000, v[6:7]
	v_cmp_ngt_f64_e64 s8, 0xc090cc00, v[6:7]
	s_delay_alu instid0(VALU_DEP_4) | instskip(NEXT) | instid1(VALU_DEP_4)
	v_rndne_f64_e32 v[64:65], v[64:65]
	v_add_f64_e64 v[76:77], -v[70:71], 1.0
	s_delay_alu instid0(VALU_DEP_2) | instskip(NEXT) | instid1(VALU_DEP_2)
	v_fmamk_f64 v[74:75], v[64:65], 0xbfe62e42fefa39ef, v[6:7]
	v_add_f64_e64 v[84:85], -v[76:77], 1.0
	v_cvt_i32_f64_e32 v21, v[64:65]
	v_and_b32_e32 v6, 1, v62
	s_delay_alu instid0(VALU_DEP_4) | instskip(NEXT) | instid1(VALU_DEP_2)
	v_fmac_f64_e32 v[74:75], 0xbc7abc9e3b39803f, v[64:65]
	v_cmp_eq_u32_e64 s9, 0, v6
	v_mul_f64_e32 v[90:91], 0.5, v[60:61]
	v_add_f64_e64 v[70:71], v[84:85], -v[70:71]
	s_delay_alu instid0(VALU_DEP_4) | instskip(NEXT) | instid1(VALU_DEP_1)
	v_fmamk_f64 v[88:89], v[74:75], 0x3e5ade156a5dcb37, v[26:27]
	v_fmaak_f64 v[88:89], v[74:75], v[88:89], 0x3ec71dee623fde64
	s_delay_alu instid0(VALU_DEP_1) | instskip(NEXT) | instid1(VALU_DEP_1)
	v_fmaak_f64 v[88:89], v[74:75], v[88:89], 0x3efa01997c89e6b0
	v_fmaak_f64 v[88:89], v[74:75], v[88:89], 0x3f2a01a014761f6e
	s_delay_alu instid0(VALU_DEP_1) | instskip(NEXT) | instid1(VALU_DEP_1)
	v_fmaak_f64 v[84:85], v[74:75], v[88:89], 0x3f56c16c1852b7b0
	;; [unrolled: 3-line block ×4, first 2 shown]
	v_fma_f64 v[84:85], v[74:75], v[84:85], 1.0
	s_delay_alu instid0(VALU_DEP_1) | instskip(NEXT) | instid1(VALU_DEP_1)
	v_fma_f64 v[64:65], v[74:75], v[84:85], 1.0
	v_ldexp_f64 v[64:65], v[64:65], v21
	v_dual_mul_f64 v[82:83], v[54:55], -v[66:67] :: v_dual_bitop2_b32 v21, 1, v52 bitop3:0x40
	v_fmamk_f64 v[86:87], v[66:67], 0x3de5e0b2f9a43bb8, v[42:43]
	v_lshlrev_b32_e32 v52, 30, v52
	v_mul_f64_e32 v[72:73], 0.5, v[68:69]
	v_mul_f64_e64 v[92:93], v[58:59], -v[68:69]
	v_fmamk_f64 v[96:97], v[68:69], 0x3de5e0b2f9a43bb8, v[42:43]
	v_cmp_eq_u32_e32 vcc_lo, 0, v21
	v_fmaak_f64 v[86:87], v[66:67], v[86:87], 0x3ec71de3796cde01
	s_delay_alu instid0(VALU_DEP_1) | instskip(NEXT) | instid1(VALU_DEP_1)
	v_fmaak_f64 v[86:87], v[66:67], v[86:87], 0xbf2a01a019e83e5c
	v_fmaak_f64 v[86:87], v[66:67], v[86:87], 0x3f81111111110bb3
	v_cndmask_b32_e64 v8, 0x7ff00000, v65, s7
	v_mul_f64_e32 v[88:89], v[66:67], v[66:67]
	s_delay_alu instid0(VALU_DEP_3) | instskip(SKIP_2) | instid1(VALU_DEP_2)
	v_fmac_f64_e32 v[80:81], v[82:83], v[86:87]
	v_fmaak_f64 v[86:87], v[68:69], v[96:97], 0x3ec71de3796cde01
	v_add_f64_e64 v[78:79], -v[72:73], 1.0
	v_fmaak_f64 v[86:87], v[68:69], v[86:87], 0xbf2a01a019e83e5c
	s_delay_alu instid0(VALU_DEP_1) | instskip(NEXT) | instid1(VALU_DEP_1)
	v_fmaak_f64 v[86:87], v[68:69], v[86:87], 0x3f81111111110bb3
	v_fmac_f64_e32 v[90:91], v[92:93], v[86:87]
	v_fmamk_f64 v[86:87], v[66:67], 0xbda907db46cc5e42, v[28:29]
	v_fma_f64 v[80:81], v[66:67], v[80:81], -v[56:57]
	v_fma_f64 v[56:57], v[54:55], -v[56:57], v[70:71]
	s_delay_alu instid0(VALU_DEP_3) | instskip(SKIP_2) | instid1(VALU_DEP_3)
	v_fmaak_f64 v[70:71], v[66:67], v[86:87], 0xbe927e4fa17f65f6
	v_add_f64_e64 v[94:95], -v[78:79], 1.0
	v_mul_f64_e32 v[86:87], v[68:69], v[68:69]
	v_fmaak_f64 v[70:71], v[66:67], v[70:71], 0x3efa01a019f4ec90
	s_delay_alu instid0(VALU_DEP_1) | instskip(NEXT) | instid1(VALU_DEP_1)
	v_fmaak_f64 v[70:71], v[66:67], v[70:71], 0xbf56c16c16c16967
	v_fmaak_f64 v[66:67], v[66:67], v[70:71], 0x3fa5555555555555
	v_fmac_f64_e32 v[80:81], 0xbfc5555555555555, v[82:83]
	s_delay_alu instid0(VALU_DEP_2) | instskip(NEXT) | instid1(VALU_DEP_2)
	v_fmac_f64_e32 v[56:57], v[88:89], v[66:67]
	v_add_f64_e64 v[54:55], v[54:55], -v[80:81]
	s_delay_alu instid0(VALU_DEP_2) | instskip(NEXT) | instid1(VALU_DEP_2)
	v_add_f64_e32 v[56:57], v[76:77], v[56:57]
	v_xor_b32_e32 v7, 0x80000000, v55
	s_delay_alu instid0(VALU_DEP_2)
	v_cndmask_b32_e32 v21, v54, v56, vcc_lo
	v_cndmask_b32_e64 v54, 0, v8, s8
	v_add_f64_e64 v[72:73], v[94:95], -v[72:73]
	v_fmamk_f64 v[94:95], v[68:69], 0xbda907db46cc5e42, v[28:29]
	v_dual_fma_f64 v[70:71], v[68:69], v[90:91], -v[60:61] :: v_dual_cndmask_b32 v6, v7, v57, vcc_lo
	v_xor_b32_e32 v7, v9, v53
	s_and_b32 vcc_lo, s8, s7
	s_delay_alu instid0(VALU_DEP_2) | instskip(SKIP_4) | instid1(VALU_DEP_2)
	v_bitop3_b32 v52, v6, v52, 0x80000000 bitop3:0x78
	v_cndmask_b32_e64 v6, 0, v21, s6
	v_fma_f64 v[60:61], v[58:59], -v[60:61], v[72:73]
	v_fmaak_f64 v[72:73], v[68:69], v[94:95], 0xbe927e4fa17f65f6
	v_fmac_f64_e32 v[70:71], 0xbfc5555555555555, v[92:93]
	v_fmaak_f64 v[66:67], v[68:69], v[72:73], 0x3efa01a019f4ec90
	s_delay_alu instid0(VALU_DEP_1) | instskip(NEXT) | instid1(VALU_DEP_1)
	v_fmaak_f64 v[66:67], v[68:69], v[66:67], 0xbf56c16c16c16967
	v_fmaak_f64 v[66:67], v[68:69], v[66:67], 0x3fa5555555555555
	s_delay_alu instid0(VALU_DEP_1) | instskip(SKIP_1) | instid1(VALU_DEP_2)
	v_fmac_f64_e32 v[60:61], v[86:87], v[66:67]
	v_add_f64_e64 v[58:59], v[58:59], -v[70:71]
	v_add_f64_e32 v[60:61], v[78:79], v[60:61]
	s_delay_alu instid0(VALU_DEP_1) | instskip(NEXT) | instid1(VALU_DEP_1)
	v_cndmask_b32_e64 v9, v60, v58, s9
	v_dual_cndmask_b32 v8, 0, v9, s6 :: v_dual_cndmask_b32 v53, v61, v59, s9
	s_delay_alu instid0(VALU_DEP_1) | instskip(SKIP_3) | instid1(VALU_DEP_4)
	v_bitop3_b32 v21, v53, v7, 0x80000000 bitop3:0x78
	v_cndmask_b32_e64 v7, 0x7ff80000, v52, s6
	v_and_or_b32 v53, v54, s33, 0x7fe00000
	v_cndmask_b32_e32 v52, 0, v64, vcc_lo
	v_cndmask_b32_e64 v9, 0x7ff80000, v21, s6
	v_lshrrev_b32_e32 v21, 20, v54
	s_delay_alu instid0(VALU_DEP_3) | instskip(NEXT) | instid1(VALU_DEP_3)
	v_mul_f64_e32 v[6:7], v[52:53], v[6:7]
	v_mul_f64_e32 v[8:9], v[52:53], v[8:9]
	s_delay_alu instid0(VALU_DEP_3) | instskip(NEXT) | instid1(VALU_DEP_1)
	v_add_nc_u32_e32 v52, 0xffffff09, v21
	v_lshrrev_b16 v21, 15, v52
	s_delay_alu instid0(VALU_DEP_1) | instskip(NEXT) | instid1(VALU_DEP_1)
	v_add_nc_u16 v21, v52, v21
	v_ashrrev_i16 v21, 1, v21
	s_delay_alu instid0(VALU_DEP_1) | instskip(NEXT) | instid1(VALU_DEP_1)
	v_bfe_i32 v53, v21, 0, 16
	v_lshl_add_u32 v21, v53, 20, 0x3ff00000
	s_delay_alu instid0(VALU_DEP_1) | instskip(SKIP_3) | instid1(VALU_DEP_2)
	v_mul_f64_e32 v[6:7], v[6:7], v[20:21]
	v_mul_f64_e32 v[8:9], v[8:9], v[20:21]
	v_sub_nc_u32_e32 v21, v52, v53
	v_mov_b32_e32 v52, v20
	v_lshl_add_u32 v53, v21, 20, 0x3ff00000
	s_delay_alu instid0(VALU_DEP_1)
	v_mul_f64_e32 v[54:55], v[6:7], v[52:53]
	v_mul_f64_e32 v[52:53], v[8:9], v[52:53]
	s_or_b32 exec_lo, exec_lo, s43
                                        ; implicit-def: $vgpr56_vgpr57
                                        ; implicit-def: $vgpr6_vgpr7
                                        ; implicit-def: $vgpr21
.LBB253_36:                             ;   in Loop: Header=BB253_4 Depth=1
	s_and_not1_saveexec_b32 s7, s42
	s_cbranch_execz .LBB253_42
.LBB253_37:                             ;   in Loop: Header=BB253_4 Depth=1
	v_add_f64_e64 v[52:53], v[8:9], -v[8:9]
	v_cmp_ne_u32_e32 vcc_lo, 0, v6
	v_cmp_ne_u32_e64 s6, 0x7ff00000, v21
	s_or_b32 s6, vcc_lo, s6
	s_delay_alu instid0(SALU_CYCLE_1) | instskip(NEXT) | instid1(SALU_CYCLE_1)
	s_and_saveexec_b32 s8, s6
	s_xor_b32 s6, exec_lo, s8
; %bb.38:                               ;   in Loop: Header=BB253_4 Depth=1
                                        ; implicit-def: $vgpr56_vgpr57
                                        ; implicit-def: $vgpr6_vgpr7
; %bb.39:                               ;   in Loop: Header=BB253_4 Depth=1
	s_delay_alu instid0(SALU_CYCLE_1)
	s_or_saveexec_b32 s6, s6
	v_mov_b64_e32 v[54:55], v[52:53]
	s_xor_b32 exec_lo, exec_lo, s6
; %bb.40:                               ;   in Loop: Header=BB253_4 Depth=1
	v_cmp_lt_i64_e32 vcc_lo, -1, v[56:57]
	v_dual_cndmask_b32 v55, 0, v57 :: v_dual_cndmask_b32 v54, 0, v6
	v_dual_cndmask_b32 v53, 0, v53 :: v_dual_cndmask_b32 v52, 0, v52
; %bb.41:                               ;   in Loop: Header=BB253_4 Depth=1
	s_or_b32 exec_lo, exec_lo, s6
.LBB253_42:                             ;   in Loop: Header=BB253_4 Depth=1
	s_delay_alu instid0(SALU_CYCLE_1)
	s_or_b32 exec_lo, exec_lo, s7
                                        ; implicit-def: $vgpr8_vgpr9
.LBB253_43:                             ;   in Loop: Header=BB253_4 Depth=1
	s_and_not1_saveexec_b32 s8, s41
	s_cbranch_execz .LBB253_53
; %bb.44:                               ;   in Loop: Header=BB253_4 Depth=1
	v_cmp_ngt_f64_e64 s6, 0x41d00000, |v[8:9]|
	v_trig_preop_f64 v[60:61], |v[8:9]|, 0
	v_trig_preop_f64 v[58:59], |v[8:9]|, 1
	v_ldexp_f64 v[62:63], |v[8:9]|, 0xffffff80
	v_trig_preop_f64 v[56:57], |v[8:9]|, 2
	v_and_b32_e32 v70, 0x7fffffff, v9
                                        ; implicit-def: $vgpr52
                                        ; implicit-def: $vgpr6_vgpr7
                                        ; implicit-def: $vgpr54_vgpr55
	s_and_saveexec_b32 s7, s6
	s_delay_alu instid0(SALU_CYCLE_1)
	s_xor_b32 s7, exec_lo, s7
	s_cbranch_execz .LBB253_46
; %bb.45:                               ;   in Loop: Header=BB253_4 Depth=1
	v_cmp_le_f64_e64 vcc_lo, 0x7b000000, |v[8:9]|
	s_delay_alu instid0(VALU_DEP_4) | instskip(NEXT) | instid1(VALU_DEP_1)
	v_dual_cndmask_b32 v7, v70, v63 :: v_dual_cndmask_b32 v6, v8, v62
	v_mul_f64_e32 v[54:55], v[60:61], v[6:7]
	v_mul_f64_e32 v[64:65], v[58:59], v[6:7]
	;; [unrolled: 1-line block ×3, first 2 shown]
	s_delay_alu instid0(VALU_DEP_3) | instskip(NEXT) | instid1(VALU_DEP_3)
	v_fma_f64 v[66:67], v[60:61], v[6:7], -v[54:55]
	v_fma_f64 v[80:81], v[58:59], v[6:7], -v[64:65]
	s_delay_alu instid0(VALU_DEP_3) | instskip(NEXT) | instid1(VALU_DEP_3)
	v_fma_f64 v[6:7], v[56:57], v[6:7], -v[78:79]
	v_add_f64_e32 v[68:69], v[64:65], v[66:67]
	s_delay_alu instid0(VALU_DEP_1) | instskip(SKIP_1) | instid1(VALU_DEP_2)
	v_add_f64_e64 v[72:73], v[68:69], -v[64:65]
	v_add_f64_e32 v[76:77], v[54:55], v[68:69]
	v_add_f64_e64 v[74:75], v[68:69], -v[72:73]
	v_add_f64_e64 v[66:67], v[66:67], -v[72:73]
	s_delay_alu instid0(VALU_DEP_3) | instskip(SKIP_1) | instid1(VALU_DEP_4)
	v_ldexp_f64 v[72:73], v[76:77], -2
	v_add_f64_e64 v[54:55], v[76:77], -v[54:55]
	v_add_f64_e64 v[64:65], v[64:65], -v[74:75]
	v_add_f64_e32 v[74:75], v[78:79], v[80:81]
	s_delay_alu instid0(VALU_DEP_4) | instskip(NEXT) | instid1(VALU_DEP_4)
	v_cmp_neq_f64_e64 vcc_lo, 0x7ff00000, |v[72:73]|
	v_add_f64_e64 v[54:55], v[68:69], -v[54:55]
	s_delay_alu instid0(VALU_DEP_4) | instskip(SKIP_1) | instid1(VALU_DEP_2)
	v_add_f64_e32 v[64:65], v[66:67], v[64:65]
	v_fract_f64_e32 v[66:67], v[72:73]
	v_add_f64_e32 v[68:69], v[74:75], v[64:65]
	s_delay_alu instid0(VALU_DEP_2) | instskip(NEXT) | instid1(VALU_DEP_1)
	v_ldexp_f64 v[66:67], v[66:67], 2
	v_dual_add_f64 v[72:73], v[54:55], v[68:69] :: v_dual_cndmask_b32 v67, 0, v67, vcc_lo
	s_delay_alu instid0(VALU_DEP_2) | instskip(SKIP_1) | instid1(VALU_DEP_2)
	v_cndmask_b32_e32 v66, 0, v66, vcc_lo
	v_add_f64_e64 v[82:83], v[68:69], -v[74:75]
	v_add_f64_e32 v[76:77], v[72:73], v[66:67]
	v_add_f64_e64 v[54:55], v[72:73], -v[54:55]
	s_delay_alu instid0(VALU_DEP_3) | instskip(SKIP_1) | instid1(VALU_DEP_4)
	v_add_f64_e64 v[88:89], v[68:69], -v[82:83]
	v_add_f64_e64 v[64:65], v[64:65], -v[82:83]
	v_cmp_gt_f64_e32 vcc_lo, 0, v[76:77]
	v_add_f64_e64 v[76:77], v[74:75], -v[78:79]
	v_add_f64_e64 v[54:55], v[68:69], -v[54:55]
	v_cndmask_b32_e64 v21, 0, 0x40100000, vcc_lo
	s_delay_alu instid0(VALU_DEP_3) | instskip(SKIP_2) | instid1(VALU_DEP_4)
	v_add_f64_e64 v[86:87], v[74:75], -v[76:77]
	v_add_f64_e64 v[76:77], v[80:81], -v[76:77]
	;; [unrolled: 1-line block ×3, first 2 shown]
	v_add_f64_e32 v[66:67], v[66:67], v[20:21]
	s_delay_alu instid0(VALU_DEP_4) | instskip(NEXT) | instid1(VALU_DEP_3)
	v_add_f64_e64 v[80:81], v[78:79], -v[86:87]
	v_add_f64_e32 v[64:65], v[64:65], v[74:75]
	s_delay_alu instid0(VALU_DEP_3) | instskip(NEXT) | instid1(VALU_DEP_3)
	v_add_f64_e32 v[84:85], v[72:73], v[66:67]
	v_add_f64_e32 v[76:77], v[76:77], v[80:81]
	s_delay_alu instid0(VALU_DEP_2) | instskip(NEXT) | instid1(VALU_DEP_2)
	v_cvt_i32_f64_e32 v21, v[84:85]
	v_add_f64_e32 v[64:65], v[76:77], v[64:65]
	s_delay_alu instid0(VALU_DEP_2) | instskip(NEXT) | instid1(VALU_DEP_2)
	v_cvt_f64_i32_e32 v[82:83], v21
	v_add_f64_e32 v[6:7], v[6:7], v[64:65]
	s_delay_alu instid0(VALU_DEP_2) | instskip(NEXT) | instid1(VALU_DEP_2)
	v_add_f64_e64 v[66:67], v[66:67], -v[82:83]
	v_add_f64_e32 v[6:7], v[54:55], v[6:7]
	s_delay_alu instid0(VALU_DEP_2) | instskip(NEXT) | instid1(VALU_DEP_1)
	v_add_f64_e32 v[74:75], v[72:73], v[66:67]
	v_add_f64_e64 v[64:65], v[74:75], -v[66:67]
	v_cmp_le_f64_e32 vcc_lo, 0.5, v[74:75]
	s_delay_alu instid0(VALU_DEP_2) | instskip(SKIP_2) | instid1(VALU_DEP_3)
	v_add_f64_e64 v[54:55], v[72:73], -v[64:65]
	v_add_co_ci_u32_e64 v52, null, 0, v21, vcc_lo
	v_cndmask_b32_e64 v21, 0, 0x3ff00000, vcc_lo
	v_add_f64_e32 v[6:7], v[6:7], v[54:55]
	s_delay_alu instid0(VALU_DEP_2) | instskip(NEXT) | instid1(VALU_DEP_1)
	v_add_f64_e64 v[54:55], v[74:75], -v[20:21]
	v_add_f64_e32 v[64:65], v[54:55], v[6:7]
	s_delay_alu instid0(VALU_DEP_1) | instskip(SKIP_1) | instid1(VALU_DEP_2)
	v_mul_f64_e32 v[66:67], 0x3ff921fb54442d18, v[64:65]
	v_add_f64_e64 v[54:55], v[64:65], -v[54:55]
	v_fma_f64 v[68:69], v[64:65], s[22:23], -v[66:67]
	s_delay_alu instid0(VALU_DEP_2) | instskip(NEXT) | instid1(VALU_DEP_2)
	v_add_f64_e64 v[6:7], v[6:7], -v[54:55]
	v_fmac_f64_e32 v[68:69], 0x3c91a62633145c07, v[64:65]
	s_delay_alu instid0(VALU_DEP_1) | instskip(NEXT) | instid1(VALU_DEP_1)
	v_fmac_f64_e32 v[68:69], 0x3ff921fb54442d18, v[6:7]
	v_add_f64_e32 v[6:7], v[66:67], v[68:69]
	s_delay_alu instid0(VALU_DEP_1) | instskip(NEXT) | instid1(VALU_DEP_1)
	v_add_f64_e64 v[54:55], v[6:7], -v[66:67]
	v_add_f64_e64 v[54:55], v[68:69], -v[54:55]
.LBB253_46:                             ;   in Loop: Header=BB253_4 Depth=1
	s_or_saveexec_b32 s7, s7
	v_mul_f64_e64 v[64:65], |v[8:9]|, s[24:25]
	s_delay_alu instid0(VALU_DEP_1)
	v_rndne_f64_e32 v[68:69], v[64:65]
	s_xor_b32 exec_lo, exec_lo, s7
	s_cbranch_execz .LBB253_48
; %bb.47:                               ;   in Loop: Header=BB253_4 Depth=1
	s_delay_alu instid0(VALU_DEP_1) | instskip(SKIP_2) | instid1(VALU_DEP_3)
	v_fma_f64 v[6:7], v[68:69], s[26:27], |v[8:9]|
	v_mul_f64_e32 v[54:55], 0xbc91a62633145c00, v[68:69]
	v_cvt_i32_f64_e32 v52, v[68:69]
	v_fmamk_f64 v[72:73], v[68:69], 0xbc91a62633145c00, v[6:7]
	s_delay_alu instid0(VALU_DEP_3) | instskip(NEXT) | instid1(VALU_DEP_1)
	v_add_f64_e32 v[64:65], v[6:7], v[54:55]
	v_add_f64_e64 v[66:67], v[6:7], -v[64:65]
	s_delay_alu instid0(VALU_DEP_3) | instskip(NEXT) | instid1(VALU_DEP_2)
	v_add_f64_e64 v[6:7], v[64:65], -v[72:73]
	v_add_f64_e32 v[64:65], v[66:67], v[54:55]
	v_fmamk_f64 v[54:55], v[68:69], 0x3c91a62633145c00, v[54:55]
	s_delay_alu instid0(VALU_DEP_2) | instskip(NEXT) | instid1(VALU_DEP_1)
	v_add_f64_e32 v[6:7], v[6:7], v[64:65]
	v_add_f64_e64 v[54:55], v[6:7], -v[54:55]
	s_delay_alu instid0(VALU_DEP_1) | instskip(NEXT) | instid1(VALU_DEP_1)
	v_fmac_f64_e32 v[54:55], 0xb97b839a252049c0, v[68:69]
	v_add_f64_e32 v[6:7], v[72:73], v[54:55]
	s_delay_alu instid0(VALU_DEP_1) | instskip(NEXT) | instid1(VALU_DEP_1)
	v_add_f64_e64 v[64:65], v[6:7], -v[72:73]
	v_add_f64_e64 v[54:55], v[54:55], -v[64:65]
.LBB253_48:                             ;   in Loop: Header=BB253_4 Depth=1
	s_or_b32 exec_lo, exec_lo, s7
                                        ; implicit-def: $vgpr71
                                        ; implicit-def: $vgpr64_vgpr65
                                        ; implicit-def: $vgpr66_vgpr67
	s_and_saveexec_b32 s7, s6
	s_delay_alu instid0(SALU_CYCLE_1)
	s_xor_b32 s6, exec_lo, s7
	s_cbranch_execz .LBB253_50
; %bb.49:                               ;   in Loop: Header=BB253_4 Depth=1
	v_cmp_le_f64_e64 vcc_lo, 0x7b000000, |v[8:9]|
	v_dual_cndmask_b32 v63, v70, v63 :: v_dual_cndmask_b32 v62, v8, v62
	s_delay_alu instid0(VALU_DEP_1) | instskip(SKIP_2) | instid1(VALU_DEP_3)
	v_mul_f64_e32 v[64:65], v[60:61], v[62:63]
	v_mul_f64_e32 v[66:67], v[58:59], v[62:63]
	;; [unrolled: 1-line block ×3, first 2 shown]
	v_fma_f64 v[60:61], v[60:61], v[62:63], -v[64:65]
	s_delay_alu instid0(VALU_DEP_3) | instskip(NEXT) | instid1(VALU_DEP_3)
	v_fma_f64 v[58:59], v[58:59], v[62:63], -v[66:67]
	v_fma_f64 v[56:57], v[56:57], v[62:63], -v[76:77]
	s_delay_alu instid0(VALU_DEP_3) | instskip(NEXT) | instid1(VALU_DEP_1)
	v_add_f64_e32 v[68:69], v[66:67], v[60:61]
	v_add_f64_e64 v[70:71], v[68:69], -v[66:67]
	v_add_f64_e32 v[74:75], v[64:65], v[68:69]
	s_delay_alu instid0(VALU_DEP_2) | instskip(SKIP_1) | instid1(VALU_DEP_3)
	v_add_f64_e64 v[72:73], v[68:69], -v[70:71]
	v_add_f64_e64 v[60:61], v[60:61], -v[70:71]
	v_ldexp_f64 v[70:71], v[74:75], -2
	s_delay_alu instid0(VALU_DEP_3) | instskip(SKIP_1) | instid1(VALU_DEP_3)
	v_add_f64_e64 v[66:67], v[66:67], -v[72:73]
	v_add_f64_e32 v[72:73], v[76:77], v[58:59]
	v_cmp_neq_f64_e64 vcc_lo, 0x7ff00000, |v[70:71]|
	s_delay_alu instid0(VALU_DEP_3) | instskip(SKIP_1) | instid1(VALU_DEP_1)
	v_add_f64_e32 v[60:61], v[60:61], v[66:67]
	v_fract_f64_e32 v[66:67], v[70:71]
	v_ldexp_f64 v[66:67], v[66:67], 2
	s_delay_alu instid0(VALU_DEP_1) | instskip(NEXT) | instid1(VALU_DEP_1)
	v_dual_add_f64 v[64:65], v[74:75], -v[64:65] :: v_dual_cndmask_b32 v66, 0, v66, vcc_lo
	v_dual_add_f64 v[64:65], v[68:69], -v[64:65] :: v_dual_cndmask_b32 v67, 0, v67, vcc_lo
	v_add_f64_e32 v[68:69], v[72:73], v[60:61]
	s_delay_alu instid0(VALU_DEP_1) | instskip(SKIP_1) | instid1(VALU_DEP_2)
	v_add_f64_e32 v[70:71], v[64:65], v[68:69]
	v_add_f64_e64 v[78:79], v[68:69], -v[72:73]
	v_add_f64_e32 v[74:75], v[70:71], v[66:67]
	s_delay_alu instid0(VALU_DEP_2) | instskip(SKIP_2) | instid1(VALU_DEP_4)
	v_add_f64_e64 v[84:85], v[68:69], -v[78:79]
	v_add_f64_e64 v[60:61], v[60:61], -v[78:79]
	;; [unrolled: 1-line block ×3, first 2 shown]
	v_cmp_gt_f64_e32 vcc_lo, 0, v[74:75]
	v_add_f64_e64 v[74:75], v[72:73], -v[76:77]
	s_delay_alu instid0(VALU_DEP_3) | instskip(SKIP_1) | instid1(VALU_DEP_3)
	v_add_f64_e64 v[62:63], v[68:69], -v[62:63]
                                        ; implicit-def: $vgpr68_vgpr69
	v_cndmask_b32_e64 v21, 0, 0x40100000, vcc_lo
	v_add_f64_e64 v[82:83], v[72:73], -v[74:75]
	v_add_f64_e64 v[58:59], v[58:59], -v[74:75]
	;; [unrolled: 1-line block ×3, first 2 shown]
	s_delay_alu instid0(VALU_DEP_4) | instskip(NEXT) | instid1(VALU_DEP_4)
	v_add_f64_e32 v[66:67], v[66:67], v[20:21]
	v_add_f64_e64 v[74:75], v[76:77], -v[82:83]
	s_delay_alu instid0(VALU_DEP_3) | instskip(NEXT) | instid1(VALU_DEP_3)
	v_add_f64_e32 v[60:61], v[60:61], v[72:73]
	v_add_f64_e32 v[80:81], v[70:71], v[66:67]
	s_delay_alu instid0(VALU_DEP_3) | instskip(NEXT) | instid1(VALU_DEP_2)
	v_add_f64_e32 v[58:59], v[58:59], v[74:75]
	v_cvt_i32_f64_e32 v21, v[80:81]
	s_delay_alu instid0(VALU_DEP_2) | instskip(NEXT) | instid1(VALU_DEP_2)
	v_add_f64_e32 v[58:59], v[58:59], v[60:61]
	v_cvt_f64_i32_e32 v[78:79], v21
	s_delay_alu instid0(VALU_DEP_2) | instskip(NEXT) | instid1(VALU_DEP_2)
	v_add_f64_e32 v[56:57], v[56:57], v[58:59]
	v_add_f64_e64 v[66:67], v[66:67], -v[78:79]
	s_delay_alu instid0(VALU_DEP_2) | instskip(NEXT) | instid1(VALU_DEP_2)
	v_add_f64_e32 v[56:57], v[62:63], v[56:57]
	v_add_f64_e32 v[60:61], v[70:71], v[66:67]
	s_delay_alu instid0(VALU_DEP_1) | instskip(SKIP_1) | instid1(VALU_DEP_2)
	v_add_f64_e64 v[58:59], v[60:61], -v[66:67]
	v_cmp_le_f64_e32 vcc_lo, 0.5, v[60:61]
	v_add_f64_e64 v[58:59], v[70:71], -v[58:59]
	v_add_co_ci_u32_e64 v71, null, 0, v21, vcc_lo
	v_cndmask_b32_e64 v21, 0, 0x3ff00000, vcc_lo
	s_delay_alu instid0(VALU_DEP_3) | instskip(NEXT) | instid1(VALU_DEP_2)
	v_add_f64_e32 v[56:57], v[56:57], v[58:59]
	v_add_f64_e64 v[58:59], v[60:61], -v[20:21]
	s_delay_alu instid0(VALU_DEP_1) | instskip(NEXT) | instid1(VALU_DEP_1)
	v_add_f64_e32 v[60:61], v[58:59], v[56:57]
	v_mul_f64_e32 v[62:63], 0x3ff921fb54442d18, v[60:61]
	v_add_f64_e64 v[58:59], v[60:61], -v[58:59]
	s_delay_alu instid0(VALU_DEP_2) | instskip(NEXT) | instid1(VALU_DEP_2)
	v_fma_f64 v[66:67], v[60:61], s[22:23], -v[62:63]
	v_add_f64_e64 v[56:57], v[56:57], -v[58:59]
	s_delay_alu instid0(VALU_DEP_2) | instskip(NEXT) | instid1(VALU_DEP_1)
	v_fmac_f64_e32 v[66:67], 0x3c91a62633145c07, v[60:61]
	v_fmac_f64_e32 v[66:67], 0x3ff921fb54442d18, v[56:57]
	s_delay_alu instid0(VALU_DEP_1) | instskip(NEXT) | instid1(VALU_DEP_1)
	v_add_f64_e32 v[64:65], v[62:63], v[66:67]
	v_add_f64_e64 v[56:57], v[64:65], -v[62:63]
	s_delay_alu instid0(VALU_DEP_1)
	v_add_f64_e64 v[66:67], v[66:67], -v[56:57]
	s_and_not1_saveexec_b32 s6, s6
	s_cbranch_execnz .LBB253_51
	s_branch .LBB253_52
.LBB253_50:                             ;   in Loop: Header=BB253_4 Depth=1
	s_and_not1_saveexec_b32 s6, s6
	s_cbranch_execz .LBB253_52
.LBB253_51:                             ;   in Loop: Header=BB253_4 Depth=1
	s_delay_alu instid0(VALU_DEP_1) | instskip(SKIP_2) | instid1(VALU_DEP_2)
	v_fma_f64 v[56:57], v[68:69], s[26:27], |v[8:9]|
	v_mul_f64_e32 v[58:59], 0xbc91a62633145c00, v[68:69]
	v_cvt_i32_f64_e32 v71, v[68:69]
	v_add_f64_e32 v[60:61], v[56:57], v[58:59]
	s_delay_alu instid0(VALU_DEP_1) | instskip(SKIP_1) | instid1(VALU_DEP_1)
	v_add_f64_e64 v[62:63], v[56:57], -v[60:61]
	v_fmamk_f64 v[56:57], v[68:69], 0xbc91a62633145c00, v[56:57]
	v_add_f64_e64 v[60:61], v[60:61], -v[56:57]
	s_delay_alu instid0(VALU_DEP_3) | instskip(SKIP_1) | instid1(VALU_DEP_2)
	v_add_f64_e32 v[62:63], v[62:63], v[58:59]
	v_fmamk_f64 v[58:59], v[68:69], 0x3c91a62633145c00, v[58:59]
	v_add_f64_e32 v[60:61], v[60:61], v[62:63]
	s_delay_alu instid0(VALU_DEP_1) | instskip(NEXT) | instid1(VALU_DEP_1)
	v_add_f64_e64 v[58:59], v[60:61], -v[58:59]
	v_fmac_f64_e32 v[58:59], 0xb97b839a252049c0, v[68:69]
	s_delay_alu instid0(VALU_DEP_1) | instskip(NEXT) | instid1(VALU_DEP_1)
	v_add_f64_e32 v[64:65], v[56:57], v[58:59]
	v_add_f64_e64 v[56:57], v[64:65], -v[56:57]
	s_delay_alu instid0(VALU_DEP_1)
	v_add_f64_e64 v[66:67], v[58:59], -v[56:57]
.LBB253_52:                             ;   in Loop: Header=BB253_4 Depth=1
	s_or_b32 exec_lo, exec_lo, s6
	v_dual_mul_f64 v[56:57], v[6:7], v[6:7] :: v_dual_bitop2_b32 v21, 1, v52 bitop3:0x40
	v_cmp_class_f64_e64 s6, v[8:9], 0x1f8
	v_lshlrev_b32_e32 v9, 30, v71
	s_delay_alu instid0(VALU_DEP_4) | instskip(SKIP_2) | instid1(VALU_DEP_4)
	v_mul_f64_e32 v[74:75], 0.5, v[54:55]
	v_and_b32_e32 v8, 1, v71
	v_cmp_eq_u32_e32 vcc_lo, 0, v21
	v_xor_b32_e32 v9, v9, v53
	s_delay_alu instid0(VALU_DEP_3) | instskip(SKIP_4) | instid1(VALU_DEP_1)
	v_cmp_eq_u32_e64 s7, 0, v8
	v_dual_mul_f64 v[82:83], 0.5, v[66:67] :: v_dual_lshlrev_b32 v8, 30, v52
	v_mul_f64_e32 v[60:61], 0.5, v[56:57]
	v_mul_f64_e64 v[76:77], v[6:7], -v[56:57]
	v_fmamk_f64 v[80:81], v[56:57], 0x3de5e0b2f9a43bb8, v[42:43]
	v_fmaak_f64 v[80:81], v[56:57], v[80:81], 0x3ec71de3796cde01
	s_delay_alu instid0(VALU_DEP_1) | instskip(NEXT) | instid1(VALU_DEP_1)
	v_fmaak_f64 v[80:81], v[56:57], v[80:81], 0xbf2a01a019e83e5c
	v_fmaak_f64 v[80:81], v[56:57], v[80:81], 0x3f81111111110bb3
	v_add_f64_e64 v[68:69], -v[60:61], 1.0
	s_delay_alu instid0(VALU_DEP_2) | instskip(NEXT) | instid1(VALU_DEP_2)
	v_fmac_f64_e32 v[74:75], v[76:77], v[80:81]
	v_add_f64_e64 v[78:79], -v[68:69], 1.0
	s_delay_alu instid0(VALU_DEP_2) | instskip(NEXT) | instid1(VALU_DEP_2)
	v_fma_f64 v[74:75], v[56:57], v[74:75], -v[54:55]
	v_add_f64_e64 v[60:61], v[78:79], -v[60:61]
	s_delay_alu instid0(VALU_DEP_2) | instskip(NEXT) | instid1(VALU_DEP_2)
	v_fmac_f64_e32 v[74:75], 0xbfc5555555555555, v[76:77]
	v_fma_f64 v[54:55], v[6:7], -v[54:55], v[60:61]
	s_delay_alu instid0(VALU_DEP_2) | instskip(SKIP_1) | instid1(VALU_DEP_2)
	v_add_f64_e64 v[6:7], v[6:7], -v[74:75]
	v_mul_f64_e32 v[58:59], v[64:65], v[64:65]
	v_xor_b32_e32 v7, 0x80000000, v7
	s_delay_alu instid0(VALU_DEP_2) | instskip(SKIP_2) | instid1(VALU_DEP_2)
	v_mul_f64_e64 v[84:85], v[64:65], -v[58:59]
	v_fmamk_f64 v[88:89], v[58:59], 0x3de5e0b2f9a43bb8, v[42:43]
	v_mul_f64_e32 v[80:81], v[56:57], v[56:57]
	v_fmaak_f64 v[78:79], v[58:59], v[88:89], 0x3ec71de3796cde01
	s_delay_alu instid0(VALU_DEP_1) | instskip(NEXT) | instid1(VALU_DEP_1)
	v_fmaak_f64 v[78:79], v[58:59], v[78:79], 0xbf2a01a019e83e5c
	v_fmaak_f64 v[78:79], v[58:59], v[78:79], 0x3f81111111110bb3
	s_delay_alu instid0(VALU_DEP_1) | instskip(SKIP_1) | instid1(VALU_DEP_1)
	v_fmac_f64_e32 v[82:83], v[84:85], v[78:79]
	v_fmamk_f64 v[78:79], v[56:57], 0xbda907db46cc5e42, v[28:29]
	v_fmaak_f64 v[60:61], v[56:57], v[78:79], 0xbe927e4fa17f65f6
	s_delay_alu instid0(VALU_DEP_1) | instskip(NEXT) | instid1(VALU_DEP_1)
	v_fmaak_f64 v[60:61], v[56:57], v[60:61], 0x3efa01a019f4ec90
	v_fmaak_f64 v[60:61], v[56:57], v[60:61], 0xbf56c16c16c16967
	s_delay_alu instid0(VALU_DEP_1) | instskip(NEXT) | instid1(VALU_DEP_1)
	v_fmaak_f64 v[56:57], v[56:57], v[60:61], 0x3fa5555555555555
	v_fmac_f64_e32 v[54:55], v[80:81], v[56:57]
	s_delay_alu instid0(VALU_DEP_1) | instskip(NEXT) | instid1(VALU_DEP_1)
	v_add_f64_e32 v[54:55], v[68:69], v[54:55]
	v_cndmask_b32_e32 v6, v6, v54, vcc_lo
	v_mul_f64_e32 v[62:63], 0.5, v[58:59]
	v_fmamk_f64 v[78:79], v[58:59], 0xbda907db46cc5e42, v[28:29]
	v_fma_f64 v[82:83], v[58:59], v[82:83], -v[66:67]
	s_delay_alu instid0(VALU_DEP_4) | instskip(NEXT) | instid1(VALU_DEP_3)
	v_dual_cndmask_b32 v7, v7, v55, vcc_lo :: v_dual_cndmask_b32 v54, 0, v6, s6
	v_fmaak_f64 v[60:61], v[58:59], v[78:79], 0xbe927e4fa17f65f6
	s_delay_alu instid0(VALU_DEP_2) | instskip(NEXT) | instid1(VALU_DEP_1)
	v_bitop3_b32 v7, v7, v8, 0x80000000 bitop3:0x78
	v_cndmask_b32_e64 v55, 0x7ff80000, v7, s6
	s_delay_alu instid0(VALU_DEP_3) | instskip(NEXT) | instid1(VALU_DEP_1)
	v_fmaak_f64 v[56:57], v[58:59], v[60:61], 0x3efa01a019f4ec90
	v_fmaak_f64 v[56:57], v[58:59], v[56:57], 0xbf56c16c16c16967
	s_delay_alu instid0(VALU_DEP_1) | instskip(SKIP_2) | instid1(VALU_DEP_2)
	v_fmaak_f64 v[56:57], v[58:59], v[56:57], 0x3fa5555555555555
	v_add_f64_e64 v[72:73], -v[62:63], 1.0
	v_fmac_f64_e32 v[82:83], 0xbfc5555555555555, v[84:85]
	v_add_f64_e64 v[86:87], -v[72:73], 1.0
	s_delay_alu instid0(VALU_DEP_1) | instskip(SKIP_1) | instid1(VALU_DEP_2)
	v_add_f64_e64 v[62:63], v[86:87], -v[62:63]
	v_mul_f64_e32 v[86:87], v[58:59], v[58:59]
	v_fma_f64 v[62:63], v[64:65], -v[66:67], v[62:63]
	s_delay_alu instid0(VALU_DEP_1) | instskip(SKIP_1) | instid1(VALU_DEP_2)
	v_fmac_f64_e32 v[62:63], v[86:87], v[56:57]
	v_add_f64_e64 v[56:57], v[64:65], -v[82:83]
	v_add_f64_e32 v[58:59], v[72:73], v[62:63]
	s_delay_alu instid0(VALU_DEP_1) | instskip(NEXT) | instid1(VALU_DEP_1)
	v_dual_cndmask_b32 v52, v59, v57, s7 :: v_dual_cndmask_b32 v21, v58, v56, s7
	v_bitop3_b32 v8, v52, v9, 0x80000000 bitop3:0x78
	s_delay_alu instid0(VALU_DEP_2) | instskip(NEXT) | instid1(VALU_DEP_2)
	v_cndmask_b32_e64 v52, 0, v21, s6
	v_cndmask_b32_e64 v53, 0x7ff80000, v8, s6
.LBB253_53:                             ;   in Loop: Header=BB253_4 Depth=1
	s_or_b32 exec_lo, exec_lo, s8
                                        ; implicit-def: $vgpr6_vgpr7
.LBB253_54:                             ;   in Loop: Header=BB253_4 Depth=1
	s_and_not1_saveexec_b32 s7, s40
	s_cbranch_execz .LBB253_56
; %bb.55:                               ;   in Loop: Header=BB253_4 Depth=1
	v_mul_f64_e32 v[8:9], 0xbff71547652b82fe, v[6:7]
	v_cmp_ngt_f64_e32 vcc_lo, 0xc0900000, v[6:7]
	v_cmp_nlt_f64_e64 s6, 0x4090cc00, v[6:7]
	s_delay_alu instid0(VALU_DEP_3) | instskip(NEXT) | instid1(VALU_DEP_1)
	v_rndne_f64_e32 v[8:9], v[8:9]
	v_fma_f64 v[54:55], v[8:9], s[28:29], -v[6:7]
	v_cvt_i32_f64_e32 v21, v[8:9]
	s_delay_alu instid0(VALU_DEP_2) | instskip(NEXT) | instid1(VALU_DEP_1)
	v_fmac_f64_e32 v[54:55], 0xbc7abc9e3b39803f, v[8:9]
	v_fmamk_f64 v[56:57], v[54:55], 0x3e5ade156a5dcb37, v[26:27]
	s_delay_alu instid0(VALU_DEP_1) | instskip(NEXT) | instid1(VALU_DEP_1)
	v_fmaak_f64 v[56:57], v[54:55], v[56:57], 0x3ec71dee623fde64
	v_fmaak_f64 v[56:57], v[54:55], v[56:57], 0x3efa01997c89e6b0
	s_delay_alu instid0(VALU_DEP_1) | instskip(NEXT) | instid1(VALU_DEP_1)
	v_fmaak_f64 v[56:57], v[54:55], v[56:57], 0x3f2a01a014761f6e
	v_fmaak_f64 v[56:57], v[54:55], v[56:57], 0x3f56c16c1852b7b0
	;; [unrolled: 3-line block ×4, first 2 shown]
	s_delay_alu instid0(VALU_DEP_1) | instskip(NEXT) | instid1(VALU_DEP_1)
	v_fma_f64 v[56:57], v[54:55], v[56:57], 1.0
	v_fma_f64 v[8:9], v[54:55], v[56:57], 1.0
	s_delay_alu instid0(VALU_DEP_1) | instskip(NEXT) | instid1(VALU_DEP_1)
	v_ldexp_f64 v[8:9], v[8:9], v21
	v_cndmask_b32_e32 v9, 0x7ff00000, v9, vcc_lo
	s_and_b32 vcc_lo, s6, vcc_lo
	s_delay_alu instid0(VALU_DEP_1) | instid1(SALU_CYCLE_1)
	v_dual_cndmask_b32 v54, 0, v8, vcc_lo :: v_dual_cndmask_b32 v55, 0, v9, s6
.LBB253_56:                             ;   in Loop: Header=BB253_4 Depth=1
	s_or_b32 exec_lo, exec_lo, s7
	s_delay_alu instid0(VALU_DEP_1) | instskip(NEXT) | instid1(VALU_DEP_2)
	v_add_f64_e32 v[52:53], s[14:15], v[52:53]
	v_add_f64_e32 v[54:55], s[12:13], v[54:55]
	s_mov_b32 s6, exec_lo
	s_delay_alu instid0(VALU_DEP_2) | instskip(NEXT) | instid1(VALU_DEP_2)
	v_mov_b32_e32 v58, v52
	v_cmp_gt_f64_e32 vcc_lo, 0, v[54:55]
	v_xor_b32_e32 v6, 0x80000000, v55
	v_mov_b32_e32 v56, v54
	v_xor_b32_e32 v7, 0x80000000, v53
	s_delay_alu instid0(VALU_DEP_3) | instskip(SKIP_1) | instid1(VALU_DEP_3)
	v_cndmask_b32_e32 v57, v55, v6, vcc_lo
	v_cmp_gt_f64_e32 vcc_lo, 0, v[52:53]
	v_cndmask_b32_e32 v59, v53, v7, vcc_lo
                                        ; implicit-def: $vgpr8_vgpr9
	s_delay_alu instid0(VALU_DEP_1)
	v_cmpx_ge_f64_e32 v[56:57], v[58:59]
	s_xor_b32 s7, exec_lo, s6
	s_cbranch_execz .LBB253_62
; %bb.57:                               ;   in Loop: Header=BB253_4 Depth=1
	v_cmp_neq_f64_e32 vcc_lo, 0, v[54:55]
	v_cmp_neq_f64_e64 s6, 0, v[52:53]
                                        ; implicit-def: $vgpr8_vgpr9
	s_or_b32 s6, vcc_lo, s6
	s_delay_alu instid0(SALU_CYCLE_1) | instskip(NEXT) | instid1(SALU_CYCLE_1)
	s_and_saveexec_b32 s8, s6
	s_xor_b32 s6, exec_lo, s8
	s_cbranch_execz .LBB253_59
; %bb.58:                               ;   in Loop: Header=BB253_4 Depth=1
	v_div_scale_f64 v[6:7], null, v[54:55], v[54:55], v[52:53]
	v_div_scale_f64 v[58:59], vcc_lo, v[52:53], v[54:55], v[52:53]
	s_delay_alu instid0(VALU_DEP_2) | instskip(SKIP_1) | instid1(TRANS32_DEP_1)
	v_rcp_f64_e32 v[8:9], v[6:7]
	v_nop
	v_fma_f64 v[56:57], -v[6:7], v[8:9], 1.0
	s_delay_alu instid0(VALU_DEP_1) | instskip(NEXT) | instid1(VALU_DEP_1)
	v_fmac_f64_e32 v[8:9], v[8:9], v[56:57]
	v_fma_f64 v[56:57], -v[6:7], v[8:9], 1.0
	s_delay_alu instid0(VALU_DEP_1) | instskip(NEXT) | instid1(VALU_DEP_1)
	v_fmac_f64_e32 v[8:9], v[8:9], v[56:57]
	v_mul_f64_e32 v[56:57], v[58:59], v[8:9]
	s_delay_alu instid0(VALU_DEP_1) | instskip(NEXT) | instid1(VALU_DEP_1)
	v_fma_f64 v[6:7], -v[6:7], v[56:57], v[58:59]
	v_div_fmas_f64 v[6:7], v[6:7], v[8:9], v[56:57]
	s_delay_alu instid0(VALU_DEP_1) | instskip(NEXT) | instid1(VALU_DEP_1)
	v_div_fixup_f64 v[6:7], v[6:7], v[54:55], v[52:53]
	v_fmac_f64_e32 v[54:55], v[52:53], v[6:7]
	s_delay_alu instid0(VALU_DEP_1) | instskip(SKIP_1) | instid1(VALU_DEP_2)
	v_div_scale_f64 v[8:9], null, v[54:55], v[54:55], 1.0
	v_div_scale_f64 v[58:59], vcc_lo, 1.0, v[54:55], 1.0
	v_rcp_f64_e32 v[52:53], v[8:9]
	v_nop
	s_delay_alu instid0(TRANS32_DEP_1) | instskip(NEXT) | instid1(VALU_DEP_1)
	v_fma_f64 v[56:57], -v[8:9], v[52:53], 1.0
	v_fmac_f64_e32 v[52:53], v[52:53], v[56:57]
	s_delay_alu instid0(VALU_DEP_1) | instskip(NEXT) | instid1(VALU_DEP_1)
	v_fma_f64 v[56:57], -v[8:9], v[52:53], 1.0
	v_fmac_f64_e32 v[52:53], v[52:53], v[56:57]
	s_delay_alu instid0(VALU_DEP_1) | instskip(NEXT) | instid1(VALU_DEP_1)
	v_mul_f64_e32 v[56:57], v[58:59], v[52:53]
	v_fma_f64 v[8:9], -v[8:9], v[56:57], v[58:59]
                                        ; implicit-def: $vgpr58_vgpr59
	s_delay_alu instid0(VALU_DEP_1) | instskip(SKIP_1) | instid1(VALU_DEP_2)
	v_div_fmas_f64 v[8:9], v[8:9], v[52:53], v[56:57]
	v_fma_f64 v[52:53], s[14:15], v[6:7], s[12:13]
                                        ; implicit-def: $vgpr56_vgpr57
	v_div_fixup_f64 v[8:9], v[8:9], v[54:55], 1.0
	v_fma_f64 v[54:55], -s[12:13], v[6:7], s[14:15]
	s_delay_alu instid0(VALU_DEP_2) | instskip(NEXT) | instid1(VALU_DEP_2)
	v_mul_f64_e32 v[6:7], v[52:53], v[8:9]
	v_mul_f64_e32 v[8:9], v[54:55], v[8:9]
.LBB253_59:                             ;   in Loop: Header=BB253_4 Depth=1
	s_and_not1_saveexec_b32 s8, s6
	s_cbranch_execz .LBB253_61
; %bb.60:                               ;   in Loop: Header=BB253_4 Depth=1
	v_div_scale_f64 v[6:7], null, v[56:57], v[56:57], s[12:13]
	v_div_scale_f64 v[8:9], null, v[58:59], v[58:59], s[14:15]
	v_div_scale_f64 v[64:65], vcc_lo, s[12:13], v[56:57], s[12:13]
	s_delay_alu instid0(VALU_DEP_3) | instskip(NEXT) | instid1(VALU_DEP_2)
	v_rcp_f64_e32 v[52:53], v[6:7]
	v_rcp_f64_e32 v[54:55], v[8:9]
	s_delay_alu instid0(TRANS32_DEP_2) | instskip(NEXT) | instid1(TRANS32_DEP_1)
	v_fma_f64 v[60:61], -v[6:7], v[52:53], 1.0
	v_fma_f64 v[62:63], -v[8:9], v[54:55], 1.0
	s_delay_alu instid0(VALU_DEP_2) | instskip(NEXT) | instid1(VALU_DEP_2)
	v_fmac_f64_e32 v[52:53], v[52:53], v[60:61]
	v_fmac_f64_e32 v[54:55], v[54:55], v[62:63]
	s_delay_alu instid0(VALU_DEP_2) | instskip(NEXT) | instid1(VALU_DEP_2)
	v_fma_f64 v[60:61], -v[6:7], v[52:53], 1.0
	v_fma_f64 v[62:63], -v[8:9], v[54:55], 1.0
	s_delay_alu instid0(VALU_DEP_2) | instskip(SKIP_1) | instid1(VALU_DEP_3)
	v_fmac_f64_e32 v[52:53], v[52:53], v[60:61]
	v_div_scale_f64 v[60:61], s6, s[14:15], v[58:59], s[14:15]
	v_fmac_f64_e32 v[54:55], v[54:55], v[62:63]
	s_delay_alu instid0(VALU_DEP_3) | instskip(NEXT) | instid1(VALU_DEP_2)
	v_mul_f64_e32 v[62:63], v[64:65], v[52:53]
	v_mul_f64_e32 v[66:67], v[60:61], v[54:55]
	s_delay_alu instid0(VALU_DEP_2) | instskip(NEXT) | instid1(VALU_DEP_2)
	v_fma_f64 v[6:7], -v[6:7], v[62:63], v[64:65]
	v_fma_f64 v[8:9], -v[8:9], v[66:67], v[60:61]
	s_delay_alu instid0(VALU_DEP_2) | instskip(SKIP_1) | instid1(VALU_DEP_2)
	v_div_fmas_f64 v[6:7], v[6:7], v[52:53], v[62:63]
	s_mov_b32 vcc_lo, s6
	v_div_fmas_f64 v[8:9], v[8:9], v[54:55], v[66:67]
	s_delay_alu instid0(VALU_DEP_2) | instskip(NEXT) | instid1(VALU_DEP_2)
	v_div_fixup_f64 v[6:7], v[6:7], v[56:57], s[12:13]
	v_div_fixup_f64 v[8:9], v[8:9], v[58:59], s[14:15]
.LBB253_61:                             ;   in Loop: Header=BB253_4 Depth=1
	s_or_b32 exec_lo, exec_lo, s8
                                        ; implicit-def: $vgpr52_vgpr53
                                        ; implicit-def: $vgpr54_vgpr55
.LBB253_62:                             ;   in Loop: Header=BB253_4 Depth=1
	s_and_not1_saveexec_b32 s6, s7
	s_cbranch_execz .LBB253_64
; %bb.63:                               ;   in Loop: Header=BB253_4 Depth=1
	v_div_scale_f64 v[6:7], null, v[52:53], v[52:53], v[54:55]
	v_div_scale_f64 v[58:59], vcc_lo, v[54:55], v[52:53], v[54:55]
	s_delay_alu instid0(VALU_DEP_2) | instskip(SKIP_1) | instid1(TRANS32_DEP_1)
	v_rcp_f64_e32 v[8:9], v[6:7]
	v_nop
	v_fma_f64 v[56:57], -v[6:7], v[8:9], 1.0
	s_delay_alu instid0(VALU_DEP_1) | instskip(NEXT) | instid1(VALU_DEP_1)
	v_fmac_f64_e32 v[8:9], v[8:9], v[56:57]
	v_fma_f64 v[56:57], -v[6:7], v[8:9], 1.0
	s_delay_alu instid0(VALU_DEP_1) | instskip(NEXT) | instid1(VALU_DEP_1)
	v_fmac_f64_e32 v[8:9], v[8:9], v[56:57]
	v_mul_f64_e32 v[56:57], v[58:59], v[8:9]
	s_delay_alu instid0(VALU_DEP_1) | instskip(NEXT) | instid1(VALU_DEP_1)
	v_fma_f64 v[6:7], -v[6:7], v[56:57], v[58:59]
	v_div_fmas_f64 v[6:7], v[6:7], v[8:9], v[56:57]
	s_delay_alu instid0(VALU_DEP_1) | instskip(NEXT) | instid1(VALU_DEP_1)
	v_div_fixup_f64 v[6:7], v[6:7], v[52:53], v[54:55]
	v_fmac_f64_e32 v[52:53], v[54:55], v[6:7]
	s_delay_alu instid0(VALU_DEP_1) | instskip(SKIP_1) | instid1(VALU_DEP_2)
	v_div_scale_f64 v[8:9], null, v[52:53], v[52:53], 1.0
	v_div_scale_f64 v[58:59], vcc_lo, 1.0, v[52:53], 1.0
	v_rcp_f64_e32 v[54:55], v[8:9]
	v_nop
	s_delay_alu instid0(TRANS32_DEP_1) | instskip(NEXT) | instid1(VALU_DEP_1)
	v_fma_f64 v[56:57], -v[8:9], v[54:55], 1.0
	v_fmac_f64_e32 v[54:55], v[54:55], v[56:57]
	s_delay_alu instid0(VALU_DEP_1) | instskip(NEXT) | instid1(VALU_DEP_1)
	v_fma_f64 v[56:57], -v[8:9], v[54:55], 1.0
	v_fmac_f64_e32 v[54:55], v[54:55], v[56:57]
	s_delay_alu instid0(VALU_DEP_1) | instskip(NEXT) | instid1(VALU_DEP_1)
	v_mul_f64_e32 v[56:57], v[58:59], v[54:55]
	v_fma_f64 v[8:9], -v[8:9], v[56:57], v[58:59]
	s_delay_alu instid0(VALU_DEP_1) | instskip(SKIP_1) | instid1(VALU_DEP_2)
	v_div_fmas_f64 v[8:9], v[8:9], v[54:55], v[56:57]
	v_fma_f64 v[54:55], s[12:13], v[6:7], s[14:15]
	v_div_fixup_f64 v[8:9], v[8:9], v[52:53], 1.0
	v_fma_f64 v[52:53], s[14:15], v[6:7], -s[12:13]
	s_delay_alu instid0(VALU_DEP_2) | instskip(NEXT) | instid1(VALU_DEP_2)
	v_mul_f64_e32 v[6:7], v[54:55], v[8:9]
	v_mul_f64_e32 v[8:9], v[52:53], v[8:9]
.LBB253_64:                             ;   in Loop: Header=BB253_4 Depth=1
	s_or_b32 exec_lo, exec_lo, s6
	v_xor_b32_e32 v53, 0x80000000, v17
                                        ; implicit-def: $vgpr54_vgpr55
	s_mov_b32 s6, exec_lo
	v_mov_b32_e32 v52, v16
	s_delay_alu instid0(VALU_DEP_2) | instskip(NEXT) | instid1(VALU_DEP_1)
	v_and_b32_e32 v58, 0x7fffffff, v53
	v_or_b32_e32 v21, v58, v16
	s_delay_alu instid0(VALU_DEP_1)
	v_cmpx_ne_u32_e32 0, v21
	s_xor_b32 s40, exec_lo, s6
	s_cbranch_execz .LBB253_106
; %bb.65:                               ;   in Loop: Header=BB253_4 Depth=1
	v_xor_b32_e32 v57, 0x80000000, v15
                                        ; implicit-def: $vgpr54_vgpr55
	s_mov_b32 s6, exec_lo
	v_mov_b32_e32 v56, v14
	s_delay_alu instid0(VALU_DEP_2) | instskip(NEXT) | instid1(VALU_DEP_1)
	v_and_b32_e32 v21, 0x7fffffff, v57
	v_or_b32_e32 v52, v21, v14
	s_delay_alu instid0(VALU_DEP_1)
	v_cmpx_ne_u32_e32 0, v52
	s_xor_b32 s41, exec_lo, s6
	s_cbranch_execz .LBB253_95
; %bb.66:                               ;   in Loop: Header=BB253_4 Depth=1
                                        ; implicit-def: $vgpr54_vgpr55
	s_mov_b32 s6, exec_lo
	v_cmpx_gt_u32_e32 0x7ff00000, v58
	s_xor_b32 s42, exec_lo, s6
	s_cbranch_execz .LBB253_88
; %bb.67:                               ;   in Loop: Header=BB253_4 Depth=1
	v_add_nc_u32_e32 v21, 0xbf79d1be, v57
                                        ; implicit-def: $vgpr54_vgpr55
	s_mov_b32 s6, exec_lo
	s_delay_alu instid0(VALU_DEP_1)
	v_cmpx_lt_u32_e32 0x108aa2, v21
	s_xor_b32 s43, exec_lo, s6
	s_cbranch_execz .LBB253_77
; %bb.68:                               ;   in Loop: Header=BB253_4 Depth=1
	v_cmp_ngt_f64_e64 s6, 0x41d00000, |v[16:17]|
                                        ; implicit-def: $vgpr52
                                        ; implicit-def: $vgpr54_vgpr55
                                        ; implicit-def: $vgpr56_vgpr57
	s_and_saveexec_b32 s7, s6
	s_delay_alu instid0(SALU_CYCLE_1)
	s_xor_b32 s7, exec_lo, s7
	s_cbranch_execz .LBB253_70
; %bb.69:                               ;   in Loop: Header=BB253_4 Depth=1
	v_ldexp_f64 v[54:55], |v[16:17]|, 0xffffff80
	v_cmp_le_f64_e64 vcc_lo, 0x7b000000, |v[16:17]|
	v_trig_preop_f64 v[56:57], |v[16:17]|, 0
	v_and_b32_e32 v21, 0x7fffffff, v17
	v_trig_preop_f64 v[58:59], |v[16:17]|, 1
	v_trig_preop_f64 v[68:69], |v[16:17]|, 2
	s_delay_alu instid0(VALU_DEP_3) | instskip(NEXT) | instid1(VALU_DEP_1)
	v_dual_cndmask_b32 v55, v21, v55 :: v_dual_cndmask_b32 v54, v16, v54
	v_mul_f64_e32 v[60:61], v[56:57], v[54:55]
	s_delay_alu instid0(VALU_DEP_4) | instskip(NEXT) | instid1(VALU_DEP_4)
	v_mul_f64_e32 v[62:63], v[58:59], v[54:55]
	v_mul_f64_e32 v[74:75], v[68:69], v[54:55]
	s_delay_alu instid0(VALU_DEP_3) | instskip(NEXT) | instid1(VALU_DEP_3)
	v_fma_f64 v[56:57], v[56:57], v[54:55], -v[60:61]
	v_fma_f64 v[58:59], v[58:59], v[54:55], -v[62:63]
	s_delay_alu instid0(VALU_DEP_3) | instskip(NEXT) | instid1(VALU_DEP_3)
	v_fma_f64 v[54:55], v[68:69], v[54:55], -v[74:75]
	v_add_f64_e32 v[64:65], v[62:63], v[56:57]
	s_delay_alu instid0(VALU_DEP_1) | instskip(SKIP_1) | instid1(VALU_DEP_2)
	v_add_f64_e64 v[66:67], v[64:65], -v[62:63]
	v_add_f64_e32 v[72:73], v[60:61], v[64:65]
	v_add_f64_e64 v[70:71], v[64:65], -v[66:67]
	v_add_f64_e64 v[56:57], v[56:57], -v[66:67]
	s_delay_alu instid0(VALU_DEP_3) | instskip(NEXT) | instid1(VALU_DEP_3)
	v_ldexp_f64 v[66:67], v[72:73], -2
	v_add_f64_e64 v[62:63], v[62:63], -v[70:71]
	v_add_f64_e32 v[70:71], v[74:75], v[58:59]
	s_delay_alu instid0(VALU_DEP_3) | instskip(NEXT) | instid1(VALU_DEP_3)
	v_cmp_neq_f64_e64 vcc_lo, 0x7ff00000, |v[66:67]|
	v_add_f64_e32 v[56:57], v[56:57], v[62:63]
	v_fract_f64_e32 v[62:63], v[66:67]
	s_delay_alu instid0(VALU_DEP_1) | instskip(NEXT) | instid1(VALU_DEP_1)
	v_ldexp_f64 v[62:63], v[62:63], 2
	v_dual_add_f64 v[60:61], v[72:73], -v[60:61] :: v_dual_cndmask_b32 v62, 0, v62, vcc_lo
	s_delay_alu instid0(VALU_DEP_1) | instskip(SKIP_1) | instid1(VALU_DEP_1)
	v_dual_add_f64 v[60:61], v[64:65], -v[60:61] :: v_dual_cndmask_b32 v63, 0, v63, vcc_lo
	v_add_f64_e32 v[64:65], v[70:71], v[56:57]
	v_add_f64_e32 v[66:67], v[60:61], v[64:65]
	v_add_f64_e64 v[76:77], v[64:65], -v[70:71]
	s_delay_alu instid0(VALU_DEP_2) | instskip(NEXT) | instid1(VALU_DEP_2)
	v_add_f64_e32 v[72:73], v[66:67], v[62:63]
	v_add_f64_e64 v[82:83], v[64:65], -v[76:77]
	v_add_f64_e64 v[56:57], v[56:57], -v[76:77]
	;; [unrolled: 1-line block ×3, first 2 shown]
	s_delay_alu instid0(VALU_DEP_4) | instskip(SKIP_1) | instid1(VALU_DEP_3)
	v_cmp_gt_f64_e32 vcc_lo, 0, v[72:73]
	v_add_f64_e64 v[72:73], v[70:71], -v[74:75]
	v_add_f64_e64 v[60:61], v[64:65], -v[60:61]
	v_cndmask_b32_e64 v21, 0, 0x40100000, vcc_lo
	s_delay_alu instid0(VALU_DEP_3) | instskip(SKIP_2) | instid1(VALU_DEP_4)
	v_add_f64_e64 v[80:81], v[70:71], -v[72:73]
	v_add_f64_e64 v[58:59], v[58:59], -v[72:73]
	;; [unrolled: 1-line block ×3, first 2 shown]
	v_add_f64_e32 v[62:63], v[62:63], v[20:21]
	s_delay_alu instid0(VALU_DEP_4) | instskip(NEXT) | instid1(VALU_DEP_3)
	v_add_f64_e64 v[72:73], v[74:75], -v[80:81]
	v_add_f64_e32 v[56:57], v[56:57], v[70:71]
	s_delay_alu instid0(VALU_DEP_3) | instskip(NEXT) | instid1(VALU_DEP_3)
	v_add_f64_e32 v[78:79], v[66:67], v[62:63]
	v_add_f64_e32 v[58:59], v[58:59], v[72:73]
	s_delay_alu instid0(VALU_DEP_2) | instskip(NEXT) | instid1(VALU_DEP_2)
	v_cvt_i32_f64_e32 v21, v[78:79]
	v_add_f64_e32 v[56:57], v[58:59], v[56:57]
	s_delay_alu instid0(VALU_DEP_2) | instskip(NEXT) | instid1(VALU_DEP_2)
	v_cvt_f64_i32_e32 v[76:77], v21
	v_add_f64_e32 v[54:55], v[54:55], v[56:57]
	s_delay_alu instid0(VALU_DEP_2) | instskip(NEXT) | instid1(VALU_DEP_2)
	v_add_f64_e64 v[62:63], v[62:63], -v[76:77]
	v_add_f64_e32 v[54:55], v[60:61], v[54:55]
	s_delay_alu instid0(VALU_DEP_2) | instskip(NEXT) | instid1(VALU_DEP_1)
	v_add_f64_e32 v[58:59], v[66:67], v[62:63]
	v_add_f64_e64 v[56:57], v[58:59], -v[62:63]
	v_cmp_le_f64_e32 vcc_lo, 0.5, v[58:59]
	s_delay_alu instid0(VALU_DEP_2) | instskip(SKIP_2) | instid1(VALU_DEP_3)
	v_add_f64_e64 v[56:57], v[66:67], -v[56:57]
	v_add_co_ci_u32_e64 v52, null, 0, v21, vcc_lo
	v_cndmask_b32_e64 v21, 0, 0x3ff00000, vcc_lo
	v_add_f64_e32 v[54:55], v[54:55], v[56:57]
	s_delay_alu instid0(VALU_DEP_2) | instskip(NEXT) | instid1(VALU_DEP_1)
	v_add_f64_e64 v[56:57], v[58:59], -v[20:21]
	v_add_f64_e32 v[58:59], v[56:57], v[54:55]
	s_delay_alu instid0(VALU_DEP_1) | instskip(SKIP_1) | instid1(VALU_DEP_2)
	v_mul_f64_e32 v[60:61], 0x3ff921fb54442d18, v[58:59]
	v_add_f64_e64 v[56:57], v[58:59], -v[56:57]
	v_fma_f64 v[62:63], v[58:59], s[22:23], -v[60:61]
	s_delay_alu instid0(VALU_DEP_2) | instskip(NEXT) | instid1(VALU_DEP_2)
	v_add_f64_e64 v[54:55], v[54:55], -v[56:57]
	v_fmac_f64_e32 v[62:63], 0x3c91a62633145c07, v[58:59]
	s_delay_alu instid0(VALU_DEP_1) | instskip(NEXT) | instid1(VALU_DEP_1)
	v_fmac_f64_e32 v[62:63], 0x3ff921fb54442d18, v[54:55]
	v_add_f64_e32 v[54:55], v[60:61], v[62:63]
	s_delay_alu instid0(VALU_DEP_1) | instskip(NEXT) | instid1(VALU_DEP_1)
	v_add_f64_e64 v[56:57], v[54:55], -v[60:61]
	v_add_f64_e64 v[56:57], v[62:63], -v[56:57]
	s_and_not1_saveexec_b32 s7, s7
	s_cbranch_execz .LBB253_72
	s_branch .LBB253_71
.LBB253_70:                             ;   in Loop: Header=BB253_4 Depth=1
	s_and_not1_saveexec_b32 s7, s7
	s_cbranch_execz .LBB253_72
.LBB253_71:                             ;   in Loop: Header=BB253_4 Depth=1
	v_mul_f64_e64 v[54:55], |v[16:17]|, s[24:25]
	s_delay_alu instid0(VALU_DEP_1) | instskip(NEXT) | instid1(VALU_DEP_1)
	v_rndne_f64_e32 v[58:59], v[54:55]
	v_fma_f64 v[54:55], v[58:59], s[26:27], |v[16:17]|
	v_mul_f64_e32 v[56:57], 0xbc91a62633145c00, v[58:59]
	v_cvt_i32_f64_e32 v52, v[58:59]
	s_delay_alu instid0(VALU_DEP_3) | instskip(NEXT) | instid1(VALU_DEP_3)
	v_fmamk_f64 v[64:65], v[58:59], 0xbc91a62633145c00, v[54:55]
	v_add_f64_e32 v[60:61], v[54:55], v[56:57]
	s_delay_alu instid0(VALU_DEP_1) | instskip(NEXT) | instid1(VALU_DEP_3)
	v_add_f64_e64 v[62:63], v[54:55], -v[60:61]
	v_add_f64_e64 v[54:55], v[60:61], -v[64:65]
	s_delay_alu instid0(VALU_DEP_2) | instskip(SKIP_1) | instid1(VALU_DEP_2)
	v_add_f64_e32 v[60:61], v[62:63], v[56:57]
	v_fmamk_f64 v[56:57], v[58:59], 0x3c91a62633145c00, v[56:57]
	v_add_f64_e32 v[54:55], v[54:55], v[60:61]
	s_delay_alu instid0(VALU_DEP_1) | instskip(NEXT) | instid1(VALU_DEP_1)
	v_add_f64_e64 v[56:57], v[54:55], -v[56:57]
	v_fmac_f64_e32 v[56:57], 0xb97b839a252049c0, v[58:59]
	s_delay_alu instid0(VALU_DEP_1) | instskip(NEXT) | instid1(VALU_DEP_1)
	v_add_f64_e32 v[54:55], v[64:65], v[56:57]
	v_add_f64_e64 v[60:61], v[54:55], -v[64:65]
	s_delay_alu instid0(VALU_DEP_1)
	v_add_f64_e64 v[56:57], v[56:57], -v[60:61]
.LBB253_72:                             ;   in Loop: Header=BB253_4 Depth=1
	s_or_b32 exec_lo, exec_lo, s7
                                        ; implicit-def: $vgpr62
                                        ; implicit-def: $vgpr58_vgpr59
                                        ; implicit-def: $vgpr60_vgpr61
	s_and_saveexec_b32 s7, s6
	s_delay_alu instid0(SALU_CYCLE_1)
	s_xor_b32 s6, exec_lo, s7
	s_cbranch_execz .LBB253_74
; %bb.73:                               ;   in Loop: Header=BB253_4 Depth=1
	v_ldexp_f64 v[58:59], |v[16:17]|, 0xffffff80
	v_cmp_le_f64_e64 vcc_lo, 0x7b000000, |v[16:17]|
	v_trig_preop_f64 v[60:61], |v[16:17]|, 0
	v_and_b32_e32 v21, 0x7fffffff, v17
	v_trig_preop_f64 v[62:63], |v[16:17]|, 1
	v_trig_preop_f64 v[72:73], |v[16:17]|, 2
	s_delay_alu instid0(VALU_DEP_3) | instskip(NEXT) | instid1(VALU_DEP_1)
	v_dual_cndmask_b32 v59, v21, v59 :: v_dual_cndmask_b32 v58, v16, v58
	v_mul_f64_e32 v[64:65], v[60:61], v[58:59]
	s_delay_alu instid0(VALU_DEP_4) | instskip(NEXT) | instid1(VALU_DEP_4)
	v_mul_f64_e32 v[66:67], v[62:63], v[58:59]
	v_mul_f64_e32 v[78:79], v[72:73], v[58:59]
	s_delay_alu instid0(VALU_DEP_3) | instskip(NEXT) | instid1(VALU_DEP_3)
	v_fma_f64 v[60:61], v[60:61], v[58:59], -v[64:65]
	v_fma_f64 v[62:63], v[62:63], v[58:59], -v[66:67]
	s_delay_alu instid0(VALU_DEP_3) | instskip(NEXT) | instid1(VALU_DEP_3)
	v_fma_f64 v[58:59], v[72:73], v[58:59], -v[78:79]
	v_add_f64_e32 v[68:69], v[66:67], v[60:61]
	s_delay_alu instid0(VALU_DEP_1) | instskip(SKIP_1) | instid1(VALU_DEP_2)
	v_add_f64_e64 v[70:71], v[68:69], -v[66:67]
	v_add_f64_e32 v[76:77], v[64:65], v[68:69]
	v_add_f64_e64 v[74:75], v[68:69], -v[70:71]
	v_add_f64_e64 v[60:61], v[60:61], -v[70:71]
	s_delay_alu instid0(VALU_DEP_3) | instskip(NEXT) | instid1(VALU_DEP_3)
	v_ldexp_f64 v[70:71], v[76:77], -2
	v_add_f64_e64 v[66:67], v[66:67], -v[74:75]
	v_add_f64_e32 v[74:75], v[78:79], v[62:63]
	s_delay_alu instid0(VALU_DEP_3) | instskip(NEXT) | instid1(VALU_DEP_3)
	v_cmp_neq_f64_e64 vcc_lo, 0x7ff00000, |v[70:71]|
	v_add_f64_e32 v[60:61], v[60:61], v[66:67]
	v_fract_f64_e32 v[66:67], v[70:71]
	s_delay_alu instid0(VALU_DEP_1) | instskip(NEXT) | instid1(VALU_DEP_1)
	v_ldexp_f64 v[66:67], v[66:67], 2
	v_dual_add_f64 v[64:65], v[76:77], -v[64:65] :: v_dual_cndmask_b32 v66, 0, v66, vcc_lo
	s_delay_alu instid0(VALU_DEP_1) | instskip(SKIP_1) | instid1(VALU_DEP_1)
	v_dual_add_f64 v[64:65], v[68:69], -v[64:65] :: v_dual_cndmask_b32 v67, 0, v67, vcc_lo
	v_add_f64_e32 v[68:69], v[74:75], v[60:61]
	v_add_f64_e32 v[70:71], v[64:65], v[68:69]
	v_add_f64_e64 v[80:81], v[68:69], -v[74:75]
	s_delay_alu instid0(VALU_DEP_2) | instskip(NEXT) | instid1(VALU_DEP_2)
	v_add_f64_e32 v[76:77], v[70:71], v[66:67]
	v_add_f64_e64 v[86:87], v[68:69], -v[80:81]
	v_add_f64_e64 v[60:61], v[60:61], -v[80:81]
	;; [unrolled: 1-line block ×3, first 2 shown]
	s_delay_alu instid0(VALU_DEP_4) | instskip(SKIP_2) | instid1(VALU_DEP_2)
	v_cmp_gt_f64_e32 vcc_lo, 0, v[76:77]
	v_add_f64_e64 v[76:77], v[74:75], -v[78:79]
	v_cndmask_b32_e64 v21, 0, 0x40100000, vcc_lo
	v_add_f64_e64 v[84:85], v[74:75], -v[76:77]
	v_add_f64_e64 v[62:63], v[62:63], -v[76:77]
	;; [unrolled: 1-line block ×3, first 2 shown]
	s_delay_alu instid0(VALU_DEP_4) | instskip(NEXT) | instid1(VALU_DEP_4)
	v_add_f64_e32 v[66:67], v[66:67], v[20:21]
	v_add_f64_e64 v[76:77], v[78:79], -v[84:85]
	s_delay_alu instid0(VALU_DEP_3) | instskip(NEXT) | instid1(VALU_DEP_3)
	v_add_f64_e32 v[60:61], v[60:61], v[74:75]
	v_add_f64_e32 v[82:83], v[70:71], v[66:67]
	s_delay_alu instid0(VALU_DEP_3) | instskip(NEXT) | instid1(VALU_DEP_2)
	v_add_f64_e32 v[62:63], v[62:63], v[76:77]
	v_cvt_i32_f64_e32 v21, v[82:83]
	s_delay_alu instid0(VALU_DEP_2) | instskip(SKIP_1) | instid1(VALU_DEP_3)
	v_add_f64_e32 v[60:61], v[62:63], v[60:61]
	v_add_f64_e64 v[62:63], v[68:69], -v[64:65]
	v_cvt_f64_i32_e32 v[80:81], v21
	s_delay_alu instid0(VALU_DEP_3) | instskip(NEXT) | instid1(VALU_DEP_2)
	v_add_f64_e32 v[58:59], v[58:59], v[60:61]
	v_add_f64_e64 v[66:67], v[66:67], -v[80:81]
	s_delay_alu instid0(VALU_DEP_2) | instskip(NEXT) | instid1(VALU_DEP_2)
	v_add_f64_e32 v[58:59], v[62:63], v[58:59]
	v_add_f64_e32 v[72:73], v[70:71], v[66:67]
	s_delay_alu instid0(VALU_DEP_1) | instskip(SKIP_1) | instid1(VALU_DEP_2)
	v_add_f64_e64 v[60:61], v[72:73], -v[66:67]
	v_cmp_le_f64_e32 vcc_lo, 0.5, v[72:73]
	v_add_f64_e64 v[60:61], v[70:71], -v[60:61]
	v_add_co_ci_u32_e64 v62, null, 0, v21, vcc_lo
	v_cndmask_b32_e64 v21, 0, 0x3ff00000, vcc_lo
	s_delay_alu instid0(VALU_DEP_3) | instskip(NEXT) | instid1(VALU_DEP_2)
	v_add_f64_e32 v[58:59], v[58:59], v[60:61]
	v_add_f64_e64 v[60:61], v[72:73], -v[20:21]
	s_delay_alu instid0(VALU_DEP_1) | instskip(NEXT) | instid1(VALU_DEP_1)
	v_add_f64_e32 v[64:65], v[60:61], v[58:59]
	v_mul_f64_e32 v[66:67], 0x3ff921fb54442d18, v[64:65]
	v_add_f64_e64 v[60:61], v[64:65], -v[60:61]
	s_delay_alu instid0(VALU_DEP_2) | instskip(NEXT) | instid1(VALU_DEP_2)
	v_fma_f64 v[68:69], v[64:65], s[22:23], -v[66:67]
	v_add_f64_e64 v[58:59], v[58:59], -v[60:61]
	s_delay_alu instid0(VALU_DEP_2) | instskip(NEXT) | instid1(VALU_DEP_1)
	v_fmac_f64_e32 v[68:69], 0x3c91a62633145c07, v[64:65]
	v_fmac_f64_e32 v[68:69], 0x3ff921fb54442d18, v[58:59]
	s_delay_alu instid0(VALU_DEP_1) | instskip(NEXT) | instid1(VALU_DEP_1)
	v_add_f64_e32 v[58:59], v[66:67], v[68:69]
	v_add_f64_e64 v[60:61], v[58:59], -v[66:67]
	s_delay_alu instid0(VALU_DEP_1)
	v_add_f64_e64 v[60:61], v[68:69], -v[60:61]
	s_and_not1_saveexec_b32 s6, s6
	s_cbranch_execnz .LBB253_75
	s_branch .LBB253_76
.LBB253_74:                             ;   in Loop: Header=BB253_4 Depth=1
	s_and_not1_saveexec_b32 s6, s6
	s_cbranch_execz .LBB253_76
.LBB253_75:                             ;   in Loop: Header=BB253_4 Depth=1
	v_mul_f64_e64 v[58:59], |v[16:17]|, s[24:25]
	s_delay_alu instid0(VALU_DEP_1) | instskip(NEXT) | instid1(VALU_DEP_1)
	v_rndne_f64_e32 v[62:63], v[58:59]
	v_fma_f64 v[58:59], v[62:63], s[26:27], |v[16:17]|
	v_mul_f64_e32 v[60:61], 0xbc91a62633145c00, v[62:63]
	s_delay_alu instid0(VALU_DEP_2) | instskip(NEXT) | instid1(VALU_DEP_2)
	v_fmamk_f64 v[68:69], v[62:63], 0xbc91a62633145c00, v[58:59]
	v_add_f64_e32 v[64:65], v[58:59], v[60:61]
	s_delay_alu instid0(VALU_DEP_1) | instskip(NEXT) | instid1(VALU_DEP_3)
	v_add_f64_e64 v[66:67], v[58:59], -v[64:65]
	v_add_f64_e64 v[58:59], v[64:65], -v[68:69]
	s_delay_alu instid0(VALU_DEP_2) | instskip(SKIP_1) | instid1(VALU_DEP_2)
	v_add_f64_e32 v[64:65], v[66:67], v[60:61]
	v_fmamk_f64 v[60:61], v[62:63], 0x3c91a62633145c00, v[60:61]
	v_add_f64_e32 v[58:59], v[58:59], v[64:65]
	s_delay_alu instid0(VALU_DEP_1) | instskip(NEXT) | instid1(VALU_DEP_1)
	v_add_f64_e64 v[60:61], v[58:59], -v[60:61]
	v_fmac_f64_e32 v[60:61], 0xb97b839a252049c0, v[62:63]
	v_cvt_i32_f64_e32 v62, v[62:63]
	s_delay_alu instid0(VALU_DEP_2) | instskip(NEXT) | instid1(VALU_DEP_1)
	v_add_f64_e32 v[58:59], v[68:69], v[60:61]
	v_add_f64_e64 v[64:65], v[58:59], -v[68:69]
	s_delay_alu instid0(VALU_DEP_1)
	v_add_f64_e64 v[60:61], v[60:61], -v[64:65]
.LBB253_76:                             ;   in Loop: Header=BB253_4 Depth=1
	s_or_b32 exec_lo, exec_lo, s6
	v_mul_f64_e32 v[64:65], 0xbff71547652b82fe, v[14:15]
	v_mul_f64_e32 v[66:67], v[54:55], v[54:55]
	;; [unrolled: 1-line block ×3, first 2 shown]
	s_delay_alu instid0(VALU_DEP_4)
	v_mul_f64_e32 v[80:81], 0.5, v[56:57]
	v_cmp_class_f64_e64 s6, v[16:17], 0x1f8
	v_lshlrev_b32_e32 v16, 30, v62
	v_cmp_ngt_f64_e64 s7, 0xc0900000, v[14:15]
	v_cmp_nlt_f64_e64 s8, 0x4090cc00, v[14:15]
	v_rndne_f64_e32 v[64:65], v[64:65]
	v_mul_f64_e32 v[70:71], 0.5, v[66:67]
	s_delay_alu instid0(VALU_DEP_2) | instskip(NEXT) | instid1(VALU_DEP_2)
	v_fma_f64 v[72:73], v[64:65], s[28:29], -v[14:15]
	v_add_f64_e64 v[76:77], -v[70:71], 1.0
	v_cvt_i32_f64_e32 v21, v[64:65]
	v_and_b32_e32 v14, 1, v62
	s_delay_alu instid0(VALU_DEP_1) | instskip(SKIP_3) | instid1(VALU_DEP_2)
	v_cmp_eq_u32_e64 s9, 0, v14
	v_mul_f64_e32 v[90:91], 0.5, v[60:61]
	v_fmac_f64_e32 v[72:73], 0xbc7abc9e3b39803f, v[64:65]
	v_add_f64_e64 v[84:85], -v[76:77], 1.0
	v_fmamk_f64 v[88:89], v[72:73], 0x3e5ade156a5dcb37, v[26:27]
	s_delay_alu instid0(VALU_DEP_2) | instskip(NEXT) | instid1(VALU_DEP_2)
	v_add_f64_e64 v[70:71], v[84:85], -v[70:71]
	v_fmaak_f64 v[88:89], v[72:73], v[88:89], 0x3ec71dee623fde64
	s_delay_alu instid0(VALU_DEP_1) | instskip(NEXT) | instid1(VALU_DEP_1)
	v_fmaak_f64 v[88:89], v[72:73], v[88:89], 0x3efa01997c89e6b0
	v_fmaak_f64 v[88:89], v[72:73], v[88:89], 0x3f2a01a014761f6e
	s_delay_alu instid0(VALU_DEP_1) | instskip(NEXT) | instid1(VALU_DEP_1)
	v_fmaak_f64 v[84:85], v[72:73], v[88:89], 0x3f56c16c1852b7b0
	;; [unrolled: 3-line block ×4, first 2 shown]
	v_fma_f64 v[84:85], v[72:73], v[84:85], 1.0
	s_delay_alu instid0(VALU_DEP_1) | instskip(NEXT) | instid1(VALU_DEP_1)
	v_fma_f64 v[64:65], v[72:73], v[84:85], 1.0
	v_ldexp_f64 v[64:65], v[64:65], v21
	v_dual_mul_f64 v[82:83], v[54:55], -v[66:67] :: v_dual_bitop2_b32 v21, 1, v52 bitop3:0x40
	v_fmamk_f64 v[86:87], v[66:67], 0x3de5e0b2f9a43bb8, v[42:43]
	v_lshlrev_b32_e32 v52, 30, v52
	v_mul_f64_e32 v[74:75], 0.5, v[68:69]
	v_mul_f64_e64 v[92:93], v[58:59], -v[68:69]
	v_fmamk_f64 v[96:97], v[68:69], 0x3de5e0b2f9a43bb8, v[42:43]
	v_mul_f64_e32 v[88:89], v[66:67], v[66:67]
	v_cmp_eq_u32_e32 vcc_lo, 0, v21
	v_fmaak_f64 v[86:87], v[66:67], v[86:87], 0x3ec71de3796cde01
	s_delay_alu instid0(VALU_DEP_1) | instskip(NEXT) | instid1(VALU_DEP_1)
	v_fmaak_f64 v[86:87], v[66:67], v[86:87], 0xbf2a01a019e83e5c
	v_fmaak_f64 v[86:87], v[66:67], v[86:87], 0x3f81111111110bb3
	v_cndmask_b32_e64 v17, 0x7ff00000, v65, s7
	s_delay_alu instid0(VALU_DEP_2) | instskip(SKIP_2) | instid1(VALU_DEP_2)
	v_fmac_f64_e32 v[80:81], v[82:83], v[86:87]
	v_fmaak_f64 v[86:87], v[68:69], v[96:97], 0x3ec71de3796cde01
	v_add_f64_e64 v[78:79], -v[74:75], 1.0
	v_fmaak_f64 v[86:87], v[68:69], v[86:87], 0xbf2a01a019e83e5c
	s_delay_alu instid0(VALU_DEP_1) | instskip(NEXT) | instid1(VALU_DEP_1)
	v_fmaak_f64 v[86:87], v[68:69], v[86:87], 0x3f81111111110bb3
	v_fmac_f64_e32 v[90:91], v[92:93], v[86:87]
	v_fmamk_f64 v[86:87], v[66:67], 0xbda907db46cc5e42, v[28:29]
	v_fma_f64 v[80:81], v[66:67], v[80:81], -v[56:57]
	v_fma_f64 v[56:57], v[54:55], -v[56:57], v[70:71]
	s_delay_alu instid0(VALU_DEP_3) | instskip(SKIP_2) | instid1(VALU_DEP_3)
	v_fmaak_f64 v[70:71], v[66:67], v[86:87], 0xbe927e4fa17f65f6
	v_add_f64_e64 v[94:95], -v[78:79], 1.0
	v_mul_f64_e32 v[86:87], v[68:69], v[68:69]
	v_fmaak_f64 v[70:71], v[66:67], v[70:71], 0x3efa01a019f4ec90
	s_delay_alu instid0(VALU_DEP_1) | instskip(NEXT) | instid1(VALU_DEP_1)
	v_fmaak_f64 v[70:71], v[66:67], v[70:71], 0xbf56c16c16c16967
	v_fmaak_f64 v[66:67], v[66:67], v[70:71], 0x3fa5555555555555
	v_fma_f64 v[70:71], v[68:69], v[90:91], -v[60:61]
	v_fmac_f64_e32 v[80:81], 0xbfc5555555555555, v[82:83]
	s_delay_alu instid0(VALU_DEP_3) | instskip(NEXT) | instid1(VALU_DEP_3)
	v_fmac_f64_e32 v[56:57], v[88:89], v[66:67]
	v_fmac_f64_e32 v[70:71], 0xbfc5555555555555, v[92:93]
	s_delay_alu instid0(VALU_DEP_3) | instskip(NEXT) | instid1(VALU_DEP_3)
	v_add_f64_e64 v[54:55], v[54:55], -v[80:81]
	v_add_f64_e32 v[56:57], v[76:77], v[56:57]
	s_delay_alu instid0(VALU_DEP_2) | instskip(NEXT) | instid1(VALU_DEP_2)
	v_xor_b32_e32 v15, 0x80000000, v55
	v_cndmask_b32_e32 v21, v54, v56, vcc_lo
	v_add_f64_e64 v[74:75], v[94:95], -v[74:75]
	v_fmamk_f64 v[94:95], v[68:69], 0xbda907db46cc5e42, v[28:29]
	s_delay_alu instid0(VALU_DEP_4) | instskip(SKIP_2) | instid1(VALU_DEP_2)
	v_cndmask_b32_e32 v14, v15, v57, vcc_lo
	s_and_b32 vcc_lo, s8, s7
	v_xor_b32_e32 v15, v16, v53
	v_bitop3_b32 v52, v14, v52, 0x80000000 bitop3:0x78
	v_cndmask_b32_e64 v14, 0, v21, s6
	v_fma_f64 v[60:61], v[58:59], -v[60:61], v[74:75]
	v_fmaak_f64 v[74:75], v[68:69], v[94:95], 0xbe927e4fa17f65f6
	v_add_f64_e64 v[58:59], v[58:59], -v[70:71]
	s_delay_alu instid0(VALU_DEP_2) | instskip(NEXT) | instid1(VALU_DEP_1)
	v_fmaak_f64 v[66:67], v[68:69], v[74:75], 0x3efa01a019f4ec90
	v_fmaak_f64 v[66:67], v[68:69], v[66:67], 0xbf56c16c16c16967
	s_delay_alu instid0(VALU_DEP_1) | instskip(NEXT) | instid1(VALU_DEP_1)
	v_fmaak_f64 v[66:67], v[68:69], v[66:67], 0x3fa5555555555555
	v_fmac_f64_e32 v[60:61], v[86:87], v[66:67]
	s_delay_alu instid0(VALU_DEP_1) | instskip(NEXT) | instid1(VALU_DEP_1)
	v_add_f64_e32 v[60:61], v[78:79], v[60:61]
	v_cndmask_b32_e64 v53, v61, v59, s9
	s_delay_alu instid0(VALU_DEP_1) | instskip(SKIP_1) | instid1(VALU_DEP_4)
	v_bitop3_b32 v21, v53, v15, 0x80000000 bitop3:0x78
	v_cndmask_b32_e64 v15, 0x7ff80000, v52, s6
	v_dual_cndmask_b32 v52, 0, v64, vcc_lo :: v_dual_cndmask_b32 v16, v60, v58, s9
	v_cndmask_b32_e64 v53, 0, v17, s8
	s_delay_alu instid0(VALU_DEP_4) | instskip(NEXT) | instid1(VALU_DEP_2)
	v_cndmask_b32_e64 v17, 0x7ff80000, v21, s6
	v_dual_mul_f64 v[54:55], v[52:53], v[14:15] :: v_dual_cndmask_b32 v16, 0, v16, s6
	s_delay_alu instid0(VALU_DEP_1)
	v_mul_f64_e32 v[52:53], v[52:53], v[16:17]
                                        ; implicit-def: $vgpr16_vgpr17
.LBB253_77:                             ;   in Loop: Header=BB253_4 Depth=1
	s_and_not1_saveexec_b32 s43, s43
	s_cbranch_execz .LBB253_87
; %bb.78:                               ;   in Loop: Header=BB253_4 Depth=1
	v_cmp_ngt_f64_e64 s6, 0x41d00000, |v[16:17]|
                                        ; implicit-def: $vgpr52
                                        ; implicit-def: $vgpr54_vgpr55
                                        ; implicit-def: $vgpr56_vgpr57
	s_and_saveexec_b32 s7, s6
	s_delay_alu instid0(SALU_CYCLE_1)
	s_xor_b32 s7, exec_lo, s7
	s_cbranch_execz .LBB253_80
; %bb.79:                               ;   in Loop: Header=BB253_4 Depth=1
	v_ldexp_f64 v[54:55], |v[16:17]|, 0xffffff80
	v_cmp_le_f64_e64 vcc_lo, 0x7b000000, |v[16:17]|
	v_trig_preop_f64 v[56:57], |v[16:17]|, 0
	v_and_b32_e32 v21, 0x7fffffff, v17
	v_trig_preop_f64 v[58:59], |v[16:17]|, 1
	v_trig_preop_f64 v[68:69], |v[16:17]|, 2
	s_delay_alu instid0(VALU_DEP_3) | instskip(NEXT) | instid1(VALU_DEP_1)
	v_dual_cndmask_b32 v55, v21, v55 :: v_dual_cndmask_b32 v54, v16, v54
	v_mul_f64_e32 v[60:61], v[56:57], v[54:55]
	s_delay_alu instid0(VALU_DEP_4) | instskip(NEXT) | instid1(VALU_DEP_4)
	v_mul_f64_e32 v[62:63], v[58:59], v[54:55]
	v_mul_f64_e32 v[74:75], v[68:69], v[54:55]
	s_delay_alu instid0(VALU_DEP_3) | instskip(NEXT) | instid1(VALU_DEP_3)
	v_fma_f64 v[56:57], v[56:57], v[54:55], -v[60:61]
	v_fma_f64 v[58:59], v[58:59], v[54:55], -v[62:63]
	s_delay_alu instid0(VALU_DEP_3) | instskip(NEXT) | instid1(VALU_DEP_3)
	v_fma_f64 v[54:55], v[68:69], v[54:55], -v[74:75]
	v_add_f64_e32 v[64:65], v[62:63], v[56:57]
	s_delay_alu instid0(VALU_DEP_1) | instskip(SKIP_1) | instid1(VALU_DEP_2)
	v_add_f64_e64 v[66:67], v[64:65], -v[62:63]
	v_add_f64_e32 v[72:73], v[60:61], v[64:65]
	v_add_f64_e64 v[70:71], v[64:65], -v[66:67]
	v_add_f64_e64 v[56:57], v[56:57], -v[66:67]
	s_delay_alu instid0(VALU_DEP_3) | instskip(NEXT) | instid1(VALU_DEP_3)
	v_ldexp_f64 v[66:67], v[72:73], -2
	v_add_f64_e64 v[62:63], v[62:63], -v[70:71]
	v_add_f64_e32 v[70:71], v[74:75], v[58:59]
	s_delay_alu instid0(VALU_DEP_3) | instskip(NEXT) | instid1(VALU_DEP_3)
	v_cmp_neq_f64_e64 vcc_lo, 0x7ff00000, |v[66:67]|
	v_add_f64_e32 v[56:57], v[56:57], v[62:63]
	v_fract_f64_e32 v[62:63], v[66:67]
	s_delay_alu instid0(VALU_DEP_1) | instskip(NEXT) | instid1(VALU_DEP_1)
	v_ldexp_f64 v[62:63], v[62:63], 2
	v_dual_add_f64 v[60:61], v[72:73], -v[60:61] :: v_dual_cndmask_b32 v62, 0, v62, vcc_lo
	s_delay_alu instid0(VALU_DEP_1) | instskip(SKIP_1) | instid1(VALU_DEP_1)
	v_dual_add_f64 v[60:61], v[64:65], -v[60:61] :: v_dual_cndmask_b32 v63, 0, v63, vcc_lo
	v_add_f64_e32 v[64:65], v[70:71], v[56:57]
	v_add_f64_e32 v[66:67], v[60:61], v[64:65]
	v_add_f64_e64 v[76:77], v[64:65], -v[70:71]
	s_delay_alu instid0(VALU_DEP_2) | instskip(NEXT) | instid1(VALU_DEP_2)
	v_add_f64_e32 v[72:73], v[66:67], v[62:63]
	v_add_f64_e64 v[82:83], v[64:65], -v[76:77]
	v_add_f64_e64 v[56:57], v[56:57], -v[76:77]
	;; [unrolled: 1-line block ×3, first 2 shown]
	s_delay_alu instid0(VALU_DEP_4) | instskip(SKIP_1) | instid1(VALU_DEP_3)
	v_cmp_gt_f64_e32 vcc_lo, 0, v[72:73]
	v_add_f64_e64 v[72:73], v[70:71], -v[74:75]
	v_add_f64_e64 v[60:61], v[64:65], -v[60:61]
	v_cndmask_b32_e64 v21, 0, 0x40100000, vcc_lo
	s_delay_alu instid0(VALU_DEP_3) | instskip(SKIP_2) | instid1(VALU_DEP_4)
	v_add_f64_e64 v[80:81], v[70:71], -v[72:73]
	v_add_f64_e64 v[58:59], v[58:59], -v[72:73]
	;; [unrolled: 1-line block ×3, first 2 shown]
	v_add_f64_e32 v[62:63], v[62:63], v[20:21]
	s_delay_alu instid0(VALU_DEP_4) | instskip(NEXT) | instid1(VALU_DEP_3)
	v_add_f64_e64 v[72:73], v[74:75], -v[80:81]
	v_add_f64_e32 v[56:57], v[56:57], v[70:71]
	s_delay_alu instid0(VALU_DEP_3) | instskip(NEXT) | instid1(VALU_DEP_3)
	v_add_f64_e32 v[78:79], v[66:67], v[62:63]
	v_add_f64_e32 v[58:59], v[58:59], v[72:73]
	s_delay_alu instid0(VALU_DEP_2) | instskip(NEXT) | instid1(VALU_DEP_2)
	v_cvt_i32_f64_e32 v21, v[78:79]
	v_add_f64_e32 v[56:57], v[58:59], v[56:57]
	s_delay_alu instid0(VALU_DEP_2) | instskip(NEXT) | instid1(VALU_DEP_2)
	v_cvt_f64_i32_e32 v[76:77], v21
	v_add_f64_e32 v[54:55], v[54:55], v[56:57]
	s_delay_alu instid0(VALU_DEP_2) | instskip(NEXT) | instid1(VALU_DEP_2)
	v_add_f64_e64 v[62:63], v[62:63], -v[76:77]
	v_add_f64_e32 v[54:55], v[60:61], v[54:55]
	s_delay_alu instid0(VALU_DEP_2) | instskip(NEXT) | instid1(VALU_DEP_1)
	v_add_f64_e32 v[58:59], v[66:67], v[62:63]
	v_add_f64_e64 v[56:57], v[58:59], -v[62:63]
	v_cmp_le_f64_e32 vcc_lo, 0.5, v[58:59]
	s_delay_alu instid0(VALU_DEP_2) | instskip(SKIP_2) | instid1(VALU_DEP_3)
	v_add_f64_e64 v[56:57], v[66:67], -v[56:57]
	v_add_co_ci_u32_e64 v52, null, 0, v21, vcc_lo
	v_cndmask_b32_e64 v21, 0, 0x3ff00000, vcc_lo
	v_add_f64_e32 v[54:55], v[54:55], v[56:57]
	s_delay_alu instid0(VALU_DEP_2) | instskip(NEXT) | instid1(VALU_DEP_1)
	v_add_f64_e64 v[56:57], v[58:59], -v[20:21]
	v_add_f64_e32 v[58:59], v[56:57], v[54:55]
	s_delay_alu instid0(VALU_DEP_1) | instskip(SKIP_1) | instid1(VALU_DEP_2)
	v_mul_f64_e32 v[60:61], 0x3ff921fb54442d18, v[58:59]
	v_add_f64_e64 v[56:57], v[58:59], -v[56:57]
	v_fma_f64 v[62:63], v[58:59], s[22:23], -v[60:61]
	s_delay_alu instid0(VALU_DEP_2) | instskip(NEXT) | instid1(VALU_DEP_2)
	v_add_f64_e64 v[54:55], v[54:55], -v[56:57]
	v_fmac_f64_e32 v[62:63], 0x3c91a62633145c07, v[58:59]
	s_delay_alu instid0(VALU_DEP_1) | instskip(NEXT) | instid1(VALU_DEP_1)
	v_fmac_f64_e32 v[62:63], 0x3ff921fb54442d18, v[54:55]
	v_add_f64_e32 v[54:55], v[60:61], v[62:63]
	s_delay_alu instid0(VALU_DEP_1) | instskip(NEXT) | instid1(VALU_DEP_1)
	v_add_f64_e64 v[56:57], v[54:55], -v[60:61]
	v_add_f64_e64 v[56:57], v[62:63], -v[56:57]
	s_and_not1_saveexec_b32 s7, s7
	s_cbranch_execz .LBB253_82
	s_branch .LBB253_81
.LBB253_80:                             ;   in Loop: Header=BB253_4 Depth=1
	s_and_not1_saveexec_b32 s7, s7
	s_cbranch_execz .LBB253_82
.LBB253_81:                             ;   in Loop: Header=BB253_4 Depth=1
	v_mul_f64_e64 v[54:55], |v[16:17]|, s[24:25]
	s_delay_alu instid0(VALU_DEP_1) | instskip(NEXT) | instid1(VALU_DEP_1)
	v_rndne_f64_e32 v[58:59], v[54:55]
	v_fma_f64 v[54:55], v[58:59], s[26:27], |v[16:17]|
	v_mul_f64_e32 v[56:57], 0xbc91a62633145c00, v[58:59]
	v_cvt_i32_f64_e32 v52, v[58:59]
	s_delay_alu instid0(VALU_DEP_3) | instskip(NEXT) | instid1(VALU_DEP_3)
	v_fmamk_f64 v[64:65], v[58:59], 0xbc91a62633145c00, v[54:55]
	v_add_f64_e32 v[60:61], v[54:55], v[56:57]
	s_delay_alu instid0(VALU_DEP_1) | instskip(NEXT) | instid1(VALU_DEP_3)
	v_add_f64_e64 v[62:63], v[54:55], -v[60:61]
	v_add_f64_e64 v[54:55], v[60:61], -v[64:65]
	s_delay_alu instid0(VALU_DEP_2) | instskip(SKIP_1) | instid1(VALU_DEP_2)
	v_add_f64_e32 v[60:61], v[62:63], v[56:57]
	v_fmamk_f64 v[56:57], v[58:59], 0x3c91a62633145c00, v[56:57]
	v_add_f64_e32 v[54:55], v[54:55], v[60:61]
	s_delay_alu instid0(VALU_DEP_1) | instskip(NEXT) | instid1(VALU_DEP_1)
	v_add_f64_e64 v[56:57], v[54:55], -v[56:57]
	v_fmac_f64_e32 v[56:57], 0xb97b839a252049c0, v[58:59]
	s_delay_alu instid0(VALU_DEP_1) | instskip(NEXT) | instid1(VALU_DEP_1)
	v_add_f64_e32 v[54:55], v[64:65], v[56:57]
	v_add_f64_e64 v[60:61], v[54:55], -v[64:65]
	s_delay_alu instid0(VALU_DEP_1)
	v_add_f64_e64 v[56:57], v[56:57], -v[60:61]
.LBB253_82:                             ;   in Loop: Header=BB253_4 Depth=1
	s_or_b32 exec_lo, exec_lo, s7
                                        ; implicit-def: $vgpr62
                                        ; implicit-def: $vgpr58_vgpr59
                                        ; implicit-def: $vgpr60_vgpr61
	s_and_saveexec_b32 s7, s6
	s_delay_alu instid0(SALU_CYCLE_1)
	s_xor_b32 s6, exec_lo, s7
	s_cbranch_execz .LBB253_84
; %bb.83:                               ;   in Loop: Header=BB253_4 Depth=1
	v_ldexp_f64 v[58:59], |v[16:17]|, 0xffffff80
	v_cmp_le_f64_e64 vcc_lo, 0x7b000000, |v[16:17]|
	v_trig_preop_f64 v[60:61], |v[16:17]|, 0
	v_and_b32_e32 v21, 0x7fffffff, v17
	v_trig_preop_f64 v[62:63], |v[16:17]|, 1
	v_trig_preop_f64 v[72:73], |v[16:17]|, 2
	s_delay_alu instid0(VALU_DEP_3) | instskip(NEXT) | instid1(VALU_DEP_1)
	v_dual_cndmask_b32 v59, v21, v59 :: v_dual_cndmask_b32 v58, v16, v58
	v_mul_f64_e32 v[64:65], v[60:61], v[58:59]
	s_delay_alu instid0(VALU_DEP_4) | instskip(NEXT) | instid1(VALU_DEP_4)
	v_mul_f64_e32 v[66:67], v[62:63], v[58:59]
	v_mul_f64_e32 v[78:79], v[72:73], v[58:59]
	s_delay_alu instid0(VALU_DEP_3) | instskip(NEXT) | instid1(VALU_DEP_3)
	v_fma_f64 v[60:61], v[60:61], v[58:59], -v[64:65]
	v_fma_f64 v[62:63], v[62:63], v[58:59], -v[66:67]
	s_delay_alu instid0(VALU_DEP_3) | instskip(NEXT) | instid1(VALU_DEP_3)
	v_fma_f64 v[58:59], v[72:73], v[58:59], -v[78:79]
	v_add_f64_e32 v[68:69], v[66:67], v[60:61]
	s_delay_alu instid0(VALU_DEP_1) | instskip(SKIP_1) | instid1(VALU_DEP_2)
	v_add_f64_e64 v[70:71], v[68:69], -v[66:67]
	v_add_f64_e32 v[76:77], v[64:65], v[68:69]
	v_add_f64_e64 v[74:75], v[68:69], -v[70:71]
	v_add_f64_e64 v[60:61], v[60:61], -v[70:71]
	s_delay_alu instid0(VALU_DEP_3) | instskip(NEXT) | instid1(VALU_DEP_3)
	v_ldexp_f64 v[70:71], v[76:77], -2
	v_add_f64_e64 v[66:67], v[66:67], -v[74:75]
	v_add_f64_e32 v[74:75], v[78:79], v[62:63]
	s_delay_alu instid0(VALU_DEP_3) | instskip(NEXT) | instid1(VALU_DEP_3)
	v_cmp_neq_f64_e64 vcc_lo, 0x7ff00000, |v[70:71]|
	v_add_f64_e32 v[60:61], v[60:61], v[66:67]
	v_fract_f64_e32 v[66:67], v[70:71]
	s_delay_alu instid0(VALU_DEP_1) | instskip(NEXT) | instid1(VALU_DEP_1)
	v_ldexp_f64 v[66:67], v[66:67], 2
	v_dual_add_f64 v[64:65], v[76:77], -v[64:65] :: v_dual_cndmask_b32 v66, 0, v66, vcc_lo
	s_delay_alu instid0(VALU_DEP_1) | instskip(SKIP_1) | instid1(VALU_DEP_1)
	v_dual_add_f64 v[64:65], v[68:69], -v[64:65] :: v_dual_cndmask_b32 v67, 0, v67, vcc_lo
	v_add_f64_e32 v[68:69], v[74:75], v[60:61]
	v_add_f64_e32 v[70:71], v[64:65], v[68:69]
	v_add_f64_e64 v[80:81], v[68:69], -v[74:75]
	s_delay_alu instid0(VALU_DEP_2) | instskip(NEXT) | instid1(VALU_DEP_2)
	v_add_f64_e32 v[76:77], v[70:71], v[66:67]
	v_add_f64_e64 v[86:87], v[68:69], -v[80:81]
	v_add_f64_e64 v[60:61], v[60:61], -v[80:81]
	v_add_f64_e64 v[64:65], v[70:71], -v[64:65]
	s_delay_alu instid0(VALU_DEP_4) | instskip(SKIP_2) | instid1(VALU_DEP_2)
	v_cmp_gt_f64_e32 vcc_lo, 0, v[76:77]
	v_add_f64_e64 v[76:77], v[74:75], -v[78:79]
	v_cndmask_b32_e64 v21, 0, 0x40100000, vcc_lo
	v_add_f64_e64 v[84:85], v[74:75], -v[76:77]
	v_add_f64_e64 v[62:63], v[62:63], -v[76:77]
	;; [unrolled: 1-line block ×3, first 2 shown]
	s_delay_alu instid0(VALU_DEP_4) | instskip(NEXT) | instid1(VALU_DEP_4)
	v_add_f64_e32 v[66:67], v[66:67], v[20:21]
	v_add_f64_e64 v[76:77], v[78:79], -v[84:85]
	s_delay_alu instid0(VALU_DEP_3) | instskip(NEXT) | instid1(VALU_DEP_3)
	v_add_f64_e32 v[60:61], v[60:61], v[74:75]
	v_add_f64_e32 v[82:83], v[70:71], v[66:67]
	s_delay_alu instid0(VALU_DEP_3) | instskip(NEXT) | instid1(VALU_DEP_2)
	v_add_f64_e32 v[62:63], v[62:63], v[76:77]
	v_cvt_i32_f64_e32 v21, v[82:83]
	s_delay_alu instid0(VALU_DEP_2) | instskip(SKIP_1) | instid1(VALU_DEP_3)
	v_add_f64_e32 v[60:61], v[62:63], v[60:61]
	v_add_f64_e64 v[62:63], v[68:69], -v[64:65]
	v_cvt_f64_i32_e32 v[80:81], v21
	s_delay_alu instid0(VALU_DEP_3) | instskip(NEXT) | instid1(VALU_DEP_2)
	v_add_f64_e32 v[58:59], v[58:59], v[60:61]
	v_add_f64_e64 v[66:67], v[66:67], -v[80:81]
	s_delay_alu instid0(VALU_DEP_2) | instskip(NEXT) | instid1(VALU_DEP_2)
	v_add_f64_e32 v[58:59], v[62:63], v[58:59]
	v_add_f64_e32 v[72:73], v[70:71], v[66:67]
	s_delay_alu instid0(VALU_DEP_1) | instskip(SKIP_1) | instid1(VALU_DEP_2)
	v_add_f64_e64 v[60:61], v[72:73], -v[66:67]
	v_cmp_le_f64_e32 vcc_lo, 0.5, v[72:73]
	v_add_f64_e64 v[60:61], v[70:71], -v[60:61]
	v_add_co_ci_u32_e64 v62, null, 0, v21, vcc_lo
	v_cndmask_b32_e64 v21, 0, 0x3ff00000, vcc_lo
	s_delay_alu instid0(VALU_DEP_3) | instskip(NEXT) | instid1(VALU_DEP_2)
	v_add_f64_e32 v[58:59], v[58:59], v[60:61]
	v_add_f64_e64 v[60:61], v[72:73], -v[20:21]
	s_delay_alu instid0(VALU_DEP_1) | instskip(NEXT) | instid1(VALU_DEP_1)
	v_add_f64_e32 v[64:65], v[60:61], v[58:59]
	v_mul_f64_e32 v[66:67], 0x3ff921fb54442d18, v[64:65]
	v_add_f64_e64 v[60:61], v[64:65], -v[60:61]
	s_delay_alu instid0(VALU_DEP_2) | instskip(NEXT) | instid1(VALU_DEP_2)
	v_fma_f64 v[68:69], v[64:65], s[22:23], -v[66:67]
	v_add_f64_e64 v[58:59], v[58:59], -v[60:61]
	s_delay_alu instid0(VALU_DEP_2) | instskip(NEXT) | instid1(VALU_DEP_1)
	v_fmac_f64_e32 v[68:69], 0x3c91a62633145c07, v[64:65]
	v_fmac_f64_e32 v[68:69], 0x3ff921fb54442d18, v[58:59]
	s_delay_alu instid0(VALU_DEP_1) | instskip(NEXT) | instid1(VALU_DEP_1)
	v_add_f64_e32 v[58:59], v[66:67], v[68:69]
	v_add_f64_e64 v[60:61], v[58:59], -v[66:67]
	s_delay_alu instid0(VALU_DEP_1)
	v_add_f64_e64 v[60:61], v[68:69], -v[60:61]
	s_and_not1_saveexec_b32 s6, s6
	s_cbranch_execnz .LBB253_85
	s_branch .LBB253_86
.LBB253_84:                             ;   in Loop: Header=BB253_4 Depth=1
	s_and_not1_saveexec_b32 s6, s6
	s_cbranch_execz .LBB253_86
.LBB253_85:                             ;   in Loop: Header=BB253_4 Depth=1
	v_mul_f64_e64 v[58:59], |v[16:17]|, s[24:25]
	s_delay_alu instid0(VALU_DEP_1) | instskip(NEXT) | instid1(VALU_DEP_1)
	v_rndne_f64_e32 v[62:63], v[58:59]
	v_fma_f64 v[58:59], v[62:63], s[26:27], |v[16:17]|
	v_mul_f64_e32 v[60:61], 0xbc91a62633145c00, v[62:63]
	s_delay_alu instid0(VALU_DEP_2) | instskip(NEXT) | instid1(VALU_DEP_2)
	v_fmamk_f64 v[68:69], v[62:63], 0xbc91a62633145c00, v[58:59]
	v_add_f64_e32 v[64:65], v[58:59], v[60:61]
	s_delay_alu instid0(VALU_DEP_1) | instskip(NEXT) | instid1(VALU_DEP_3)
	v_add_f64_e64 v[66:67], v[58:59], -v[64:65]
	v_add_f64_e64 v[58:59], v[64:65], -v[68:69]
	s_delay_alu instid0(VALU_DEP_2) | instskip(SKIP_1) | instid1(VALU_DEP_2)
	v_add_f64_e32 v[64:65], v[66:67], v[60:61]
	v_fmamk_f64 v[60:61], v[62:63], 0x3c91a62633145c00, v[60:61]
	v_add_f64_e32 v[58:59], v[58:59], v[64:65]
	s_delay_alu instid0(VALU_DEP_1) | instskip(NEXT) | instid1(VALU_DEP_1)
	v_add_f64_e64 v[60:61], v[58:59], -v[60:61]
	v_fmac_f64_e32 v[60:61], 0xb97b839a252049c0, v[62:63]
	v_cvt_i32_f64_e32 v62, v[62:63]
	s_delay_alu instid0(VALU_DEP_2) | instskip(NEXT) | instid1(VALU_DEP_1)
	v_add_f64_e32 v[58:59], v[68:69], v[60:61]
	v_add_f64_e64 v[64:65], v[58:59], -v[68:69]
	s_delay_alu instid0(VALU_DEP_1)
	v_add_f64_e64 v[60:61], v[60:61], -v[64:65]
.LBB253_86:                             ;   in Loop: Header=BB253_4 Depth=1
	s_or_b32 exec_lo, exec_lo, s6
	v_add_f64_e64 v[14:15], -v[14:15], s[36:37]
	v_mul_f64_e32 v[66:67], v[54:55], v[54:55]
	v_mul_f64_e32 v[68:69], v[58:59], v[58:59]
	s_delay_alu instid0(VALU_DEP_4)
	v_mul_f64_e32 v[80:81], 0.5, v[56:57]
	v_cmp_class_f64_e64 s6, v[16:17], 0x1f8
	v_lshlrev_b32_e32 v17, 30, v62
	v_mul_f64_e32 v[64:65], 0x3ff71547652b82fe, v[14:15]
	v_mul_f64_e32 v[70:71], 0.5, v[66:67]
	v_cmp_nlt_f64_e64 s7, 0x40900000, v[14:15]
	v_cmp_ngt_f64_e64 s8, 0xc090cc00, v[14:15]
	s_delay_alu instid0(VALU_DEP_4) | instskip(NEXT) | instid1(VALU_DEP_4)
	v_rndne_f64_e32 v[64:65], v[64:65]
	v_add_f64_e64 v[76:77], -v[70:71], 1.0
	s_delay_alu instid0(VALU_DEP_2) | instskip(NEXT) | instid1(VALU_DEP_2)
	v_fmamk_f64 v[74:75], v[64:65], 0xbfe62e42fefa39ef, v[14:15]
	v_add_f64_e64 v[84:85], -v[76:77], 1.0
	v_cvt_i32_f64_e32 v21, v[64:65]
	v_and_b32_e32 v14, 1, v62
	s_delay_alu instid0(VALU_DEP_4) | instskip(NEXT) | instid1(VALU_DEP_2)
	v_fmac_f64_e32 v[74:75], 0xbc7abc9e3b39803f, v[64:65]
	v_cmp_eq_u32_e64 s9, 0, v14
	v_mul_f64_e32 v[90:91], 0.5, v[60:61]
	v_add_f64_e64 v[70:71], v[84:85], -v[70:71]
	s_delay_alu instid0(VALU_DEP_4) | instskip(NEXT) | instid1(VALU_DEP_1)
	v_fmamk_f64 v[88:89], v[74:75], 0x3e5ade156a5dcb37, v[26:27]
	v_fmaak_f64 v[88:89], v[74:75], v[88:89], 0x3ec71dee623fde64
	s_delay_alu instid0(VALU_DEP_1) | instskip(NEXT) | instid1(VALU_DEP_1)
	v_fmaak_f64 v[88:89], v[74:75], v[88:89], 0x3efa01997c89e6b0
	v_fmaak_f64 v[88:89], v[74:75], v[88:89], 0x3f2a01a014761f6e
	s_delay_alu instid0(VALU_DEP_1) | instskip(NEXT) | instid1(VALU_DEP_1)
	v_fmaak_f64 v[84:85], v[74:75], v[88:89], 0x3f56c16c1852b7b0
	;; [unrolled: 3-line block ×4, first 2 shown]
	v_fma_f64 v[84:85], v[74:75], v[84:85], 1.0
	s_delay_alu instid0(VALU_DEP_1) | instskip(NEXT) | instid1(VALU_DEP_1)
	v_fma_f64 v[64:65], v[74:75], v[84:85], 1.0
	v_ldexp_f64 v[64:65], v[64:65], v21
	v_dual_mul_f64 v[82:83], v[54:55], -v[66:67] :: v_dual_bitop2_b32 v21, 1, v52 bitop3:0x40
	v_fmamk_f64 v[86:87], v[66:67], 0x3de5e0b2f9a43bb8, v[42:43]
	v_lshlrev_b32_e32 v52, 30, v52
	v_mul_f64_e32 v[72:73], 0.5, v[68:69]
	v_mul_f64_e64 v[92:93], v[58:59], -v[68:69]
	v_fmamk_f64 v[96:97], v[68:69], 0x3de5e0b2f9a43bb8, v[42:43]
	v_cmp_eq_u32_e32 vcc_lo, 0, v21
	v_fmaak_f64 v[86:87], v[66:67], v[86:87], 0x3ec71de3796cde01
	s_delay_alu instid0(VALU_DEP_1) | instskip(NEXT) | instid1(VALU_DEP_1)
	v_fmaak_f64 v[86:87], v[66:67], v[86:87], 0xbf2a01a019e83e5c
	v_fmaak_f64 v[86:87], v[66:67], v[86:87], 0x3f81111111110bb3
	v_cndmask_b32_e64 v16, 0x7ff00000, v65, s7
	v_mul_f64_e32 v[88:89], v[66:67], v[66:67]
	s_delay_alu instid0(VALU_DEP_3) | instskip(SKIP_2) | instid1(VALU_DEP_2)
	v_fmac_f64_e32 v[80:81], v[82:83], v[86:87]
	v_fmaak_f64 v[86:87], v[68:69], v[96:97], 0x3ec71de3796cde01
	v_add_f64_e64 v[78:79], -v[72:73], 1.0
	v_fmaak_f64 v[86:87], v[68:69], v[86:87], 0xbf2a01a019e83e5c
	s_delay_alu instid0(VALU_DEP_1) | instskip(NEXT) | instid1(VALU_DEP_1)
	v_fmaak_f64 v[86:87], v[68:69], v[86:87], 0x3f81111111110bb3
	v_fmac_f64_e32 v[90:91], v[92:93], v[86:87]
	v_fmamk_f64 v[86:87], v[66:67], 0xbda907db46cc5e42, v[28:29]
	v_fma_f64 v[80:81], v[66:67], v[80:81], -v[56:57]
	v_fma_f64 v[56:57], v[54:55], -v[56:57], v[70:71]
	s_delay_alu instid0(VALU_DEP_3) | instskip(SKIP_2) | instid1(VALU_DEP_3)
	v_fmaak_f64 v[70:71], v[66:67], v[86:87], 0xbe927e4fa17f65f6
	v_add_f64_e64 v[94:95], -v[78:79], 1.0
	v_mul_f64_e32 v[86:87], v[68:69], v[68:69]
	v_fmaak_f64 v[70:71], v[66:67], v[70:71], 0x3efa01a019f4ec90
	s_delay_alu instid0(VALU_DEP_1) | instskip(NEXT) | instid1(VALU_DEP_1)
	v_fmaak_f64 v[70:71], v[66:67], v[70:71], 0xbf56c16c16c16967
	v_fmaak_f64 v[66:67], v[66:67], v[70:71], 0x3fa5555555555555
	v_fmac_f64_e32 v[80:81], 0xbfc5555555555555, v[82:83]
	s_delay_alu instid0(VALU_DEP_2) | instskip(NEXT) | instid1(VALU_DEP_2)
	v_fmac_f64_e32 v[56:57], v[88:89], v[66:67]
	v_add_f64_e64 v[54:55], v[54:55], -v[80:81]
	s_delay_alu instid0(VALU_DEP_2) | instskip(NEXT) | instid1(VALU_DEP_2)
	v_add_f64_e32 v[56:57], v[76:77], v[56:57]
	v_xor_b32_e32 v15, 0x80000000, v55
	s_delay_alu instid0(VALU_DEP_2)
	v_cndmask_b32_e32 v21, v54, v56, vcc_lo
	v_cndmask_b32_e64 v54, 0, v16, s8
	v_add_f64_e64 v[72:73], v[94:95], -v[72:73]
	v_fmamk_f64 v[94:95], v[68:69], 0xbda907db46cc5e42, v[28:29]
	v_dual_fma_f64 v[70:71], v[68:69], v[90:91], -v[60:61] :: v_dual_cndmask_b32 v14, v15, v57, vcc_lo
	v_xor_b32_e32 v15, v17, v53
	s_and_b32 vcc_lo, s8, s7
	s_delay_alu instid0(VALU_DEP_2) | instskip(SKIP_4) | instid1(VALU_DEP_2)
	v_bitop3_b32 v52, v14, v52, 0x80000000 bitop3:0x78
	v_cndmask_b32_e64 v14, 0, v21, s6
	v_fma_f64 v[60:61], v[58:59], -v[60:61], v[72:73]
	v_fmaak_f64 v[72:73], v[68:69], v[94:95], 0xbe927e4fa17f65f6
	v_fmac_f64_e32 v[70:71], 0xbfc5555555555555, v[92:93]
	v_fmaak_f64 v[66:67], v[68:69], v[72:73], 0x3efa01a019f4ec90
	s_delay_alu instid0(VALU_DEP_1) | instskip(NEXT) | instid1(VALU_DEP_1)
	v_fmaak_f64 v[66:67], v[68:69], v[66:67], 0xbf56c16c16c16967
	v_fmaak_f64 v[66:67], v[68:69], v[66:67], 0x3fa5555555555555
	s_delay_alu instid0(VALU_DEP_1) | instskip(SKIP_1) | instid1(VALU_DEP_2)
	v_fmac_f64_e32 v[60:61], v[86:87], v[66:67]
	v_add_f64_e64 v[58:59], v[58:59], -v[70:71]
	v_add_f64_e32 v[60:61], v[78:79], v[60:61]
	s_delay_alu instid0(VALU_DEP_1) | instskip(NEXT) | instid1(VALU_DEP_1)
	v_cndmask_b32_e64 v17, v60, v58, s9
	v_dual_cndmask_b32 v16, 0, v17, s6 :: v_dual_cndmask_b32 v53, v61, v59, s9
	s_delay_alu instid0(VALU_DEP_1) | instskip(SKIP_3) | instid1(VALU_DEP_4)
	v_bitop3_b32 v21, v53, v15, 0x80000000 bitop3:0x78
	v_cndmask_b32_e64 v15, 0x7ff80000, v52, s6
	v_and_or_b32 v53, v54, s33, 0x7fe00000
	v_cndmask_b32_e32 v52, 0, v64, vcc_lo
	v_cndmask_b32_e64 v17, 0x7ff80000, v21, s6
	v_lshrrev_b32_e32 v21, 20, v54
	s_delay_alu instid0(VALU_DEP_3) | instskip(NEXT) | instid1(VALU_DEP_3)
	v_mul_f64_e32 v[14:15], v[52:53], v[14:15]
	v_mul_f64_e32 v[16:17], v[52:53], v[16:17]
	s_delay_alu instid0(VALU_DEP_3) | instskip(NEXT) | instid1(VALU_DEP_1)
	v_add_nc_u32_e32 v52, 0xffffff09, v21
	v_lshrrev_b16 v21, 15, v52
	s_delay_alu instid0(VALU_DEP_1) | instskip(NEXT) | instid1(VALU_DEP_1)
	v_add_nc_u16 v21, v52, v21
	v_ashrrev_i16 v21, 1, v21
	s_delay_alu instid0(VALU_DEP_1) | instskip(NEXT) | instid1(VALU_DEP_1)
	v_bfe_i32 v53, v21, 0, 16
	v_lshl_add_u32 v21, v53, 20, 0x3ff00000
	s_delay_alu instid0(VALU_DEP_1) | instskip(SKIP_3) | instid1(VALU_DEP_2)
	v_mul_f64_e32 v[14:15], v[14:15], v[20:21]
	v_mul_f64_e32 v[16:17], v[16:17], v[20:21]
	v_sub_nc_u32_e32 v21, v52, v53
	v_mov_b32_e32 v52, v20
	v_lshl_add_u32 v53, v21, 20, 0x3ff00000
	s_delay_alu instid0(VALU_DEP_1)
	v_mul_f64_e32 v[54:55], v[14:15], v[52:53]
	v_mul_f64_e32 v[52:53], v[16:17], v[52:53]
.LBB253_87:                             ;   in Loop: Header=BB253_4 Depth=1
	s_or_b32 exec_lo, exec_lo, s43
                                        ; implicit-def: $vgpr56_vgpr57
                                        ; implicit-def: $vgpr14_vgpr15
                                        ; implicit-def: $vgpr21
.LBB253_88:                             ;   in Loop: Header=BB253_4 Depth=1
	s_and_not1_saveexec_b32 s7, s42
	s_cbranch_execz .LBB253_94
; %bb.89:                               ;   in Loop: Header=BB253_4 Depth=1
	v_add_f64_e64 v[52:53], v[16:17], -v[16:17]
	v_cmp_ne_u32_e32 vcc_lo, 0, v14
	v_cmp_ne_u32_e64 s6, 0x7ff00000, v21
	s_or_b32 s6, vcc_lo, s6
	s_delay_alu instid0(SALU_CYCLE_1) | instskip(NEXT) | instid1(SALU_CYCLE_1)
	s_and_saveexec_b32 s8, s6
	s_xor_b32 s6, exec_lo, s8
; %bb.90:                               ;   in Loop: Header=BB253_4 Depth=1
                                        ; implicit-def: $vgpr56_vgpr57
                                        ; implicit-def: $vgpr14_vgpr15
; %bb.91:                               ;   in Loop: Header=BB253_4 Depth=1
	s_delay_alu instid0(SALU_CYCLE_1)
	s_or_saveexec_b32 s6, s6
	v_mov_b64_e32 v[54:55], v[52:53]
	s_xor_b32 exec_lo, exec_lo, s6
; %bb.92:                               ;   in Loop: Header=BB253_4 Depth=1
	v_cmp_lt_i64_e32 vcc_lo, -1, v[56:57]
	v_dual_cndmask_b32 v55, 0, v57 :: v_dual_cndmask_b32 v54, 0, v14
	v_dual_cndmask_b32 v53, 0, v53 :: v_dual_cndmask_b32 v52, 0, v52
; %bb.93:                               ;   in Loop: Header=BB253_4 Depth=1
	s_or_b32 exec_lo, exec_lo, s6
.LBB253_94:                             ;   in Loop: Header=BB253_4 Depth=1
	s_delay_alu instid0(SALU_CYCLE_1)
	s_or_b32 exec_lo, exec_lo, s7
                                        ; implicit-def: $vgpr16_vgpr17
.LBB253_95:                             ;   in Loop: Header=BB253_4 Depth=1
	s_and_not1_saveexec_b32 s8, s41
	s_cbranch_execz .LBB253_105
; %bb.96:                               ;   in Loop: Header=BB253_4 Depth=1
	v_cmp_ngt_f64_e64 s6, 0x41d00000, |v[16:17]|
	v_trig_preop_f64 v[60:61], |v[16:17]|, 0
	v_trig_preop_f64 v[58:59], |v[16:17]|, 1
	v_ldexp_f64 v[62:63], |v[16:17]|, 0xffffff80
	v_trig_preop_f64 v[56:57], |v[16:17]|, 2
	v_and_b32_e32 v70, 0x7fffffff, v17
                                        ; implicit-def: $vgpr52
                                        ; implicit-def: $vgpr14_vgpr15
                                        ; implicit-def: $vgpr54_vgpr55
	s_and_saveexec_b32 s7, s6
	s_delay_alu instid0(SALU_CYCLE_1)
	s_xor_b32 s7, exec_lo, s7
	s_cbranch_execz .LBB253_98
; %bb.97:                               ;   in Loop: Header=BB253_4 Depth=1
	v_cmp_le_f64_e64 vcc_lo, 0x7b000000, |v[16:17]|
	s_delay_alu instid0(VALU_DEP_4) | instskip(NEXT) | instid1(VALU_DEP_1)
	v_dual_cndmask_b32 v15, v70, v63 :: v_dual_cndmask_b32 v14, v16, v62
	v_mul_f64_e32 v[54:55], v[60:61], v[14:15]
	v_mul_f64_e32 v[64:65], v[58:59], v[14:15]
	;; [unrolled: 1-line block ×3, first 2 shown]
	s_delay_alu instid0(VALU_DEP_3) | instskip(NEXT) | instid1(VALU_DEP_3)
	v_fma_f64 v[66:67], v[60:61], v[14:15], -v[54:55]
	v_fma_f64 v[80:81], v[58:59], v[14:15], -v[64:65]
	s_delay_alu instid0(VALU_DEP_3) | instskip(NEXT) | instid1(VALU_DEP_3)
	v_fma_f64 v[14:15], v[56:57], v[14:15], -v[78:79]
	v_add_f64_e32 v[68:69], v[64:65], v[66:67]
	s_delay_alu instid0(VALU_DEP_1) | instskip(SKIP_1) | instid1(VALU_DEP_2)
	v_add_f64_e64 v[72:73], v[68:69], -v[64:65]
	v_add_f64_e32 v[76:77], v[54:55], v[68:69]
	v_add_f64_e64 v[74:75], v[68:69], -v[72:73]
	v_add_f64_e64 v[66:67], v[66:67], -v[72:73]
	s_delay_alu instid0(VALU_DEP_3) | instskip(SKIP_1) | instid1(VALU_DEP_4)
	v_ldexp_f64 v[72:73], v[76:77], -2
	v_add_f64_e64 v[54:55], v[76:77], -v[54:55]
	v_add_f64_e64 v[64:65], v[64:65], -v[74:75]
	v_add_f64_e32 v[74:75], v[78:79], v[80:81]
	s_delay_alu instid0(VALU_DEP_4) | instskip(NEXT) | instid1(VALU_DEP_4)
	v_cmp_neq_f64_e64 vcc_lo, 0x7ff00000, |v[72:73]|
	v_add_f64_e64 v[54:55], v[68:69], -v[54:55]
	s_delay_alu instid0(VALU_DEP_4) | instskip(SKIP_1) | instid1(VALU_DEP_2)
	v_add_f64_e32 v[64:65], v[66:67], v[64:65]
	v_fract_f64_e32 v[66:67], v[72:73]
	v_add_f64_e32 v[68:69], v[74:75], v[64:65]
	s_delay_alu instid0(VALU_DEP_2) | instskip(NEXT) | instid1(VALU_DEP_1)
	v_ldexp_f64 v[66:67], v[66:67], 2
	v_dual_add_f64 v[72:73], v[54:55], v[68:69] :: v_dual_cndmask_b32 v67, 0, v67, vcc_lo
	s_delay_alu instid0(VALU_DEP_2) | instskip(SKIP_1) | instid1(VALU_DEP_2)
	v_cndmask_b32_e32 v66, 0, v66, vcc_lo
	v_add_f64_e64 v[82:83], v[68:69], -v[74:75]
	v_add_f64_e32 v[76:77], v[72:73], v[66:67]
	v_add_f64_e64 v[54:55], v[72:73], -v[54:55]
	s_delay_alu instid0(VALU_DEP_3) | instskip(SKIP_1) | instid1(VALU_DEP_4)
	v_add_f64_e64 v[88:89], v[68:69], -v[82:83]
	v_add_f64_e64 v[64:65], v[64:65], -v[82:83]
	v_cmp_gt_f64_e32 vcc_lo, 0, v[76:77]
	v_add_f64_e64 v[76:77], v[74:75], -v[78:79]
	v_add_f64_e64 v[54:55], v[68:69], -v[54:55]
	v_cndmask_b32_e64 v21, 0, 0x40100000, vcc_lo
	s_delay_alu instid0(VALU_DEP_3) | instskip(SKIP_2) | instid1(VALU_DEP_4)
	v_add_f64_e64 v[86:87], v[74:75], -v[76:77]
	v_add_f64_e64 v[76:77], v[80:81], -v[76:77]
	v_add_f64_e64 v[74:75], v[74:75], -v[88:89]
	v_add_f64_e32 v[66:67], v[66:67], v[20:21]
	s_delay_alu instid0(VALU_DEP_4) | instskip(NEXT) | instid1(VALU_DEP_3)
	v_add_f64_e64 v[80:81], v[78:79], -v[86:87]
	v_add_f64_e32 v[64:65], v[64:65], v[74:75]
	s_delay_alu instid0(VALU_DEP_3) | instskip(NEXT) | instid1(VALU_DEP_3)
	v_add_f64_e32 v[84:85], v[72:73], v[66:67]
	v_add_f64_e32 v[76:77], v[76:77], v[80:81]
	s_delay_alu instid0(VALU_DEP_2) | instskip(NEXT) | instid1(VALU_DEP_2)
	v_cvt_i32_f64_e32 v21, v[84:85]
	v_add_f64_e32 v[64:65], v[76:77], v[64:65]
	s_delay_alu instid0(VALU_DEP_2) | instskip(NEXT) | instid1(VALU_DEP_2)
	v_cvt_f64_i32_e32 v[82:83], v21
	v_add_f64_e32 v[14:15], v[14:15], v[64:65]
	s_delay_alu instid0(VALU_DEP_2) | instskip(NEXT) | instid1(VALU_DEP_2)
	v_add_f64_e64 v[66:67], v[66:67], -v[82:83]
	v_add_f64_e32 v[14:15], v[54:55], v[14:15]
	s_delay_alu instid0(VALU_DEP_2) | instskip(NEXT) | instid1(VALU_DEP_1)
	v_add_f64_e32 v[74:75], v[72:73], v[66:67]
	v_add_f64_e64 v[64:65], v[74:75], -v[66:67]
	v_cmp_le_f64_e32 vcc_lo, 0.5, v[74:75]
	s_delay_alu instid0(VALU_DEP_2) | instskip(SKIP_2) | instid1(VALU_DEP_3)
	v_add_f64_e64 v[54:55], v[72:73], -v[64:65]
	v_add_co_ci_u32_e64 v52, null, 0, v21, vcc_lo
	v_cndmask_b32_e64 v21, 0, 0x3ff00000, vcc_lo
	v_add_f64_e32 v[14:15], v[14:15], v[54:55]
	s_delay_alu instid0(VALU_DEP_2) | instskip(NEXT) | instid1(VALU_DEP_1)
	v_add_f64_e64 v[54:55], v[74:75], -v[20:21]
	v_add_f64_e32 v[64:65], v[54:55], v[14:15]
	s_delay_alu instid0(VALU_DEP_1) | instskip(SKIP_1) | instid1(VALU_DEP_2)
	v_mul_f64_e32 v[66:67], 0x3ff921fb54442d18, v[64:65]
	v_add_f64_e64 v[54:55], v[64:65], -v[54:55]
	v_fma_f64 v[68:69], v[64:65], s[22:23], -v[66:67]
	s_delay_alu instid0(VALU_DEP_2) | instskip(NEXT) | instid1(VALU_DEP_2)
	v_add_f64_e64 v[14:15], v[14:15], -v[54:55]
	v_fmac_f64_e32 v[68:69], 0x3c91a62633145c07, v[64:65]
	s_delay_alu instid0(VALU_DEP_1) | instskip(NEXT) | instid1(VALU_DEP_1)
	v_fmac_f64_e32 v[68:69], 0x3ff921fb54442d18, v[14:15]
	v_add_f64_e32 v[14:15], v[66:67], v[68:69]
	s_delay_alu instid0(VALU_DEP_1) | instskip(NEXT) | instid1(VALU_DEP_1)
	v_add_f64_e64 v[54:55], v[14:15], -v[66:67]
	v_add_f64_e64 v[54:55], v[68:69], -v[54:55]
.LBB253_98:                             ;   in Loop: Header=BB253_4 Depth=1
	s_or_saveexec_b32 s7, s7
	v_mul_f64_e64 v[64:65], |v[16:17]|, s[24:25]
	s_delay_alu instid0(VALU_DEP_1)
	v_rndne_f64_e32 v[68:69], v[64:65]
	s_xor_b32 exec_lo, exec_lo, s7
	s_cbranch_execz .LBB253_100
; %bb.99:                               ;   in Loop: Header=BB253_4 Depth=1
	s_delay_alu instid0(VALU_DEP_1) | instskip(SKIP_2) | instid1(VALU_DEP_3)
	v_fma_f64 v[14:15], v[68:69], s[26:27], |v[16:17]|
	v_mul_f64_e32 v[54:55], 0xbc91a62633145c00, v[68:69]
	v_cvt_i32_f64_e32 v52, v[68:69]
	v_fmamk_f64 v[72:73], v[68:69], 0xbc91a62633145c00, v[14:15]
	s_delay_alu instid0(VALU_DEP_3) | instskip(NEXT) | instid1(VALU_DEP_1)
	v_add_f64_e32 v[64:65], v[14:15], v[54:55]
	v_add_f64_e64 v[66:67], v[14:15], -v[64:65]
	s_delay_alu instid0(VALU_DEP_3) | instskip(NEXT) | instid1(VALU_DEP_2)
	v_add_f64_e64 v[14:15], v[64:65], -v[72:73]
	v_add_f64_e32 v[64:65], v[66:67], v[54:55]
	v_fmamk_f64 v[54:55], v[68:69], 0x3c91a62633145c00, v[54:55]
	s_delay_alu instid0(VALU_DEP_2) | instskip(NEXT) | instid1(VALU_DEP_1)
	v_add_f64_e32 v[14:15], v[14:15], v[64:65]
	v_add_f64_e64 v[54:55], v[14:15], -v[54:55]
	s_delay_alu instid0(VALU_DEP_1) | instskip(NEXT) | instid1(VALU_DEP_1)
	v_fmac_f64_e32 v[54:55], 0xb97b839a252049c0, v[68:69]
	v_add_f64_e32 v[14:15], v[72:73], v[54:55]
	s_delay_alu instid0(VALU_DEP_1) | instskip(NEXT) | instid1(VALU_DEP_1)
	v_add_f64_e64 v[64:65], v[14:15], -v[72:73]
	v_add_f64_e64 v[54:55], v[54:55], -v[64:65]
.LBB253_100:                            ;   in Loop: Header=BB253_4 Depth=1
	s_or_b32 exec_lo, exec_lo, s7
                                        ; implicit-def: $vgpr71
                                        ; implicit-def: $vgpr64_vgpr65
                                        ; implicit-def: $vgpr66_vgpr67
	s_and_saveexec_b32 s7, s6
	s_delay_alu instid0(SALU_CYCLE_1)
	s_xor_b32 s6, exec_lo, s7
	s_cbranch_execz .LBB253_102
; %bb.101:                              ;   in Loop: Header=BB253_4 Depth=1
	v_cmp_le_f64_e64 vcc_lo, 0x7b000000, |v[16:17]|
	v_dual_cndmask_b32 v63, v70, v63 :: v_dual_cndmask_b32 v62, v16, v62
	s_delay_alu instid0(VALU_DEP_1) | instskip(SKIP_2) | instid1(VALU_DEP_3)
	v_mul_f64_e32 v[64:65], v[60:61], v[62:63]
	v_mul_f64_e32 v[66:67], v[58:59], v[62:63]
	;; [unrolled: 1-line block ×3, first 2 shown]
	v_fma_f64 v[60:61], v[60:61], v[62:63], -v[64:65]
	s_delay_alu instid0(VALU_DEP_3) | instskip(NEXT) | instid1(VALU_DEP_3)
	v_fma_f64 v[58:59], v[58:59], v[62:63], -v[66:67]
	v_fma_f64 v[56:57], v[56:57], v[62:63], -v[76:77]
	s_delay_alu instid0(VALU_DEP_3) | instskip(NEXT) | instid1(VALU_DEP_1)
	v_add_f64_e32 v[68:69], v[66:67], v[60:61]
	v_add_f64_e64 v[70:71], v[68:69], -v[66:67]
	v_add_f64_e32 v[74:75], v[64:65], v[68:69]
	s_delay_alu instid0(VALU_DEP_2) | instskip(SKIP_1) | instid1(VALU_DEP_3)
	v_add_f64_e64 v[72:73], v[68:69], -v[70:71]
	v_add_f64_e64 v[60:61], v[60:61], -v[70:71]
	v_ldexp_f64 v[70:71], v[74:75], -2
	s_delay_alu instid0(VALU_DEP_3) | instskip(SKIP_1) | instid1(VALU_DEP_3)
	v_add_f64_e64 v[66:67], v[66:67], -v[72:73]
	v_add_f64_e32 v[72:73], v[76:77], v[58:59]
	v_cmp_neq_f64_e64 vcc_lo, 0x7ff00000, |v[70:71]|
	s_delay_alu instid0(VALU_DEP_3) | instskip(SKIP_1) | instid1(VALU_DEP_1)
	v_add_f64_e32 v[60:61], v[60:61], v[66:67]
	v_fract_f64_e32 v[66:67], v[70:71]
	v_ldexp_f64 v[66:67], v[66:67], 2
	s_delay_alu instid0(VALU_DEP_1) | instskip(NEXT) | instid1(VALU_DEP_1)
	v_dual_add_f64 v[64:65], v[74:75], -v[64:65] :: v_dual_cndmask_b32 v66, 0, v66, vcc_lo
	v_dual_add_f64 v[64:65], v[68:69], -v[64:65] :: v_dual_cndmask_b32 v67, 0, v67, vcc_lo
	v_add_f64_e32 v[68:69], v[72:73], v[60:61]
	s_delay_alu instid0(VALU_DEP_1) | instskip(SKIP_1) | instid1(VALU_DEP_2)
	v_add_f64_e32 v[70:71], v[64:65], v[68:69]
	v_add_f64_e64 v[78:79], v[68:69], -v[72:73]
	v_add_f64_e32 v[74:75], v[70:71], v[66:67]
	s_delay_alu instid0(VALU_DEP_2) | instskip(SKIP_2) | instid1(VALU_DEP_4)
	v_add_f64_e64 v[84:85], v[68:69], -v[78:79]
	v_add_f64_e64 v[60:61], v[60:61], -v[78:79]
	v_add_f64_e64 v[62:63], v[70:71], -v[64:65]
	v_cmp_gt_f64_e32 vcc_lo, 0, v[74:75]
	v_add_f64_e64 v[74:75], v[72:73], -v[76:77]
	s_delay_alu instid0(VALU_DEP_3) | instskip(SKIP_1) | instid1(VALU_DEP_3)
	v_add_f64_e64 v[62:63], v[68:69], -v[62:63]
                                        ; implicit-def: $vgpr68_vgpr69
	v_cndmask_b32_e64 v21, 0, 0x40100000, vcc_lo
	v_add_f64_e64 v[82:83], v[72:73], -v[74:75]
	v_add_f64_e64 v[58:59], v[58:59], -v[74:75]
	;; [unrolled: 1-line block ×3, first 2 shown]
	s_delay_alu instid0(VALU_DEP_4) | instskip(NEXT) | instid1(VALU_DEP_4)
	v_add_f64_e32 v[66:67], v[66:67], v[20:21]
	v_add_f64_e64 v[74:75], v[76:77], -v[82:83]
	s_delay_alu instid0(VALU_DEP_3) | instskip(NEXT) | instid1(VALU_DEP_3)
	v_add_f64_e32 v[60:61], v[60:61], v[72:73]
	v_add_f64_e32 v[80:81], v[70:71], v[66:67]
	s_delay_alu instid0(VALU_DEP_3) | instskip(NEXT) | instid1(VALU_DEP_2)
	v_add_f64_e32 v[58:59], v[58:59], v[74:75]
	v_cvt_i32_f64_e32 v21, v[80:81]
	s_delay_alu instid0(VALU_DEP_2) | instskip(NEXT) | instid1(VALU_DEP_2)
	v_add_f64_e32 v[58:59], v[58:59], v[60:61]
	v_cvt_f64_i32_e32 v[78:79], v21
	s_delay_alu instid0(VALU_DEP_2) | instskip(NEXT) | instid1(VALU_DEP_2)
	v_add_f64_e32 v[56:57], v[56:57], v[58:59]
	v_add_f64_e64 v[66:67], v[66:67], -v[78:79]
	s_delay_alu instid0(VALU_DEP_2) | instskip(NEXT) | instid1(VALU_DEP_2)
	v_add_f64_e32 v[56:57], v[62:63], v[56:57]
	v_add_f64_e32 v[60:61], v[70:71], v[66:67]
	s_delay_alu instid0(VALU_DEP_1) | instskip(SKIP_1) | instid1(VALU_DEP_2)
	v_add_f64_e64 v[58:59], v[60:61], -v[66:67]
	v_cmp_le_f64_e32 vcc_lo, 0.5, v[60:61]
	v_add_f64_e64 v[58:59], v[70:71], -v[58:59]
	v_add_co_ci_u32_e64 v71, null, 0, v21, vcc_lo
	v_cndmask_b32_e64 v21, 0, 0x3ff00000, vcc_lo
	s_delay_alu instid0(VALU_DEP_3) | instskip(NEXT) | instid1(VALU_DEP_2)
	v_add_f64_e32 v[56:57], v[56:57], v[58:59]
	v_add_f64_e64 v[58:59], v[60:61], -v[20:21]
	s_delay_alu instid0(VALU_DEP_1) | instskip(NEXT) | instid1(VALU_DEP_1)
	v_add_f64_e32 v[60:61], v[58:59], v[56:57]
	v_mul_f64_e32 v[62:63], 0x3ff921fb54442d18, v[60:61]
	v_add_f64_e64 v[58:59], v[60:61], -v[58:59]
	s_delay_alu instid0(VALU_DEP_2) | instskip(NEXT) | instid1(VALU_DEP_2)
	v_fma_f64 v[66:67], v[60:61], s[22:23], -v[62:63]
	v_add_f64_e64 v[56:57], v[56:57], -v[58:59]
	s_delay_alu instid0(VALU_DEP_2) | instskip(NEXT) | instid1(VALU_DEP_1)
	v_fmac_f64_e32 v[66:67], 0x3c91a62633145c07, v[60:61]
	v_fmac_f64_e32 v[66:67], 0x3ff921fb54442d18, v[56:57]
	s_delay_alu instid0(VALU_DEP_1) | instskip(NEXT) | instid1(VALU_DEP_1)
	v_add_f64_e32 v[64:65], v[62:63], v[66:67]
	v_add_f64_e64 v[56:57], v[64:65], -v[62:63]
	s_delay_alu instid0(VALU_DEP_1)
	v_add_f64_e64 v[66:67], v[66:67], -v[56:57]
	s_and_not1_saveexec_b32 s6, s6
	s_cbranch_execnz .LBB253_103
	s_branch .LBB253_104
.LBB253_102:                            ;   in Loop: Header=BB253_4 Depth=1
	s_and_not1_saveexec_b32 s6, s6
	s_cbranch_execz .LBB253_104
.LBB253_103:                            ;   in Loop: Header=BB253_4 Depth=1
	s_delay_alu instid0(VALU_DEP_1) | instskip(SKIP_2) | instid1(VALU_DEP_2)
	v_fma_f64 v[56:57], v[68:69], s[26:27], |v[16:17]|
	v_mul_f64_e32 v[58:59], 0xbc91a62633145c00, v[68:69]
	v_cvt_i32_f64_e32 v71, v[68:69]
	v_add_f64_e32 v[60:61], v[56:57], v[58:59]
	s_delay_alu instid0(VALU_DEP_1) | instskip(SKIP_1) | instid1(VALU_DEP_1)
	v_add_f64_e64 v[62:63], v[56:57], -v[60:61]
	v_fmamk_f64 v[56:57], v[68:69], 0xbc91a62633145c00, v[56:57]
	v_add_f64_e64 v[60:61], v[60:61], -v[56:57]
	s_delay_alu instid0(VALU_DEP_3) | instskip(SKIP_1) | instid1(VALU_DEP_2)
	v_add_f64_e32 v[62:63], v[62:63], v[58:59]
	v_fmamk_f64 v[58:59], v[68:69], 0x3c91a62633145c00, v[58:59]
	v_add_f64_e32 v[60:61], v[60:61], v[62:63]
	s_delay_alu instid0(VALU_DEP_1) | instskip(NEXT) | instid1(VALU_DEP_1)
	v_add_f64_e64 v[58:59], v[60:61], -v[58:59]
	v_fmac_f64_e32 v[58:59], 0xb97b839a252049c0, v[68:69]
	s_delay_alu instid0(VALU_DEP_1) | instskip(NEXT) | instid1(VALU_DEP_1)
	v_add_f64_e32 v[64:65], v[56:57], v[58:59]
	v_add_f64_e64 v[56:57], v[64:65], -v[56:57]
	s_delay_alu instid0(VALU_DEP_1)
	v_add_f64_e64 v[66:67], v[58:59], -v[56:57]
.LBB253_104:                            ;   in Loop: Header=BB253_4 Depth=1
	s_or_b32 exec_lo, exec_lo, s6
	v_dual_mul_f64 v[56:57], v[14:15], v[14:15] :: v_dual_bitop2_b32 v21, 1, v52 bitop3:0x40
	v_cmp_class_f64_e64 s6, v[16:17], 0x1f8
	v_lshlrev_b32_e32 v17, 30, v71
	s_delay_alu instid0(VALU_DEP_4) | instskip(SKIP_2) | instid1(VALU_DEP_4)
	v_mul_f64_e32 v[74:75], 0.5, v[54:55]
	v_and_b32_e32 v16, 1, v71
	v_cmp_eq_u32_e32 vcc_lo, 0, v21
	v_xor_b32_e32 v17, v17, v53
	s_delay_alu instid0(VALU_DEP_3) | instskip(SKIP_4) | instid1(VALU_DEP_1)
	v_cmp_eq_u32_e64 s7, 0, v16
	v_dual_mul_f64 v[82:83], 0.5, v[66:67] :: v_dual_lshlrev_b32 v16, 30, v52
	v_mul_f64_e32 v[60:61], 0.5, v[56:57]
	v_mul_f64_e64 v[76:77], v[14:15], -v[56:57]
	v_fmamk_f64 v[80:81], v[56:57], 0x3de5e0b2f9a43bb8, v[42:43]
	v_fmaak_f64 v[80:81], v[56:57], v[80:81], 0x3ec71de3796cde01
	s_delay_alu instid0(VALU_DEP_1) | instskip(NEXT) | instid1(VALU_DEP_1)
	v_fmaak_f64 v[80:81], v[56:57], v[80:81], 0xbf2a01a019e83e5c
	v_fmaak_f64 v[80:81], v[56:57], v[80:81], 0x3f81111111110bb3
	v_add_f64_e64 v[68:69], -v[60:61], 1.0
	s_delay_alu instid0(VALU_DEP_2) | instskip(NEXT) | instid1(VALU_DEP_2)
	v_fmac_f64_e32 v[74:75], v[76:77], v[80:81]
	v_add_f64_e64 v[78:79], -v[68:69], 1.0
	s_delay_alu instid0(VALU_DEP_2) | instskip(NEXT) | instid1(VALU_DEP_2)
	v_fma_f64 v[74:75], v[56:57], v[74:75], -v[54:55]
	v_add_f64_e64 v[60:61], v[78:79], -v[60:61]
	s_delay_alu instid0(VALU_DEP_2) | instskip(NEXT) | instid1(VALU_DEP_2)
	v_fmac_f64_e32 v[74:75], 0xbfc5555555555555, v[76:77]
	v_fma_f64 v[54:55], v[14:15], -v[54:55], v[60:61]
	s_delay_alu instid0(VALU_DEP_2) | instskip(SKIP_1) | instid1(VALU_DEP_2)
	v_add_f64_e64 v[14:15], v[14:15], -v[74:75]
	v_mul_f64_e32 v[58:59], v[64:65], v[64:65]
	v_xor_b32_e32 v15, 0x80000000, v15
	s_delay_alu instid0(VALU_DEP_2) | instskip(SKIP_2) | instid1(VALU_DEP_2)
	v_mul_f64_e64 v[84:85], v[64:65], -v[58:59]
	v_fmamk_f64 v[88:89], v[58:59], 0x3de5e0b2f9a43bb8, v[42:43]
	v_mul_f64_e32 v[80:81], v[56:57], v[56:57]
	v_fmaak_f64 v[78:79], v[58:59], v[88:89], 0x3ec71de3796cde01
	s_delay_alu instid0(VALU_DEP_1) | instskip(NEXT) | instid1(VALU_DEP_1)
	v_fmaak_f64 v[78:79], v[58:59], v[78:79], 0xbf2a01a019e83e5c
	v_fmaak_f64 v[78:79], v[58:59], v[78:79], 0x3f81111111110bb3
	s_delay_alu instid0(VALU_DEP_1) | instskip(SKIP_1) | instid1(VALU_DEP_1)
	v_fmac_f64_e32 v[82:83], v[84:85], v[78:79]
	v_fmamk_f64 v[78:79], v[56:57], 0xbda907db46cc5e42, v[28:29]
	v_fmaak_f64 v[60:61], v[56:57], v[78:79], 0xbe927e4fa17f65f6
	s_delay_alu instid0(VALU_DEP_1) | instskip(NEXT) | instid1(VALU_DEP_1)
	v_fmaak_f64 v[60:61], v[56:57], v[60:61], 0x3efa01a019f4ec90
	v_fmaak_f64 v[60:61], v[56:57], v[60:61], 0xbf56c16c16c16967
	s_delay_alu instid0(VALU_DEP_1) | instskip(NEXT) | instid1(VALU_DEP_1)
	v_fmaak_f64 v[56:57], v[56:57], v[60:61], 0x3fa5555555555555
	v_fmac_f64_e32 v[54:55], v[80:81], v[56:57]
	s_delay_alu instid0(VALU_DEP_1) | instskip(NEXT) | instid1(VALU_DEP_1)
	v_add_f64_e32 v[54:55], v[68:69], v[54:55]
	v_cndmask_b32_e32 v14, v14, v54, vcc_lo
	v_mul_f64_e32 v[62:63], 0.5, v[58:59]
	v_fmamk_f64 v[78:79], v[58:59], 0xbda907db46cc5e42, v[28:29]
	v_fma_f64 v[82:83], v[58:59], v[82:83], -v[66:67]
	s_delay_alu instid0(VALU_DEP_4) | instskip(NEXT) | instid1(VALU_DEP_3)
	v_dual_cndmask_b32 v15, v15, v55, vcc_lo :: v_dual_cndmask_b32 v54, 0, v14, s6
	v_fmaak_f64 v[60:61], v[58:59], v[78:79], 0xbe927e4fa17f65f6
	s_delay_alu instid0(VALU_DEP_2) | instskip(NEXT) | instid1(VALU_DEP_1)
	v_bitop3_b32 v15, v15, v16, 0x80000000 bitop3:0x78
	v_cndmask_b32_e64 v55, 0x7ff80000, v15, s6
	s_delay_alu instid0(VALU_DEP_3) | instskip(NEXT) | instid1(VALU_DEP_1)
	v_fmaak_f64 v[56:57], v[58:59], v[60:61], 0x3efa01a019f4ec90
	v_fmaak_f64 v[56:57], v[58:59], v[56:57], 0xbf56c16c16c16967
	s_delay_alu instid0(VALU_DEP_1) | instskip(SKIP_2) | instid1(VALU_DEP_2)
	v_fmaak_f64 v[56:57], v[58:59], v[56:57], 0x3fa5555555555555
	v_add_f64_e64 v[72:73], -v[62:63], 1.0
	v_fmac_f64_e32 v[82:83], 0xbfc5555555555555, v[84:85]
	v_add_f64_e64 v[86:87], -v[72:73], 1.0
	s_delay_alu instid0(VALU_DEP_1) | instskip(SKIP_1) | instid1(VALU_DEP_2)
	v_add_f64_e64 v[62:63], v[86:87], -v[62:63]
	v_mul_f64_e32 v[86:87], v[58:59], v[58:59]
	v_fma_f64 v[62:63], v[64:65], -v[66:67], v[62:63]
	s_delay_alu instid0(VALU_DEP_1) | instskip(SKIP_1) | instid1(VALU_DEP_2)
	v_fmac_f64_e32 v[62:63], v[86:87], v[56:57]
	v_add_f64_e64 v[56:57], v[64:65], -v[82:83]
	v_add_f64_e32 v[58:59], v[72:73], v[62:63]
	s_delay_alu instid0(VALU_DEP_1) | instskip(NEXT) | instid1(VALU_DEP_1)
	v_dual_cndmask_b32 v52, v59, v57, s7 :: v_dual_cndmask_b32 v21, v58, v56, s7
	v_bitop3_b32 v16, v52, v17, 0x80000000 bitop3:0x78
	s_delay_alu instid0(VALU_DEP_2) | instskip(NEXT) | instid1(VALU_DEP_2)
	v_cndmask_b32_e64 v52, 0, v21, s6
	v_cndmask_b32_e64 v53, 0x7ff80000, v16, s6
.LBB253_105:                            ;   in Loop: Header=BB253_4 Depth=1
	s_or_b32 exec_lo, exec_lo, s8
                                        ; implicit-def: $vgpr14_vgpr15
.LBB253_106:                            ;   in Loop: Header=BB253_4 Depth=1
	s_and_not1_saveexec_b32 s7, s40
	s_cbranch_execz .LBB253_108
; %bb.107:                              ;   in Loop: Header=BB253_4 Depth=1
	v_mul_f64_e32 v[16:17], 0xbff71547652b82fe, v[14:15]
	v_cmp_ngt_f64_e32 vcc_lo, 0xc0900000, v[14:15]
	v_cmp_nlt_f64_e64 s6, 0x4090cc00, v[14:15]
	s_delay_alu instid0(VALU_DEP_3) | instskip(NEXT) | instid1(VALU_DEP_1)
	v_rndne_f64_e32 v[16:17], v[16:17]
	v_fma_f64 v[54:55], v[16:17], s[28:29], -v[14:15]
	v_cvt_i32_f64_e32 v21, v[16:17]
	s_delay_alu instid0(VALU_DEP_2) | instskip(NEXT) | instid1(VALU_DEP_1)
	v_fmac_f64_e32 v[54:55], 0xbc7abc9e3b39803f, v[16:17]
	v_fmamk_f64 v[56:57], v[54:55], 0x3e5ade156a5dcb37, v[26:27]
	s_delay_alu instid0(VALU_DEP_1) | instskip(NEXT) | instid1(VALU_DEP_1)
	v_fmaak_f64 v[56:57], v[54:55], v[56:57], 0x3ec71dee623fde64
	v_fmaak_f64 v[56:57], v[54:55], v[56:57], 0x3efa01997c89e6b0
	s_delay_alu instid0(VALU_DEP_1) | instskip(NEXT) | instid1(VALU_DEP_1)
	v_fmaak_f64 v[56:57], v[54:55], v[56:57], 0x3f2a01a014761f6e
	v_fmaak_f64 v[56:57], v[54:55], v[56:57], 0x3f56c16c1852b7b0
	;; [unrolled: 3-line block ×4, first 2 shown]
	s_delay_alu instid0(VALU_DEP_1) | instskip(NEXT) | instid1(VALU_DEP_1)
	v_fma_f64 v[56:57], v[54:55], v[56:57], 1.0
	v_fma_f64 v[16:17], v[54:55], v[56:57], 1.0
	s_delay_alu instid0(VALU_DEP_1) | instskip(NEXT) | instid1(VALU_DEP_1)
	v_ldexp_f64 v[16:17], v[16:17], v21
	v_cndmask_b32_e32 v17, 0x7ff00000, v17, vcc_lo
	s_and_b32 vcc_lo, s6, vcc_lo
	s_delay_alu instid0(VALU_DEP_1) | instid1(SALU_CYCLE_1)
	v_dual_cndmask_b32 v54, 0, v16, vcc_lo :: v_dual_cndmask_b32 v55, 0, v17, s6
.LBB253_108:                            ;   in Loop: Header=BB253_4 Depth=1
	s_or_b32 exec_lo, exec_lo, s7
	s_delay_alu instid0(VALU_DEP_1) | instskip(NEXT) | instid1(VALU_DEP_2)
	v_add_f64_e32 v[52:53], s[14:15], v[52:53]
	v_add_f64_e32 v[54:55], s[12:13], v[54:55]
	s_mov_b32 s6, exec_lo
	s_delay_alu instid0(VALU_DEP_2) | instskip(NEXT) | instid1(VALU_DEP_2)
	v_mov_b32_e32 v58, v52
	v_cmp_gt_f64_e32 vcc_lo, 0, v[54:55]
	v_xor_b32_e32 v14, 0x80000000, v55
	v_mov_b32_e32 v56, v54
	v_xor_b32_e32 v15, 0x80000000, v53
	s_delay_alu instid0(VALU_DEP_3) | instskip(SKIP_1) | instid1(VALU_DEP_3)
	v_cndmask_b32_e32 v57, v55, v14, vcc_lo
	v_cmp_gt_f64_e32 vcc_lo, 0, v[52:53]
	v_cndmask_b32_e32 v59, v53, v15, vcc_lo
                                        ; implicit-def: $vgpr16_vgpr17
	s_delay_alu instid0(VALU_DEP_1)
	v_cmpx_ge_f64_e32 v[56:57], v[58:59]
	s_xor_b32 s7, exec_lo, s6
	s_cbranch_execz .LBB253_114
; %bb.109:                              ;   in Loop: Header=BB253_4 Depth=1
	v_cmp_neq_f64_e32 vcc_lo, 0, v[54:55]
	v_cmp_neq_f64_e64 s6, 0, v[52:53]
                                        ; implicit-def: $vgpr16_vgpr17
	s_or_b32 s6, vcc_lo, s6
	s_delay_alu instid0(SALU_CYCLE_1) | instskip(NEXT) | instid1(SALU_CYCLE_1)
	s_and_saveexec_b32 s8, s6
	s_xor_b32 s6, exec_lo, s8
	s_cbranch_execz .LBB253_111
; %bb.110:                              ;   in Loop: Header=BB253_4 Depth=1
	v_div_scale_f64 v[14:15], null, v[54:55], v[54:55], v[52:53]
	v_div_scale_f64 v[58:59], vcc_lo, v[52:53], v[54:55], v[52:53]
	s_delay_alu instid0(VALU_DEP_2) | instskip(SKIP_1) | instid1(TRANS32_DEP_1)
	v_rcp_f64_e32 v[16:17], v[14:15]
	v_nop
	v_fma_f64 v[56:57], -v[14:15], v[16:17], 1.0
	s_delay_alu instid0(VALU_DEP_1) | instskip(NEXT) | instid1(VALU_DEP_1)
	v_fmac_f64_e32 v[16:17], v[16:17], v[56:57]
	v_fma_f64 v[56:57], -v[14:15], v[16:17], 1.0
	s_delay_alu instid0(VALU_DEP_1) | instskip(NEXT) | instid1(VALU_DEP_1)
	v_fmac_f64_e32 v[16:17], v[16:17], v[56:57]
	v_mul_f64_e32 v[56:57], v[58:59], v[16:17]
	s_delay_alu instid0(VALU_DEP_1) | instskip(NEXT) | instid1(VALU_DEP_1)
	v_fma_f64 v[14:15], -v[14:15], v[56:57], v[58:59]
	v_div_fmas_f64 v[14:15], v[14:15], v[16:17], v[56:57]
	s_delay_alu instid0(VALU_DEP_1) | instskip(NEXT) | instid1(VALU_DEP_1)
	v_div_fixup_f64 v[14:15], v[14:15], v[54:55], v[52:53]
	v_fmac_f64_e32 v[54:55], v[52:53], v[14:15]
	s_delay_alu instid0(VALU_DEP_1) | instskip(SKIP_1) | instid1(VALU_DEP_2)
	v_div_scale_f64 v[16:17], null, v[54:55], v[54:55], 1.0
	v_div_scale_f64 v[58:59], vcc_lo, 1.0, v[54:55], 1.0
	v_rcp_f64_e32 v[52:53], v[16:17]
	v_nop
	s_delay_alu instid0(TRANS32_DEP_1) | instskip(NEXT) | instid1(VALU_DEP_1)
	v_fma_f64 v[56:57], -v[16:17], v[52:53], 1.0
	v_fmac_f64_e32 v[52:53], v[52:53], v[56:57]
	s_delay_alu instid0(VALU_DEP_1) | instskip(NEXT) | instid1(VALU_DEP_1)
	v_fma_f64 v[56:57], -v[16:17], v[52:53], 1.0
	v_fmac_f64_e32 v[52:53], v[52:53], v[56:57]
	s_delay_alu instid0(VALU_DEP_1) | instskip(NEXT) | instid1(VALU_DEP_1)
	v_mul_f64_e32 v[56:57], v[58:59], v[52:53]
	v_fma_f64 v[16:17], -v[16:17], v[56:57], v[58:59]
                                        ; implicit-def: $vgpr58_vgpr59
	s_delay_alu instid0(VALU_DEP_1) | instskip(SKIP_1) | instid1(VALU_DEP_2)
	v_div_fmas_f64 v[16:17], v[16:17], v[52:53], v[56:57]
	v_fma_f64 v[52:53], s[14:15], v[14:15], s[12:13]
                                        ; implicit-def: $vgpr56_vgpr57
	v_div_fixup_f64 v[16:17], v[16:17], v[54:55], 1.0
	v_fma_f64 v[54:55], -s[12:13], v[14:15], s[14:15]
	s_delay_alu instid0(VALU_DEP_2) | instskip(NEXT) | instid1(VALU_DEP_2)
	v_mul_f64_e32 v[14:15], v[52:53], v[16:17]
	v_mul_f64_e32 v[16:17], v[54:55], v[16:17]
.LBB253_111:                            ;   in Loop: Header=BB253_4 Depth=1
	s_and_not1_saveexec_b32 s8, s6
	s_cbranch_execz .LBB253_113
; %bb.112:                              ;   in Loop: Header=BB253_4 Depth=1
	v_div_scale_f64 v[14:15], null, v[56:57], v[56:57], s[12:13]
	v_div_scale_f64 v[16:17], null, v[58:59], v[58:59], s[14:15]
	v_div_scale_f64 v[64:65], vcc_lo, s[12:13], v[56:57], s[12:13]
	s_delay_alu instid0(VALU_DEP_3) | instskip(NEXT) | instid1(VALU_DEP_2)
	v_rcp_f64_e32 v[52:53], v[14:15]
	v_rcp_f64_e32 v[54:55], v[16:17]
	s_delay_alu instid0(TRANS32_DEP_2) | instskip(NEXT) | instid1(TRANS32_DEP_1)
	v_fma_f64 v[60:61], -v[14:15], v[52:53], 1.0
	v_fma_f64 v[62:63], -v[16:17], v[54:55], 1.0
	s_delay_alu instid0(VALU_DEP_2) | instskip(NEXT) | instid1(VALU_DEP_2)
	v_fmac_f64_e32 v[52:53], v[52:53], v[60:61]
	v_fmac_f64_e32 v[54:55], v[54:55], v[62:63]
	s_delay_alu instid0(VALU_DEP_2) | instskip(NEXT) | instid1(VALU_DEP_2)
	v_fma_f64 v[60:61], -v[14:15], v[52:53], 1.0
	v_fma_f64 v[62:63], -v[16:17], v[54:55], 1.0
	s_delay_alu instid0(VALU_DEP_2) | instskip(SKIP_1) | instid1(VALU_DEP_3)
	v_fmac_f64_e32 v[52:53], v[52:53], v[60:61]
	v_div_scale_f64 v[60:61], s6, s[14:15], v[58:59], s[14:15]
	v_fmac_f64_e32 v[54:55], v[54:55], v[62:63]
	s_delay_alu instid0(VALU_DEP_3) | instskip(NEXT) | instid1(VALU_DEP_2)
	v_mul_f64_e32 v[62:63], v[64:65], v[52:53]
	v_mul_f64_e32 v[66:67], v[60:61], v[54:55]
	s_delay_alu instid0(VALU_DEP_2) | instskip(NEXT) | instid1(VALU_DEP_2)
	v_fma_f64 v[14:15], -v[14:15], v[62:63], v[64:65]
	v_fma_f64 v[16:17], -v[16:17], v[66:67], v[60:61]
	s_delay_alu instid0(VALU_DEP_2) | instskip(SKIP_1) | instid1(VALU_DEP_2)
	v_div_fmas_f64 v[14:15], v[14:15], v[52:53], v[62:63]
	s_mov_b32 vcc_lo, s6
	v_div_fmas_f64 v[16:17], v[16:17], v[54:55], v[66:67]
	s_delay_alu instid0(VALU_DEP_2) | instskip(NEXT) | instid1(VALU_DEP_2)
	v_div_fixup_f64 v[14:15], v[14:15], v[56:57], s[12:13]
	v_div_fixup_f64 v[16:17], v[16:17], v[58:59], s[14:15]
.LBB253_113:                            ;   in Loop: Header=BB253_4 Depth=1
	s_or_b32 exec_lo, exec_lo, s8
                                        ; implicit-def: $vgpr52_vgpr53
                                        ; implicit-def: $vgpr54_vgpr55
.LBB253_114:                            ;   in Loop: Header=BB253_4 Depth=1
	s_and_not1_saveexec_b32 s6, s7
	s_cbranch_execz .LBB253_116
; %bb.115:                              ;   in Loop: Header=BB253_4 Depth=1
	v_div_scale_f64 v[14:15], null, v[52:53], v[52:53], v[54:55]
	v_div_scale_f64 v[58:59], vcc_lo, v[54:55], v[52:53], v[54:55]
	s_delay_alu instid0(VALU_DEP_2) | instskip(SKIP_1) | instid1(TRANS32_DEP_1)
	v_rcp_f64_e32 v[16:17], v[14:15]
	v_nop
	v_fma_f64 v[56:57], -v[14:15], v[16:17], 1.0
	s_delay_alu instid0(VALU_DEP_1) | instskip(NEXT) | instid1(VALU_DEP_1)
	v_fmac_f64_e32 v[16:17], v[16:17], v[56:57]
	v_fma_f64 v[56:57], -v[14:15], v[16:17], 1.0
	s_delay_alu instid0(VALU_DEP_1) | instskip(NEXT) | instid1(VALU_DEP_1)
	v_fmac_f64_e32 v[16:17], v[16:17], v[56:57]
	v_mul_f64_e32 v[56:57], v[58:59], v[16:17]
	s_delay_alu instid0(VALU_DEP_1) | instskip(NEXT) | instid1(VALU_DEP_1)
	v_fma_f64 v[14:15], -v[14:15], v[56:57], v[58:59]
	v_div_fmas_f64 v[14:15], v[14:15], v[16:17], v[56:57]
	s_delay_alu instid0(VALU_DEP_1) | instskip(NEXT) | instid1(VALU_DEP_1)
	v_div_fixup_f64 v[14:15], v[14:15], v[52:53], v[54:55]
	v_fmac_f64_e32 v[52:53], v[54:55], v[14:15]
	s_delay_alu instid0(VALU_DEP_1) | instskip(SKIP_1) | instid1(VALU_DEP_2)
	v_div_scale_f64 v[16:17], null, v[52:53], v[52:53], 1.0
	v_div_scale_f64 v[58:59], vcc_lo, 1.0, v[52:53], 1.0
	v_rcp_f64_e32 v[54:55], v[16:17]
	v_nop
	s_delay_alu instid0(TRANS32_DEP_1) | instskip(NEXT) | instid1(VALU_DEP_1)
	v_fma_f64 v[56:57], -v[16:17], v[54:55], 1.0
	v_fmac_f64_e32 v[54:55], v[54:55], v[56:57]
	s_delay_alu instid0(VALU_DEP_1) | instskip(NEXT) | instid1(VALU_DEP_1)
	v_fma_f64 v[56:57], -v[16:17], v[54:55], 1.0
	v_fmac_f64_e32 v[54:55], v[54:55], v[56:57]
	s_delay_alu instid0(VALU_DEP_1) | instskip(NEXT) | instid1(VALU_DEP_1)
	v_mul_f64_e32 v[56:57], v[58:59], v[54:55]
	v_fma_f64 v[16:17], -v[16:17], v[56:57], v[58:59]
	s_delay_alu instid0(VALU_DEP_1) | instskip(SKIP_1) | instid1(VALU_DEP_2)
	v_div_fmas_f64 v[16:17], v[16:17], v[54:55], v[56:57]
	v_fma_f64 v[54:55], s[12:13], v[14:15], s[14:15]
	v_div_fixup_f64 v[16:17], v[16:17], v[52:53], 1.0
	v_fma_f64 v[52:53], s[14:15], v[14:15], -s[12:13]
	s_delay_alu instid0(VALU_DEP_2) | instskip(NEXT) | instid1(VALU_DEP_2)
	v_mul_f64_e32 v[14:15], v[54:55], v[16:17]
	v_mul_f64_e32 v[16:17], v[52:53], v[16:17]
.LBB253_116:                            ;   in Loop: Header=BB253_4 Depth=1
	s_or_b32 exec_lo, exec_lo, s6
	v_xor_b32_e32 v53, 0x80000000, v13
                                        ; implicit-def: $vgpr54_vgpr55
	s_mov_b32 s6, exec_lo
	v_mov_b32_e32 v52, v12
	s_delay_alu instid0(VALU_DEP_2) | instskip(NEXT) | instid1(VALU_DEP_1)
	v_and_b32_e32 v58, 0x7fffffff, v53
	v_or_b32_e32 v21, v58, v12
	s_delay_alu instid0(VALU_DEP_1)
	v_cmpx_ne_u32_e32 0, v21
	s_xor_b32 s40, exec_lo, s6
	s_cbranch_execz .LBB253_158
; %bb.117:                              ;   in Loop: Header=BB253_4 Depth=1
	v_xor_b32_e32 v57, 0x80000000, v11
                                        ; implicit-def: $vgpr54_vgpr55
	s_mov_b32 s6, exec_lo
	v_mov_b32_e32 v56, v10
	s_delay_alu instid0(VALU_DEP_2) | instskip(NEXT) | instid1(VALU_DEP_1)
	v_and_b32_e32 v21, 0x7fffffff, v57
	v_or_b32_e32 v52, v21, v10
	s_delay_alu instid0(VALU_DEP_1)
	v_cmpx_ne_u32_e32 0, v52
	s_xor_b32 s41, exec_lo, s6
	s_cbranch_execz .LBB253_147
; %bb.118:                              ;   in Loop: Header=BB253_4 Depth=1
                                        ; implicit-def: $vgpr54_vgpr55
	s_mov_b32 s6, exec_lo
	v_cmpx_gt_u32_e32 0x7ff00000, v58
	s_xor_b32 s42, exec_lo, s6
	s_cbranch_execz .LBB253_140
; %bb.119:                              ;   in Loop: Header=BB253_4 Depth=1
	v_add_nc_u32_e32 v21, 0xbf79d1be, v57
                                        ; implicit-def: $vgpr54_vgpr55
	s_mov_b32 s6, exec_lo
	s_delay_alu instid0(VALU_DEP_1)
	v_cmpx_lt_u32_e32 0x108aa2, v21
	s_xor_b32 s43, exec_lo, s6
	s_cbranch_execz .LBB253_129
; %bb.120:                              ;   in Loop: Header=BB253_4 Depth=1
	v_cmp_ngt_f64_e64 s6, 0x41d00000, |v[12:13]|
                                        ; implicit-def: $vgpr52
                                        ; implicit-def: $vgpr54_vgpr55
                                        ; implicit-def: $vgpr56_vgpr57
	s_and_saveexec_b32 s7, s6
	s_delay_alu instid0(SALU_CYCLE_1)
	s_xor_b32 s7, exec_lo, s7
	s_cbranch_execz .LBB253_122
; %bb.121:                              ;   in Loop: Header=BB253_4 Depth=1
	v_ldexp_f64 v[54:55], |v[12:13]|, 0xffffff80
	v_cmp_le_f64_e64 vcc_lo, 0x7b000000, |v[12:13]|
	v_trig_preop_f64 v[56:57], |v[12:13]|, 0
	v_and_b32_e32 v21, 0x7fffffff, v13
	v_trig_preop_f64 v[58:59], |v[12:13]|, 1
	v_trig_preop_f64 v[68:69], |v[12:13]|, 2
	s_delay_alu instid0(VALU_DEP_3) | instskip(NEXT) | instid1(VALU_DEP_1)
	v_dual_cndmask_b32 v55, v21, v55 :: v_dual_cndmask_b32 v54, v12, v54
	v_mul_f64_e32 v[60:61], v[56:57], v[54:55]
	s_delay_alu instid0(VALU_DEP_4) | instskip(NEXT) | instid1(VALU_DEP_4)
	v_mul_f64_e32 v[62:63], v[58:59], v[54:55]
	v_mul_f64_e32 v[74:75], v[68:69], v[54:55]
	s_delay_alu instid0(VALU_DEP_3) | instskip(NEXT) | instid1(VALU_DEP_3)
	v_fma_f64 v[56:57], v[56:57], v[54:55], -v[60:61]
	v_fma_f64 v[58:59], v[58:59], v[54:55], -v[62:63]
	s_delay_alu instid0(VALU_DEP_3) | instskip(NEXT) | instid1(VALU_DEP_3)
	v_fma_f64 v[54:55], v[68:69], v[54:55], -v[74:75]
	v_add_f64_e32 v[64:65], v[62:63], v[56:57]
	s_delay_alu instid0(VALU_DEP_1) | instskip(SKIP_1) | instid1(VALU_DEP_2)
	v_add_f64_e64 v[66:67], v[64:65], -v[62:63]
	v_add_f64_e32 v[72:73], v[60:61], v[64:65]
	v_add_f64_e64 v[70:71], v[64:65], -v[66:67]
	v_add_f64_e64 v[56:57], v[56:57], -v[66:67]
	s_delay_alu instid0(VALU_DEP_3) | instskip(NEXT) | instid1(VALU_DEP_3)
	v_ldexp_f64 v[66:67], v[72:73], -2
	v_add_f64_e64 v[62:63], v[62:63], -v[70:71]
	v_add_f64_e32 v[70:71], v[74:75], v[58:59]
	s_delay_alu instid0(VALU_DEP_3) | instskip(NEXT) | instid1(VALU_DEP_3)
	v_cmp_neq_f64_e64 vcc_lo, 0x7ff00000, |v[66:67]|
	v_add_f64_e32 v[56:57], v[56:57], v[62:63]
	v_fract_f64_e32 v[62:63], v[66:67]
	s_delay_alu instid0(VALU_DEP_1) | instskip(NEXT) | instid1(VALU_DEP_1)
	v_ldexp_f64 v[62:63], v[62:63], 2
	v_dual_add_f64 v[60:61], v[72:73], -v[60:61] :: v_dual_cndmask_b32 v62, 0, v62, vcc_lo
	s_delay_alu instid0(VALU_DEP_1) | instskip(SKIP_1) | instid1(VALU_DEP_1)
	v_dual_add_f64 v[60:61], v[64:65], -v[60:61] :: v_dual_cndmask_b32 v63, 0, v63, vcc_lo
	v_add_f64_e32 v[64:65], v[70:71], v[56:57]
	v_add_f64_e32 v[66:67], v[60:61], v[64:65]
	v_add_f64_e64 v[76:77], v[64:65], -v[70:71]
	s_delay_alu instid0(VALU_DEP_2) | instskip(NEXT) | instid1(VALU_DEP_2)
	v_add_f64_e32 v[72:73], v[66:67], v[62:63]
	v_add_f64_e64 v[82:83], v[64:65], -v[76:77]
	v_add_f64_e64 v[56:57], v[56:57], -v[76:77]
	;; [unrolled: 1-line block ×3, first 2 shown]
	s_delay_alu instid0(VALU_DEP_4) | instskip(SKIP_1) | instid1(VALU_DEP_3)
	v_cmp_gt_f64_e32 vcc_lo, 0, v[72:73]
	v_add_f64_e64 v[72:73], v[70:71], -v[74:75]
	v_add_f64_e64 v[60:61], v[64:65], -v[60:61]
	v_cndmask_b32_e64 v21, 0, 0x40100000, vcc_lo
	s_delay_alu instid0(VALU_DEP_3) | instskip(SKIP_2) | instid1(VALU_DEP_4)
	v_add_f64_e64 v[80:81], v[70:71], -v[72:73]
	v_add_f64_e64 v[58:59], v[58:59], -v[72:73]
	;; [unrolled: 1-line block ×3, first 2 shown]
	v_add_f64_e32 v[62:63], v[62:63], v[20:21]
	s_delay_alu instid0(VALU_DEP_4) | instskip(NEXT) | instid1(VALU_DEP_3)
	v_add_f64_e64 v[72:73], v[74:75], -v[80:81]
	v_add_f64_e32 v[56:57], v[56:57], v[70:71]
	s_delay_alu instid0(VALU_DEP_3) | instskip(NEXT) | instid1(VALU_DEP_3)
	v_add_f64_e32 v[78:79], v[66:67], v[62:63]
	v_add_f64_e32 v[58:59], v[58:59], v[72:73]
	s_delay_alu instid0(VALU_DEP_2) | instskip(NEXT) | instid1(VALU_DEP_2)
	v_cvt_i32_f64_e32 v21, v[78:79]
	v_add_f64_e32 v[56:57], v[58:59], v[56:57]
	s_delay_alu instid0(VALU_DEP_2) | instskip(NEXT) | instid1(VALU_DEP_2)
	v_cvt_f64_i32_e32 v[76:77], v21
	v_add_f64_e32 v[54:55], v[54:55], v[56:57]
	s_delay_alu instid0(VALU_DEP_2) | instskip(NEXT) | instid1(VALU_DEP_2)
	v_add_f64_e64 v[62:63], v[62:63], -v[76:77]
	v_add_f64_e32 v[54:55], v[60:61], v[54:55]
	s_delay_alu instid0(VALU_DEP_2) | instskip(NEXT) | instid1(VALU_DEP_1)
	v_add_f64_e32 v[58:59], v[66:67], v[62:63]
	v_add_f64_e64 v[56:57], v[58:59], -v[62:63]
	v_cmp_le_f64_e32 vcc_lo, 0.5, v[58:59]
	s_delay_alu instid0(VALU_DEP_2) | instskip(SKIP_2) | instid1(VALU_DEP_3)
	v_add_f64_e64 v[56:57], v[66:67], -v[56:57]
	v_add_co_ci_u32_e64 v52, null, 0, v21, vcc_lo
	v_cndmask_b32_e64 v21, 0, 0x3ff00000, vcc_lo
	v_add_f64_e32 v[54:55], v[54:55], v[56:57]
	s_delay_alu instid0(VALU_DEP_2) | instskip(NEXT) | instid1(VALU_DEP_1)
	v_add_f64_e64 v[56:57], v[58:59], -v[20:21]
	v_add_f64_e32 v[58:59], v[56:57], v[54:55]
	s_delay_alu instid0(VALU_DEP_1) | instskip(SKIP_1) | instid1(VALU_DEP_2)
	v_mul_f64_e32 v[60:61], 0x3ff921fb54442d18, v[58:59]
	v_add_f64_e64 v[56:57], v[58:59], -v[56:57]
	v_fma_f64 v[62:63], v[58:59], s[22:23], -v[60:61]
	s_delay_alu instid0(VALU_DEP_2) | instskip(NEXT) | instid1(VALU_DEP_2)
	v_add_f64_e64 v[54:55], v[54:55], -v[56:57]
	v_fmac_f64_e32 v[62:63], 0x3c91a62633145c07, v[58:59]
	s_delay_alu instid0(VALU_DEP_1) | instskip(NEXT) | instid1(VALU_DEP_1)
	v_fmac_f64_e32 v[62:63], 0x3ff921fb54442d18, v[54:55]
	v_add_f64_e32 v[54:55], v[60:61], v[62:63]
	s_delay_alu instid0(VALU_DEP_1) | instskip(NEXT) | instid1(VALU_DEP_1)
	v_add_f64_e64 v[56:57], v[54:55], -v[60:61]
	v_add_f64_e64 v[56:57], v[62:63], -v[56:57]
	s_and_not1_saveexec_b32 s7, s7
	s_cbranch_execz .LBB253_124
	s_branch .LBB253_123
.LBB253_122:                            ;   in Loop: Header=BB253_4 Depth=1
	s_and_not1_saveexec_b32 s7, s7
	s_cbranch_execz .LBB253_124
.LBB253_123:                            ;   in Loop: Header=BB253_4 Depth=1
	v_mul_f64_e64 v[54:55], |v[12:13]|, s[24:25]
	s_delay_alu instid0(VALU_DEP_1) | instskip(NEXT) | instid1(VALU_DEP_1)
	v_rndne_f64_e32 v[58:59], v[54:55]
	v_fma_f64 v[54:55], v[58:59], s[26:27], |v[12:13]|
	v_mul_f64_e32 v[56:57], 0xbc91a62633145c00, v[58:59]
	v_cvt_i32_f64_e32 v52, v[58:59]
	s_delay_alu instid0(VALU_DEP_3) | instskip(NEXT) | instid1(VALU_DEP_3)
	v_fmamk_f64 v[64:65], v[58:59], 0xbc91a62633145c00, v[54:55]
	v_add_f64_e32 v[60:61], v[54:55], v[56:57]
	s_delay_alu instid0(VALU_DEP_1) | instskip(NEXT) | instid1(VALU_DEP_3)
	v_add_f64_e64 v[62:63], v[54:55], -v[60:61]
	v_add_f64_e64 v[54:55], v[60:61], -v[64:65]
	s_delay_alu instid0(VALU_DEP_2) | instskip(SKIP_1) | instid1(VALU_DEP_2)
	v_add_f64_e32 v[60:61], v[62:63], v[56:57]
	v_fmamk_f64 v[56:57], v[58:59], 0x3c91a62633145c00, v[56:57]
	v_add_f64_e32 v[54:55], v[54:55], v[60:61]
	s_delay_alu instid0(VALU_DEP_1) | instskip(NEXT) | instid1(VALU_DEP_1)
	v_add_f64_e64 v[56:57], v[54:55], -v[56:57]
	v_fmac_f64_e32 v[56:57], 0xb97b839a252049c0, v[58:59]
	s_delay_alu instid0(VALU_DEP_1) | instskip(NEXT) | instid1(VALU_DEP_1)
	v_add_f64_e32 v[54:55], v[64:65], v[56:57]
	v_add_f64_e64 v[60:61], v[54:55], -v[64:65]
	s_delay_alu instid0(VALU_DEP_1)
	v_add_f64_e64 v[56:57], v[56:57], -v[60:61]
.LBB253_124:                            ;   in Loop: Header=BB253_4 Depth=1
	s_or_b32 exec_lo, exec_lo, s7
                                        ; implicit-def: $vgpr62
                                        ; implicit-def: $vgpr58_vgpr59
                                        ; implicit-def: $vgpr60_vgpr61
	s_and_saveexec_b32 s7, s6
	s_delay_alu instid0(SALU_CYCLE_1)
	s_xor_b32 s6, exec_lo, s7
	s_cbranch_execz .LBB253_126
; %bb.125:                              ;   in Loop: Header=BB253_4 Depth=1
	v_ldexp_f64 v[58:59], |v[12:13]|, 0xffffff80
	v_cmp_le_f64_e64 vcc_lo, 0x7b000000, |v[12:13]|
	v_trig_preop_f64 v[60:61], |v[12:13]|, 0
	v_and_b32_e32 v21, 0x7fffffff, v13
	v_trig_preop_f64 v[62:63], |v[12:13]|, 1
	v_trig_preop_f64 v[72:73], |v[12:13]|, 2
	s_delay_alu instid0(VALU_DEP_3) | instskip(NEXT) | instid1(VALU_DEP_1)
	v_dual_cndmask_b32 v59, v21, v59 :: v_dual_cndmask_b32 v58, v12, v58
	v_mul_f64_e32 v[64:65], v[60:61], v[58:59]
	s_delay_alu instid0(VALU_DEP_4) | instskip(NEXT) | instid1(VALU_DEP_4)
	v_mul_f64_e32 v[66:67], v[62:63], v[58:59]
	v_mul_f64_e32 v[78:79], v[72:73], v[58:59]
	s_delay_alu instid0(VALU_DEP_3) | instskip(NEXT) | instid1(VALU_DEP_3)
	v_fma_f64 v[60:61], v[60:61], v[58:59], -v[64:65]
	v_fma_f64 v[62:63], v[62:63], v[58:59], -v[66:67]
	s_delay_alu instid0(VALU_DEP_3) | instskip(NEXT) | instid1(VALU_DEP_3)
	v_fma_f64 v[58:59], v[72:73], v[58:59], -v[78:79]
	v_add_f64_e32 v[68:69], v[66:67], v[60:61]
	s_delay_alu instid0(VALU_DEP_1) | instskip(SKIP_1) | instid1(VALU_DEP_2)
	v_add_f64_e64 v[70:71], v[68:69], -v[66:67]
	v_add_f64_e32 v[76:77], v[64:65], v[68:69]
	v_add_f64_e64 v[74:75], v[68:69], -v[70:71]
	v_add_f64_e64 v[60:61], v[60:61], -v[70:71]
	s_delay_alu instid0(VALU_DEP_3) | instskip(NEXT) | instid1(VALU_DEP_3)
	v_ldexp_f64 v[70:71], v[76:77], -2
	v_add_f64_e64 v[66:67], v[66:67], -v[74:75]
	v_add_f64_e32 v[74:75], v[78:79], v[62:63]
	s_delay_alu instid0(VALU_DEP_3) | instskip(NEXT) | instid1(VALU_DEP_3)
	v_cmp_neq_f64_e64 vcc_lo, 0x7ff00000, |v[70:71]|
	v_add_f64_e32 v[60:61], v[60:61], v[66:67]
	v_fract_f64_e32 v[66:67], v[70:71]
	s_delay_alu instid0(VALU_DEP_1) | instskip(NEXT) | instid1(VALU_DEP_1)
	v_ldexp_f64 v[66:67], v[66:67], 2
	v_dual_add_f64 v[64:65], v[76:77], -v[64:65] :: v_dual_cndmask_b32 v66, 0, v66, vcc_lo
	s_delay_alu instid0(VALU_DEP_1) | instskip(SKIP_1) | instid1(VALU_DEP_1)
	v_dual_add_f64 v[64:65], v[68:69], -v[64:65] :: v_dual_cndmask_b32 v67, 0, v67, vcc_lo
	v_add_f64_e32 v[68:69], v[74:75], v[60:61]
	v_add_f64_e32 v[70:71], v[64:65], v[68:69]
	v_add_f64_e64 v[80:81], v[68:69], -v[74:75]
	s_delay_alu instid0(VALU_DEP_2) | instskip(NEXT) | instid1(VALU_DEP_2)
	v_add_f64_e32 v[76:77], v[70:71], v[66:67]
	v_add_f64_e64 v[86:87], v[68:69], -v[80:81]
	v_add_f64_e64 v[60:61], v[60:61], -v[80:81]
	;; [unrolled: 1-line block ×3, first 2 shown]
	s_delay_alu instid0(VALU_DEP_4) | instskip(SKIP_2) | instid1(VALU_DEP_2)
	v_cmp_gt_f64_e32 vcc_lo, 0, v[76:77]
	v_add_f64_e64 v[76:77], v[74:75], -v[78:79]
	v_cndmask_b32_e64 v21, 0, 0x40100000, vcc_lo
	v_add_f64_e64 v[84:85], v[74:75], -v[76:77]
	v_add_f64_e64 v[62:63], v[62:63], -v[76:77]
	;; [unrolled: 1-line block ×3, first 2 shown]
	s_delay_alu instid0(VALU_DEP_4) | instskip(NEXT) | instid1(VALU_DEP_4)
	v_add_f64_e32 v[66:67], v[66:67], v[20:21]
	v_add_f64_e64 v[76:77], v[78:79], -v[84:85]
	s_delay_alu instid0(VALU_DEP_3) | instskip(NEXT) | instid1(VALU_DEP_3)
	v_add_f64_e32 v[60:61], v[60:61], v[74:75]
	v_add_f64_e32 v[82:83], v[70:71], v[66:67]
	s_delay_alu instid0(VALU_DEP_3) | instskip(NEXT) | instid1(VALU_DEP_2)
	v_add_f64_e32 v[62:63], v[62:63], v[76:77]
	v_cvt_i32_f64_e32 v21, v[82:83]
	s_delay_alu instid0(VALU_DEP_2) | instskip(SKIP_1) | instid1(VALU_DEP_3)
	v_add_f64_e32 v[60:61], v[62:63], v[60:61]
	v_add_f64_e64 v[62:63], v[68:69], -v[64:65]
	v_cvt_f64_i32_e32 v[80:81], v21
	s_delay_alu instid0(VALU_DEP_3) | instskip(NEXT) | instid1(VALU_DEP_2)
	v_add_f64_e32 v[58:59], v[58:59], v[60:61]
	v_add_f64_e64 v[66:67], v[66:67], -v[80:81]
	s_delay_alu instid0(VALU_DEP_2) | instskip(NEXT) | instid1(VALU_DEP_2)
	v_add_f64_e32 v[58:59], v[62:63], v[58:59]
	v_add_f64_e32 v[72:73], v[70:71], v[66:67]
	s_delay_alu instid0(VALU_DEP_1) | instskip(SKIP_1) | instid1(VALU_DEP_2)
	v_add_f64_e64 v[60:61], v[72:73], -v[66:67]
	v_cmp_le_f64_e32 vcc_lo, 0.5, v[72:73]
	v_add_f64_e64 v[60:61], v[70:71], -v[60:61]
	v_add_co_ci_u32_e64 v62, null, 0, v21, vcc_lo
	v_cndmask_b32_e64 v21, 0, 0x3ff00000, vcc_lo
	s_delay_alu instid0(VALU_DEP_3) | instskip(NEXT) | instid1(VALU_DEP_2)
	v_add_f64_e32 v[58:59], v[58:59], v[60:61]
	v_add_f64_e64 v[60:61], v[72:73], -v[20:21]
	s_delay_alu instid0(VALU_DEP_1) | instskip(NEXT) | instid1(VALU_DEP_1)
	v_add_f64_e32 v[64:65], v[60:61], v[58:59]
	v_mul_f64_e32 v[66:67], 0x3ff921fb54442d18, v[64:65]
	v_add_f64_e64 v[60:61], v[64:65], -v[60:61]
	s_delay_alu instid0(VALU_DEP_2) | instskip(NEXT) | instid1(VALU_DEP_2)
	v_fma_f64 v[68:69], v[64:65], s[22:23], -v[66:67]
	v_add_f64_e64 v[58:59], v[58:59], -v[60:61]
	s_delay_alu instid0(VALU_DEP_2) | instskip(NEXT) | instid1(VALU_DEP_1)
	v_fmac_f64_e32 v[68:69], 0x3c91a62633145c07, v[64:65]
	v_fmac_f64_e32 v[68:69], 0x3ff921fb54442d18, v[58:59]
	s_delay_alu instid0(VALU_DEP_1) | instskip(NEXT) | instid1(VALU_DEP_1)
	v_add_f64_e32 v[58:59], v[66:67], v[68:69]
	v_add_f64_e64 v[60:61], v[58:59], -v[66:67]
	s_delay_alu instid0(VALU_DEP_1)
	v_add_f64_e64 v[60:61], v[68:69], -v[60:61]
	s_and_not1_saveexec_b32 s6, s6
	s_cbranch_execnz .LBB253_127
	s_branch .LBB253_128
.LBB253_126:                            ;   in Loop: Header=BB253_4 Depth=1
	s_and_not1_saveexec_b32 s6, s6
	s_cbranch_execz .LBB253_128
.LBB253_127:                            ;   in Loop: Header=BB253_4 Depth=1
	v_mul_f64_e64 v[58:59], |v[12:13]|, s[24:25]
	s_delay_alu instid0(VALU_DEP_1) | instskip(NEXT) | instid1(VALU_DEP_1)
	v_rndne_f64_e32 v[62:63], v[58:59]
	v_fma_f64 v[58:59], v[62:63], s[26:27], |v[12:13]|
	v_mul_f64_e32 v[60:61], 0xbc91a62633145c00, v[62:63]
	s_delay_alu instid0(VALU_DEP_2) | instskip(NEXT) | instid1(VALU_DEP_2)
	v_fmamk_f64 v[68:69], v[62:63], 0xbc91a62633145c00, v[58:59]
	v_add_f64_e32 v[64:65], v[58:59], v[60:61]
	s_delay_alu instid0(VALU_DEP_1) | instskip(NEXT) | instid1(VALU_DEP_3)
	v_add_f64_e64 v[66:67], v[58:59], -v[64:65]
	v_add_f64_e64 v[58:59], v[64:65], -v[68:69]
	s_delay_alu instid0(VALU_DEP_2) | instskip(SKIP_1) | instid1(VALU_DEP_2)
	v_add_f64_e32 v[64:65], v[66:67], v[60:61]
	v_fmamk_f64 v[60:61], v[62:63], 0x3c91a62633145c00, v[60:61]
	v_add_f64_e32 v[58:59], v[58:59], v[64:65]
	s_delay_alu instid0(VALU_DEP_1) | instskip(NEXT) | instid1(VALU_DEP_1)
	v_add_f64_e64 v[60:61], v[58:59], -v[60:61]
	v_fmac_f64_e32 v[60:61], 0xb97b839a252049c0, v[62:63]
	v_cvt_i32_f64_e32 v62, v[62:63]
	s_delay_alu instid0(VALU_DEP_2) | instskip(NEXT) | instid1(VALU_DEP_1)
	v_add_f64_e32 v[58:59], v[68:69], v[60:61]
	v_add_f64_e64 v[64:65], v[58:59], -v[68:69]
	s_delay_alu instid0(VALU_DEP_1)
	v_add_f64_e64 v[60:61], v[60:61], -v[64:65]
.LBB253_128:                            ;   in Loop: Header=BB253_4 Depth=1
	s_or_b32 exec_lo, exec_lo, s6
	v_mul_f64_e32 v[64:65], 0xbff71547652b82fe, v[10:11]
	v_mul_f64_e32 v[66:67], v[54:55], v[54:55]
	v_mul_f64_e32 v[68:69], v[58:59], v[58:59]
	s_delay_alu instid0(VALU_DEP_4)
	v_mul_f64_e32 v[80:81], 0.5, v[56:57]
	v_cmp_class_f64_e64 s6, v[12:13], 0x1f8
	v_lshlrev_b32_e32 v12, 30, v62
	v_cmp_ngt_f64_e64 s7, 0xc0900000, v[10:11]
	v_cmp_nlt_f64_e64 s8, 0x4090cc00, v[10:11]
	v_rndne_f64_e32 v[64:65], v[64:65]
	v_mul_f64_e32 v[70:71], 0.5, v[66:67]
	s_delay_alu instid0(VALU_DEP_2) | instskip(NEXT) | instid1(VALU_DEP_2)
	v_fma_f64 v[72:73], v[64:65], s[28:29], -v[10:11]
	v_add_f64_e64 v[76:77], -v[70:71], 1.0
	v_cvt_i32_f64_e32 v21, v[64:65]
	v_and_b32_e32 v10, 1, v62
	s_delay_alu instid0(VALU_DEP_1) | instskip(SKIP_3) | instid1(VALU_DEP_2)
	v_cmp_eq_u32_e64 s9, 0, v10
	v_mul_f64_e32 v[90:91], 0.5, v[60:61]
	v_fmac_f64_e32 v[72:73], 0xbc7abc9e3b39803f, v[64:65]
	v_add_f64_e64 v[84:85], -v[76:77], 1.0
	v_fmamk_f64 v[88:89], v[72:73], 0x3e5ade156a5dcb37, v[26:27]
	s_delay_alu instid0(VALU_DEP_2) | instskip(NEXT) | instid1(VALU_DEP_2)
	v_add_f64_e64 v[70:71], v[84:85], -v[70:71]
	v_fmaak_f64 v[88:89], v[72:73], v[88:89], 0x3ec71dee623fde64
	s_delay_alu instid0(VALU_DEP_1) | instskip(NEXT) | instid1(VALU_DEP_1)
	v_fmaak_f64 v[88:89], v[72:73], v[88:89], 0x3efa01997c89e6b0
	v_fmaak_f64 v[88:89], v[72:73], v[88:89], 0x3f2a01a014761f6e
	s_delay_alu instid0(VALU_DEP_1) | instskip(NEXT) | instid1(VALU_DEP_1)
	v_fmaak_f64 v[84:85], v[72:73], v[88:89], 0x3f56c16c1852b7b0
	;; [unrolled: 3-line block ×4, first 2 shown]
	v_fma_f64 v[84:85], v[72:73], v[84:85], 1.0
	s_delay_alu instid0(VALU_DEP_1) | instskip(NEXT) | instid1(VALU_DEP_1)
	v_fma_f64 v[64:65], v[72:73], v[84:85], 1.0
	v_ldexp_f64 v[64:65], v[64:65], v21
	v_dual_mul_f64 v[82:83], v[54:55], -v[66:67] :: v_dual_bitop2_b32 v21, 1, v52 bitop3:0x40
	v_fmamk_f64 v[86:87], v[66:67], 0x3de5e0b2f9a43bb8, v[42:43]
	v_lshlrev_b32_e32 v52, 30, v52
	v_mul_f64_e32 v[74:75], 0.5, v[68:69]
	v_mul_f64_e64 v[92:93], v[58:59], -v[68:69]
	v_fmamk_f64 v[96:97], v[68:69], 0x3de5e0b2f9a43bb8, v[42:43]
	v_mul_f64_e32 v[88:89], v[66:67], v[66:67]
	v_cmp_eq_u32_e32 vcc_lo, 0, v21
	v_fmaak_f64 v[86:87], v[66:67], v[86:87], 0x3ec71de3796cde01
	s_delay_alu instid0(VALU_DEP_1) | instskip(NEXT) | instid1(VALU_DEP_1)
	v_fmaak_f64 v[86:87], v[66:67], v[86:87], 0xbf2a01a019e83e5c
	v_fmaak_f64 v[86:87], v[66:67], v[86:87], 0x3f81111111110bb3
	v_cndmask_b32_e64 v13, 0x7ff00000, v65, s7
	s_delay_alu instid0(VALU_DEP_2) | instskip(SKIP_2) | instid1(VALU_DEP_2)
	v_fmac_f64_e32 v[80:81], v[82:83], v[86:87]
	v_fmaak_f64 v[86:87], v[68:69], v[96:97], 0x3ec71de3796cde01
	v_add_f64_e64 v[78:79], -v[74:75], 1.0
	v_fmaak_f64 v[86:87], v[68:69], v[86:87], 0xbf2a01a019e83e5c
	s_delay_alu instid0(VALU_DEP_1) | instskip(NEXT) | instid1(VALU_DEP_1)
	v_fmaak_f64 v[86:87], v[68:69], v[86:87], 0x3f81111111110bb3
	v_fmac_f64_e32 v[90:91], v[92:93], v[86:87]
	v_fmamk_f64 v[86:87], v[66:67], 0xbda907db46cc5e42, v[28:29]
	v_fma_f64 v[80:81], v[66:67], v[80:81], -v[56:57]
	v_fma_f64 v[56:57], v[54:55], -v[56:57], v[70:71]
	s_delay_alu instid0(VALU_DEP_3) | instskip(SKIP_2) | instid1(VALU_DEP_3)
	v_fmaak_f64 v[70:71], v[66:67], v[86:87], 0xbe927e4fa17f65f6
	v_add_f64_e64 v[94:95], -v[78:79], 1.0
	v_mul_f64_e32 v[86:87], v[68:69], v[68:69]
	v_fmaak_f64 v[70:71], v[66:67], v[70:71], 0x3efa01a019f4ec90
	s_delay_alu instid0(VALU_DEP_1) | instskip(NEXT) | instid1(VALU_DEP_1)
	v_fmaak_f64 v[70:71], v[66:67], v[70:71], 0xbf56c16c16c16967
	v_fmaak_f64 v[66:67], v[66:67], v[70:71], 0x3fa5555555555555
	v_fma_f64 v[70:71], v[68:69], v[90:91], -v[60:61]
	v_fmac_f64_e32 v[80:81], 0xbfc5555555555555, v[82:83]
	s_delay_alu instid0(VALU_DEP_3) | instskip(NEXT) | instid1(VALU_DEP_3)
	v_fmac_f64_e32 v[56:57], v[88:89], v[66:67]
	v_fmac_f64_e32 v[70:71], 0xbfc5555555555555, v[92:93]
	s_delay_alu instid0(VALU_DEP_3) | instskip(NEXT) | instid1(VALU_DEP_3)
	v_add_f64_e64 v[54:55], v[54:55], -v[80:81]
	v_add_f64_e32 v[56:57], v[76:77], v[56:57]
	s_delay_alu instid0(VALU_DEP_2) | instskip(NEXT) | instid1(VALU_DEP_2)
	v_xor_b32_e32 v11, 0x80000000, v55
	v_cndmask_b32_e32 v21, v54, v56, vcc_lo
	v_add_f64_e64 v[74:75], v[94:95], -v[74:75]
	v_fmamk_f64 v[94:95], v[68:69], 0xbda907db46cc5e42, v[28:29]
	s_delay_alu instid0(VALU_DEP_4) | instskip(SKIP_2) | instid1(VALU_DEP_2)
	v_cndmask_b32_e32 v10, v11, v57, vcc_lo
	s_and_b32 vcc_lo, s8, s7
	v_xor_b32_e32 v11, v12, v53
	v_bitop3_b32 v52, v10, v52, 0x80000000 bitop3:0x78
	v_cndmask_b32_e64 v10, 0, v21, s6
	v_fma_f64 v[60:61], v[58:59], -v[60:61], v[74:75]
	v_fmaak_f64 v[74:75], v[68:69], v[94:95], 0xbe927e4fa17f65f6
	v_add_f64_e64 v[58:59], v[58:59], -v[70:71]
	s_delay_alu instid0(VALU_DEP_2) | instskip(NEXT) | instid1(VALU_DEP_1)
	v_fmaak_f64 v[66:67], v[68:69], v[74:75], 0x3efa01a019f4ec90
	v_fmaak_f64 v[66:67], v[68:69], v[66:67], 0xbf56c16c16c16967
	s_delay_alu instid0(VALU_DEP_1) | instskip(NEXT) | instid1(VALU_DEP_1)
	v_fmaak_f64 v[66:67], v[68:69], v[66:67], 0x3fa5555555555555
	v_fmac_f64_e32 v[60:61], v[86:87], v[66:67]
	s_delay_alu instid0(VALU_DEP_1) | instskip(NEXT) | instid1(VALU_DEP_1)
	v_add_f64_e32 v[60:61], v[78:79], v[60:61]
	v_cndmask_b32_e64 v53, v61, v59, s9
	s_delay_alu instid0(VALU_DEP_1) | instskip(SKIP_1) | instid1(VALU_DEP_4)
	v_bitop3_b32 v21, v53, v11, 0x80000000 bitop3:0x78
	v_cndmask_b32_e64 v11, 0x7ff80000, v52, s6
	v_dual_cndmask_b32 v52, 0, v64, vcc_lo :: v_dual_cndmask_b32 v12, v60, v58, s9
	v_cndmask_b32_e64 v53, 0, v13, s8
	s_delay_alu instid0(VALU_DEP_4) | instskip(NEXT) | instid1(VALU_DEP_2)
	v_cndmask_b32_e64 v13, 0x7ff80000, v21, s6
	v_dual_mul_f64 v[54:55], v[52:53], v[10:11] :: v_dual_cndmask_b32 v12, 0, v12, s6
	s_delay_alu instid0(VALU_DEP_1)
	v_mul_f64_e32 v[52:53], v[52:53], v[12:13]
                                        ; implicit-def: $vgpr12_vgpr13
.LBB253_129:                            ;   in Loop: Header=BB253_4 Depth=1
	s_and_not1_saveexec_b32 s43, s43
	s_cbranch_execz .LBB253_139
; %bb.130:                              ;   in Loop: Header=BB253_4 Depth=1
	v_cmp_ngt_f64_e64 s6, 0x41d00000, |v[12:13]|
                                        ; implicit-def: $vgpr52
                                        ; implicit-def: $vgpr54_vgpr55
                                        ; implicit-def: $vgpr56_vgpr57
	s_and_saveexec_b32 s7, s6
	s_delay_alu instid0(SALU_CYCLE_1)
	s_xor_b32 s7, exec_lo, s7
	s_cbranch_execz .LBB253_132
; %bb.131:                              ;   in Loop: Header=BB253_4 Depth=1
	v_ldexp_f64 v[54:55], |v[12:13]|, 0xffffff80
	v_cmp_le_f64_e64 vcc_lo, 0x7b000000, |v[12:13]|
	v_trig_preop_f64 v[56:57], |v[12:13]|, 0
	v_and_b32_e32 v21, 0x7fffffff, v13
	v_trig_preop_f64 v[58:59], |v[12:13]|, 1
	v_trig_preop_f64 v[68:69], |v[12:13]|, 2
	s_delay_alu instid0(VALU_DEP_3) | instskip(NEXT) | instid1(VALU_DEP_1)
	v_dual_cndmask_b32 v55, v21, v55 :: v_dual_cndmask_b32 v54, v12, v54
	v_mul_f64_e32 v[60:61], v[56:57], v[54:55]
	s_delay_alu instid0(VALU_DEP_4) | instskip(NEXT) | instid1(VALU_DEP_4)
	v_mul_f64_e32 v[62:63], v[58:59], v[54:55]
	v_mul_f64_e32 v[74:75], v[68:69], v[54:55]
	s_delay_alu instid0(VALU_DEP_3) | instskip(NEXT) | instid1(VALU_DEP_3)
	v_fma_f64 v[56:57], v[56:57], v[54:55], -v[60:61]
	v_fma_f64 v[58:59], v[58:59], v[54:55], -v[62:63]
	s_delay_alu instid0(VALU_DEP_3) | instskip(NEXT) | instid1(VALU_DEP_3)
	v_fma_f64 v[54:55], v[68:69], v[54:55], -v[74:75]
	v_add_f64_e32 v[64:65], v[62:63], v[56:57]
	s_delay_alu instid0(VALU_DEP_1) | instskip(SKIP_1) | instid1(VALU_DEP_2)
	v_add_f64_e64 v[66:67], v[64:65], -v[62:63]
	v_add_f64_e32 v[72:73], v[60:61], v[64:65]
	v_add_f64_e64 v[70:71], v[64:65], -v[66:67]
	v_add_f64_e64 v[56:57], v[56:57], -v[66:67]
	s_delay_alu instid0(VALU_DEP_3) | instskip(NEXT) | instid1(VALU_DEP_3)
	v_ldexp_f64 v[66:67], v[72:73], -2
	v_add_f64_e64 v[62:63], v[62:63], -v[70:71]
	v_add_f64_e32 v[70:71], v[74:75], v[58:59]
	s_delay_alu instid0(VALU_DEP_3) | instskip(NEXT) | instid1(VALU_DEP_3)
	v_cmp_neq_f64_e64 vcc_lo, 0x7ff00000, |v[66:67]|
	v_add_f64_e32 v[56:57], v[56:57], v[62:63]
	v_fract_f64_e32 v[62:63], v[66:67]
	s_delay_alu instid0(VALU_DEP_1) | instskip(NEXT) | instid1(VALU_DEP_1)
	v_ldexp_f64 v[62:63], v[62:63], 2
	v_dual_add_f64 v[60:61], v[72:73], -v[60:61] :: v_dual_cndmask_b32 v62, 0, v62, vcc_lo
	s_delay_alu instid0(VALU_DEP_1) | instskip(SKIP_1) | instid1(VALU_DEP_1)
	v_dual_add_f64 v[60:61], v[64:65], -v[60:61] :: v_dual_cndmask_b32 v63, 0, v63, vcc_lo
	v_add_f64_e32 v[64:65], v[70:71], v[56:57]
	v_add_f64_e32 v[66:67], v[60:61], v[64:65]
	v_add_f64_e64 v[76:77], v[64:65], -v[70:71]
	s_delay_alu instid0(VALU_DEP_2) | instskip(NEXT) | instid1(VALU_DEP_2)
	v_add_f64_e32 v[72:73], v[66:67], v[62:63]
	v_add_f64_e64 v[82:83], v[64:65], -v[76:77]
	v_add_f64_e64 v[56:57], v[56:57], -v[76:77]
	v_add_f64_e64 v[60:61], v[66:67], -v[60:61]
	s_delay_alu instid0(VALU_DEP_4) | instskip(SKIP_1) | instid1(VALU_DEP_3)
	v_cmp_gt_f64_e32 vcc_lo, 0, v[72:73]
	v_add_f64_e64 v[72:73], v[70:71], -v[74:75]
	v_add_f64_e64 v[60:61], v[64:65], -v[60:61]
	v_cndmask_b32_e64 v21, 0, 0x40100000, vcc_lo
	s_delay_alu instid0(VALU_DEP_3) | instskip(SKIP_2) | instid1(VALU_DEP_4)
	v_add_f64_e64 v[80:81], v[70:71], -v[72:73]
	v_add_f64_e64 v[58:59], v[58:59], -v[72:73]
	v_add_f64_e64 v[70:71], v[70:71], -v[82:83]
	v_add_f64_e32 v[62:63], v[62:63], v[20:21]
	s_delay_alu instid0(VALU_DEP_4) | instskip(NEXT) | instid1(VALU_DEP_3)
	v_add_f64_e64 v[72:73], v[74:75], -v[80:81]
	v_add_f64_e32 v[56:57], v[56:57], v[70:71]
	s_delay_alu instid0(VALU_DEP_3) | instskip(NEXT) | instid1(VALU_DEP_3)
	v_add_f64_e32 v[78:79], v[66:67], v[62:63]
	v_add_f64_e32 v[58:59], v[58:59], v[72:73]
	s_delay_alu instid0(VALU_DEP_2) | instskip(NEXT) | instid1(VALU_DEP_2)
	v_cvt_i32_f64_e32 v21, v[78:79]
	v_add_f64_e32 v[56:57], v[58:59], v[56:57]
	s_delay_alu instid0(VALU_DEP_2) | instskip(NEXT) | instid1(VALU_DEP_2)
	v_cvt_f64_i32_e32 v[76:77], v21
	v_add_f64_e32 v[54:55], v[54:55], v[56:57]
	s_delay_alu instid0(VALU_DEP_2) | instskip(NEXT) | instid1(VALU_DEP_2)
	v_add_f64_e64 v[62:63], v[62:63], -v[76:77]
	v_add_f64_e32 v[54:55], v[60:61], v[54:55]
	s_delay_alu instid0(VALU_DEP_2) | instskip(NEXT) | instid1(VALU_DEP_1)
	v_add_f64_e32 v[58:59], v[66:67], v[62:63]
	v_add_f64_e64 v[56:57], v[58:59], -v[62:63]
	v_cmp_le_f64_e32 vcc_lo, 0.5, v[58:59]
	s_delay_alu instid0(VALU_DEP_2) | instskip(SKIP_2) | instid1(VALU_DEP_3)
	v_add_f64_e64 v[56:57], v[66:67], -v[56:57]
	v_add_co_ci_u32_e64 v52, null, 0, v21, vcc_lo
	v_cndmask_b32_e64 v21, 0, 0x3ff00000, vcc_lo
	v_add_f64_e32 v[54:55], v[54:55], v[56:57]
	s_delay_alu instid0(VALU_DEP_2) | instskip(NEXT) | instid1(VALU_DEP_1)
	v_add_f64_e64 v[56:57], v[58:59], -v[20:21]
	v_add_f64_e32 v[58:59], v[56:57], v[54:55]
	s_delay_alu instid0(VALU_DEP_1) | instskip(SKIP_1) | instid1(VALU_DEP_2)
	v_mul_f64_e32 v[60:61], 0x3ff921fb54442d18, v[58:59]
	v_add_f64_e64 v[56:57], v[58:59], -v[56:57]
	v_fma_f64 v[62:63], v[58:59], s[22:23], -v[60:61]
	s_delay_alu instid0(VALU_DEP_2) | instskip(NEXT) | instid1(VALU_DEP_2)
	v_add_f64_e64 v[54:55], v[54:55], -v[56:57]
	v_fmac_f64_e32 v[62:63], 0x3c91a62633145c07, v[58:59]
	s_delay_alu instid0(VALU_DEP_1) | instskip(NEXT) | instid1(VALU_DEP_1)
	v_fmac_f64_e32 v[62:63], 0x3ff921fb54442d18, v[54:55]
	v_add_f64_e32 v[54:55], v[60:61], v[62:63]
	s_delay_alu instid0(VALU_DEP_1) | instskip(NEXT) | instid1(VALU_DEP_1)
	v_add_f64_e64 v[56:57], v[54:55], -v[60:61]
	v_add_f64_e64 v[56:57], v[62:63], -v[56:57]
	s_and_not1_saveexec_b32 s7, s7
	s_cbranch_execz .LBB253_134
	s_branch .LBB253_133
.LBB253_132:                            ;   in Loop: Header=BB253_4 Depth=1
	s_and_not1_saveexec_b32 s7, s7
	s_cbranch_execz .LBB253_134
.LBB253_133:                            ;   in Loop: Header=BB253_4 Depth=1
	v_mul_f64_e64 v[54:55], |v[12:13]|, s[24:25]
	s_delay_alu instid0(VALU_DEP_1) | instskip(NEXT) | instid1(VALU_DEP_1)
	v_rndne_f64_e32 v[58:59], v[54:55]
	v_fma_f64 v[54:55], v[58:59], s[26:27], |v[12:13]|
	v_mul_f64_e32 v[56:57], 0xbc91a62633145c00, v[58:59]
	v_cvt_i32_f64_e32 v52, v[58:59]
	s_delay_alu instid0(VALU_DEP_3) | instskip(NEXT) | instid1(VALU_DEP_3)
	v_fmamk_f64 v[64:65], v[58:59], 0xbc91a62633145c00, v[54:55]
	v_add_f64_e32 v[60:61], v[54:55], v[56:57]
	s_delay_alu instid0(VALU_DEP_1) | instskip(NEXT) | instid1(VALU_DEP_3)
	v_add_f64_e64 v[62:63], v[54:55], -v[60:61]
	v_add_f64_e64 v[54:55], v[60:61], -v[64:65]
	s_delay_alu instid0(VALU_DEP_2) | instskip(SKIP_1) | instid1(VALU_DEP_2)
	v_add_f64_e32 v[60:61], v[62:63], v[56:57]
	v_fmamk_f64 v[56:57], v[58:59], 0x3c91a62633145c00, v[56:57]
	v_add_f64_e32 v[54:55], v[54:55], v[60:61]
	s_delay_alu instid0(VALU_DEP_1) | instskip(NEXT) | instid1(VALU_DEP_1)
	v_add_f64_e64 v[56:57], v[54:55], -v[56:57]
	v_fmac_f64_e32 v[56:57], 0xb97b839a252049c0, v[58:59]
	s_delay_alu instid0(VALU_DEP_1) | instskip(NEXT) | instid1(VALU_DEP_1)
	v_add_f64_e32 v[54:55], v[64:65], v[56:57]
	v_add_f64_e64 v[60:61], v[54:55], -v[64:65]
	s_delay_alu instid0(VALU_DEP_1)
	v_add_f64_e64 v[56:57], v[56:57], -v[60:61]
.LBB253_134:                            ;   in Loop: Header=BB253_4 Depth=1
	s_or_b32 exec_lo, exec_lo, s7
                                        ; implicit-def: $vgpr62
                                        ; implicit-def: $vgpr58_vgpr59
                                        ; implicit-def: $vgpr60_vgpr61
	s_and_saveexec_b32 s7, s6
	s_delay_alu instid0(SALU_CYCLE_1)
	s_xor_b32 s6, exec_lo, s7
	s_cbranch_execz .LBB253_136
; %bb.135:                              ;   in Loop: Header=BB253_4 Depth=1
	v_ldexp_f64 v[58:59], |v[12:13]|, 0xffffff80
	v_cmp_le_f64_e64 vcc_lo, 0x7b000000, |v[12:13]|
	v_trig_preop_f64 v[60:61], |v[12:13]|, 0
	v_and_b32_e32 v21, 0x7fffffff, v13
	v_trig_preop_f64 v[62:63], |v[12:13]|, 1
	v_trig_preop_f64 v[72:73], |v[12:13]|, 2
	s_delay_alu instid0(VALU_DEP_3) | instskip(NEXT) | instid1(VALU_DEP_1)
	v_dual_cndmask_b32 v59, v21, v59 :: v_dual_cndmask_b32 v58, v12, v58
	v_mul_f64_e32 v[64:65], v[60:61], v[58:59]
	s_delay_alu instid0(VALU_DEP_4) | instskip(NEXT) | instid1(VALU_DEP_4)
	v_mul_f64_e32 v[66:67], v[62:63], v[58:59]
	v_mul_f64_e32 v[78:79], v[72:73], v[58:59]
	s_delay_alu instid0(VALU_DEP_3) | instskip(NEXT) | instid1(VALU_DEP_3)
	v_fma_f64 v[60:61], v[60:61], v[58:59], -v[64:65]
	v_fma_f64 v[62:63], v[62:63], v[58:59], -v[66:67]
	s_delay_alu instid0(VALU_DEP_3) | instskip(NEXT) | instid1(VALU_DEP_3)
	v_fma_f64 v[58:59], v[72:73], v[58:59], -v[78:79]
	v_add_f64_e32 v[68:69], v[66:67], v[60:61]
	s_delay_alu instid0(VALU_DEP_1) | instskip(SKIP_1) | instid1(VALU_DEP_2)
	v_add_f64_e64 v[70:71], v[68:69], -v[66:67]
	v_add_f64_e32 v[76:77], v[64:65], v[68:69]
	v_add_f64_e64 v[74:75], v[68:69], -v[70:71]
	v_add_f64_e64 v[60:61], v[60:61], -v[70:71]
	s_delay_alu instid0(VALU_DEP_3) | instskip(NEXT) | instid1(VALU_DEP_3)
	v_ldexp_f64 v[70:71], v[76:77], -2
	v_add_f64_e64 v[66:67], v[66:67], -v[74:75]
	v_add_f64_e32 v[74:75], v[78:79], v[62:63]
	s_delay_alu instid0(VALU_DEP_3) | instskip(NEXT) | instid1(VALU_DEP_3)
	v_cmp_neq_f64_e64 vcc_lo, 0x7ff00000, |v[70:71]|
	v_add_f64_e32 v[60:61], v[60:61], v[66:67]
	v_fract_f64_e32 v[66:67], v[70:71]
	s_delay_alu instid0(VALU_DEP_1) | instskip(NEXT) | instid1(VALU_DEP_1)
	v_ldexp_f64 v[66:67], v[66:67], 2
	v_dual_add_f64 v[64:65], v[76:77], -v[64:65] :: v_dual_cndmask_b32 v66, 0, v66, vcc_lo
	s_delay_alu instid0(VALU_DEP_1) | instskip(SKIP_1) | instid1(VALU_DEP_1)
	v_dual_add_f64 v[64:65], v[68:69], -v[64:65] :: v_dual_cndmask_b32 v67, 0, v67, vcc_lo
	v_add_f64_e32 v[68:69], v[74:75], v[60:61]
	v_add_f64_e32 v[70:71], v[64:65], v[68:69]
	v_add_f64_e64 v[80:81], v[68:69], -v[74:75]
	s_delay_alu instid0(VALU_DEP_2) | instskip(NEXT) | instid1(VALU_DEP_2)
	v_add_f64_e32 v[76:77], v[70:71], v[66:67]
	v_add_f64_e64 v[86:87], v[68:69], -v[80:81]
	v_add_f64_e64 v[60:61], v[60:61], -v[80:81]
	;; [unrolled: 1-line block ×3, first 2 shown]
	s_delay_alu instid0(VALU_DEP_4) | instskip(SKIP_2) | instid1(VALU_DEP_2)
	v_cmp_gt_f64_e32 vcc_lo, 0, v[76:77]
	v_add_f64_e64 v[76:77], v[74:75], -v[78:79]
	v_cndmask_b32_e64 v21, 0, 0x40100000, vcc_lo
	v_add_f64_e64 v[84:85], v[74:75], -v[76:77]
	v_add_f64_e64 v[62:63], v[62:63], -v[76:77]
	;; [unrolled: 1-line block ×3, first 2 shown]
	s_delay_alu instid0(VALU_DEP_4) | instskip(NEXT) | instid1(VALU_DEP_4)
	v_add_f64_e32 v[66:67], v[66:67], v[20:21]
	v_add_f64_e64 v[76:77], v[78:79], -v[84:85]
	s_delay_alu instid0(VALU_DEP_3) | instskip(NEXT) | instid1(VALU_DEP_3)
	v_add_f64_e32 v[60:61], v[60:61], v[74:75]
	v_add_f64_e32 v[82:83], v[70:71], v[66:67]
	s_delay_alu instid0(VALU_DEP_3) | instskip(NEXT) | instid1(VALU_DEP_2)
	v_add_f64_e32 v[62:63], v[62:63], v[76:77]
	v_cvt_i32_f64_e32 v21, v[82:83]
	s_delay_alu instid0(VALU_DEP_2) | instskip(SKIP_1) | instid1(VALU_DEP_3)
	v_add_f64_e32 v[60:61], v[62:63], v[60:61]
	v_add_f64_e64 v[62:63], v[68:69], -v[64:65]
	v_cvt_f64_i32_e32 v[80:81], v21
	s_delay_alu instid0(VALU_DEP_3) | instskip(NEXT) | instid1(VALU_DEP_2)
	v_add_f64_e32 v[58:59], v[58:59], v[60:61]
	v_add_f64_e64 v[66:67], v[66:67], -v[80:81]
	s_delay_alu instid0(VALU_DEP_2) | instskip(NEXT) | instid1(VALU_DEP_2)
	v_add_f64_e32 v[58:59], v[62:63], v[58:59]
	v_add_f64_e32 v[72:73], v[70:71], v[66:67]
	s_delay_alu instid0(VALU_DEP_1) | instskip(SKIP_1) | instid1(VALU_DEP_2)
	v_add_f64_e64 v[60:61], v[72:73], -v[66:67]
	v_cmp_le_f64_e32 vcc_lo, 0.5, v[72:73]
	v_add_f64_e64 v[60:61], v[70:71], -v[60:61]
	v_add_co_ci_u32_e64 v62, null, 0, v21, vcc_lo
	v_cndmask_b32_e64 v21, 0, 0x3ff00000, vcc_lo
	s_delay_alu instid0(VALU_DEP_3) | instskip(NEXT) | instid1(VALU_DEP_2)
	v_add_f64_e32 v[58:59], v[58:59], v[60:61]
	v_add_f64_e64 v[60:61], v[72:73], -v[20:21]
	s_delay_alu instid0(VALU_DEP_1) | instskip(NEXT) | instid1(VALU_DEP_1)
	v_add_f64_e32 v[64:65], v[60:61], v[58:59]
	v_mul_f64_e32 v[66:67], 0x3ff921fb54442d18, v[64:65]
	v_add_f64_e64 v[60:61], v[64:65], -v[60:61]
	s_delay_alu instid0(VALU_DEP_2) | instskip(NEXT) | instid1(VALU_DEP_2)
	v_fma_f64 v[68:69], v[64:65], s[22:23], -v[66:67]
	v_add_f64_e64 v[58:59], v[58:59], -v[60:61]
	s_delay_alu instid0(VALU_DEP_2) | instskip(NEXT) | instid1(VALU_DEP_1)
	v_fmac_f64_e32 v[68:69], 0x3c91a62633145c07, v[64:65]
	v_fmac_f64_e32 v[68:69], 0x3ff921fb54442d18, v[58:59]
	s_delay_alu instid0(VALU_DEP_1) | instskip(NEXT) | instid1(VALU_DEP_1)
	v_add_f64_e32 v[58:59], v[66:67], v[68:69]
	v_add_f64_e64 v[60:61], v[58:59], -v[66:67]
	s_delay_alu instid0(VALU_DEP_1)
	v_add_f64_e64 v[60:61], v[68:69], -v[60:61]
	s_and_not1_saveexec_b32 s6, s6
	s_cbranch_execnz .LBB253_137
	s_branch .LBB253_138
.LBB253_136:                            ;   in Loop: Header=BB253_4 Depth=1
	s_and_not1_saveexec_b32 s6, s6
	s_cbranch_execz .LBB253_138
.LBB253_137:                            ;   in Loop: Header=BB253_4 Depth=1
	v_mul_f64_e64 v[58:59], |v[12:13]|, s[24:25]
	s_delay_alu instid0(VALU_DEP_1) | instskip(NEXT) | instid1(VALU_DEP_1)
	v_rndne_f64_e32 v[62:63], v[58:59]
	v_fma_f64 v[58:59], v[62:63], s[26:27], |v[12:13]|
	v_mul_f64_e32 v[60:61], 0xbc91a62633145c00, v[62:63]
	s_delay_alu instid0(VALU_DEP_2) | instskip(NEXT) | instid1(VALU_DEP_2)
	v_fmamk_f64 v[68:69], v[62:63], 0xbc91a62633145c00, v[58:59]
	v_add_f64_e32 v[64:65], v[58:59], v[60:61]
	s_delay_alu instid0(VALU_DEP_1) | instskip(NEXT) | instid1(VALU_DEP_3)
	v_add_f64_e64 v[66:67], v[58:59], -v[64:65]
	v_add_f64_e64 v[58:59], v[64:65], -v[68:69]
	s_delay_alu instid0(VALU_DEP_2) | instskip(SKIP_1) | instid1(VALU_DEP_2)
	v_add_f64_e32 v[64:65], v[66:67], v[60:61]
	v_fmamk_f64 v[60:61], v[62:63], 0x3c91a62633145c00, v[60:61]
	v_add_f64_e32 v[58:59], v[58:59], v[64:65]
	s_delay_alu instid0(VALU_DEP_1) | instskip(NEXT) | instid1(VALU_DEP_1)
	v_add_f64_e64 v[60:61], v[58:59], -v[60:61]
	v_fmac_f64_e32 v[60:61], 0xb97b839a252049c0, v[62:63]
	v_cvt_i32_f64_e32 v62, v[62:63]
	s_delay_alu instid0(VALU_DEP_2) | instskip(NEXT) | instid1(VALU_DEP_1)
	v_add_f64_e32 v[58:59], v[68:69], v[60:61]
	v_add_f64_e64 v[64:65], v[58:59], -v[68:69]
	s_delay_alu instid0(VALU_DEP_1)
	v_add_f64_e64 v[60:61], v[60:61], -v[64:65]
.LBB253_138:                            ;   in Loop: Header=BB253_4 Depth=1
	s_or_b32 exec_lo, exec_lo, s6
	v_add_f64_e64 v[10:11], -v[10:11], s[36:37]
	v_mul_f64_e32 v[66:67], v[54:55], v[54:55]
	v_mul_f64_e32 v[68:69], v[58:59], v[58:59]
	s_delay_alu instid0(VALU_DEP_4)
	v_mul_f64_e32 v[80:81], 0.5, v[56:57]
	v_cmp_class_f64_e64 s6, v[12:13], 0x1f8
	v_lshlrev_b32_e32 v13, 30, v62
	v_mul_f64_e32 v[64:65], 0x3ff71547652b82fe, v[10:11]
	v_mul_f64_e32 v[70:71], 0.5, v[66:67]
	v_cmp_nlt_f64_e64 s7, 0x40900000, v[10:11]
	v_cmp_ngt_f64_e64 s8, 0xc090cc00, v[10:11]
	s_delay_alu instid0(VALU_DEP_4) | instskip(NEXT) | instid1(VALU_DEP_4)
	v_rndne_f64_e32 v[64:65], v[64:65]
	v_add_f64_e64 v[76:77], -v[70:71], 1.0
	s_delay_alu instid0(VALU_DEP_2) | instskip(NEXT) | instid1(VALU_DEP_2)
	v_fmamk_f64 v[74:75], v[64:65], 0xbfe62e42fefa39ef, v[10:11]
	v_add_f64_e64 v[84:85], -v[76:77], 1.0
	v_cvt_i32_f64_e32 v21, v[64:65]
	v_and_b32_e32 v10, 1, v62
	s_delay_alu instid0(VALU_DEP_4) | instskip(NEXT) | instid1(VALU_DEP_2)
	v_fmac_f64_e32 v[74:75], 0xbc7abc9e3b39803f, v[64:65]
	v_cmp_eq_u32_e64 s9, 0, v10
	v_mul_f64_e32 v[90:91], 0.5, v[60:61]
	v_add_f64_e64 v[70:71], v[84:85], -v[70:71]
	s_delay_alu instid0(VALU_DEP_4) | instskip(NEXT) | instid1(VALU_DEP_1)
	v_fmamk_f64 v[88:89], v[74:75], 0x3e5ade156a5dcb37, v[26:27]
	v_fmaak_f64 v[88:89], v[74:75], v[88:89], 0x3ec71dee623fde64
	s_delay_alu instid0(VALU_DEP_1) | instskip(NEXT) | instid1(VALU_DEP_1)
	v_fmaak_f64 v[88:89], v[74:75], v[88:89], 0x3efa01997c89e6b0
	v_fmaak_f64 v[88:89], v[74:75], v[88:89], 0x3f2a01a014761f6e
	s_delay_alu instid0(VALU_DEP_1) | instskip(NEXT) | instid1(VALU_DEP_1)
	v_fmaak_f64 v[84:85], v[74:75], v[88:89], 0x3f56c16c1852b7b0
	;; [unrolled: 3-line block ×4, first 2 shown]
	v_fma_f64 v[84:85], v[74:75], v[84:85], 1.0
	s_delay_alu instid0(VALU_DEP_1) | instskip(NEXT) | instid1(VALU_DEP_1)
	v_fma_f64 v[64:65], v[74:75], v[84:85], 1.0
	v_ldexp_f64 v[64:65], v[64:65], v21
	v_dual_mul_f64 v[82:83], v[54:55], -v[66:67] :: v_dual_bitop2_b32 v21, 1, v52 bitop3:0x40
	v_fmamk_f64 v[86:87], v[66:67], 0x3de5e0b2f9a43bb8, v[42:43]
	v_lshlrev_b32_e32 v52, 30, v52
	v_mul_f64_e32 v[72:73], 0.5, v[68:69]
	v_mul_f64_e64 v[92:93], v[58:59], -v[68:69]
	v_fmamk_f64 v[96:97], v[68:69], 0x3de5e0b2f9a43bb8, v[42:43]
	v_cmp_eq_u32_e32 vcc_lo, 0, v21
	v_fmaak_f64 v[86:87], v[66:67], v[86:87], 0x3ec71de3796cde01
	s_delay_alu instid0(VALU_DEP_1) | instskip(NEXT) | instid1(VALU_DEP_1)
	v_fmaak_f64 v[86:87], v[66:67], v[86:87], 0xbf2a01a019e83e5c
	v_fmaak_f64 v[86:87], v[66:67], v[86:87], 0x3f81111111110bb3
	v_cndmask_b32_e64 v12, 0x7ff00000, v65, s7
	v_mul_f64_e32 v[88:89], v[66:67], v[66:67]
	s_delay_alu instid0(VALU_DEP_3) | instskip(SKIP_2) | instid1(VALU_DEP_2)
	v_fmac_f64_e32 v[80:81], v[82:83], v[86:87]
	v_fmaak_f64 v[86:87], v[68:69], v[96:97], 0x3ec71de3796cde01
	v_add_f64_e64 v[78:79], -v[72:73], 1.0
	v_fmaak_f64 v[86:87], v[68:69], v[86:87], 0xbf2a01a019e83e5c
	s_delay_alu instid0(VALU_DEP_1) | instskip(NEXT) | instid1(VALU_DEP_1)
	v_fmaak_f64 v[86:87], v[68:69], v[86:87], 0x3f81111111110bb3
	v_fmac_f64_e32 v[90:91], v[92:93], v[86:87]
	v_fmamk_f64 v[86:87], v[66:67], 0xbda907db46cc5e42, v[28:29]
	v_fma_f64 v[80:81], v[66:67], v[80:81], -v[56:57]
	v_fma_f64 v[56:57], v[54:55], -v[56:57], v[70:71]
	s_delay_alu instid0(VALU_DEP_3) | instskip(SKIP_2) | instid1(VALU_DEP_3)
	v_fmaak_f64 v[70:71], v[66:67], v[86:87], 0xbe927e4fa17f65f6
	v_add_f64_e64 v[94:95], -v[78:79], 1.0
	v_mul_f64_e32 v[86:87], v[68:69], v[68:69]
	v_fmaak_f64 v[70:71], v[66:67], v[70:71], 0x3efa01a019f4ec90
	s_delay_alu instid0(VALU_DEP_1) | instskip(NEXT) | instid1(VALU_DEP_1)
	v_fmaak_f64 v[70:71], v[66:67], v[70:71], 0xbf56c16c16c16967
	v_fmaak_f64 v[66:67], v[66:67], v[70:71], 0x3fa5555555555555
	v_fmac_f64_e32 v[80:81], 0xbfc5555555555555, v[82:83]
	s_delay_alu instid0(VALU_DEP_2) | instskip(NEXT) | instid1(VALU_DEP_2)
	v_fmac_f64_e32 v[56:57], v[88:89], v[66:67]
	v_add_f64_e64 v[54:55], v[54:55], -v[80:81]
	s_delay_alu instid0(VALU_DEP_2) | instskip(NEXT) | instid1(VALU_DEP_2)
	v_add_f64_e32 v[56:57], v[76:77], v[56:57]
	v_xor_b32_e32 v11, 0x80000000, v55
	s_delay_alu instid0(VALU_DEP_2)
	v_cndmask_b32_e32 v21, v54, v56, vcc_lo
	v_cndmask_b32_e64 v54, 0, v12, s8
	v_add_f64_e64 v[72:73], v[94:95], -v[72:73]
	v_fmamk_f64 v[94:95], v[68:69], 0xbda907db46cc5e42, v[28:29]
	v_dual_fma_f64 v[70:71], v[68:69], v[90:91], -v[60:61] :: v_dual_cndmask_b32 v10, v11, v57, vcc_lo
	v_xor_b32_e32 v11, v13, v53
	s_and_b32 vcc_lo, s8, s7
	s_delay_alu instid0(VALU_DEP_2) | instskip(SKIP_4) | instid1(VALU_DEP_2)
	v_bitop3_b32 v52, v10, v52, 0x80000000 bitop3:0x78
	v_cndmask_b32_e64 v10, 0, v21, s6
	v_fma_f64 v[60:61], v[58:59], -v[60:61], v[72:73]
	v_fmaak_f64 v[72:73], v[68:69], v[94:95], 0xbe927e4fa17f65f6
	v_fmac_f64_e32 v[70:71], 0xbfc5555555555555, v[92:93]
	v_fmaak_f64 v[66:67], v[68:69], v[72:73], 0x3efa01a019f4ec90
	s_delay_alu instid0(VALU_DEP_1) | instskip(NEXT) | instid1(VALU_DEP_1)
	v_fmaak_f64 v[66:67], v[68:69], v[66:67], 0xbf56c16c16c16967
	v_fmaak_f64 v[66:67], v[68:69], v[66:67], 0x3fa5555555555555
	s_delay_alu instid0(VALU_DEP_1) | instskip(SKIP_1) | instid1(VALU_DEP_2)
	v_fmac_f64_e32 v[60:61], v[86:87], v[66:67]
	v_add_f64_e64 v[58:59], v[58:59], -v[70:71]
	v_add_f64_e32 v[60:61], v[78:79], v[60:61]
	s_delay_alu instid0(VALU_DEP_1) | instskip(NEXT) | instid1(VALU_DEP_1)
	v_cndmask_b32_e64 v13, v60, v58, s9
	v_dual_cndmask_b32 v12, 0, v13, s6 :: v_dual_cndmask_b32 v53, v61, v59, s9
	s_delay_alu instid0(VALU_DEP_1) | instskip(SKIP_3) | instid1(VALU_DEP_4)
	v_bitop3_b32 v21, v53, v11, 0x80000000 bitop3:0x78
	v_cndmask_b32_e64 v11, 0x7ff80000, v52, s6
	v_and_or_b32 v53, v54, s33, 0x7fe00000
	v_cndmask_b32_e32 v52, 0, v64, vcc_lo
	v_cndmask_b32_e64 v13, 0x7ff80000, v21, s6
	v_lshrrev_b32_e32 v21, 20, v54
	s_delay_alu instid0(VALU_DEP_3) | instskip(NEXT) | instid1(VALU_DEP_3)
	v_mul_f64_e32 v[10:11], v[52:53], v[10:11]
	v_mul_f64_e32 v[12:13], v[52:53], v[12:13]
	s_delay_alu instid0(VALU_DEP_3) | instskip(NEXT) | instid1(VALU_DEP_1)
	v_add_nc_u32_e32 v52, 0xffffff09, v21
	v_lshrrev_b16 v21, 15, v52
	s_delay_alu instid0(VALU_DEP_1) | instskip(NEXT) | instid1(VALU_DEP_1)
	v_add_nc_u16 v21, v52, v21
	v_ashrrev_i16 v21, 1, v21
	s_delay_alu instid0(VALU_DEP_1) | instskip(NEXT) | instid1(VALU_DEP_1)
	v_bfe_i32 v53, v21, 0, 16
	v_lshl_add_u32 v21, v53, 20, 0x3ff00000
	s_delay_alu instid0(VALU_DEP_1) | instskip(SKIP_3) | instid1(VALU_DEP_2)
	v_mul_f64_e32 v[10:11], v[10:11], v[20:21]
	v_mul_f64_e32 v[12:13], v[12:13], v[20:21]
	v_sub_nc_u32_e32 v21, v52, v53
	v_mov_b32_e32 v52, v20
	v_lshl_add_u32 v53, v21, 20, 0x3ff00000
	s_delay_alu instid0(VALU_DEP_1)
	v_mul_f64_e32 v[54:55], v[10:11], v[52:53]
	v_mul_f64_e32 v[52:53], v[12:13], v[52:53]
.LBB253_139:                            ;   in Loop: Header=BB253_4 Depth=1
	s_or_b32 exec_lo, exec_lo, s43
                                        ; implicit-def: $vgpr56_vgpr57
                                        ; implicit-def: $vgpr10_vgpr11
                                        ; implicit-def: $vgpr21
.LBB253_140:                            ;   in Loop: Header=BB253_4 Depth=1
	s_and_not1_saveexec_b32 s7, s42
	s_cbranch_execz .LBB253_146
; %bb.141:                              ;   in Loop: Header=BB253_4 Depth=1
	v_add_f64_e64 v[52:53], v[12:13], -v[12:13]
	v_cmp_ne_u32_e32 vcc_lo, 0, v10
	v_cmp_ne_u32_e64 s6, 0x7ff00000, v21
	s_or_b32 s6, vcc_lo, s6
	s_delay_alu instid0(SALU_CYCLE_1) | instskip(NEXT) | instid1(SALU_CYCLE_1)
	s_and_saveexec_b32 s8, s6
	s_xor_b32 s6, exec_lo, s8
; %bb.142:                              ;   in Loop: Header=BB253_4 Depth=1
                                        ; implicit-def: $vgpr56_vgpr57
                                        ; implicit-def: $vgpr10_vgpr11
; %bb.143:                              ;   in Loop: Header=BB253_4 Depth=1
	s_delay_alu instid0(SALU_CYCLE_1)
	s_or_saveexec_b32 s6, s6
	v_mov_b64_e32 v[54:55], v[52:53]
	s_xor_b32 exec_lo, exec_lo, s6
; %bb.144:                              ;   in Loop: Header=BB253_4 Depth=1
	v_cmp_lt_i64_e32 vcc_lo, -1, v[56:57]
	v_dual_cndmask_b32 v55, 0, v57 :: v_dual_cndmask_b32 v54, 0, v10
	v_dual_cndmask_b32 v53, 0, v53 :: v_dual_cndmask_b32 v52, 0, v52
; %bb.145:                              ;   in Loop: Header=BB253_4 Depth=1
	s_or_b32 exec_lo, exec_lo, s6
.LBB253_146:                            ;   in Loop: Header=BB253_4 Depth=1
	s_delay_alu instid0(SALU_CYCLE_1)
	s_or_b32 exec_lo, exec_lo, s7
                                        ; implicit-def: $vgpr12_vgpr13
.LBB253_147:                            ;   in Loop: Header=BB253_4 Depth=1
	s_and_not1_saveexec_b32 s8, s41
	s_cbranch_execz .LBB253_157
; %bb.148:                              ;   in Loop: Header=BB253_4 Depth=1
	v_cmp_ngt_f64_e64 s6, 0x41d00000, |v[12:13]|
	v_trig_preop_f64 v[60:61], |v[12:13]|, 0
	v_trig_preop_f64 v[58:59], |v[12:13]|, 1
	v_ldexp_f64 v[62:63], |v[12:13]|, 0xffffff80
	v_trig_preop_f64 v[56:57], |v[12:13]|, 2
	v_and_b32_e32 v70, 0x7fffffff, v13
                                        ; implicit-def: $vgpr52
                                        ; implicit-def: $vgpr10_vgpr11
                                        ; implicit-def: $vgpr54_vgpr55
	s_and_saveexec_b32 s7, s6
	s_delay_alu instid0(SALU_CYCLE_1)
	s_xor_b32 s7, exec_lo, s7
	s_cbranch_execz .LBB253_150
; %bb.149:                              ;   in Loop: Header=BB253_4 Depth=1
	v_cmp_le_f64_e64 vcc_lo, 0x7b000000, |v[12:13]|
	s_delay_alu instid0(VALU_DEP_4) | instskip(NEXT) | instid1(VALU_DEP_1)
	v_dual_cndmask_b32 v11, v70, v63 :: v_dual_cndmask_b32 v10, v12, v62
	v_mul_f64_e32 v[54:55], v[60:61], v[10:11]
	v_mul_f64_e32 v[64:65], v[58:59], v[10:11]
	;; [unrolled: 1-line block ×3, first 2 shown]
	s_delay_alu instid0(VALU_DEP_3) | instskip(NEXT) | instid1(VALU_DEP_3)
	v_fma_f64 v[66:67], v[60:61], v[10:11], -v[54:55]
	v_fma_f64 v[80:81], v[58:59], v[10:11], -v[64:65]
	s_delay_alu instid0(VALU_DEP_3) | instskip(NEXT) | instid1(VALU_DEP_3)
	v_fma_f64 v[10:11], v[56:57], v[10:11], -v[78:79]
	v_add_f64_e32 v[68:69], v[64:65], v[66:67]
	s_delay_alu instid0(VALU_DEP_1) | instskip(SKIP_1) | instid1(VALU_DEP_2)
	v_add_f64_e64 v[72:73], v[68:69], -v[64:65]
	v_add_f64_e32 v[76:77], v[54:55], v[68:69]
	v_add_f64_e64 v[74:75], v[68:69], -v[72:73]
	v_add_f64_e64 v[66:67], v[66:67], -v[72:73]
	s_delay_alu instid0(VALU_DEP_3) | instskip(SKIP_1) | instid1(VALU_DEP_4)
	v_ldexp_f64 v[72:73], v[76:77], -2
	v_add_f64_e64 v[54:55], v[76:77], -v[54:55]
	v_add_f64_e64 v[64:65], v[64:65], -v[74:75]
	v_add_f64_e32 v[74:75], v[78:79], v[80:81]
	s_delay_alu instid0(VALU_DEP_4) | instskip(NEXT) | instid1(VALU_DEP_4)
	v_cmp_neq_f64_e64 vcc_lo, 0x7ff00000, |v[72:73]|
	v_add_f64_e64 v[54:55], v[68:69], -v[54:55]
	s_delay_alu instid0(VALU_DEP_4) | instskip(SKIP_1) | instid1(VALU_DEP_2)
	v_add_f64_e32 v[64:65], v[66:67], v[64:65]
	v_fract_f64_e32 v[66:67], v[72:73]
	v_add_f64_e32 v[68:69], v[74:75], v[64:65]
	s_delay_alu instid0(VALU_DEP_2) | instskip(NEXT) | instid1(VALU_DEP_1)
	v_ldexp_f64 v[66:67], v[66:67], 2
	v_dual_add_f64 v[72:73], v[54:55], v[68:69] :: v_dual_cndmask_b32 v67, 0, v67, vcc_lo
	s_delay_alu instid0(VALU_DEP_2) | instskip(SKIP_1) | instid1(VALU_DEP_2)
	v_cndmask_b32_e32 v66, 0, v66, vcc_lo
	v_add_f64_e64 v[82:83], v[68:69], -v[74:75]
	v_add_f64_e32 v[76:77], v[72:73], v[66:67]
	v_add_f64_e64 v[54:55], v[72:73], -v[54:55]
	s_delay_alu instid0(VALU_DEP_3) | instskip(SKIP_1) | instid1(VALU_DEP_4)
	v_add_f64_e64 v[88:89], v[68:69], -v[82:83]
	v_add_f64_e64 v[64:65], v[64:65], -v[82:83]
	v_cmp_gt_f64_e32 vcc_lo, 0, v[76:77]
	v_add_f64_e64 v[76:77], v[74:75], -v[78:79]
	v_add_f64_e64 v[54:55], v[68:69], -v[54:55]
	v_cndmask_b32_e64 v21, 0, 0x40100000, vcc_lo
	s_delay_alu instid0(VALU_DEP_3) | instskip(SKIP_2) | instid1(VALU_DEP_4)
	v_add_f64_e64 v[86:87], v[74:75], -v[76:77]
	v_add_f64_e64 v[76:77], v[80:81], -v[76:77]
	;; [unrolled: 1-line block ×3, first 2 shown]
	v_add_f64_e32 v[66:67], v[66:67], v[20:21]
	s_delay_alu instid0(VALU_DEP_4) | instskip(NEXT) | instid1(VALU_DEP_3)
	v_add_f64_e64 v[80:81], v[78:79], -v[86:87]
	v_add_f64_e32 v[64:65], v[64:65], v[74:75]
	s_delay_alu instid0(VALU_DEP_3) | instskip(NEXT) | instid1(VALU_DEP_3)
	v_add_f64_e32 v[84:85], v[72:73], v[66:67]
	v_add_f64_e32 v[76:77], v[76:77], v[80:81]
	s_delay_alu instid0(VALU_DEP_2) | instskip(NEXT) | instid1(VALU_DEP_2)
	v_cvt_i32_f64_e32 v21, v[84:85]
	v_add_f64_e32 v[64:65], v[76:77], v[64:65]
	s_delay_alu instid0(VALU_DEP_2) | instskip(NEXT) | instid1(VALU_DEP_2)
	v_cvt_f64_i32_e32 v[82:83], v21
	v_add_f64_e32 v[10:11], v[10:11], v[64:65]
	s_delay_alu instid0(VALU_DEP_2) | instskip(NEXT) | instid1(VALU_DEP_2)
	v_add_f64_e64 v[66:67], v[66:67], -v[82:83]
	v_add_f64_e32 v[10:11], v[54:55], v[10:11]
	s_delay_alu instid0(VALU_DEP_2) | instskip(NEXT) | instid1(VALU_DEP_1)
	v_add_f64_e32 v[74:75], v[72:73], v[66:67]
	v_add_f64_e64 v[64:65], v[74:75], -v[66:67]
	v_cmp_le_f64_e32 vcc_lo, 0.5, v[74:75]
	s_delay_alu instid0(VALU_DEP_2) | instskip(SKIP_2) | instid1(VALU_DEP_3)
	v_add_f64_e64 v[54:55], v[72:73], -v[64:65]
	v_add_co_ci_u32_e64 v52, null, 0, v21, vcc_lo
	v_cndmask_b32_e64 v21, 0, 0x3ff00000, vcc_lo
	v_add_f64_e32 v[10:11], v[10:11], v[54:55]
	s_delay_alu instid0(VALU_DEP_2) | instskip(NEXT) | instid1(VALU_DEP_1)
	v_add_f64_e64 v[54:55], v[74:75], -v[20:21]
	v_add_f64_e32 v[64:65], v[54:55], v[10:11]
	s_delay_alu instid0(VALU_DEP_1) | instskip(SKIP_1) | instid1(VALU_DEP_2)
	v_mul_f64_e32 v[66:67], 0x3ff921fb54442d18, v[64:65]
	v_add_f64_e64 v[54:55], v[64:65], -v[54:55]
	v_fma_f64 v[68:69], v[64:65], s[22:23], -v[66:67]
	s_delay_alu instid0(VALU_DEP_2) | instskip(NEXT) | instid1(VALU_DEP_2)
	v_add_f64_e64 v[10:11], v[10:11], -v[54:55]
	v_fmac_f64_e32 v[68:69], 0x3c91a62633145c07, v[64:65]
	s_delay_alu instid0(VALU_DEP_1) | instskip(NEXT) | instid1(VALU_DEP_1)
	v_fmac_f64_e32 v[68:69], 0x3ff921fb54442d18, v[10:11]
	v_add_f64_e32 v[10:11], v[66:67], v[68:69]
	s_delay_alu instid0(VALU_DEP_1) | instskip(NEXT) | instid1(VALU_DEP_1)
	v_add_f64_e64 v[54:55], v[10:11], -v[66:67]
	v_add_f64_e64 v[54:55], v[68:69], -v[54:55]
.LBB253_150:                            ;   in Loop: Header=BB253_4 Depth=1
	s_or_saveexec_b32 s7, s7
	v_mul_f64_e64 v[64:65], |v[12:13]|, s[24:25]
	s_delay_alu instid0(VALU_DEP_1)
	v_rndne_f64_e32 v[68:69], v[64:65]
	s_xor_b32 exec_lo, exec_lo, s7
	s_cbranch_execz .LBB253_152
; %bb.151:                              ;   in Loop: Header=BB253_4 Depth=1
	s_delay_alu instid0(VALU_DEP_1) | instskip(SKIP_2) | instid1(VALU_DEP_3)
	v_fma_f64 v[10:11], v[68:69], s[26:27], |v[12:13]|
	v_mul_f64_e32 v[54:55], 0xbc91a62633145c00, v[68:69]
	v_cvt_i32_f64_e32 v52, v[68:69]
	v_fmamk_f64 v[72:73], v[68:69], 0xbc91a62633145c00, v[10:11]
	s_delay_alu instid0(VALU_DEP_3) | instskip(NEXT) | instid1(VALU_DEP_1)
	v_add_f64_e32 v[64:65], v[10:11], v[54:55]
	v_add_f64_e64 v[66:67], v[10:11], -v[64:65]
	s_delay_alu instid0(VALU_DEP_3) | instskip(NEXT) | instid1(VALU_DEP_2)
	v_add_f64_e64 v[10:11], v[64:65], -v[72:73]
	v_add_f64_e32 v[64:65], v[66:67], v[54:55]
	v_fmamk_f64 v[54:55], v[68:69], 0x3c91a62633145c00, v[54:55]
	s_delay_alu instid0(VALU_DEP_2) | instskip(NEXT) | instid1(VALU_DEP_1)
	v_add_f64_e32 v[10:11], v[10:11], v[64:65]
	v_add_f64_e64 v[54:55], v[10:11], -v[54:55]
	s_delay_alu instid0(VALU_DEP_1) | instskip(NEXT) | instid1(VALU_DEP_1)
	v_fmac_f64_e32 v[54:55], 0xb97b839a252049c0, v[68:69]
	v_add_f64_e32 v[10:11], v[72:73], v[54:55]
	s_delay_alu instid0(VALU_DEP_1) | instskip(NEXT) | instid1(VALU_DEP_1)
	v_add_f64_e64 v[64:65], v[10:11], -v[72:73]
	v_add_f64_e64 v[54:55], v[54:55], -v[64:65]
.LBB253_152:                            ;   in Loop: Header=BB253_4 Depth=1
	s_or_b32 exec_lo, exec_lo, s7
                                        ; implicit-def: $vgpr71
                                        ; implicit-def: $vgpr64_vgpr65
                                        ; implicit-def: $vgpr66_vgpr67
	s_and_saveexec_b32 s7, s6
	s_delay_alu instid0(SALU_CYCLE_1)
	s_xor_b32 s6, exec_lo, s7
	s_cbranch_execz .LBB253_154
; %bb.153:                              ;   in Loop: Header=BB253_4 Depth=1
	v_cmp_le_f64_e64 vcc_lo, 0x7b000000, |v[12:13]|
	v_dual_cndmask_b32 v63, v70, v63 :: v_dual_cndmask_b32 v62, v12, v62
	s_delay_alu instid0(VALU_DEP_1) | instskip(SKIP_2) | instid1(VALU_DEP_3)
	v_mul_f64_e32 v[64:65], v[60:61], v[62:63]
	v_mul_f64_e32 v[66:67], v[58:59], v[62:63]
	;; [unrolled: 1-line block ×3, first 2 shown]
	v_fma_f64 v[60:61], v[60:61], v[62:63], -v[64:65]
	s_delay_alu instid0(VALU_DEP_3) | instskip(NEXT) | instid1(VALU_DEP_3)
	v_fma_f64 v[58:59], v[58:59], v[62:63], -v[66:67]
	v_fma_f64 v[56:57], v[56:57], v[62:63], -v[76:77]
	s_delay_alu instid0(VALU_DEP_3) | instskip(NEXT) | instid1(VALU_DEP_1)
	v_add_f64_e32 v[68:69], v[66:67], v[60:61]
	v_add_f64_e64 v[70:71], v[68:69], -v[66:67]
	v_add_f64_e32 v[74:75], v[64:65], v[68:69]
	s_delay_alu instid0(VALU_DEP_2) | instskip(SKIP_1) | instid1(VALU_DEP_3)
	v_add_f64_e64 v[72:73], v[68:69], -v[70:71]
	v_add_f64_e64 v[60:61], v[60:61], -v[70:71]
	v_ldexp_f64 v[70:71], v[74:75], -2
	s_delay_alu instid0(VALU_DEP_3) | instskip(SKIP_1) | instid1(VALU_DEP_3)
	v_add_f64_e64 v[66:67], v[66:67], -v[72:73]
	v_add_f64_e32 v[72:73], v[76:77], v[58:59]
	v_cmp_neq_f64_e64 vcc_lo, 0x7ff00000, |v[70:71]|
	s_delay_alu instid0(VALU_DEP_3) | instskip(SKIP_1) | instid1(VALU_DEP_1)
	v_add_f64_e32 v[60:61], v[60:61], v[66:67]
	v_fract_f64_e32 v[66:67], v[70:71]
	v_ldexp_f64 v[66:67], v[66:67], 2
	s_delay_alu instid0(VALU_DEP_1) | instskip(NEXT) | instid1(VALU_DEP_1)
	v_dual_add_f64 v[64:65], v[74:75], -v[64:65] :: v_dual_cndmask_b32 v66, 0, v66, vcc_lo
	v_dual_add_f64 v[64:65], v[68:69], -v[64:65] :: v_dual_cndmask_b32 v67, 0, v67, vcc_lo
	v_add_f64_e32 v[68:69], v[72:73], v[60:61]
	s_delay_alu instid0(VALU_DEP_1) | instskip(SKIP_1) | instid1(VALU_DEP_2)
	v_add_f64_e32 v[70:71], v[64:65], v[68:69]
	v_add_f64_e64 v[78:79], v[68:69], -v[72:73]
	v_add_f64_e32 v[74:75], v[70:71], v[66:67]
	s_delay_alu instid0(VALU_DEP_2) | instskip(SKIP_2) | instid1(VALU_DEP_4)
	v_add_f64_e64 v[84:85], v[68:69], -v[78:79]
	v_add_f64_e64 v[60:61], v[60:61], -v[78:79]
	;; [unrolled: 1-line block ×3, first 2 shown]
	v_cmp_gt_f64_e32 vcc_lo, 0, v[74:75]
	v_add_f64_e64 v[74:75], v[72:73], -v[76:77]
	s_delay_alu instid0(VALU_DEP_3) | instskip(SKIP_1) | instid1(VALU_DEP_3)
	v_add_f64_e64 v[62:63], v[68:69], -v[62:63]
                                        ; implicit-def: $vgpr68_vgpr69
	v_cndmask_b32_e64 v21, 0, 0x40100000, vcc_lo
	v_add_f64_e64 v[82:83], v[72:73], -v[74:75]
	v_add_f64_e64 v[58:59], v[58:59], -v[74:75]
	v_add_f64_e64 v[72:73], v[72:73], -v[84:85]
	s_delay_alu instid0(VALU_DEP_4) | instskip(NEXT) | instid1(VALU_DEP_4)
	v_add_f64_e32 v[66:67], v[66:67], v[20:21]
	v_add_f64_e64 v[74:75], v[76:77], -v[82:83]
	s_delay_alu instid0(VALU_DEP_3) | instskip(NEXT) | instid1(VALU_DEP_3)
	v_add_f64_e32 v[60:61], v[60:61], v[72:73]
	v_add_f64_e32 v[80:81], v[70:71], v[66:67]
	s_delay_alu instid0(VALU_DEP_3) | instskip(NEXT) | instid1(VALU_DEP_2)
	v_add_f64_e32 v[58:59], v[58:59], v[74:75]
	v_cvt_i32_f64_e32 v21, v[80:81]
	s_delay_alu instid0(VALU_DEP_2) | instskip(NEXT) | instid1(VALU_DEP_2)
	v_add_f64_e32 v[58:59], v[58:59], v[60:61]
	v_cvt_f64_i32_e32 v[78:79], v21
	s_delay_alu instid0(VALU_DEP_2) | instskip(NEXT) | instid1(VALU_DEP_2)
	v_add_f64_e32 v[56:57], v[56:57], v[58:59]
	v_add_f64_e64 v[66:67], v[66:67], -v[78:79]
	s_delay_alu instid0(VALU_DEP_2) | instskip(NEXT) | instid1(VALU_DEP_2)
	v_add_f64_e32 v[56:57], v[62:63], v[56:57]
	v_add_f64_e32 v[60:61], v[70:71], v[66:67]
	s_delay_alu instid0(VALU_DEP_1) | instskip(SKIP_1) | instid1(VALU_DEP_2)
	v_add_f64_e64 v[58:59], v[60:61], -v[66:67]
	v_cmp_le_f64_e32 vcc_lo, 0.5, v[60:61]
	v_add_f64_e64 v[58:59], v[70:71], -v[58:59]
	v_add_co_ci_u32_e64 v71, null, 0, v21, vcc_lo
	v_cndmask_b32_e64 v21, 0, 0x3ff00000, vcc_lo
	s_delay_alu instid0(VALU_DEP_3) | instskip(NEXT) | instid1(VALU_DEP_2)
	v_add_f64_e32 v[56:57], v[56:57], v[58:59]
	v_add_f64_e64 v[58:59], v[60:61], -v[20:21]
	s_delay_alu instid0(VALU_DEP_1) | instskip(NEXT) | instid1(VALU_DEP_1)
	v_add_f64_e32 v[60:61], v[58:59], v[56:57]
	v_mul_f64_e32 v[62:63], 0x3ff921fb54442d18, v[60:61]
	v_add_f64_e64 v[58:59], v[60:61], -v[58:59]
	s_delay_alu instid0(VALU_DEP_2) | instskip(NEXT) | instid1(VALU_DEP_2)
	v_fma_f64 v[66:67], v[60:61], s[22:23], -v[62:63]
	v_add_f64_e64 v[56:57], v[56:57], -v[58:59]
	s_delay_alu instid0(VALU_DEP_2) | instskip(NEXT) | instid1(VALU_DEP_1)
	v_fmac_f64_e32 v[66:67], 0x3c91a62633145c07, v[60:61]
	v_fmac_f64_e32 v[66:67], 0x3ff921fb54442d18, v[56:57]
	s_delay_alu instid0(VALU_DEP_1) | instskip(NEXT) | instid1(VALU_DEP_1)
	v_add_f64_e32 v[64:65], v[62:63], v[66:67]
	v_add_f64_e64 v[56:57], v[64:65], -v[62:63]
	s_delay_alu instid0(VALU_DEP_1)
	v_add_f64_e64 v[66:67], v[66:67], -v[56:57]
	s_and_not1_saveexec_b32 s6, s6
	s_cbranch_execnz .LBB253_155
	s_branch .LBB253_156
.LBB253_154:                            ;   in Loop: Header=BB253_4 Depth=1
	s_and_not1_saveexec_b32 s6, s6
	s_cbranch_execz .LBB253_156
.LBB253_155:                            ;   in Loop: Header=BB253_4 Depth=1
	s_delay_alu instid0(VALU_DEP_1) | instskip(SKIP_2) | instid1(VALU_DEP_2)
	v_fma_f64 v[56:57], v[68:69], s[26:27], |v[12:13]|
	v_mul_f64_e32 v[58:59], 0xbc91a62633145c00, v[68:69]
	v_cvt_i32_f64_e32 v71, v[68:69]
	v_add_f64_e32 v[60:61], v[56:57], v[58:59]
	s_delay_alu instid0(VALU_DEP_1) | instskip(SKIP_1) | instid1(VALU_DEP_1)
	v_add_f64_e64 v[62:63], v[56:57], -v[60:61]
	v_fmamk_f64 v[56:57], v[68:69], 0xbc91a62633145c00, v[56:57]
	v_add_f64_e64 v[60:61], v[60:61], -v[56:57]
	s_delay_alu instid0(VALU_DEP_3) | instskip(SKIP_1) | instid1(VALU_DEP_2)
	v_add_f64_e32 v[62:63], v[62:63], v[58:59]
	v_fmamk_f64 v[58:59], v[68:69], 0x3c91a62633145c00, v[58:59]
	v_add_f64_e32 v[60:61], v[60:61], v[62:63]
	s_delay_alu instid0(VALU_DEP_1) | instskip(NEXT) | instid1(VALU_DEP_1)
	v_add_f64_e64 v[58:59], v[60:61], -v[58:59]
	v_fmac_f64_e32 v[58:59], 0xb97b839a252049c0, v[68:69]
	s_delay_alu instid0(VALU_DEP_1) | instskip(NEXT) | instid1(VALU_DEP_1)
	v_add_f64_e32 v[64:65], v[56:57], v[58:59]
	v_add_f64_e64 v[56:57], v[64:65], -v[56:57]
	s_delay_alu instid0(VALU_DEP_1)
	v_add_f64_e64 v[66:67], v[58:59], -v[56:57]
.LBB253_156:                            ;   in Loop: Header=BB253_4 Depth=1
	s_or_b32 exec_lo, exec_lo, s6
	v_dual_mul_f64 v[56:57], v[10:11], v[10:11] :: v_dual_bitop2_b32 v21, 1, v52 bitop3:0x40
	v_cmp_class_f64_e64 s6, v[12:13], 0x1f8
	v_lshlrev_b32_e32 v13, 30, v71
	s_delay_alu instid0(VALU_DEP_4) | instskip(SKIP_2) | instid1(VALU_DEP_4)
	v_mul_f64_e32 v[74:75], 0.5, v[54:55]
	v_and_b32_e32 v12, 1, v71
	v_cmp_eq_u32_e32 vcc_lo, 0, v21
	v_xor_b32_e32 v13, v13, v53
	s_delay_alu instid0(VALU_DEP_3) | instskip(SKIP_4) | instid1(VALU_DEP_1)
	v_cmp_eq_u32_e64 s7, 0, v12
	v_dual_mul_f64 v[82:83], 0.5, v[66:67] :: v_dual_lshlrev_b32 v12, 30, v52
	v_mul_f64_e32 v[60:61], 0.5, v[56:57]
	v_mul_f64_e64 v[76:77], v[10:11], -v[56:57]
	v_fmamk_f64 v[80:81], v[56:57], 0x3de5e0b2f9a43bb8, v[42:43]
	v_fmaak_f64 v[80:81], v[56:57], v[80:81], 0x3ec71de3796cde01
	s_delay_alu instid0(VALU_DEP_1) | instskip(NEXT) | instid1(VALU_DEP_1)
	v_fmaak_f64 v[80:81], v[56:57], v[80:81], 0xbf2a01a019e83e5c
	v_fmaak_f64 v[80:81], v[56:57], v[80:81], 0x3f81111111110bb3
	v_add_f64_e64 v[68:69], -v[60:61], 1.0
	s_delay_alu instid0(VALU_DEP_2) | instskip(NEXT) | instid1(VALU_DEP_2)
	v_fmac_f64_e32 v[74:75], v[76:77], v[80:81]
	v_add_f64_e64 v[78:79], -v[68:69], 1.0
	s_delay_alu instid0(VALU_DEP_2) | instskip(NEXT) | instid1(VALU_DEP_2)
	v_fma_f64 v[74:75], v[56:57], v[74:75], -v[54:55]
	v_add_f64_e64 v[60:61], v[78:79], -v[60:61]
	s_delay_alu instid0(VALU_DEP_2) | instskip(NEXT) | instid1(VALU_DEP_2)
	v_fmac_f64_e32 v[74:75], 0xbfc5555555555555, v[76:77]
	v_fma_f64 v[54:55], v[10:11], -v[54:55], v[60:61]
	s_delay_alu instid0(VALU_DEP_2) | instskip(SKIP_1) | instid1(VALU_DEP_2)
	v_add_f64_e64 v[10:11], v[10:11], -v[74:75]
	v_mul_f64_e32 v[58:59], v[64:65], v[64:65]
	v_xor_b32_e32 v11, 0x80000000, v11
	s_delay_alu instid0(VALU_DEP_2) | instskip(SKIP_2) | instid1(VALU_DEP_2)
	v_mul_f64_e64 v[84:85], v[64:65], -v[58:59]
	v_fmamk_f64 v[88:89], v[58:59], 0x3de5e0b2f9a43bb8, v[42:43]
	v_mul_f64_e32 v[80:81], v[56:57], v[56:57]
	v_fmaak_f64 v[78:79], v[58:59], v[88:89], 0x3ec71de3796cde01
	s_delay_alu instid0(VALU_DEP_1) | instskip(NEXT) | instid1(VALU_DEP_1)
	v_fmaak_f64 v[78:79], v[58:59], v[78:79], 0xbf2a01a019e83e5c
	v_fmaak_f64 v[78:79], v[58:59], v[78:79], 0x3f81111111110bb3
	s_delay_alu instid0(VALU_DEP_1) | instskip(SKIP_1) | instid1(VALU_DEP_1)
	v_fmac_f64_e32 v[82:83], v[84:85], v[78:79]
	v_fmamk_f64 v[78:79], v[56:57], 0xbda907db46cc5e42, v[28:29]
	v_fmaak_f64 v[60:61], v[56:57], v[78:79], 0xbe927e4fa17f65f6
	s_delay_alu instid0(VALU_DEP_1) | instskip(NEXT) | instid1(VALU_DEP_1)
	v_fmaak_f64 v[60:61], v[56:57], v[60:61], 0x3efa01a019f4ec90
	v_fmaak_f64 v[60:61], v[56:57], v[60:61], 0xbf56c16c16c16967
	s_delay_alu instid0(VALU_DEP_1) | instskip(NEXT) | instid1(VALU_DEP_1)
	v_fmaak_f64 v[56:57], v[56:57], v[60:61], 0x3fa5555555555555
	v_fmac_f64_e32 v[54:55], v[80:81], v[56:57]
	s_delay_alu instid0(VALU_DEP_1) | instskip(NEXT) | instid1(VALU_DEP_1)
	v_add_f64_e32 v[54:55], v[68:69], v[54:55]
	v_cndmask_b32_e32 v10, v10, v54, vcc_lo
	v_mul_f64_e32 v[62:63], 0.5, v[58:59]
	v_fmamk_f64 v[78:79], v[58:59], 0xbda907db46cc5e42, v[28:29]
	v_fma_f64 v[82:83], v[58:59], v[82:83], -v[66:67]
	s_delay_alu instid0(VALU_DEP_4) | instskip(NEXT) | instid1(VALU_DEP_3)
	v_dual_cndmask_b32 v11, v11, v55, vcc_lo :: v_dual_cndmask_b32 v54, 0, v10, s6
	v_fmaak_f64 v[60:61], v[58:59], v[78:79], 0xbe927e4fa17f65f6
	s_delay_alu instid0(VALU_DEP_2) | instskip(NEXT) | instid1(VALU_DEP_1)
	v_bitop3_b32 v11, v11, v12, 0x80000000 bitop3:0x78
	v_cndmask_b32_e64 v55, 0x7ff80000, v11, s6
	s_delay_alu instid0(VALU_DEP_3) | instskip(NEXT) | instid1(VALU_DEP_1)
	v_fmaak_f64 v[56:57], v[58:59], v[60:61], 0x3efa01a019f4ec90
	v_fmaak_f64 v[56:57], v[58:59], v[56:57], 0xbf56c16c16c16967
	s_delay_alu instid0(VALU_DEP_1) | instskip(SKIP_2) | instid1(VALU_DEP_2)
	v_fmaak_f64 v[56:57], v[58:59], v[56:57], 0x3fa5555555555555
	v_add_f64_e64 v[72:73], -v[62:63], 1.0
	v_fmac_f64_e32 v[82:83], 0xbfc5555555555555, v[84:85]
	v_add_f64_e64 v[86:87], -v[72:73], 1.0
	s_delay_alu instid0(VALU_DEP_1) | instskip(SKIP_1) | instid1(VALU_DEP_2)
	v_add_f64_e64 v[62:63], v[86:87], -v[62:63]
	v_mul_f64_e32 v[86:87], v[58:59], v[58:59]
	v_fma_f64 v[62:63], v[64:65], -v[66:67], v[62:63]
	s_delay_alu instid0(VALU_DEP_1) | instskip(SKIP_1) | instid1(VALU_DEP_2)
	v_fmac_f64_e32 v[62:63], v[86:87], v[56:57]
	v_add_f64_e64 v[56:57], v[64:65], -v[82:83]
	v_add_f64_e32 v[58:59], v[72:73], v[62:63]
	s_delay_alu instid0(VALU_DEP_1) | instskip(NEXT) | instid1(VALU_DEP_1)
	v_dual_cndmask_b32 v52, v59, v57, s7 :: v_dual_cndmask_b32 v21, v58, v56, s7
	v_bitop3_b32 v12, v52, v13, 0x80000000 bitop3:0x78
	s_delay_alu instid0(VALU_DEP_2) | instskip(NEXT) | instid1(VALU_DEP_2)
	v_cndmask_b32_e64 v52, 0, v21, s6
	v_cndmask_b32_e64 v53, 0x7ff80000, v12, s6
.LBB253_157:                            ;   in Loop: Header=BB253_4 Depth=1
	s_or_b32 exec_lo, exec_lo, s8
                                        ; implicit-def: $vgpr10_vgpr11
.LBB253_158:                            ;   in Loop: Header=BB253_4 Depth=1
	s_and_not1_saveexec_b32 s7, s40
	s_cbranch_execz .LBB253_160
; %bb.159:                              ;   in Loop: Header=BB253_4 Depth=1
	v_mul_f64_e32 v[12:13], 0xbff71547652b82fe, v[10:11]
	v_cmp_ngt_f64_e32 vcc_lo, 0xc0900000, v[10:11]
	v_cmp_nlt_f64_e64 s6, 0x4090cc00, v[10:11]
	s_delay_alu instid0(VALU_DEP_3) | instskip(NEXT) | instid1(VALU_DEP_1)
	v_rndne_f64_e32 v[12:13], v[12:13]
	v_fma_f64 v[54:55], v[12:13], s[28:29], -v[10:11]
	v_cvt_i32_f64_e32 v21, v[12:13]
	s_delay_alu instid0(VALU_DEP_2) | instskip(NEXT) | instid1(VALU_DEP_1)
	v_fmac_f64_e32 v[54:55], 0xbc7abc9e3b39803f, v[12:13]
	v_fmamk_f64 v[56:57], v[54:55], 0x3e5ade156a5dcb37, v[26:27]
	s_delay_alu instid0(VALU_DEP_1) | instskip(NEXT) | instid1(VALU_DEP_1)
	v_fmaak_f64 v[56:57], v[54:55], v[56:57], 0x3ec71dee623fde64
	v_fmaak_f64 v[56:57], v[54:55], v[56:57], 0x3efa01997c89e6b0
	s_delay_alu instid0(VALU_DEP_1) | instskip(NEXT) | instid1(VALU_DEP_1)
	v_fmaak_f64 v[56:57], v[54:55], v[56:57], 0x3f2a01a014761f6e
	v_fmaak_f64 v[56:57], v[54:55], v[56:57], 0x3f56c16c1852b7b0
	;; [unrolled: 3-line block ×4, first 2 shown]
	s_delay_alu instid0(VALU_DEP_1) | instskip(NEXT) | instid1(VALU_DEP_1)
	v_fma_f64 v[56:57], v[54:55], v[56:57], 1.0
	v_fma_f64 v[12:13], v[54:55], v[56:57], 1.0
	s_delay_alu instid0(VALU_DEP_1) | instskip(NEXT) | instid1(VALU_DEP_1)
	v_ldexp_f64 v[12:13], v[12:13], v21
	v_cndmask_b32_e32 v13, 0x7ff00000, v13, vcc_lo
	s_and_b32 vcc_lo, s6, vcc_lo
	s_delay_alu instid0(VALU_DEP_1) | instid1(SALU_CYCLE_1)
	v_dual_cndmask_b32 v54, 0, v12, vcc_lo :: v_dual_cndmask_b32 v55, 0, v13, s6
.LBB253_160:                            ;   in Loop: Header=BB253_4 Depth=1
	s_or_b32 exec_lo, exec_lo, s7
	s_delay_alu instid0(VALU_DEP_1) | instskip(NEXT) | instid1(VALU_DEP_2)
	v_add_f64_e32 v[52:53], s[14:15], v[52:53]
	v_add_f64_e32 v[54:55], s[12:13], v[54:55]
	s_mov_b32 s6, exec_lo
	s_delay_alu instid0(VALU_DEP_2) | instskip(NEXT) | instid1(VALU_DEP_2)
	v_mov_b32_e32 v58, v52
	v_cmp_gt_f64_e32 vcc_lo, 0, v[54:55]
	v_xor_b32_e32 v10, 0x80000000, v55
	v_mov_b32_e32 v56, v54
	v_xor_b32_e32 v11, 0x80000000, v53
	s_delay_alu instid0(VALU_DEP_3) | instskip(SKIP_1) | instid1(VALU_DEP_3)
	v_cndmask_b32_e32 v57, v55, v10, vcc_lo
	v_cmp_gt_f64_e32 vcc_lo, 0, v[52:53]
	v_cndmask_b32_e32 v59, v53, v11, vcc_lo
                                        ; implicit-def: $vgpr12_vgpr13
	s_delay_alu instid0(VALU_DEP_1)
	v_cmpx_ge_f64_e32 v[56:57], v[58:59]
	s_xor_b32 s7, exec_lo, s6
	s_cbranch_execz .LBB253_166
; %bb.161:                              ;   in Loop: Header=BB253_4 Depth=1
	v_cmp_neq_f64_e32 vcc_lo, 0, v[54:55]
	v_cmp_neq_f64_e64 s6, 0, v[52:53]
                                        ; implicit-def: $vgpr12_vgpr13
	s_or_b32 s6, vcc_lo, s6
	s_delay_alu instid0(SALU_CYCLE_1) | instskip(NEXT) | instid1(SALU_CYCLE_1)
	s_and_saveexec_b32 s8, s6
	s_xor_b32 s6, exec_lo, s8
	s_cbranch_execz .LBB253_163
; %bb.162:                              ;   in Loop: Header=BB253_4 Depth=1
	v_div_scale_f64 v[10:11], null, v[54:55], v[54:55], v[52:53]
	v_div_scale_f64 v[58:59], vcc_lo, v[52:53], v[54:55], v[52:53]
	s_delay_alu instid0(VALU_DEP_2) | instskip(SKIP_1) | instid1(TRANS32_DEP_1)
	v_rcp_f64_e32 v[12:13], v[10:11]
	v_nop
	v_fma_f64 v[56:57], -v[10:11], v[12:13], 1.0
	s_delay_alu instid0(VALU_DEP_1) | instskip(NEXT) | instid1(VALU_DEP_1)
	v_fmac_f64_e32 v[12:13], v[12:13], v[56:57]
	v_fma_f64 v[56:57], -v[10:11], v[12:13], 1.0
	s_delay_alu instid0(VALU_DEP_1) | instskip(NEXT) | instid1(VALU_DEP_1)
	v_fmac_f64_e32 v[12:13], v[12:13], v[56:57]
	v_mul_f64_e32 v[56:57], v[58:59], v[12:13]
	s_delay_alu instid0(VALU_DEP_1) | instskip(NEXT) | instid1(VALU_DEP_1)
	v_fma_f64 v[10:11], -v[10:11], v[56:57], v[58:59]
	v_div_fmas_f64 v[10:11], v[10:11], v[12:13], v[56:57]
	s_delay_alu instid0(VALU_DEP_1) | instskip(NEXT) | instid1(VALU_DEP_1)
	v_div_fixup_f64 v[10:11], v[10:11], v[54:55], v[52:53]
	v_fmac_f64_e32 v[54:55], v[52:53], v[10:11]
	s_delay_alu instid0(VALU_DEP_1) | instskip(SKIP_1) | instid1(VALU_DEP_2)
	v_div_scale_f64 v[12:13], null, v[54:55], v[54:55], 1.0
	v_div_scale_f64 v[58:59], vcc_lo, 1.0, v[54:55], 1.0
	v_rcp_f64_e32 v[52:53], v[12:13]
	v_nop
	s_delay_alu instid0(TRANS32_DEP_1) | instskip(NEXT) | instid1(VALU_DEP_1)
	v_fma_f64 v[56:57], -v[12:13], v[52:53], 1.0
	v_fmac_f64_e32 v[52:53], v[52:53], v[56:57]
	s_delay_alu instid0(VALU_DEP_1) | instskip(NEXT) | instid1(VALU_DEP_1)
	v_fma_f64 v[56:57], -v[12:13], v[52:53], 1.0
	v_fmac_f64_e32 v[52:53], v[52:53], v[56:57]
	s_delay_alu instid0(VALU_DEP_1) | instskip(NEXT) | instid1(VALU_DEP_1)
	v_mul_f64_e32 v[56:57], v[58:59], v[52:53]
	v_fma_f64 v[12:13], -v[12:13], v[56:57], v[58:59]
                                        ; implicit-def: $vgpr58_vgpr59
	s_delay_alu instid0(VALU_DEP_1) | instskip(SKIP_1) | instid1(VALU_DEP_2)
	v_div_fmas_f64 v[12:13], v[12:13], v[52:53], v[56:57]
	v_fma_f64 v[52:53], s[14:15], v[10:11], s[12:13]
                                        ; implicit-def: $vgpr56_vgpr57
	v_div_fixup_f64 v[12:13], v[12:13], v[54:55], 1.0
	v_fma_f64 v[54:55], -s[12:13], v[10:11], s[14:15]
	s_delay_alu instid0(VALU_DEP_2) | instskip(NEXT) | instid1(VALU_DEP_2)
	v_mul_f64_e32 v[10:11], v[52:53], v[12:13]
	v_mul_f64_e32 v[12:13], v[54:55], v[12:13]
.LBB253_163:                            ;   in Loop: Header=BB253_4 Depth=1
	s_and_not1_saveexec_b32 s8, s6
	s_cbranch_execz .LBB253_165
; %bb.164:                              ;   in Loop: Header=BB253_4 Depth=1
	v_div_scale_f64 v[10:11], null, v[56:57], v[56:57], s[12:13]
	v_div_scale_f64 v[12:13], null, v[58:59], v[58:59], s[14:15]
	v_div_scale_f64 v[64:65], vcc_lo, s[12:13], v[56:57], s[12:13]
	s_delay_alu instid0(VALU_DEP_3) | instskip(NEXT) | instid1(VALU_DEP_2)
	v_rcp_f64_e32 v[52:53], v[10:11]
	v_rcp_f64_e32 v[54:55], v[12:13]
	s_delay_alu instid0(TRANS32_DEP_2) | instskip(NEXT) | instid1(TRANS32_DEP_1)
	v_fma_f64 v[60:61], -v[10:11], v[52:53], 1.0
	v_fma_f64 v[62:63], -v[12:13], v[54:55], 1.0
	s_delay_alu instid0(VALU_DEP_2) | instskip(NEXT) | instid1(VALU_DEP_2)
	v_fmac_f64_e32 v[52:53], v[52:53], v[60:61]
	v_fmac_f64_e32 v[54:55], v[54:55], v[62:63]
	s_delay_alu instid0(VALU_DEP_2) | instskip(NEXT) | instid1(VALU_DEP_2)
	v_fma_f64 v[60:61], -v[10:11], v[52:53], 1.0
	v_fma_f64 v[62:63], -v[12:13], v[54:55], 1.0
	s_delay_alu instid0(VALU_DEP_2) | instskip(SKIP_1) | instid1(VALU_DEP_3)
	v_fmac_f64_e32 v[52:53], v[52:53], v[60:61]
	v_div_scale_f64 v[60:61], s6, s[14:15], v[58:59], s[14:15]
	v_fmac_f64_e32 v[54:55], v[54:55], v[62:63]
	s_delay_alu instid0(VALU_DEP_3) | instskip(NEXT) | instid1(VALU_DEP_2)
	v_mul_f64_e32 v[62:63], v[64:65], v[52:53]
	v_mul_f64_e32 v[66:67], v[60:61], v[54:55]
	s_delay_alu instid0(VALU_DEP_2) | instskip(NEXT) | instid1(VALU_DEP_2)
	v_fma_f64 v[10:11], -v[10:11], v[62:63], v[64:65]
	v_fma_f64 v[12:13], -v[12:13], v[66:67], v[60:61]
	s_delay_alu instid0(VALU_DEP_2) | instskip(SKIP_1) | instid1(VALU_DEP_2)
	v_div_fmas_f64 v[10:11], v[10:11], v[52:53], v[62:63]
	s_mov_b32 vcc_lo, s6
	v_div_fmas_f64 v[12:13], v[12:13], v[54:55], v[66:67]
	s_delay_alu instid0(VALU_DEP_2) | instskip(NEXT) | instid1(VALU_DEP_2)
	v_div_fixup_f64 v[10:11], v[10:11], v[56:57], s[12:13]
	v_div_fixup_f64 v[12:13], v[12:13], v[58:59], s[14:15]
.LBB253_165:                            ;   in Loop: Header=BB253_4 Depth=1
	s_or_b32 exec_lo, exec_lo, s8
                                        ; implicit-def: $vgpr52_vgpr53
                                        ; implicit-def: $vgpr54_vgpr55
.LBB253_166:                            ;   in Loop: Header=BB253_4 Depth=1
	s_and_not1_saveexec_b32 s6, s7
	s_cbranch_execz .LBB253_168
; %bb.167:                              ;   in Loop: Header=BB253_4 Depth=1
	v_div_scale_f64 v[10:11], null, v[52:53], v[52:53], v[54:55]
	v_div_scale_f64 v[58:59], vcc_lo, v[54:55], v[52:53], v[54:55]
	s_delay_alu instid0(VALU_DEP_2) | instskip(SKIP_1) | instid1(TRANS32_DEP_1)
	v_rcp_f64_e32 v[12:13], v[10:11]
	v_nop
	v_fma_f64 v[56:57], -v[10:11], v[12:13], 1.0
	s_delay_alu instid0(VALU_DEP_1) | instskip(NEXT) | instid1(VALU_DEP_1)
	v_fmac_f64_e32 v[12:13], v[12:13], v[56:57]
	v_fma_f64 v[56:57], -v[10:11], v[12:13], 1.0
	s_delay_alu instid0(VALU_DEP_1) | instskip(NEXT) | instid1(VALU_DEP_1)
	v_fmac_f64_e32 v[12:13], v[12:13], v[56:57]
	v_mul_f64_e32 v[56:57], v[58:59], v[12:13]
	s_delay_alu instid0(VALU_DEP_1) | instskip(NEXT) | instid1(VALU_DEP_1)
	v_fma_f64 v[10:11], -v[10:11], v[56:57], v[58:59]
	v_div_fmas_f64 v[10:11], v[10:11], v[12:13], v[56:57]
	s_delay_alu instid0(VALU_DEP_1) | instskip(NEXT) | instid1(VALU_DEP_1)
	v_div_fixup_f64 v[10:11], v[10:11], v[52:53], v[54:55]
	v_fmac_f64_e32 v[52:53], v[54:55], v[10:11]
	s_delay_alu instid0(VALU_DEP_1) | instskip(SKIP_1) | instid1(VALU_DEP_2)
	v_div_scale_f64 v[12:13], null, v[52:53], v[52:53], 1.0
	v_div_scale_f64 v[58:59], vcc_lo, 1.0, v[52:53], 1.0
	v_rcp_f64_e32 v[54:55], v[12:13]
	v_nop
	s_delay_alu instid0(TRANS32_DEP_1) | instskip(NEXT) | instid1(VALU_DEP_1)
	v_fma_f64 v[56:57], -v[12:13], v[54:55], 1.0
	v_fmac_f64_e32 v[54:55], v[54:55], v[56:57]
	s_delay_alu instid0(VALU_DEP_1) | instskip(NEXT) | instid1(VALU_DEP_1)
	v_fma_f64 v[56:57], -v[12:13], v[54:55], 1.0
	v_fmac_f64_e32 v[54:55], v[54:55], v[56:57]
	s_delay_alu instid0(VALU_DEP_1) | instskip(NEXT) | instid1(VALU_DEP_1)
	v_mul_f64_e32 v[56:57], v[58:59], v[54:55]
	v_fma_f64 v[12:13], -v[12:13], v[56:57], v[58:59]
	s_delay_alu instid0(VALU_DEP_1) | instskip(SKIP_1) | instid1(VALU_DEP_2)
	v_div_fmas_f64 v[12:13], v[12:13], v[54:55], v[56:57]
	v_fma_f64 v[54:55], s[12:13], v[10:11], s[14:15]
	v_div_fixup_f64 v[12:13], v[12:13], v[52:53], 1.0
	v_fma_f64 v[52:53], s[14:15], v[10:11], -s[12:13]
	s_delay_alu instid0(VALU_DEP_2) | instskip(NEXT) | instid1(VALU_DEP_2)
	v_mul_f64_e32 v[10:11], v[54:55], v[12:13]
	v_mul_f64_e32 v[12:13], v[52:53], v[12:13]
.LBB253_168:                            ;   in Loop: Header=BB253_4 Depth=1
	s_or_b32 exec_lo, exec_lo, s6
	v_xor_b32_e32 v53, 0x80000000, v5
                                        ; implicit-def: $vgpr54_vgpr55
	s_mov_b32 s6, exec_lo
	v_mov_b32_e32 v52, v4
	s_delay_alu instid0(VALU_DEP_2) | instskip(NEXT) | instid1(VALU_DEP_1)
	v_and_b32_e32 v58, 0x7fffffff, v53
	v_or_b32_e32 v21, v58, v4
	s_delay_alu instid0(VALU_DEP_1)
	v_cmpx_ne_u32_e32 0, v21
	s_xor_b32 s40, exec_lo, s6
	s_cbranch_execz .LBB253_210
; %bb.169:                              ;   in Loop: Header=BB253_4 Depth=1
	v_xor_b32_e32 v57, 0x80000000, v3
                                        ; implicit-def: $vgpr54_vgpr55
	s_mov_b32 s6, exec_lo
	v_mov_b32_e32 v56, v2
	s_delay_alu instid0(VALU_DEP_2) | instskip(NEXT) | instid1(VALU_DEP_1)
	v_and_b32_e32 v21, 0x7fffffff, v57
	v_or_b32_e32 v52, v21, v2
	s_delay_alu instid0(VALU_DEP_1)
	v_cmpx_ne_u32_e32 0, v52
	s_xor_b32 s41, exec_lo, s6
	s_cbranch_execz .LBB253_199
; %bb.170:                              ;   in Loop: Header=BB253_4 Depth=1
                                        ; implicit-def: $vgpr54_vgpr55
	s_mov_b32 s6, exec_lo
	v_cmpx_gt_u32_e32 0x7ff00000, v58
	s_xor_b32 s42, exec_lo, s6
	s_cbranch_execz .LBB253_192
; %bb.171:                              ;   in Loop: Header=BB253_4 Depth=1
	v_add_nc_u32_e32 v21, 0xbf79d1be, v57
                                        ; implicit-def: $vgpr54_vgpr55
	s_mov_b32 s6, exec_lo
	s_delay_alu instid0(VALU_DEP_1)
	v_cmpx_lt_u32_e32 0x108aa2, v21
	s_xor_b32 s43, exec_lo, s6
	s_cbranch_execz .LBB253_181
; %bb.172:                              ;   in Loop: Header=BB253_4 Depth=1
	v_cmp_ngt_f64_e64 s6, 0x41d00000, |v[4:5]|
                                        ; implicit-def: $vgpr52
                                        ; implicit-def: $vgpr54_vgpr55
                                        ; implicit-def: $vgpr56_vgpr57
	s_and_saveexec_b32 s7, s6
	s_delay_alu instid0(SALU_CYCLE_1)
	s_xor_b32 s7, exec_lo, s7
	s_cbranch_execz .LBB253_174
; %bb.173:                              ;   in Loop: Header=BB253_4 Depth=1
	v_ldexp_f64 v[54:55], |v[4:5]|, 0xffffff80
	v_cmp_le_f64_e64 vcc_lo, 0x7b000000, |v[4:5]|
	v_trig_preop_f64 v[56:57], |v[4:5]|, 0
	v_and_b32_e32 v21, 0x7fffffff, v5
	v_trig_preop_f64 v[58:59], |v[4:5]|, 1
	v_trig_preop_f64 v[68:69], |v[4:5]|, 2
	s_delay_alu instid0(VALU_DEP_3) | instskip(NEXT) | instid1(VALU_DEP_1)
	v_dual_cndmask_b32 v55, v21, v55 :: v_dual_cndmask_b32 v54, v4, v54
	v_mul_f64_e32 v[60:61], v[56:57], v[54:55]
	s_delay_alu instid0(VALU_DEP_4) | instskip(NEXT) | instid1(VALU_DEP_4)
	v_mul_f64_e32 v[62:63], v[58:59], v[54:55]
	v_mul_f64_e32 v[74:75], v[68:69], v[54:55]
	s_delay_alu instid0(VALU_DEP_3) | instskip(NEXT) | instid1(VALU_DEP_3)
	v_fma_f64 v[56:57], v[56:57], v[54:55], -v[60:61]
	v_fma_f64 v[58:59], v[58:59], v[54:55], -v[62:63]
	s_delay_alu instid0(VALU_DEP_3) | instskip(NEXT) | instid1(VALU_DEP_3)
	v_fma_f64 v[54:55], v[68:69], v[54:55], -v[74:75]
	v_add_f64_e32 v[64:65], v[62:63], v[56:57]
	s_delay_alu instid0(VALU_DEP_1) | instskip(SKIP_1) | instid1(VALU_DEP_2)
	v_add_f64_e64 v[66:67], v[64:65], -v[62:63]
	v_add_f64_e32 v[72:73], v[60:61], v[64:65]
	v_add_f64_e64 v[70:71], v[64:65], -v[66:67]
	v_add_f64_e64 v[56:57], v[56:57], -v[66:67]
	s_delay_alu instid0(VALU_DEP_3) | instskip(NEXT) | instid1(VALU_DEP_3)
	v_ldexp_f64 v[66:67], v[72:73], -2
	v_add_f64_e64 v[62:63], v[62:63], -v[70:71]
	v_add_f64_e32 v[70:71], v[74:75], v[58:59]
	s_delay_alu instid0(VALU_DEP_3) | instskip(NEXT) | instid1(VALU_DEP_3)
	v_cmp_neq_f64_e64 vcc_lo, 0x7ff00000, |v[66:67]|
	v_add_f64_e32 v[56:57], v[56:57], v[62:63]
	v_fract_f64_e32 v[62:63], v[66:67]
	s_delay_alu instid0(VALU_DEP_1) | instskip(NEXT) | instid1(VALU_DEP_1)
	v_ldexp_f64 v[62:63], v[62:63], 2
	v_dual_add_f64 v[60:61], v[72:73], -v[60:61] :: v_dual_cndmask_b32 v62, 0, v62, vcc_lo
	s_delay_alu instid0(VALU_DEP_1) | instskip(SKIP_1) | instid1(VALU_DEP_1)
	v_dual_add_f64 v[60:61], v[64:65], -v[60:61] :: v_dual_cndmask_b32 v63, 0, v63, vcc_lo
	v_add_f64_e32 v[64:65], v[70:71], v[56:57]
	v_add_f64_e32 v[66:67], v[60:61], v[64:65]
	v_add_f64_e64 v[76:77], v[64:65], -v[70:71]
	s_delay_alu instid0(VALU_DEP_2) | instskip(NEXT) | instid1(VALU_DEP_2)
	v_add_f64_e32 v[72:73], v[66:67], v[62:63]
	v_add_f64_e64 v[82:83], v[64:65], -v[76:77]
	v_add_f64_e64 v[56:57], v[56:57], -v[76:77]
	;; [unrolled: 1-line block ×3, first 2 shown]
	s_delay_alu instid0(VALU_DEP_4) | instskip(SKIP_1) | instid1(VALU_DEP_3)
	v_cmp_gt_f64_e32 vcc_lo, 0, v[72:73]
	v_add_f64_e64 v[72:73], v[70:71], -v[74:75]
	v_add_f64_e64 v[60:61], v[64:65], -v[60:61]
	v_cndmask_b32_e64 v21, 0, 0x40100000, vcc_lo
	s_delay_alu instid0(VALU_DEP_3) | instskip(SKIP_2) | instid1(VALU_DEP_4)
	v_add_f64_e64 v[80:81], v[70:71], -v[72:73]
	v_add_f64_e64 v[58:59], v[58:59], -v[72:73]
	;; [unrolled: 1-line block ×3, first 2 shown]
	v_add_f64_e32 v[62:63], v[62:63], v[20:21]
	s_delay_alu instid0(VALU_DEP_4) | instskip(NEXT) | instid1(VALU_DEP_3)
	v_add_f64_e64 v[72:73], v[74:75], -v[80:81]
	v_add_f64_e32 v[56:57], v[56:57], v[70:71]
	s_delay_alu instid0(VALU_DEP_3) | instskip(NEXT) | instid1(VALU_DEP_3)
	v_add_f64_e32 v[78:79], v[66:67], v[62:63]
	v_add_f64_e32 v[58:59], v[58:59], v[72:73]
	s_delay_alu instid0(VALU_DEP_2) | instskip(NEXT) | instid1(VALU_DEP_2)
	v_cvt_i32_f64_e32 v21, v[78:79]
	v_add_f64_e32 v[56:57], v[58:59], v[56:57]
	s_delay_alu instid0(VALU_DEP_2) | instskip(NEXT) | instid1(VALU_DEP_2)
	v_cvt_f64_i32_e32 v[76:77], v21
	v_add_f64_e32 v[54:55], v[54:55], v[56:57]
	s_delay_alu instid0(VALU_DEP_2) | instskip(NEXT) | instid1(VALU_DEP_2)
	v_add_f64_e64 v[62:63], v[62:63], -v[76:77]
	v_add_f64_e32 v[54:55], v[60:61], v[54:55]
	s_delay_alu instid0(VALU_DEP_2) | instskip(NEXT) | instid1(VALU_DEP_1)
	v_add_f64_e32 v[58:59], v[66:67], v[62:63]
	v_add_f64_e64 v[56:57], v[58:59], -v[62:63]
	v_cmp_le_f64_e32 vcc_lo, 0.5, v[58:59]
	s_delay_alu instid0(VALU_DEP_2) | instskip(SKIP_2) | instid1(VALU_DEP_3)
	v_add_f64_e64 v[56:57], v[66:67], -v[56:57]
	v_add_co_ci_u32_e64 v52, null, 0, v21, vcc_lo
	v_cndmask_b32_e64 v21, 0, 0x3ff00000, vcc_lo
	v_add_f64_e32 v[54:55], v[54:55], v[56:57]
	s_delay_alu instid0(VALU_DEP_2) | instskip(NEXT) | instid1(VALU_DEP_1)
	v_add_f64_e64 v[56:57], v[58:59], -v[20:21]
	v_add_f64_e32 v[58:59], v[56:57], v[54:55]
	s_delay_alu instid0(VALU_DEP_1) | instskip(SKIP_1) | instid1(VALU_DEP_2)
	v_mul_f64_e32 v[60:61], 0x3ff921fb54442d18, v[58:59]
	v_add_f64_e64 v[56:57], v[58:59], -v[56:57]
	v_fma_f64 v[62:63], v[58:59], s[22:23], -v[60:61]
	s_delay_alu instid0(VALU_DEP_2) | instskip(NEXT) | instid1(VALU_DEP_2)
	v_add_f64_e64 v[54:55], v[54:55], -v[56:57]
	v_fmac_f64_e32 v[62:63], 0x3c91a62633145c07, v[58:59]
	s_delay_alu instid0(VALU_DEP_1) | instskip(NEXT) | instid1(VALU_DEP_1)
	v_fmac_f64_e32 v[62:63], 0x3ff921fb54442d18, v[54:55]
	v_add_f64_e32 v[54:55], v[60:61], v[62:63]
	s_delay_alu instid0(VALU_DEP_1) | instskip(NEXT) | instid1(VALU_DEP_1)
	v_add_f64_e64 v[56:57], v[54:55], -v[60:61]
	v_add_f64_e64 v[56:57], v[62:63], -v[56:57]
	s_and_not1_saveexec_b32 s7, s7
	s_cbranch_execz .LBB253_176
	s_branch .LBB253_175
.LBB253_174:                            ;   in Loop: Header=BB253_4 Depth=1
	s_and_not1_saveexec_b32 s7, s7
	s_cbranch_execz .LBB253_176
.LBB253_175:                            ;   in Loop: Header=BB253_4 Depth=1
	v_mul_f64_e64 v[54:55], |v[4:5]|, s[24:25]
	s_delay_alu instid0(VALU_DEP_1) | instskip(NEXT) | instid1(VALU_DEP_1)
	v_rndne_f64_e32 v[58:59], v[54:55]
	v_fma_f64 v[54:55], v[58:59], s[26:27], |v[4:5]|
	v_mul_f64_e32 v[56:57], 0xbc91a62633145c00, v[58:59]
	v_cvt_i32_f64_e32 v52, v[58:59]
	s_delay_alu instid0(VALU_DEP_3) | instskip(NEXT) | instid1(VALU_DEP_3)
	v_fmamk_f64 v[64:65], v[58:59], 0xbc91a62633145c00, v[54:55]
	v_add_f64_e32 v[60:61], v[54:55], v[56:57]
	s_delay_alu instid0(VALU_DEP_1) | instskip(NEXT) | instid1(VALU_DEP_3)
	v_add_f64_e64 v[62:63], v[54:55], -v[60:61]
	v_add_f64_e64 v[54:55], v[60:61], -v[64:65]
	s_delay_alu instid0(VALU_DEP_2) | instskip(SKIP_1) | instid1(VALU_DEP_2)
	v_add_f64_e32 v[60:61], v[62:63], v[56:57]
	v_fmamk_f64 v[56:57], v[58:59], 0x3c91a62633145c00, v[56:57]
	v_add_f64_e32 v[54:55], v[54:55], v[60:61]
	s_delay_alu instid0(VALU_DEP_1) | instskip(NEXT) | instid1(VALU_DEP_1)
	v_add_f64_e64 v[56:57], v[54:55], -v[56:57]
	v_fmac_f64_e32 v[56:57], 0xb97b839a252049c0, v[58:59]
	s_delay_alu instid0(VALU_DEP_1) | instskip(NEXT) | instid1(VALU_DEP_1)
	v_add_f64_e32 v[54:55], v[64:65], v[56:57]
	v_add_f64_e64 v[60:61], v[54:55], -v[64:65]
	s_delay_alu instid0(VALU_DEP_1)
	v_add_f64_e64 v[56:57], v[56:57], -v[60:61]
.LBB253_176:                            ;   in Loop: Header=BB253_4 Depth=1
	s_or_b32 exec_lo, exec_lo, s7
                                        ; implicit-def: $vgpr62
                                        ; implicit-def: $vgpr58_vgpr59
                                        ; implicit-def: $vgpr60_vgpr61
	s_and_saveexec_b32 s7, s6
	s_delay_alu instid0(SALU_CYCLE_1)
	s_xor_b32 s6, exec_lo, s7
	s_cbranch_execz .LBB253_178
; %bb.177:                              ;   in Loop: Header=BB253_4 Depth=1
	v_ldexp_f64 v[58:59], |v[4:5]|, 0xffffff80
	v_cmp_le_f64_e64 vcc_lo, 0x7b000000, |v[4:5]|
	v_trig_preop_f64 v[60:61], |v[4:5]|, 0
	v_and_b32_e32 v21, 0x7fffffff, v5
	v_trig_preop_f64 v[62:63], |v[4:5]|, 1
	v_trig_preop_f64 v[72:73], |v[4:5]|, 2
	s_delay_alu instid0(VALU_DEP_3) | instskip(NEXT) | instid1(VALU_DEP_1)
	v_dual_cndmask_b32 v59, v21, v59 :: v_dual_cndmask_b32 v58, v4, v58
	v_mul_f64_e32 v[64:65], v[60:61], v[58:59]
	s_delay_alu instid0(VALU_DEP_4) | instskip(NEXT) | instid1(VALU_DEP_4)
	v_mul_f64_e32 v[66:67], v[62:63], v[58:59]
	v_mul_f64_e32 v[78:79], v[72:73], v[58:59]
	s_delay_alu instid0(VALU_DEP_3) | instskip(NEXT) | instid1(VALU_DEP_3)
	v_fma_f64 v[60:61], v[60:61], v[58:59], -v[64:65]
	v_fma_f64 v[62:63], v[62:63], v[58:59], -v[66:67]
	s_delay_alu instid0(VALU_DEP_3) | instskip(NEXT) | instid1(VALU_DEP_3)
	v_fma_f64 v[58:59], v[72:73], v[58:59], -v[78:79]
	v_add_f64_e32 v[68:69], v[66:67], v[60:61]
	s_delay_alu instid0(VALU_DEP_1) | instskip(SKIP_1) | instid1(VALU_DEP_2)
	v_add_f64_e64 v[70:71], v[68:69], -v[66:67]
	v_add_f64_e32 v[76:77], v[64:65], v[68:69]
	v_add_f64_e64 v[74:75], v[68:69], -v[70:71]
	v_add_f64_e64 v[60:61], v[60:61], -v[70:71]
	s_delay_alu instid0(VALU_DEP_3) | instskip(NEXT) | instid1(VALU_DEP_3)
	v_ldexp_f64 v[70:71], v[76:77], -2
	v_add_f64_e64 v[66:67], v[66:67], -v[74:75]
	v_add_f64_e32 v[74:75], v[78:79], v[62:63]
	s_delay_alu instid0(VALU_DEP_3) | instskip(NEXT) | instid1(VALU_DEP_3)
	v_cmp_neq_f64_e64 vcc_lo, 0x7ff00000, |v[70:71]|
	v_add_f64_e32 v[60:61], v[60:61], v[66:67]
	v_fract_f64_e32 v[66:67], v[70:71]
	s_delay_alu instid0(VALU_DEP_1) | instskip(NEXT) | instid1(VALU_DEP_1)
	v_ldexp_f64 v[66:67], v[66:67], 2
	v_dual_add_f64 v[64:65], v[76:77], -v[64:65] :: v_dual_cndmask_b32 v66, 0, v66, vcc_lo
	s_delay_alu instid0(VALU_DEP_1) | instskip(SKIP_1) | instid1(VALU_DEP_1)
	v_dual_add_f64 v[64:65], v[68:69], -v[64:65] :: v_dual_cndmask_b32 v67, 0, v67, vcc_lo
	v_add_f64_e32 v[68:69], v[74:75], v[60:61]
	v_add_f64_e32 v[70:71], v[64:65], v[68:69]
	v_add_f64_e64 v[80:81], v[68:69], -v[74:75]
	s_delay_alu instid0(VALU_DEP_2) | instskip(NEXT) | instid1(VALU_DEP_2)
	v_add_f64_e32 v[76:77], v[70:71], v[66:67]
	v_add_f64_e64 v[86:87], v[68:69], -v[80:81]
	v_add_f64_e64 v[60:61], v[60:61], -v[80:81]
	;; [unrolled: 1-line block ×3, first 2 shown]
	s_delay_alu instid0(VALU_DEP_4) | instskip(SKIP_2) | instid1(VALU_DEP_2)
	v_cmp_gt_f64_e32 vcc_lo, 0, v[76:77]
	v_add_f64_e64 v[76:77], v[74:75], -v[78:79]
	v_cndmask_b32_e64 v21, 0, 0x40100000, vcc_lo
	v_add_f64_e64 v[84:85], v[74:75], -v[76:77]
	v_add_f64_e64 v[62:63], v[62:63], -v[76:77]
	;; [unrolled: 1-line block ×3, first 2 shown]
	s_delay_alu instid0(VALU_DEP_4) | instskip(NEXT) | instid1(VALU_DEP_4)
	v_add_f64_e32 v[66:67], v[66:67], v[20:21]
	v_add_f64_e64 v[76:77], v[78:79], -v[84:85]
	s_delay_alu instid0(VALU_DEP_3) | instskip(NEXT) | instid1(VALU_DEP_3)
	v_add_f64_e32 v[60:61], v[60:61], v[74:75]
	v_add_f64_e32 v[82:83], v[70:71], v[66:67]
	s_delay_alu instid0(VALU_DEP_3) | instskip(NEXT) | instid1(VALU_DEP_2)
	v_add_f64_e32 v[62:63], v[62:63], v[76:77]
	v_cvt_i32_f64_e32 v21, v[82:83]
	s_delay_alu instid0(VALU_DEP_2) | instskip(SKIP_1) | instid1(VALU_DEP_3)
	v_add_f64_e32 v[60:61], v[62:63], v[60:61]
	v_add_f64_e64 v[62:63], v[68:69], -v[64:65]
	v_cvt_f64_i32_e32 v[80:81], v21
	s_delay_alu instid0(VALU_DEP_3) | instskip(NEXT) | instid1(VALU_DEP_2)
	v_add_f64_e32 v[58:59], v[58:59], v[60:61]
	v_add_f64_e64 v[66:67], v[66:67], -v[80:81]
	s_delay_alu instid0(VALU_DEP_2) | instskip(NEXT) | instid1(VALU_DEP_2)
	v_add_f64_e32 v[58:59], v[62:63], v[58:59]
	v_add_f64_e32 v[72:73], v[70:71], v[66:67]
	s_delay_alu instid0(VALU_DEP_1) | instskip(SKIP_1) | instid1(VALU_DEP_2)
	v_add_f64_e64 v[60:61], v[72:73], -v[66:67]
	v_cmp_le_f64_e32 vcc_lo, 0.5, v[72:73]
	v_add_f64_e64 v[60:61], v[70:71], -v[60:61]
	v_add_co_ci_u32_e64 v62, null, 0, v21, vcc_lo
	v_cndmask_b32_e64 v21, 0, 0x3ff00000, vcc_lo
	s_delay_alu instid0(VALU_DEP_3) | instskip(NEXT) | instid1(VALU_DEP_2)
	v_add_f64_e32 v[58:59], v[58:59], v[60:61]
	v_add_f64_e64 v[60:61], v[72:73], -v[20:21]
	s_delay_alu instid0(VALU_DEP_1) | instskip(NEXT) | instid1(VALU_DEP_1)
	v_add_f64_e32 v[64:65], v[60:61], v[58:59]
	v_mul_f64_e32 v[66:67], 0x3ff921fb54442d18, v[64:65]
	v_add_f64_e64 v[60:61], v[64:65], -v[60:61]
	s_delay_alu instid0(VALU_DEP_2) | instskip(NEXT) | instid1(VALU_DEP_2)
	v_fma_f64 v[68:69], v[64:65], s[22:23], -v[66:67]
	v_add_f64_e64 v[58:59], v[58:59], -v[60:61]
	s_delay_alu instid0(VALU_DEP_2) | instskip(NEXT) | instid1(VALU_DEP_1)
	v_fmac_f64_e32 v[68:69], 0x3c91a62633145c07, v[64:65]
	v_fmac_f64_e32 v[68:69], 0x3ff921fb54442d18, v[58:59]
	s_delay_alu instid0(VALU_DEP_1) | instskip(NEXT) | instid1(VALU_DEP_1)
	v_add_f64_e32 v[58:59], v[66:67], v[68:69]
	v_add_f64_e64 v[60:61], v[58:59], -v[66:67]
	s_delay_alu instid0(VALU_DEP_1)
	v_add_f64_e64 v[60:61], v[68:69], -v[60:61]
	s_and_not1_saveexec_b32 s6, s6
	s_cbranch_execnz .LBB253_179
	s_branch .LBB253_180
.LBB253_178:                            ;   in Loop: Header=BB253_4 Depth=1
	s_and_not1_saveexec_b32 s6, s6
	s_cbranch_execz .LBB253_180
.LBB253_179:                            ;   in Loop: Header=BB253_4 Depth=1
	v_mul_f64_e64 v[58:59], |v[4:5]|, s[24:25]
	s_delay_alu instid0(VALU_DEP_1) | instskip(NEXT) | instid1(VALU_DEP_1)
	v_rndne_f64_e32 v[62:63], v[58:59]
	v_fma_f64 v[58:59], v[62:63], s[26:27], |v[4:5]|
	v_mul_f64_e32 v[60:61], 0xbc91a62633145c00, v[62:63]
	s_delay_alu instid0(VALU_DEP_2) | instskip(NEXT) | instid1(VALU_DEP_2)
	v_fmamk_f64 v[68:69], v[62:63], 0xbc91a62633145c00, v[58:59]
	v_add_f64_e32 v[64:65], v[58:59], v[60:61]
	s_delay_alu instid0(VALU_DEP_1) | instskip(NEXT) | instid1(VALU_DEP_3)
	v_add_f64_e64 v[66:67], v[58:59], -v[64:65]
	v_add_f64_e64 v[58:59], v[64:65], -v[68:69]
	s_delay_alu instid0(VALU_DEP_2) | instskip(SKIP_1) | instid1(VALU_DEP_2)
	v_add_f64_e32 v[64:65], v[66:67], v[60:61]
	v_fmamk_f64 v[60:61], v[62:63], 0x3c91a62633145c00, v[60:61]
	v_add_f64_e32 v[58:59], v[58:59], v[64:65]
	s_delay_alu instid0(VALU_DEP_1) | instskip(NEXT) | instid1(VALU_DEP_1)
	v_add_f64_e64 v[60:61], v[58:59], -v[60:61]
	v_fmac_f64_e32 v[60:61], 0xb97b839a252049c0, v[62:63]
	v_cvt_i32_f64_e32 v62, v[62:63]
	s_delay_alu instid0(VALU_DEP_2) | instskip(NEXT) | instid1(VALU_DEP_1)
	v_add_f64_e32 v[58:59], v[68:69], v[60:61]
	v_add_f64_e64 v[64:65], v[58:59], -v[68:69]
	s_delay_alu instid0(VALU_DEP_1)
	v_add_f64_e64 v[60:61], v[60:61], -v[64:65]
.LBB253_180:                            ;   in Loop: Header=BB253_4 Depth=1
	s_or_b32 exec_lo, exec_lo, s6
	v_mul_f64_e32 v[64:65], 0xbff71547652b82fe, v[2:3]
	v_mul_f64_e32 v[66:67], v[54:55], v[54:55]
	;; [unrolled: 1-line block ×3, first 2 shown]
	s_delay_alu instid0(VALU_DEP_4)
	v_mul_f64_e32 v[80:81], 0.5, v[56:57]
	v_cmp_class_f64_e64 s6, v[4:5], 0x1f8
	v_lshlrev_b32_e32 v4, 30, v62
	v_cmp_ngt_f64_e64 s7, 0xc0900000, v[2:3]
	v_cmp_nlt_f64_e64 s8, 0x4090cc00, v[2:3]
	v_rndne_f64_e32 v[64:65], v[64:65]
	v_mul_f64_e32 v[70:71], 0.5, v[66:67]
	s_delay_alu instid0(VALU_DEP_2) | instskip(NEXT) | instid1(VALU_DEP_2)
	v_fma_f64 v[72:73], v[64:65], s[28:29], -v[2:3]
	v_add_f64_e64 v[76:77], -v[70:71], 1.0
	v_cvt_i32_f64_e32 v21, v[64:65]
	v_and_b32_e32 v2, 1, v62
	s_delay_alu instid0(VALU_DEP_1) | instskip(SKIP_3) | instid1(VALU_DEP_2)
	v_cmp_eq_u32_e64 s9, 0, v2
	v_mul_f64_e32 v[90:91], 0.5, v[60:61]
	v_fmac_f64_e32 v[72:73], 0xbc7abc9e3b39803f, v[64:65]
	v_add_f64_e64 v[84:85], -v[76:77], 1.0
	v_fmamk_f64 v[88:89], v[72:73], 0x3e5ade156a5dcb37, v[26:27]
	s_delay_alu instid0(VALU_DEP_2) | instskip(NEXT) | instid1(VALU_DEP_2)
	v_add_f64_e64 v[70:71], v[84:85], -v[70:71]
	v_fmaak_f64 v[88:89], v[72:73], v[88:89], 0x3ec71dee623fde64
	s_delay_alu instid0(VALU_DEP_1) | instskip(NEXT) | instid1(VALU_DEP_1)
	v_fmaak_f64 v[88:89], v[72:73], v[88:89], 0x3efa01997c89e6b0
	v_fmaak_f64 v[88:89], v[72:73], v[88:89], 0x3f2a01a014761f6e
	s_delay_alu instid0(VALU_DEP_1) | instskip(NEXT) | instid1(VALU_DEP_1)
	v_fmaak_f64 v[84:85], v[72:73], v[88:89], 0x3f56c16c1852b7b0
	;; [unrolled: 3-line block ×4, first 2 shown]
	v_fma_f64 v[84:85], v[72:73], v[84:85], 1.0
	s_delay_alu instid0(VALU_DEP_1) | instskip(NEXT) | instid1(VALU_DEP_1)
	v_fma_f64 v[64:65], v[72:73], v[84:85], 1.0
	v_ldexp_f64 v[64:65], v[64:65], v21
	v_dual_mul_f64 v[82:83], v[54:55], -v[66:67] :: v_dual_bitop2_b32 v21, 1, v52 bitop3:0x40
	v_fmamk_f64 v[86:87], v[66:67], 0x3de5e0b2f9a43bb8, v[42:43]
	v_lshlrev_b32_e32 v52, 30, v52
	v_mul_f64_e32 v[74:75], 0.5, v[68:69]
	v_mul_f64_e64 v[92:93], v[58:59], -v[68:69]
	v_fmamk_f64 v[96:97], v[68:69], 0x3de5e0b2f9a43bb8, v[42:43]
	v_mul_f64_e32 v[88:89], v[66:67], v[66:67]
	v_cmp_eq_u32_e32 vcc_lo, 0, v21
	v_fmaak_f64 v[86:87], v[66:67], v[86:87], 0x3ec71de3796cde01
	s_delay_alu instid0(VALU_DEP_1) | instskip(NEXT) | instid1(VALU_DEP_1)
	v_fmaak_f64 v[86:87], v[66:67], v[86:87], 0xbf2a01a019e83e5c
	v_fmaak_f64 v[86:87], v[66:67], v[86:87], 0x3f81111111110bb3
	v_cndmask_b32_e64 v5, 0x7ff00000, v65, s7
	s_delay_alu instid0(VALU_DEP_2) | instskip(SKIP_2) | instid1(VALU_DEP_2)
	v_fmac_f64_e32 v[80:81], v[82:83], v[86:87]
	v_fmaak_f64 v[86:87], v[68:69], v[96:97], 0x3ec71de3796cde01
	v_add_f64_e64 v[78:79], -v[74:75], 1.0
	v_fmaak_f64 v[86:87], v[68:69], v[86:87], 0xbf2a01a019e83e5c
	s_delay_alu instid0(VALU_DEP_1) | instskip(NEXT) | instid1(VALU_DEP_1)
	v_fmaak_f64 v[86:87], v[68:69], v[86:87], 0x3f81111111110bb3
	v_fmac_f64_e32 v[90:91], v[92:93], v[86:87]
	v_fmamk_f64 v[86:87], v[66:67], 0xbda907db46cc5e42, v[28:29]
	v_fma_f64 v[80:81], v[66:67], v[80:81], -v[56:57]
	v_fma_f64 v[56:57], v[54:55], -v[56:57], v[70:71]
	s_delay_alu instid0(VALU_DEP_3) | instskip(SKIP_2) | instid1(VALU_DEP_3)
	v_fmaak_f64 v[70:71], v[66:67], v[86:87], 0xbe927e4fa17f65f6
	v_add_f64_e64 v[94:95], -v[78:79], 1.0
	v_mul_f64_e32 v[86:87], v[68:69], v[68:69]
	v_fmaak_f64 v[70:71], v[66:67], v[70:71], 0x3efa01a019f4ec90
	s_delay_alu instid0(VALU_DEP_1) | instskip(NEXT) | instid1(VALU_DEP_1)
	v_fmaak_f64 v[70:71], v[66:67], v[70:71], 0xbf56c16c16c16967
	v_fmaak_f64 v[66:67], v[66:67], v[70:71], 0x3fa5555555555555
	v_fma_f64 v[70:71], v[68:69], v[90:91], -v[60:61]
	v_fmac_f64_e32 v[80:81], 0xbfc5555555555555, v[82:83]
	s_delay_alu instid0(VALU_DEP_3) | instskip(NEXT) | instid1(VALU_DEP_3)
	v_fmac_f64_e32 v[56:57], v[88:89], v[66:67]
	v_fmac_f64_e32 v[70:71], 0xbfc5555555555555, v[92:93]
	s_delay_alu instid0(VALU_DEP_3) | instskip(NEXT) | instid1(VALU_DEP_3)
	v_add_f64_e64 v[54:55], v[54:55], -v[80:81]
	v_add_f64_e32 v[56:57], v[76:77], v[56:57]
	s_delay_alu instid0(VALU_DEP_2) | instskip(NEXT) | instid1(VALU_DEP_2)
	v_xor_b32_e32 v3, 0x80000000, v55
	v_cndmask_b32_e32 v21, v54, v56, vcc_lo
	v_add_f64_e64 v[74:75], v[94:95], -v[74:75]
	v_fmamk_f64 v[94:95], v[68:69], 0xbda907db46cc5e42, v[28:29]
	s_delay_alu instid0(VALU_DEP_4) | instskip(SKIP_2) | instid1(VALU_DEP_2)
	v_cndmask_b32_e32 v2, v3, v57, vcc_lo
	s_and_b32 vcc_lo, s8, s7
	v_xor_b32_e32 v3, v4, v53
	v_bitop3_b32 v52, v2, v52, 0x80000000 bitop3:0x78
	v_cndmask_b32_e64 v2, 0, v21, s6
	v_fma_f64 v[60:61], v[58:59], -v[60:61], v[74:75]
	v_fmaak_f64 v[74:75], v[68:69], v[94:95], 0xbe927e4fa17f65f6
	v_add_f64_e64 v[58:59], v[58:59], -v[70:71]
	s_delay_alu instid0(VALU_DEP_2) | instskip(NEXT) | instid1(VALU_DEP_1)
	v_fmaak_f64 v[66:67], v[68:69], v[74:75], 0x3efa01a019f4ec90
	v_fmaak_f64 v[66:67], v[68:69], v[66:67], 0xbf56c16c16c16967
	s_delay_alu instid0(VALU_DEP_1) | instskip(NEXT) | instid1(VALU_DEP_1)
	v_fmaak_f64 v[66:67], v[68:69], v[66:67], 0x3fa5555555555555
	v_fmac_f64_e32 v[60:61], v[86:87], v[66:67]
	s_delay_alu instid0(VALU_DEP_1) | instskip(NEXT) | instid1(VALU_DEP_1)
	v_add_f64_e32 v[60:61], v[78:79], v[60:61]
	v_cndmask_b32_e64 v53, v61, v59, s9
	s_delay_alu instid0(VALU_DEP_1) | instskip(SKIP_1) | instid1(VALU_DEP_4)
	v_bitop3_b32 v21, v53, v3, 0x80000000 bitop3:0x78
	v_cndmask_b32_e64 v3, 0x7ff80000, v52, s6
	v_dual_cndmask_b32 v52, 0, v64, vcc_lo :: v_dual_cndmask_b32 v4, v60, v58, s9
	v_cndmask_b32_e64 v53, 0, v5, s8
	s_delay_alu instid0(VALU_DEP_4) | instskip(NEXT) | instid1(VALU_DEP_2)
	v_cndmask_b32_e64 v5, 0x7ff80000, v21, s6
	v_dual_mul_f64 v[54:55], v[52:53], v[2:3] :: v_dual_cndmask_b32 v4, 0, v4, s6
	s_delay_alu instid0(VALU_DEP_1)
	v_mul_f64_e32 v[52:53], v[52:53], v[4:5]
                                        ; implicit-def: $vgpr4_vgpr5
.LBB253_181:                            ;   in Loop: Header=BB253_4 Depth=1
	s_and_not1_saveexec_b32 s43, s43
	s_cbranch_execz .LBB253_191
; %bb.182:                              ;   in Loop: Header=BB253_4 Depth=1
	v_cmp_ngt_f64_e64 s6, 0x41d00000, |v[4:5]|
                                        ; implicit-def: $vgpr52
                                        ; implicit-def: $vgpr54_vgpr55
                                        ; implicit-def: $vgpr56_vgpr57
	s_and_saveexec_b32 s7, s6
	s_delay_alu instid0(SALU_CYCLE_1)
	s_xor_b32 s7, exec_lo, s7
	s_cbranch_execz .LBB253_184
; %bb.183:                              ;   in Loop: Header=BB253_4 Depth=1
	v_ldexp_f64 v[54:55], |v[4:5]|, 0xffffff80
	v_cmp_le_f64_e64 vcc_lo, 0x7b000000, |v[4:5]|
	v_trig_preop_f64 v[56:57], |v[4:5]|, 0
	v_and_b32_e32 v21, 0x7fffffff, v5
	v_trig_preop_f64 v[58:59], |v[4:5]|, 1
	v_trig_preop_f64 v[68:69], |v[4:5]|, 2
	s_delay_alu instid0(VALU_DEP_3) | instskip(NEXT) | instid1(VALU_DEP_1)
	v_dual_cndmask_b32 v55, v21, v55 :: v_dual_cndmask_b32 v54, v4, v54
	v_mul_f64_e32 v[60:61], v[56:57], v[54:55]
	s_delay_alu instid0(VALU_DEP_4) | instskip(NEXT) | instid1(VALU_DEP_4)
	v_mul_f64_e32 v[62:63], v[58:59], v[54:55]
	v_mul_f64_e32 v[74:75], v[68:69], v[54:55]
	s_delay_alu instid0(VALU_DEP_3) | instskip(NEXT) | instid1(VALU_DEP_3)
	v_fma_f64 v[56:57], v[56:57], v[54:55], -v[60:61]
	v_fma_f64 v[58:59], v[58:59], v[54:55], -v[62:63]
	s_delay_alu instid0(VALU_DEP_3) | instskip(NEXT) | instid1(VALU_DEP_3)
	v_fma_f64 v[54:55], v[68:69], v[54:55], -v[74:75]
	v_add_f64_e32 v[64:65], v[62:63], v[56:57]
	s_delay_alu instid0(VALU_DEP_1) | instskip(SKIP_1) | instid1(VALU_DEP_2)
	v_add_f64_e64 v[66:67], v[64:65], -v[62:63]
	v_add_f64_e32 v[72:73], v[60:61], v[64:65]
	v_add_f64_e64 v[70:71], v[64:65], -v[66:67]
	v_add_f64_e64 v[56:57], v[56:57], -v[66:67]
	s_delay_alu instid0(VALU_DEP_3) | instskip(NEXT) | instid1(VALU_DEP_3)
	v_ldexp_f64 v[66:67], v[72:73], -2
	v_add_f64_e64 v[62:63], v[62:63], -v[70:71]
	v_add_f64_e32 v[70:71], v[74:75], v[58:59]
	s_delay_alu instid0(VALU_DEP_3) | instskip(NEXT) | instid1(VALU_DEP_3)
	v_cmp_neq_f64_e64 vcc_lo, 0x7ff00000, |v[66:67]|
	v_add_f64_e32 v[56:57], v[56:57], v[62:63]
	v_fract_f64_e32 v[62:63], v[66:67]
	s_delay_alu instid0(VALU_DEP_1) | instskip(NEXT) | instid1(VALU_DEP_1)
	v_ldexp_f64 v[62:63], v[62:63], 2
	v_dual_add_f64 v[60:61], v[72:73], -v[60:61] :: v_dual_cndmask_b32 v62, 0, v62, vcc_lo
	s_delay_alu instid0(VALU_DEP_1) | instskip(SKIP_1) | instid1(VALU_DEP_1)
	v_dual_add_f64 v[60:61], v[64:65], -v[60:61] :: v_dual_cndmask_b32 v63, 0, v63, vcc_lo
	v_add_f64_e32 v[64:65], v[70:71], v[56:57]
	v_add_f64_e32 v[66:67], v[60:61], v[64:65]
	v_add_f64_e64 v[76:77], v[64:65], -v[70:71]
	s_delay_alu instid0(VALU_DEP_2) | instskip(NEXT) | instid1(VALU_DEP_2)
	v_add_f64_e32 v[72:73], v[66:67], v[62:63]
	v_add_f64_e64 v[82:83], v[64:65], -v[76:77]
	v_add_f64_e64 v[56:57], v[56:57], -v[76:77]
	;; [unrolled: 1-line block ×3, first 2 shown]
	s_delay_alu instid0(VALU_DEP_4) | instskip(SKIP_1) | instid1(VALU_DEP_3)
	v_cmp_gt_f64_e32 vcc_lo, 0, v[72:73]
	v_add_f64_e64 v[72:73], v[70:71], -v[74:75]
	v_add_f64_e64 v[60:61], v[64:65], -v[60:61]
	v_cndmask_b32_e64 v21, 0, 0x40100000, vcc_lo
	s_delay_alu instid0(VALU_DEP_3) | instskip(SKIP_2) | instid1(VALU_DEP_4)
	v_add_f64_e64 v[80:81], v[70:71], -v[72:73]
	v_add_f64_e64 v[58:59], v[58:59], -v[72:73]
	;; [unrolled: 1-line block ×3, first 2 shown]
	v_add_f64_e32 v[62:63], v[62:63], v[20:21]
	s_delay_alu instid0(VALU_DEP_4) | instskip(NEXT) | instid1(VALU_DEP_3)
	v_add_f64_e64 v[72:73], v[74:75], -v[80:81]
	v_add_f64_e32 v[56:57], v[56:57], v[70:71]
	s_delay_alu instid0(VALU_DEP_3) | instskip(NEXT) | instid1(VALU_DEP_3)
	v_add_f64_e32 v[78:79], v[66:67], v[62:63]
	v_add_f64_e32 v[58:59], v[58:59], v[72:73]
	s_delay_alu instid0(VALU_DEP_2) | instskip(NEXT) | instid1(VALU_DEP_2)
	v_cvt_i32_f64_e32 v21, v[78:79]
	v_add_f64_e32 v[56:57], v[58:59], v[56:57]
	s_delay_alu instid0(VALU_DEP_2) | instskip(NEXT) | instid1(VALU_DEP_2)
	v_cvt_f64_i32_e32 v[76:77], v21
	v_add_f64_e32 v[54:55], v[54:55], v[56:57]
	s_delay_alu instid0(VALU_DEP_2) | instskip(NEXT) | instid1(VALU_DEP_2)
	v_add_f64_e64 v[62:63], v[62:63], -v[76:77]
	v_add_f64_e32 v[54:55], v[60:61], v[54:55]
	s_delay_alu instid0(VALU_DEP_2) | instskip(NEXT) | instid1(VALU_DEP_1)
	v_add_f64_e32 v[58:59], v[66:67], v[62:63]
	v_add_f64_e64 v[56:57], v[58:59], -v[62:63]
	v_cmp_le_f64_e32 vcc_lo, 0.5, v[58:59]
	s_delay_alu instid0(VALU_DEP_2) | instskip(SKIP_2) | instid1(VALU_DEP_3)
	v_add_f64_e64 v[56:57], v[66:67], -v[56:57]
	v_add_co_ci_u32_e64 v52, null, 0, v21, vcc_lo
	v_cndmask_b32_e64 v21, 0, 0x3ff00000, vcc_lo
	v_add_f64_e32 v[54:55], v[54:55], v[56:57]
	s_delay_alu instid0(VALU_DEP_2) | instskip(NEXT) | instid1(VALU_DEP_1)
	v_add_f64_e64 v[56:57], v[58:59], -v[20:21]
	v_add_f64_e32 v[58:59], v[56:57], v[54:55]
	s_delay_alu instid0(VALU_DEP_1) | instskip(SKIP_1) | instid1(VALU_DEP_2)
	v_mul_f64_e32 v[60:61], 0x3ff921fb54442d18, v[58:59]
	v_add_f64_e64 v[56:57], v[58:59], -v[56:57]
	v_fma_f64 v[62:63], v[58:59], s[22:23], -v[60:61]
	s_delay_alu instid0(VALU_DEP_2) | instskip(NEXT) | instid1(VALU_DEP_2)
	v_add_f64_e64 v[54:55], v[54:55], -v[56:57]
	v_fmac_f64_e32 v[62:63], 0x3c91a62633145c07, v[58:59]
	s_delay_alu instid0(VALU_DEP_1) | instskip(NEXT) | instid1(VALU_DEP_1)
	v_fmac_f64_e32 v[62:63], 0x3ff921fb54442d18, v[54:55]
	v_add_f64_e32 v[54:55], v[60:61], v[62:63]
	s_delay_alu instid0(VALU_DEP_1) | instskip(NEXT) | instid1(VALU_DEP_1)
	v_add_f64_e64 v[56:57], v[54:55], -v[60:61]
	v_add_f64_e64 v[56:57], v[62:63], -v[56:57]
	s_and_not1_saveexec_b32 s7, s7
	s_cbranch_execz .LBB253_186
	s_branch .LBB253_185
.LBB253_184:                            ;   in Loop: Header=BB253_4 Depth=1
	s_and_not1_saveexec_b32 s7, s7
	s_cbranch_execz .LBB253_186
.LBB253_185:                            ;   in Loop: Header=BB253_4 Depth=1
	v_mul_f64_e64 v[54:55], |v[4:5]|, s[24:25]
	s_delay_alu instid0(VALU_DEP_1) | instskip(NEXT) | instid1(VALU_DEP_1)
	v_rndne_f64_e32 v[58:59], v[54:55]
	v_fma_f64 v[54:55], v[58:59], s[26:27], |v[4:5]|
	v_mul_f64_e32 v[56:57], 0xbc91a62633145c00, v[58:59]
	v_cvt_i32_f64_e32 v52, v[58:59]
	s_delay_alu instid0(VALU_DEP_3) | instskip(NEXT) | instid1(VALU_DEP_3)
	v_fmamk_f64 v[64:65], v[58:59], 0xbc91a62633145c00, v[54:55]
	v_add_f64_e32 v[60:61], v[54:55], v[56:57]
	s_delay_alu instid0(VALU_DEP_1) | instskip(NEXT) | instid1(VALU_DEP_3)
	v_add_f64_e64 v[62:63], v[54:55], -v[60:61]
	v_add_f64_e64 v[54:55], v[60:61], -v[64:65]
	s_delay_alu instid0(VALU_DEP_2) | instskip(SKIP_1) | instid1(VALU_DEP_2)
	v_add_f64_e32 v[60:61], v[62:63], v[56:57]
	v_fmamk_f64 v[56:57], v[58:59], 0x3c91a62633145c00, v[56:57]
	v_add_f64_e32 v[54:55], v[54:55], v[60:61]
	s_delay_alu instid0(VALU_DEP_1) | instskip(NEXT) | instid1(VALU_DEP_1)
	v_add_f64_e64 v[56:57], v[54:55], -v[56:57]
	v_fmac_f64_e32 v[56:57], 0xb97b839a252049c0, v[58:59]
	s_delay_alu instid0(VALU_DEP_1) | instskip(NEXT) | instid1(VALU_DEP_1)
	v_add_f64_e32 v[54:55], v[64:65], v[56:57]
	v_add_f64_e64 v[60:61], v[54:55], -v[64:65]
	s_delay_alu instid0(VALU_DEP_1)
	v_add_f64_e64 v[56:57], v[56:57], -v[60:61]
.LBB253_186:                            ;   in Loop: Header=BB253_4 Depth=1
	s_or_b32 exec_lo, exec_lo, s7
                                        ; implicit-def: $vgpr62
                                        ; implicit-def: $vgpr58_vgpr59
                                        ; implicit-def: $vgpr60_vgpr61
	s_and_saveexec_b32 s7, s6
	s_delay_alu instid0(SALU_CYCLE_1)
	s_xor_b32 s6, exec_lo, s7
	s_cbranch_execz .LBB253_188
; %bb.187:                              ;   in Loop: Header=BB253_4 Depth=1
	v_ldexp_f64 v[58:59], |v[4:5]|, 0xffffff80
	v_cmp_le_f64_e64 vcc_lo, 0x7b000000, |v[4:5]|
	v_trig_preop_f64 v[60:61], |v[4:5]|, 0
	v_and_b32_e32 v21, 0x7fffffff, v5
	v_trig_preop_f64 v[62:63], |v[4:5]|, 1
	v_trig_preop_f64 v[72:73], |v[4:5]|, 2
	s_delay_alu instid0(VALU_DEP_3) | instskip(NEXT) | instid1(VALU_DEP_1)
	v_dual_cndmask_b32 v59, v21, v59 :: v_dual_cndmask_b32 v58, v4, v58
	v_mul_f64_e32 v[64:65], v[60:61], v[58:59]
	s_delay_alu instid0(VALU_DEP_4) | instskip(NEXT) | instid1(VALU_DEP_4)
	v_mul_f64_e32 v[66:67], v[62:63], v[58:59]
	v_mul_f64_e32 v[78:79], v[72:73], v[58:59]
	s_delay_alu instid0(VALU_DEP_3) | instskip(NEXT) | instid1(VALU_DEP_3)
	v_fma_f64 v[60:61], v[60:61], v[58:59], -v[64:65]
	v_fma_f64 v[62:63], v[62:63], v[58:59], -v[66:67]
	s_delay_alu instid0(VALU_DEP_3) | instskip(NEXT) | instid1(VALU_DEP_3)
	v_fma_f64 v[58:59], v[72:73], v[58:59], -v[78:79]
	v_add_f64_e32 v[68:69], v[66:67], v[60:61]
	s_delay_alu instid0(VALU_DEP_1) | instskip(SKIP_1) | instid1(VALU_DEP_2)
	v_add_f64_e64 v[70:71], v[68:69], -v[66:67]
	v_add_f64_e32 v[76:77], v[64:65], v[68:69]
	v_add_f64_e64 v[74:75], v[68:69], -v[70:71]
	v_add_f64_e64 v[60:61], v[60:61], -v[70:71]
	s_delay_alu instid0(VALU_DEP_3) | instskip(NEXT) | instid1(VALU_DEP_3)
	v_ldexp_f64 v[70:71], v[76:77], -2
	v_add_f64_e64 v[66:67], v[66:67], -v[74:75]
	v_add_f64_e32 v[74:75], v[78:79], v[62:63]
	s_delay_alu instid0(VALU_DEP_3) | instskip(NEXT) | instid1(VALU_DEP_3)
	v_cmp_neq_f64_e64 vcc_lo, 0x7ff00000, |v[70:71]|
	v_add_f64_e32 v[60:61], v[60:61], v[66:67]
	v_fract_f64_e32 v[66:67], v[70:71]
	s_delay_alu instid0(VALU_DEP_1) | instskip(NEXT) | instid1(VALU_DEP_1)
	v_ldexp_f64 v[66:67], v[66:67], 2
	v_dual_add_f64 v[64:65], v[76:77], -v[64:65] :: v_dual_cndmask_b32 v66, 0, v66, vcc_lo
	s_delay_alu instid0(VALU_DEP_1) | instskip(SKIP_1) | instid1(VALU_DEP_1)
	v_dual_add_f64 v[64:65], v[68:69], -v[64:65] :: v_dual_cndmask_b32 v67, 0, v67, vcc_lo
	v_add_f64_e32 v[68:69], v[74:75], v[60:61]
	v_add_f64_e32 v[70:71], v[64:65], v[68:69]
	v_add_f64_e64 v[80:81], v[68:69], -v[74:75]
	s_delay_alu instid0(VALU_DEP_2) | instskip(NEXT) | instid1(VALU_DEP_2)
	v_add_f64_e32 v[76:77], v[70:71], v[66:67]
	v_add_f64_e64 v[86:87], v[68:69], -v[80:81]
	v_add_f64_e64 v[60:61], v[60:61], -v[80:81]
	;; [unrolled: 1-line block ×3, first 2 shown]
	s_delay_alu instid0(VALU_DEP_4) | instskip(SKIP_2) | instid1(VALU_DEP_2)
	v_cmp_gt_f64_e32 vcc_lo, 0, v[76:77]
	v_add_f64_e64 v[76:77], v[74:75], -v[78:79]
	v_cndmask_b32_e64 v21, 0, 0x40100000, vcc_lo
	v_add_f64_e64 v[84:85], v[74:75], -v[76:77]
	v_add_f64_e64 v[62:63], v[62:63], -v[76:77]
	;; [unrolled: 1-line block ×3, first 2 shown]
	s_delay_alu instid0(VALU_DEP_4) | instskip(NEXT) | instid1(VALU_DEP_4)
	v_add_f64_e32 v[66:67], v[66:67], v[20:21]
	v_add_f64_e64 v[76:77], v[78:79], -v[84:85]
	s_delay_alu instid0(VALU_DEP_3) | instskip(NEXT) | instid1(VALU_DEP_3)
	v_add_f64_e32 v[60:61], v[60:61], v[74:75]
	v_add_f64_e32 v[82:83], v[70:71], v[66:67]
	s_delay_alu instid0(VALU_DEP_3) | instskip(NEXT) | instid1(VALU_DEP_2)
	v_add_f64_e32 v[62:63], v[62:63], v[76:77]
	v_cvt_i32_f64_e32 v21, v[82:83]
	s_delay_alu instid0(VALU_DEP_2) | instskip(SKIP_1) | instid1(VALU_DEP_3)
	v_add_f64_e32 v[60:61], v[62:63], v[60:61]
	v_add_f64_e64 v[62:63], v[68:69], -v[64:65]
	v_cvt_f64_i32_e32 v[80:81], v21
	s_delay_alu instid0(VALU_DEP_3) | instskip(NEXT) | instid1(VALU_DEP_2)
	v_add_f64_e32 v[58:59], v[58:59], v[60:61]
	v_add_f64_e64 v[66:67], v[66:67], -v[80:81]
	s_delay_alu instid0(VALU_DEP_2) | instskip(NEXT) | instid1(VALU_DEP_2)
	v_add_f64_e32 v[58:59], v[62:63], v[58:59]
	v_add_f64_e32 v[72:73], v[70:71], v[66:67]
	s_delay_alu instid0(VALU_DEP_1) | instskip(SKIP_1) | instid1(VALU_DEP_2)
	v_add_f64_e64 v[60:61], v[72:73], -v[66:67]
	v_cmp_le_f64_e32 vcc_lo, 0.5, v[72:73]
	v_add_f64_e64 v[60:61], v[70:71], -v[60:61]
	v_add_co_ci_u32_e64 v62, null, 0, v21, vcc_lo
	v_cndmask_b32_e64 v21, 0, 0x3ff00000, vcc_lo
	s_delay_alu instid0(VALU_DEP_3) | instskip(NEXT) | instid1(VALU_DEP_2)
	v_add_f64_e32 v[58:59], v[58:59], v[60:61]
	v_add_f64_e64 v[60:61], v[72:73], -v[20:21]
	s_delay_alu instid0(VALU_DEP_1) | instskip(NEXT) | instid1(VALU_DEP_1)
	v_add_f64_e32 v[64:65], v[60:61], v[58:59]
	v_mul_f64_e32 v[66:67], 0x3ff921fb54442d18, v[64:65]
	v_add_f64_e64 v[60:61], v[64:65], -v[60:61]
	s_delay_alu instid0(VALU_DEP_2) | instskip(NEXT) | instid1(VALU_DEP_2)
	v_fma_f64 v[68:69], v[64:65], s[22:23], -v[66:67]
	v_add_f64_e64 v[58:59], v[58:59], -v[60:61]
	s_delay_alu instid0(VALU_DEP_2) | instskip(NEXT) | instid1(VALU_DEP_1)
	v_fmac_f64_e32 v[68:69], 0x3c91a62633145c07, v[64:65]
	v_fmac_f64_e32 v[68:69], 0x3ff921fb54442d18, v[58:59]
	s_delay_alu instid0(VALU_DEP_1) | instskip(NEXT) | instid1(VALU_DEP_1)
	v_add_f64_e32 v[58:59], v[66:67], v[68:69]
	v_add_f64_e64 v[60:61], v[58:59], -v[66:67]
	s_delay_alu instid0(VALU_DEP_1)
	v_add_f64_e64 v[60:61], v[68:69], -v[60:61]
	s_and_not1_saveexec_b32 s6, s6
	s_cbranch_execnz .LBB253_189
	s_branch .LBB253_190
.LBB253_188:                            ;   in Loop: Header=BB253_4 Depth=1
	s_and_not1_saveexec_b32 s6, s6
	s_cbranch_execz .LBB253_190
.LBB253_189:                            ;   in Loop: Header=BB253_4 Depth=1
	v_mul_f64_e64 v[58:59], |v[4:5]|, s[24:25]
	s_delay_alu instid0(VALU_DEP_1) | instskip(NEXT) | instid1(VALU_DEP_1)
	v_rndne_f64_e32 v[62:63], v[58:59]
	v_fma_f64 v[58:59], v[62:63], s[26:27], |v[4:5]|
	v_mul_f64_e32 v[60:61], 0xbc91a62633145c00, v[62:63]
	s_delay_alu instid0(VALU_DEP_2) | instskip(NEXT) | instid1(VALU_DEP_2)
	v_fmamk_f64 v[68:69], v[62:63], 0xbc91a62633145c00, v[58:59]
	v_add_f64_e32 v[64:65], v[58:59], v[60:61]
	s_delay_alu instid0(VALU_DEP_1) | instskip(NEXT) | instid1(VALU_DEP_3)
	v_add_f64_e64 v[66:67], v[58:59], -v[64:65]
	v_add_f64_e64 v[58:59], v[64:65], -v[68:69]
	s_delay_alu instid0(VALU_DEP_2) | instskip(SKIP_1) | instid1(VALU_DEP_2)
	v_add_f64_e32 v[64:65], v[66:67], v[60:61]
	v_fmamk_f64 v[60:61], v[62:63], 0x3c91a62633145c00, v[60:61]
	v_add_f64_e32 v[58:59], v[58:59], v[64:65]
	s_delay_alu instid0(VALU_DEP_1) | instskip(NEXT) | instid1(VALU_DEP_1)
	v_add_f64_e64 v[60:61], v[58:59], -v[60:61]
	v_fmac_f64_e32 v[60:61], 0xb97b839a252049c0, v[62:63]
	v_cvt_i32_f64_e32 v62, v[62:63]
	s_delay_alu instid0(VALU_DEP_2) | instskip(NEXT) | instid1(VALU_DEP_1)
	v_add_f64_e32 v[58:59], v[68:69], v[60:61]
	v_add_f64_e64 v[64:65], v[58:59], -v[68:69]
	s_delay_alu instid0(VALU_DEP_1)
	v_add_f64_e64 v[60:61], v[60:61], -v[64:65]
.LBB253_190:                            ;   in Loop: Header=BB253_4 Depth=1
	s_or_b32 exec_lo, exec_lo, s6
	v_add_f64_e64 v[2:3], -v[2:3], s[36:37]
	v_mul_f64_e32 v[66:67], v[54:55], v[54:55]
	v_mul_f64_e32 v[68:69], v[58:59], v[58:59]
	s_delay_alu instid0(VALU_DEP_4)
	v_mul_f64_e32 v[80:81], 0.5, v[56:57]
	v_cmp_class_f64_e64 s6, v[4:5], 0x1f8
	v_lshlrev_b32_e32 v5, 30, v62
	v_mul_f64_e32 v[64:65], 0x3ff71547652b82fe, v[2:3]
	v_mul_f64_e32 v[70:71], 0.5, v[66:67]
	v_cmp_nlt_f64_e64 s7, 0x40900000, v[2:3]
	v_cmp_ngt_f64_e64 s8, 0xc090cc00, v[2:3]
	s_delay_alu instid0(VALU_DEP_4) | instskip(NEXT) | instid1(VALU_DEP_4)
	v_rndne_f64_e32 v[64:65], v[64:65]
	v_add_f64_e64 v[76:77], -v[70:71], 1.0
	s_delay_alu instid0(VALU_DEP_2) | instskip(NEXT) | instid1(VALU_DEP_2)
	v_fmamk_f64 v[74:75], v[64:65], 0xbfe62e42fefa39ef, v[2:3]
	v_add_f64_e64 v[84:85], -v[76:77], 1.0
	v_cvt_i32_f64_e32 v21, v[64:65]
	v_and_b32_e32 v2, 1, v62
	s_delay_alu instid0(VALU_DEP_4) | instskip(NEXT) | instid1(VALU_DEP_2)
	v_fmac_f64_e32 v[74:75], 0xbc7abc9e3b39803f, v[64:65]
	v_cmp_eq_u32_e64 s9, 0, v2
	v_mul_f64_e32 v[90:91], 0.5, v[60:61]
	v_add_f64_e64 v[70:71], v[84:85], -v[70:71]
	s_delay_alu instid0(VALU_DEP_4) | instskip(NEXT) | instid1(VALU_DEP_1)
	v_fmamk_f64 v[88:89], v[74:75], 0x3e5ade156a5dcb37, v[26:27]
	v_fmaak_f64 v[88:89], v[74:75], v[88:89], 0x3ec71dee623fde64
	s_delay_alu instid0(VALU_DEP_1) | instskip(NEXT) | instid1(VALU_DEP_1)
	v_fmaak_f64 v[88:89], v[74:75], v[88:89], 0x3efa01997c89e6b0
	v_fmaak_f64 v[88:89], v[74:75], v[88:89], 0x3f2a01a014761f6e
	s_delay_alu instid0(VALU_DEP_1) | instskip(NEXT) | instid1(VALU_DEP_1)
	v_fmaak_f64 v[84:85], v[74:75], v[88:89], 0x3f56c16c1852b7b0
	;; [unrolled: 3-line block ×4, first 2 shown]
	v_fma_f64 v[84:85], v[74:75], v[84:85], 1.0
	s_delay_alu instid0(VALU_DEP_1) | instskip(NEXT) | instid1(VALU_DEP_1)
	v_fma_f64 v[64:65], v[74:75], v[84:85], 1.0
	v_ldexp_f64 v[64:65], v[64:65], v21
	v_dual_mul_f64 v[82:83], v[54:55], -v[66:67] :: v_dual_bitop2_b32 v21, 1, v52 bitop3:0x40
	v_fmamk_f64 v[86:87], v[66:67], 0x3de5e0b2f9a43bb8, v[42:43]
	v_lshlrev_b32_e32 v52, 30, v52
	v_mul_f64_e32 v[72:73], 0.5, v[68:69]
	v_mul_f64_e64 v[92:93], v[58:59], -v[68:69]
	v_fmamk_f64 v[96:97], v[68:69], 0x3de5e0b2f9a43bb8, v[42:43]
	v_cmp_eq_u32_e32 vcc_lo, 0, v21
	v_fmaak_f64 v[86:87], v[66:67], v[86:87], 0x3ec71de3796cde01
	s_delay_alu instid0(VALU_DEP_1) | instskip(NEXT) | instid1(VALU_DEP_1)
	v_fmaak_f64 v[86:87], v[66:67], v[86:87], 0xbf2a01a019e83e5c
	v_fmaak_f64 v[86:87], v[66:67], v[86:87], 0x3f81111111110bb3
	v_cndmask_b32_e64 v4, 0x7ff00000, v65, s7
	v_mul_f64_e32 v[88:89], v[66:67], v[66:67]
	s_delay_alu instid0(VALU_DEP_3) | instskip(SKIP_2) | instid1(VALU_DEP_2)
	v_fmac_f64_e32 v[80:81], v[82:83], v[86:87]
	v_fmaak_f64 v[86:87], v[68:69], v[96:97], 0x3ec71de3796cde01
	v_add_f64_e64 v[78:79], -v[72:73], 1.0
	v_fmaak_f64 v[86:87], v[68:69], v[86:87], 0xbf2a01a019e83e5c
	s_delay_alu instid0(VALU_DEP_1) | instskip(NEXT) | instid1(VALU_DEP_1)
	v_fmaak_f64 v[86:87], v[68:69], v[86:87], 0x3f81111111110bb3
	v_fmac_f64_e32 v[90:91], v[92:93], v[86:87]
	v_fmamk_f64 v[86:87], v[66:67], 0xbda907db46cc5e42, v[28:29]
	v_fma_f64 v[80:81], v[66:67], v[80:81], -v[56:57]
	v_fma_f64 v[56:57], v[54:55], -v[56:57], v[70:71]
	s_delay_alu instid0(VALU_DEP_3) | instskip(SKIP_2) | instid1(VALU_DEP_3)
	v_fmaak_f64 v[70:71], v[66:67], v[86:87], 0xbe927e4fa17f65f6
	v_add_f64_e64 v[94:95], -v[78:79], 1.0
	v_mul_f64_e32 v[86:87], v[68:69], v[68:69]
	v_fmaak_f64 v[70:71], v[66:67], v[70:71], 0x3efa01a019f4ec90
	s_delay_alu instid0(VALU_DEP_1) | instskip(NEXT) | instid1(VALU_DEP_1)
	v_fmaak_f64 v[70:71], v[66:67], v[70:71], 0xbf56c16c16c16967
	v_fmaak_f64 v[66:67], v[66:67], v[70:71], 0x3fa5555555555555
	v_fmac_f64_e32 v[80:81], 0xbfc5555555555555, v[82:83]
	s_delay_alu instid0(VALU_DEP_2) | instskip(NEXT) | instid1(VALU_DEP_2)
	v_fmac_f64_e32 v[56:57], v[88:89], v[66:67]
	v_add_f64_e64 v[54:55], v[54:55], -v[80:81]
	s_delay_alu instid0(VALU_DEP_2) | instskip(NEXT) | instid1(VALU_DEP_2)
	v_add_f64_e32 v[56:57], v[76:77], v[56:57]
	v_xor_b32_e32 v3, 0x80000000, v55
	s_delay_alu instid0(VALU_DEP_2)
	v_cndmask_b32_e32 v21, v54, v56, vcc_lo
	v_cndmask_b32_e64 v54, 0, v4, s8
	v_add_f64_e64 v[72:73], v[94:95], -v[72:73]
	v_fmamk_f64 v[94:95], v[68:69], 0xbda907db46cc5e42, v[28:29]
	v_dual_fma_f64 v[70:71], v[68:69], v[90:91], -v[60:61] :: v_dual_cndmask_b32 v2, v3, v57, vcc_lo
	v_xor_b32_e32 v3, v5, v53
	s_and_b32 vcc_lo, s8, s7
	s_delay_alu instid0(VALU_DEP_2) | instskip(SKIP_4) | instid1(VALU_DEP_2)
	v_bitop3_b32 v52, v2, v52, 0x80000000 bitop3:0x78
	v_cndmask_b32_e64 v2, 0, v21, s6
	v_fma_f64 v[60:61], v[58:59], -v[60:61], v[72:73]
	v_fmaak_f64 v[72:73], v[68:69], v[94:95], 0xbe927e4fa17f65f6
	v_fmac_f64_e32 v[70:71], 0xbfc5555555555555, v[92:93]
	v_fmaak_f64 v[66:67], v[68:69], v[72:73], 0x3efa01a019f4ec90
	s_delay_alu instid0(VALU_DEP_1) | instskip(NEXT) | instid1(VALU_DEP_1)
	v_fmaak_f64 v[66:67], v[68:69], v[66:67], 0xbf56c16c16c16967
	v_fmaak_f64 v[66:67], v[68:69], v[66:67], 0x3fa5555555555555
	s_delay_alu instid0(VALU_DEP_1) | instskip(SKIP_1) | instid1(VALU_DEP_2)
	v_fmac_f64_e32 v[60:61], v[86:87], v[66:67]
	v_add_f64_e64 v[58:59], v[58:59], -v[70:71]
	v_add_f64_e32 v[60:61], v[78:79], v[60:61]
	s_delay_alu instid0(VALU_DEP_1) | instskip(NEXT) | instid1(VALU_DEP_1)
	v_cndmask_b32_e64 v5, v60, v58, s9
	v_dual_cndmask_b32 v4, 0, v5, s6 :: v_dual_cndmask_b32 v53, v61, v59, s9
	s_delay_alu instid0(VALU_DEP_1) | instskip(SKIP_3) | instid1(VALU_DEP_4)
	v_bitop3_b32 v21, v53, v3, 0x80000000 bitop3:0x78
	v_cndmask_b32_e64 v3, 0x7ff80000, v52, s6
	v_and_or_b32 v53, v54, s33, 0x7fe00000
	v_cndmask_b32_e32 v52, 0, v64, vcc_lo
	v_cndmask_b32_e64 v5, 0x7ff80000, v21, s6
	v_lshrrev_b32_e32 v21, 20, v54
	s_delay_alu instid0(VALU_DEP_3) | instskip(NEXT) | instid1(VALU_DEP_3)
	v_mul_f64_e32 v[2:3], v[52:53], v[2:3]
	v_mul_f64_e32 v[4:5], v[52:53], v[4:5]
	s_delay_alu instid0(VALU_DEP_3) | instskip(NEXT) | instid1(VALU_DEP_1)
	v_add_nc_u32_e32 v52, 0xffffff09, v21
	v_lshrrev_b16 v21, 15, v52
	s_delay_alu instid0(VALU_DEP_1) | instskip(NEXT) | instid1(VALU_DEP_1)
	v_add_nc_u16 v21, v52, v21
	v_ashrrev_i16 v21, 1, v21
	s_delay_alu instid0(VALU_DEP_1) | instskip(NEXT) | instid1(VALU_DEP_1)
	v_bfe_i32 v53, v21, 0, 16
	v_lshl_add_u32 v21, v53, 20, 0x3ff00000
	s_delay_alu instid0(VALU_DEP_1) | instskip(SKIP_3) | instid1(VALU_DEP_2)
	v_mul_f64_e32 v[2:3], v[2:3], v[20:21]
	v_mul_f64_e32 v[4:5], v[4:5], v[20:21]
	v_sub_nc_u32_e32 v21, v52, v53
	v_mov_b32_e32 v52, v20
	v_lshl_add_u32 v53, v21, 20, 0x3ff00000
	s_delay_alu instid0(VALU_DEP_1)
	v_mul_f64_e32 v[54:55], v[2:3], v[52:53]
	v_mul_f64_e32 v[52:53], v[4:5], v[52:53]
.LBB253_191:                            ;   in Loop: Header=BB253_4 Depth=1
	s_or_b32 exec_lo, exec_lo, s43
                                        ; implicit-def: $vgpr56_vgpr57
                                        ; implicit-def: $vgpr2_vgpr3
                                        ; implicit-def: $vgpr21
.LBB253_192:                            ;   in Loop: Header=BB253_4 Depth=1
	s_and_not1_saveexec_b32 s7, s42
	s_cbranch_execz .LBB253_198
; %bb.193:                              ;   in Loop: Header=BB253_4 Depth=1
	v_add_f64_e64 v[52:53], v[4:5], -v[4:5]
	v_cmp_ne_u32_e32 vcc_lo, 0, v2
	v_cmp_ne_u32_e64 s6, 0x7ff00000, v21
	s_or_b32 s6, vcc_lo, s6
	s_delay_alu instid0(SALU_CYCLE_1) | instskip(NEXT) | instid1(SALU_CYCLE_1)
	s_and_saveexec_b32 s8, s6
	s_xor_b32 s6, exec_lo, s8
; %bb.194:                              ;   in Loop: Header=BB253_4 Depth=1
                                        ; implicit-def: $vgpr56_vgpr57
                                        ; implicit-def: $vgpr2_vgpr3
; %bb.195:                              ;   in Loop: Header=BB253_4 Depth=1
	s_delay_alu instid0(SALU_CYCLE_1)
	s_or_saveexec_b32 s6, s6
	v_mov_b64_e32 v[54:55], v[52:53]
	s_xor_b32 exec_lo, exec_lo, s6
; %bb.196:                              ;   in Loop: Header=BB253_4 Depth=1
	v_cmp_lt_i64_e32 vcc_lo, -1, v[56:57]
	v_dual_cndmask_b32 v55, 0, v57 :: v_dual_cndmask_b32 v54, 0, v2
	v_dual_cndmask_b32 v53, 0, v53 :: v_dual_cndmask_b32 v52, 0, v52
; %bb.197:                              ;   in Loop: Header=BB253_4 Depth=1
	s_or_b32 exec_lo, exec_lo, s6
.LBB253_198:                            ;   in Loop: Header=BB253_4 Depth=1
	s_delay_alu instid0(SALU_CYCLE_1)
	s_or_b32 exec_lo, exec_lo, s7
                                        ; implicit-def: $vgpr4_vgpr5
.LBB253_199:                            ;   in Loop: Header=BB253_4 Depth=1
	s_and_not1_saveexec_b32 s8, s41
	s_cbranch_execz .LBB253_209
; %bb.200:                              ;   in Loop: Header=BB253_4 Depth=1
	v_cmp_ngt_f64_e64 s6, 0x41d00000, |v[4:5]|
	v_trig_preop_f64 v[60:61], |v[4:5]|, 0
	v_trig_preop_f64 v[58:59], |v[4:5]|, 1
	v_ldexp_f64 v[62:63], |v[4:5]|, 0xffffff80
	v_trig_preop_f64 v[56:57], |v[4:5]|, 2
	v_and_b32_e32 v70, 0x7fffffff, v5
                                        ; implicit-def: $vgpr52
                                        ; implicit-def: $vgpr2_vgpr3
                                        ; implicit-def: $vgpr54_vgpr55
	s_and_saveexec_b32 s7, s6
	s_delay_alu instid0(SALU_CYCLE_1)
	s_xor_b32 s7, exec_lo, s7
	s_cbranch_execz .LBB253_202
; %bb.201:                              ;   in Loop: Header=BB253_4 Depth=1
	v_cmp_le_f64_e64 vcc_lo, 0x7b000000, |v[4:5]|
	s_delay_alu instid0(VALU_DEP_4) | instskip(NEXT) | instid1(VALU_DEP_1)
	v_dual_cndmask_b32 v3, v70, v63 :: v_dual_cndmask_b32 v2, v4, v62
	v_mul_f64_e32 v[54:55], v[60:61], v[2:3]
	v_mul_f64_e32 v[64:65], v[58:59], v[2:3]
	;; [unrolled: 1-line block ×3, first 2 shown]
	s_delay_alu instid0(VALU_DEP_3) | instskip(NEXT) | instid1(VALU_DEP_3)
	v_fma_f64 v[66:67], v[60:61], v[2:3], -v[54:55]
	v_fma_f64 v[80:81], v[58:59], v[2:3], -v[64:65]
	s_delay_alu instid0(VALU_DEP_3) | instskip(NEXT) | instid1(VALU_DEP_3)
	v_fma_f64 v[2:3], v[56:57], v[2:3], -v[78:79]
	v_add_f64_e32 v[68:69], v[64:65], v[66:67]
	s_delay_alu instid0(VALU_DEP_1) | instskip(SKIP_1) | instid1(VALU_DEP_2)
	v_add_f64_e64 v[72:73], v[68:69], -v[64:65]
	v_add_f64_e32 v[76:77], v[54:55], v[68:69]
	v_add_f64_e64 v[74:75], v[68:69], -v[72:73]
	v_add_f64_e64 v[66:67], v[66:67], -v[72:73]
	s_delay_alu instid0(VALU_DEP_3) | instskip(SKIP_1) | instid1(VALU_DEP_4)
	v_ldexp_f64 v[72:73], v[76:77], -2
	v_add_f64_e64 v[54:55], v[76:77], -v[54:55]
	v_add_f64_e64 v[64:65], v[64:65], -v[74:75]
	v_add_f64_e32 v[74:75], v[78:79], v[80:81]
	s_delay_alu instid0(VALU_DEP_4) | instskip(NEXT) | instid1(VALU_DEP_4)
	v_cmp_neq_f64_e64 vcc_lo, 0x7ff00000, |v[72:73]|
	v_add_f64_e64 v[54:55], v[68:69], -v[54:55]
	s_delay_alu instid0(VALU_DEP_4) | instskip(SKIP_1) | instid1(VALU_DEP_2)
	v_add_f64_e32 v[64:65], v[66:67], v[64:65]
	v_fract_f64_e32 v[66:67], v[72:73]
	v_add_f64_e32 v[68:69], v[74:75], v[64:65]
	s_delay_alu instid0(VALU_DEP_2) | instskip(NEXT) | instid1(VALU_DEP_1)
	v_ldexp_f64 v[66:67], v[66:67], 2
	v_dual_add_f64 v[72:73], v[54:55], v[68:69] :: v_dual_cndmask_b32 v67, 0, v67, vcc_lo
	s_delay_alu instid0(VALU_DEP_2) | instskip(SKIP_1) | instid1(VALU_DEP_2)
	v_cndmask_b32_e32 v66, 0, v66, vcc_lo
	v_add_f64_e64 v[82:83], v[68:69], -v[74:75]
	v_add_f64_e32 v[76:77], v[72:73], v[66:67]
	v_add_f64_e64 v[54:55], v[72:73], -v[54:55]
	s_delay_alu instid0(VALU_DEP_3) | instskip(SKIP_1) | instid1(VALU_DEP_4)
	v_add_f64_e64 v[88:89], v[68:69], -v[82:83]
	v_add_f64_e64 v[64:65], v[64:65], -v[82:83]
	v_cmp_gt_f64_e32 vcc_lo, 0, v[76:77]
	v_add_f64_e64 v[76:77], v[74:75], -v[78:79]
	v_add_f64_e64 v[54:55], v[68:69], -v[54:55]
	v_cndmask_b32_e64 v21, 0, 0x40100000, vcc_lo
	s_delay_alu instid0(VALU_DEP_3) | instskip(SKIP_2) | instid1(VALU_DEP_4)
	v_add_f64_e64 v[86:87], v[74:75], -v[76:77]
	v_add_f64_e64 v[76:77], v[80:81], -v[76:77]
	v_add_f64_e64 v[74:75], v[74:75], -v[88:89]
	v_add_f64_e32 v[66:67], v[66:67], v[20:21]
	s_delay_alu instid0(VALU_DEP_4) | instskip(NEXT) | instid1(VALU_DEP_3)
	v_add_f64_e64 v[80:81], v[78:79], -v[86:87]
	v_add_f64_e32 v[64:65], v[64:65], v[74:75]
	s_delay_alu instid0(VALU_DEP_3) | instskip(NEXT) | instid1(VALU_DEP_3)
	v_add_f64_e32 v[84:85], v[72:73], v[66:67]
	v_add_f64_e32 v[76:77], v[76:77], v[80:81]
	s_delay_alu instid0(VALU_DEP_2) | instskip(NEXT) | instid1(VALU_DEP_2)
	v_cvt_i32_f64_e32 v21, v[84:85]
	v_add_f64_e32 v[64:65], v[76:77], v[64:65]
	s_delay_alu instid0(VALU_DEP_2) | instskip(NEXT) | instid1(VALU_DEP_2)
	v_cvt_f64_i32_e32 v[82:83], v21
	v_add_f64_e32 v[2:3], v[2:3], v[64:65]
	s_delay_alu instid0(VALU_DEP_2) | instskip(NEXT) | instid1(VALU_DEP_2)
	v_add_f64_e64 v[66:67], v[66:67], -v[82:83]
	v_add_f64_e32 v[2:3], v[54:55], v[2:3]
	s_delay_alu instid0(VALU_DEP_2) | instskip(NEXT) | instid1(VALU_DEP_1)
	v_add_f64_e32 v[74:75], v[72:73], v[66:67]
	v_add_f64_e64 v[64:65], v[74:75], -v[66:67]
	v_cmp_le_f64_e32 vcc_lo, 0.5, v[74:75]
	s_delay_alu instid0(VALU_DEP_2) | instskip(SKIP_2) | instid1(VALU_DEP_3)
	v_add_f64_e64 v[54:55], v[72:73], -v[64:65]
	v_add_co_ci_u32_e64 v52, null, 0, v21, vcc_lo
	v_cndmask_b32_e64 v21, 0, 0x3ff00000, vcc_lo
	v_add_f64_e32 v[2:3], v[2:3], v[54:55]
	s_delay_alu instid0(VALU_DEP_2) | instskip(NEXT) | instid1(VALU_DEP_1)
	v_add_f64_e64 v[54:55], v[74:75], -v[20:21]
	v_add_f64_e32 v[64:65], v[54:55], v[2:3]
	s_delay_alu instid0(VALU_DEP_1) | instskip(SKIP_1) | instid1(VALU_DEP_2)
	v_mul_f64_e32 v[66:67], 0x3ff921fb54442d18, v[64:65]
	v_add_f64_e64 v[54:55], v[64:65], -v[54:55]
	v_fma_f64 v[68:69], v[64:65], s[22:23], -v[66:67]
	s_delay_alu instid0(VALU_DEP_2) | instskip(NEXT) | instid1(VALU_DEP_2)
	v_add_f64_e64 v[2:3], v[2:3], -v[54:55]
	v_fmac_f64_e32 v[68:69], 0x3c91a62633145c07, v[64:65]
	s_delay_alu instid0(VALU_DEP_1) | instskip(NEXT) | instid1(VALU_DEP_1)
	v_fmac_f64_e32 v[68:69], 0x3ff921fb54442d18, v[2:3]
	v_add_f64_e32 v[2:3], v[66:67], v[68:69]
	s_delay_alu instid0(VALU_DEP_1) | instskip(NEXT) | instid1(VALU_DEP_1)
	v_add_f64_e64 v[54:55], v[2:3], -v[66:67]
	v_add_f64_e64 v[54:55], v[68:69], -v[54:55]
.LBB253_202:                            ;   in Loop: Header=BB253_4 Depth=1
	s_or_saveexec_b32 s7, s7
	v_mul_f64_e64 v[64:65], |v[4:5]|, s[24:25]
	s_delay_alu instid0(VALU_DEP_1)
	v_rndne_f64_e32 v[68:69], v[64:65]
	s_xor_b32 exec_lo, exec_lo, s7
	s_cbranch_execz .LBB253_204
; %bb.203:                              ;   in Loop: Header=BB253_4 Depth=1
	s_delay_alu instid0(VALU_DEP_1) | instskip(SKIP_2) | instid1(VALU_DEP_3)
	v_fma_f64 v[2:3], v[68:69], s[26:27], |v[4:5]|
	v_mul_f64_e32 v[54:55], 0xbc91a62633145c00, v[68:69]
	v_cvt_i32_f64_e32 v52, v[68:69]
	v_fmamk_f64 v[72:73], v[68:69], 0xbc91a62633145c00, v[2:3]
	s_delay_alu instid0(VALU_DEP_3) | instskip(NEXT) | instid1(VALU_DEP_1)
	v_add_f64_e32 v[64:65], v[2:3], v[54:55]
	v_add_f64_e64 v[66:67], v[2:3], -v[64:65]
	s_delay_alu instid0(VALU_DEP_3) | instskip(NEXT) | instid1(VALU_DEP_2)
	v_add_f64_e64 v[2:3], v[64:65], -v[72:73]
	v_add_f64_e32 v[64:65], v[66:67], v[54:55]
	v_fmamk_f64 v[54:55], v[68:69], 0x3c91a62633145c00, v[54:55]
	s_delay_alu instid0(VALU_DEP_2) | instskip(NEXT) | instid1(VALU_DEP_1)
	v_add_f64_e32 v[2:3], v[2:3], v[64:65]
	v_add_f64_e64 v[54:55], v[2:3], -v[54:55]
	s_delay_alu instid0(VALU_DEP_1) | instskip(NEXT) | instid1(VALU_DEP_1)
	v_fmac_f64_e32 v[54:55], 0xb97b839a252049c0, v[68:69]
	v_add_f64_e32 v[2:3], v[72:73], v[54:55]
	s_delay_alu instid0(VALU_DEP_1) | instskip(NEXT) | instid1(VALU_DEP_1)
	v_add_f64_e64 v[64:65], v[2:3], -v[72:73]
	v_add_f64_e64 v[54:55], v[54:55], -v[64:65]
.LBB253_204:                            ;   in Loop: Header=BB253_4 Depth=1
	s_or_b32 exec_lo, exec_lo, s7
                                        ; implicit-def: $vgpr71
                                        ; implicit-def: $vgpr64_vgpr65
                                        ; implicit-def: $vgpr66_vgpr67
	s_and_saveexec_b32 s7, s6
	s_delay_alu instid0(SALU_CYCLE_1)
	s_xor_b32 s6, exec_lo, s7
	s_cbranch_execz .LBB253_206
; %bb.205:                              ;   in Loop: Header=BB253_4 Depth=1
	v_cmp_le_f64_e64 vcc_lo, 0x7b000000, |v[4:5]|
	v_dual_cndmask_b32 v63, v70, v63 :: v_dual_cndmask_b32 v62, v4, v62
	s_delay_alu instid0(VALU_DEP_1) | instskip(SKIP_2) | instid1(VALU_DEP_3)
	v_mul_f64_e32 v[64:65], v[60:61], v[62:63]
	v_mul_f64_e32 v[66:67], v[58:59], v[62:63]
	;; [unrolled: 1-line block ×3, first 2 shown]
	v_fma_f64 v[60:61], v[60:61], v[62:63], -v[64:65]
	s_delay_alu instid0(VALU_DEP_3) | instskip(NEXT) | instid1(VALU_DEP_3)
	v_fma_f64 v[58:59], v[58:59], v[62:63], -v[66:67]
	v_fma_f64 v[56:57], v[56:57], v[62:63], -v[76:77]
	s_delay_alu instid0(VALU_DEP_3) | instskip(NEXT) | instid1(VALU_DEP_1)
	v_add_f64_e32 v[68:69], v[66:67], v[60:61]
	v_add_f64_e64 v[70:71], v[68:69], -v[66:67]
	v_add_f64_e32 v[74:75], v[64:65], v[68:69]
	s_delay_alu instid0(VALU_DEP_2) | instskip(SKIP_1) | instid1(VALU_DEP_3)
	v_add_f64_e64 v[72:73], v[68:69], -v[70:71]
	v_add_f64_e64 v[60:61], v[60:61], -v[70:71]
	v_ldexp_f64 v[70:71], v[74:75], -2
	s_delay_alu instid0(VALU_DEP_3) | instskip(SKIP_1) | instid1(VALU_DEP_3)
	v_add_f64_e64 v[66:67], v[66:67], -v[72:73]
	v_add_f64_e32 v[72:73], v[76:77], v[58:59]
	v_cmp_neq_f64_e64 vcc_lo, 0x7ff00000, |v[70:71]|
	s_delay_alu instid0(VALU_DEP_3) | instskip(SKIP_1) | instid1(VALU_DEP_1)
	v_add_f64_e32 v[60:61], v[60:61], v[66:67]
	v_fract_f64_e32 v[66:67], v[70:71]
	v_ldexp_f64 v[66:67], v[66:67], 2
	s_delay_alu instid0(VALU_DEP_1) | instskip(NEXT) | instid1(VALU_DEP_1)
	v_dual_add_f64 v[64:65], v[74:75], -v[64:65] :: v_dual_cndmask_b32 v66, 0, v66, vcc_lo
	v_dual_add_f64 v[64:65], v[68:69], -v[64:65] :: v_dual_cndmask_b32 v67, 0, v67, vcc_lo
	v_add_f64_e32 v[68:69], v[72:73], v[60:61]
	s_delay_alu instid0(VALU_DEP_1) | instskip(SKIP_1) | instid1(VALU_DEP_2)
	v_add_f64_e32 v[70:71], v[64:65], v[68:69]
	v_add_f64_e64 v[78:79], v[68:69], -v[72:73]
	v_add_f64_e32 v[74:75], v[70:71], v[66:67]
	s_delay_alu instid0(VALU_DEP_2) | instskip(SKIP_2) | instid1(VALU_DEP_4)
	v_add_f64_e64 v[84:85], v[68:69], -v[78:79]
	v_add_f64_e64 v[60:61], v[60:61], -v[78:79]
	v_add_f64_e64 v[62:63], v[70:71], -v[64:65]
	v_cmp_gt_f64_e32 vcc_lo, 0, v[74:75]
	v_add_f64_e64 v[74:75], v[72:73], -v[76:77]
	s_delay_alu instid0(VALU_DEP_3) | instskip(SKIP_1) | instid1(VALU_DEP_3)
	v_add_f64_e64 v[62:63], v[68:69], -v[62:63]
                                        ; implicit-def: $vgpr68_vgpr69
	v_cndmask_b32_e64 v21, 0, 0x40100000, vcc_lo
	v_add_f64_e64 v[82:83], v[72:73], -v[74:75]
	v_add_f64_e64 v[58:59], v[58:59], -v[74:75]
	;; [unrolled: 1-line block ×3, first 2 shown]
	s_delay_alu instid0(VALU_DEP_4) | instskip(NEXT) | instid1(VALU_DEP_4)
	v_add_f64_e32 v[66:67], v[66:67], v[20:21]
	v_add_f64_e64 v[74:75], v[76:77], -v[82:83]
	s_delay_alu instid0(VALU_DEP_3) | instskip(NEXT) | instid1(VALU_DEP_3)
	v_add_f64_e32 v[60:61], v[60:61], v[72:73]
	v_add_f64_e32 v[80:81], v[70:71], v[66:67]
	s_delay_alu instid0(VALU_DEP_3) | instskip(NEXT) | instid1(VALU_DEP_2)
	v_add_f64_e32 v[58:59], v[58:59], v[74:75]
	v_cvt_i32_f64_e32 v21, v[80:81]
	s_delay_alu instid0(VALU_DEP_2) | instskip(NEXT) | instid1(VALU_DEP_2)
	v_add_f64_e32 v[58:59], v[58:59], v[60:61]
	v_cvt_f64_i32_e32 v[78:79], v21
	s_delay_alu instid0(VALU_DEP_2) | instskip(NEXT) | instid1(VALU_DEP_2)
	v_add_f64_e32 v[56:57], v[56:57], v[58:59]
	v_add_f64_e64 v[66:67], v[66:67], -v[78:79]
	s_delay_alu instid0(VALU_DEP_2) | instskip(NEXT) | instid1(VALU_DEP_2)
	v_add_f64_e32 v[56:57], v[62:63], v[56:57]
	v_add_f64_e32 v[60:61], v[70:71], v[66:67]
	s_delay_alu instid0(VALU_DEP_1) | instskip(SKIP_1) | instid1(VALU_DEP_2)
	v_add_f64_e64 v[58:59], v[60:61], -v[66:67]
	v_cmp_le_f64_e32 vcc_lo, 0.5, v[60:61]
	v_add_f64_e64 v[58:59], v[70:71], -v[58:59]
	v_add_co_ci_u32_e64 v71, null, 0, v21, vcc_lo
	v_cndmask_b32_e64 v21, 0, 0x3ff00000, vcc_lo
	s_delay_alu instid0(VALU_DEP_3) | instskip(NEXT) | instid1(VALU_DEP_2)
	v_add_f64_e32 v[56:57], v[56:57], v[58:59]
	v_add_f64_e64 v[58:59], v[60:61], -v[20:21]
	s_delay_alu instid0(VALU_DEP_1) | instskip(NEXT) | instid1(VALU_DEP_1)
	v_add_f64_e32 v[60:61], v[58:59], v[56:57]
	v_mul_f64_e32 v[62:63], 0x3ff921fb54442d18, v[60:61]
	v_add_f64_e64 v[58:59], v[60:61], -v[58:59]
	s_delay_alu instid0(VALU_DEP_2) | instskip(NEXT) | instid1(VALU_DEP_2)
	v_fma_f64 v[66:67], v[60:61], s[22:23], -v[62:63]
	v_add_f64_e64 v[56:57], v[56:57], -v[58:59]
	s_delay_alu instid0(VALU_DEP_2) | instskip(NEXT) | instid1(VALU_DEP_1)
	v_fmac_f64_e32 v[66:67], 0x3c91a62633145c07, v[60:61]
	v_fmac_f64_e32 v[66:67], 0x3ff921fb54442d18, v[56:57]
	s_delay_alu instid0(VALU_DEP_1) | instskip(NEXT) | instid1(VALU_DEP_1)
	v_add_f64_e32 v[64:65], v[62:63], v[66:67]
	v_add_f64_e64 v[56:57], v[64:65], -v[62:63]
	s_delay_alu instid0(VALU_DEP_1)
	v_add_f64_e64 v[66:67], v[66:67], -v[56:57]
	s_and_not1_saveexec_b32 s6, s6
	s_cbranch_execnz .LBB253_207
	s_branch .LBB253_208
.LBB253_206:                            ;   in Loop: Header=BB253_4 Depth=1
	s_and_not1_saveexec_b32 s6, s6
	s_cbranch_execz .LBB253_208
.LBB253_207:                            ;   in Loop: Header=BB253_4 Depth=1
	s_delay_alu instid0(VALU_DEP_1) | instskip(SKIP_2) | instid1(VALU_DEP_2)
	v_fma_f64 v[56:57], v[68:69], s[26:27], |v[4:5]|
	v_mul_f64_e32 v[58:59], 0xbc91a62633145c00, v[68:69]
	v_cvt_i32_f64_e32 v71, v[68:69]
	v_add_f64_e32 v[60:61], v[56:57], v[58:59]
	s_delay_alu instid0(VALU_DEP_1) | instskip(SKIP_1) | instid1(VALU_DEP_1)
	v_add_f64_e64 v[62:63], v[56:57], -v[60:61]
	v_fmamk_f64 v[56:57], v[68:69], 0xbc91a62633145c00, v[56:57]
	v_add_f64_e64 v[60:61], v[60:61], -v[56:57]
	s_delay_alu instid0(VALU_DEP_3) | instskip(SKIP_1) | instid1(VALU_DEP_2)
	v_add_f64_e32 v[62:63], v[62:63], v[58:59]
	v_fmamk_f64 v[58:59], v[68:69], 0x3c91a62633145c00, v[58:59]
	v_add_f64_e32 v[60:61], v[60:61], v[62:63]
	s_delay_alu instid0(VALU_DEP_1) | instskip(NEXT) | instid1(VALU_DEP_1)
	v_add_f64_e64 v[58:59], v[60:61], -v[58:59]
	v_fmac_f64_e32 v[58:59], 0xb97b839a252049c0, v[68:69]
	s_delay_alu instid0(VALU_DEP_1) | instskip(NEXT) | instid1(VALU_DEP_1)
	v_add_f64_e32 v[64:65], v[56:57], v[58:59]
	v_add_f64_e64 v[56:57], v[64:65], -v[56:57]
	s_delay_alu instid0(VALU_DEP_1)
	v_add_f64_e64 v[66:67], v[58:59], -v[56:57]
.LBB253_208:                            ;   in Loop: Header=BB253_4 Depth=1
	s_or_b32 exec_lo, exec_lo, s6
	v_dual_mul_f64 v[56:57], v[2:3], v[2:3] :: v_dual_bitop2_b32 v21, 1, v52 bitop3:0x40
	v_cmp_class_f64_e64 s6, v[4:5], 0x1f8
	v_lshlrev_b32_e32 v5, 30, v71
	s_delay_alu instid0(VALU_DEP_4) | instskip(SKIP_2) | instid1(VALU_DEP_4)
	v_mul_f64_e32 v[74:75], 0.5, v[54:55]
	v_and_b32_e32 v4, 1, v71
	v_cmp_eq_u32_e32 vcc_lo, 0, v21
	v_xor_b32_e32 v5, v5, v53
	s_delay_alu instid0(VALU_DEP_3) | instskip(SKIP_4) | instid1(VALU_DEP_1)
	v_cmp_eq_u32_e64 s7, 0, v4
	v_dual_mul_f64 v[82:83], 0.5, v[66:67] :: v_dual_lshlrev_b32 v4, 30, v52
	v_mul_f64_e32 v[60:61], 0.5, v[56:57]
	v_mul_f64_e64 v[76:77], v[2:3], -v[56:57]
	v_fmamk_f64 v[80:81], v[56:57], 0x3de5e0b2f9a43bb8, v[42:43]
	v_fmaak_f64 v[80:81], v[56:57], v[80:81], 0x3ec71de3796cde01
	s_delay_alu instid0(VALU_DEP_1) | instskip(NEXT) | instid1(VALU_DEP_1)
	v_fmaak_f64 v[80:81], v[56:57], v[80:81], 0xbf2a01a019e83e5c
	v_fmaak_f64 v[80:81], v[56:57], v[80:81], 0x3f81111111110bb3
	v_add_f64_e64 v[68:69], -v[60:61], 1.0
	s_delay_alu instid0(VALU_DEP_2) | instskip(NEXT) | instid1(VALU_DEP_2)
	v_fmac_f64_e32 v[74:75], v[76:77], v[80:81]
	v_add_f64_e64 v[78:79], -v[68:69], 1.0
	s_delay_alu instid0(VALU_DEP_2) | instskip(NEXT) | instid1(VALU_DEP_2)
	v_fma_f64 v[74:75], v[56:57], v[74:75], -v[54:55]
	v_add_f64_e64 v[60:61], v[78:79], -v[60:61]
	s_delay_alu instid0(VALU_DEP_2) | instskip(NEXT) | instid1(VALU_DEP_2)
	v_fmac_f64_e32 v[74:75], 0xbfc5555555555555, v[76:77]
	v_fma_f64 v[54:55], v[2:3], -v[54:55], v[60:61]
	s_delay_alu instid0(VALU_DEP_2) | instskip(SKIP_1) | instid1(VALU_DEP_2)
	v_add_f64_e64 v[2:3], v[2:3], -v[74:75]
	v_mul_f64_e32 v[58:59], v[64:65], v[64:65]
	v_xor_b32_e32 v3, 0x80000000, v3
	s_delay_alu instid0(VALU_DEP_2) | instskip(SKIP_2) | instid1(VALU_DEP_2)
	v_mul_f64_e64 v[84:85], v[64:65], -v[58:59]
	v_fmamk_f64 v[88:89], v[58:59], 0x3de5e0b2f9a43bb8, v[42:43]
	v_mul_f64_e32 v[80:81], v[56:57], v[56:57]
	v_fmaak_f64 v[78:79], v[58:59], v[88:89], 0x3ec71de3796cde01
	s_delay_alu instid0(VALU_DEP_1) | instskip(NEXT) | instid1(VALU_DEP_1)
	v_fmaak_f64 v[78:79], v[58:59], v[78:79], 0xbf2a01a019e83e5c
	v_fmaak_f64 v[78:79], v[58:59], v[78:79], 0x3f81111111110bb3
	s_delay_alu instid0(VALU_DEP_1) | instskip(SKIP_1) | instid1(VALU_DEP_1)
	v_fmac_f64_e32 v[82:83], v[84:85], v[78:79]
	v_fmamk_f64 v[78:79], v[56:57], 0xbda907db46cc5e42, v[28:29]
	v_fmaak_f64 v[60:61], v[56:57], v[78:79], 0xbe927e4fa17f65f6
	s_delay_alu instid0(VALU_DEP_1) | instskip(NEXT) | instid1(VALU_DEP_1)
	v_fmaak_f64 v[60:61], v[56:57], v[60:61], 0x3efa01a019f4ec90
	v_fmaak_f64 v[60:61], v[56:57], v[60:61], 0xbf56c16c16c16967
	s_delay_alu instid0(VALU_DEP_1) | instskip(NEXT) | instid1(VALU_DEP_1)
	v_fmaak_f64 v[56:57], v[56:57], v[60:61], 0x3fa5555555555555
	v_fmac_f64_e32 v[54:55], v[80:81], v[56:57]
	s_delay_alu instid0(VALU_DEP_1) | instskip(NEXT) | instid1(VALU_DEP_1)
	v_add_f64_e32 v[54:55], v[68:69], v[54:55]
	v_cndmask_b32_e32 v2, v2, v54, vcc_lo
	v_mul_f64_e32 v[62:63], 0.5, v[58:59]
	v_fmamk_f64 v[78:79], v[58:59], 0xbda907db46cc5e42, v[28:29]
	v_fma_f64 v[82:83], v[58:59], v[82:83], -v[66:67]
	s_delay_alu instid0(VALU_DEP_4) | instskip(NEXT) | instid1(VALU_DEP_3)
	v_dual_cndmask_b32 v3, v3, v55, vcc_lo :: v_dual_cndmask_b32 v54, 0, v2, s6
	v_fmaak_f64 v[60:61], v[58:59], v[78:79], 0xbe927e4fa17f65f6
	s_delay_alu instid0(VALU_DEP_2) | instskip(NEXT) | instid1(VALU_DEP_1)
	v_bitop3_b32 v3, v3, v4, 0x80000000 bitop3:0x78
	v_cndmask_b32_e64 v55, 0x7ff80000, v3, s6
	s_delay_alu instid0(VALU_DEP_3) | instskip(NEXT) | instid1(VALU_DEP_1)
	v_fmaak_f64 v[56:57], v[58:59], v[60:61], 0x3efa01a019f4ec90
	v_fmaak_f64 v[56:57], v[58:59], v[56:57], 0xbf56c16c16c16967
	s_delay_alu instid0(VALU_DEP_1) | instskip(SKIP_2) | instid1(VALU_DEP_2)
	v_fmaak_f64 v[56:57], v[58:59], v[56:57], 0x3fa5555555555555
	v_add_f64_e64 v[72:73], -v[62:63], 1.0
	v_fmac_f64_e32 v[82:83], 0xbfc5555555555555, v[84:85]
	v_add_f64_e64 v[86:87], -v[72:73], 1.0
	s_delay_alu instid0(VALU_DEP_1) | instskip(SKIP_1) | instid1(VALU_DEP_2)
	v_add_f64_e64 v[62:63], v[86:87], -v[62:63]
	v_mul_f64_e32 v[86:87], v[58:59], v[58:59]
	v_fma_f64 v[62:63], v[64:65], -v[66:67], v[62:63]
	s_delay_alu instid0(VALU_DEP_1) | instskip(SKIP_1) | instid1(VALU_DEP_2)
	v_fmac_f64_e32 v[62:63], v[86:87], v[56:57]
	v_add_f64_e64 v[56:57], v[64:65], -v[82:83]
	v_add_f64_e32 v[58:59], v[72:73], v[62:63]
	s_delay_alu instid0(VALU_DEP_1) | instskip(NEXT) | instid1(VALU_DEP_1)
	v_dual_cndmask_b32 v52, v59, v57, s7 :: v_dual_cndmask_b32 v21, v58, v56, s7
	v_bitop3_b32 v4, v52, v5, 0x80000000 bitop3:0x78
	s_delay_alu instid0(VALU_DEP_2) | instskip(NEXT) | instid1(VALU_DEP_2)
	v_cndmask_b32_e64 v52, 0, v21, s6
	v_cndmask_b32_e64 v53, 0x7ff80000, v4, s6
.LBB253_209:                            ;   in Loop: Header=BB253_4 Depth=1
	s_or_b32 exec_lo, exec_lo, s8
                                        ; implicit-def: $vgpr2_vgpr3
.LBB253_210:                            ;   in Loop: Header=BB253_4 Depth=1
	s_and_not1_saveexec_b32 s7, s40
	s_cbranch_execz .LBB253_212
; %bb.211:                              ;   in Loop: Header=BB253_4 Depth=1
	v_mul_f64_e32 v[4:5], 0xbff71547652b82fe, v[2:3]
	v_cmp_ngt_f64_e32 vcc_lo, 0xc0900000, v[2:3]
	v_cmp_nlt_f64_e64 s6, 0x4090cc00, v[2:3]
	s_delay_alu instid0(VALU_DEP_3) | instskip(NEXT) | instid1(VALU_DEP_1)
	v_rndne_f64_e32 v[4:5], v[4:5]
	v_fma_f64 v[54:55], v[4:5], s[28:29], -v[2:3]
	v_cvt_i32_f64_e32 v21, v[4:5]
	s_delay_alu instid0(VALU_DEP_2) | instskip(NEXT) | instid1(VALU_DEP_1)
	v_fmac_f64_e32 v[54:55], 0xbc7abc9e3b39803f, v[4:5]
	v_fmamk_f64 v[56:57], v[54:55], 0x3e5ade156a5dcb37, v[26:27]
	s_delay_alu instid0(VALU_DEP_1) | instskip(NEXT) | instid1(VALU_DEP_1)
	v_fmaak_f64 v[56:57], v[54:55], v[56:57], 0x3ec71dee623fde64
	v_fmaak_f64 v[56:57], v[54:55], v[56:57], 0x3efa01997c89e6b0
	s_delay_alu instid0(VALU_DEP_1) | instskip(NEXT) | instid1(VALU_DEP_1)
	v_fmaak_f64 v[56:57], v[54:55], v[56:57], 0x3f2a01a014761f6e
	v_fmaak_f64 v[56:57], v[54:55], v[56:57], 0x3f56c16c1852b7b0
	;; [unrolled: 3-line block ×4, first 2 shown]
	s_delay_alu instid0(VALU_DEP_1) | instskip(NEXT) | instid1(VALU_DEP_1)
	v_fma_f64 v[56:57], v[54:55], v[56:57], 1.0
	v_fma_f64 v[4:5], v[54:55], v[56:57], 1.0
	s_delay_alu instid0(VALU_DEP_1) | instskip(NEXT) | instid1(VALU_DEP_1)
	v_ldexp_f64 v[4:5], v[4:5], v21
	v_cndmask_b32_e32 v5, 0x7ff00000, v5, vcc_lo
	s_and_b32 vcc_lo, s6, vcc_lo
	s_delay_alu instid0(VALU_DEP_1) | instid1(SALU_CYCLE_1)
	v_dual_cndmask_b32 v54, 0, v4, vcc_lo :: v_dual_cndmask_b32 v55, 0, v5, s6
.LBB253_212:                            ;   in Loop: Header=BB253_4 Depth=1
	s_or_b32 exec_lo, exec_lo, s7
	s_delay_alu instid0(VALU_DEP_1) | instskip(NEXT) | instid1(VALU_DEP_2)
	v_add_f64_e32 v[52:53], s[14:15], v[52:53]
	v_add_f64_e32 v[54:55], s[12:13], v[54:55]
	s_mov_b32 s6, exec_lo
	s_delay_alu instid0(VALU_DEP_2) | instskip(NEXT) | instid1(VALU_DEP_2)
	v_mov_b32_e32 v58, v52
	v_cmp_gt_f64_e32 vcc_lo, 0, v[54:55]
	v_xor_b32_e32 v2, 0x80000000, v55
	v_mov_b32_e32 v56, v54
	v_xor_b32_e32 v3, 0x80000000, v53
	s_delay_alu instid0(VALU_DEP_3) | instskip(SKIP_1) | instid1(VALU_DEP_3)
	v_cndmask_b32_e32 v57, v55, v2, vcc_lo
	v_cmp_gt_f64_e32 vcc_lo, 0, v[52:53]
	v_cndmask_b32_e32 v59, v53, v3, vcc_lo
                                        ; implicit-def: $vgpr4_vgpr5
	s_delay_alu instid0(VALU_DEP_1)
	v_cmpx_ge_f64_e32 v[56:57], v[58:59]
	s_xor_b32 s7, exec_lo, s6
	s_cbranch_execz .LBB253_222
; %bb.213:                              ;   in Loop: Header=BB253_4 Depth=1
	v_cmp_neq_f64_e32 vcc_lo, 0, v[54:55]
	v_cmp_neq_f64_e64 s6, 0, v[52:53]
                                        ; implicit-def: $vgpr4_vgpr5
	s_or_b32 s6, vcc_lo, s6
	s_delay_alu instid0(SALU_CYCLE_1) | instskip(NEXT) | instid1(SALU_CYCLE_1)
	s_and_saveexec_b32 s8, s6
	s_xor_b32 s6, exec_lo, s8
	s_cbranch_execz .LBB253_215
; %bb.214:                              ;   in Loop: Header=BB253_4 Depth=1
	v_div_scale_f64 v[2:3], null, v[54:55], v[54:55], v[52:53]
	v_div_scale_f64 v[58:59], vcc_lo, v[52:53], v[54:55], v[52:53]
	s_delay_alu instid0(VALU_DEP_2) | instskip(SKIP_1) | instid1(TRANS32_DEP_1)
	v_rcp_f64_e32 v[4:5], v[2:3]
	v_nop
	v_fma_f64 v[56:57], -v[2:3], v[4:5], 1.0
	s_delay_alu instid0(VALU_DEP_1) | instskip(NEXT) | instid1(VALU_DEP_1)
	v_fmac_f64_e32 v[4:5], v[4:5], v[56:57]
	v_fma_f64 v[56:57], -v[2:3], v[4:5], 1.0
	s_delay_alu instid0(VALU_DEP_1) | instskip(NEXT) | instid1(VALU_DEP_1)
	v_fmac_f64_e32 v[4:5], v[4:5], v[56:57]
	v_mul_f64_e32 v[56:57], v[58:59], v[4:5]
	s_delay_alu instid0(VALU_DEP_1) | instskip(NEXT) | instid1(VALU_DEP_1)
	v_fma_f64 v[2:3], -v[2:3], v[56:57], v[58:59]
	v_div_fmas_f64 v[2:3], v[2:3], v[4:5], v[56:57]
	s_delay_alu instid0(VALU_DEP_1) | instskip(NEXT) | instid1(VALU_DEP_1)
	v_div_fixup_f64 v[2:3], v[2:3], v[54:55], v[52:53]
	v_fmac_f64_e32 v[54:55], v[52:53], v[2:3]
	s_delay_alu instid0(VALU_DEP_1) | instskip(SKIP_1) | instid1(VALU_DEP_2)
	v_div_scale_f64 v[4:5], null, v[54:55], v[54:55], 1.0
	v_div_scale_f64 v[58:59], vcc_lo, 1.0, v[54:55], 1.0
	v_rcp_f64_e32 v[52:53], v[4:5]
	v_nop
	s_delay_alu instid0(TRANS32_DEP_1) | instskip(NEXT) | instid1(VALU_DEP_1)
	v_fma_f64 v[56:57], -v[4:5], v[52:53], 1.0
	v_fmac_f64_e32 v[52:53], v[52:53], v[56:57]
	s_delay_alu instid0(VALU_DEP_1) | instskip(NEXT) | instid1(VALU_DEP_1)
	v_fma_f64 v[56:57], -v[4:5], v[52:53], 1.0
	v_fmac_f64_e32 v[52:53], v[52:53], v[56:57]
	s_delay_alu instid0(VALU_DEP_1) | instskip(NEXT) | instid1(VALU_DEP_1)
	v_mul_f64_e32 v[56:57], v[58:59], v[52:53]
	v_fma_f64 v[4:5], -v[4:5], v[56:57], v[58:59]
                                        ; implicit-def: $vgpr58_vgpr59
	s_delay_alu instid0(VALU_DEP_1) | instskip(SKIP_1) | instid1(VALU_DEP_2)
	v_div_fmas_f64 v[4:5], v[4:5], v[52:53], v[56:57]
	v_fma_f64 v[52:53], s[14:15], v[2:3], s[12:13]
                                        ; implicit-def: $vgpr56_vgpr57
	v_div_fixup_f64 v[4:5], v[4:5], v[54:55], 1.0
	v_fma_f64 v[54:55], -s[12:13], v[2:3], s[14:15]
	s_delay_alu instid0(VALU_DEP_2) | instskip(NEXT) | instid1(VALU_DEP_2)
	v_mul_f64_e32 v[2:3], v[52:53], v[4:5]
	v_mul_f64_e32 v[4:5], v[54:55], v[4:5]
.LBB253_215:                            ;   in Loop: Header=BB253_4 Depth=1
	s_and_not1_saveexec_b32 s8, s6
	s_cbranch_execz .LBB253_217
; %bb.216:                              ;   in Loop: Header=BB253_4 Depth=1
	v_div_scale_f64 v[2:3], null, v[56:57], v[56:57], s[12:13]
	v_div_scale_f64 v[4:5], null, v[58:59], v[58:59], s[14:15]
	v_div_scale_f64 v[64:65], vcc_lo, s[12:13], v[56:57], s[12:13]
	s_delay_alu instid0(VALU_DEP_3) | instskip(NEXT) | instid1(VALU_DEP_2)
	v_rcp_f64_e32 v[52:53], v[2:3]
	v_rcp_f64_e32 v[54:55], v[4:5]
	s_delay_alu instid0(TRANS32_DEP_2) | instskip(NEXT) | instid1(TRANS32_DEP_1)
	v_fma_f64 v[60:61], -v[2:3], v[52:53], 1.0
	v_fma_f64 v[62:63], -v[4:5], v[54:55], 1.0
	s_delay_alu instid0(VALU_DEP_2) | instskip(NEXT) | instid1(VALU_DEP_2)
	v_fmac_f64_e32 v[52:53], v[52:53], v[60:61]
	v_fmac_f64_e32 v[54:55], v[54:55], v[62:63]
	s_delay_alu instid0(VALU_DEP_2) | instskip(NEXT) | instid1(VALU_DEP_2)
	v_fma_f64 v[60:61], -v[2:3], v[52:53], 1.0
	v_fma_f64 v[62:63], -v[4:5], v[54:55], 1.0
	s_delay_alu instid0(VALU_DEP_2) | instskip(SKIP_1) | instid1(VALU_DEP_3)
	v_fmac_f64_e32 v[52:53], v[52:53], v[60:61]
	v_div_scale_f64 v[60:61], s6, s[14:15], v[58:59], s[14:15]
	v_fmac_f64_e32 v[54:55], v[54:55], v[62:63]
	s_delay_alu instid0(VALU_DEP_3) | instskip(NEXT) | instid1(VALU_DEP_2)
	v_mul_f64_e32 v[62:63], v[64:65], v[52:53]
	v_mul_f64_e32 v[66:67], v[60:61], v[54:55]
	s_delay_alu instid0(VALU_DEP_2) | instskip(NEXT) | instid1(VALU_DEP_2)
	v_fma_f64 v[2:3], -v[2:3], v[62:63], v[64:65]
	v_fma_f64 v[4:5], -v[4:5], v[66:67], v[60:61]
	s_delay_alu instid0(VALU_DEP_2) | instskip(SKIP_1) | instid1(VALU_DEP_2)
	v_div_fmas_f64 v[2:3], v[2:3], v[52:53], v[62:63]
	s_mov_b32 vcc_lo, s6
	v_div_fmas_f64 v[4:5], v[4:5], v[54:55], v[66:67]
	s_delay_alu instid0(VALU_DEP_2) | instskip(NEXT) | instid1(VALU_DEP_2)
	v_div_fixup_f64 v[2:3], v[2:3], v[56:57], s[12:13]
	v_div_fixup_f64 v[4:5], v[4:5], v[58:59], s[14:15]
.LBB253_217:                            ;   in Loop: Header=BB253_4 Depth=1
	s_or_b32 exec_lo, exec_lo, s8
                                        ; implicit-def: $vgpr52_vgpr53
                                        ; implicit-def: $vgpr54_vgpr55
	s_and_not1_saveexec_b32 s6, s7
	s_cbranch_execnz .LBB253_223
.LBB253_218:                            ;   in Loop: Header=BB253_4 Depth=1
	s_or_b32 exec_lo, exec_lo, s6
	s_and_saveexec_b32 s6, s2
	s_delay_alu instid0(SALU_CYCLE_1)
	s_xor_b32 s2, exec_lo, s6
	s_cbranch_execz .LBB253_224
.LBB253_219:                            ;   in Loop: Header=BB253_4 Depth=1
	global_store_b128 v[44:45], v[6:9], off
	s_wait_xcnt 0x0
	s_or_b32 exec_lo, exec_lo, s2
	s_and_saveexec_b32 s2, s3
	s_cbranch_execnz .LBB253_225
.LBB253_220:                            ;   in Loop: Header=BB253_4 Depth=1
	s_or_b32 exec_lo, exec_lo, s2
	s_and_saveexec_b32 s2, s4
	s_cbranch_execz .LBB253_226
.LBB253_221:                            ;   in Loop: Header=BB253_4 Depth=1
	global_store_b128 v[48:49], v[10:13], off offset:-8
	s_wait_xcnt 0x0
	s_or_b32 exec_lo, exec_lo, s2
	s_and_saveexec_b32 s2, s5
	s_cbranch_execz .LBB253_3
	s_branch .LBB253_227
.LBB253_222:                            ;   in Loop: Header=BB253_4 Depth=1
	s_and_not1_saveexec_b32 s6, s7
	s_cbranch_execz .LBB253_218
.LBB253_223:                            ;   in Loop: Header=BB253_4 Depth=1
	v_div_scale_f64 v[2:3], null, v[52:53], v[52:53], v[54:55]
	v_div_scale_f64 v[58:59], vcc_lo, v[54:55], v[52:53], v[54:55]
	s_delay_alu instid0(VALU_DEP_2) | instskip(SKIP_1) | instid1(TRANS32_DEP_1)
	v_rcp_f64_e32 v[4:5], v[2:3]
	v_nop
	v_fma_f64 v[56:57], -v[2:3], v[4:5], 1.0
	s_delay_alu instid0(VALU_DEP_1) | instskip(NEXT) | instid1(VALU_DEP_1)
	v_fmac_f64_e32 v[4:5], v[4:5], v[56:57]
	v_fma_f64 v[56:57], -v[2:3], v[4:5], 1.0
	s_delay_alu instid0(VALU_DEP_1) | instskip(NEXT) | instid1(VALU_DEP_1)
	v_fmac_f64_e32 v[4:5], v[4:5], v[56:57]
	v_mul_f64_e32 v[56:57], v[58:59], v[4:5]
	s_delay_alu instid0(VALU_DEP_1) | instskip(NEXT) | instid1(VALU_DEP_1)
	v_fma_f64 v[2:3], -v[2:3], v[56:57], v[58:59]
	v_div_fmas_f64 v[2:3], v[2:3], v[4:5], v[56:57]
	s_delay_alu instid0(VALU_DEP_1) | instskip(NEXT) | instid1(VALU_DEP_1)
	v_div_fixup_f64 v[2:3], v[2:3], v[52:53], v[54:55]
	v_fmac_f64_e32 v[52:53], v[54:55], v[2:3]
	s_delay_alu instid0(VALU_DEP_1) | instskip(SKIP_1) | instid1(VALU_DEP_2)
	v_div_scale_f64 v[4:5], null, v[52:53], v[52:53], 1.0
	v_div_scale_f64 v[58:59], vcc_lo, 1.0, v[52:53], 1.0
	v_rcp_f64_e32 v[54:55], v[4:5]
	v_nop
	s_delay_alu instid0(TRANS32_DEP_1) | instskip(NEXT) | instid1(VALU_DEP_1)
	v_fma_f64 v[56:57], -v[4:5], v[54:55], 1.0
	v_fmac_f64_e32 v[54:55], v[54:55], v[56:57]
	s_delay_alu instid0(VALU_DEP_1) | instskip(NEXT) | instid1(VALU_DEP_1)
	v_fma_f64 v[56:57], -v[4:5], v[54:55], 1.0
	v_fmac_f64_e32 v[54:55], v[54:55], v[56:57]
	s_delay_alu instid0(VALU_DEP_1) | instskip(NEXT) | instid1(VALU_DEP_1)
	v_mul_f64_e32 v[56:57], v[58:59], v[54:55]
	v_fma_f64 v[4:5], -v[4:5], v[56:57], v[58:59]
	s_delay_alu instid0(VALU_DEP_1) | instskip(SKIP_1) | instid1(VALU_DEP_2)
	v_div_fmas_f64 v[4:5], v[4:5], v[54:55], v[56:57]
	v_fma_f64 v[54:55], s[12:13], v[2:3], s[14:15]
	v_div_fixup_f64 v[4:5], v[4:5], v[52:53], 1.0
	v_fma_f64 v[52:53], s[14:15], v[2:3], -s[12:13]
	s_delay_alu instid0(VALU_DEP_2) | instskip(NEXT) | instid1(VALU_DEP_2)
	v_mul_f64_e32 v[2:3], v[54:55], v[4:5]
	v_mul_f64_e32 v[4:5], v[52:53], v[4:5]
	s_or_b32 exec_lo, exec_lo, s6
	s_and_saveexec_b32 s6, s2
	s_delay_alu instid0(SALU_CYCLE_1)
	s_xor_b32 s2, exec_lo, s6
	s_cbranch_execnz .LBB253_219
.LBB253_224:                            ;   in Loop: Header=BB253_4 Depth=1
	s_or_b32 exec_lo, exec_lo, s2
	s_and_saveexec_b32 s2, s3
	s_cbranch_execz .LBB253_220
.LBB253_225:                            ;   in Loop: Header=BB253_4 Depth=1
	global_store_b128 v[46:47], v[14:17], off
	s_wait_xcnt 0x0
	s_or_b32 exec_lo, exec_lo, s2
	s_and_saveexec_b32 s2, s4
	s_cbranch_execnz .LBB253_221
.LBB253_226:                            ;   in Loop: Header=BB253_4 Depth=1
	s_or_b32 exec_lo, exec_lo, s2
	s_and_saveexec_b32 s2, s5
	s_cbranch_execz .LBB253_3
.LBB253_227:                            ;   in Loop: Header=BB253_4 Depth=1
	global_store_b128 v[50:51], v[2:5], off offset:-8
	s_branch .LBB253_3
.LBB253_228:
	s_cbranch_execz .LBB253_230
	s_branch .LBB253_441
.LBB253_229:
.LBB253_230:
	v_min_i64 v[18:19], 0x10000, s[18:19]
	v_dual_mov_b32 v20, 0 :: v_dual_lshlrev_b32 v2, 2, v0
	s_mov_b32 s2, exec_lo
	s_delay_alu instid0(VALU_DEP_1) | instskip(NEXT) | instid1(VALU_DEP_1)
	v_mov_b32_e32 v3, v20
	v_cmpx_lt_i64_e64 v[2:3], v[18:19]
	s_cbranch_execz .LBB253_441
; %bb.231:
	s_load_b32 s2, s[0:1], 0xd4c
	v_dual_mov_b32 v1, v20 :: v_dual_lshlrev_b32 v2, 6, v0
	v_mov_b32_e32 v3, v20
	s_wait_xcnt 0x0
	s_add_nc_u64 s[0:1], s[10:11], s[16:17]
	v_mov_b64_e32 v[22:23], 0x3e928af3fca7ab0c
	v_mov_b64_e32 v[24:25], 0x3e21eeb69037ab78
	;; [unrolled: 1-line block ×3, first 2 shown]
	v_add_nc_u64_e32 v[28:29], s[0:1], v[2:3]
	s_mov_b32 s5, 0
	s_mov_b64 s[6:7], 0x3ff921fb54442d18
	s_mov_b64 s[8:9], 0x3fe45f306dc9c883
	;; [unrolled: 1-line block ×5, first 2 shown]
	s_mov_b32 s21, s5
	s_mov_b32 s22, 0xfffff
	;; [unrolled: 1-line block ×3, first 2 shown]
                                        ; implicit-def: $vgpr2_vgpr3
                                        ; implicit-def: $vgpr2_vgpr3
	;; [unrolled: 1-line block ×15, first 2 shown]
	s_wait_kmcnt 0x0
	s_and_b32 s4, s2, 0xffff
	s_delay_alu instid0(SALU_CYCLE_1)
	s_lshl_b32 s20, s4, 6
	s_branch .LBB253_233
.LBB253_232:                            ;   in Loop: Header=BB253_233 Depth=1
	s_or_b32 exec_lo, exec_lo, s0
	v_add_nc_u64_e32 v[0:1], s[4:5], v[0:1]
	s_clause 0x3
	global_store_b128 v[28:29], v[6:9], off
	global_store_b128 v[28:29], v[14:17], off offset:16
	global_store_b128 v[28:29], v[10:13], off offset:32
	;; [unrolled: 1-line block ×3, first 2 shown]
	s_wait_xcnt 0x0
	v_add_nc_u64_e32 v[28:29], s[20:21], v[28:29]
	v_lshlrev_b64_e32 v[30:31], 2, v[0:1]
	s_delay_alu instid0(VALU_DEP_1) | instskip(SKIP_1) | instid1(SALU_CYCLE_1)
	v_cmp_ge_i64_e32 vcc_lo, v[30:31], v[18:19]
	s_or_b32 s23, vcc_lo, s23
	s_and_not1_b32 exec_lo, exec_lo, s23
	s_cbranch_execz .LBB253_441
.LBB253_233:                            ; =>This Inner Loop Header: Depth=1
	s_clause 0x3
	global_load_b128 v[6:9], v[28:29], off
	global_load_b128 v[14:17], v[28:29], off offset:16
	global_load_b128 v[2:5], v[28:29], off offset:48
	;; [unrolled: 1-line block ×3, first 2 shown]
                                        ; implicit-def: $vgpr32_vgpr33
	s_mov_b32 s0, exec_lo
	s_wait_loadcnt 0x3
	v_xor_b32_e32 v31, 0x80000000, v9
	v_mov_b32_e32 v30, v8
	s_delay_alu instid0(VALU_DEP_2) | instskip(NEXT) | instid1(VALU_DEP_1)
	v_and_b32_e32 v36, 0x7fffffff, v31
	v_or_b32_e32 v21, v36, v8
	s_wait_xcnt 0x0
	s_delay_alu instid0(VALU_DEP_1)
	v_cmpx_ne_u32_e32 0, v21
	s_xor_b32 s24, exec_lo, s0
	s_cbranch_execz .LBB253_275
; %bb.234:                              ;   in Loop: Header=BB253_233 Depth=1
	v_xor_b32_e32 v35, 0x80000000, v7
                                        ; implicit-def: $vgpr32_vgpr33
	s_mov_b32 s0, exec_lo
	v_mov_b32_e32 v34, v6
	s_delay_alu instid0(VALU_DEP_2) | instskip(NEXT) | instid1(VALU_DEP_1)
	v_and_b32_e32 v21, 0x7fffffff, v35
	v_or_b32_e32 v30, v21, v6
	s_delay_alu instid0(VALU_DEP_1)
	v_cmpx_ne_u32_e32 0, v30
	s_xor_b32 s25, exec_lo, s0
	s_cbranch_execz .LBB253_264
; %bb.235:                              ;   in Loop: Header=BB253_233 Depth=1
                                        ; implicit-def: $vgpr32_vgpr33
	s_mov_b32 s0, exec_lo
	v_cmpx_gt_u32_e32 0x7ff00000, v36
	s_xor_b32 s26, exec_lo, s0
	s_cbranch_execz .LBB253_257
; %bb.236:                              ;   in Loop: Header=BB253_233 Depth=1
	v_add_nc_u32_e32 v21, 0xbf79d1be, v35
                                        ; implicit-def: $vgpr32_vgpr33
	s_mov_b32 s0, exec_lo
	s_delay_alu instid0(VALU_DEP_1)
	v_cmpx_lt_u32_e32 0x108aa2, v21
	s_xor_b32 s27, exec_lo, s0
	s_cbranch_execz .LBB253_246
; %bb.237:                              ;   in Loop: Header=BB253_233 Depth=1
	v_cmp_ngt_f64_e64 s0, 0x41d00000, |v[8:9]|
                                        ; implicit-def: $vgpr30
                                        ; implicit-def: $vgpr32_vgpr33
                                        ; implicit-def: $vgpr34_vgpr35
	s_and_saveexec_b32 s1, s0
	s_delay_alu instid0(SALU_CYCLE_1)
	s_xor_b32 s1, exec_lo, s1
	s_cbranch_execz .LBB253_239
; %bb.238:                              ;   in Loop: Header=BB253_233 Depth=1
	v_ldexp_f64 v[32:33], |v[8:9]|, 0xffffff80
	v_cmp_le_f64_e64 vcc_lo, 0x7b000000, |v[8:9]|
	v_trig_preop_f64 v[34:35], |v[8:9]|, 0
	v_and_b32_e32 v21, 0x7fffffff, v9
	v_trig_preop_f64 v[36:37], |v[8:9]|, 1
	v_trig_preop_f64 v[46:47], |v[8:9]|, 2
	s_delay_alu instid0(VALU_DEP_3) | instskip(NEXT) | instid1(VALU_DEP_1)
	v_dual_cndmask_b32 v33, v21, v33 :: v_dual_cndmask_b32 v32, v8, v32
	v_mul_f64_e32 v[38:39], v[34:35], v[32:33]
	s_delay_alu instid0(VALU_DEP_4) | instskip(NEXT) | instid1(VALU_DEP_4)
	v_mul_f64_e32 v[40:41], v[36:37], v[32:33]
	v_mul_f64_e32 v[52:53], v[46:47], v[32:33]
	s_delay_alu instid0(VALU_DEP_3) | instskip(NEXT) | instid1(VALU_DEP_3)
	v_fma_f64 v[34:35], v[34:35], v[32:33], -v[38:39]
	v_fma_f64 v[36:37], v[36:37], v[32:33], -v[40:41]
	s_delay_alu instid0(VALU_DEP_3) | instskip(NEXT) | instid1(VALU_DEP_3)
	v_fma_f64 v[32:33], v[46:47], v[32:33], -v[52:53]
	v_add_f64_e32 v[42:43], v[40:41], v[34:35]
	s_delay_alu instid0(VALU_DEP_1) | instskip(SKIP_1) | instid1(VALU_DEP_2)
	v_add_f64_e64 v[44:45], v[42:43], -v[40:41]
	v_add_f64_e32 v[50:51], v[38:39], v[42:43]
	v_add_f64_e64 v[48:49], v[42:43], -v[44:45]
	v_add_f64_e64 v[34:35], v[34:35], -v[44:45]
	s_delay_alu instid0(VALU_DEP_3) | instskip(NEXT) | instid1(VALU_DEP_3)
	v_ldexp_f64 v[44:45], v[50:51], -2
	v_add_f64_e64 v[40:41], v[40:41], -v[48:49]
	v_add_f64_e32 v[48:49], v[52:53], v[36:37]
	s_delay_alu instid0(VALU_DEP_3) | instskip(NEXT) | instid1(VALU_DEP_3)
	v_cmp_neq_f64_e64 vcc_lo, 0x7ff00000, |v[44:45]|
	v_add_f64_e32 v[34:35], v[34:35], v[40:41]
	v_fract_f64_e32 v[40:41], v[44:45]
	s_delay_alu instid0(VALU_DEP_1) | instskip(NEXT) | instid1(VALU_DEP_1)
	v_ldexp_f64 v[40:41], v[40:41], 2
	v_dual_add_f64 v[38:39], v[50:51], -v[38:39] :: v_dual_cndmask_b32 v40, 0, v40, vcc_lo
	s_delay_alu instid0(VALU_DEP_1) | instskip(SKIP_1) | instid1(VALU_DEP_1)
	v_dual_add_f64 v[38:39], v[42:43], -v[38:39] :: v_dual_cndmask_b32 v41, 0, v41, vcc_lo
	v_add_f64_e32 v[42:43], v[48:49], v[34:35]
	v_add_f64_e32 v[44:45], v[38:39], v[42:43]
	v_add_f64_e64 v[54:55], v[42:43], -v[48:49]
	s_delay_alu instid0(VALU_DEP_2) | instskip(NEXT) | instid1(VALU_DEP_2)
	v_add_f64_e32 v[50:51], v[44:45], v[40:41]
	v_add_f64_e64 v[60:61], v[42:43], -v[54:55]
	v_add_f64_e64 v[34:35], v[34:35], -v[54:55]
	;; [unrolled: 1-line block ×3, first 2 shown]
	s_delay_alu instid0(VALU_DEP_4) | instskip(SKIP_1) | instid1(VALU_DEP_3)
	v_cmp_gt_f64_e32 vcc_lo, 0, v[50:51]
	v_add_f64_e64 v[50:51], v[48:49], -v[52:53]
	v_add_f64_e64 v[38:39], v[42:43], -v[38:39]
	v_cndmask_b32_e64 v21, 0, 0x40100000, vcc_lo
	s_delay_alu instid0(VALU_DEP_3) | instskip(SKIP_2) | instid1(VALU_DEP_4)
	v_add_f64_e64 v[58:59], v[48:49], -v[50:51]
	v_add_f64_e64 v[36:37], v[36:37], -v[50:51]
	;; [unrolled: 1-line block ×3, first 2 shown]
	v_add_f64_e32 v[40:41], v[40:41], v[20:21]
	s_delay_alu instid0(VALU_DEP_4) | instskip(NEXT) | instid1(VALU_DEP_3)
	v_add_f64_e64 v[50:51], v[52:53], -v[58:59]
	v_add_f64_e32 v[34:35], v[34:35], v[48:49]
	s_delay_alu instid0(VALU_DEP_3) | instskip(NEXT) | instid1(VALU_DEP_3)
	v_add_f64_e32 v[56:57], v[44:45], v[40:41]
	v_add_f64_e32 v[36:37], v[36:37], v[50:51]
	s_delay_alu instid0(VALU_DEP_2) | instskip(NEXT) | instid1(VALU_DEP_2)
	v_cvt_i32_f64_e32 v21, v[56:57]
	v_add_f64_e32 v[34:35], v[36:37], v[34:35]
	s_delay_alu instid0(VALU_DEP_2) | instskip(NEXT) | instid1(VALU_DEP_2)
	v_cvt_f64_i32_e32 v[54:55], v21
	v_add_f64_e32 v[32:33], v[32:33], v[34:35]
	s_delay_alu instid0(VALU_DEP_2) | instskip(NEXT) | instid1(VALU_DEP_2)
	v_add_f64_e64 v[40:41], v[40:41], -v[54:55]
	v_add_f64_e32 v[32:33], v[38:39], v[32:33]
	s_delay_alu instid0(VALU_DEP_2) | instskip(NEXT) | instid1(VALU_DEP_1)
	v_add_f64_e32 v[36:37], v[44:45], v[40:41]
	v_add_f64_e64 v[34:35], v[36:37], -v[40:41]
	v_cmp_le_f64_e32 vcc_lo, 0.5, v[36:37]
	s_delay_alu instid0(VALU_DEP_2) | instskip(SKIP_2) | instid1(VALU_DEP_3)
	v_add_f64_e64 v[34:35], v[44:45], -v[34:35]
	v_add_co_ci_u32_e64 v30, null, 0, v21, vcc_lo
	v_cndmask_b32_e64 v21, 0, 0x3ff00000, vcc_lo
	v_add_f64_e32 v[32:33], v[32:33], v[34:35]
	s_delay_alu instid0(VALU_DEP_2) | instskip(NEXT) | instid1(VALU_DEP_1)
	v_add_f64_e64 v[34:35], v[36:37], -v[20:21]
	v_add_f64_e32 v[36:37], v[34:35], v[32:33]
	s_delay_alu instid0(VALU_DEP_1) | instskip(SKIP_1) | instid1(VALU_DEP_2)
	v_mul_f64_e32 v[38:39], 0x3ff921fb54442d18, v[36:37]
	v_add_f64_e64 v[34:35], v[36:37], -v[34:35]
	v_fma_f64 v[40:41], v[36:37], s[6:7], -v[38:39]
	s_delay_alu instid0(VALU_DEP_2) | instskip(NEXT) | instid1(VALU_DEP_2)
	v_add_f64_e64 v[32:33], v[32:33], -v[34:35]
	v_fmac_f64_e32 v[40:41], 0x3c91a62633145c07, v[36:37]
	s_delay_alu instid0(VALU_DEP_1) | instskip(NEXT) | instid1(VALU_DEP_1)
	v_fmac_f64_e32 v[40:41], 0x3ff921fb54442d18, v[32:33]
	v_add_f64_e32 v[32:33], v[38:39], v[40:41]
	s_delay_alu instid0(VALU_DEP_1) | instskip(NEXT) | instid1(VALU_DEP_1)
	v_add_f64_e64 v[34:35], v[32:33], -v[38:39]
	v_add_f64_e64 v[34:35], v[40:41], -v[34:35]
	s_and_not1_saveexec_b32 s1, s1
	s_cbranch_execz .LBB253_241
	s_branch .LBB253_240
.LBB253_239:                            ;   in Loop: Header=BB253_233 Depth=1
	s_and_not1_saveexec_b32 s1, s1
	s_cbranch_execz .LBB253_241
.LBB253_240:                            ;   in Loop: Header=BB253_233 Depth=1
	v_mul_f64_e64 v[32:33], |v[8:9]|, s[8:9]
	s_delay_alu instid0(VALU_DEP_1) | instskip(NEXT) | instid1(VALU_DEP_1)
	v_rndne_f64_e32 v[36:37], v[32:33]
	v_fma_f64 v[32:33], v[36:37], s[10:11], |v[8:9]|
	v_mul_f64_e32 v[34:35], 0xbc91a62633145c00, v[36:37]
	v_cvt_i32_f64_e32 v30, v[36:37]
	s_delay_alu instid0(VALU_DEP_3) | instskip(NEXT) | instid1(VALU_DEP_3)
	v_fmamk_f64 v[42:43], v[36:37], 0xbc91a62633145c00, v[32:33]
	v_add_f64_e32 v[38:39], v[32:33], v[34:35]
	s_delay_alu instid0(VALU_DEP_1) | instskip(NEXT) | instid1(VALU_DEP_3)
	v_add_f64_e64 v[40:41], v[32:33], -v[38:39]
	v_add_f64_e64 v[32:33], v[38:39], -v[42:43]
	s_delay_alu instid0(VALU_DEP_2) | instskip(SKIP_1) | instid1(VALU_DEP_2)
	v_add_f64_e32 v[38:39], v[40:41], v[34:35]
	v_fmamk_f64 v[34:35], v[36:37], 0x3c91a62633145c00, v[34:35]
	v_add_f64_e32 v[32:33], v[32:33], v[38:39]
	s_delay_alu instid0(VALU_DEP_1) | instskip(NEXT) | instid1(VALU_DEP_1)
	v_add_f64_e64 v[34:35], v[32:33], -v[34:35]
	v_fmac_f64_e32 v[34:35], 0xb97b839a252049c0, v[36:37]
	s_delay_alu instid0(VALU_DEP_1) | instskip(NEXT) | instid1(VALU_DEP_1)
	v_add_f64_e32 v[32:33], v[42:43], v[34:35]
	v_add_f64_e64 v[38:39], v[32:33], -v[42:43]
	s_delay_alu instid0(VALU_DEP_1)
	v_add_f64_e64 v[34:35], v[34:35], -v[38:39]
.LBB253_241:                            ;   in Loop: Header=BB253_233 Depth=1
	s_or_b32 exec_lo, exec_lo, s1
                                        ; implicit-def: $vgpr40
                                        ; implicit-def: $vgpr36_vgpr37
                                        ; implicit-def: $vgpr38_vgpr39
	s_and_saveexec_b32 s1, s0
	s_delay_alu instid0(SALU_CYCLE_1)
	s_xor_b32 s0, exec_lo, s1
	s_cbranch_execz .LBB253_243
; %bb.242:                              ;   in Loop: Header=BB253_233 Depth=1
	v_ldexp_f64 v[36:37], |v[8:9]|, 0xffffff80
	v_cmp_le_f64_e64 vcc_lo, 0x7b000000, |v[8:9]|
	v_trig_preop_f64 v[38:39], |v[8:9]|, 0
	v_and_b32_e32 v21, 0x7fffffff, v9
	v_trig_preop_f64 v[40:41], |v[8:9]|, 1
	v_trig_preop_f64 v[50:51], |v[8:9]|, 2
	s_delay_alu instid0(VALU_DEP_3) | instskip(NEXT) | instid1(VALU_DEP_1)
	v_dual_cndmask_b32 v37, v21, v37 :: v_dual_cndmask_b32 v36, v8, v36
	v_mul_f64_e32 v[42:43], v[38:39], v[36:37]
	s_delay_alu instid0(VALU_DEP_4) | instskip(NEXT) | instid1(VALU_DEP_4)
	v_mul_f64_e32 v[44:45], v[40:41], v[36:37]
	v_mul_f64_e32 v[56:57], v[50:51], v[36:37]
	s_delay_alu instid0(VALU_DEP_3) | instskip(NEXT) | instid1(VALU_DEP_3)
	v_fma_f64 v[38:39], v[38:39], v[36:37], -v[42:43]
	v_fma_f64 v[40:41], v[40:41], v[36:37], -v[44:45]
	s_delay_alu instid0(VALU_DEP_3) | instskip(NEXT) | instid1(VALU_DEP_3)
	v_fma_f64 v[36:37], v[50:51], v[36:37], -v[56:57]
	v_add_f64_e32 v[46:47], v[44:45], v[38:39]
	s_delay_alu instid0(VALU_DEP_1) | instskip(SKIP_1) | instid1(VALU_DEP_2)
	v_add_f64_e64 v[48:49], v[46:47], -v[44:45]
	v_add_f64_e32 v[54:55], v[42:43], v[46:47]
	v_add_f64_e64 v[52:53], v[46:47], -v[48:49]
	v_add_f64_e64 v[38:39], v[38:39], -v[48:49]
	s_delay_alu instid0(VALU_DEP_3) | instskip(NEXT) | instid1(VALU_DEP_3)
	v_ldexp_f64 v[48:49], v[54:55], -2
	v_add_f64_e64 v[44:45], v[44:45], -v[52:53]
	v_add_f64_e32 v[52:53], v[56:57], v[40:41]
	s_delay_alu instid0(VALU_DEP_3) | instskip(NEXT) | instid1(VALU_DEP_3)
	v_cmp_neq_f64_e64 vcc_lo, 0x7ff00000, |v[48:49]|
	v_add_f64_e32 v[38:39], v[38:39], v[44:45]
	v_fract_f64_e32 v[44:45], v[48:49]
	s_delay_alu instid0(VALU_DEP_1) | instskip(NEXT) | instid1(VALU_DEP_1)
	v_ldexp_f64 v[44:45], v[44:45], 2
	v_dual_add_f64 v[42:43], v[54:55], -v[42:43] :: v_dual_cndmask_b32 v44, 0, v44, vcc_lo
	s_delay_alu instid0(VALU_DEP_1) | instskip(SKIP_1) | instid1(VALU_DEP_1)
	v_dual_add_f64 v[42:43], v[46:47], -v[42:43] :: v_dual_cndmask_b32 v45, 0, v45, vcc_lo
	v_add_f64_e32 v[46:47], v[52:53], v[38:39]
	v_add_f64_e32 v[48:49], v[42:43], v[46:47]
	v_add_f64_e64 v[58:59], v[46:47], -v[52:53]
	s_delay_alu instid0(VALU_DEP_2) | instskip(NEXT) | instid1(VALU_DEP_2)
	v_add_f64_e32 v[54:55], v[48:49], v[44:45]
	v_add_f64_e64 v[64:65], v[46:47], -v[58:59]
	v_add_f64_e64 v[38:39], v[38:39], -v[58:59]
	;; [unrolled: 1-line block ×3, first 2 shown]
	s_delay_alu instid0(VALU_DEP_4) | instskip(SKIP_2) | instid1(VALU_DEP_2)
	v_cmp_gt_f64_e32 vcc_lo, 0, v[54:55]
	v_add_f64_e64 v[54:55], v[52:53], -v[56:57]
	v_cndmask_b32_e64 v21, 0, 0x40100000, vcc_lo
	v_add_f64_e64 v[62:63], v[52:53], -v[54:55]
	v_add_f64_e64 v[40:41], v[40:41], -v[54:55]
	;; [unrolled: 1-line block ×3, first 2 shown]
	s_delay_alu instid0(VALU_DEP_4) | instskip(NEXT) | instid1(VALU_DEP_4)
	v_add_f64_e32 v[44:45], v[44:45], v[20:21]
	v_add_f64_e64 v[54:55], v[56:57], -v[62:63]
	s_delay_alu instid0(VALU_DEP_3) | instskip(NEXT) | instid1(VALU_DEP_3)
	v_add_f64_e32 v[38:39], v[38:39], v[52:53]
	v_add_f64_e32 v[60:61], v[48:49], v[44:45]
	s_delay_alu instid0(VALU_DEP_3) | instskip(NEXT) | instid1(VALU_DEP_2)
	v_add_f64_e32 v[40:41], v[40:41], v[54:55]
	v_cvt_i32_f64_e32 v21, v[60:61]
	s_delay_alu instid0(VALU_DEP_2) | instskip(SKIP_1) | instid1(VALU_DEP_3)
	v_add_f64_e32 v[38:39], v[40:41], v[38:39]
	v_add_f64_e64 v[40:41], v[46:47], -v[42:43]
	v_cvt_f64_i32_e32 v[58:59], v21
	s_delay_alu instid0(VALU_DEP_3) | instskip(NEXT) | instid1(VALU_DEP_2)
	v_add_f64_e32 v[36:37], v[36:37], v[38:39]
	v_add_f64_e64 v[44:45], v[44:45], -v[58:59]
	s_delay_alu instid0(VALU_DEP_2) | instskip(NEXT) | instid1(VALU_DEP_2)
	v_add_f64_e32 v[36:37], v[40:41], v[36:37]
	v_add_f64_e32 v[50:51], v[48:49], v[44:45]
	s_delay_alu instid0(VALU_DEP_1) | instskip(SKIP_1) | instid1(VALU_DEP_2)
	v_add_f64_e64 v[38:39], v[50:51], -v[44:45]
	v_cmp_le_f64_e32 vcc_lo, 0.5, v[50:51]
	v_add_f64_e64 v[38:39], v[48:49], -v[38:39]
	v_add_co_ci_u32_e64 v40, null, 0, v21, vcc_lo
	v_cndmask_b32_e64 v21, 0, 0x3ff00000, vcc_lo
	s_delay_alu instid0(VALU_DEP_3) | instskip(NEXT) | instid1(VALU_DEP_2)
	v_add_f64_e32 v[36:37], v[36:37], v[38:39]
	v_add_f64_e64 v[38:39], v[50:51], -v[20:21]
	s_delay_alu instid0(VALU_DEP_1) | instskip(NEXT) | instid1(VALU_DEP_1)
	v_add_f64_e32 v[42:43], v[38:39], v[36:37]
	v_mul_f64_e32 v[44:45], 0x3ff921fb54442d18, v[42:43]
	v_add_f64_e64 v[38:39], v[42:43], -v[38:39]
	s_delay_alu instid0(VALU_DEP_2) | instskip(NEXT) | instid1(VALU_DEP_2)
	v_fma_f64 v[46:47], v[42:43], s[6:7], -v[44:45]
	v_add_f64_e64 v[36:37], v[36:37], -v[38:39]
	s_delay_alu instid0(VALU_DEP_2) | instskip(NEXT) | instid1(VALU_DEP_1)
	v_fmac_f64_e32 v[46:47], 0x3c91a62633145c07, v[42:43]
	v_fmac_f64_e32 v[46:47], 0x3ff921fb54442d18, v[36:37]
	s_delay_alu instid0(VALU_DEP_1) | instskip(NEXT) | instid1(VALU_DEP_1)
	v_add_f64_e32 v[36:37], v[44:45], v[46:47]
	v_add_f64_e64 v[38:39], v[36:37], -v[44:45]
	s_delay_alu instid0(VALU_DEP_1)
	v_add_f64_e64 v[38:39], v[46:47], -v[38:39]
	s_and_not1_saveexec_b32 s0, s0
	s_cbranch_execnz .LBB253_244
	s_branch .LBB253_245
.LBB253_243:                            ;   in Loop: Header=BB253_233 Depth=1
	s_and_not1_saveexec_b32 s0, s0
	s_cbranch_execz .LBB253_245
.LBB253_244:                            ;   in Loop: Header=BB253_233 Depth=1
	v_mul_f64_e64 v[36:37], |v[8:9]|, s[8:9]
	s_delay_alu instid0(VALU_DEP_1) | instskip(NEXT) | instid1(VALU_DEP_1)
	v_rndne_f64_e32 v[40:41], v[36:37]
	v_fma_f64 v[36:37], v[40:41], s[10:11], |v[8:9]|
	v_mul_f64_e32 v[38:39], 0xbc91a62633145c00, v[40:41]
	s_delay_alu instid0(VALU_DEP_2) | instskip(NEXT) | instid1(VALU_DEP_2)
	v_fmamk_f64 v[46:47], v[40:41], 0xbc91a62633145c00, v[36:37]
	v_add_f64_e32 v[42:43], v[36:37], v[38:39]
	s_delay_alu instid0(VALU_DEP_1) | instskip(NEXT) | instid1(VALU_DEP_3)
	v_add_f64_e64 v[44:45], v[36:37], -v[42:43]
	v_add_f64_e64 v[36:37], v[42:43], -v[46:47]
	s_delay_alu instid0(VALU_DEP_2) | instskip(SKIP_1) | instid1(VALU_DEP_2)
	v_add_f64_e32 v[42:43], v[44:45], v[38:39]
	v_fmamk_f64 v[38:39], v[40:41], 0x3c91a62633145c00, v[38:39]
	v_add_f64_e32 v[36:37], v[36:37], v[42:43]
	s_delay_alu instid0(VALU_DEP_1) | instskip(NEXT) | instid1(VALU_DEP_1)
	v_add_f64_e64 v[38:39], v[36:37], -v[38:39]
	v_fmac_f64_e32 v[38:39], 0xb97b839a252049c0, v[40:41]
	v_cvt_i32_f64_e32 v40, v[40:41]
	s_delay_alu instid0(VALU_DEP_2) | instskip(NEXT) | instid1(VALU_DEP_1)
	v_add_f64_e32 v[36:37], v[46:47], v[38:39]
	v_add_f64_e64 v[42:43], v[36:37], -v[46:47]
	s_delay_alu instid0(VALU_DEP_1)
	v_add_f64_e64 v[38:39], v[38:39], -v[42:43]
.LBB253_245:                            ;   in Loop: Header=BB253_233 Depth=1
	s_or_b32 exec_lo, exec_lo, s0
	v_mul_f64_e32 v[42:43], 0xbff71547652b82fe, v[6:7]
	v_mul_f64_e32 v[44:45], v[32:33], v[32:33]
	s_delay_alu instid0(VALU_DEP_3)
	v_mul_f64_e32 v[58:59], 0.5, v[34:35]
	v_cmp_class_f64_e64 s0, v[8:9], 0x1f8
	v_lshlrev_b32_e32 v8, 30, v40
	v_mul_f64_e32 v[46:47], v[36:37], v[36:37]
	v_cmp_ngt_f64_e64 s1, 0xc0900000, v[6:7]
	v_cmp_nlt_f64_e64 s2, 0x4090cc00, v[6:7]
	v_rndne_f64_e32 v[42:43], v[42:43]
	v_mul_f64_e32 v[48:49], 0.5, v[44:45]
	s_delay_alu instid0(VALU_DEP_2) | instskip(NEXT) | instid1(VALU_DEP_2)
	v_fma_f64 v[50:51], v[42:43], s[16:17], -v[6:7]
	v_add_f64_e64 v[54:55], -v[48:49], 1.0
	v_cvt_i32_f64_e32 v21, v[42:43]
	v_and_b32_e32 v6, 1, v40
	s_delay_alu instid0(VALU_DEP_1) | instskip(SKIP_3) | instid1(VALU_DEP_2)
	v_cmp_eq_u32_e64 s3, 0, v6
	v_mul_f64_e32 v[68:69], 0.5, v[38:39]
	v_fmac_f64_e32 v[50:51], 0xbc7abc9e3b39803f, v[42:43]
	v_add_f64_e64 v[62:63], -v[54:55], 1.0
	v_fmamk_f64 v[66:67], v[50:51], 0x3e5ade156a5dcb37, v[22:23]
	s_delay_alu instid0(VALU_DEP_2) | instskip(NEXT) | instid1(VALU_DEP_2)
	v_add_f64_e64 v[48:49], v[62:63], -v[48:49]
	v_fmaak_f64 v[66:67], v[50:51], v[66:67], 0x3ec71dee623fde64
	s_delay_alu instid0(VALU_DEP_1) | instskip(NEXT) | instid1(VALU_DEP_1)
	v_fmaak_f64 v[66:67], v[50:51], v[66:67], 0x3efa01997c89e6b0
	v_fmaak_f64 v[66:67], v[50:51], v[66:67], 0x3f2a01a014761f6e
	s_delay_alu instid0(VALU_DEP_1) | instskip(NEXT) | instid1(VALU_DEP_1)
	v_fmaak_f64 v[62:63], v[50:51], v[66:67], 0x3f56c16c1852b7b0
	;; [unrolled: 3-line block ×4, first 2 shown]
	v_fma_f64 v[62:63], v[50:51], v[62:63], 1.0
	s_delay_alu instid0(VALU_DEP_1) | instskip(NEXT) | instid1(VALU_DEP_1)
	v_fma_f64 v[42:43], v[50:51], v[62:63], 1.0
	v_ldexp_f64 v[42:43], v[42:43], v21
	v_and_b32_e32 v21, 1, v30
	v_fmamk_f64 v[64:65], v[44:45], 0x3de5e0b2f9a43bb8, v[26:27]
	v_lshlrev_b32_e32 v30, 30, v30
	v_mul_f64_e32 v[52:53], 0.5, v[46:47]
	v_mul_f64_e64 v[70:71], v[36:37], -v[46:47]
	v_cmp_eq_u32_e32 vcc_lo, 0, v21
	v_mul_f64_e64 v[60:61], v[32:33], -v[44:45]
	v_fmamk_f64 v[74:75], v[46:47], 0x3de5e0b2f9a43bb8, v[26:27]
	v_fmaak_f64 v[64:65], v[44:45], v[64:65], 0x3ec71de3796cde01
	v_mul_f64_e32 v[66:67], v[44:45], v[44:45]
	s_delay_alu instid0(VALU_DEP_2) | instskip(NEXT) | instid1(VALU_DEP_1)
	v_fmaak_f64 v[64:65], v[44:45], v[64:65], 0xbf2a01a019e83e5c
	v_fmaak_f64 v[64:65], v[44:45], v[64:65], 0x3f81111111110bb3
	v_cndmask_b32_e64 v9, 0x7ff00000, v43, s1
	v_add_f64_e64 v[56:57], -v[52:53], 1.0
	s_delay_alu instid0(VALU_DEP_3) | instskip(SKIP_1) | instid1(VALU_DEP_1)
	v_fmac_f64_e32 v[58:59], v[60:61], v[64:65]
	v_fmaak_f64 v[64:65], v[46:47], v[74:75], 0x3ec71de3796cde01
	v_fmaak_f64 v[64:65], v[46:47], v[64:65], 0xbf2a01a019e83e5c
	s_delay_alu instid0(VALU_DEP_1) | instskip(NEXT) | instid1(VALU_DEP_1)
	v_fmaak_f64 v[64:65], v[46:47], v[64:65], 0x3f81111111110bb3
	v_fmac_f64_e32 v[68:69], v[70:71], v[64:65]
	v_fmamk_f64 v[64:65], v[44:45], 0xbda907db46cc5e42, v[24:25]
	v_add_f64_e64 v[72:73], -v[56:57], 1.0
	v_fma_f64 v[58:59], v[44:45], v[58:59], -v[34:35]
	v_fma_f64 v[34:35], v[32:33], -v[34:35], v[48:49]
	s_delay_alu instid0(VALU_DEP_4) | instskip(SKIP_1) | instid1(VALU_DEP_2)
	v_fmaak_f64 v[48:49], v[44:45], v[64:65], 0xbe927e4fa17f65f6
	v_mul_f64_e32 v[64:65], v[46:47], v[46:47]
	v_fmaak_f64 v[48:49], v[44:45], v[48:49], 0x3efa01a019f4ec90
	s_delay_alu instid0(VALU_DEP_1) | instskip(NEXT) | instid1(VALU_DEP_1)
	v_fmaak_f64 v[48:49], v[44:45], v[48:49], 0xbf56c16c16c16967
	v_fmaak_f64 v[44:45], v[44:45], v[48:49], 0x3fa5555555555555
	v_fma_f64 v[48:49], v[46:47], v[68:69], -v[38:39]
	v_fmac_f64_e32 v[58:59], 0xbfc5555555555555, v[60:61]
	s_delay_alu instid0(VALU_DEP_3) | instskip(NEXT) | instid1(VALU_DEP_3)
	v_fmac_f64_e32 v[34:35], v[66:67], v[44:45]
	v_fmac_f64_e32 v[48:49], 0xbfc5555555555555, v[70:71]
	s_delay_alu instid0(VALU_DEP_3) | instskip(NEXT) | instid1(VALU_DEP_3)
	v_add_f64_e64 v[32:33], v[32:33], -v[58:59]
	v_add_f64_e32 v[34:35], v[54:55], v[34:35]
	s_delay_alu instid0(VALU_DEP_2) | instskip(NEXT) | instid1(VALU_DEP_1)
	v_xor_b32_e32 v7, 0x80000000, v33
	v_dual_cndmask_b32 v21, v32, v34 :: v_dual_cndmask_b32 v6, v7, v35
	s_and_b32 vcc_lo, s2, s1
	v_add_f64_e64 v[52:53], v[72:73], -v[52:53]
	v_fmamk_f64 v[72:73], v[46:47], 0xbda907db46cc5e42, v[24:25]
	v_xor_b32_e32 v7, v8, v31
	v_bitop3_b32 v30, v6, v30, 0x80000000 bitop3:0x78
	s_delay_alu instid0(VALU_DEP_4) | instskip(NEXT) | instid1(VALU_DEP_4)
	v_dual_fma_f64 v[38:39], v[36:37], -v[38:39], v[52:53] :: v_dual_cndmask_b32 v6, 0, v21, s0
	v_fmaak_f64 v[52:53], v[46:47], v[72:73], 0xbe927e4fa17f65f6
	v_add_f64_e64 v[36:37], v[36:37], -v[48:49]
	s_delay_alu instid0(VALU_DEP_2) | instskip(NEXT) | instid1(VALU_DEP_1)
	v_fmaak_f64 v[44:45], v[46:47], v[52:53], 0x3efa01a019f4ec90
	v_fmaak_f64 v[44:45], v[46:47], v[44:45], 0xbf56c16c16c16967
	s_delay_alu instid0(VALU_DEP_1) | instskip(NEXT) | instid1(VALU_DEP_1)
	v_fmaak_f64 v[44:45], v[46:47], v[44:45], 0x3fa5555555555555
	v_fmac_f64_e32 v[38:39], v[64:65], v[44:45]
	s_delay_alu instid0(VALU_DEP_1) | instskip(NEXT) | instid1(VALU_DEP_1)
	v_add_f64_e32 v[38:39], v[56:57], v[38:39]
	v_dual_cndmask_b32 v31, v39, v37, s3 :: v_dual_cndmask_b32 v8, v38, v36, s3
	s_delay_alu instid0(VALU_DEP_1) | instskip(SKIP_1) | instid1(VALU_DEP_3)
	v_bitop3_b32 v21, v31, v7, 0x80000000 bitop3:0x78
	v_cndmask_b32_e64 v7, 0x7ff80000, v30, s0
	v_dual_cndmask_b32 v8, 0, v8, s0 :: v_dual_cndmask_b32 v31, 0, v9, s2
	v_cndmask_b32_e32 v30, 0, v42, vcc_lo
	s_delay_alu instid0(VALU_DEP_4) | instskip(NEXT) | instid1(VALU_DEP_2)
	v_cndmask_b32_e64 v9, 0x7ff80000, v21, s0
	v_mul_f64_e32 v[32:33], v[30:31], v[6:7]
	s_delay_alu instid0(VALU_DEP_2)
	v_mul_f64_e32 v[30:31], v[30:31], v[8:9]
                                        ; implicit-def: $vgpr8_vgpr9
.LBB253_246:                            ;   in Loop: Header=BB253_233 Depth=1
	s_and_not1_saveexec_b32 s27, s27
	s_cbranch_execz .LBB253_249
; %bb.247:                              ;   in Loop: Header=BB253_233 Depth=1
	v_cmp_ngt_f64_e64 s0, 0x41d00000, |v[8:9]|
                                        ; implicit-def: $vgpr30
                                        ; implicit-def: $vgpr32_vgpr33
                                        ; implicit-def: $vgpr34_vgpr35
	s_and_saveexec_b32 s1, s0
	s_delay_alu instid0(SALU_CYCLE_1)
	s_xor_b32 s1, exec_lo, s1
	s_cbranch_execz .LBB253_250
; %bb.248:                              ;   in Loop: Header=BB253_233 Depth=1
	v_ldexp_f64 v[32:33], |v[8:9]|, 0xffffff80
	v_cmp_le_f64_e64 vcc_lo, 0x7b000000, |v[8:9]|
	v_trig_preop_f64 v[34:35], |v[8:9]|, 0
	v_and_b32_e32 v21, 0x7fffffff, v9
	v_trig_preop_f64 v[36:37], |v[8:9]|, 1
	v_trig_preop_f64 v[46:47], |v[8:9]|, 2
	s_delay_alu instid0(VALU_DEP_3) | instskip(NEXT) | instid1(VALU_DEP_1)
	v_dual_cndmask_b32 v33, v21, v33 :: v_dual_cndmask_b32 v32, v8, v32
	v_mul_f64_e32 v[38:39], v[34:35], v[32:33]
	s_delay_alu instid0(VALU_DEP_4) | instskip(NEXT) | instid1(VALU_DEP_4)
	v_mul_f64_e32 v[40:41], v[36:37], v[32:33]
	v_mul_f64_e32 v[52:53], v[46:47], v[32:33]
	s_delay_alu instid0(VALU_DEP_3) | instskip(NEXT) | instid1(VALU_DEP_3)
	v_fma_f64 v[34:35], v[34:35], v[32:33], -v[38:39]
	v_fma_f64 v[36:37], v[36:37], v[32:33], -v[40:41]
	s_delay_alu instid0(VALU_DEP_3) | instskip(NEXT) | instid1(VALU_DEP_3)
	v_fma_f64 v[32:33], v[46:47], v[32:33], -v[52:53]
	v_add_f64_e32 v[42:43], v[40:41], v[34:35]
	s_delay_alu instid0(VALU_DEP_1) | instskip(SKIP_1) | instid1(VALU_DEP_2)
	v_add_f64_e64 v[44:45], v[42:43], -v[40:41]
	v_add_f64_e32 v[50:51], v[38:39], v[42:43]
	v_add_f64_e64 v[48:49], v[42:43], -v[44:45]
	v_add_f64_e64 v[34:35], v[34:35], -v[44:45]
	s_delay_alu instid0(VALU_DEP_3) | instskip(NEXT) | instid1(VALU_DEP_3)
	v_ldexp_f64 v[44:45], v[50:51], -2
	v_add_f64_e64 v[40:41], v[40:41], -v[48:49]
	v_add_f64_e32 v[48:49], v[52:53], v[36:37]
	s_delay_alu instid0(VALU_DEP_3) | instskip(NEXT) | instid1(VALU_DEP_3)
	v_cmp_neq_f64_e64 vcc_lo, 0x7ff00000, |v[44:45]|
	v_add_f64_e32 v[34:35], v[34:35], v[40:41]
	v_fract_f64_e32 v[40:41], v[44:45]
	s_delay_alu instid0(VALU_DEP_1) | instskip(NEXT) | instid1(VALU_DEP_1)
	v_ldexp_f64 v[40:41], v[40:41], 2
	v_dual_add_f64 v[38:39], v[50:51], -v[38:39] :: v_dual_cndmask_b32 v40, 0, v40, vcc_lo
	s_delay_alu instid0(VALU_DEP_1) | instskip(SKIP_1) | instid1(VALU_DEP_1)
	v_dual_add_f64 v[38:39], v[42:43], -v[38:39] :: v_dual_cndmask_b32 v41, 0, v41, vcc_lo
	v_add_f64_e32 v[42:43], v[48:49], v[34:35]
	v_add_f64_e32 v[44:45], v[38:39], v[42:43]
	v_add_f64_e64 v[54:55], v[42:43], -v[48:49]
	s_delay_alu instid0(VALU_DEP_2) | instskip(NEXT) | instid1(VALU_DEP_2)
	v_add_f64_e32 v[50:51], v[44:45], v[40:41]
	v_add_f64_e64 v[60:61], v[42:43], -v[54:55]
	v_add_f64_e64 v[34:35], v[34:35], -v[54:55]
	;; [unrolled: 1-line block ×3, first 2 shown]
	s_delay_alu instid0(VALU_DEP_4) | instskip(SKIP_1) | instid1(VALU_DEP_3)
	v_cmp_gt_f64_e32 vcc_lo, 0, v[50:51]
	v_add_f64_e64 v[50:51], v[48:49], -v[52:53]
	v_add_f64_e64 v[38:39], v[42:43], -v[38:39]
	v_cndmask_b32_e64 v21, 0, 0x40100000, vcc_lo
	s_delay_alu instid0(VALU_DEP_3) | instskip(SKIP_2) | instid1(VALU_DEP_4)
	v_add_f64_e64 v[58:59], v[48:49], -v[50:51]
	v_add_f64_e64 v[36:37], v[36:37], -v[50:51]
	;; [unrolled: 1-line block ×3, first 2 shown]
	v_add_f64_e32 v[40:41], v[40:41], v[20:21]
	s_delay_alu instid0(VALU_DEP_4) | instskip(NEXT) | instid1(VALU_DEP_3)
	v_add_f64_e64 v[50:51], v[52:53], -v[58:59]
	v_add_f64_e32 v[34:35], v[34:35], v[48:49]
	s_delay_alu instid0(VALU_DEP_3) | instskip(NEXT) | instid1(VALU_DEP_3)
	v_add_f64_e32 v[56:57], v[44:45], v[40:41]
	v_add_f64_e32 v[36:37], v[36:37], v[50:51]
	s_delay_alu instid0(VALU_DEP_2) | instskip(NEXT) | instid1(VALU_DEP_2)
	v_cvt_i32_f64_e32 v21, v[56:57]
	v_add_f64_e32 v[34:35], v[36:37], v[34:35]
	s_delay_alu instid0(VALU_DEP_2) | instskip(NEXT) | instid1(VALU_DEP_2)
	v_cvt_f64_i32_e32 v[54:55], v21
	v_add_f64_e32 v[32:33], v[32:33], v[34:35]
	s_delay_alu instid0(VALU_DEP_2) | instskip(NEXT) | instid1(VALU_DEP_2)
	v_add_f64_e64 v[40:41], v[40:41], -v[54:55]
	v_add_f64_e32 v[32:33], v[38:39], v[32:33]
	s_delay_alu instid0(VALU_DEP_2) | instskip(NEXT) | instid1(VALU_DEP_1)
	v_add_f64_e32 v[36:37], v[44:45], v[40:41]
	v_add_f64_e64 v[34:35], v[36:37], -v[40:41]
	v_cmp_le_f64_e32 vcc_lo, 0.5, v[36:37]
	s_delay_alu instid0(VALU_DEP_2) | instskip(SKIP_2) | instid1(VALU_DEP_3)
	v_add_f64_e64 v[34:35], v[44:45], -v[34:35]
	v_add_co_ci_u32_e64 v30, null, 0, v21, vcc_lo
	v_cndmask_b32_e64 v21, 0, 0x3ff00000, vcc_lo
	v_add_f64_e32 v[32:33], v[32:33], v[34:35]
	s_delay_alu instid0(VALU_DEP_2) | instskip(NEXT) | instid1(VALU_DEP_1)
	v_add_f64_e64 v[34:35], v[36:37], -v[20:21]
	v_add_f64_e32 v[36:37], v[34:35], v[32:33]
	s_delay_alu instid0(VALU_DEP_1) | instskip(SKIP_1) | instid1(VALU_DEP_2)
	v_mul_f64_e32 v[38:39], 0x3ff921fb54442d18, v[36:37]
	v_add_f64_e64 v[34:35], v[36:37], -v[34:35]
	v_fma_f64 v[40:41], v[36:37], s[6:7], -v[38:39]
	s_delay_alu instid0(VALU_DEP_2) | instskip(NEXT) | instid1(VALU_DEP_2)
	v_add_f64_e64 v[32:33], v[32:33], -v[34:35]
	v_fmac_f64_e32 v[40:41], 0x3c91a62633145c07, v[36:37]
	s_delay_alu instid0(VALU_DEP_1) | instskip(NEXT) | instid1(VALU_DEP_1)
	v_fmac_f64_e32 v[40:41], 0x3ff921fb54442d18, v[32:33]
	v_add_f64_e32 v[32:33], v[38:39], v[40:41]
	s_delay_alu instid0(VALU_DEP_1) | instskip(NEXT) | instid1(VALU_DEP_1)
	v_add_f64_e64 v[34:35], v[32:33], -v[38:39]
	v_add_f64_e64 v[34:35], v[40:41], -v[34:35]
	s_and_not1_saveexec_b32 s1, s1
	s_cbranch_execz .LBB253_252
	s_branch .LBB253_251
.LBB253_249:                            ;   in Loop: Header=BB253_233 Depth=1
	s_or_b32 exec_lo, exec_lo, s27
                                        ; implicit-def: $vgpr34_vgpr35
                                        ; implicit-def: $vgpr6_vgpr7
                                        ; implicit-def: $vgpr21
	s_and_not1_saveexec_b32 s1, s26
	s_cbranch_execnz .LBB253_258
	s_branch .LBB253_263
.LBB253_250:                            ;   in Loop: Header=BB253_233 Depth=1
	s_and_not1_saveexec_b32 s1, s1
	s_cbranch_execz .LBB253_252
.LBB253_251:                            ;   in Loop: Header=BB253_233 Depth=1
	v_mul_f64_e64 v[32:33], |v[8:9]|, s[8:9]
	s_delay_alu instid0(VALU_DEP_1) | instskip(NEXT) | instid1(VALU_DEP_1)
	v_rndne_f64_e32 v[36:37], v[32:33]
	v_fma_f64 v[32:33], v[36:37], s[10:11], |v[8:9]|
	v_mul_f64_e32 v[34:35], 0xbc91a62633145c00, v[36:37]
	v_cvt_i32_f64_e32 v30, v[36:37]
	s_delay_alu instid0(VALU_DEP_3) | instskip(NEXT) | instid1(VALU_DEP_3)
	v_fmamk_f64 v[42:43], v[36:37], 0xbc91a62633145c00, v[32:33]
	v_add_f64_e32 v[38:39], v[32:33], v[34:35]
	s_delay_alu instid0(VALU_DEP_1) | instskip(NEXT) | instid1(VALU_DEP_3)
	v_add_f64_e64 v[40:41], v[32:33], -v[38:39]
	v_add_f64_e64 v[32:33], v[38:39], -v[42:43]
	s_delay_alu instid0(VALU_DEP_2) | instskip(SKIP_1) | instid1(VALU_DEP_2)
	v_add_f64_e32 v[38:39], v[40:41], v[34:35]
	v_fmamk_f64 v[34:35], v[36:37], 0x3c91a62633145c00, v[34:35]
	v_add_f64_e32 v[32:33], v[32:33], v[38:39]
	s_delay_alu instid0(VALU_DEP_1) | instskip(NEXT) | instid1(VALU_DEP_1)
	v_add_f64_e64 v[34:35], v[32:33], -v[34:35]
	v_fmac_f64_e32 v[34:35], 0xb97b839a252049c0, v[36:37]
	s_delay_alu instid0(VALU_DEP_1) | instskip(NEXT) | instid1(VALU_DEP_1)
	v_add_f64_e32 v[32:33], v[42:43], v[34:35]
	v_add_f64_e64 v[38:39], v[32:33], -v[42:43]
	s_delay_alu instid0(VALU_DEP_1)
	v_add_f64_e64 v[34:35], v[34:35], -v[38:39]
.LBB253_252:                            ;   in Loop: Header=BB253_233 Depth=1
	s_or_b32 exec_lo, exec_lo, s1
                                        ; implicit-def: $vgpr40
                                        ; implicit-def: $vgpr36_vgpr37
                                        ; implicit-def: $vgpr38_vgpr39
	s_and_saveexec_b32 s1, s0
	s_delay_alu instid0(SALU_CYCLE_1)
	s_xor_b32 s0, exec_lo, s1
	s_cbranch_execz .LBB253_254
; %bb.253:                              ;   in Loop: Header=BB253_233 Depth=1
	v_ldexp_f64 v[36:37], |v[8:9]|, 0xffffff80
	v_cmp_le_f64_e64 vcc_lo, 0x7b000000, |v[8:9]|
	v_trig_preop_f64 v[38:39], |v[8:9]|, 0
	v_and_b32_e32 v21, 0x7fffffff, v9
	v_trig_preop_f64 v[40:41], |v[8:9]|, 1
	v_trig_preop_f64 v[50:51], |v[8:9]|, 2
	s_delay_alu instid0(VALU_DEP_3) | instskip(NEXT) | instid1(VALU_DEP_1)
	v_dual_cndmask_b32 v37, v21, v37 :: v_dual_cndmask_b32 v36, v8, v36
	v_mul_f64_e32 v[42:43], v[38:39], v[36:37]
	s_delay_alu instid0(VALU_DEP_4) | instskip(NEXT) | instid1(VALU_DEP_4)
	v_mul_f64_e32 v[44:45], v[40:41], v[36:37]
	v_mul_f64_e32 v[56:57], v[50:51], v[36:37]
	s_delay_alu instid0(VALU_DEP_3) | instskip(NEXT) | instid1(VALU_DEP_3)
	v_fma_f64 v[38:39], v[38:39], v[36:37], -v[42:43]
	v_fma_f64 v[40:41], v[40:41], v[36:37], -v[44:45]
	s_delay_alu instid0(VALU_DEP_3) | instskip(NEXT) | instid1(VALU_DEP_3)
	v_fma_f64 v[36:37], v[50:51], v[36:37], -v[56:57]
	v_add_f64_e32 v[46:47], v[44:45], v[38:39]
	s_delay_alu instid0(VALU_DEP_1) | instskip(SKIP_1) | instid1(VALU_DEP_2)
	v_add_f64_e64 v[48:49], v[46:47], -v[44:45]
	v_add_f64_e32 v[54:55], v[42:43], v[46:47]
	v_add_f64_e64 v[52:53], v[46:47], -v[48:49]
	v_add_f64_e64 v[38:39], v[38:39], -v[48:49]
	s_delay_alu instid0(VALU_DEP_3) | instskip(NEXT) | instid1(VALU_DEP_3)
	v_ldexp_f64 v[48:49], v[54:55], -2
	v_add_f64_e64 v[44:45], v[44:45], -v[52:53]
	v_add_f64_e32 v[52:53], v[56:57], v[40:41]
	s_delay_alu instid0(VALU_DEP_3) | instskip(NEXT) | instid1(VALU_DEP_3)
	v_cmp_neq_f64_e64 vcc_lo, 0x7ff00000, |v[48:49]|
	v_add_f64_e32 v[38:39], v[38:39], v[44:45]
	v_fract_f64_e32 v[44:45], v[48:49]
	s_delay_alu instid0(VALU_DEP_1) | instskip(NEXT) | instid1(VALU_DEP_1)
	v_ldexp_f64 v[44:45], v[44:45], 2
	v_dual_add_f64 v[42:43], v[54:55], -v[42:43] :: v_dual_cndmask_b32 v44, 0, v44, vcc_lo
	s_delay_alu instid0(VALU_DEP_1) | instskip(SKIP_1) | instid1(VALU_DEP_1)
	v_dual_add_f64 v[42:43], v[46:47], -v[42:43] :: v_dual_cndmask_b32 v45, 0, v45, vcc_lo
	v_add_f64_e32 v[46:47], v[52:53], v[38:39]
	v_add_f64_e32 v[48:49], v[42:43], v[46:47]
	v_add_f64_e64 v[58:59], v[46:47], -v[52:53]
	s_delay_alu instid0(VALU_DEP_2) | instskip(NEXT) | instid1(VALU_DEP_2)
	v_add_f64_e32 v[54:55], v[48:49], v[44:45]
	v_add_f64_e64 v[64:65], v[46:47], -v[58:59]
	v_add_f64_e64 v[38:39], v[38:39], -v[58:59]
	;; [unrolled: 1-line block ×3, first 2 shown]
	s_delay_alu instid0(VALU_DEP_4) | instskip(SKIP_2) | instid1(VALU_DEP_2)
	v_cmp_gt_f64_e32 vcc_lo, 0, v[54:55]
	v_add_f64_e64 v[54:55], v[52:53], -v[56:57]
	v_cndmask_b32_e64 v21, 0, 0x40100000, vcc_lo
	v_add_f64_e64 v[62:63], v[52:53], -v[54:55]
	v_add_f64_e64 v[40:41], v[40:41], -v[54:55]
	;; [unrolled: 1-line block ×3, first 2 shown]
	s_delay_alu instid0(VALU_DEP_4) | instskip(NEXT) | instid1(VALU_DEP_4)
	v_add_f64_e32 v[44:45], v[44:45], v[20:21]
	v_add_f64_e64 v[54:55], v[56:57], -v[62:63]
	s_delay_alu instid0(VALU_DEP_3) | instskip(NEXT) | instid1(VALU_DEP_3)
	v_add_f64_e32 v[38:39], v[38:39], v[52:53]
	v_add_f64_e32 v[60:61], v[48:49], v[44:45]
	s_delay_alu instid0(VALU_DEP_3) | instskip(NEXT) | instid1(VALU_DEP_2)
	v_add_f64_e32 v[40:41], v[40:41], v[54:55]
	v_cvt_i32_f64_e32 v21, v[60:61]
	s_delay_alu instid0(VALU_DEP_2) | instskip(SKIP_1) | instid1(VALU_DEP_3)
	v_add_f64_e32 v[38:39], v[40:41], v[38:39]
	v_add_f64_e64 v[40:41], v[46:47], -v[42:43]
	v_cvt_f64_i32_e32 v[58:59], v21
	s_delay_alu instid0(VALU_DEP_3) | instskip(NEXT) | instid1(VALU_DEP_2)
	v_add_f64_e32 v[36:37], v[36:37], v[38:39]
	v_add_f64_e64 v[44:45], v[44:45], -v[58:59]
	s_delay_alu instid0(VALU_DEP_2) | instskip(NEXT) | instid1(VALU_DEP_2)
	v_add_f64_e32 v[36:37], v[40:41], v[36:37]
	v_add_f64_e32 v[50:51], v[48:49], v[44:45]
	s_delay_alu instid0(VALU_DEP_1) | instskip(SKIP_1) | instid1(VALU_DEP_2)
	v_add_f64_e64 v[38:39], v[50:51], -v[44:45]
	v_cmp_le_f64_e32 vcc_lo, 0.5, v[50:51]
	v_add_f64_e64 v[38:39], v[48:49], -v[38:39]
	v_add_co_ci_u32_e64 v40, null, 0, v21, vcc_lo
	v_cndmask_b32_e64 v21, 0, 0x3ff00000, vcc_lo
	s_delay_alu instid0(VALU_DEP_3) | instskip(NEXT) | instid1(VALU_DEP_2)
	v_add_f64_e32 v[36:37], v[36:37], v[38:39]
	v_add_f64_e64 v[38:39], v[50:51], -v[20:21]
	s_delay_alu instid0(VALU_DEP_1) | instskip(NEXT) | instid1(VALU_DEP_1)
	v_add_f64_e32 v[42:43], v[38:39], v[36:37]
	v_mul_f64_e32 v[44:45], 0x3ff921fb54442d18, v[42:43]
	v_add_f64_e64 v[38:39], v[42:43], -v[38:39]
	s_delay_alu instid0(VALU_DEP_2) | instskip(NEXT) | instid1(VALU_DEP_2)
	v_fma_f64 v[46:47], v[42:43], s[6:7], -v[44:45]
	v_add_f64_e64 v[36:37], v[36:37], -v[38:39]
	s_delay_alu instid0(VALU_DEP_2) | instskip(NEXT) | instid1(VALU_DEP_1)
	v_fmac_f64_e32 v[46:47], 0x3c91a62633145c07, v[42:43]
	v_fmac_f64_e32 v[46:47], 0x3ff921fb54442d18, v[36:37]
	s_delay_alu instid0(VALU_DEP_1) | instskip(NEXT) | instid1(VALU_DEP_1)
	v_add_f64_e32 v[36:37], v[44:45], v[46:47]
	v_add_f64_e64 v[38:39], v[36:37], -v[44:45]
	s_delay_alu instid0(VALU_DEP_1)
	v_add_f64_e64 v[38:39], v[46:47], -v[38:39]
	s_and_not1_saveexec_b32 s0, s0
	s_cbranch_execnz .LBB253_255
	s_branch .LBB253_256
.LBB253_254:                            ;   in Loop: Header=BB253_233 Depth=1
	s_and_not1_saveexec_b32 s0, s0
	s_cbranch_execz .LBB253_256
.LBB253_255:                            ;   in Loop: Header=BB253_233 Depth=1
	v_mul_f64_e64 v[36:37], |v[8:9]|, s[8:9]
	s_delay_alu instid0(VALU_DEP_1) | instskip(NEXT) | instid1(VALU_DEP_1)
	v_rndne_f64_e32 v[40:41], v[36:37]
	v_fma_f64 v[36:37], v[40:41], s[10:11], |v[8:9]|
	v_mul_f64_e32 v[38:39], 0xbc91a62633145c00, v[40:41]
	s_delay_alu instid0(VALU_DEP_2) | instskip(NEXT) | instid1(VALU_DEP_2)
	v_fmamk_f64 v[46:47], v[40:41], 0xbc91a62633145c00, v[36:37]
	v_add_f64_e32 v[42:43], v[36:37], v[38:39]
	s_delay_alu instid0(VALU_DEP_1) | instskip(NEXT) | instid1(VALU_DEP_3)
	v_add_f64_e64 v[44:45], v[36:37], -v[42:43]
	v_add_f64_e64 v[36:37], v[42:43], -v[46:47]
	s_delay_alu instid0(VALU_DEP_2) | instskip(SKIP_1) | instid1(VALU_DEP_2)
	v_add_f64_e32 v[42:43], v[44:45], v[38:39]
	v_fmamk_f64 v[38:39], v[40:41], 0x3c91a62633145c00, v[38:39]
	v_add_f64_e32 v[36:37], v[36:37], v[42:43]
	s_delay_alu instid0(VALU_DEP_1) | instskip(NEXT) | instid1(VALU_DEP_1)
	v_add_f64_e64 v[38:39], v[36:37], -v[38:39]
	v_fmac_f64_e32 v[38:39], 0xb97b839a252049c0, v[40:41]
	v_cvt_i32_f64_e32 v40, v[40:41]
	s_delay_alu instid0(VALU_DEP_2) | instskip(NEXT) | instid1(VALU_DEP_1)
	v_add_f64_e32 v[36:37], v[46:47], v[38:39]
	v_add_f64_e64 v[42:43], v[36:37], -v[46:47]
	s_delay_alu instid0(VALU_DEP_1)
	v_add_f64_e64 v[38:39], v[38:39], -v[42:43]
.LBB253_256:                            ;   in Loop: Header=BB253_233 Depth=1
	s_or_b32 exec_lo, exec_lo, s0
	v_add_f64_e64 v[6:7], -v[6:7], s[18:19]
	v_mul_f64_e32 v[44:45], v[32:33], v[32:33]
	s_delay_alu instid0(VALU_DEP_3)
	v_mul_f64_e32 v[58:59], 0.5, v[34:35]
	v_cmp_class_f64_e64 s0, v[8:9], 0x1f8
	v_lshlrev_b32_e32 v9, 30, v40
	v_mul_f64_e32 v[46:47], v[36:37], v[36:37]
	v_mul_f64_e32 v[42:43], 0x3ff71547652b82fe, v[6:7]
	v_mul_f64_e32 v[48:49], 0.5, v[44:45]
	v_cmp_nlt_f64_e64 s1, 0x40900000, v[6:7]
	v_cmp_ngt_f64_e64 s2, 0xc090cc00, v[6:7]
	s_delay_alu instid0(VALU_DEP_4) | instskip(NEXT) | instid1(VALU_DEP_4)
	v_rndne_f64_e32 v[42:43], v[42:43]
	v_add_f64_e64 v[54:55], -v[48:49], 1.0
	s_delay_alu instid0(VALU_DEP_2) | instskip(NEXT) | instid1(VALU_DEP_2)
	v_fmamk_f64 v[52:53], v[42:43], 0xbfe62e42fefa39ef, v[6:7]
	v_add_f64_e64 v[62:63], -v[54:55], 1.0
	v_cvt_i32_f64_e32 v21, v[42:43]
	v_and_b32_e32 v6, 1, v40
	s_delay_alu instid0(VALU_DEP_4) | instskip(NEXT) | instid1(VALU_DEP_2)
	v_fmac_f64_e32 v[52:53], 0xbc7abc9e3b39803f, v[42:43]
	v_cmp_eq_u32_e64 s3, 0, v6
	v_mul_f64_e32 v[68:69], 0.5, v[38:39]
	v_add_f64_e64 v[48:49], v[62:63], -v[48:49]
	s_delay_alu instid0(VALU_DEP_4) | instskip(NEXT) | instid1(VALU_DEP_1)
	v_fmamk_f64 v[66:67], v[52:53], 0x3e5ade156a5dcb37, v[22:23]
	v_fmaak_f64 v[66:67], v[52:53], v[66:67], 0x3ec71dee623fde64
	s_delay_alu instid0(VALU_DEP_1) | instskip(NEXT) | instid1(VALU_DEP_1)
	v_fmaak_f64 v[66:67], v[52:53], v[66:67], 0x3efa01997c89e6b0
	v_fmaak_f64 v[66:67], v[52:53], v[66:67], 0x3f2a01a014761f6e
	s_delay_alu instid0(VALU_DEP_1) | instskip(NEXT) | instid1(VALU_DEP_1)
	v_fmaak_f64 v[62:63], v[52:53], v[66:67], 0x3f56c16c1852b7b0
	;; [unrolled: 3-line block ×4, first 2 shown]
	v_fma_f64 v[62:63], v[52:53], v[62:63], 1.0
	s_delay_alu instid0(VALU_DEP_1) | instskip(NEXT) | instid1(VALU_DEP_1)
	v_fma_f64 v[42:43], v[52:53], v[62:63], 1.0
	v_ldexp_f64 v[42:43], v[42:43], v21
	v_and_b32_e32 v21, 1, v30
	v_fmamk_f64 v[64:65], v[44:45], 0x3de5e0b2f9a43bb8, v[26:27]
	v_lshlrev_b32_e32 v30, 30, v30
	v_mul_f64_e32 v[50:51], 0.5, v[46:47]
	v_mul_f64_e64 v[70:71], v[36:37], -v[46:47]
	v_cmp_eq_u32_e32 vcc_lo, 0, v21
	v_mul_f64_e64 v[60:61], v[32:33], -v[44:45]
	v_fmamk_f64 v[74:75], v[46:47], 0x3de5e0b2f9a43bb8, v[26:27]
	v_fmaak_f64 v[64:65], v[44:45], v[64:65], 0x3ec71de3796cde01
	v_mul_f64_e32 v[66:67], v[44:45], v[44:45]
	s_delay_alu instid0(VALU_DEP_2) | instskip(NEXT) | instid1(VALU_DEP_1)
	v_fmaak_f64 v[64:65], v[44:45], v[64:65], 0xbf2a01a019e83e5c
	v_fmaak_f64 v[64:65], v[44:45], v[64:65], 0x3f81111111110bb3
	v_cndmask_b32_e64 v8, 0x7ff00000, v43, s1
	v_add_f64_e64 v[56:57], -v[50:51], 1.0
	s_delay_alu instid0(VALU_DEP_3) | instskip(SKIP_1) | instid1(VALU_DEP_1)
	v_fmac_f64_e32 v[58:59], v[60:61], v[64:65]
	v_fmaak_f64 v[64:65], v[46:47], v[74:75], 0x3ec71de3796cde01
	v_fmaak_f64 v[64:65], v[46:47], v[64:65], 0xbf2a01a019e83e5c
	s_delay_alu instid0(VALU_DEP_1) | instskip(NEXT) | instid1(VALU_DEP_1)
	v_fmaak_f64 v[64:65], v[46:47], v[64:65], 0x3f81111111110bb3
	v_fmac_f64_e32 v[68:69], v[70:71], v[64:65]
	v_fmamk_f64 v[64:65], v[44:45], 0xbda907db46cc5e42, v[24:25]
	v_add_f64_e64 v[72:73], -v[56:57], 1.0
	v_fma_f64 v[58:59], v[44:45], v[58:59], -v[34:35]
	v_fma_f64 v[34:35], v[32:33], -v[34:35], v[48:49]
	s_delay_alu instid0(VALU_DEP_4) | instskip(NEXT) | instid1(VALU_DEP_1)
	v_fmaak_f64 v[48:49], v[44:45], v[64:65], 0xbe927e4fa17f65f6
	v_fmaak_f64 v[48:49], v[44:45], v[48:49], 0x3efa01a019f4ec90
	s_delay_alu instid0(VALU_DEP_1) | instskip(NEXT) | instid1(VALU_DEP_1)
	v_fmaak_f64 v[48:49], v[44:45], v[48:49], 0xbf56c16c16c16967
	v_fmaak_f64 v[44:45], v[44:45], v[48:49], 0x3fa5555555555555
	v_fma_f64 v[48:49], v[46:47], v[68:69], -v[38:39]
	v_add_f64_e64 v[50:51], v[72:73], -v[50:51]
	v_fmamk_f64 v[72:73], v[46:47], 0xbda907db46cc5e42, v[24:25]
	v_fmac_f64_e32 v[58:59], 0xbfc5555555555555, v[60:61]
	v_fmac_f64_e32 v[34:35], v[66:67], v[44:45]
	;; [unrolled: 1-line block ×3, first 2 shown]
	s_delay_alu instid0(VALU_DEP_3) | instskip(NEXT) | instid1(VALU_DEP_3)
	v_add_f64_e64 v[32:33], v[32:33], -v[58:59]
	v_add_f64_e32 v[34:35], v[54:55], v[34:35]
	s_delay_alu instid0(VALU_DEP_2) | instskip(NEXT) | instid1(VALU_DEP_2)
	v_xor_b32_e32 v7, 0x80000000, v33
	v_dual_cndmask_b32 v21, v32, v34, vcc_lo :: v_dual_cndmask_b32 v32, 0, v8, s2
	v_mul_f64_e32 v[64:65], v[46:47], v[46:47]
	v_fma_f64 v[38:39], v[36:37], -v[38:39], v[50:51]
	v_fmaak_f64 v[50:51], v[46:47], v[72:73], 0xbe927e4fa17f65f6
	v_dual_add_f64 v[36:37], v[36:37], -v[48:49] :: v_dual_cndmask_b32 v6, v7, v35, vcc_lo
	v_xor_b32_e32 v7, v9, v31
	s_and_b32 vcc_lo, s2, s1
	s_delay_alu instid0(VALU_DEP_3) | instskip(NEXT) | instid1(VALU_DEP_3)
	v_fmaak_f64 v[44:45], v[46:47], v[50:51], 0x3efa01a019f4ec90
	v_bitop3_b32 v30, v6, v30, 0x80000000 bitop3:0x78
	v_cndmask_b32_e64 v6, 0, v21, s0
	s_delay_alu instid0(VALU_DEP_3) | instskip(NEXT) | instid1(VALU_DEP_1)
	v_fmaak_f64 v[44:45], v[46:47], v[44:45], 0xbf56c16c16c16967
	v_fmaak_f64 v[44:45], v[46:47], v[44:45], 0x3fa5555555555555
	s_delay_alu instid0(VALU_DEP_1) | instskip(NEXT) | instid1(VALU_DEP_1)
	v_fmac_f64_e32 v[38:39], v[64:65], v[44:45]
	v_add_f64_e32 v[38:39], v[56:57], v[38:39]
	s_delay_alu instid0(VALU_DEP_1) | instskip(NEXT) | instid1(VALU_DEP_1)
	v_dual_cndmask_b32 v31, v39, v37, s3 :: v_dual_cndmask_b32 v9, v38, v36, s3
	v_bitop3_b32 v21, v31, v7, 0x80000000 bitop3:0x78
	v_cndmask_b32_e64 v7, 0x7ff80000, v30, s0
	s_delay_alu instid0(VALU_DEP_3) | instskip(SKIP_3) | instid1(VALU_DEP_2)
	v_cndmask_b32_e64 v8, 0, v9, s0
	v_and_or_b32 v31, v32, s22, 0x7fe00000
	v_cndmask_b32_e32 v30, 0, v42, vcc_lo
	v_cndmask_b32_e64 v9, 0x7ff80000, v21, s0
	v_dual_mul_f64 v[6:7], v[30:31], v[6:7] :: v_dual_lshrrev_b32 v21, 20, v32
	s_delay_alu instid0(VALU_DEP_2) | instskip(NEXT) | instid1(VALU_DEP_2)
	v_mul_f64_e32 v[8:9], v[30:31], v[8:9]
	v_add_nc_u32_e32 v30, 0xffffff09, v21
	s_delay_alu instid0(VALU_DEP_1) | instskip(NEXT) | instid1(VALU_DEP_1)
	v_lshrrev_b16 v21, 15, v30
	v_add_nc_u16 v21, v30, v21
	s_delay_alu instid0(VALU_DEP_1) | instskip(NEXT) | instid1(VALU_DEP_1)
	v_ashrrev_i16 v21, 1, v21
	v_bfe_i32 v31, v21, 0, 16
	s_delay_alu instid0(VALU_DEP_1) | instskip(NEXT) | instid1(VALU_DEP_1)
	v_lshl_add_u32 v21, v31, 20, 0x3ff00000
	v_mul_f64_e32 v[6:7], v[6:7], v[20:21]
	v_dual_mul_f64 v[8:9], v[8:9], v[20:21] :: v_dual_sub_nc_u32 v21, v30, v31
	v_mov_b32_e32 v30, v20
	s_delay_alu instid0(VALU_DEP_2) | instskip(NEXT) | instid1(VALU_DEP_1)
	v_lshl_add_u32 v31, v21, 20, 0x3ff00000
	v_mul_f64_e32 v[32:33], v[6:7], v[30:31]
	s_delay_alu instid0(VALU_DEP_4)
	v_mul_f64_e32 v[30:31], v[8:9], v[30:31]
	s_or_b32 exec_lo, exec_lo, s27
                                        ; implicit-def: $vgpr34_vgpr35
                                        ; implicit-def: $vgpr6_vgpr7
                                        ; implicit-def: $vgpr21
.LBB253_257:                            ;   in Loop: Header=BB253_233 Depth=1
	s_and_not1_saveexec_b32 s1, s26
	s_cbranch_execz .LBB253_263
.LBB253_258:                            ;   in Loop: Header=BB253_233 Depth=1
	v_add_f64_e64 v[30:31], v[8:9], -v[8:9]
	v_cmp_ne_u32_e32 vcc_lo, 0, v6
	v_cmp_ne_u32_e64 s0, 0x7ff00000, v21
	s_or_b32 s0, vcc_lo, s0
	s_delay_alu instid0(SALU_CYCLE_1) | instskip(NEXT) | instid1(SALU_CYCLE_1)
	s_and_saveexec_b32 s2, s0
	s_xor_b32 s0, exec_lo, s2
; %bb.259:                              ;   in Loop: Header=BB253_233 Depth=1
                                        ; implicit-def: $vgpr34_vgpr35
                                        ; implicit-def: $vgpr6_vgpr7
; %bb.260:                              ;   in Loop: Header=BB253_233 Depth=1
	s_delay_alu instid0(SALU_CYCLE_1)
	s_or_saveexec_b32 s0, s0
	v_mov_b64_e32 v[32:33], v[30:31]
	s_xor_b32 exec_lo, exec_lo, s0
; %bb.261:                              ;   in Loop: Header=BB253_233 Depth=1
	v_cmp_lt_i64_e32 vcc_lo, -1, v[34:35]
	v_dual_cndmask_b32 v33, 0, v35 :: v_dual_cndmask_b32 v32, 0, v6
	v_dual_cndmask_b32 v31, 0, v31 :: v_dual_cndmask_b32 v30, 0, v30
; %bb.262:                              ;   in Loop: Header=BB253_233 Depth=1
	s_or_b32 exec_lo, exec_lo, s0
.LBB253_263:                            ;   in Loop: Header=BB253_233 Depth=1
	s_delay_alu instid0(SALU_CYCLE_1)
	s_or_b32 exec_lo, exec_lo, s1
                                        ; implicit-def: $vgpr8_vgpr9
.LBB253_264:                            ;   in Loop: Header=BB253_233 Depth=1
	s_and_not1_saveexec_b32 s2, s25
	s_cbranch_execz .LBB253_274
; %bb.265:                              ;   in Loop: Header=BB253_233 Depth=1
	v_cmp_ngt_f64_e64 s0, 0x41d00000, |v[8:9]|
                                        ; implicit-def: $vgpr30
                                        ; implicit-def: $vgpr6_vgpr7
                                        ; implicit-def: $vgpr32_vgpr33
	s_and_saveexec_b32 s1, s0
	s_delay_alu instid0(SALU_CYCLE_1)
	s_xor_b32 s1, exec_lo, s1
	s_cbranch_execz .LBB253_267
; %bb.266:                              ;   in Loop: Header=BB253_233 Depth=1
	v_ldexp_f64 v[6:7], |v[8:9]|, 0xffffff80
	v_cmp_le_f64_e64 vcc_lo, 0x7b000000, |v[8:9]|
	v_trig_preop_f64 v[32:33], |v[8:9]|, 0
	v_and_b32_e32 v21, 0x7fffffff, v9
	v_trig_preop_f64 v[34:35], |v[8:9]|, 1
	v_trig_preop_f64 v[44:45], |v[8:9]|, 2
	s_delay_alu instid0(VALU_DEP_3) | instskip(NEXT) | instid1(VALU_DEP_1)
	v_dual_cndmask_b32 v7, v21, v7 :: v_dual_cndmask_b32 v6, v8, v6
	v_mul_f64_e32 v[36:37], v[32:33], v[6:7]
	s_delay_alu instid0(VALU_DEP_4) | instskip(NEXT) | instid1(VALU_DEP_4)
	v_mul_f64_e32 v[38:39], v[34:35], v[6:7]
	v_mul_f64_e32 v[50:51], v[44:45], v[6:7]
	s_delay_alu instid0(VALU_DEP_3) | instskip(NEXT) | instid1(VALU_DEP_3)
	v_fma_f64 v[32:33], v[32:33], v[6:7], -v[36:37]
	v_fma_f64 v[34:35], v[34:35], v[6:7], -v[38:39]
	s_delay_alu instid0(VALU_DEP_3) | instskip(NEXT) | instid1(VALU_DEP_3)
	v_fma_f64 v[6:7], v[44:45], v[6:7], -v[50:51]
	v_add_f64_e32 v[40:41], v[38:39], v[32:33]
	s_delay_alu instid0(VALU_DEP_1) | instskip(SKIP_1) | instid1(VALU_DEP_2)
	v_add_f64_e64 v[42:43], v[40:41], -v[38:39]
	v_add_f64_e32 v[48:49], v[36:37], v[40:41]
	v_add_f64_e64 v[46:47], v[40:41], -v[42:43]
	v_add_f64_e64 v[32:33], v[32:33], -v[42:43]
	s_delay_alu instid0(VALU_DEP_3) | instskip(NEXT) | instid1(VALU_DEP_3)
	v_ldexp_f64 v[42:43], v[48:49], -2
	v_add_f64_e64 v[38:39], v[38:39], -v[46:47]
	v_add_f64_e32 v[46:47], v[50:51], v[34:35]
	s_delay_alu instid0(VALU_DEP_3) | instskip(NEXT) | instid1(VALU_DEP_3)
	v_cmp_neq_f64_e64 vcc_lo, 0x7ff00000, |v[42:43]|
	v_add_f64_e32 v[32:33], v[32:33], v[38:39]
	v_fract_f64_e32 v[38:39], v[42:43]
	s_delay_alu instid0(VALU_DEP_1) | instskip(NEXT) | instid1(VALU_DEP_1)
	v_ldexp_f64 v[38:39], v[38:39], 2
	v_dual_add_f64 v[36:37], v[48:49], -v[36:37] :: v_dual_cndmask_b32 v38, 0, v38, vcc_lo
	s_delay_alu instid0(VALU_DEP_1) | instskip(SKIP_1) | instid1(VALU_DEP_1)
	v_dual_add_f64 v[36:37], v[40:41], -v[36:37] :: v_dual_cndmask_b32 v39, 0, v39, vcc_lo
	v_add_f64_e32 v[40:41], v[46:47], v[32:33]
	v_add_f64_e32 v[42:43], v[36:37], v[40:41]
	v_add_f64_e64 v[52:53], v[40:41], -v[46:47]
	s_delay_alu instid0(VALU_DEP_2) | instskip(NEXT) | instid1(VALU_DEP_2)
	v_add_f64_e32 v[48:49], v[42:43], v[38:39]
	v_add_f64_e64 v[58:59], v[40:41], -v[52:53]
	v_add_f64_e64 v[32:33], v[32:33], -v[52:53]
	;; [unrolled: 1-line block ×3, first 2 shown]
	s_delay_alu instid0(VALU_DEP_4) | instskip(SKIP_1) | instid1(VALU_DEP_3)
	v_cmp_gt_f64_e32 vcc_lo, 0, v[48:49]
	v_add_f64_e64 v[48:49], v[46:47], -v[50:51]
	v_add_f64_e64 v[36:37], v[40:41], -v[36:37]
	v_cndmask_b32_e64 v21, 0, 0x40100000, vcc_lo
	s_delay_alu instid0(VALU_DEP_3) | instskip(SKIP_2) | instid1(VALU_DEP_4)
	v_add_f64_e64 v[56:57], v[46:47], -v[48:49]
	v_add_f64_e64 v[34:35], v[34:35], -v[48:49]
	;; [unrolled: 1-line block ×3, first 2 shown]
	v_add_f64_e32 v[38:39], v[38:39], v[20:21]
	s_delay_alu instid0(VALU_DEP_4) | instskip(NEXT) | instid1(VALU_DEP_3)
	v_add_f64_e64 v[48:49], v[50:51], -v[56:57]
	v_add_f64_e32 v[32:33], v[32:33], v[46:47]
	s_delay_alu instid0(VALU_DEP_3) | instskip(NEXT) | instid1(VALU_DEP_3)
	v_add_f64_e32 v[54:55], v[42:43], v[38:39]
	v_add_f64_e32 v[34:35], v[34:35], v[48:49]
	s_delay_alu instid0(VALU_DEP_2) | instskip(NEXT) | instid1(VALU_DEP_2)
	v_cvt_i32_f64_e32 v21, v[54:55]
	v_add_f64_e32 v[32:33], v[34:35], v[32:33]
	s_delay_alu instid0(VALU_DEP_2) | instskip(NEXT) | instid1(VALU_DEP_2)
	v_cvt_f64_i32_e32 v[52:53], v21
	v_add_f64_e32 v[6:7], v[6:7], v[32:33]
	s_delay_alu instid0(VALU_DEP_2) | instskip(NEXT) | instid1(VALU_DEP_2)
	v_add_f64_e64 v[38:39], v[38:39], -v[52:53]
	v_add_f64_e32 v[6:7], v[36:37], v[6:7]
	s_delay_alu instid0(VALU_DEP_2) | instskip(NEXT) | instid1(VALU_DEP_1)
	v_add_f64_e32 v[34:35], v[42:43], v[38:39]
	v_add_f64_e64 v[32:33], v[34:35], -v[38:39]
	v_cmp_le_f64_e32 vcc_lo, 0.5, v[34:35]
	s_delay_alu instid0(VALU_DEP_2) | instskip(SKIP_2) | instid1(VALU_DEP_3)
	v_add_f64_e64 v[32:33], v[42:43], -v[32:33]
	v_add_co_ci_u32_e64 v30, null, 0, v21, vcc_lo
	v_cndmask_b32_e64 v21, 0, 0x3ff00000, vcc_lo
	v_add_f64_e32 v[6:7], v[6:7], v[32:33]
	s_delay_alu instid0(VALU_DEP_2) | instskip(NEXT) | instid1(VALU_DEP_1)
	v_add_f64_e64 v[32:33], v[34:35], -v[20:21]
	v_add_f64_e32 v[34:35], v[32:33], v[6:7]
	s_delay_alu instid0(VALU_DEP_1) | instskip(SKIP_1) | instid1(VALU_DEP_2)
	v_mul_f64_e32 v[36:37], 0x3ff921fb54442d18, v[34:35]
	v_add_f64_e64 v[32:33], v[34:35], -v[32:33]
	v_fma_f64 v[38:39], v[34:35], s[6:7], -v[36:37]
	s_delay_alu instid0(VALU_DEP_2) | instskip(NEXT) | instid1(VALU_DEP_2)
	v_add_f64_e64 v[6:7], v[6:7], -v[32:33]
	v_fmac_f64_e32 v[38:39], 0x3c91a62633145c07, v[34:35]
	s_delay_alu instid0(VALU_DEP_1) | instskip(NEXT) | instid1(VALU_DEP_1)
	v_fmac_f64_e32 v[38:39], 0x3ff921fb54442d18, v[6:7]
	v_add_f64_e32 v[6:7], v[36:37], v[38:39]
	s_delay_alu instid0(VALU_DEP_1) | instskip(NEXT) | instid1(VALU_DEP_1)
	v_add_f64_e64 v[32:33], v[6:7], -v[36:37]
	v_add_f64_e64 v[32:33], v[38:39], -v[32:33]
	s_and_not1_saveexec_b32 s1, s1
	s_cbranch_execz .LBB253_269
	s_branch .LBB253_268
.LBB253_267:                            ;   in Loop: Header=BB253_233 Depth=1
	s_and_not1_saveexec_b32 s1, s1
	s_cbranch_execz .LBB253_269
.LBB253_268:                            ;   in Loop: Header=BB253_233 Depth=1
	v_mul_f64_e64 v[6:7], |v[8:9]|, s[8:9]
	s_delay_alu instid0(VALU_DEP_1) | instskip(NEXT) | instid1(VALU_DEP_1)
	v_rndne_f64_e32 v[34:35], v[6:7]
	v_fma_f64 v[6:7], v[34:35], s[10:11], |v[8:9]|
	v_mul_f64_e32 v[32:33], 0xbc91a62633145c00, v[34:35]
	v_cvt_i32_f64_e32 v30, v[34:35]
	s_delay_alu instid0(VALU_DEP_3) | instskip(NEXT) | instid1(VALU_DEP_3)
	v_fmamk_f64 v[40:41], v[34:35], 0xbc91a62633145c00, v[6:7]
	v_add_f64_e32 v[36:37], v[6:7], v[32:33]
	s_delay_alu instid0(VALU_DEP_1) | instskip(NEXT) | instid1(VALU_DEP_3)
	v_add_f64_e64 v[38:39], v[6:7], -v[36:37]
	v_add_f64_e64 v[6:7], v[36:37], -v[40:41]
	s_delay_alu instid0(VALU_DEP_2) | instskip(SKIP_1) | instid1(VALU_DEP_2)
	v_add_f64_e32 v[36:37], v[38:39], v[32:33]
	v_fmamk_f64 v[32:33], v[34:35], 0x3c91a62633145c00, v[32:33]
	v_add_f64_e32 v[6:7], v[6:7], v[36:37]
	s_delay_alu instid0(VALU_DEP_1) | instskip(NEXT) | instid1(VALU_DEP_1)
	v_add_f64_e64 v[32:33], v[6:7], -v[32:33]
	v_fmac_f64_e32 v[32:33], 0xb97b839a252049c0, v[34:35]
	s_delay_alu instid0(VALU_DEP_1) | instskip(NEXT) | instid1(VALU_DEP_1)
	v_add_f64_e32 v[6:7], v[40:41], v[32:33]
	v_add_f64_e64 v[36:37], v[6:7], -v[40:41]
	s_delay_alu instid0(VALU_DEP_1)
	v_add_f64_e64 v[32:33], v[32:33], -v[36:37]
.LBB253_269:                            ;   in Loop: Header=BB253_233 Depth=1
	s_or_b32 exec_lo, exec_lo, s1
                                        ; implicit-def: $vgpr38
                                        ; implicit-def: $vgpr34_vgpr35
                                        ; implicit-def: $vgpr36_vgpr37
	s_and_saveexec_b32 s1, s0
	s_delay_alu instid0(SALU_CYCLE_1)
	s_xor_b32 s0, exec_lo, s1
	s_cbranch_execz .LBB253_271
; %bb.270:                              ;   in Loop: Header=BB253_233 Depth=1
	v_ldexp_f64 v[34:35], |v[8:9]|, 0xffffff80
	v_cmp_le_f64_e64 vcc_lo, 0x7b000000, |v[8:9]|
	v_trig_preop_f64 v[36:37], |v[8:9]|, 0
	v_and_b32_e32 v21, 0x7fffffff, v9
	v_trig_preop_f64 v[38:39], |v[8:9]|, 1
	v_trig_preop_f64 v[48:49], |v[8:9]|, 2
	s_delay_alu instid0(VALU_DEP_3) | instskip(NEXT) | instid1(VALU_DEP_1)
	v_dual_cndmask_b32 v35, v21, v35 :: v_dual_cndmask_b32 v34, v8, v34
	v_mul_f64_e32 v[40:41], v[36:37], v[34:35]
	s_delay_alu instid0(VALU_DEP_4) | instskip(NEXT) | instid1(VALU_DEP_4)
	v_mul_f64_e32 v[42:43], v[38:39], v[34:35]
	v_mul_f64_e32 v[54:55], v[48:49], v[34:35]
	s_delay_alu instid0(VALU_DEP_3) | instskip(NEXT) | instid1(VALU_DEP_3)
	v_fma_f64 v[36:37], v[36:37], v[34:35], -v[40:41]
	v_fma_f64 v[38:39], v[38:39], v[34:35], -v[42:43]
	s_delay_alu instid0(VALU_DEP_3) | instskip(NEXT) | instid1(VALU_DEP_3)
	v_fma_f64 v[34:35], v[48:49], v[34:35], -v[54:55]
	v_add_f64_e32 v[44:45], v[42:43], v[36:37]
	s_delay_alu instid0(VALU_DEP_1) | instskip(SKIP_1) | instid1(VALU_DEP_2)
	v_add_f64_e64 v[46:47], v[44:45], -v[42:43]
	v_add_f64_e32 v[52:53], v[40:41], v[44:45]
	v_add_f64_e64 v[50:51], v[44:45], -v[46:47]
	v_add_f64_e64 v[36:37], v[36:37], -v[46:47]
	s_delay_alu instid0(VALU_DEP_3) | instskip(NEXT) | instid1(VALU_DEP_3)
	v_ldexp_f64 v[46:47], v[52:53], -2
	v_add_f64_e64 v[42:43], v[42:43], -v[50:51]
	v_add_f64_e32 v[50:51], v[54:55], v[38:39]
	s_delay_alu instid0(VALU_DEP_3) | instskip(NEXT) | instid1(VALU_DEP_3)
	v_cmp_neq_f64_e64 vcc_lo, 0x7ff00000, |v[46:47]|
	v_add_f64_e32 v[36:37], v[36:37], v[42:43]
	v_fract_f64_e32 v[42:43], v[46:47]
	s_delay_alu instid0(VALU_DEP_1) | instskip(NEXT) | instid1(VALU_DEP_1)
	v_ldexp_f64 v[42:43], v[42:43], 2
	v_dual_add_f64 v[40:41], v[52:53], -v[40:41] :: v_dual_cndmask_b32 v42, 0, v42, vcc_lo
	s_delay_alu instid0(VALU_DEP_1) | instskip(SKIP_1) | instid1(VALU_DEP_1)
	v_dual_add_f64 v[40:41], v[44:45], -v[40:41] :: v_dual_cndmask_b32 v43, 0, v43, vcc_lo
	v_add_f64_e32 v[44:45], v[50:51], v[36:37]
	v_add_f64_e32 v[46:47], v[40:41], v[44:45]
	v_add_f64_e64 v[56:57], v[44:45], -v[50:51]
	s_delay_alu instid0(VALU_DEP_2) | instskip(NEXT) | instid1(VALU_DEP_2)
	v_add_f64_e32 v[52:53], v[46:47], v[42:43]
	v_add_f64_e64 v[62:63], v[44:45], -v[56:57]
	v_add_f64_e64 v[36:37], v[36:37], -v[56:57]
	;; [unrolled: 1-line block ×3, first 2 shown]
	s_delay_alu instid0(VALU_DEP_4) | instskip(SKIP_2) | instid1(VALU_DEP_2)
	v_cmp_gt_f64_e32 vcc_lo, 0, v[52:53]
	v_add_f64_e64 v[52:53], v[50:51], -v[54:55]
	v_cndmask_b32_e64 v21, 0, 0x40100000, vcc_lo
	v_add_f64_e64 v[60:61], v[50:51], -v[52:53]
	v_add_f64_e64 v[38:39], v[38:39], -v[52:53]
	;; [unrolled: 1-line block ×3, first 2 shown]
	s_delay_alu instid0(VALU_DEP_4) | instskip(NEXT) | instid1(VALU_DEP_4)
	v_add_f64_e32 v[42:43], v[42:43], v[20:21]
	v_add_f64_e64 v[52:53], v[54:55], -v[60:61]
	s_delay_alu instid0(VALU_DEP_3) | instskip(NEXT) | instid1(VALU_DEP_3)
	v_add_f64_e32 v[36:37], v[36:37], v[50:51]
	v_add_f64_e32 v[58:59], v[46:47], v[42:43]
	s_delay_alu instid0(VALU_DEP_3) | instskip(NEXT) | instid1(VALU_DEP_2)
	v_add_f64_e32 v[38:39], v[38:39], v[52:53]
	v_cvt_i32_f64_e32 v21, v[58:59]
	s_delay_alu instid0(VALU_DEP_2) | instskip(SKIP_1) | instid1(VALU_DEP_3)
	v_add_f64_e32 v[36:37], v[38:39], v[36:37]
	v_add_f64_e64 v[38:39], v[44:45], -v[40:41]
	v_cvt_f64_i32_e32 v[56:57], v21
	s_delay_alu instid0(VALU_DEP_3) | instskip(NEXT) | instid1(VALU_DEP_2)
	v_add_f64_e32 v[34:35], v[34:35], v[36:37]
	v_add_f64_e64 v[42:43], v[42:43], -v[56:57]
	s_delay_alu instid0(VALU_DEP_2) | instskip(NEXT) | instid1(VALU_DEP_2)
	v_add_f64_e32 v[34:35], v[38:39], v[34:35]
	v_add_f64_e32 v[48:49], v[46:47], v[42:43]
	s_delay_alu instid0(VALU_DEP_1) | instskip(SKIP_1) | instid1(VALU_DEP_2)
	v_add_f64_e64 v[36:37], v[48:49], -v[42:43]
	v_cmp_le_f64_e32 vcc_lo, 0.5, v[48:49]
	v_add_f64_e64 v[36:37], v[46:47], -v[36:37]
	v_add_co_ci_u32_e64 v38, null, 0, v21, vcc_lo
	v_cndmask_b32_e64 v21, 0, 0x3ff00000, vcc_lo
	s_delay_alu instid0(VALU_DEP_3) | instskip(NEXT) | instid1(VALU_DEP_2)
	v_add_f64_e32 v[34:35], v[34:35], v[36:37]
	v_add_f64_e64 v[36:37], v[48:49], -v[20:21]
	s_delay_alu instid0(VALU_DEP_1) | instskip(NEXT) | instid1(VALU_DEP_1)
	v_add_f64_e32 v[40:41], v[36:37], v[34:35]
	v_mul_f64_e32 v[42:43], 0x3ff921fb54442d18, v[40:41]
	v_add_f64_e64 v[36:37], v[40:41], -v[36:37]
	s_delay_alu instid0(VALU_DEP_2) | instskip(NEXT) | instid1(VALU_DEP_2)
	v_fma_f64 v[44:45], v[40:41], s[6:7], -v[42:43]
	v_add_f64_e64 v[34:35], v[34:35], -v[36:37]
	s_delay_alu instid0(VALU_DEP_2) | instskip(NEXT) | instid1(VALU_DEP_1)
	v_fmac_f64_e32 v[44:45], 0x3c91a62633145c07, v[40:41]
	v_fmac_f64_e32 v[44:45], 0x3ff921fb54442d18, v[34:35]
	s_delay_alu instid0(VALU_DEP_1) | instskip(NEXT) | instid1(VALU_DEP_1)
	v_add_f64_e32 v[34:35], v[42:43], v[44:45]
	v_add_f64_e64 v[36:37], v[34:35], -v[42:43]
	s_delay_alu instid0(VALU_DEP_1)
	v_add_f64_e64 v[36:37], v[44:45], -v[36:37]
	s_and_not1_saveexec_b32 s0, s0
	s_cbranch_execnz .LBB253_272
	s_branch .LBB253_273
.LBB253_271:                            ;   in Loop: Header=BB253_233 Depth=1
	s_and_not1_saveexec_b32 s0, s0
	s_cbranch_execz .LBB253_273
.LBB253_272:                            ;   in Loop: Header=BB253_233 Depth=1
	v_mul_f64_e64 v[34:35], |v[8:9]|, s[8:9]
	s_delay_alu instid0(VALU_DEP_1) | instskip(NEXT) | instid1(VALU_DEP_1)
	v_rndne_f64_e32 v[38:39], v[34:35]
	v_fma_f64 v[34:35], v[38:39], s[10:11], |v[8:9]|
	v_mul_f64_e32 v[36:37], 0xbc91a62633145c00, v[38:39]
	s_delay_alu instid0(VALU_DEP_2) | instskip(NEXT) | instid1(VALU_DEP_2)
	v_fmamk_f64 v[44:45], v[38:39], 0xbc91a62633145c00, v[34:35]
	v_add_f64_e32 v[40:41], v[34:35], v[36:37]
	s_delay_alu instid0(VALU_DEP_1) | instskip(NEXT) | instid1(VALU_DEP_3)
	v_add_f64_e64 v[42:43], v[34:35], -v[40:41]
	v_add_f64_e64 v[34:35], v[40:41], -v[44:45]
	s_delay_alu instid0(VALU_DEP_2) | instskip(SKIP_1) | instid1(VALU_DEP_2)
	v_add_f64_e32 v[40:41], v[42:43], v[36:37]
	v_fmamk_f64 v[36:37], v[38:39], 0x3c91a62633145c00, v[36:37]
	v_add_f64_e32 v[34:35], v[34:35], v[40:41]
	s_delay_alu instid0(VALU_DEP_1) | instskip(NEXT) | instid1(VALU_DEP_1)
	v_add_f64_e64 v[36:37], v[34:35], -v[36:37]
	v_fmac_f64_e32 v[36:37], 0xb97b839a252049c0, v[38:39]
	v_cvt_i32_f64_e32 v38, v[38:39]
	s_delay_alu instid0(VALU_DEP_2) | instskip(NEXT) | instid1(VALU_DEP_1)
	v_add_f64_e32 v[34:35], v[44:45], v[36:37]
	v_add_f64_e64 v[40:41], v[34:35], -v[44:45]
	s_delay_alu instid0(VALU_DEP_1)
	v_add_f64_e64 v[36:37], v[36:37], -v[40:41]
.LBB253_273:                            ;   in Loop: Header=BB253_233 Depth=1
	s_or_b32 exec_lo, exec_lo, s0
	v_cmp_class_f64_e64 s0, v[8:9], 0x1f8
	v_mul_f64_e32 v[40:41], v[6:7], v[6:7]
	v_mul_f64_e32 v[42:43], v[34:35], v[34:35]
	s_delay_alu instid0(VALU_DEP_4) | instskip(SKIP_2) | instid1(VALU_DEP_3)
	v_dual_mul_f64 v[52:53], 0.5, v[32:33] :: v_dual_bitop2_b32 v8, 1, v38 bitop3:0x40
	v_dual_mul_f64 v[60:61], 0.5, v[36:37] :: v_dual_bitop2_b32 v21, 1, v30 bitop3:0x40
	v_lshlrev_b32_e32 v9, 30, v38
	v_cmp_eq_u32_e64 s1, 0, v8
	v_lshlrev_b32_e32 v8, 30, v30
	s_delay_alu instid0(VALU_DEP_4) | instskip(NEXT) | instid1(VALU_DEP_4)
	v_cmp_eq_u32_e32 vcc_lo, 0, v21
	v_dual_mul_f64 v[44:45], 0.5, v[40:41] :: v_dual_bitop2_b32 v9, v9, v31 bitop3:0x14
	v_mul_f64_e64 v[54:55], v[6:7], -v[40:41]
	v_fmamk_f64 v[58:59], v[40:41], 0x3de5e0b2f9a43bb8, v[26:27]
	v_mul_f64_e64 v[62:63], v[34:35], -v[42:43]
	v_fmamk_f64 v[66:67], v[42:43], 0x3de5e0b2f9a43bb8, v[26:27]
	s_delay_alu instid0(VALU_DEP_3) | instskip(NEXT) | instid1(VALU_DEP_1)
	v_fmaak_f64 v[58:59], v[40:41], v[58:59], 0x3ec71de3796cde01
	v_fmaak_f64 v[58:59], v[40:41], v[58:59], 0xbf2a01a019e83e5c
	s_delay_alu instid0(VALU_DEP_1) | instskip(SKIP_1) | instid1(VALU_DEP_2)
	v_fmaak_f64 v[58:59], v[40:41], v[58:59], 0x3f81111111110bb3
	v_add_f64_e64 v[48:49], -v[44:45], 1.0
	v_fmac_f64_e32 v[52:53], v[54:55], v[58:59]
	v_mul_f64_e32 v[58:59], v[40:41], v[40:41]
	s_delay_alu instid0(VALU_DEP_3) | instskip(NEXT) | instid1(VALU_DEP_3)
	v_add_f64_e64 v[56:57], -v[48:49], 1.0
	v_fma_f64 v[52:53], v[40:41], v[52:53], -v[32:33]
	s_delay_alu instid0(VALU_DEP_2) | instskip(SKIP_1) | instid1(VALU_DEP_3)
	v_add_f64_e64 v[44:45], v[56:57], -v[44:45]
	v_fmaak_f64 v[56:57], v[42:43], v[66:67], 0x3ec71de3796cde01
	v_fmac_f64_e32 v[52:53], 0xbfc5555555555555, v[54:55]
	s_delay_alu instid0(VALU_DEP_2) | instskip(NEXT) | instid1(VALU_DEP_1)
	v_fmaak_f64 v[56:57], v[42:43], v[56:57], 0xbf2a01a019e83e5c
	v_fmaak_f64 v[56:57], v[42:43], v[56:57], 0x3f81111111110bb3
	s_delay_alu instid0(VALU_DEP_1) | instskip(SKIP_2) | instid1(VALU_DEP_2)
	v_fmac_f64_e32 v[60:61], v[62:63], v[56:57]
	v_fmamk_f64 v[56:57], v[40:41], 0xbda907db46cc5e42, v[24:25]
	v_fma_f64 v[32:33], v[6:7], -v[32:33], v[44:45]
	v_fmaak_f64 v[44:45], v[40:41], v[56:57], 0xbe927e4fa17f65f6
	v_add_f64_e64 v[6:7], v[6:7], -v[52:53]
	v_fmamk_f64 v[56:57], v[42:43], 0xbda907db46cc5e42, v[24:25]
	s_delay_alu instid0(VALU_DEP_3) | instskip(NEXT) | instid1(VALU_DEP_1)
	v_fmaak_f64 v[44:45], v[40:41], v[44:45], 0x3efa01a019f4ec90
	v_fmaak_f64 v[44:45], v[40:41], v[44:45], 0xbf56c16c16c16967
	s_delay_alu instid0(VALU_DEP_1) | instskip(SKIP_2) | instid1(VALU_DEP_3)
	v_fmaak_f64 v[40:41], v[40:41], v[44:45], 0x3fa5555555555555
	v_fma_f64 v[60:61], v[42:43], v[60:61], -v[36:37]
	v_fmaak_f64 v[44:45], v[42:43], v[56:57], 0xbe927e4fa17f65f6
	v_fmac_f64_e32 v[32:33], v[58:59], v[40:41]
	s_delay_alu instid0(VALU_DEP_2) | instskip(SKIP_1) | instid1(VALU_DEP_2)
	v_fmaak_f64 v[40:41], v[42:43], v[44:45], 0x3efa01a019f4ec90
	v_xor_b32_e32 v7, 0x80000000, v7
	v_fmaak_f64 v[40:41], v[42:43], v[40:41], 0xbf56c16c16c16967
	s_delay_alu instid0(VALU_DEP_1) | instskip(SKIP_2) | instid1(VALU_DEP_1)
	v_fmaak_f64 v[40:41], v[42:43], v[40:41], 0x3fa5555555555555
	v_fmac_f64_e32 v[60:61], 0xbfc5555555555555, v[62:63]
	v_add_f64_e32 v[32:33], v[48:49], v[32:33]
	v_dual_mul_f64 v[46:47], 0.5, v[42:43] :: v_dual_cndmask_b32 v6, v6, v32, vcc_lo
	s_delay_alu instid0(VALU_DEP_1) | instskip(NEXT) | instid1(VALU_DEP_2)
	v_add_f64_e64 v[50:51], -v[46:47], 1.0
	v_dual_cndmask_b32 v7, v7, v33, vcc_lo :: v_dual_cndmask_b32 v32, 0, v6, s0
	s_delay_alu instid0(VALU_DEP_1) | instskip(NEXT) | instid1(VALU_DEP_1)
	v_bitop3_b32 v7, v7, v8, 0x80000000 bitop3:0x78
	v_cndmask_b32_e64 v33, 0x7ff80000, v7, s0
	s_delay_alu instid0(VALU_DEP_4) | instskip(NEXT) | instid1(VALU_DEP_1)
	v_add_f64_e64 v[64:65], -v[50:51], 1.0
	v_add_f64_e64 v[46:47], v[64:65], -v[46:47]
	v_mul_f64_e32 v[64:65], v[42:43], v[42:43]
	s_delay_alu instid0(VALU_DEP_2) | instskip(SKIP_1) | instid1(VALU_DEP_2)
	v_fma_f64 v[36:37], v[34:35], -v[36:37], v[46:47]
	v_add_f64_e64 v[34:35], v[34:35], -v[60:61]
	v_fmac_f64_e32 v[36:37], v[64:65], v[40:41]
	s_delay_alu instid0(VALU_DEP_1) | instskip(NEXT) | instid1(VALU_DEP_1)
	v_add_f64_e32 v[36:37], v[50:51], v[36:37]
	v_dual_cndmask_b32 v30, v37, v35, s1 :: v_dual_cndmask_b32 v21, v36, v34, s1
	s_delay_alu instid0(VALU_DEP_1) | instskip(NEXT) | instid1(VALU_DEP_2)
	v_bitop3_b32 v8, v30, v9, 0x80000000 bitop3:0x78
	v_cndmask_b32_e64 v30, 0, v21, s0
	s_delay_alu instid0(VALU_DEP_2)
	v_cndmask_b32_e64 v31, 0x7ff80000, v8, s0
.LBB253_274:                            ;   in Loop: Header=BB253_233 Depth=1
	s_or_b32 exec_lo, exec_lo, s2
                                        ; implicit-def: $vgpr6_vgpr7
.LBB253_275:                            ;   in Loop: Header=BB253_233 Depth=1
	s_and_not1_saveexec_b32 s1, s24
	s_cbranch_execz .LBB253_277
; %bb.276:                              ;   in Loop: Header=BB253_233 Depth=1
	v_mul_f64_e32 v[8:9], 0xbff71547652b82fe, v[6:7]
	v_cmp_ngt_f64_e32 vcc_lo, 0xc0900000, v[6:7]
	v_cmp_nlt_f64_e64 s0, 0x4090cc00, v[6:7]
	s_delay_alu instid0(VALU_DEP_3) | instskip(NEXT) | instid1(VALU_DEP_1)
	v_rndne_f64_e32 v[8:9], v[8:9]
	v_fma_f64 v[32:33], v[8:9], s[16:17], -v[6:7]
	v_cvt_i32_f64_e32 v21, v[8:9]
	s_delay_alu instid0(VALU_DEP_2) | instskip(NEXT) | instid1(VALU_DEP_1)
	v_fmac_f64_e32 v[32:33], 0xbc7abc9e3b39803f, v[8:9]
	v_fmamk_f64 v[34:35], v[32:33], 0x3e5ade156a5dcb37, v[22:23]
	s_delay_alu instid0(VALU_DEP_1) | instskip(NEXT) | instid1(VALU_DEP_1)
	v_fmaak_f64 v[34:35], v[32:33], v[34:35], 0x3ec71dee623fde64
	v_fmaak_f64 v[34:35], v[32:33], v[34:35], 0x3efa01997c89e6b0
	s_delay_alu instid0(VALU_DEP_1) | instskip(NEXT) | instid1(VALU_DEP_1)
	v_fmaak_f64 v[34:35], v[32:33], v[34:35], 0x3f2a01a014761f6e
	v_fmaak_f64 v[34:35], v[32:33], v[34:35], 0x3f56c16c1852b7b0
	;; [unrolled: 3-line block ×4, first 2 shown]
	s_delay_alu instid0(VALU_DEP_1) | instskip(NEXT) | instid1(VALU_DEP_1)
	v_fma_f64 v[34:35], v[32:33], v[34:35], 1.0
	v_fma_f64 v[8:9], v[32:33], v[34:35], 1.0
	s_delay_alu instid0(VALU_DEP_1) | instskip(NEXT) | instid1(VALU_DEP_1)
	v_ldexp_f64 v[8:9], v[8:9], v21
	v_cndmask_b32_e32 v9, 0x7ff00000, v9, vcc_lo
	s_and_b32 vcc_lo, s0, vcc_lo
	s_delay_alu instid0(VALU_DEP_1) | instid1(SALU_CYCLE_1)
	v_dual_cndmask_b32 v32, 0, v8, vcc_lo :: v_dual_cndmask_b32 v33, 0, v9, s0
.LBB253_277:                            ;   in Loop: Header=BB253_233 Depth=1
	s_or_b32 exec_lo, exec_lo, s1
	s_delay_alu instid0(VALU_DEP_1) | instskip(SKIP_1) | instid1(VALU_DEP_1)
	v_add_f64_e32 v[30:31], s[14:15], v[30:31]
	s_mov_b32 s0, exec_lo
	v_xor_b32_e32 v7, 0x80000000, v31
	s_delay_alu instid0(VALU_DEP_3) | instskip(NEXT) | instid1(VALU_DEP_1)
	v_add_f64_e32 v[32:33], s[12:13], v[32:33]
	v_cmp_gt_f64_e32 vcc_lo, 0, v[32:33]
	v_xor_b32_e32 v6, 0x80000000, v33
	s_delay_alu instid0(VALU_DEP_1) | instskip(SKIP_3) | instid1(VALU_DEP_1)
	v_cndmask_b32_e32 v35, v33, v6, vcc_lo
	v_cmp_gt_f64_e32 vcc_lo, 0, v[30:31]
	v_dual_cndmask_b32 v37, v31, v7 :: v_dual_mov_b32 v34, v32
	v_mov_b32_e32 v36, v30
                                        ; implicit-def: $vgpr8_vgpr9
	v_cmpx_ge_f64_e32 v[34:35], v[36:37]
	s_xor_b32 s1, exec_lo, s0
	s_cbranch_execz .LBB253_283
; %bb.278:                              ;   in Loop: Header=BB253_233 Depth=1
	v_cmp_neq_f64_e32 vcc_lo, 0, v[32:33]
	v_cmp_neq_f64_e64 s0, 0, v[30:31]
                                        ; implicit-def: $vgpr8_vgpr9
	s_or_b32 s0, vcc_lo, s0
	s_delay_alu instid0(SALU_CYCLE_1) | instskip(NEXT) | instid1(SALU_CYCLE_1)
	s_and_saveexec_b32 s2, s0
	s_xor_b32 s0, exec_lo, s2
	s_cbranch_execz .LBB253_280
; %bb.279:                              ;   in Loop: Header=BB253_233 Depth=1
	v_div_scale_f64 v[6:7], null, v[32:33], v[32:33], v[30:31]
	v_div_scale_f64 v[36:37], vcc_lo, v[30:31], v[32:33], v[30:31]
	s_delay_alu instid0(VALU_DEP_2) | instskip(SKIP_1) | instid1(TRANS32_DEP_1)
	v_rcp_f64_e32 v[8:9], v[6:7]
	v_nop
	v_fma_f64 v[34:35], -v[6:7], v[8:9], 1.0
	s_delay_alu instid0(VALU_DEP_1) | instskip(NEXT) | instid1(VALU_DEP_1)
	v_fmac_f64_e32 v[8:9], v[8:9], v[34:35]
	v_fma_f64 v[34:35], -v[6:7], v[8:9], 1.0
	s_delay_alu instid0(VALU_DEP_1) | instskip(NEXT) | instid1(VALU_DEP_1)
	v_fmac_f64_e32 v[8:9], v[8:9], v[34:35]
	v_mul_f64_e32 v[34:35], v[36:37], v[8:9]
	s_delay_alu instid0(VALU_DEP_1) | instskip(NEXT) | instid1(VALU_DEP_1)
	v_fma_f64 v[6:7], -v[6:7], v[34:35], v[36:37]
	v_div_fmas_f64 v[6:7], v[6:7], v[8:9], v[34:35]
	s_delay_alu instid0(VALU_DEP_1) | instskip(NEXT) | instid1(VALU_DEP_1)
	v_div_fixup_f64 v[6:7], v[6:7], v[32:33], v[30:31]
	v_fmac_f64_e32 v[32:33], v[30:31], v[6:7]
	s_delay_alu instid0(VALU_DEP_1) | instskip(SKIP_1) | instid1(VALU_DEP_2)
	v_div_scale_f64 v[8:9], null, v[32:33], v[32:33], 1.0
	v_div_scale_f64 v[36:37], vcc_lo, 1.0, v[32:33], 1.0
	v_rcp_f64_e32 v[30:31], v[8:9]
	v_nop
	s_delay_alu instid0(TRANS32_DEP_1) | instskip(NEXT) | instid1(VALU_DEP_1)
	v_fma_f64 v[34:35], -v[8:9], v[30:31], 1.0
	v_fmac_f64_e32 v[30:31], v[30:31], v[34:35]
	s_delay_alu instid0(VALU_DEP_1) | instskip(NEXT) | instid1(VALU_DEP_1)
	v_fma_f64 v[34:35], -v[8:9], v[30:31], 1.0
	v_fmac_f64_e32 v[30:31], v[30:31], v[34:35]
	s_delay_alu instid0(VALU_DEP_1) | instskip(NEXT) | instid1(VALU_DEP_1)
	v_mul_f64_e32 v[34:35], v[36:37], v[30:31]
	v_fma_f64 v[8:9], -v[8:9], v[34:35], v[36:37]
                                        ; implicit-def: $vgpr36_vgpr37
	s_delay_alu instid0(VALU_DEP_1) | instskip(SKIP_1) | instid1(VALU_DEP_2)
	v_div_fmas_f64 v[8:9], v[8:9], v[30:31], v[34:35]
	v_fma_f64 v[30:31], s[14:15], v[6:7], s[12:13]
                                        ; implicit-def: $vgpr34_vgpr35
	v_div_fixup_f64 v[8:9], v[8:9], v[32:33], 1.0
	v_fma_f64 v[32:33], -s[12:13], v[6:7], s[14:15]
	s_delay_alu instid0(VALU_DEP_2) | instskip(NEXT) | instid1(VALU_DEP_2)
	v_mul_f64_e32 v[6:7], v[30:31], v[8:9]
	v_mul_f64_e32 v[8:9], v[32:33], v[8:9]
.LBB253_280:                            ;   in Loop: Header=BB253_233 Depth=1
	s_and_not1_saveexec_b32 s2, s0
	s_cbranch_execz .LBB253_282
; %bb.281:                              ;   in Loop: Header=BB253_233 Depth=1
	v_div_scale_f64 v[6:7], null, v[34:35], v[34:35], s[12:13]
	v_div_scale_f64 v[8:9], null, v[36:37], v[36:37], s[14:15]
	v_div_scale_f64 v[42:43], vcc_lo, s[12:13], v[34:35], s[12:13]
	s_delay_alu instid0(VALU_DEP_3) | instskip(NEXT) | instid1(VALU_DEP_2)
	v_rcp_f64_e32 v[30:31], v[6:7]
	v_rcp_f64_e32 v[32:33], v[8:9]
	s_delay_alu instid0(TRANS32_DEP_2) | instskip(NEXT) | instid1(TRANS32_DEP_1)
	v_fma_f64 v[38:39], -v[6:7], v[30:31], 1.0
	v_fma_f64 v[40:41], -v[8:9], v[32:33], 1.0
	s_delay_alu instid0(VALU_DEP_2) | instskip(NEXT) | instid1(VALU_DEP_2)
	v_fmac_f64_e32 v[30:31], v[30:31], v[38:39]
	v_fmac_f64_e32 v[32:33], v[32:33], v[40:41]
	s_delay_alu instid0(VALU_DEP_2) | instskip(NEXT) | instid1(VALU_DEP_2)
	v_fma_f64 v[38:39], -v[6:7], v[30:31], 1.0
	v_fma_f64 v[40:41], -v[8:9], v[32:33], 1.0
	s_delay_alu instid0(VALU_DEP_2) | instskip(SKIP_1) | instid1(VALU_DEP_3)
	v_fmac_f64_e32 v[30:31], v[30:31], v[38:39]
	v_div_scale_f64 v[38:39], s0, s[14:15], v[36:37], s[14:15]
	v_fmac_f64_e32 v[32:33], v[32:33], v[40:41]
	s_delay_alu instid0(VALU_DEP_3) | instskip(NEXT) | instid1(VALU_DEP_2)
	v_mul_f64_e32 v[40:41], v[42:43], v[30:31]
	v_mul_f64_e32 v[44:45], v[38:39], v[32:33]
	s_delay_alu instid0(VALU_DEP_2) | instskip(NEXT) | instid1(VALU_DEP_2)
	v_fma_f64 v[6:7], -v[6:7], v[40:41], v[42:43]
	v_fma_f64 v[8:9], -v[8:9], v[44:45], v[38:39]
	s_delay_alu instid0(VALU_DEP_2) | instskip(SKIP_1) | instid1(VALU_DEP_2)
	v_div_fmas_f64 v[6:7], v[6:7], v[30:31], v[40:41]
	s_mov_b32 vcc_lo, s0
	v_div_fmas_f64 v[8:9], v[8:9], v[32:33], v[44:45]
	s_delay_alu instid0(VALU_DEP_2) | instskip(NEXT) | instid1(VALU_DEP_2)
	v_div_fixup_f64 v[6:7], v[6:7], v[34:35], s[12:13]
	v_div_fixup_f64 v[8:9], v[8:9], v[36:37], s[14:15]
.LBB253_282:                            ;   in Loop: Header=BB253_233 Depth=1
	s_or_b32 exec_lo, exec_lo, s2
                                        ; implicit-def: $vgpr30_vgpr31
                                        ; implicit-def: $vgpr32_vgpr33
.LBB253_283:                            ;   in Loop: Header=BB253_233 Depth=1
	s_and_not1_saveexec_b32 s0, s1
	s_cbranch_execz .LBB253_285
; %bb.284:                              ;   in Loop: Header=BB253_233 Depth=1
	v_div_scale_f64 v[6:7], null, v[30:31], v[30:31], v[32:33]
	v_div_scale_f64 v[36:37], vcc_lo, v[32:33], v[30:31], v[32:33]
	s_delay_alu instid0(VALU_DEP_2) | instskip(SKIP_1) | instid1(TRANS32_DEP_1)
	v_rcp_f64_e32 v[8:9], v[6:7]
	v_nop
	v_fma_f64 v[34:35], -v[6:7], v[8:9], 1.0
	s_delay_alu instid0(VALU_DEP_1) | instskip(NEXT) | instid1(VALU_DEP_1)
	v_fmac_f64_e32 v[8:9], v[8:9], v[34:35]
	v_fma_f64 v[34:35], -v[6:7], v[8:9], 1.0
	s_delay_alu instid0(VALU_DEP_1) | instskip(NEXT) | instid1(VALU_DEP_1)
	v_fmac_f64_e32 v[8:9], v[8:9], v[34:35]
	v_mul_f64_e32 v[34:35], v[36:37], v[8:9]
	s_delay_alu instid0(VALU_DEP_1) | instskip(NEXT) | instid1(VALU_DEP_1)
	v_fma_f64 v[6:7], -v[6:7], v[34:35], v[36:37]
	v_div_fmas_f64 v[6:7], v[6:7], v[8:9], v[34:35]
	s_delay_alu instid0(VALU_DEP_1) | instskip(NEXT) | instid1(VALU_DEP_1)
	v_div_fixup_f64 v[6:7], v[6:7], v[30:31], v[32:33]
	v_fmac_f64_e32 v[30:31], v[32:33], v[6:7]
	s_delay_alu instid0(VALU_DEP_1) | instskip(SKIP_1) | instid1(VALU_DEP_2)
	v_div_scale_f64 v[8:9], null, v[30:31], v[30:31], 1.0
	v_div_scale_f64 v[36:37], vcc_lo, 1.0, v[30:31], 1.0
	v_rcp_f64_e32 v[32:33], v[8:9]
	v_nop
	s_delay_alu instid0(TRANS32_DEP_1) | instskip(NEXT) | instid1(VALU_DEP_1)
	v_fma_f64 v[34:35], -v[8:9], v[32:33], 1.0
	v_fmac_f64_e32 v[32:33], v[32:33], v[34:35]
	s_delay_alu instid0(VALU_DEP_1) | instskip(NEXT) | instid1(VALU_DEP_1)
	v_fma_f64 v[34:35], -v[8:9], v[32:33], 1.0
	v_fmac_f64_e32 v[32:33], v[32:33], v[34:35]
	s_delay_alu instid0(VALU_DEP_1) | instskip(NEXT) | instid1(VALU_DEP_1)
	v_mul_f64_e32 v[34:35], v[36:37], v[32:33]
	v_fma_f64 v[8:9], -v[8:9], v[34:35], v[36:37]
	s_delay_alu instid0(VALU_DEP_1) | instskip(SKIP_1) | instid1(VALU_DEP_2)
	v_div_fmas_f64 v[8:9], v[8:9], v[32:33], v[34:35]
	v_fma_f64 v[32:33], s[12:13], v[6:7], s[14:15]
	v_div_fixup_f64 v[8:9], v[8:9], v[30:31], 1.0
	v_fma_f64 v[30:31], s[14:15], v[6:7], -s[12:13]
	s_delay_alu instid0(VALU_DEP_2) | instskip(NEXT) | instid1(VALU_DEP_2)
	v_mul_f64_e32 v[6:7], v[32:33], v[8:9]
	v_mul_f64_e32 v[8:9], v[30:31], v[8:9]
.LBB253_285:                            ;   in Loop: Header=BB253_233 Depth=1
	s_or_b32 exec_lo, exec_lo, s0
	s_wait_loadcnt 0x2
	v_xor_b32_e32 v31, 0x80000000, v17
	v_mov_b32_e32 v30, v16
                                        ; implicit-def: $vgpr32_vgpr33
	s_mov_b32 s0, exec_lo
	s_delay_alu instid0(VALU_DEP_2) | instskip(NEXT) | instid1(VALU_DEP_1)
	v_and_b32_e32 v36, 0x7fffffff, v31
	v_or_b32_e32 v21, v36, v16
	s_delay_alu instid0(VALU_DEP_1)
	v_cmpx_ne_u32_e32 0, v21
	s_xor_b32 s24, exec_lo, s0
	s_cbranch_execz .LBB253_327
; %bb.286:                              ;   in Loop: Header=BB253_233 Depth=1
	v_xor_b32_e32 v35, 0x80000000, v15
                                        ; implicit-def: $vgpr32_vgpr33
	s_mov_b32 s0, exec_lo
	v_mov_b32_e32 v34, v14
	s_delay_alu instid0(VALU_DEP_2) | instskip(NEXT) | instid1(VALU_DEP_1)
	v_and_b32_e32 v21, 0x7fffffff, v35
	v_or_b32_e32 v30, v21, v14
	s_delay_alu instid0(VALU_DEP_1)
	v_cmpx_ne_u32_e32 0, v30
	s_xor_b32 s25, exec_lo, s0
	s_cbranch_execz .LBB253_316
; %bb.287:                              ;   in Loop: Header=BB253_233 Depth=1
                                        ; implicit-def: $vgpr32_vgpr33
	s_mov_b32 s0, exec_lo
	v_cmpx_gt_u32_e32 0x7ff00000, v36
	s_xor_b32 s26, exec_lo, s0
	s_cbranch_execz .LBB253_309
; %bb.288:                              ;   in Loop: Header=BB253_233 Depth=1
	v_add_nc_u32_e32 v21, 0xbf79d1be, v35
                                        ; implicit-def: $vgpr32_vgpr33
	s_mov_b32 s0, exec_lo
	s_delay_alu instid0(VALU_DEP_1)
	v_cmpx_lt_u32_e32 0x108aa2, v21
	s_xor_b32 s27, exec_lo, s0
	s_cbranch_execz .LBB253_298
; %bb.289:                              ;   in Loop: Header=BB253_233 Depth=1
	v_cmp_ngt_f64_e64 s0, 0x41d00000, |v[16:17]|
                                        ; implicit-def: $vgpr30
                                        ; implicit-def: $vgpr32_vgpr33
                                        ; implicit-def: $vgpr34_vgpr35
	s_and_saveexec_b32 s1, s0
	s_delay_alu instid0(SALU_CYCLE_1)
	s_xor_b32 s1, exec_lo, s1
	s_cbranch_execz .LBB253_291
; %bb.290:                              ;   in Loop: Header=BB253_233 Depth=1
	v_ldexp_f64 v[32:33], |v[16:17]|, 0xffffff80
	v_cmp_le_f64_e64 vcc_lo, 0x7b000000, |v[16:17]|
	v_trig_preop_f64 v[34:35], |v[16:17]|, 0
	v_and_b32_e32 v21, 0x7fffffff, v17
	v_trig_preop_f64 v[36:37], |v[16:17]|, 1
	v_trig_preop_f64 v[46:47], |v[16:17]|, 2
	s_delay_alu instid0(VALU_DEP_3) | instskip(NEXT) | instid1(VALU_DEP_1)
	v_dual_cndmask_b32 v33, v21, v33 :: v_dual_cndmask_b32 v32, v16, v32
	v_mul_f64_e32 v[38:39], v[34:35], v[32:33]
	s_delay_alu instid0(VALU_DEP_4) | instskip(NEXT) | instid1(VALU_DEP_4)
	v_mul_f64_e32 v[40:41], v[36:37], v[32:33]
	v_mul_f64_e32 v[52:53], v[46:47], v[32:33]
	s_delay_alu instid0(VALU_DEP_3) | instskip(NEXT) | instid1(VALU_DEP_3)
	v_fma_f64 v[34:35], v[34:35], v[32:33], -v[38:39]
	v_fma_f64 v[36:37], v[36:37], v[32:33], -v[40:41]
	s_delay_alu instid0(VALU_DEP_3) | instskip(NEXT) | instid1(VALU_DEP_3)
	v_fma_f64 v[32:33], v[46:47], v[32:33], -v[52:53]
	v_add_f64_e32 v[42:43], v[40:41], v[34:35]
	s_delay_alu instid0(VALU_DEP_1) | instskip(SKIP_1) | instid1(VALU_DEP_2)
	v_add_f64_e64 v[44:45], v[42:43], -v[40:41]
	v_add_f64_e32 v[50:51], v[38:39], v[42:43]
	v_add_f64_e64 v[48:49], v[42:43], -v[44:45]
	v_add_f64_e64 v[34:35], v[34:35], -v[44:45]
	s_delay_alu instid0(VALU_DEP_3) | instskip(NEXT) | instid1(VALU_DEP_3)
	v_ldexp_f64 v[44:45], v[50:51], -2
	v_add_f64_e64 v[40:41], v[40:41], -v[48:49]
	v_add_f64_e32 v[48:49], v[52:53], v[36:37]
	s_delay_alu instid0(VALU_DEP_3) | instskip(NEXT) | instid1(VALU_DEP_3)
	v_cmp_neq_f64_e64 vcc_lo, 0x7ff00000, |v[44:45]|
	v_add_f64_e32 v[34:35], v[34:35], v[40:41]
	v_fract_f64_e32 v[40:41], v[44:45]
	s_delay_alu instid0(VALU_DEP_1) | instskip(NEXT) | instid1(VALU_DEP_1)
	v_ldexp_f64 v[40:41], v[40:41], 2
	v_dual_add_f64 v[38:39], v[50:51], -v[38:39] :: v_dual_cndmask_b32 v40, 0, v40, vcc_lo
	s_delay_alu instid0(VALU_DEP_1) | instskip(SKIP_1) | instid1(VALU_DEP_1)
	v_dual_add_f64 v[38:39], v[42:43], -v[38:39] :: v_dual_cndmask_b32 v41, 0, v41, vcc_lo
	v_add_f64_e32 v[42:43], v[48:49], v[34:35]
	v_add_f64_e32 v[44:45], v[38:39], v[42:43]
	v_add_f64_e64 v[54:55], v[42:43], -v[48:49]
	s_delay_alu instid0(VALU_DEP_2) | instskip(NEXT) | instid1(VALU_DEP_2)
	v_add_f64_e32 v[50:51], v[44:45], v[40:41]
	v_add_f64_e64 v[60:61], v[42:43], -v[54:55]
	v_add_f64_e64 v[34:35], v[34:35], -v[54:55]
	;; [unrolled: 1-line block ×3, first 2 shown]
	s_delay_alu instid0(VALU_DEP_4) | instskip(SKIP_1) | instid1(VALU_DEP_3)
	v_cmp_gt_f64_e32 vcc_lo, 0, v[50:51]
	v_add_f64_e64 v[50:51], v[48:49], -v[52:53]
	v_add_f64_e64 v[38:39], v[42:43], -v[38:39]
	v_cndmask_b32_e64 v21, 0, 0x40100000, vcc_lo
	s_delay_alu instid0(VALU_DEP_3) | instskip(SKIP_2) | instid1(VALU_DEP_4)
	v_add_f64_e64 v[58:59], v[48:49], -v[50:51]
	v_add_f64_e64 v[36:37], v[36:37], -v[50:51]
	;; [unrolled: 1-line block ×3, first 2 shown]
	v_add_f64_e32 v[40:41], v[40:41], v[20:21]
	s_delay_alu instid0(VALU_DEP_4) | instskip(NEXT) | instid1(VALU_DEP_3)
	v_add_f64_e64 v[50:51], v[52:53], -v[58:59]
	v_add_f64_e32 v[34:35], v[34:35], v[48:49]
	s_delay_alu instid0(VALU_DEP_3) | instskip(NEXT) | instid1(VALU_DEP_3)
	v_add_f64_e32 v[56:57], v[44:45], v[40:41]
	v_add_f64_e32 v[36:37], v[36:37], v[50:51]
	s_delay_alu instid0(VALU_DEP_2) | instskip(NEXT) | instid1(VALU_DEP_2)
	v_cvt_i32_f64_e32 v21, v[56:57]
	v_add_f64_e32 v[34:35], v[36:37], v[34:35]
	s_delay_alu instid0(VALU_DEP_2) | instskip(NEXT) | instid1(VALU_DEP_2)
	v_cvt_f64_i32_e32 v[54:55], v21
	v_add_f64_e32 v[32:33], v[32:33], v[34:35]
	s_delay_alu instid0(VALU_DEP_2) | instskip(NEXT) | instid1(VALU_DEP_2)
	v_add_f64_e64 v[40:41], v[40:41], -v[54:55]
	v_add_f64_e32 v[32:33], v[38:39], v[32:33]
	s_delay_alu instid0(VALU_DEP_2) | instskip(NEXT) | instid1(VALU_DEP_1)
	v_add_f64_e32 v[36:37], v[44:45], v[40:41]
	v_add_f64_e64 v[34:35], v[36:37], -v[40:41]
	v_cmp_le_f64_e32 vcc_lo, 0.5, v[36:37]
	s_delay_alu instid0(VALU_DEP_2) | instskip(SKIP_2) | instid1(VALU_DEP_3)
	v_add_f64_e64 v[34:35], v[44:45], -v[34:35]
	v_add_co_ci_u32_e64 v30, null, 0, v21, vcc_lo
	v_cndmask_b32_e64 v21, 0, 0x3ff00000, vcc_lo
	v_add_f64_e32 v[32:33], v[32:33], v[34:35]
	s_delay_alu instid0(VALU_DEP_2) | instskip(NEXT) | instid1(VALU_DEP_1)
	v_add_f64_e64 v[34:35], v[36:37], -v[20:21]
	v_add_f64_e32 v[36:37], v[34:35], v[32:33]
	s_delay_alu instid0(VALU_DEP_1) | instskip(SKIP_1) | instid1(VALU_DEP_2)
	v_mul_f64_e32 v[38:39], 0x3ff921fb54442d18, v[36:37]
	v_add_f64_e64 v[34:35], v[36:37], -v[34:35]
	v_fma_f64 v[40:41], v[36:37], s[6:7], -v[38:39]
	s_delay_alu instid0(VALU_DEP_2) | instskip(NEXT) | instid1(VALU_DEP_2)
	v_add_f64_e64 v[32:33], v[32:33], -v[34:35]
	v_fmac_f64_e32 v[40:41], 0x3c91a62633145c07, v[36:37]
	s_delay_alu instid0(VALU_DEP_1) | instskip(NEXT) | instid1(VALU_DEP_1)
	v_fmac_f64_e32 v[40:41], 0x3ff921fb54442d18, v[32:33]
	v_add_f64_e32 v[32:33], v[38:39], v[40:41]
	s_delay_alu instid0(VALU_DEP_1) | instskip(NEXT) | instid1(VALU_DEP_1)
	v_add_f64_e64 v[34:35], v[32:33], -v[38:39]
	v_add_f64_e64 v[34:35], v[40:41], -v[34:35]
	s_and_not1_saveexec_b32 s1, s1
	s_cbranch_execz .LBB253_293
	s_branch .LBB253_292
.LBB253_291:                            ;   in Loop: Header=BB253_233 Depth=1
	s_and_not1_saveexec_b32 s1, s1
	s_cbranch_execz .LBB253_293
.LBB253_292:                            ;   in Loop: Header=BB253_233 Depth=1
	v_mul_f64_e64 v[32:33], |v[16:17]|, s[8:9]
	s_delay_alu instid0(VALU_DEP_1) | instskip(NEXT) | instid1(VALU_DEP_1)
	v_rndne_f64_e32 v[36:37], v[32:33]
	v_fma_f64 v[32:33], v[36:37], s[10:11], |v[16:17]|
	v_mul_f64_e32 v[34:35], 0xbc91a62633145c00, v[36:37]
	v_cvt_i32_f64_e32 v30, v[36:37]
	s_delay_alu instid0(VALU_DEP_3) | instskip(NEXT) | instid1(VALU_DEP_3)
	v_fmamk_f64 v[42:43], v[36:37], 0xbc91a62633145c00, v[32:33]
	v_add_f64_e32 v[38:39], v[32:33], v[34:35]
	s_delay_alu instid0(VALU_DEP_1) | instskip(NEXT) | instid1(VALU_DEP_3)
	v_add_f64_e64 v[40:41], v[32:33], -v[38:39]
	v_add_f64_e64 v[32:33], v[38:39], -v[42:43]
	s_delay_alu instid0(VALU_DEP_2) | instskip(SKIP_1) | instid1(VALU_DEP_2)
	v_add_f64_e32 v[38:39], v[40:41], v[34:35]
	v_fmamk_f64 v[34:35], v[36:37], 0x3c91a62633145c00, v[34:35]
	v_add_f64_e32 v[32:33], v[32:33], v[38:39]
	s_delay_alu instid0(VALU_DEP_1) | instskip(NEXT) | instid1(VALU_DEP_1)
	v_add_f64_e64 v[34:35], v[32:33], -v[34:35]
	v_fmac_f64_e32 v[34:35], 0xb97b839a252049c0, v[36:37]
	s_delay_alu instid0(VALU_DEP_1) | instskip(NEXT) | instid1(VALU_DEP_1)
	v_add_f64_e32 v[32:33], v[42:43], v[34:35]
	v_add_f64_e64 v[38:39], v[32:33], -v[42:43]
	s_delay_alu instid0(VALU_DEP_1)
	v_add_f64_e64 v[34:35], v[34:35], -v[38:39]
.LBB253_293:                            ;   in Loop: Header=BB253_233 Depth=1
	s_or_b32 exec_lo, exec_lo, s1
                                        ; implicit-def: $vgpr40
                                        ; implicit-def: $vgpr36_vgpr37
                                        ; implicit-def: $vgpr38_vgpr39
	s_and_saveexec_b32 s1, s0
	s_delay_alu instid0(SALU_CYCLE_1)
	s_xor_b32 s0, exec_lo, s1
	s_cbranch_execz .LBB253_295
; %bb.294:                              ;   in Loop: Header=BB253_233 Depth=1
	v_ldexp_f64 v[36:37], |v[16:17]|, 0xffffff80
	v_cmp_le_f64_e64 vcc_lo, 0x7b000000, |v[16:17]|
	v_trig_preop_f64 v[38:39], |v[16:17]|, 0
	v_and_b32_e32 v21, 0x7fffffff, v17
	v_trig_preop_f64 v[40:41], |v[16:17]|, 1
	v_trig_preop_f64 v[50:51], |v[16:17]|, 2
	s_delay_alu instid0(VALU_DEP_3) | instskip(NEXT) | instid1(VALU_DEP_1)
	v_dual_cndmask_b32 v37, v21, v37 :: v_dual_cndmask_b32 v36, v16, v36
	v_mul_f64_e32 v[42:43], v[38:39], v[36:37]
	s_delay_alu instid0(VALU_DEP_4) | instskip(NEXT) | instid1(VALU_DEP_4)
	v_mul_f64_e32 v[44:45], v[40:41], v[36:37]
	v_mul_f64_e32 v[56:57], v[50:51], v[36:37]
	s_delay_alu instid0(VALU_DEP_3) | instskip(NEXT) | instid1(VALU_DEP_3)
	v_fma_f64 v[38:39], v[38:39], v[36:37], -v[42:43]
	v_fma_f64 v[40:41], v[40:41], v[36:37], -v[44:45]
	s_delay_alu instid0(VALU_DEP_3) | instskip(NEXT) | instid1(VALU_DEP_3)
	v_fma_f64 v[36:37], v[50:51], v[36:37], -v[56:57]
	v_add_f64_e32 v[46:47], v[44:45], v[38:39]
	s_delay_alu instid0(VALU_DEP_1) | instskip(SKIP_1) | instid1(VALU_DEP_2)
	v_add_f64_e64 v[48:49], v[46:47], -v[44:45]
	v_add_f64_e32 v[54:55], v[42:43], v[46:47]
	v_add_f64_e64 v[52:53], v[46:47], -v[48:49]
	v_add_f64_e64 v[38:39], v[38:39], -v[48:49]
	s_delay_alu instid0(VALU_DEP_3) | instskip(NEXT) | instid1(VALU_DEP_3)
	v_ldexp_f64 v[48:49], v[54:55], -2
	v_add_f64_e64 v[44:45], v[44:45], -v[52:53]
	v_add_f64_e32 v[52:53], v[56:57], v[40:41]
	s_delay_alu instid0(VALU_DEP_3) | instskip(NEXT) | instid1(VALU_DEP_3)
	v_cmp_neq_f64_e64 vcc_lo, 0x7ff00000, |v[48:49]|
	v_add_f64_e32 v[38:39], v[38:39], v[44:45]
	v_fract_f64_e32 v[44:45], v[48:49]
	s_delay_alu instid0(VALU_DEP_1) | instskip(NEXT) | instid1(VALU_DEP_1)
	v_ldexp_f64 v[44:45], v[44:45], 2
	v_dual_add_f64 v[42:43], v[54:55], -v[42:43] :: v_dual_cndmask_b32 v44, 0, v44, vcc_lo
	s_delay_alu instid0(VALU_DEP_1) | instskip(SKIP_1) | instid1(VALU_DEP_1)
	v_dual_add_f64 v[42:43], v[46:47], -v[42:43] :: v_dual_cndmask_b32 v45, 0, v45, vcc_lo
	v_add_f64_e32 v[46:47], v[52:53], v[38:39]
	v_add_f64_e32 v[48:49], v[42:43], v[46:47]
	v_add_f64_e64 v[58:59], v[46:47], -v[52:53]
	s_delay_alu instid0(VALU_DEP_2) | instskip(NEXT) | instid1(VALU_DEP_2)
	v_add_f64_e32 v[54:55], v[48:49], v[44:45]
	v_add_f64_e64 v[64:65], v[46:47], -v[58:59]
	v_add_f64_e64 v[38:39], v[38:39], -v[58:59]
	;; [unrolled: 1-line block ×3, first 2 shown]
	s_delay_alu instid0(VALU_DEP_4) | instskip(SKIP_2) | instid1(VALU_DEP_2)
	v_cmp_gt_f64_e32 vcc_lo, 0, v[54:55]
	v_add_f64_e64 v[54:55], v[52:53], -v[56:57]
	v_cndmask_b32_e64 v21, 0, 0x40100000, vcc_lo
	v_add_f64_e64 v[62:63], v[52:53], -v[54:55]
	v_add_f64_e64 v[40:41], v[40:41], -v[54:55]
	v_add_f64_e64 v[52:53], v[52:53], -v[64:65]
	s_delay_alu instid0(VALU_DEP_4) | instskip(NEXT) | instid1(VALU_DEP_4)
	v_add_f64_e32 v[44:45], v[44:45], v[20:21]
	v_add_f64_e64 v[54:55], v[56:57], -v[62:63]
	s_delay_alu instid0(VALU_DEP_3) | instskip(NEXT) | instid1(VALU_DEP_3)
	v_add_f64_e32 v[38:39], v[38:39], v[52:53]
	v_add_f64_e32 v[60:61], v[48:49], v[44:45]
	s_delay_alu instid0(VALU_DEP_3) | instskip(NEXT) | instid1(VALU_DEP_2)
	v_add_f64_e32 v[40:41], v[40:41], v[54:55]
	v_cvt_i32_f64_e32 v21, v[60:61]
	s_delay_alu instid0(VALU_DEP_2) | instskip(SKIP_1) | instid1(VALU_DEP_3)
	v_add_f64_e32 v[38:39], v[40:41], v[38:39]
	v_add_f64_e64 v[40:41], v[46:47], -v[42:43]
	v_cvt_f64_i32_e32 v[58:59], v21
	s_delay_alu instid0(VALU_DEP_3) | instskip(NEXT) | instid1(VALU_DEP_2)
	v_add_f64_e32 v[36:37], v[36:37], v[38:39]
	v_add_f64_e64 v[44:45], v[44:45], -v[58:59]
	s_delay_alu instid0(VALU_DEP_2) | instskip(NEXT) | instid1(VALU_DEP_2)
	v_add_f64_e32 v[36:37], v[40:41], v[36:37]
	v_add_f64_e32 v[50:51], v[48:49], v[44:45]
	s_delay_alu instid0(VALU_DEP_1) | instskip(SKIP_1) | instid1(VALU_DEP_2)
	v_add_f64_e64 v[38:39], v[50:51], -v[44:45]
	v_cmp_le_f64_e32 vcc_lo, 0.5, v[50:51]
	v_add_f64_e64 v[38:39], v[48:49], -v[38:39]
	v_add_co_ci_u32_e64 v40, null, 0, v21, vcc_lo
	v_cndmask_b32_e64 v21, 0, 0x3ff00000, vcc_lo
	s_delay_alu instid0(VALU_DEP_3) | instskip(NEXT) | instid1(VALU_DEP_2)
	v_add_f64_e32 v[36:37], v[36:37], v[38:39]
	v_add_f64_e64 v[38:39], v[50:51], -v[20:21]
	s_delay_alu instid0(VALU_DEP_1) | instskip(NEXT) | instid1(VALU_DEP_1)
	v_add_f64_e32 v[42:43], v[38:39], v[36:37]
	v_mul_f64_e32 v[44:45], 0x3ff921fb54442d18, v[42:43]
	v_add_f64_e64 v[38:39], v[42:43], -v[38:39]
	s_delay_alu instid0(VALU_DEP_2) | instskip(NEXT) | instid1(VALU_DEP_2)
	v_fma_f64 v[46:47], v[42:43], s[6:7], -v[44:45]
	v_add_f64_e64 v[36:37], v[36:37], -v[38:39]
	s_delay_alu instid0(VALU_DEP_2) | instskip(NEXT) | instid1(VALU_DEP_1)
	v_fmac_f64_e32 v[46:47], 0x3c91a62633145c07, v[42:43]
	v_fmac_f64_e32 v[46:47], 0x3ff921fb54442d18, v[36:37]
	s_delay_alu instid0(VALU_DEP_1) | instskip(NEXT) | instid1(VALU_DEP_1)
	v_add_f64_e32 v[36:37], v[44:45], v[46:47]
	v_add_f64_e64 v[38:39], v[36:37], -v[44:45]
	s_delay_alu instid0(VALU_DEP_1)
	v_add_f64_e64 v[38:39], v[46:47], -v[38:39]
	s_and_not1_saveexec_b32 s0, s0
	s_cbranch_execnz .LBB253_296
	s_branch .LBB253_297
.LBB253_295:                            ;   in Loop: Header=BB253_233 Depth=1
	s_and_not1_saveexec_b32 s0, s0
	s_cbranch_execz .LBB253_297
.LBB253_296:                            ;   in Loop: Header=BB253_233 Depth=1
	v_mul_f64_e64 v[36:37], |v[16:17]|, s[8:9]
	s_delay_alu instid0(VALU_DEP_1) | instskip(NEXT) | instid1(VALU_DEP_1)
	v_rndne_f64_e32 v[40:41], v[36:37]
	v_fma_f64 v[36:37], v[40:41], s[10:11], |v[16:17]|
	v_mul_f64_e32 v[38:39], 0xbc91a62633145c00, v[40:41]
	s_delay_alu instid0(VALU_DEP_2) | instskip(NEXT) | instid1(VALU_DEP_2)
	v_fmamk_f64 v[46:47], v[40:41], 0xbc91a62633145c00, v[36:37]
	v_add_f64_e32 v[42:43], v[36:37], v[38:39]
	s_delay_alu instid0(VALU_DEP_1) | instskip(NEXT) | instid1(VALU_DEP_3)
	v_add_f64_e64 v[44:45], v[36:37], -v[42:43]
	v_add_f64_e64 v[36:37], v[42:43], -v[46:47]
	s_delay_alu instid0(VALU_DEP_2) | instskip(SKIP_1) | instid1(VALU_DEP_2)
	v_add_f64_e32 v[42:43], v[44:45], v[38:39]
	v_fmamk_f64 v[38:39], v[40:41], 0x3c91a62633145c00, v[38:39]
	v_add_f64_e32 v[36:37], v[36:37], v[42:43]
	s_delay_alu instid0(VALU_DEP_1) | instskip(NEXT) | instid1(VALU_DEP_1)
	v_add_f64_e64 v[38:39], v[36:37], -v[38:39]
	v_fmac_f64_e32 v[38:39], 0xb97b839a252049c0, v[40:41]
	v_cvt_i32_f64_e32 v40, v[40:41]
	s_delay_alu instid0(VALU_DEP_2) | instskip(NEXT) | instid1(VALU_DEP_1)
	v_add_f64_e32 v[36:37], v[46:47], v[38:39]
	v_add_f64_e64 v[42:43], v[36:37], -v[46:47]
	s_delay_alu instid0(VALU_DEP_1)
	v_add_f64_e64 v[38:39], v[38:39], -v[42:43]
.LBB253_297:                            ;   in Loop: Header=BB253_233 Depth=1
	s_or_b32 exec_lo, exec_lo, s0
	v_mul_f64_e32 v[42:43], 0xbff71547652b82fe, v[14:15]
	v_mul_f64_e32 v[44:45], v[32:33], v[32:33]
	s_delay_alu instid0(VALU_DEP_3)
	v_mul_f64_e32 v[58:59], 0.5, v[34:35]
	v_cmp_class_f64_e64 s0, v[16:17], 0x1f8
	v_lshlrev_b32_e32 v16, 30, v40
	v_mul_f64_e32 v[46:47], v[36:37], v[36:37]
	v_cmp_ngt_f64_e64 s1, 0xc0900000, v[14:15]
	v_cmp_nlt_f64_e64 s2, 0x4090cc00, v[14:15]
	v_rndne_f64_e32 v[42:43], v[42:43]
	v_mul_f64_e32 v[48:49], 0.5, v[44:45]
	s_delay_alu instid0(VALU_DEP_2) | instskip(NEXT) | instid1(VALU_DEP_2)
	v_fma_f64 v[50:51], v[42:43], s[16:17], -v[14:15]
	v_add_f64_e64 v[54:55], -v[48:49], 1.0
	v_cvt_i32_f64_e32 v21, v[42:43]
	v_and_b32_e32 v14, 1, v40
	s_delay_alu instid0(VALU_DEP_1) | instskip(SKIP_3) | instid1(VALU_DEP_2)
	v_cmp_eq_u32_e64 s3, 0, v14
	v_mul_f64_e32 v[68:69], 0.5, v[38:39]
	v_fmac_f64_e32 v[50:51], 0xbc7abc9e3b39803f, v[42:43]
	v_add_f64_e64 v[62:63], -v[54:55], 1.0
	v_fmamk_f64 v[66:67], v[50:51], 0x3e5ade156a5dcb37, v[22:23]
	s_delay_alu instid0(VALU_DEP_2) | instskip(NEXT) | instid1(VALU_DEP_2)
	v_add_f64_e64 v[48:49], v[62:63], -v[48:49]
	v_fmaak_f64 v[66:67], v[50:51], v[66:67], 0x3ec71dee623fde64
	s_delay_alu instid0(VALU_DEP_1) | instskip(NEXT) | instid1(VALU_DEP_1)
	v_fmaak_f64 v[66:67], v[50:51], v[66:67], 0x3efa01997c89e6b0
	v_fmaak_f64 v[66:67], v[50:51], v[66:67], 0x3f2a01a014761f6e
	s_delay_alu instid0(VALU_DEP_1) | instskip(NEXT) | instid1(VALU_DEP_1)
	v_fmaak_f64 v[62:63], v[50:51], v[66:67], 0x3f56c16c1852b7b0
	;; [unrolled: 3-line block ×4, first 2 shown]
	v_fma_f64 v[62:63], v[50:51], v[62:63], 1.0
	s_delay_alu instid0(VALU_DEP_1) | instskip(NEXT) | instid1(VALU_DEP_1)
	v_fma_f64 v[42:43], v[50:51], v[62:63], 1.0
	v_ldexp_f64 v[42:43], v[42:43], v21
	v_and_b32_e32 v21, 1, v30
	v_fmamk_f64 v[64:65], v[44:45], 0x3de5e0b2f9a43bb8, v[26:27]
	v_lshlrev_b32_e32 v30, 30, v30
	v_mul_f64_e32 v[52:53], 0.5, v[46:47]
	v_mul_f64_e64 v[70:71], v[36:37], -v[46:47]
	v_cmp_eq_u32_e32 vcc_lo, 0, v21
	v_mul_f64_e64 v[60:61], v[32:33], -v[44:45]
	v_fmamk_f64 v[74:75], v[46:47], 0x3de5e0b2f9a43bb8, v[26:27]
	v_fmaak_f64 v[64:65], v[44:45], v[64:65], 0x3ec71de3796cde01
	v_mul_f64_e32 v[66:67], v[44:45], v[44:45]
	s_delay_alu instid0(VALU_DEP_2) | instskip(NEXT) | instid1(VALU_DEP_1)
	v_fmaak_f64 v[64:65], v[44:45], v[64:65], 0xbf2a01a019e83e5c
	v_fmaak_f64 v[64:65], v[44:45], v[64:65], 0x3f81111111110bb3
	v_cndmask_b32_e64 v17, 0x7ff00000, v43, s1
	v_add_f64_e64 v[56:57], -v[52:53], 1.0
	s_delay_alu instid0(VALU_DEP_3) | instskip(SKIP_1) | instid1(VALU_DEP_1)
	v_fmac_f64_e32 v[58:59], v[60:61], v[64:65]
	v_fmaak_f64 v[64:65], v[46:47], v[74:75], 0x3ec71de3796cde01
	v_fmaak_f64 v[64:65], v[46:47], v[64:65], 0xbf2a01a019e83e5c
	s_delay_alu instid0(VALU_DEP_1) | instskip(NEXT) | instid1(VALU_DEP_1)
	v_fmaak_f64 v[64:65], v[46:47], v[64:65], 0x3f81111111110bb3
	v_fmac_f64_e32 v[68:69], v[70:71], v[64:65]
	v_fmamk_f64 v[64:65], v[44:45], 0xbda907db46cc5e42, v[24:25]
	v_add_f64_e64 v[72:73], -v[56:57], 1.0
	v_fma_f64 v[58:59], v[44:45], v[58:59], -v[34:35]
	v_fma_f64 v[34:35], v[32:33], -v[34:35], v[48:49]
	s_delay_alu instid0(VALU_DEP_4) | instskip(SKIP_1) | instid1(VALU_DEP_2)
	v_fmaak_f64 v[48:49], v[44:45], v[64:65], 0xbe927e4fa17f65f6
	v_mul_f64_e32 v[64:65], v[46:47], v[46:47]
	v_fmaak_f64 v[48:49], v[44:45], v[48:49], 0x3efa01a019f4ec90
	s_delay_alu instid0(VALU_DEP_1) | instskip(NEXT) | instid1(VALU_DEP_1)
	v_fmaak_f64 v[48:49], v[44:45], v[48:49], 0xbf56c16c16c16967
	v_fmaak_f64 v[44:45], v[44:45], v[48:49], 0x3fa5555555555555
	v_fma_f64 v[48:49], v[46:47], v[68:69], -v[38:39]
	v_fmac_f64_e32 v[58:59], 0xbfc5555555555555, v[60:61]
	s_delay_alu instid0(VALU_DEP_3) | instskip(NEXT) | instid1(VALU_DEP_3)
	v_fmac_f64_e32 v[34:35], v[66:67], v[44:45]
	v_fmac_f64_e32 v[48:49], 0xbfc5555555555555, v[70:71]
	s_delay_alu instid0(VALU_DEP_3) | instskip(NEXT) | instid1(VALU_DEP_3)
	v_add_f64_e64 v[32:33], v[32:33], -v[58:59]
	v_add_f64_e32 v[34:35], v[54:55], v[34:35]
	s_delay_alu instid0(VALU_DEP_2) | instskip(NEXT) | instid1(VALU_DEP_1)
	v_xor_b32_e32 v15, 0x80000000, v33
	v_dual_cndmask_b32 v21, v32, v34 :: v_dual_cndmask_b32 v14, v15, v35
	s_and_b32 vcc_lo, s2, s1
	v_add_f64_e64 v[52:53], v[72:73], -v[52:53]
	v_fmamk_f64 v[72:73], v[46:47], 0xbda907db46cc5e42, v[24:25]
	v_xor_b32_e32 v15, v16, v31
	v_bitop3_b32 v30, v14, v30, 0x80000000 bitop3:0x78
	s_delay_alu instid0(VALU_DEP_4) | instskip(NEXT) | instid1(VALU_DEP_4)
	v_dual_fma_f64 v[38:39], v[36:37], -v[38:39], v[52:53] :: v_dual_cndmask_b32 v14, 0, v21, s0
	v_fmaak_f64 v[52:53], v[46:47], v[72:73], 0xbe927e4fa17f65f6
	v_add_f64_e64 v[36:37], v[36:37], -v[48:49]
	s_delay_alu instid0(VALU_DEP_2) | instskip(NEXT) | instid1(VALU_DEP_1)
	v_fmaak_f64 v[44:45], v[46:47], v[52:53], 0x3efa01a019f4ec90
	v_fmaak_f64 v[44:45], v[46:47], v[44:45], 0xbf56c16c16c16967
	s_delay_alu instid0(VALU_DEP_1) | instskip(NEXT) | instid1(VALU_DEP_1)
	v_fmaak_f64 v[44:45], v[46:47], v[44:45], 0x3fa5555555555555
	v_fmac_f64_e32 v[38:39], v[64:65], v[44:45]
	s_delay_alu instid0(VALU_DEP_1) | instskip(NEXT) | instid1(VALU_DEP_1)
	v_add_f64_e32 v[38:39], v[56:57], v[38:39]
	v_dual_cndmask_b32 v31, v39, v37, s3 :: v_dual_cndmask_b32 v16, v38, v36, s3
	s_delay_alu instid0(VALU_DEP_1) | instskip(SKIP_1) | instid1(VALU_DEP_3)
	v_bitop3_b32 v21, v31, v15, 0x80000000 bitop3:0x78
	v_cndmask_b32_e64 v15, 0x7ff80000, v30, s0
	v_dual_cndmask_b32 v16, 0, v16, s0 :: v_dual_cndmask_b32 v31, 0, v17, s2
	v_cndmask_b32_e32 v30, 0, v42, vcc_lo
	s_delay_alu instid0(VALU_DEP_4) | instskip(NEXT) | instid1(VALU_DEP_2)
	v_cndmask_b32_e64 v17, 0x7ff80000, v21, s0
	v_mul_f64_e32 v[32:33], v[30:31], v[14:15]
	s_delay_alu instid0(VALU_DEP_2)
	v_mul_f64_e32 v[30:31], v[30:31], v[16:17]
                                        ; implicit-def: $vgpr16_vgpr17
.LBB253_298:                            ;   in Loop: Header=BB253_233 Depth=1
	s_and_not1_saveexec_b32 s27, s27
	s_cbranch_execz .LBB253_308
; %bb.299:                              ;   in Loop: Header=BB253_233 Depth=1
	v_cmp_ngt_f64_e64 s0, 0x41d00000, |v[16:17]|
                                        ; implicit-def: $vgpr30
                                        ; implicit-def: $vgpr32_vgpr33
                                        ; implicit-def: $vgpr34_vgpr35
	s_and_saveexec_b32 s1, s0
	s_delay_alu instid0(SALU_CYCLE_1)
	s_xor_b32 s1, exec_lo, s1
	s_cbranch_execz .LBB253_301
; %bb.300:                              ;   in Loop: Header=BB253_233 Depth=1
	v_ldexp_f64 v[32:33], |v[16:17]|, 0xffffff80
	v_cmp_le_f64_e64 vcc_lo, 0x7b000000, |v[16:17]|
	v_trig_preop_f64 v[34:35], |v[16:17]|, 0
	v_and_b32_e32 v21, 0x7fffffff, v17
	v_trig_preop_f64 v[36:37], |v[16:17]|, 1
	v_trig_preop_f64 v[46:47], |v[16:17]|, 2
	s_delay_alu instid0(VALU_DEP_3) | instskip(NEXT) | instid1(VALU_DEP_1)
	v_dual_cndmask_b32 v33, v21, v33 :: v_dual_cndmask_b32 v32, v16, v32
	v_mul_f64_e32 v[38:39], v[34:35], v[32:33]
	s_delay_alu instid0(VALU_DEP_4) | instskip(NEXT) | instid1(VALU_DEP_4)
	v_mul_f64_e32 v[40:41], v[36:37], v[32:33]
	v_mul_f64_e32 v[52:53], v[46:47], v[32:33]
	s_delay_alu instid0(VALU_DEP_3) | instskip(NEXT) | instid1(VALU_DEP_3)
	v_fma_f64 v[34:35], v[34:35], v[32:33], -v[38:39]
	v_fma_f64 v[36:37], v[36:37], v[32:33], -v[40:41]
	s_delay_alu instid0(VALU_DEP_3) | instskip(NEXT) | instid1(VALU_DEP_3)
	v_fma_f64 v[32:33], v[46:47], v[32:33], -v[52:53]
	v_add_f64_e32 v[42:43], v[40:41], v[34:35]
	s_delay_alu instid0(VALU_DEP_1) | instskip(SKIP_1) | instid1(VALU_DEP_2)
	v_add_f64_e64 v[44:45], v[42:43], -v[40:41]
	v_add_f64_e32 v[50:51], v[38:39], v[42:43]
	v_add_f64_e64 v[48:49], v[42:43], -v[44:45]
	v_add_f64_e64 v[34:35], v[34:35], -v[44:45]
	s_delay_alu instid0(VALU_DEP_3) | instskip(NEXT) | instid1(VALU_DEP_3)
	v_ldexp_f64 v[44:45], v[50:51], -2
	v_add_f64_e64 v[40:41], v[40:41], -v[48:49]
	v_add_f64_e32 v[48:49], v[52:53], v[36:37]
	s_delay_alu instid0(VALU_DEP_3) | instskip(NEXT) | instid1(VALU_DEP_3)
	v_cmp_neq_f64_e64 vcc_lo, 0x7ff00000, |v[44:45]|
	v_add_f64_e32 v[34:35], v[34:35], v[40:41]
	v_fract_f64_e32 v[40:41], v[44:45]
	s_delay_alu instid0(VALU_DEP_1) | instskip(NEXT) | instid1(VALU_DEP_1)
	v_ldexp_f64 v[40:41], v[40:41], 2
	v_dual_add_f64 v[38:39], v[50:51], -v[38:39] :: v_dual_cndmask_b32 v40, 0, v40, vcc_lo
	s_delay_alu instid0(VALU_DEP_1) | instskip(SKIP_1) | instid1(VALU_DEP_1)
	v_dual_add_f64 v[38:39], v[42:43], -v[38:39] :: v_dual_cndmask_b32 v41, 0, v41, vcc_lo
	v_add_f64_e32 v[42:43], v[48:49], v[34:35]
	v_add_f64_e32 v[44:45], v[38:39], v[42:43]
	v_add_f64_e64 v[54:55], v[42:43], -v[48:49]
	s_delay_alu instid0(VALU_DEP_2) | instskip(NEXT) | instid1(VALU_DEP_2)
	v_add_f64_e32 v[50:51], v[44:45], v[40:41]
	v_add_f64_e64 v[60:61], v[42:43], -v[54:55]
	v_add_f64_e64 v[34:35], v[34:35], -v[54:55]
	;; [unrolled: 1-line block ×3, first 2 shown]
	s_delay_alu instid0(VALU_DEP_4) | instskip(SKIP_1) | instid1(VALU_DEP_3)
	v_cmp_gt_f64_e32 vcc_lo, 0, v[50:51]
	v_add_f64_e64 v[50:51], v[48:49], -v[52:53]
	v_add_f64_e64 v[38:39], v[42:43], -v[38:39]
	v_cndmask_b32_e64 v21, 0, 0x40100000, vcc_lo
	s_delay_alu instid0(VALU_DEP_3) | instskip(SKIP_2) | instid1(VALU_DEP_4)
	v_add_f64_e64 v[58:59], v[48:49], -v[50:51]
	v_add_f64_e64 v[36:37], v[36:37], -v[50:51]
	;; [unrolled: 1-line block ×3, first 2 shown]
	v_add_f64_e32 v[40:41], v[40:41], v[20:21]
	s_delay_alu instid0(VALU_DEP_4) | instskip(NEXT) | instid1(VALU_DEP_3)
	v_add_f64_e64 v[50:51], v[52:53], -v[58:59]
	v_add_f64_e32 v[34:35], v[34:35], v[48:49]
	s_delay_alu instid0(VALU_DEP_3) | instskip(NEXT) | instid1(VALU_DEP_3)
	v_add_f64_e32 v[56:57], v[44:45], v[40:41]
	v_add_f64_e32 v[36:37], v[36:37], v[50:51]
	s_delay_alu instid0(VALU_DEP_2) | instskip(NEXT) | instid1(VALU_DEP_2)
	v_cvt_i32_f64_e32 v21, v[56:57]
	v_add_f64_e32 v[34:35], v[36:37], v[34:35]
	s_delay_alu instid0(VALU_DEP_2) | instskip(NEXT) | instid1(VALU_DEP_2)
	v_cvt_f64_i32_e32 v[54:55], v21
	v_add_f64_e32 v[32:33], v[32:33], v[34:35]
	s_delay_alu instid0(VALU_DEP_2) | instskip(NEXT) | instid1(VALU_DEP_2)
	v_add_f64_e64 v[40:41], v[40:41], -v[54:55]
	v_add_f64_e32 v[32:33], v[38:39], v[32:33]
	s_delay_alu instid0(VALU_DEP_2) | instskip(NEXT) | instid1(VALU_DEP_1)
	v_add_f64_e32 v[36:37], v[44:45], v[40:41]
	v_add_f64_e64 v[34:35], v[36:37], -v[40:41]
	v_cmp_le_f64_e32 vcc_lo, 0.5, v[36:37]
	s_delay_alu instid0(VALU_DEP_2) | instskip(SKIP_2) | instid1(VALU_DEP_3)
	v_add_f64_e64 v[34:35], v[44:45], -v[34:35]
	v_add_co_ci_u32_e64 v30, null, 0, v21, vcc_lo
	v_cndmask_b32_e64 v21, 0, 0x3ff00000, vcc_lo
	v_add_f64_e32 v[32:33], v[32:33], v[34:35]
	s_delay_alu instid0(VALU_DEP_2) | instskip(NEXT) | instid1(VALU_DEP_1)
	v_add_f64_e64 v[34:35], v[36:37], -v[20:21]
	v_add_f64_e32 v[36:37], v[34:35], v[32:33]
	s_delay_alu instid0(VALU_DEP_1) | instskip(SKIP_1) | instid1(VALU_DEP_2)
	v_mul_f64_e32 v[38:39], 0x3ff921fb54442d18, v[36:37]
	v_add_f64_e64 v[34:35], v[36:37], -v[34:35]
	v_fma_f64 v[40:41], v[36:37], s[6:7], -v[38:39]
	s_delay_alu instid0(VALU_DEP_2) | instskip(NEXT) | instid1(VALU_DEP_2)
	v_add_f64_e64 v[32:33], v[32:33], -v[34:35]
	v_fmac_f64_e32 v[40:41], 0x3c91a62633145c07, v[36:37]
	s_delay_alu instid0(VALU_DEP_1) | instskip(NEXT) | instid1(VALU_DEP_1)
	v_fmac_f64_e32 v[40:41], 0x3ff921fb54442d18, v[32:33]
	v_add_f64_e32 v[32:33], v[38:39], v[40:41]
	s_delay_alu instid0(VALU_DEP_1) | instskip(NEXT) | instid1(VALU_DEP_1)
	v_add_f64_e64 v[34:35], v[32:33], -v[38:39]
	v_add_f64_e64 v[34:35], v[40:41], -v[34:35]
	s_and_not1_saveexec_b32 s1, s1
	s_cbranch_execz .LBB253_303
	s_branch .LBB253_302
.LBB253_301:                            ;   in Loop: Header=BB253_233 Depth=1
	s_and_not1_saveexec_b32 s1, s1
	s_cbranch_execz .LBB253_303
.LBB253_302:                            ;   in Loop: Header=BB253_233 Depth=1
	v_mul_f64_e64 v[32:33], |v[16:17]|, s[8:9]
	s_delay_alu instid0(VALU_DEP_1) | instskip(NEXT) | instid1(VALU_DEP_1)
	v_rndne_f64_e32 v[36:37], v[32:33]
	v_fma_f64 v[32:33], v[36:37], s[10:11], |v[16:17]|
	v_mul_f64_e32 v[34:35], 0xbc91a62633145c00, v[36:37]
	v_cvt_i32_f64_e32 v30, v[36:37]
	s_delay_alu instid0(VALU_DEP_3) | instskip(NEXT) | instid1(VALU_DEP_3)
	v_fmamk_f64 v[42:43], v[36:37], 0xbc91a62633145c00, v[32:33]
	v_add_f64_e32 v[38:39], v[32:33], v[34:35]
	s_delay_alu instid0(VALU_DEP_1) | instskip(NEXT) | instid1(VALU_DEP_3)
	v_add_f64_e64 v[40:41], v[32:33], -v[38:39]
	v_add_f64_e64 v[32:33], v[38:39], -v[42:43]
	s_delay_alu instid0(VALU_DEP_2) | instskip(SKIP_1) | instid1(VALU_DEP_2)
	v_add_f64_e32 v[38:39], v[40:41], v[34:35]
	v_fmamk_f64 v[34:35], v[36:37], 0x3c91a62633145c00, v[34:35]
	v_add_f64_e32 v[32:33], v[32:33], v[38:39]
	s_delay_alu instid0(VALU_DEP_1) | instskip(NEXT) | instid1(VALU_DEP_1)
	v_add_f64_e64 v[34:35], v[32:33], -v[34:35]
	v_fmac_f64_e32 v[34:35], 0xb97b839a252049c0, v[36:37]
	s_delay_alu instid0(VALU_DEP_1) | instskip(NEXT) | instid1(VALU_DEP_1)
	v_add_f64_e32 v[32:33], v[42:43], v[34:35]
	v_add_f64_e64 v[38:39], v[32:33], -v[42:43]
	s_delay_alu instid0(VALU_DEP_1)
	v_add_f64_e64 v[34:35], v[34:35], -v[38:39]
.LBB253_303:                            ;   in Loop: Header=BB253_233 Depth=1
	s_or_b32 exec_lo, exec_lo, s1
                                        ; implicit-def: $vgpr40
                                        ; implicit-def: $vgpr36_vgpr37
                                        ; implicit-def: $vgpr38_vgpr39
	s_and_saveexec_b32 s1, s0
	s_delay_alu instid0(SALU_CYCLE_1)
	s_xor_b32 s0, exec_lo, s1
	s_cbranch_execz .LBB253_305
; %bb.304:                              ;   in Loop: Header=BB253_233 Depth=1
	v_ldexp_f64 v[36:37], |v[16:17]|, 0xffffff80
	v_cmp_le_f64_e64 vcc_lo, 0x7b000000, |v[16:17]|
	v_trig_preop_f64 v[38:39], |v[16:17]|, 0
	v_and_b32_e32 v21, 0x7fffffff, v17
	v_trig_preop_f64 v[40:41], |v[16:17]|, 1
	v_trig_preop_f64 v[50:51], |v[16:17]|, 2
	s_delay_alu instid0(VALU_DEP_3) | instskip(NEXT) | instid1(VALU_DEP_1)
	v_dual_cndmask_b32 v37, v21, v37 :: v_dual_cndmask_b32 v36, v16, v36
	v_mul_f64_e32 v[42:43], v[38:39], v[36:37]
	s_delay_alu instid0(VALU_DEP_4) | instskip(NEXT) | instid1(VALU_DEP_4)
	v_mul_f64_e32 v[44:45], v[40:41], v[36:37]
	v_mul_f64_e32 v[56:57], v[50:51], v[36:37]
	s_delay_alu instid0(VALU_DEP_3) | instskip(NEXT) | instid1(VALU_DEP_3)
	v_fma_f64 v[38:39], v[38:39], v[36:37], -v[42:43]
	v_fma_f64 v[40:41], v[40:41], v[36:37], -v[44:45]
	s_delay_alu instid0(VALU_DEP_3) | instskip(NEXT) | instid1(VALU_DEP_3)
	v_fma_f64 v[36:37], v[50:51], v[36:37], -v[56:57]
	v_add_f64_e32 v[46:47], v[44:45], v[38:39]
	s_delay_alu instid0(VALU_DEP_1) | instskip(SKIP_1) | instid1(VALU_DEP_2)
	v_add_f64_e64 v[48:49], v[46:47], -v[44:45]
	v_add_f64_e32 v[54:55], v[42:43], v[46:47]
	v_add_f64_e64 v[52:53], v[46:47], -v[48:49]
	v_add_f64_e64 v[38:39], v[38:39], -v[48:49]
	s_delay_alu instid0(VALU_DEP_3) | instskip(NEXT) | instid1(VALU_DEP_3)
	v_ldexp_f64 v[48:49], v[54:55], -2
	v_add_f64_e64 v[44:45], v[44:45], -v[52:53]
	v_add_f64_e32 v[52:53], v[56:57], v[40:41]
	s_delay_alu instid0(VALU_DEP_3) | instskip(NEXT) | instid1(VALU_DEP_3)
	v_cmp_neq_f64_e64 vcc_lo, 0x7ff00000, |v[48:49]|
	v_add_f64_e32 v[38:39], v[38:39], v[44:45]
	v_fract_f64_e32 v[44:45], v[48:49]
	s_delay_alu instid0(VALU_DEP_1) | instskip(NEXT) | instid1(VALU_DEP_1)
	v_ldexp_f64 v[44:45], v[44:45], 2
	v_dual_add_f64 v[42:43], v[54:55], -v[42:43] :: v_dual_cndmask_b32 v44, 0, v44, vcc_lo
	s_delay_alu instid0(VALU_DEP_1) | instskip(SKIP_1) | instid1(VALU_DEP_1)
	v_dual_add_f64 v[42:43], v[46:47], -v[42:43] :: v_dual_cndmask_b32 v45, 0, v45, vcc_lo
	v_add_f64_e32 v[46:47], v[52:53], v[38:39]
	v_add_f64_e32 v[48:49], v[42:43], v[46:47]
	v_add_f64_e64 v[58:59], v[46:47], -v[52:53]
	s_delay_alu instid0(VALU_DEP_2) | instskip(NEXT) | instid1(VALU_DEP_2)
	v_add_f64_e32 v[54:55], v[48:49], v[44:45]
	v_add_f64_e64 v[64:65], v[46:47], -v[58:59]
	v_add_f64_e64 v[38:39], v[38:39], -v[58:59]
	;; [unrolled: 1-line block ×3, first 2 shown]
	s_delay_alu instid0(VALU_DEP_4) | instskip(SKIP_2) | instid1(VALU_DEP_2)
	v_cmp_gt_f64_e32 vcc_lo, 0, v[54:55]
	v_add_f64_e64 v[54:55], v[52:53], -v[56:57]
	v_cndmask_b32_e64 v21, 0, 0x40100000, vcc_lo
	v_add_f64_e64 v[62:63], v[52:53], -v[54:55]
	v_add_f64_e64 v[40:41], v[40:41], -v[54:55]
	;; [unrolled: 1-line block ×3, first 2 shown]
	s_delay_alu instid0(VALU_DEP_4) | instskip(NEXT) | instid1(VALU_DEP_4)
	v_add_f64_e32 v[44:45], v[44:45], v[20:21]
	v_add_f64_e64 v[54:55], v[56:57], -v[62:63]
	s_delay_alu instid0(VALU_DEP_3) | instskip(NEXT) | instid1(VALU_DEP_3)
	v_add_f64_e32 v[38:39], v[38:39], v[52:53]
	v_add_f64_e32 v[60:61], v[48:49], v[44:45]
	s_delay_alu instid0(VALU_DEP_3) | instskip(NEXT) | instid1(VALU_DEP_2)
	v_add_f64_e32 v[40:41], v[40:41], v[54:55]
	v_cvt_i32_f64_e32 v21, v[60:61]
	s_delay_alu instid0(VALU_DEP_2) | instskip(SKIP_1) | instid1(VALU_DEP_3)
	v_add_f64_e32 v[38:39], v[40:41], v[38:39]
	v_add_f64_e64 v[40:41], v[46:47], -v[42:43]
	v_cvt_f64_i32_e32 v[58:59], v21
	s_delay_alu instid0(VALU_DEP_3) | instskip(NEXT) | instid1(VALU_DEP_2)
	v_add_f64_e32 v[36:37], v[36:37], v[38:39]
	v_add_f64_e64 v[44:45], v[44:45], -v[58:59]
	s_delay_alu instid0(VALU_DEP_2) | instskip(NEXT) | instid1(VALU_DEP_2)
	v_add_f64_e32 v[36:37], v[40:41], v[36:37]
	v_add_f64_e32 v[50:51], v[48:49], v[44:45]
	s_delay_alu instid0(VALU_DEP_1) | instskip(SKIP_1) | instid1(VALU_DEP_2)
	v_add_f64_e64 v[38:39], v[50:51], -v[44:45]
	v_cmp_le_f64_e32 vcc_lo, 0.5, v[50:51]
	v_add_f64_e64 v[38:39], v[48:49], -v[38:39]
	v_add_co_ci_u32_e64 v40, null, 0, v21, vcc_lo
	v_cndmask_b32_e64 v21, 0, 0x3ff00000, vcc_lo
	s_delay_alu instid0(VALU_DEP_3) | instskip(NEXT) | instid1(VALU_DEP_2)
	v_add_f64_e32 v[36:37], v[36:37], v[38:39]
	v_add_f64_e64 v[38:39], v[50:51], -v[20:21]
	s_delay_alu instid0(VALU_DEP_1) | instskip(NEXT) | instid1(VALU_DEP_1)
	v_add_f64_e32 v[42:43], v[38:39], v[36:37]
	v_mul_f64_e32 v[44:45], 0x3ff921fb54442d18, v[42:43]
	v_add_f64_e64 v[38:39], v[42:43], -v[38:39]
	s_delay_alu instid0(VALU_DEP_2) | instskip(NEXT) | instid1(VALU_DEP_2)
	v_fma_f64 v[46:47], v[42:43], s[6:7], -v[44:45]
	v_add_f64_e64 v[36:37], v[36:37], -v[38:39]
	s_delay_alu instid0(VALU_DEP_2) | instskip(NEXT) | instid1(VALU_DEP_1)
	v_fmac_f64_e32 v[46:47], 0x3c91a62633145c07, v[42:43]
	v_fmac_f64_e32 v[46:47], 0x3ff921fb54442d18, v[36:37]
	s_delay_alu instid0(VALU_DEP_1) | instskip(NEXT) | instid1(VALU_DEP_1)
	v_add_f64_e32 v[36:37], v[44:45], v[46:47]
	v_add_f64_e64 v[38:39], v[36:37], -v[44:45]
	s_delay_alu instid0(VALU_DEP_1)
	v_add_f64_e64 v[38:39], v[46:47], -v[38:39]
	s_and_not1_saveexec_b32 s0, s0
	s_cbranch_execnz .LBB253_306
	s_branch .LBB253_307
.LBB253_305:                            ;   in Loop: Header=BB253_233 Depth=1
	s_and_not1_saveexec_b32 s0, s0
	s_cbranch_execz .LBB253_307
.LBB253_306:                            ;   in Loop: Header=BB253_233 Depth=1
	v_mul_f64_e64 v[36:37], |v[16:17]|, s[8:9]
	s_delay_alu instid0(VALU_DEP_1) | instskip(NEXT) | instid1(VALU_DEP_1)
	v_rndne_f64_e32 v[40:41], v[36:37]
	v_fma_f64 v[36:37], v[40:41], s[10:11], |v[16:17]|
	v_mul_f64_e32 v[38:39], 0xbc91a62633145c00, v[40:41]
	s_delay_alu instid0(VALU_DEP_2) | instskip(NEXT) | instid1(VALU_DEP_2)
	v_fmamk_f64 v[46:47], v[40:41], 0xbc91a62633145c00, v[36:37]
	v_add_f64_e32 v[42:43], v[36:37], v[38:39]
	s_delay_alu instid0(VALU_DEP_1) | instskip(NEXT) | instid1(VALU_DEP_3)
	v_add_f64_e64 v[44:45], v[36:37], -v[42:43]
	v_add_f64_e64 v[36:37], v[42:43], -v[46:47]
	s_delay_alu instid0(VALU_DEP_2) | instskip(SKIP_1) | instid1(VALU_DEP_2)
	v_add_f64_e32 v[42:43], v[44:45], v[38:39]
	v_fmamk_f64 v[38:39], v[40:41], 0x3c91a62633145c00, v[38:39]
	v_add_f64_e32 v[36:37], v[36:37], v[42:43]
	s_delay_alu instid0(VALU_DEP_1) | instskip(NEXT) | instid1(VALU_DEP_1)
	v_add_f64_e64 v[38:39], v[36:37], -v[38:39]
	v_fmac_f64_e32 v[38:39], 0xb97b839a252049c0, v[40:41]
	v_cvt_i32_f64_e32 v40, v[40:41]
	s_delay_alu instid0(VALU_DEP_2) | instskip(NEXT) | instid1(VALU_DEP_1)
	v_add_f64_e32 v[36:37], v[46:47], v[38:39]
	v_add_f64_e64 v[42:43], v[36:37], -v[46:47]
	s_delay_alu instid0(VALU_DEP_1)
	v_add_f64_e64 v[38:39], v[38:39], -v[42:43]
.LBB253_307:                            ;   in Loop: Header=BB253_233 Depth=1
	s_or_b32 exec_lo, exec_lo, s0
	v_add_f64_e64 v[14:15], -v[14:15], s[18:19]
	v_mul_f64_e32 v[44:45], v[32:33], v[32:33]
	s_delay_alu instid0(VALU_DEP_3)
	v_mul_f64_e32 v[58:59], 0.5, v[34:35]
	v_cmp_class_f64_e64 s0, v[16:17], 0x1f8
	v_lshlrev_b32_e32 v17, 30, v40
	v_mul_f64_e32 v[46:47], v[36:37], v[36:37]
	v_mul_f64_e32 v[42:43], 0x3ff71547652b82fe, v[14:15]
	v_mul_f64_e32 v[48:49], 0.5, v[44:45]
	v_cmp_nlt_f64_e64 s1, 0x40900000, v[14:15]
	v_cmp_ngt_f64_e64 s2, 0xc090cc00, v[14:15]
	s_delay_alu instid0(VALU_DEP_4) | instskip(NEXT) | instid1(VALU_DEP_4)
	v_rndne_f64_e32 v[42:43], v[42:43]
	v_add_f64_e64 v[54:55], -v[48:49], 1.0
	s_delay_alu instid0(VALU_DEP_2) | instskip(NEXT) | instid1(VALU_DEP_2)
	v_fmamk_f64 v[52:53], v[42:43], 0xbfe62e42fefa39ef, v[14:15]
	v_add_f64_e64 v[62:63], -v[54:55], 1.0
	v_cvt_i32_f64_e32 v21, v[42:43]
	v_and_b32_e32 v14, 1, v40
	s_delay_alu instid0(VALU_DEP_4) | instskip(NEXT) | instid1(VALU_DEP_2)
	v_fmac_f64_e32 v[52:53], 0xbc7abc9e3b39803f, v[42:43]
	v_cmp_eq_u32_e64 s3, 0, v14
	v_mul_f64_e32 v[68:69], 0.5, v[38:39]
	v_add_f64_e64 v[48:49], v[62:63], -v[48:49]
	s_delay_alu instid0(VALU_DEP_4) | instskip(NEXT) | instid1(VALU_DEP_1)
	v_fmamk_f64 v[66:67], v[52:53], 0x3e5ade156a5dcb37, v[22:23]
	v_fmaak_f64 v[66:67], v[52:53], v[66:67], 0x3ec71dee623fde64
	s_delay_alu instid0(VALU_DEP_1) | instskip(NEXT) | instid1(VALU_DEP_1)
	v_fmaak_f64 v[66:67], v[52:53], v[66:67], 0x3efa01997c89e6b0
	v_fmaak_f64 v[66:67], v[52:53], v[66:67], 0x3f2a01a014761f6e
	s_delay_alu instid0(VALU_DEP_1) | instskip(NEXT) | instid1(VALU_DEP_1)
	v_fmaak_f64 v[62:63], v[52:53], v[66:67], 0x3f56c16c1852b7b0
	;; [unrolled: 3-line block ×4, first 2 shown]
	v_fma_f64 v[62:63], v[52:53], v[62:63], 1.0
	s_delay_alu instid0(VALU_DEP_1) | instskip(NEXT) | instid1(VALU_DEP_1)
	v_fma_f64 v[42:43], v[52:53], v[62:63], 1.0
	v_ldexp_f64 v[42:43], v[42:43], v21
	v_and_b32_e32 v21, 1, v30
	v_fmamk_f64 v[64:65], v[44:45], 0x3de5e0b2f9a43bb8, v[26:27]
	v_lshlrev_b32_e32 v30, 30, v30
	v_mul_f64_e32 v[50:51], 0.5, v[46:47]
	v_mul_f64_e64 v[70:71], v[36:37], -v[46:47]
	v_cmp_eq_u32_e32 vcc_lo, 0, v21
	v_mul_f64_e64 v[60:61], v[32:33], -v[44:45]
	v_fmamk_f64 v[74:75], v[46:47], 0x3de5e0b2f9a43bb8, v[26:27]
	v_fmaak_f64 v[64:65], v[44:45], v[64:65], 0x3ec71de3796cde01
	v_mul_f64_e32 v[66:67], v[44:45], v[44:45]
	s_delay_alu instid0(VALU_DEP_2) | instskip(NEXT) | instid1(VALU_DEP_1)
	v_fmaak_f64 v[64:65], v[44:45], v[64:65], 0xbf2a01a019e83e5c
	v_fmaak_f64 v[64:65], v[44:45], v[64:65], 0x3f81111111110bb3
	v_cndmask_b32_e64 v16, 0x7ff00000, v43, s1
	v_add_f64_e64 v[56:57], -v[50:51], 1.0
	s_delay_alu instid0(VALU_DEP_3) | instskip(SKIP_1) | instid1(VALU_DEP_1)
	v_fmac_f64_e32 v[58:59], v[60:61], v[64:65]
	v_fmaak_f64 v[64:65], v[46:47], v[74:75], 0x3ec71de3796cde01
	v_fmaak_f64 v[64:65], v[46:47], v[64:65], 0xbf2a01a019e83e5c
	s_delay_alu instid0(VALU_DEP_1) | instskip(NEXT) | instid1(VALU_DEP_1)
	v_fmaak_f64 v[64:65], v[46:47], v[64:65], 0x3f81111111110bb3
	v_fmac_f64_e32 v[68:69], v[70:71], v[64:65]
	v_fmamk_f64 v[64:65], v[44:45], 0xbda907db46cc5e42, v[24:25]
	v_add_f64_e64 v[72:73], -v[56:57], 1.0
	v_fma_f64 v[58:59], v[44:45], v[58:59], -v[34:35]
	v_fma_f64 v[34:35], v[32:33], -v[34:35], v[48:49]
	s_delay_alu instid0(VALU_DEP_4) | instskip(NEXT) | instid1(VALU_DEP_1)
	v_fmaak_f64 v[48:49], v[44:45], v[64:65], 0xbe927e4fa17f65f6
	v_fmaak_f64 v[48:49], v[44:45], v[48:49], 0x3efa01a019f4ec90
	s_delay_alu instid0(VALU_DEP_1) | instskip(NEXT) | instid1(VALU_DEP_1)
	v_fmaak_f64 v[48:49], v[44:45], v[48:49], 0xbf56c16c16c16967
	v_fmaak_f64 v[44:45], v[44:45], v[48:49], 0x3fa5555555555555
	v_fma_f64 v[48:49], v[46:47], v[68:69], -v[38:39]
	v_add_f64_e64 v[50:51], v[72:73], -v[50:51]
	v_fmamk_f64 v[72:73], v[46:47], 0xbda907db46cc5e42, v[24:25]
	v_fmac_f64_e32 v[58:59], 0xbfc5555555555555, v[60:61]
	v_fmac_f64_e32 v[34:35], v[66:67], v[44:45]
	;; [unrolled: 1-line block ×3, first 2 shown]
	s_delay_alu instid0(VALU_DEP_3) | instskip(NEXT) | instid1(VALU_DEP_3)
	v_add_f64_e64 v[32:33], v[32:33], -v[58:59]
	v_add_f64_e32 v[34:35], v[54:55], v[34:35]
	s_delay_alu instid0(VALU_DEP_2) | instskip(NEXT) | instid1(VALU_DEP_2)
	v_xor_b32_e32 v15, 0x80000000, v33
	v_dual_cndmask_b32 v21, v32, v34, vcc_lo :: v_dual_cndmask_b32 v32, 0, v16, s2
	v_mul_f64_e32 v[64:65], v[46:47], v[46:47]
	v_fma_f64 v[38:39], v[36:37], -v[38:39], v[50:51]
	v_fmaak_f64 v[50:51], v[46:47], v[72:73], 0xbe927e4fa17f65f6
	v_dual_add_f64 v[36:37], v[36:37], -v[48:49] :: v_dual_cndmask_b32 v14, v15, v35, vcc_lo
	v_xor_b32_e32 v15, v17, v31
	s_and_b32 vcc_lo, s2, s1
	s_delay_alu instid0(VALU_DEP_3) | instskip(NEXT) | instid1(VALU_DEP_3)
	v_fmaak_f64 v[44:45], v[46:47], v[50:51], 0x3efa01a019f4ec90
	v_bitop3_b32 v30, v14, v30, 0x80000000 bitop3:0x78
	v_cndmask_b32_e64 v14, 0, v21, s0
	s_delay_alu instid0(VALU_DEP_3) | instskip(NEXT) | instid1(VALU_DEP_1)
	v_fmaak_f64 v[44:45], v[46:47], v[44:45], 0xbf56c16c16c16967
	v_fmaak_f64 v[44:45], v[46:47], v[44:45], 0x3fa5555555555555
	s_delay_alu instid0(VALU_DEP_1) | instskip(NEXT) | instid1(VALU_DEP_1)
	v_fmac_f64_e32 v[38:39], v[64:65], v[44:45]
	v_add_f64_e32 v[38:39], v[56:57], v[38:39]
	s_delay_alu instid0(VALU_DEP_1) | instskip(NEXT) | instid1(VALU_DEP_1)
	v_dual_cndmask_b32 v31, v39, v37, s3 :: v_dual_cndmask_b32 v17, v38, v36, s3
	v_bitop3_b32 v21, v31, v15, 0x80000000 bitop3:0x78
	v_cndmask_b32_e64 v15, 0x7ff80000, v30, s0
	s_delay_alu instid0(VALU_DEP_3) | instskip(SKIP_3) | instid1(VALU_DEP_2)
	v_cndmask_b32_e64 v16, 0, v17, s0
	v_and_or_b32 v31, v32, s22, 0x7fe00000
	v_cndmask_b32_e32 v30, 0, v42, vcc_lo
	v_cndmask_b32_e64 v17, 0x7ff80000, v21, s0
	v_dual_mul_f64 v[14:15], v[30:31], v[14:15] :: v_dual_lshrrev_b32 v21, 20, v32
	s_delay_alu instid0(VALU_DEP_2) | instskip(NEXT) | instid1(VALU_DEP_2)
	v_mul_f64_e32 v[16:17], v[30:31], v[16:17]
	v_add_nc_u32_e32 v30, 0xffffff09, v21
	s_delay_alu instid0(VALU_DEP_1) | instskip(NEXT) | instid1(VALU_DEP_1)
	v_lshrrev_b16 v21, 15, v30
	v_add_nc_u16 v21, v30, v21
	s_delay_alu instid0(VALU_DEP_1) | instskip(NEXT) | instid1(VALU_DEP_1)
	v_ashrrev_i16 v21, 1, v21
	v_bfe_i32 v31, v21, 0, 16
	s_delay_alu instid0(VALU_DEP_1) | instskip(NEXT) | instid1(VALU_DEP_1)
	v_lshl_add_u32 v21, v31, 20, 0x3ff00000
	v_mul_f64_e32 v[14:15], v[14:15], v[20:21]
	v_dual_mul_f64 v[16:17], v[16:17], v[20:21] :: v_dual_sub_nc_u32 v21, v30, v31
	v_mov_b32_e32 v30, v20
	s_delay_alu instid0(VALU_DEP_2) | instskip(NEXT) | instid1(VALU_DEP_1)
	v_lshl_add_u32 v31, v21, 20, 0x3ff00000
	v_mul_f64_e32 v[32:33], v[14:15], v[30:31]
	s_delay_alu instid0(VALU_DEP_4)
	v_mul_f64_e32 v[30:31], v[16:17], v[30:31]
.LBB253_308:                            ;   in Loop: Header=BB253_233 Depth=1
	s_or_b32 exec_lo, exec_lo, s27
                                        ; implicit-def: $vgpr34_vgpr35
                                        ; implicit-def: $vgpr14_vgpr15
                                        ; implicit-def: $vgpr21
.LBB253_309:                            ;   in Loop: Header=BB253_233 Depth=1
	s_and_not1_saveexec_b32 s1, s26
	s_cbranch_execz .LBB253_315
; %bb.310:                              ;   in Loop: Header=BB253_233 Depth=1
	v_add_f64_e64 v[30:31], v[16:17], -v[16:17]
	v_cmp_ne_u32_e32 vcc_lo, 0, v14
	v_cmp_ne_u32_e64 s0, 0x7ff00000, v21
	s_or_b32 s0, vcc_lo, s0
	s_delay_alu instid0(SALU_CYCLE_1) | instskip(NEXT) | instid1(SALU_CYCLE_1)
	s_and_saveexec_b32 s2, s0
	s_xor_b32 s0, exec_lo, s2
; %bb.311:                              ;   in Loop: Header=BB253_233 Depth=1
                                        ; implicit-def: $vgpr34_vgpr35
                                        ; implicit-def: $vgpr14_vgpr15
; %bb.312:                              ;   in Loop: Header=BB253_233 Depth=1
	s_delay_alu instid0(SALU_CYCLE_1)
	s_or_saveexec_b32 s0, s0
	v_mov_b64_e32 v[32:33], v[30:31]
	s_xor_b32 exec_lo, exec_lo, s0
; %bb.313:                              ;   in Loop: Header=BB253_233 Depth=1
	v_cmp_lt_i64_e32 vcc_lo, -1, v[34:35]
	v_dual_cndmask_b32 v33, 0, v35 :: v_dual_cndmask_b32 v32, 0, v14
	v_dual_cndmask_b32 v31, 0, v31 :: v_dual_cndmask_b32 v30, 0, v30
; %bb.314:                              ;   in Loop: Header=BB253_233 Depth=1
	s_or_b32 exec_lo, exec_lo, s0
.LBB253_315:                            ;   in Loop: Header=BB253_233 Depth=1
	s_delay_alu instid0(SALU_CYCLE_1)
	s_or_b32 exec_lo, exec_lo, s1
                                        ; implicit-def: $vgpr16_vgpr17
.LBB253_316:                            ;   in Loop: Header=BB253_233 Depth=1
	s_and_not1_saveexec_b32 s2, s25
	s_cbranch_execz .LBB253_326
; %bb.317:                              ;   in Loop: Header=BB253_233 Depth=1
	v_cmp_ngt_f64_e64 s0, 0x41d00000, |v[16:17]|
                                        ; implicit-def: $vgpr30
                                        ; implicit-def: $vgpr14_vgpr15
                                        ; implicit-def: $vgpr32_vgpr33
	s_and_saveexec_b32 s1, s0
	s_delay_alu instid0(SALU_CYCLE_1)
	s_xor_b32 s1, exec_lo, s1
	s_cbranch_execz .LBB253_319
; %bb.318:                              ;   in Loop: Header=BB253_233 Depth=1
	v_ldexp_f64 v[14:15], |v[16:17]|, 0xffffff80
	v_cmp_le_f64_e64 vcc_lo, 0x7b000000, |v[16:17]|
	v_trig_preop_f64 v[32:33], |v[16:17]|, 0
	v_and_b32_e32 v21, 0x7fffffff, v17
	v_trig_preop_f64 v[34:35], |v[16:17]|, 1
	v_trig_preop_f64 v[44:45], |v[16:17]|, 2
	s_delay_alu instid0(VALU_DEP_3) | instskip(NEXT) | instid1(VALU_DEP_1)
	v_dual_cndmask_b32 v15, v21, v15 :: v_dual_cndmask_b32 v14, v16, v14
	v_mul_f64_e32 v[36:37], v[32:33], v[14:15]
	s_delay_alu instid0(VALU_DEP_4) | instskip(NEXT) | instid1(VALU_DEP_4)
	v_mul_f64_e32 v[38:39], v[34:35], v[14:15]
	v_mul_f64_e32 v[50:51], v[44:45], v[14:15]
	s_delay_alu instid0(VALU_DEP_3) | instskip(NEXT) | instid1(VALU_DEP_3)
	v_fma_f64 v[32:33], v[32:33], v[14:15], -v[36:37]
	v_fma_f64 v[34:35], v[34:35], v[14:15], -v[38:39]
	s_delay_alu instid0(VALU_DEP_3) | instskip(NEXT) | instid1(VALU_DEP_3)
	v_fma_f64 v[14:15], v[44:45], v[14:15], -v[50:51]
	v_add_f64_e32 v[40:41], v[38:39], v[32:33]
	s_delay_alu instid0(VALU_DEP_1) | instskip(SKIP_1) | instid1(VALU_DEP_2)
	v_add_f64_e64 v[42:43], v[40:41], -v[38:39]
	v_add_f64_e32 v[48:49], v[36:37], v[40:41]
	v_add_f64_e64 v[46:47], v[40:41], -v[42:43]
	v_add_f64_e64 v[32:33], v[32:33], -v[42:43]
	s_delay_alu instid0(VALU_DEP_3) | instskip(NEXT) | instid1(VALU_DEP_3)
	v_ldexp_f64 v[42:43], v[48:49], -2
	v_add_f64_e64 v[38:39], v[38:39], -v[46:47]
	v_add_f64_e32 v[46:47], v[50:51], v[34:35]
	s_delay_alu instid0(VALU_DEP_3) | instskip(NEXT) | instid1(VALU_DEP_3)
	v_cmp_neq_f64_e64 vcc_lo, 0x7ff00000, |v[42:43]|
	v_add_f64_e32 v[32:33], v[32:33], v[38:39]
	v_fract_f64_e32 v[38:39], v[42:43]
	s_delay_alu instid0(VALU_DEP_1) | instskip(NEXT) | instid1(VALU_DEP_1)
	v_ldexp_f64 v[38:39], v[38:39], 2
	v_dual_add_f64 v[36:37], v[48:49], -v[36:37] :: v_dual_cndmask_b32 v38, 0, v38, vcc_lo
	s_delay_alu instid0(VALU_DEP_1) | instskip(SKIP_1) | instid1(VALU_DEP_1)
	v_dual_add_f64 v[36:37], v[40:41], -v[36:37] :: v_dual_cndmask_b32 v39, 0, v39, vcc_lo
	v_add_f64_e32 v[40:41], v[46:47], v[32:33]
	v_add_f64_e32 v[42:43], v[36:37], v[40:41]
	v_add_f64_e64 v[52:53], v[40:41], -v[46:47]
	s_delay_alu instid0(VALU_DEP_2) | instskip(NEXT) | instid1(VALU_DEP_2)
	v_add_f64_e32 v[48:49], v[42:43], v[38:39]
	v_add_f64_e64 v[58:59], v[40:41], -v[52:53]
	v_add_f64_e64 v[32:33], v[32:33], -v[52:53]
	;; [unrolled: 1-line block ×3, first 2 shown]
	s_delay_alu instid0(VALU_DEP_4) | instskip(SKIP_1) | instid1(VALU_DEP_3)
	v_cmp_gt_f64_e32 vcc_lo, 0, v[48:49]
	v_add_f64_e64 v[48:49], v[46:47], -v[50:51]
	v_add_f64_e64 v[36:37], v[40:41], -v[36:37]
	v_cndmask_b32_e64 v21, 0, 0x40100000, vcc_lo
	s_delay_alu instid0(VALU_DEP_3) | instskip(SKIP_2) | instid1(VALU_DEP_4)
	v_add_f64_e64 v[56:57], v[46:47], -v[48:49]
	v_add_f64_e64 v[34:35], v[34:35], -v[48:49]
	;; [unrolled: 1-line block ×3, first 2 shown]
	v_add_f64_e32 v[38:39], v[38:39], v[20:21]
	s_delay_alu instid0(VALU_DEP_4) | instskip(NEXT) | instid1(VALU_DEP_3)
	v_add_f64_e64 v[48:49], v[50:51], -v[56:57]
	v_add_f64_e32 v[32:33], v[32:33], v[46:47]
	s_delay_alu instid0(VALU_DEP_3) | instskip(NEXT) | instid1(VALU_DEP_3)
	v_add_f64_e32 v[54:55], v[42:43], v[38:39]
	v_add_f64_e32 v[34:35], v[34:35], v[48:49]
	s_delay_alu instid0(VALU_DEP_2) | instskip(NEXT) | instid1(VALU_DEP_2)
	v_cvt_i32_f64_e32 v21, v[54:55]
	v_add_f64_e32 v[32:33], v[34:35], v[32:33]
	s_delay_alu instid0(VALU_DEP_2) | instskip(NEXT) | instid1(VALU_DEP_2)
	v_cvt_f64_i32_e32 v[52:53], v21
	v_add_f64_e32 v[14:15], v[14:15], v[32:33]
	s_delay_alu instid0(VALU_DEP_2) | instskip(NEXT) | instid1(VALU_DEP_2)
	v_add_f64_e64 v[38:39], v[38:39], -v[52:53]
	v_add_f64_e32 v[14:15], v[36:37], v[14:15]
	s_delay_alu instid0(VALU_DEP_2) | instskip(NEXT) | instid1(VALU_DEP_1)
	v_add_f64_e32 v[34:35], v[42:43], v[38:39]
	v_add_f64_e64 v[32:33], v[34:35], -v[38:39]
	v_cmp_le_f64_e32 vcc_lo, 0.5, v[34:35]
	s_delay_alu instid0(VALU_DEP_2) | instskip(SKIP_2) | instid1(VALU_DEP_3)
	v_add_f64_e64 v[32:33], v[42:43], -v[32:33]
	v_add_co_ci_u32_e64 v30, null, 0, v21, vcc_lo
	v_cndmask_b32_e64 v21, 0, 0x3ff00000, vcc_lo
	v_add_f64_e32 v[14:15], v[14:15], v[32:33]
	s_delay_alu instid0(VALU_DEP_2) | instskip(NEXT) | instid1(VALU_DEP_1)
	v_add_f64_e64 v[32:33], v[34:35], -v[20:21]
	v_add_f64_e32 v[34:35], v[32:33], v[14:15]
	s_delay_alu instid0(VALU_DEP_1) | instskip(SKIP_1) | instid1(VALU_DEP_2)
	v_mul_f64_e32 v[36:37], 0x3ff921fb54442d18, v[34:35]
	v_add_f64_e64 v[32:33], v[34:35], -v[32:33]
	v_fma_f64 v[38:39], v[34:35], s[6:7], -v[36:37]
	s_delay_alu instid0(VALU_DEP_2) | instskip(NEXT) | instid1(VALU_DEP_2)
	v_add_f64_e64 v[14:15], v[14:15], -v[32:33]
	v_fmac_f64_e32 v[38:39], 0x3c91a62633145c07, v[34:35]
	s_delay_alu instid0(VALU_DEP_1) | instskip(NEXT) | instid1(VALU_DEP_1)
	v_fmac_f64_e32 v[38:39], 0x3ff921fb54442d18, v[14:15]
	v_add_f64_e32 v[14:15], v[36:37], v[38:39]
	s_delay_alu instid0(VALU_DEP_1) | instskip(NEXT) | instid1(VALU_DEP_1)
	v_add_f64_e64 v[32:33], v[14:15], -v[36:37]
	v_add_f64_e64 v[32:33], v[38:39], -v[32:33]
	s_and_not1_saveexec_b32 s1, s1
	s_cbranch_execz .LBB253_321
	s_branch .LBB253_320
.LBB253_319:                            ;   in Loop: Header=BB253_233 Depth=1
	s_and_not1_saveexec_b32 s1, s1
	s_cbranch_execz .LBB253_321
.LBB253_320:                            ;   in Loop: Header=BB253_233 Depth=1
	v_mul_f64_e64 v[14:15], |v[16:17]|, s[8:9]
	s_delay_alu instid0(VALU_DEP_1) | instskip(NEXT) | instid1(VALU_DEP_1)
	v_rndne_f64_e32 v[34:35], v[14:15]
	v_fma_f64 v[14:15], v[34:35], s[10:11], |v[16:17]|
	v_mul_f64_e32 v[32:33], 0xbc91a62633145c00, v[34:35]
	v_cvt_i32_f64_e32 v30, v[34:35]
	s_delay_alu instid0(VALU_DEP_3) | instskip(NEXT) | instid1(VALU_DEP_3)
	v_fmamk_f64 v[40:41], v[34:35], 0xbc91a62633145c00, v[14:15]
	v_add_f64_e32 v[36:37], v[14:15], v[32:33]
	s_delay_alu instid0(VALU_DEP_1) | instskip(NEXT) | instid1(VALU_DEP_3)
	v_add_f64_e64 v[38:39], v[14:15], -v[36:37]
	v_add_f64_e64 v[14:15], v[36:37], -v[40:41]
	s_delay_alu instid0(VALU_DEP_2) | instskip(SKIP_1) | instid1(VALU_DEP_2)
	v_add_f64_e32 v[36:37], v[38:39], v[32:33]
	v_fmamk_f64 v[32:33], v[34:35], 0x3c91a62633145c00, v[32:33]
	v_add_f64_e32 v[14:15], v[14:15], v[36:37]
	s_delay_alu instid0(VALU_DEP_1) | instskip(NEXT) | instid1(VALU_DEP_1)
	v_add_f64_e64 v[32:33], v[14:15], -v[32:33]
	v_fmac_f64_e32 v[32:33], 0xb97b839a252049c0, v[34:35]
	s_delay_alu instid0(VALU_DEP_1) | instskip(NEXT) | instid1(VALU_DEP_1)
	v_add_f64_e32 v[14:15], v[40:41], v[32:33]
	v_add_f64_e64 v[36:37], v[14:15], -v[40:41]
	s_delay_alu instid0(VALU_DEP_1)
	v_add_f64_e64 v[32:33], v[32:33], -v[36:37]
.LBB253_321:                            ;   in Loop: Header=BB253_233 Depth=1
	s_or_b32 exec_lo, exec_lo, s1
                                        ; implicit-def: $vgpr38
                                        ; implicit-def: $vgpr34_vgpr35
                                        ; implicit-def: $vgpr36_vgpr37
	s_and_saveexec_b32 s1, s0
	s_delay_alu instid0(SALU_CYCLE_1)
	s_xor_b32 s0, exec_lo, s1
	s_cbranch_execz .LBB253_323
; %bb.322:                              ;   in Loop: Header=BB253_233 Depth=1
	v_ldexp_f64 v[34:35], |v[16:17]|, 0xffffff80
	v_cmp_le_f64_e64 vcc_lo, 0x7b000000, |v[16:17]|
	v_trig_preop_f64 v[36:37], |v[16:17]|, 0
	v_and_b32_e32 v21, 0x7fffffff, v17
	v_trig_preop_f64 v[38:39], |v[16:17]|, 1
	v_trig_preop_f64 v[48:49], |v[16:17]|, 2
	s_delay_alu instid0(VALU_DEP_3) | instskip(NEXT) | instid1(VALU_DEP_1)
	v_dual_cndmask_b32 v35, v21, v35 :: v_dual_cndmask_b32 v34, v16, v34
	v_mul_f64_e32 v[40:41], v[36:37], v[34:35]
	s_delay_alu instid0(VALU_DEP_4) | instskip(NEXT) | instid1(VALU_DEP_4)
	v_mul_f64_e32 v[42:43], v[38:39], v[34:35]
	v_mul_f64_e32 v[54:55], v[48:49], v[34:35]
	s_delay_alu instid0(VALU_DEP_3) | instskip(NEXT) | instid1(VALU_DEP_3)
	v_fma_f64 v[36:37], v[36:37], v[34:35], -v[40:41]
	v_fma_f64 v[38:39], v[38:39], v[34:35], -v[42:43]
	s_delay_alu instid0(VALU_DEP_3) | instskip(NEXT) | instid1(VALU_DEP_3)
	v_fma_f64 v[34:35], v[48:49], v[34:35], -v[54:55]
	v_add_f64_e32 v[44:45], v[42:43], v[36:37]
	s_delay_alu instid0(VALU_DEP_1) | instskip(SKIP_1) | instid1(VALU_DEP_2)
	v_add_f64_e64 v[46:47], v[44:45], -v[42:43]
	v_add_f64_e32 v[52:53], v[40:41], v[44:45]
	v_add_f64_e64 v[50:51], v[44:45], -v[46:47]
	v_add_f64_e64 v[36:37], v[36:37], -v[46:47]
	s_delay_alu instid0(VALU_DEP_3) | instskip(NEXT) | instid1(VALU_DEP_3)
	v_ldexp_f64 v[46:47], v[52:53], -2
	v_add_f64_e64 v[42:43], v[42:43], -v[50:51]
	v_add_f64_e32 v[50:51], v[54:55], v[38:39]
	s_delay_alu instid0(VALU_DEP_3) | instskip(NEXT) | instid1(VALU_DEP_3)
	v_cmp_neq_f64_e64 vcc_lo, 0x7ff00000, |v[46:47]|
	v_add_f64_e32 v[36:37], v[36:37], v[42:43]
	v_fract_f64_e32 v[42:43], v[46:47]
	s_delay_alu instid0(VALU_DEP_1) | instskip(NEXT) | instid1(VALU_DEP_1)
	v_ldexp_f64 v[42:43], v[42:43], 2
	v_dual_add_f64 v[40:41], v[52:53], -v[40:41] :: v_dual_cndmask_b32 v42, 0, v42, vcc_lo
	s_delay_alu instid0(VALU_DEP_1) | instskip(SKIP_1) | instid1(VALU_DEP_1)
	v_dual_add_f64 v[40:41], v[44:45], -v[40:41] :: v_dual_cndmask_b32 v43, 0, v43, vcc_lo
	v_add_f64_e32 v[44:45], v[50:51], v[36:37]
	v_add_f64_e32 v[46:47], v[40:41], v[44:45]
	v_add_f64_e64 v[56:57], v[44:45], -v[50:51]
	s_delay_alu instid0(VALU_DEP_2) | instskip(NEXT) | instid1(VALU_DEP_2)
	v_add_f64_e32 v[52:53], v[46:47], v[42:43]
	v_add_f64_e64 v[62:63], v[44:45], -v[56:57]
	v_add_f64_e64 v[36:37], v[36:37], -v[56:57]
	;; [unrolled: 1-line block ×3, first 2 shown]
	s_delay_alu instid0(VALU_DEP_4) | instskip(SKIP_2) | instid1(VALU_DEP_2)
	v_cmp_gt_f64_e32 vcc_lo, 0, v[52:53]
	v_add_f64_e64 v[52:53], v[50:51], -v[54:55]
	v_cndmask_b32_e64 v21, 0, 0x40100000, vcc_lo
	v_add_f64_e64 v[60:61], v[50:51], -v[52:53]
	v_add_f64_e64 v[38:39], v[38:39], -v[52:53]
	v_add_f64_e64 v[50:51], v[50:51], -v[62:63]
	s_delay_alu instid0(VALU_DEP_4) | instskip(NEXT) | instid1(VALU_DEP_4)
	v_add_f64_e32 v[42:43], v[42:43], v[20:21]
	v_add_f64_e64 v[52:53], v[54:55], -v[60:61]
	s_delay_alu instid0(VALU_DEP_3) | instskip(NEXT) | instid1(VALU_DEP_3)
	v_add_f64_e32 v[36:37], v[36:37], v[50:51]
	v_add_f64_e32 v[58:59], v[46:47], v[42:43]
	s_delay_alu instid0(VALU_DEP_3) | instskip(NEXT) | instid1(VALU_DEP_2)
	v_add_f64_e32 v[38:39], v[38:39], v[52:53]
	v_cvt_i32_f64_e32 v21, v[58:59]
	s_delay_alu instid0(VALU_DEP_2) | instskip(SKIP_1) | instid1(VALU_DEP_3)
	v_add_f64_e32 v[36:37], v[38:39], v[36:37]
	v_add_f64_e64 v[38:39], v[44:45], -v[40:41]
	v_cvt_f64_i32_e32 v[56:57], v21
	s_delay_alu instid0(VALU_DEP_3) | instskip(NEXT) | instid1(VALU_DEP_2)
	v_add_f64_e32 v[34:35], v[34:35], v[36:37]
	v_add_f64_e64 v[42:43], v[42:43], -v[56:57]
	s_delay_alu instid0(VALU_DEP_2) | instskip(NEXT) | instid1(VALU_DEP_2)
	v_add_f64_e32 v[34:35], v[38:39], v[34:35]
	v_add_f64_e32 v[48:49], v[46:47], v[42:43]
	s_delay_alu instid0(VALU_DEP_1) | instskip(SKIP_1) | instid1(VALU_DEP_2)
	v_add_f64_e64 v[36:37], v[48:49], -v[42:43]
	v_cmp_le_f64_e32 vcc_lo, 0.5, v[48:49]
	v_add_f64_e64 v[36:37], v[46:47], -v[36:37]
	v_add_co_ci_u32_e64 v38, null, 0, v21, vcc_lo
	v_cndmask_b32_e64 v21, 0, 0x3ff00000, vcc_lo
	s_delay_alu instid0(VALU_DEP_3) | instskip(NEXT) | instid1(VALU_DEP_2)
	v_add_f64_e32 v[34:35], v[34:35], v[36:37]
	v_add_f64_e64 v[36:37], v[48:49], -v[20:21]
	s_delay_alu instid0(VALU_DEP_1) | instskip(NEXT) | instid1(VALU_DEP_1)
	v_add_f64_e32 v[40:41], v[36:37], v[34:35]
	v_mul_f64_e32 v[42:43], 0x3ff921fb54442d18, v[40:41]
	v_add_f64_e64 v[36:37], v[40:41], -v[36:37]
	s_delay_alu instid0(VALU_DEP_2) | instskip(NEXT) | instid1(VALU_DEP_2)
	v_fma_f64 v[44:45], v[40:41], s[6:7], -v[42:43]
	v_add_f64_e64 v[34:35], v[34:35], -v[36:37]
	s_delay_alu instid0(VALU_DEP_2) | instskip(NEXT) | instid1(VALU_DEP_1)
	v_fmac_f64_e32 v[44:45], 0x3c91a62633145c07, v[40:41]
	v_fmac_f64_e32 v[44:45], 0x3ff921fb54442d18, v[34:35]
	s_delay_alu instid0(VALU_DEP_1) | instskip(NEXT) | instid1(VALU_DEP_1)
	v_add_f64_e32 v[34:35], v[42:43], v[44:45]
	v_add_f64_e64 v[36:37], v[34:35], -v[42:43]
	s_delay_alu instid0(VALU_DEP_1)
	v_add_f64_e64 v[36:37], v[44:45], -v[36:37]
	s_and_not1_saveexec_b32 s0, s0
	s_cbranch_execnz .LBB253_324
	s_branch .LBB253_325
.LBB253_323:                            ;   in Loop: Header=BB253_233 Depth=1
	s_and_not1_saveexec_b32 s0, s0
	s_cbranch_execz .LBB253_325
.LBB253_324:                            ;   in Loop: Header=BB253_233 Depth=1
	v_mul_f64_e64 v[34:35], |v[16:17]|, s[8:9]
	s_delay_alu instid0(VALU_DEP_1) | instskip(NEXT) | instid1(VALU_DEP_1)
	v_rndne_f64_e32 v[38:39], v[34:35]
	v_fma_f64 v[34:35], v[38:39], s[10:11], |v[16:17]|
	v_mul_f64_e32 v[36:37], 0xbc91a62633145c00, v[38:39]
	s_delay_alu instid0(VALU_DEP_2) | instskip(NEXT) | instid1(VALU_DEP_2)
	v_fmamk_f64 v[44:45], v[38:39], 0xbc91a62633145c00, v[34:35]
	v_add_f64_e32 v[40:41], v[34:35], v[36:37]
	s_delay_alu instid0(VALU_DEP_1) | instskip(NEXT) | instid1(VALU_DEP_3)
	v_add_f64_e64 v[42:43], v[34:35], -v[40:41]
	v_add_f64_e64 v[34:35], v[40:41], -v[44:45]
	s_delay_alu instid0(VALU_DEP_2) | instskip(SKIP_1) | instid1(VALU_DEP_2)
	v_add_f64_e32 v[40:41], v[42:43], v[36:37]
	v_fmamk_f64 v[36:37], v[38:39], 0x3c91a62633145c00, v[36:37]
	v_add_f64_e32 v[34:35], v[34:35], v[40:41]
	s_delay_alu instid0(VALU_DEP_1) | instskip(NEXT) | instid1(VALU_DEP_1)
	v_add_f64_e64 v[36:37], v[34:35], -v[36:37]
	v_fmac_f64_e32 v[36:37], 0xb97b839a252049c0, v[38:39]
	v_cvt_i32_f64_e32 v38, v[38:39]
	s_delay_alu instid0(VALU_DEP_2) | instskip(NEXT) | instid1(VALU_DEP_1)
	v_add_f64_e32 v[34:35], v[44:45], v[36:37]
	v_add_f64_e64 v[40:41], v[34:35], -v[44:45]
	s_delay_alu instid0(VALU_DEP_1)
	v_add_f64_e64 v[36:37], v[36:37], -v[40:41]
.LBB253_325:                            ;   in Loop: Header=BB253_233 Depth=1
	s_or_b32 exec_lo, exec_lo, s0
	v_cmp_class_f64_e64 s0, v[16:17], 0x1f8
	v_mul_f64_e32 v[40:41], v[14:15], v[14:15]
	v_mul_f64_e32 v[42:43], v[34:35], v[34:35]
	s_delay_alu instid0(VALU_DEP_4) | instskip(SKIP_2) | instid1(VALU_DEP_3)
	v_dual_mul_f64 v[52:53], 0.5, v[32:33] :: v_dual_bitop2_b32 v16, 1, v38 bitop3:0x40
	v_dual_mul_f64 v[60:61], 0.5, v[36:37] :: v_dual_bitop2_b32 v21, 1, v30 bitop3:0x40
	v_lshlrev_b32_e32 v17, 30, v38
	v_cmp_eq_u32_e64 s1, 0, v16
	v_lshlrev_b32_e32 v16, 30, v30
	s_delay_alu instid0(VALU_DEP_4) | instskip(NEXT) | instid1(VALU_DEP_4)
	v_cmp_eq_u32_e32 vcc_lo, 0, v21
	v_dual_mul_f64 v[44:45], 0.5, v[40:41] :: v_dual_bitop2_b32 v17, v17, v31 bitop3:0x14
	v_mul_f64_e64 v[54:55], v[14:15], -v[40:41]
	v_fmamk_f64 v[58:59], v[40:41], 0x3de5e0b2f9a43bb8, v[26:27]
	v_mul_f64_e64 v[62:63], v[34:35], -v[42:43]
	v_fmamk_f64 v[66:67], v[42:43], 0x3de5e0b2f9a43bb8, v[26:27]
	s_delay_alu instid0(VALU_DEP_3) | instskip(NEXT) | instid1(VALU_DEP_1)
	v_fmaak_f64 v[58:59], v[40:41], v[58:59], 0x3ec71de3796cde01
	v_fmaak_f64 v[58:59], v[40:41], v[58:59], 0xbf2a01a019e83e5c
	s_delay_alu instid0(VALU_DEP_1) | instskip(SKIP_1) | instid1(VALU_DEP_2)
	v_fmaak_f64 v[58:59], v[40:41], v[58:59], 0x3f81111111110bb3
	v_add_f64_e64 v[48:49], -v[44:45], 1.0
	v_fmac_f64_e32 v[52:53], v[54:55], v[58:59]
	v_mul_f64_e32 v[58:59], v[40:41], v[40:41]
	s_delay_alu instid0(VALU_DEP_3) | instskip(NEXT) | instid1(VALU_DEP_3)
	v_add_f64_e64 v[56:57], -v[48:49], 1.0
	v_fma_f64 v[52:53], v[40:41], v[52:53], -v[32:33]
	s_delay_alu instid0(VALU_DEP_2) | instskip(SKIP_1) | instid1(VALU_DEP_3)
	v_add_f64_e64 v[44:45], v[56:57], -v[44:45]
	v_fmaak_f64 v[56:57], v[42:43], v[66:67], 0x3ec71de3796cde01
	v_fmac_f64_e32 v[52:53], 0xbfc5555555555555, v[54:55]
	s_delay_alu instid0(VALU_DEP_2) | instskip(NEXT) | instid1(VALU_DEP_1)
	v_fmaak_f64 v[56:57], v[42:43], v[56:57], 0xbf2a01a019e83e5c
	v_fmaak_f64 v[56:57], v[42:43], v[56:57], 0x3f81111111110bb3
	s_delay_alu instid0(VALU_DEP_1) | instskip(SKIP_2) | instid1(VALU_DEP_2)
	v_fmac_f64_e32 v[60:61], v[62:63], v[56:57]
	v_fmamk_f64 v[56:57], v[40:41], 0xbda907db46cc5e42, v[24:25]
	v_fma_f64 v[32:33], v[14:15], -v[32:33], v[44:45]
	v_fmaak_f64 v[44:45], v[40:41], v[56:57], 0xbe927e4fa17f65f6
	v_add_f64_e64 v[14:15], v[14:15], -v[52:53]
	v_fmamk_f64 v[56:57], v[42:43], 0xbda907db46cc5e42, v[24:25]
	s_delay_alu instid0(VALU_DEP_3) | instskip(NEXT) | instid1(VALU_DEP_1)
	v_fmaak_f64 v[44:45], v[40:41], v[44:45], 0x3efa01a019f4ec90
	v_fmaak_f64 v[44:45], v[40:41], v[44:45], 0xbf56c16c16c16967
	s_delay_alu instid0(VALU_DEP_1) | instskip(SKIP_2) | instid1(VALU_DEP_3)
	v_fmaak_f64 v[40:41], v[40:41], v[44:45], 0x3fa5555555555555
	v_fma_f64 v[60:61], v[42:43], v[60:61], -v[36:37]
	v_fmaak_f64 v[44:45], v[42:43], v[56:57], 0xbe927e4fa17f65f6
	v_fmac_f64_e32 v[32:33], v[58:59], v[40:41]
	s_delay_alu instid0(VALU_DEP_2) | instskip(SKIP_1) | instid1(VALU_DEP_2)
	v_fmaak_f64 v[40:41], v[42:43], v[44:45], 0x3efa01a019f4ec90
	v_xor_b32_e32 v15, 0x80000000, v15
	v_fmaak_f64 v[40:41], v[42:43], v[40:41], 0xbf56c16c16c16967
	s_delay_alu instid0(VALU_DEP_1) | instskip(SKIP_2) | instid1(VALU_DEP_1)
	v_fmaak_f64 v[40:41], v[42:43], v[40:41], 0x3fa5555555555555
	v_fmac_f64_e32 v[60:61], 0xbfc5555555555555, v[62:63]
	v_add_f64_e32 v[32:33], v[48:49], v[32:33]
	v_dual_mul_f64 v[46:47], 0.5, v[42:43] :: v_dual_cndmask_b32 v14, v14, v32, vcc_lo
	s_delay_alu instid0(VALU_DEP_1) | instskip(NEXT) | instid1(VALU_DEP_2)
	v_add_f64_e64 v[50:51], -v[46:47], 1.0
	v_dual_cndmask_b32 v15, v15, v33, vcc_lo :: v_dual_cndmask_b32 v32, 0, v14, s0
	s_delay_alu instid0(VALU_DEP_1) | instskip(NEXT) | instid1(VALU_DEP_1)
	v_bitop3_b32 v15, v15, v16, 0x80000000 bitop3:0x78
	v_cndmask_b32_e64 v33, 0x7ff80000, v15, s0
	s_delay_alu instid0(VALU_DEP_4) | instskip(NEXT) | instid1(VALU_DEP_1)
	v_add_f64_e64 v[64:65], -v[50:51], 1.0
	v_add_f64_e64 v[46:47], v[64:65], -v[46:47]
	v_mul_f64_e32 v[64:65], v[42:43], v[42:43]
	s_delay_alu instid0(VALU_DEP_2) | instskip(SKIP_1) | instid1(VALU_DEP_2)
	v_fma_f64 v[36:37], v[34:35], -v[36:37], v[46:47]
	v_add_f64_e64 v[34:35], v[34:35], -v[60:61]
	v_fmac_f64_e32 v[36:37], v[64:65], v[40:41]
	s_delay_alu instid0(VALU_DEP_1) | instskip(NEXT) | instid1(VALU_DEP_1)
	v_add_f64_e32 v[36:37], v[50:51], v[36:37]
	v_dual_cndmask_b32 v30, v37, v35, s1 :: v_dual_cndmask_b32 v21, v36, v34, s1
	s_delay_alu instid0(VALU_DEP_1) | instskip(NEXT) | instid1(VALU_DEP_2)
	v_bitop3_b32 v16, v30, v17, 0x80000000 bitop3:0x78
	v_cndmask_b32_e64 v30, 0, v21, s0
	s_delay_alu instid0(VALU_DEP_2)
	v_cndmask_b32_e64 v31, 0x7ff80000, v16, s0
.LBB253_326:                            ;   in Loop: Header=BB253_233 Depth=1
	s_or_b32 exec_lo, exec_lo, s2
                                        ; implicit-def: $vgpr14_vgpr15
.LBB253_327:                            ;   in Loop: Header=BB253_233 Depth=1
	s_and_not1_saveexec_b32 s1, s24
	s_cbranch_execz .LBB253_329
; %bb.328:                              ;   in Loop: Header=BB253_233 Depth=1
	v_mul_f64_e32 v[16:17], 0xbff71547652b82fe, v[14:15]
	v_cmp_ngt_f64_e32 vcc_lo, 0xc0900000, v[14:15]
	v_cmp_nlt_f64_e64 s0, 0x4090cc00, v[14:15]
	s_delay_alu instid0(VALU_DEP_3) | instskip(NEXT) | instid1(VALU_DEP_1)
	v_rndne_f64_e32 v[16:17], v[16:17]
	v_fma_f64 v[32:33], v[16:17], s[16:17], -v[14:15]
	v_cvt_i32_f64_e32 v21, v[16:17]
	s_delay_alu instid0(VALU_DEP_2) | instskip(NEXT) | instid1(VALU_DEP_1)
	v_fmac_f64_e32 v[32:33], 0xbc7abc9e3b39803f, v[16:17]
	v_fmamk_f64 v[34:35], v[32:33], 0x3e5ade156a5dcb37, v[22:23]
	s_delay_alu instid0(VALU_DEP_1) | instskip(NEXT) | instid1(VALU_DEP_1)
	v_fmaak_f64 v[34:35], v[32:33], v[34:35], 0x3ec71dee623fde64
	v_fmaak_f64 v[34:35], v[32:33], v[34:35], 0x3efa01997c89e6b0
	s_delay_alu instid0(VALU_DEP_1) | instskip(NEXT) | instid1(VALU_DEP_1)
	v_fmaak_f64 v[34:35], v[32:33], v[34:35], 0x3f2a01a014761f6e
	v_fmaak_f64 v[34:35], v[32:33], v[34:35], 0x3f56c16c1852b7b0
	;; [unrolled: 3-line block ×4, first 2 shown]
	s_delay_alu instid0(VALU_DEP_1) | instskip(NEXT) | instid1(VALU_DEP_1)
	v_fma_f64 v[34:35], v[32:33], v[34:35], 1.0
	v_fma_f64 v[16:17], v[32:33], v[34:35], 1.0
	s_delay_alu instid0(VALU_DEP_1) | instskip(NEXT) | instid1(VALU_DEP_1)
	v_ldexp_f64 v[16:17], v[16:17], v21
	v_cndmask_b32_e32 v17, 0x7ff00000, v17, vcc_lo
	s_and_b32 vcc_lo, s0, vcc_lo
	s_delay_alu instid0(VALU_DEP_1) | instid1(SALU_CYCLE_1)
	v_dual_cndmask_b32 v32, 0, v16, vcc_lo :: v_dual_cndmask_b32 v33, 0, v17, s0
.LBB253_329:                            ;   in Loop: Header=BB253_233 Depth=1
	s_or_b32 exec_lo, exec_lo, s1
	s_delay_alu instid0(VALU_DEP_1) | instskip(SKIP_1) | instid1(VALU_DEP_1)
	v_add_f64_e32 v[30:31], s[14:15], v[30:31]
	s_mov_b32 s0, exec_lo
	v_xor_b32_e32 v15, 0x80000000, v31
	s_delay_alu instid0(VALU_DEP_3) | instskip(NEXT) | instid1(VALU_DEP_1)
	v_add_f64_e32 v[32:33], s[12:13], v[32:33]
	v_cmp_gt_f64_e32 vcc_lo, 0, v[32:33]
	v_xor_b32_e32 v14, 0x80000000, v33
	s_delay_alu instid0(VALU_DEP_1) | instskip(SKIP_3) | instid1(VALU_DEP_1)
	v_cndmask_b32_e32 v35, v33, v14, vcc_lo
	v_cmp_gt_f64_e32 vcc_lo, 0, v[30:31]
	v_dual_cndmask_b32 v37, v31, v15 :: v_dual_mov_b32 v34, v32
	v_mov_b32_e32 v36, v30
                                        ; implicit-def: $vgpr16_vgpr17
	v_cmpx_ge_f64_e32 v[34:35], v[36:37]
	s_xor_b32 s1, exec_lo, s0
	s_cbranch_execz .LBB253_335
; %bb.330:                              ;   in Loop: Header=BB253_233 Depth=1
	v_cmp_neq_f64_e32 vcc_lo, 0, v[32:33]
	v_cmp_neq_f64_e64 s0, 0, v[30:31]
                                        ; implicit-def: $vgpr16_vgpr17
	s_or_b32 s0, vcc_lo, s0
	s_delay_alu instid0(SALU_CYCLE_1) | instskip(NEXT) | instid1(SALU_CYCLE_1)
	s_and_saveexec_b32 s2, s0
	s_xor_b32 s0, exec_lo, s2
	s_cbranch_execz .LBB253_332
; %bb.331:                              ;   in Loop: Header=BB253_233 Depth=1
	v_div_scale_f64 v[14:15], null, v[32:33], v[32:33], v[30:31]
	v_div_scale_f64 v[36:37], vcc_lo, v[30:31], v[32:33], v[30:31]
	s_delay_alu instid0(VALU_DEP_2) | instskip(SKIP_1) | instid1(TRANS32_DEP_1)
	v_rcp_f64_e32 v[16:17], v[14:15]
	v_nop
	v_fma_f64 v[34:35], -v[14:15], v[16:17], 1.0
	s_delay_alu instid0(VALU_DEP_1) | instskip(NEXT) | instid1(VALU_DEP_1)
	v_fmac_f64_e32 v[16:17], v[16:17], v[34:35]
	v_fma_f64 v[34:35], -v[14:15], v[16:17], 1.0
	s_delay_alu instid0(VALU_DEP_1) | instskip(NEXT) | instid1(VALU_DEP_1)
	v_fmac_f64_e32 v[16:17], v[16:17], v[34:35]
	v_mul_f64_e32 v[34:35], v[36:37], v[16:17]
	s_delay_alu instid0(VALU_DEP_1) | instskip(NEXT) | instid1(VALU_DEP_1)
	v_fma_f64 v[14:15], -v[14:15], v[34:35], v[36:37]
	v_div_fmas_f64 v[14:15], v[14:15], v[16:17], v[34:35]
	s_delay_alu instid0(VALU_DEP_1) | instskip(NEXT) | instid1(VALU_DEP_1)
	v_div_fixup_f64 v[14:15], v[14:15], v[32:33], v[30:31]
	v_fmac_f64_e32 v[32:33], v[30:31], v[14:15]
	s_delay_alu instid0(VALU_DEP_1) | instskip(SKIP_1) | instid1(VALU_DEP_2)
	v_div_scale_f64 v[16:17], null, v[32:33], v[32:33], 1.0
	v_div_scale_f64 v[36:37], vcc_lo, 1.0, v[32:33], 1.0
	v_rcp_f64_e32 v[30:31], v[16:17]
	v_nop
	s_delay_alu instid0(TRANS32_DEP_1) | instskip(NEXT) | instid1(VALU_DEP_1)
	v_fma_f64 v[34:35], -v[16:17], v[30:31], 1.0
	v_fmac_f64_e32 v[30:31], v[30:31], v[34:35]
	s_delay_alu instid0(VALU_DEP_1) | instskip(NEXT) | instid1(VALU_DEP_1)
	v_fma_f64 v[34:35], -v[16:17], v[30:31], 1.0
	v_fmac_f64_e32 v[30:31], v[30:31], v[34:35]
	s_delay_alu instid0(VALU_DEP_1) | instskip(NEXT) | instid1(VALU_DEP_1)
	v_mul_f64_e32 v[34:35], v[36:37], v[30:31]
	v_fma_f64 v[16:17], -v[16:17], v[34:35], v[36:37]
                                        ; implicit-def: $vgpr36_vgpr37
	s_delay_alu instid0(VALU_DEP_1) | instskip(SKIP_1) | instid1(VALU_DEP_2)
	v_div_fmas_f64 v[16:17], v[16:17], v[30:31], v[34:35]
	v_fma_f64 v[30:31], s[14:15], v[14:15], s[12:13]
                                        ; implicit-def: $vgpr34_vgpr35
	v_div_fixup_f64 v[16:17], v[16:17], v[32:33], 1.0
	v_fma_f64 v[32:33], -s[12:13], v[14:15], s[14:15]
	s_delay_alu instid0(VALU_DEP_2) | instskip(NEXT) | instid1(VALU_DEP_2)
	v_mul_f64_e32 v[14:15], v[30:31], v[16:17]
	v_mul_f64_e32 v[16:17], v[32:33], v[16:17]
.LBB253_332:                            ;   in Loop: Header=BB253_233 Depth=1
	s_and_not1_saveexec_b32 s2, s0
	s_cbranch_execz .LBB253_334
; %bb.333:                              ;   in Loop: Header=BB253_233 Depth=1
	v_div_scale_f64 v[14:15], null, v[34:35], v[34:35], s[12:13]
	v_div_scale_f64 v[16:17], null, v[36:37], v[36:37], s[14:15]
	v_div_scale_f64 v[42:43], vcc_lo, s[12:13], v[34:35], s[12:13]
	s_delay_alu instid0(VALU_DEP_3) | instskip(NEXT) | instid1(VALU_DEP_2)
	v_rcp_f64_e32 v[30:31], v[14:15]
	v_rcp_f64_e32 v[32:33], v[16:17]
	s_delay_alu instid0(TRANS32_DEP_2) | instskip(NEXT) | instid1(TRANS32_DEP_1)
	v_fma_f64 v[38:39], -v[14:15], v[30:31], 1.0
	v_fma_f64 v[40:41], -v[16:17], v[32:33], 1.0
	s_delay_alu instid0(VALU_DEP_2) | instskip(NEXT) | instid1(VALU_DEP_2)
	v_fmac_f64_e32 v[30:31], v[30:31], v[38:39]
	v_fmac_f64_e32 v[32:33], v[32:33], v[40:41]
	s_delay_alu instid0(VALU_DEP_2) | instskip(NEXT) | instid1(VALU_DEP_2)
	v_fma_f64 v[38:39], -v[14:15], v[30:31], 1.0
	v_fma_f64 v[40:41], -v[16:17], v[32:33], 1.0
	s_delay_alu instid0(VALU_DEP_2) | instskip(SKIP_1) | instid1(VALU_DEP_3)
	v_fmac_f64_e32 v[30:31], v[30:31], v[38:39]
	v_div_scale_f64 v[38:39], s0, s[14:15], v[36:37], s[14:15]
	v_fmac_f64_e32 v[32:33], v[32:33], v[40:41]
	s_delay_alu instid0(VALU_DEP_3) | instskip(NEXT) | instid1(VALU_DEP_2)
	v_mul_f64_e32 v[40:41], v[42:43], v[30:31]
	v_mul_f64_e32 v[44:45], v[38:39], v[32:33]
	s_delay_alu instid0(VALU_DEP_2) | instskip(NEXT) | instid1(VALU_DEP_2)
	v_fma_f64 v[14:15], -v[14:15], v[40:41], v[42:43]
	v_fma_f64 v[16:17], -v[16:17], v[44:45], v[38:39]
	s_delay_alu instid0(VALU_DEP_2) | instskip(SKIP_1) | instid1(VALU_DEP_2)
	v_div_fmas_f64 v[14:15], v[14:15], v[30:31], v[40:41]
	s_mov_b32 vcc_lo, s0
	v_div_fmas_f64 v[16:17], v[16:17], v[32:33], v[44:45]
	s_delay_alu instid0(VALU_DEP_2) | instskip(NEXT) | instid1(VALU_DEP_2)
	v_div_fixup_f64 v[14:15], v[14:15], v[34:35], s[12:13]
	v_div_fixup_f64 v[16:17], v[16:17], v[36:37], s[14:15]
.LBB253_334:                            ;   in Loop: Header=BB253_233 Depth=1
	s_or_b32 exec_lo, exec_lo, s2
                                        ; implicit-def: $vgpr30_vgpr31
                                        ; implicit-def: $vgpr32_vgpr33
.LBB253_335:                            ;   in Loop: Header=BB253_233 Depth=1
	s_and_not1_saveexec_b32 s0, s1
	s_cbranch_execz .LBB253_337
; %bb.336:                              ;   in Loop: Header=BB253_233 Depth=1
	v_div_scale_f64 v[14:15], null, v[30:31], v[30:31], v[32:33]
	v_div_scale_f64 v[36:37], vcc_lo, v[32:33], v[30:31], v[32:33]
	s_delay_alu instid0(VALU_DEP_2) | instskip(SKIP_1) | instid1(TRANS32_DEP_1)
	v_rcp_f64_e32 v[16:17], v[14:15]
	v_nop
	v_fma_f64 v[34:35], -v[14:15], v[16:17], 1.0
	s_delay_alu instid0(VALU_DEP_1) | instskip(NEXT) | instid1(VALU_DEP_1)
	v_fmac_f64_e32 v[16:17], v[16:17], v[34:35]
	v_fma_f64 v[34:35], -v[14:15], v[16:17], 1.0
	s_delay_alu instid0(VALU_DEP_1) | instskip(NEXT) | instid1(VALU_DEP_1)
	v_fmac_f64_e32 v[16:17], v[16:17], v[34:35]
	v_mul_f64_e32 v[34:35], v[36:37], v[16:17]
	s_delay_alu instid0(VALU_DEP_1) | instskip(NEXT) | instid1(VALU_DEP_1)
	v_fma_f64 v[14:15], -v[14:15], v[34:35], v[36:37]
	v_div_fmas_f64 v[14:15], v[14:15], v[16:17], v[34:35]
	s_delay_alu instid0(VALU_DEP_1) | instskip(NEXT) | instid1(VALU_DEP_1)
	v_div_fixup_f64 v[14:15], v[14:15], v[30:31], v[32:33]
	v_fmac_f64_e32 v[30:31], v[32:33], v[14:15]
	s_delay_alu instid0(VALU_DEP_1) | instskip(SKIP_1) | instid1(VALU_DEP_2)
	v_div_scale_f64 v[16:17], null, v[30:31], v[30:31], 1.0
	v_div_scale_f64 v[36:37], vcc_lo, 1.0, v[30:31], 1.0
	v_rcp_f64_e32 v[32:33], v[16:17]
	v_nop
	s_delay_alu instid0(TRANS32_DEP_1) | instskip(NEXT) | instid1(VALU_DEP_1)
	v_fma_f64 v[34:35], -v[16:17], v[32:33], 1.0
	v_fmac_f64_e32 v[32:33], v[32:33], v[34:35]
	s_delay_alu instid0(VALU_DEP_1) | instskip(NEXT) | instid1(VALU_DEP_1)
	v_fma_f64 v[34:35], -v[16:17], v[32:33], 1.0
	v_fmac_f64_e32 v[32:33], v[32:33], v[34:35]
	s_delay_alu instid0(VALU_DEP_1) | instskip(NEXT) | instid1(VALU_DEP_1)
	v_mul_f64_e32 v[34:35], v[36:37], v[32:33]
	v_fma_f64 v[16:17], -v[16:17], v[34:35], v[36:37]
	s_delay_alu instid0(VALU_DEP_1) | instskip(SKIP_1) | instid1(VALU_DEP_2)
	v_div_fmas_f64 v[16:17], v[16:17], v[32:33], v[34:35]
	v_fma_f64 v[32:33], s[12:13], v[14:15], s[14:15]
	v_div_fixup_f64 v[16:17], v[16:17], v[30:31], 1.0
	v_fma_f64 v[30:31], s[14:15], v[14:15], -s[12:13]
	s_delay_alu instid0(VALU_DEP_2) | instskip(NEXT) | instid1(VALU_DEP_2)
	v_mul_f64_e32 v[14:15], v[32:33], v[16:17]
	v_mul_f64_e32 v[16:17], v[30:31], v[16:17]
.LBB253_337:                            ;   in Loop: Header=BB253_233 Depth=1
	s_or_b32 exec_lo, exec_lo, s0
	s_wait_loadcnt 0x0
	v_xor_b32_e32 v31, 0x80000000, v13
	v_mov_b32_e32 v30, v12
                                        ; implicit-def: $vgpr32_vgpr33
	s_mov_b32 s0, exec_lo
	s_delay_alu instid0(VALU_DEP_2) | instskip(NEXT) | instid1(VALU_DEP_1)
	v_and_b32_e32 v36, 0x7fffffff, v31
	v_or_b32_e32 v21, v36, v12
	s_delay_alu instid0(VALU_DEP_1)
	v_cmpx_ne_u32_e32 0, v21
	s_xor_b32 s24, exec_lo, s0
	s_cbranch_execz .LBB253_379
; %bb.338:                              ;   in Loop: Header=BB253_233 Depth=1
	v_xor_b32_e32 v35, 0x80000000, v11
                                        ; implicit-def: $vgpr32_vgpr33
	s_mov_b32 s0, exec_lo
	v_mov_b32_e32 v34, v10
	s_delay_alu instid0(VALU_DEP_2) | instskip(NEXT) | instid1(VALU_DEP_1)
	v_and_b32_e32 v21, 0x7fffffff, v35
	v_or_b32_e32 v30, v21, v10
	s_delay_alu instid0(VALU_DEP_1)
	v_cmpx_ne_u32_e32 0, v30
	s_xor_b32 s25, exec_lo, s0
	s_cbranch_execz .LBB253_368
; %bb.339:                              ;   in Loop: Header=BB253_233 Depth=1
                                        ; implicit-def: $vgpr32_vgpr33
	s_mov_b32 s0, exec_lo
	v_cmpx_gt_u32_e32 0x7ff00000, v36
	s_xor_b32 s26, exec_lo, s0
	s_cbranch_execz .LBB253_361
; %bb.340:                              ;   in Loop: Header=BB253_233 Depth=1
	v_add_nc_u32_e32 v21, 0xbf79d1be, v35
                                        ; implicit-def: $vgpr32_vgpr33
	s_mov_b32 s0, exec_lo
	s_delay_alu instid0(VALU_DEP_1)
	v_cmpx_lt_u32_e32 0x108aa2, v21
	s_xor_b32 s27, exec_lo, s0
	s_cbranch_execz .LBB253_350
; %bb.341:                              ;   in Loop: Header=BB253_233 Depth=1
	v_cmp_ngt_f64_e64 s0, 0x41d00000, |v[12:13]|
                                        ; implicit-def: $vgpr30
                                        ; implicit-def: $vgpr32_vgpr33
                                        ; implicit-def: $vgpr34_vgpr35
	s_and_saveexec_b32 s1, s0
	s_delay_alu instid0(SALU_CYCLE_1)
	s_xor_b32 s1, exec_lo, s1
	s_cbranch_execz .LBB253_343
; %bb.342:                              ;   in Loop: Header=BB253_233 Depth=1
	v_ldexp_f64 v[32:33], |v[12:13]|, 0xffffff80
	v_cmp_le_f64_e64 vcc_lo, 0x7b000000, |v[12:13]|
	v_trig_preop_f64 v[34:35], |v[12:13]|, 0
	v_and_b32_e32 v21, 0x7fffffff, v13
	v_trig_preop_f64 v[36:37], |v[12:13]|, 1
	v_trig_preop_f64 v[46:47], |v[12:13]|, 2
	s_delay_alu instid0(VALU_DEP_3) | instskip(NEXT) | instid1(VALU_DEP_1)
	v_dual_cndmask_b32 v33, v21, v33 :: v_dual_cndmask_b32 v32, v12, v32
	v_mul_f64_e32 v[38:39], v[34:35], v[32:33]
	s_delay_alu instid0(VALU_DEP_4) | instskip(NEXT) | instid1(VALU_DEP_4)
	v_mul_f64_e32 v[40:41], v[36:37], v[32:33]
	v_mul_f64_e32 v[52:53], v[46:47], v[32:33]
	s_delay_alu instid0(VALU_DEP_3) | instskip(NEXT) | instid1(VALU_DEP_3)
	v_fma_f64 v[34:35], v[34:35], v[32:33], -v[38:39]
	v_fma_f64 v[36:37], v[36:37], v[32:33], -v[40:41]
	s_delay_alu instid0(VALU_DEP_3) | instskip(NEXT) | instid1(VALU_DEP_3)
	v_fma_f64 v[32:33], v[46:47], v[32:33], -v[52:53]
	v_add_f64_e32 v[42:43], v[40:41], v[34:35]
	s_delay_alu instid0(VALU_DEP_1) | instskip(SKIP_1) | instid1(VALU_DEP_2)
	v_add_f64_e64 v[44:45], v[42:43], -v[40:41]
	v_add_f64_e32 v[50:51], v[38:39], v[42:43]
	v_add_f64_e64 v[48:49], v[42:43], -v[44:45]
	v_add_f64_e64 v[34:35], v[34:35], -v[44:45]
	s_delay_alu instid0(VALU_DEP_3) | instskip(NEXT) | instid1(VALU_DEP_3)
	v_ldexp_f64 v[44:45], v[50:51], -2
	v_add_f64_e64 v[40:41], v[40:41], -v[48:49]
	v_add_f64_e32 v[48:49], v[52:53], v[36:37]
	s_delay_alu instid0(VALU_DEP_3) | instskip(NEXT) | instid1(VALU_DEP_3)
	v_cmp_neq_f64_e64 vcc_lo, 0x7ff00000, |v[44:45]|
	v_add_f64_e32 v[34:35], v[34:35], v[40:41]
	v_fract_f64_e32 v[40:41], v[44:45]
	s_delay_alu instid0(VALU_DEP_1) | instskip(NEXT) | instid1(VALU_DEP_1)
	v_ldexp_f64 v[40:41], v[40:41], 2
	v_dual_add_f64 v[38:39], v[50:51], -v[38:39] :: v_dual_cndmask_b32 v40, 0, v40, vcc_lo
	s_delay_alu instid0(VALU_DEP_1) | instskip(SKIP_1) | instid1(VALU_DEP_1)
	v_dual_add_f64 v[38:39], v[42:43], -v[38:39] :: v_dual_cndmask_b32 v41, 0, v41, vcc_lo
	v_add_f64_e32 v[42:43], v[48:49], v[34:35]
	v_add_f64_e32 v[44:45], v[38:39], v[42:43]
	v_add_f64_e64 v[54:55], v[42:43], -v[48:49]
	s_delay_alu instid0(VALU_DEP_2) | instskip(NEXT) | instid1(VALU_DEP_2)
	v_add_f64_e32 v[50:51], v[44:45], v[40:41]
	v_add_f64_e64 v[60:61], v[42:43], -v[54:55]
	v_add_f64_e64 v[34:35], v[34:35], -v[54:55]
	;; [unrolled: 1-line block ×3, first 2 shown]
	s_delay_alu instid0(VALU_DEP_4) | instskip(SKIP_1) | instid1(VALU_DEP_3)
	v_cmp_gt_f64_e32 vcc_lo, 0, v[50:51]
	v_add_f64_e64 v[50:51], v[48:49], -v[52:53]
	v_add_f64_e64 v[38:39], v[42:43], -v[38:39]
	v_cndmask_b32_e64 v21, 0, 0x40100000, vcc_lo
	s_delay_alu instid0(VALU_DEP_3) | instskip(SKIP_2) | instid1(VALU_DEP_4)
	v_add_f64_e64 v[58:59], v[48:49], -v[50:51]
	v_add_f64_e64 v[36:37], v[36:37], -v[50:51]
	;; [unrolled: 1-line block ×3, first 2 shown]
	v_add_f64_e32 v[40:41], v[40:41], v[20:21]
	s_delay_alu instid0(VALU_DEP_4) | instskip(NEXT) | instid1(VALU_DEP_3)
	v_add_f64_e64 v[50:51], v[52:53], -v[58:59]
	v_add_f64_e32 v[34:35], v[34:35], v[48:49]
	s_delay_alu instid0(VALU_DEP_3) | instskip(NEXT) | instid1(VALU_DEP_3)
	v_add_f64_e32 v[56:57], v[44:45], v[40:41]
	v_add_f64_e32 v[36:37], v[36:37], v[50:51]
	s_delay_alu instid0(VALU_DEP_2) | instskip(NEXT) | instid1(VALU_DEP_2)
	v_cvt_i32_f64_e32 v21, v[56:57]
	v_add_f64_e32 v[34:35], v[36:37], v[34:35]
	s_delay_alu instid0(VALU_DEP_2) | instskip(NEXT) | instid1(VALU_DEP_2)
	v_cvt_f64_i32_e32 v[54:55], v21
	v_add_f64_e32 v[32:33], v[32:33], v[34:35]
	s_delay_alu instid0(VALU_DEP_2) | instskip(NEXT) | instid1(VALU_DEP_2)
	v_add_f64_e64 v[40:41], v[40:41], -v[54:55]
	v_add_f64_e32 v[32:33], v[38:39], v[32:33]
	s_delay_alu instid0(VALU_DEP_2) | instskip(NEXT) | instid1(VALU_DEP_1)
	v_add_f64_e32 v[36:37], v[44:45], v[40:41]
	v_add_f64_e64 v[34:35], v[36:37], -v[40:41]
	v_cmp_le_f64_e32 vcc_lo, 0.5, v[36:37]
	s_delay_alu instid0(VALU_DEP_2) | instskip(SKIP_2) | instid1(VALU_DEP_3)
	v_add_f64_e64 v[34:35], v[44:45], -v[34:35]
	v_add_co_ci_u32_e64 v30, null, 0, v21, vcc_lo
	v_cndmask_b32_e64 v21, 0, 0x3ff00000, vcc_lo
	v_add_f64_e32 v[32:33], v[32:33], v[34:35]
	s_delay_alu instid0(VALU_DEP_2) | instskip(NEXT) | instid1(VALU_DEP_1)
	v_add_f64_e64 v[34:35], v[36:37], -v[20:21]
	v_add_f64_e32 v[36:37], v[34:35], v[32:33]
	s_delay_alu instid0(VALU_DEP_1) | instskip(SKIP_1) | instid1(VALU_DEP_2)
	v_mul_f64_e32 v[38:39], 0x3ff921fb54442d18, v[36:37]
	v_add_f64_e64 v[34:35], v[36:37], -v[34:35]
	v_fma_f64 v[40:41], v[36:37], s[6:7], -v[38:39]
	s_delay_alu instid0(VALU_DEP_2) | instskip(NEXT) | instid1(VALU_DEP_2)
	v_add_f64_e64 v[32:33], v[32:33], -v[34:35]
	v_fmac_f64_e32 v[40:41], 0x3c91a62633145c07, v[36:37]
	s_delay_alu instid0(VALU_DEP_1) | instskip(NEXT) | instid1(VALU_DEP_1)
	v_fmac_f64_e32 v[40:41], 0x3ff921fb54442d18, v[32:33]
	v_add_f64_e32 v[32:33], v[38:39], v[40:41]
	s_delay_alu instid0(VALU_DEP_1) | instskip(NEXT) | instid1(VALU_DEP_1)
	v_add_f64_e64 v[34:35], v[32:33], -v[38:39]
	v_add_f64_e64 v[34:35], v[40:41], -v[34:35]
	s_and_not1_saveexec_b32 s1, s1
	s_cbranch_execz .LBB253_345
	s_branch .LBB253_344
.LBB253_343:                            ;   in Loop: Header=BB253_233 Depth=1
	s_and_not1_saveexec_b32 s1, s1
	s_cbranch_execz .LBB253_345
.LBB253_344:                            ;   in Loop: Header=BB253_233 Depth=1
	v_mul_f64_e64 v[32:33], |v[12:13]|, s[8:9]
	s_delay_alu instid0(VALU_DEP_1) | instskip(NEXT) | instid1(VALU_DEP_1)
	v_rndne_f64_e32 v[36:37], v[32:33]
	v_fma_f64 v[32:33], v[36:37], s[10:11], |v[12:13]|
	v_mul_f64_e32 v[34:35], 0xbc91a62633145c00, v[36:37]
	v_cvt_i32_f64_e32 v30, v[36:37]
	s_delay_alu instid0(VALU_DEP_3) | instskip(NEXT) | instid1(VALU_DEP_3)
	v_fmamk_f64 v[42:43], v[36:37], 0xbc91a62633145c00, v[32:33]
	v_add_f64_e32 v[38:39], v[32:33], v[34:35]
	s_delay_alu instid0(VALU_DEP_1) | instskip(NEXT) | instid1(VALU_DEP_3)
	v_add_f64_e64 v[40:41], v[32:33], -v[38:39]
	v_add_f64_e64 v[32:33], v[38:39], -v[42:43]
	s_delay_alu instid0(VALU_DEP_2) | instskip(SKIP_1) | instid1(VALU_DEP_2)
	v_add_f64_e32 v[38:39], v[40:41], v[34:35]
	v_fmamk_f64 v[34:35], v[36:37], 0x3c91a62633145c00, v[34:35]
	v_add_f64_e32 v[32:33], v[32:33], v[38:39]
	s_delay_alu instid0(VALU_DEP_1) | instskip(NEXT) | instid1(VALU_DEP_1)
	v_add_f64_e64 v[34:35], v[32:33], -v[34:35]
	v_fmac_f64_e32 v[34:35], 0xb97b839a252049c0, v[36:37]
	s_delay_alu instid0(VALU_DEP_1) | instskip(NEXT) | instid1(VALU_DEP_1)
	v_add_f64_e32 v[32:33], v[42:43], v[34:35]
	v_add_f64_e64 v[38:39], v[32:33], -v[42:43]
	s_delay_alu instid0(VALU_DEP_1)
	v_add_f64_e64 v[34:35], v[34:35], -v[38:39]
.LBB253_345:                            ;   in Loop: Header=BB253_233 Depth=1
	s_or_b32 exec_lo, exec_lo, s1
                                        ; implicit-def: $vgpr40
                                        ; implicit-def: $vgpr36_vgpr37
                                        ; implicit-def: $vgpr38_vgpr39
	s_and_saveexec_b32 s1, s0
	s_delay_alu instid0(SALU_CYCLE_1)
	s_xor_b32 s0, exec_lo, s1
	s_cbranch_execz .LBB253_347
; %bb.346:                              ;   in Loop: Header=BB253_233 Depth=1
	v_ldexp_f64 v[36:37], |v[12:13]|, 0xffffff80
	v_cmp_le_f64_e64 vcc_lo, 0x7b000000, |v[12:13]|
	v_trig_preop_f64 v[38:39], |v[12:13]|, 0
	v_and_b32_e32 v21, 0x7fffffff, v13
	v_trig_preop_f64 v[40:41], |v[12:13]|, 1
	v_trig_preop_f64 v[50:51], |v[12:13]|, 2
	s_delay_alu instid0(VALU_DEP_3) | instskip(NEXT) | instid1(VALU_DEP_1)
	v_dual_cndmask_b32 v37, v21, v37 :: v_dual_cndmask_b32 v36, v12, v36
	v_mul_f64_e32 v[42:43], v[38:39], v[36:37]
	s_delay_alu instid0(VALU_DEP_4) | instskip(NEXT) | instid1(VALU_DEP_4)
	v_mul_f64_e32 v[44:45], v[40:41], v[36:37]
	v_mul_f64_e32 v[56:57], v[50:51], v[36:37]
	s_delay_alu instid0(VALU_DEP_3) | instskip(NEXT) | instid1(VALU_DEP_3)
	v_fma_f64 v[38:39], v[38:39], v[36:37], -v[42:43]
	v_fma_f64 v[40:41], v[40:41], v[36:37], -v[44:45]
	s_delay_alu instid0(VALU_DEP_3) | instskip(NEXT) | instid1(VALU_DEP_3)
	v_fma_f64 v[36:37], v[50:51], v[36:37], -v[56:57]
	v_add_f64_e32 v[46:47], v[44:45], v[38:39]
	s_delay_alu instid0(VALU_DEP_1) | instskip(SKIP_1) | instid1(VALU_DEP_2)
	v_add_f64_e64 v[48:49], v[46:47], -v[44:45]
	v_add_f64_e32 v[54:55], v[42:43], v[46:47]
	v_add_f64_e64 v[52:53], v[46:47], -v[48:49]
	v_add_f64_e64 v[38:39], v[38:39], -v[48:49]
	s_delay_alu instid0(VALU_DEP_3) | instskip(NEXT) | instid1(VALU_DEP_3)
	v_ldexp_f64 v[48:49], v[54:55], -2
	v_add_f64_e64 v[44:45], v[44:45], -v[52:53]
	v_add_f64_e32 v[52:53], v[56:57], v[40:41]
	s_delay_alu instid0(VALU_DEP_3) | instskip(NEXT) | instid1(VALU_DEP_3)
	v_cmp_neq_f64_e64 vcc_lo, 0x7ff00000, |v[48:49]|
	v_add_f64_e32 v[38:39], v[38:39], v[44:45]
	v_fract_f64_e32 v[44:45], v[48:49]
	s_delay_alu instid0(VALU_DEP_1) | instskip(NEXT) | instid1(VALU_DEP_1)
	v_ldexp_f64 v[44:45], v[44:45], 2
	v_dual_add_f64 v[42:43], v[54:55], -v[42:43] :: v_dual_cndmask_b32 v44, 0, v44, vcc_lo
	s_delay_alu instid0(VALU_DEP_1) | instskip(SKIP_1) | instid1(VALU_DEP_1)
	v_dual_add_f64 v[42:43], v[46:47], -v[42:43] :: v_dual_cndmask_b32 v45, 0, v45, vcc_lo
	v_add_f64_e32 v[46:47], v[52:53], v[38:39]
	v_add_f64_e32 v[48:49], v[42:43], v[46:47]
	v_add_f64_e64 v[58:59], v[46:47], -v[52:53]
	s_delay_alu instid0(VALU_DEP_2) | instskip(NEXT) | instid1(VALU_DEP_2)
	v_add_f64_e32 v[54:55], v[48:49], v[44:45]
	v_add_f64_e64 v[64:65], v[46:47], -v[58:59]
	v_add_f64_e64 v[38:39], v[38:39], -v[58:59]
	;; [unrolled: 1-line block ×3, first 2 shown]
	s_delay_alu instid0(VALU_DEP_4) | instskip(SKIP_2) | instid1(VALU_DEP_2)
	v_cmp_gt_f64_e32 vcc_lo, 0, v[54:55]
	v_add_f64_e64 v[54:55], v[52:53], -v[56:57]
	v_cndmask_b32_e64 v21, 0, 0x40100000, vcc_lo
	v_add_f64_e64 v[62:63], v[52:53], -v[54:55]
	v_add_f64_e64 v[40:41], v[40:41], -v[54:55]
	;; [unrolled: 1-line block ×3, first 2 shown]
	s_delay_alu instid0(VALU_DEP_4) | instskip(NEXT) | instid1(VALU_DEP_4)
	v_add_f64_e32 v[44:45], v[44:45], v[20:21]
	v_add_f64_e64 v[54:55], v[56:57], -v[62:63]
	s_delay_alu instid0(VALU_DEP_3) | instskip(NEXT) | instid1(VALU_DEP_3)
	v_add_f64_e32 v[38:39], v[38:39], v[52:53]
	v_add_f64_e32 v[60:61], v[48:49], v[44:45]
	s_delay_alu instid0(VALU_DEP_3) | instskip(NEXT) | instid1(VALU_DEP_2)
	v_add_f64_e32 v[40:41], v[40:41], v[54:55]
	v_cvt_i32_f64_e32 v21, v[60:61]
	s_delay_alu instid0(VALU_DEP_2) | instskip(SKIP_1) | instid1(VALU_DEP_3)
	v_add_f64_e32 v[38:39], v[40:41], v[38:39]
	v_add_f64_e64 v[40:41], v[46:47], -v[42:43]
	v_cvt_f64_i32_e32 v[58:59], v21
	s_delay_alu instid0(VALU_DEP_3) | instskip(NEXT) | instid1(VALU_DEP_2)
	v_add_f64_e32 v[36:37], v[36:37], v[38:39]
	v_add_f64_e64 v[44:45], v[44:45], -v[58:59]
	s_delay_alu instid0(VALU_DEP_2) | instskip(NEXT) | instid1(VALU_DEP_2)
	v_add_f64_e32 v[36:37], v[40:41], v[36:37]
	v_add_f64_e32 v[50:51], v[48:49], v[44:45]
	s_delay_alu instid0(VALU_DEP_1) | instskip(SKIP_1) | instid1(VALU_DEP_2)
	v_add_f64_e64 v[38:39], v[50:51], -v[44:45]
	v_cmp_le_f64_e32 vcc_lo, 0.5, v[50:51]
	v_add_f64_e64 v[38:39], v[48:49], -v[38:39]
	v_add_co_ci_u32_e64 v40, null, 0, v21, vcc_lo
	v_cndmask_b32_e64 v21, 0, 0x3ff00000, vcc_lo
	s_delay_alu instid0(VALU_DEP_3) | instskip(NEXT) | instid1(VALU_DEP_2)
	v_add_f64_e32 v[36:37], v[36:37], v[38:39]
	v_add_f64_e64 v[38:39], v[50:51], -v[20:21]
	s_delay_alu instid0(VALU_DEP_1) | instskip(NEXT) | instid1(VALU_DEP_1)
	v_add_f64_e32 v[42:43], v[38:39], v[36:37]
	v_mul_f64_e32 v[44:45], 0x3ff921fb54442d18, v[42:43]
	v_add_f64_e64 v[38:39], v[42:43], -v[38:39]
	s_delay_alu instid0(VALU_DEP_2) | instskip(NEXT) | instid1(VALU_DEP_2)
	v_fma_f64 v[46:47], v[42:43], s[6:7], -v[44:45]
	v_add_f64_e64 v[36:37], v[36:37], -v[38:39]
	s_delay_alu instid0(VALU_DEP_2) | instskip(NEXT) | instid1(VALU_DEP_1)
	v_fmac_f64_e32 v[46:47], 0x3c91a62633145c07, v[42:43]
	v_fmac_f64_e32 v[46:47], 0x3ff921fb54442d18, v[36:37]
	s_delay_alu instid0(VALU_DEP_1) | instskip(NEXT) | instid1(VALU_DEP_1)
	v_add_f64_e32 v[36:37], v[44:45], v[46:47]
	v_add_f64_e64 v[38:39], v[36:37], -v[44:45]
	s_delay_alu instid0(VALU_DEP_1)
	v_add_f64_e64 v[38:39], v[46:47], -v[38:39]
	s_and_not1_saveexec_b32 s0, s0
	s_cbranch_execnz .LBB253_348
	s_branch .LBB253_349
.LBB253_347:                            ;   in Loop: Header=BB253_233 Depth=1
	s_and_not1_saveexec_b32 s0, s0
	s_cbranch_execz .LBB253_349
.LBB253_348:                            ;   in Loop: Header=BB253_233 Depth=1
	v_mul_f64_e64 v[36:37], |v[12:13]|, s[8:9]
	s_delay_alu instid0(VALU_DEP_1) | instskip(NEXT) | instid1(VALU_DEP_1)
	v_rndne_f64_e32 v[40:41], v[36:37]
	v_fma_f64 v[36:37], v[40:41], s[10:11], |v[12:13]|
	v_mul_f64_e32 v[38:39], 0xbc91a62633145c00, v[40:41]
	s_delay_alu instid0(VALU_DEP_2) | instskip(NEXT) | instid1(VALU_DEP_2)
	v_fmamk_f64 v[46:47], v[40:41], 0xbc91a62633145c00, v[36:37]
	v_add_f64_e32 v[42:43], v[36:37], v[38:39]
	s_delay_alu instid0(VALU_DEP_1) | instskip(NEXT) | instid1(VALU_DEP_3)
	v_add_f64_e64 v[44:45], v[36:37], -v[42:43]
	v_add_f64_e64 v[36:37], v[42:43], -v[46:47]
	s_delay_alu instid0(VALU_DEP_2) | instskip(SKIP_1) | instid1(VALU_DEP_2)
	v_add_f64_e32 v[42:43], v[44:45], v[38:39]
	v_fmamk_f64 v[38:39], v[40:41], 0x3c91a62633145c00, v[38:39]
	v_add_f64_e32 v[36:37], v[36:37], v[42:43]
	s_delay_alu instid0(VALU_DEP_1) | instskip(NEXT) | instid1(VALU_DEP_1)
	v_add_f64_e64 v[38:39], v[36:37], -v[38:39]
	v_fmac_f64_e32 v[38:39], 0xb97b839a252049c0, v[40:41]
	v_cvt_i32_f64_e32 v40, v[40:41]
	s_delay_alu instid0(VALU_DEP_2) | instskip(NEXT) | instid1(VALU_DEP_1)
	v_add_f64_e32 v[36:37], v[46:47], v[38:39]
	v_add_f64_e64 v[42:43], v[36:37], -v[46:47]
	s_delay_alu instid0(VALU_DEP_1)
	v_add_f64_e64 v[38:39], v[38:39], -v[42:43]
.LBB253_349:                            ;   in Loop: Header=BB253_233 Depth=1
	s_or_b32 exec_lo, exec_lo, s0
	v_mul_f64_e32 v[42:43], 0xbff71547652b82fe, v[10:11]
	v_mul_f64_e32 v[44:45], v[32:33], v[32:33]
	s_delay_alu instid0(VALU_DEP_3)
	v_mul_f64_e32 v[58:59], 0.5, v[34:35]
	v_cmp_class_f64_e64 s0, v[12:13], 0x1f8
	v_lshlrev_b32_e32 v12, 30, v40
	v_mul_f64_e32 v[46:47], v[36:37], v[36:37]
	v_cmp_ngt_f64_e64 s1, 0xc0900000, v[10:11]
	v_cmp_nlt_f64_e64 s2, 0x4090cc00, v[10:11]
	v_rndne_f64_e32 v[42:43], v[42:43]
	v_mul_f64_e32 v[48:49], 0.5, v[44:45]
	s_delay_alu instid0(VALU_DEP_2) | instskip(NEXT) | instid1(VALU_DEP_2)
	v_fma_f64 v[50:51], v[42:43], s[16:17], -v[10:11]
	v_add_f64_e64 v[54:55], -v[48:49], 1.0
	v_cvt_i32_f64_e32 v21, v[42:43]
	v_and_b32_e32 v10, 1, v40
	s_delay_alu instid0(VALU_DEP_1) | instskip(SKIP_3) | instid1(VALU_DEP_2)
	v_cmp_eq_u32_e64 s3, 0, v10
	v_mul_f64_e32 v[68:69], 0.5, v[38:39]
	v_fmac_f64_e32 v[50:51], 0xbc7abc9e3b39803f, v[42:43]
	v_add_f64_e64 v[62:63], -v[54:55], 1.0
	v_fmamk_f64 v[66:67], v[50:51], 0x3e5ade156a5dcb37, v[22:23]
	s_delay_alu instid0(VALU_DEP_2) | instskip(NEXT) | instid1(VALU_DEP_2)
	v_add_f64_e64 v[48:49], v[62:63], -v[48:49]
	v_fmaak_f64 v[66:67], v[50:51], v[66:67], 0x3ec71dee623fde64
	s_delay_alu instid0(VALU_DEP_1) | instskip(NEXT) | instid1(VALU_DEP_1)
	v_fmaak_f64 v[66:67], v[50:51], v[66:67], 0x3efa01997c89e6b0
	v_fmaak_f64 v[66:67], v[50:51], v[66:67], 0x3f2a01a014761f6e
	s_delay_alu instid0(VALU_DEP_1) | instskip(NEXT) | instid1(VALU_DEP_1)
	v_fmaak_f64 v[62:63], v[50:51], v[66:67], 0x3f56c16c1852b7b0
	;; [unrolled: 3-line block ×4, first 2 shown]
	v_fma_f64 v[62:63], v[50:51], v[62:63], 1.0
	s_delay_alu instid0(VALU_DEP_1) | instskip(NEXT) | instid1(VALU_DEP_1)
	v_fma_f64 v[42:43], v[50:51], v[62:63], 1.0
	v_ldexp_f64 v[42:43], v[42:43], v21
	v_and_b32_e32 v21, 1, v30
	v_fmamk_f64 v[64:65], v[44:45], 0x3de5e0b2f9a43bb8, v[26:27]
	v_lshlrev_b32_e32 v30, 30, v30
	v_mul_f64_e32 v[52:53], 0.5, v[46:47]
	v_mul_f64_e64 v[70:71], v[36:37], -v[46:47]
	v_cmp_eq_u32_e32 vcc_lo, 0, v21
	v_mul_f64_e64 v[60:61], v[32:33], -v[44:45]
	v_fmamk_f64 v[74:75], v[46:47], 0x3de5e0b2f9a43bb8, v[26:27]
	v_fmaak_f64 v[64:65], v[44:45], v[64:65], 0x3ec71de3796cde01
	v_mul_f64_e32 v[66:67], v[44:45], v[44:45]
	s_delay_alu instid0(VALU_DEP_2) | instskip(NEXT) | instid1(VALU_DEP_1)
	v_fmaak_f64 v[64:65], v[44:45], v[64:65], 0xbf2a01a019e83e5c
	v_fmaak_f64 v[64:65], v[44:45], v[64:65], 0x3f81111111110bb3
	v_cndmask_b32_e64 v13, 0x7ff00000, v43, s1
	v_add_f64_e64 v[56:57], -v[52:53], 1.0
	s_delay_alu instid0(VALU_DEP_3) | instskip(SKIP_1) | instid1(VALU_DEP_1)
	v_fmac_f64_e32 v[58:59], v[60:61], v[64:65]
	v_fmaak_f64 v[64:65], v[46:47], v[74:75], 0x3ec71de3796cde01
	v_fmaak_f64 v[64:65], v[46:47], v[64:65], 0xbf2a01a019e83e5c
	s_delay_alu instid0(VALU_DEP_1) | instskip(NEXT) | instid1(VALU_DEP_1)
	v_fmaak_f64 v[64:65], v[46:47], v[64:65], 0x3f81111111110bb3
	v_fmac_f64_e32 v[68:69], v[70:71], v[64:65]
	v_fmamk_f64 v[64:65], v[44:45], 0xbda907db46cc5e42, v[24:25]
	v_add_f64_e64 v[72:73], -v[56:57], 1.0
	v_fma_f64 v[58:59], v[44:45], v[58:59], -v[34:35]
	v_fma_f64 v[34:35], v[32:33], -v[34:35], v[48:49]
	s_delay_alu instid0(VALU_DEP_4) | instskip(SKIP_1) | instid1(VALU_DEP_2)
	v_fmaak_f64 v[48:49], v[44:45], v[64:65], 0xbe927e4fa17f65f6
	v_mul_f64_e32 v[64:65], v[46:47], v[46:47]
	v_fmaak_f64 v[48:49], v[44:45], v[48:49], 0x3efa01a019f4ec90
	s_delay_alu instid0(VALU_DEP_1) | instskip(NEXT) | instid1(VALU_DEP_1)
	v_fmaak_f64 v[48:49], v[44:45], v[48:49], 0xbf56c16c16c16967
	v_fmaak_f64 v[44:45], v[44:45], v[48:49], 0x3fa5555555555555
	v_fma_f64 v[48:49], v[46:47], v[68:69], -v[38:39]
	v_fmac_f64_e32 v[58:59], 0xbfc5555555555555, v[60:61]
	s_delay_alu instid0(VALU_DEP_3) | instskip(NEXT) | instid1(VALU_DEP_3)
	v_fmac_f64_e32 v[34:35], v[66:67], v[44:45]
	v_fmac_f64_e32 v[48:49], 0xbfc5555555555555, v[70:71]
	s_delay_alu instid0(VALU_DEP_3) | instskip(NEXT) | instid1(VALU_DEP_3)
	v_add_f64_e64 v[32:33], v[32:33], -v[58:59]
	v_add_f64_e32 v[34:35], v[54:55], v[34:35]
	s_delay_alu instid0(VALU_DEP_2) | instskip(NEXT) | instid1(VALU_DEP_1)
	v_xor_b32_e32 v11, 0x80000000, v33
	v_dual_cndmask_b32 v21, v32, v34 :: v_dual_cndmask_b32 v10, v11, v35
	s_and_b32 vcc_lo, s2, s1
	v_add_f64_e64 v[52:53], v[72:73], -v[52:53]
	v_fmamk_f64 v[72:73], v[46:47], 0xbda907db46cc5e42, v[24:25]
	v_xor_b32_e32 v11, v12, v31
	v_bitop3_b32 v30, v10, v30, 0x80000000 bitop3:0x78
	s_delay_alu instid0(VALU_DEP_4) | instskip(NEXT) | instid1(VALU_DEP_4)
	v_dual_fma_f64 v[38:39], v[36:37], -v[38:39], v[52:53] :: v_dual_cndmask_b32 v10, 0, v21, s0
	v_fmaak_f64 v[52:53], v[46:47], v[72:73], 0xbe927e4fa17f65f6
	v_add_f64_e64 v[36:37], v[36:37], -v[48:49]
	s_delay_alu instid0(VALU_DEP_2) | instskip(NEXT) | instid1(VALU_DEP_1)
	v_fmaak_f64 v[44:45], v[46:47], v[52:53], 0x3efa01a019f4ec90
	v_fmaak_f64 v[44:45], v[46:47], v[44:45], 0xbf56c16c16c16967
	s_delay_alu instid0(VALU_DEP_1) | instskip(NEXT) | instid1(VALU_DEP_1)
	v_fmaak_f64 v[44:45], v[46:47], v[44:45], 0x3fa5555555555555
	v_fmac_f64_e32 v[38:39], v[64:65], v[44:45]
	s_delay_alu instid0(VALU_DEP_1) | instskip(NEXT) | instid1(VALU_DEP_1)
	v_add_f64_e32 v[38:39], v[56:57], v[38:39]
	v_dual_cndmask_b32 v31, v39, v37, s3 :: v_dual_cndmask_b32 v12, v38, v36, s3
	s_delay_alu instid0(VALU_DEP_1) | instskip(SKIP_1) | instid1(VALU_DEP_3)
	v_bitop3_b32 v21, v31, v11, 0x80000000 bitop3:0x78
	v_cndmask_b32_e64 v11, 0x7ff80000, v30, s0
	v_dual_cndmask_b32 v12, 0, v12, s0 :: v_dual_cndmask_b32 v31, 0, v13, s2
	v_cndmask_b32_e32 v30, 0, v42, vcc_lo
	s_delay_alu instid0(VALU_DEP_4) | instskip(NEXT) | instid1(VALU_DEP_2)
	v_cndmask_b32_e64 v13, 0x7ff80000, v21, s0
	v_mul_f64_e32 v[32:33], v[30:31], v[10:11]
	s_delay_alu instid0(VALU_DEP_2)
	v_mul_f64_e32 v[30:31], v[30:31], v[12:13]
                                        ; implicit-def: $vgpr12_vgpr13
.LBB253_350:                            ;   in Loop: Header=BB253_233 Depth=1
	s_and_not1_saveexec_b32 s27, s27
	s_cbranch_execz .LBB253_360
; %bb.351:                              ;   in Loop: Header=BB253_233 Depth=1
	v_cmp_ngt_f64_e64 s0, 0x41d00000, |v[12:13]|
                                        ; implicit-def: $vgpr30
                                        ; implicit-def: $vgpr32_vgpr33
                                        ; implicit-def: $vgpr34_vgpr35
	s_and_saveexec_b32 s1, s0
	s_delay_alu instid0(SALU_CYCLE_1)
	s_xor_b32 s1, exec_lo, s1
	s_cbranch_execz .LBB253_353
; %bb.352:                              ;   in Loop: Header=BB253_233 Depth=1
	v_ldexp_f64 v[32:33], |v[12:13]|, 0xffffff80
	v_cmp_le_f64_e64 vcc_lo, 0x7b000000, |v[12:13]|
	v_trig_preop_f64 v[34:35], |v[12:13]|, 0
	v_and_b32_e32 v21, 0x7fffffff, v13
	v_trig_preop_f64 v[36:37], |v[12:13]|, 1
	v_trig_preop_f64 v[46:47], |v[12:13]|, 2
	s_delay_alu instid0(VALU_DEP_3) | instskip(NEXT) | instid1(VALU_DEP_1)
	v_dual_cndmask_b32 v33, v21, v33 :: v_dual_cndmask_b32 v32, v12, v32
	v_mul_f64_e32 v[38:39], v[34:35], v[32:33]
	s_delay_alu instid0(VALU_DEP_4) | instskip(NEXT) | instid1(VALU_DEP_4)
	v_mul_f64_e32 v[40:41], v[36:37], v[32:33]
	v_mul_f64_e32 v[52:53], v[46:47], v[32:33]
	s_delay_alu instid0(VALU_DEP_3) | instskip(NEXT) | instid1(VALU_DEP_3)
	v_fma_f64 v[34:35], v[34:35], v[32:33], -v[38:39]
	v_fma_f64 v[36:37], v[36:37], v[32:33], -v[40:41]
	s_delay_alu instid0(VALU_DEP_3) | instskip(NEXT) | instid1(VALU_DEP_3)
	v_fma_f64 v[32:33], v[46:47], v[32:33], -v[52:53]
	v_add_f64_e32 v[42:43], v[40:41], v[34:35]
	s_delay_alu instid0(VALU_DEP_1) | instskip(SKIP_1) | instid1(VALU_DEP_2)
	v_add_f64_e64 v[44:45], v[42:43], -v[40:41]
	v_add_f64_e32 v[50:51], v[38:39], v[42:43]
	v_add_f64_e64 v[48:49], v[42:43], -v[44:45]
	v_add_f64_e64 v[34:35], v[34:35], -v[44:45]
	s_delay_alu instid0(VALU_DEP_3) | instskip(NEXT) | instid1(VALU_DEP_3)
	v_ldexp_f64 v[44:45], v[50:51], -2
	v_add_f64_e64 v[40:41], v[40:41], -v[48:49]
	v_add_f64_e32 v[48:49], v[52:53], v[36:37]
	s_delay_alu instid0(VALU_DEP_3) | instskip(NEXT) | instid1(VALU_DEP_3)
	v_cmp_neq_f64_e64 vcc_lo, 0x7ff00000, |v[44:45]|
	v_add_f64_e32 v[34:35], v[34:35], v[40:41]
	v_fract_f64_e32 v[40:41], v[44:45]
	s_delay_alu instid0(VALU_DEP_1) | instskip(NEXT) | instid1(VALU_DEP_1)
	v_ldexp_f64 v[40:41], v[40:41], 2
	v_dual_add_f64 v[38:39], v[50:51], -v[38:39] :: v_dual_cndmask_b32 v40, 0, v40, vcc_lo
	s_delay_alu instid0(VALU_DEP_1) | instskip(SKIP_1) | instid1(VALU_DEP_1)
	v_dual_add_f64 v[38:39], v[42:43], -v[38:39] :: v_dual_cndmask_b32 v41, 0, v41, vcc_lo
	v_add_f64_e32 v[42:43], v[48:49], v[34:35]
	v_add_f64_e32 v[44:45], v[38:39], v[42:43]
	v_add_f64_e64 v[54:55], v[42:43], -v[48:49]
	s_delay_alu instid0(VALU_DEP_2) | instskip(NEXT) | instid1(VALU_DEP_2)
	v_add_f64_e32 v[50:51], v[44:45], v[40:41]
	v_add_f64_e64 v[60:61], v[42:43], -v[54:55]
	v_add_f64_e64 v[34:35], v[34:35], -v[54:55]
	;; [unrolled: 1-line block ×3, first 2 shown]
	s_delay_alu instid0(VALU_DEP_4) | instskip(SKIP_1) | instid1(VALU_DEP_3)
	v_cmp_gt_f64_e32 vcc_lo, 0, v[50:51]
	v_add_f64_e64 v[50:51], v[48:49], -v[52:53]
	v_add_f64_e64 v[38:39], v[42:43], -v[38:39]
	v_cndmask_b32_e64 v21, 0, 0x40100000, vcc_lo
	s_delay_alu instid0(VALU_DEP_3) | instskip(SKIP_2) | instid1(VALU_DEP_4)
	v_add_f64_e64 v[58:59], v[48:49], -v[50:51]
	v_add_f64_e64 v[36:37], v[36:37], -v[50:51]
	;; [unrolled: 1-line block ×3, first 2 shown]
	v_add_f64_e32 v[40:41], v[40:41], v[20:21]
	s_delay_alu instid0(VALU_DEP_4) | instskip(NEXT) | instid1(VALU_DEP_3)
	v_add_f64_e64 v[50:51], v[52:53], -v[58:59]
	v_add_f64_e32 v[34:35], v[34:35], v[48:49]
	s_delay_alu instid0(VALU_DEP_3) | instskip(NEXT) | instid1(VALU_DEP_3)
	v_add_f64_e32 v[56:57], v[44:45], v[40:41]
	v_add_f64_e32 v[36:37], v[36:37], v[50:51]
	s_delay_alu instid0(VALU_DEP_2) | instskip(NEXT) | instid1(VALU_DEP_2)
	v_cvt_i32_f64_e32 v21, v[56:57]
	v_add_f64_e32 v[34:35], v[36:37], v[34:35]
	s_delay_alu instid0(VALU_DEP_2) | instskip(NEXT) | instid1(VALU_DEP_2)
	v_cvt_f64_i32_e32 v[54:55], v21
	v_add_f64_e32 v[32:33], v[32:33], v[34:35]
	s_delay_alu instid0(VALU_DEP_2) | instskip(NEXT) | instid1(VALU_DEP_2)
	v_add_f64_e64 v[40:41], v[40:41], -v[54:55]
	v_add_f64_e32 v[32:33], v[38:39], v[32:33]
	s_delay_alu instid0(VALU_DEP_2) | instskip(NEXT) | instid1(VALU_DEP_1)
	v_add_f64_e32 v[36:37], v[44:45], v[40:41]
	v_add_f64_e64 v[34:35], v[36:37], -v[40:41]
	v_cmp_le_f64_e32 vcc_lo, 0.5, v[36:37]
	s_delay_alu instid0(VALU_DEP_2) | instskip(SKIP_2) | instid1(VALU_DEP_3)
	v_add_f64_e64 v[34:35], v[44:45], -v[34:35]
	v_add_co_ci_u32_e64 v30, null, 0, v21, vcc_lo
	v_cndmask_b32_e64 v21, 0, 0x3ff00000, vcc_lo
	v_add_f64_e32 v[32:33], v[32:33], v[34:35]
	s_delay_alu instid0(VALU_DEP_2) | instskip(NEXT) | instid1(VALU_DEP_1)
	v_add_f64_e64 v[34:35], v[36:37], -v[20:21]
	v_add_f64_e32 v[36:37], v[34:35], v[32:33]
	s_delay_alu instid0(VALU_DEP_1) | instskip(SKIP_1) | instid1(VALU_DEP_2)
	v_mul_f64_e32 v[38:39], 0x3ff921fb54442d18, v[36:37]
	v_add_f64_e64 v[34:35], v[36:37], -v[34:35]
	v_fma_f64 v[40:41], v[36:37], s[6:7], -v[38:39]
	s_delay_alu instid0(VALU_DEP_2) | instskip(NEXT) | instid1(VALU_DEP_2)
	v_add_f64_e64 v[32:33], v[32:33], -v[34:35]
	v_fmac_f64_e32 v[40:41], 0x3c91a62633145c07, v[36:37]
	s_delay_alu instid0(VALU_DEP_1) | instskip(NEXT) | instid1(VALU_DEP_1)
	v_fmac_f64_e32 v[40:41], 0x3ff921fb54442d18, v[32:33]
	v_add_f64_e32 v[32:33], v[38:39], v[40:41]
	s_delay_alu instid0(VALU_DEP_1) | instskip(NEXT) | instid1(VALU_DEP_1)
	v_add_f64_e64 v[34:35], v[32:33], -v[38:39]
	v_add_f64_e64 v[34:35], v[40:41], -v[34:35]
	s_and_not1_saveexec_b32 s1, s1
	s_cbranch_execz .LBB253_355
	s_branch .LBB253_354
.LBB253_353:                            ;   in Loop: Header=BB253_233 Depth=1
	s_and_not1_saveexec_b32 s1, s1
	s_cbranch_execz .LBB253_355
.LBB253_354:                            ;   in Loop: Header=BB253_233 Depth=1
	v_mul_f64_e64 v[32:33], |v[12:13]|, s[8:9]
	s_delay_alu instid0(VALU_DEP_1) | instskip(NEXT) | instid1(VALU_DEP_1)
	v_rndne_f64_e32 v[36:37], v[32:33]
	v_fma_f64 v[32:33], v[36:37], s[10:11], |v[12:13]|
	v_mul_f64_e32 v[34:35], 0xbc91a62633145c00, v[36:37]
	v_cvt_i32_f64_e32 v30, v[36:37]
	s_delay_alu instid0(VALU_DEP_3) | instskip(NEXT) | instid1(VALU_DEP_3)
	v_fmamk_f64 v[42:43], v[36:37], 0xbc91a62633145c00, v[32:33]
	v_add_f64_e32 v[38:39], v[32:33], v[34:35]
	s_delay_alu instid0(VALU_DEP_1) | instskip(NEXT) | instid1(VALU_DEP_3)
	v_add_f64_e64 v[40:41], v[32:33], -v[38:39]
	v_add_f64_e64 v[32:33], v[38:39], -v[42:43]
	s_delay_alu instid0(VALU_DEP_2) | instskip(SKIP_1) | instid1(VALU_DEP_2)
	v_add_f64_e32 v[38:39], v[40:41], v[34:35]
	v_fmamk_f64 v[34:35], v[36:37], 0x3c91a62633145c00, v[34:35]
	v_add_f64_e32 v[32:33], v[32:33], v[38:39]
	s_delay_alu instid0(VALU_DEP_1) | instskip(NEXT) | instid1(VALU_DEP_1)
	v_add_f64_e64 v[34:35], v[32:33], -v[34:35]
	v_fmac_f64_e32 v[34:35], 0xb97b839a252049c0, v[36:37]
	s_delay_alu instid0(VALU_DEP_1) | instskip(NEXT) | instid1(VALU_DEP_1)
	v_add_f64_e32 v[32:33], v[42:43], v[34:35]
	v_add_f64_e64 v[38:39], v[32:33], -v[42:43]
	s_delay_alu instid0(VALU_DEP_1)
	v_add_f64_e64 v[34:35], v[34:35], -v[38:39]
.LBB253_355:                            ;   in Loop: Header=BB253_233 Depth=1
	s_or_b32 exec_lo, exec_lo, s1
                                        ; implicit-def: $vgpr40
                                        ; implicit-def: $vgpr36_vgpr37
                                        ; implicit-def: $vgpr38_vgpr39
	s_and_saveexec_b32 s1, s0
	s_delay_alu instid0(SALU_CYCLE_1)
	s_xor_b32 s0, exec_lo, s1
	s_cbranch_execz .LBB253_357
; %bb.356:                              ;   in Loop: Header=BB253_233 Depth=1
	v_ldexp_f64 v[36:37], |v[12:13]|, 0xffffff80
	v_cmp_le_f64_e64 vcc_lo, 0x7b000000, |v[12:13]|
	v_trig_preop_f64 v[38:39], |v[12:13]|, 0
	v_and_b32_e32 v21, 0x7fffffff, v13
	v_trig_preop_f64 v[40:41], |v[12:13]|, 1
	v_trig_preop_f64 v[50:51], |v[12:13]|, 2
	s_delay_alu instid0(VALU_DEP_3) | instskip(NEXT) | instid1(VALU_DEP_1)
	v_dual_cndmask_b32 v37, v21, v37 :: v_dual_cndmask_b32 v36, v12, v36
	v_mul_f64_e32 v[42:43], v[38:39], v[36:37]
	s_delay_alu instid0(VALU_DEP_4) | instskip(NEXT) | instid1(VALU_DEP_4)
	v_mul_f64_e32 v[44:45], v[40:41], v[36:37]
	v_mul_f64_e32 v[56:57], v[50:51], v[36:37]
	s_delay_alu instid0(VALU_DEP_3) | instskip(NEXT) | instid1(VALU_DEP_3)
	v_fma_f64 v[38:39], v[38:39], v[36:37], -v[42:43]
	v_fma_f64 v[40:41], v[40:41], v[36:37], -v[44:45]
	s_delay_alu instid0(VALU_DEP_3) | instskip(NEXT) | instid1(VALU_DEP_3)
	v_fma_f64 v[36:37], v[50:51], v[36:37], -v[56:57]
	v_add_f64_e32 v[46:47], v[44:45], v[38:39]
	s_delay_alu instid0(VALU_DEP_1) | instskip(SKIP_1) | instid1(VALU_DEP_2)
	v_add_f64_e64 v[48:49], v[46:47], -v[44:45]
	v_add_f64_e32 v[54:55], v[42:43], v[46:47]
	v_add_f64_e64 v[52:53], v[46:47], -v[48:49]
	v_add_f64_e64 v[38:39], v[38:39], -v[48:49]
	s_delay_alu instid0(VALU_DEP_3) | instskip(NEXT) | instid1(VALU_DEP_3)
	v_ldexp_f64 v[48:49], v[54:55], -2
	v_add_f64_e64 v[44:45], v[44:45], -v[52:53]
	v_add_f64_e32 v[52:53], v[56:57], v[40:41]
	s_delay_alu instid0(VALU_DEP_3) | instskip(NEXT) | instid1(VALU_DEP_3)
	v_cmp_neq_f64_e64 vcc_lo, 0x7ff00000, |v[48:49]|
	v_add_f64_e32 v[38:39], v[38:39], v[44:45]
	v_fract_f64_e32 v[44:45], v[48:49]
	s_delay_alu instid0(VALU_DEP_1) | instskip(NEXT) | instid1(VALU_DEP_1)
	v_ldexp_f64 v[44:45], v[44:45], 2
	v_dual_add_f64 v[42:43], v[54:55], -v[42:43] :: v_dual_cndmask_b32 v44, 0, v44, vcc_lo
	s_delay_alu instid0(VALU_DEP_1) | instskip(SKIP_1) | instid1(VALU_DEP_1)
	v_dual_add_f64 v[42:43], v[46:47], -v[42:43] :: v_dual_cndmask_b32 v45, 0, v45, vcc_lo
	v_add_f64_e32 v[46:47], v[52:53], v[38:39]
	v_add_f64_e32 v[48:49], v[42:43], v[46:47]
	v_add_f64_e64 v[58:59], v[46:47], -v[52:53]
	s_delay_alu instid0(VALU_DEP_2) | instskip(NEXT) | instid1(VALU_DEP_2)
	v_add_f64_e32 v[54:55], v[48:49], v[44:45]
	v_add_f64_e64 v[64:65], v[46:47], -v[58:59]
	v_add_f64_e64 v[38:39], v[38:39], -v[58:59]
	;; [unrolled: 1-line block ×3, first 2 shown]
	s_delay_alu instid0(VALU_DEP_4) | instskip(SKIP_2) | instid1(VALU_DEP_2)
	v_cmp_gt_f64_e32 vcc_lo, 0, v[54:55]
	v_add_f64_e64 v[54:55], v[52:53], -v[56:57]
	v_cndmask_b32_e64 v21, 0, 0x40100000, vcc_lo
	v_add_f64_e64 v[62:63], v[52:53], -v[54:55]
	v_add_f64_e64 v[40:41], v[40:41], -v[54:55]
	;; [unrolled: 1-line block ×3, first 2 shown]
	s_delay_alu instid0(VALU_DEP_4) | instskip(NEXT) | instid1(VALU_DEP_4)
	v_add_f64_e32 v[44:45], v[44:45], v[20:21]
	v_add_f64_e64 v[54:55], v[56:57], -v[62:63]
	s_delay_alu instid0(VALU_DEP_3) | instskip(NEXT) | instid1(VALU_DEP_3)
	v_add_f64_e32 v[38:39], v[38:39], v[52:53]
	v_add_f64_e32 v[60:61], v[48:49], v[44:45]
	s_delay_alu instid0(VALU_DEP_3) | instskip(NEXT) | instid1(VALU_DEP_2)
	v_add_f64_e32 v[40:41], v[40:41], v[54:55]
	v_cvt_i32_f64_e32 v21, v[60:61]
	s_delay_alu instid0(VALU_DEP_2) | instskip(SKIP_1) | instid1(VALU_DEP_3)
	v_add_f64_e32 v[38:39], v[40:41], v[38:39]
	v_add_f64_e64 v[40:41], v[46:47], -v[42:43]
	v_cvt_f64_i32_e32 v[58:59], v21
	s_delay_alu instid0(VALU_DEP_3) | instskip(NEXT) | instid1(VALU_DEP_2)
	v_add_f64_e32 v[36:37], v[36:37], v[38:39]
	v_add_f64_e64 v[44:45], v[44:45], -v[58:59]
	s_delay_alu instid0(VALU_DEP_2) | instskip(NEXT) | instid1(VALU_DEP_2)
	v_add_f64_e32 v[36:37], v[40:41], v[36:37]
	v_add_f64_e32 v[50:51], v[48:49], v[44:45]
	s_delay_alu instid0(VALU_DEP_1) | instskip(SKIP_1) | instid1(VALU_DEP_2)
	v_add_f64_e64 v[38:39], v[50:51], -v[44:45]
	v_cmp_le_f64_e32 vcc_lo, 0.5, v[50:51]
	v_add_f64_e64 v[38:39], v[48:49], -v[38:39]
	v_add_co_ci_u32_e64 v40, null, 0, v21, vcc_lo
	v_cndmask_b32_e64 v21, 0, 0x3ff00000, vcc_lo
	s_delay_alu instid0(VALU_DEP_3) | instskip(NEXT) | instid1(VALU_DEP_2)
	v_add_f64_e32 v[36:37], v[36:37], v[38:39]
	v_add_f64_e64 v[38:39], v[50:51], -v[20:21]
	s_delay_alu instid0(VALU_DEP_1) | instskip(NEXT) | instid1(VALU_DEP_1)
	v_add_f64_e32 v[42:43], v[38:39], v[36:37]
	v_mul_f64_e32 v[44:45], 0x3ff921fb54442d18, v[42:43]
	v_add_f64_e64 v[38:39], v[42:43], -v[38:39]
	s_delay_alu instid0(VALU_DEP_2) | instskip(NEXT) | instid1(VALU_DEP_2)
	v_fma_f64 v[46:47], v[42:43], s[6:7], -v[44:45]
	v_add_f64_e64 v[36:37], v[36:37], -v[38:39]
	s_delay_alu instid0(VALU_DEP_2) | instskip(NEXT) | instid1(VALU_DEP_1)
	v_fmac_f64_e32 v[46:47], 0x3c91a62633145c07, v[42:43]
	v_fmac_f64_e32 v[46:47], 0x3ff921fb54442d18, v[36:37]
	s_delay_alu instid0(VALU_DEP_1) | instskip(NEXT) | instid1(VALU_DEP_1)
	v_add_f64_e32 v[36:37], v[44:45], v[46:47]
	v_add_f64_e64 v[38:39], v[36:37], -v[44:45]
	s_delay_alu instid0(VALU_DEP_1)
	v_add_f64_e64 v[38:39], v[46:47], -v[38:39]
	s_and_not1_saveexec_b32 s0, s0
	s_cbranch_execnz .LBB253_358
	s_branch .LBB253_359
.LBB253_357:                            ;   in Loop: Header=BB253_233 Depth=1
	s_and_not1_saveexec_b32 s0, s0
	s_cbranch_execz .LBB253_359
.LBB253_358:                            ;   in Loop: Header=BB253_233 Depth=1
	v_mul_f64_e64 v[36:37], |v[12:13]|, s[8:9]
	s_delay_alu instid0(VALU_DEP_1) | instskip(NEXT) | instid1(VALU_DEP_1)
	v_rndne_f64_e32 v[40:41], v[36:37]
	v_fma_f64 v[36:37], v[40:41], s[10:11], |v[12:13]|
	v_mul_f64_e32 v[38:39], 0xbc91a62633145c00, v[40:41]
	s_delay_alu instid0(VALU_DEP_2) | instskip(NEXT) | instid1(VALU_DEP_2)
	v_fmamk_f64 v[46:47], v[40:41], 0xbc91a62633145c00, v[36:37]
	v_add_f64_e32 v[42:43], v[36:37], v[38:39]
	s_delay_alu instid0(VALU_DEP_1) | instskip(NEXT) | instid1(VALU_DEP_3)
	v_add_f64_e64 v[44:45], v[36:37], -v[42:43]
	v_add_f64_e64 v[36:37], v[42:43], -v[46:47]
	s_delay_alu instid0(VALU_DEP_2) | instskip(SKIP_1) | instid1(VALU_DEP_2)
	v_add_f64_e32 v[42:43], v[44:45], v[38:39]
	v_fmamk_f64 v[38:39], v[40:41], 0x3c91a62633145c00, v[38:39]
	v_add_f64_e32 v[36:37], v[36:37], v[42:43]
	s_delay_alu instid0(VALU_DEP_1) | instskip(NEXT) | instid1(VALU_DEP_1)
	v_add_f64_e64 v[38:39], v[36:37], -v[38:39]
	v_fmac_f64_e32 v[38:39], 0xb97b839a252049c0, v[40:41]
	v_cvt_i32_f64_e32 v40, v[40:41]
	s_delay_alu instid0(VALU_DEP_2) | instskip(NEXT) | instid1(VALU_DEP_1)
	v_add_f64_e32 v[36:37], v[46:47], v[38:39]
	v_add_f64_e64 v[42:43], v[36:37], -v[46:47]
	s_delay_alu instid0(VALU_DEP_1)
	v_add_f64_e64 v[38:39], v[38:39], -v[42:43]
.LBB253_359:                            ;   in Loop: Header=BB253_233 Depth=1
	s_or_b32 exec_lo, exec_lo, s0
	v_add_f64_e64 v[10:11], -v[10:11], s[18:19]
	v_mul_f64_e32 v[44:45], v[32:33], v[32:33]
	s_delay_alu instid0(VALU_DEP_3)
	v_mul_f64_e32 v[58:59], 0.5, v[34:35]
	v_cmp_class_f64_e64 s0, v[12:13], 0x1f8
	v_lshlrev_b32_e32 v13, 30, v40
	v_mul_f64_e32 v[46:47], v[36:37], v[36:37]
	v_mul_f64_e32 v[42:43], 0x3ff71547652b82fe, v[10:11]
	v_mul_f64_e32 v[48:49], 0.5, v[44:45]
	v_cmp_nlt_f64_e64 s1, 0x40900000, v[10:11]
	v_cmp_ngt_f64_e64 s2, 0xc090cc00, v[10:11]
	s_delay_alu instid0(VALU_DEP_4) | instskip(NEXT) | instid1(VALU_DEP_4)
	v_rndne_f64_e32 v[42:43], v[42:43]
	v_add_f64_e64 v[54:55], -v[48:49], 1.0
	s_delay_alu instid0(VALU_DEP_2) | instskip(NEXT) | instid1(VALU_DEP_2)
	v_fmamk_f64 v[52:53], v[42:43], 0xbfe62e42fefa39ef, v[10:11]
	v_add_f64_e64 v[62:63], -v[54:55], 1.0
	v_cvt_i32_f64_e32 v21, v[42:43]
	v_and_b32_e32 v10, 1, v40
	s_delay_alu instid0(VALU_DEP_4) | instskip(NEXT) | instid1(VALU_DEP_2)
	v_fmac_f64_e32 v[52:53], 0xbc7abc9e3b39803f, v[42:43]
	v_cmp_eq_u32_e64 s3, 0, v10
	v_mul_f64_e32 v[68:69], 0.5, v[38:39]
	v_add_f64_e64 v[48:49], v[62:63], -v[48:49]
	s_delay_alu instid0(VALU_DEP_4) | instskip(NEXT) | instid1(VALU_DEP_1)
	v_fmamk_f64 v[66:67], v[52:53], 0x3e5ade156a5dcb37, v[22:23]
	v_fmaak_f64 v[66:67], v[52:53], v[66:67], 0x3ec71dee623fde64
	s_delay_alu instid0(VALU_DEP_1) | instskip(NEXT) | instid1(VALU_DEP_1)
	v_fmaak_f64 v[66:67], v[52:53], v[66:67], 0x3efa01997c89e6b0
	v_fmaak_f64 v[66:67], v[52:53], v[66:67], 0x3f2a01a014761f6e
	s_delay_alu instid0(VALU_DEP_1) | instskip(NEXT) | instid1(VALU_DEP_1)
	v_fmaak_f64 v[62:63], v[52:53], v[66:67], 0x3f56c16c1852b7b0
	;; [unrolled: 3-line block ×4, first 2 shown]
	v_fma_f64 v[62:63], v[52:53], v[62:63], 1.0
	s_delay_alu instid0(VALU_DEP_1) | instskip(NEXT) | instid1(VALU_DEP_1)
	v_fma_f64 v[42:43], v[52:53], v[62:63], 1.0
	v_ldexp_f64 v[42:43], v[42:43], v21
	v_and_b32_e32 v21, 1, v30
	v_fmamk_f64 v[64:65], v[44:45], 0x3de5e0b2f9a43bb8, v[26:27]
	v_lshlrev_b32_e32 v30, 30, v30
	v_mul_f64_e32 v[50:51], 0.5, v[46:47]
	v_mul_f64_e64 v[70:71], v[36:37], -v[46:47]
	v_cmp_eq_u32_e32 vcc_lo, 0, v21
	v_mul_f64_e64 v[60:61], v[32:33], -v[44:45]
	v_fmamk_f64 v[74:75], v[46:47], 0x3de5e0b2f9a43bb8, v[26:27]
	v_fmaak_f64 v[64:65], v[44:45], v[64:65], 0x3ec71de3796cde01
	v_mul_f64_e32 v[66:67], v[44:45], v[44:45]
	s_delay_alu instid0(VALU_DEP_2) | instskip(NEXT) | instid1(VALU_DEP_1)
	v_fmaak_f64 v[64:65], v[44:45], v[64:65], 0xbf2a01a019e83e5c
	v_fmaak_f64 v[64:65], v[44:45], v[64:65], 0x3f81111111110bb3
	v_cndmask_b32_e64 v12, 0x7ff00000, v43, s1
	v_add_f64_e64 v[56:57], -v[50:51], 1.0
	s_delay_alu instid0(VALU_DEP_3) | instskip(SKIP_1) | instid1(VALU_DEP_1)
	v_fmac_f64_e32 v[58:59], v[60:61], v[64:65]
	v_fmaak_f64 v[64:65], v[46:47], v[74:75], 0x3ec71de3796cde01
	v_fmaak_f64 v[64:65], v[46:47], v[64:65], 0xbf2a01a019e83e5c
	s_delay_alu instid0(VALU_DEP_1) | instskip(NEXT) | instid1(VALU_DEP_1)
	v_fmaak_f64 v[64:65], v[46:47], v[64:65], 0x3f81111111110bb3
	v_fmac_f64_e32 v[68:69], v[70:71], v[64:65]
	v_fmamk_f64 v[64:65], v[44:45], 0xbda907db46cc5e42, v[24:25]
	v_add_f64_e64 v[72:73], -v[56:57], 1.0
	v_fma_f64 v[58:59], v[44:45], v[58:59], -v[34:35]
	v_fma_f64 v[34:35], v[32:33], -v[34:35], v[48:49]
	s_delay_alu instid0(VALU_DEP_4) | instskip(NEXT) | instid1(VALU_DEP_1)
	v_fmaak_f64 v[48:49], v[44:45], v[64:65], 0xbe927e4fa17f65f6
	v_fmaak_f64 v[48:49], v[44:45], v[48:49], 0x3efa01a019f4ec90
	s_delay_alu instid0(VALU_DEP_1) | instskip(NEXT) | instid1(VALU_DEP_1)
	v_fmaak_f64 v[48:49], v[44:45], v[48:49], 0xbf56c16c16c16967
	v_fmaak_f64 v[44:45], v[44:45], v[48:49], 0x3fa5555555555555
	v_fma_f64 v[48:49], v[46:47], v[68:69], -v[38:39]
	v_add_f64_e64 v[50:51], v[72:73], -v[50:51]
	v_fmamk_f64 v[72:73], v[46:47], 0xbda907db46cc5e42, v[24:25]
	v_fmac_f64_e32 v[58:59], 0xbfc5555555555555, v[60:61]
	v_fmac_f64_e32 v[34:35], v[66:67], v[44:45]
	;; [unrolled: 1-line block ×3, first 2 shown]
	s_delay_alu instid0(VALU_DEP_3) | instskip(NEXT) | instid1(VALU_DEP_3)
	v_add_f64_e64 v[32:33], v[32:33], -v[58:59]
	v_add_f64_e32 v[34:35], v[54:55], v[34:35]
	s_delay_alu instid0(VALU_DEP_2) | instskip(NEXT) | instid1(VALU_DEP_2)
	v_xor_b32_e32 v11, 0x80000000, v33
	v_dual_cndmask_b32 v21, v32, v34, vcc_lo :: v_dual_cndmask_b32 v32, 0, v12, s2
	v_mul_f64_e32 v[64:65], v[46:47], v[46:47]
	v_fma_f64 v[38:39], v[36:37], -v[38:39], v[50:51]
	v_fmaak_f64 v[50:51], v[46:47], v[72:73], 0xbe927e4fa17f65f6
	v_dual_add_f64 v[36:37], v[36:37], -v[48:49] :: v_dual_cndmask_b32 v10, v11, v35, vcc_lo
	v_xor_b32_e32 v11, v13, v31
	s_and_b32 vcc_lo, s2, s1
	s_delay_alu instid0(VALU_DEP_3) | instskip(NEXT) | instid1(VALU_DEP_3)
	v_fmaak_f64 v[44:45], v[46:47], v[50:51], 0x3efa01a019f4ec90
	v_bitop3_b32 v30, v10, v30, 0x80000000 bitop3:0x78
	v_cndmask_b32_e64 v10, 0, v21, s0
	s_delay_alu instid0(VALU_DEP_3) | instskip(NEXT) | instid1(VALU_DEP_1)
	v_fmaak_f64 v[44:45], v[46:47], v[44:45], 0xbf56c16c16c16967
	v_fmaak_f64 v[44:45], v[46:47], v[44:45], 0x3fa5555555555555
	s_delay_alu instid0(VALU_DEP_1) | instskip(NEXT) | instid1(VALU_DEP_1)
	v_fmac_f64_e32 v[38:39], v[64:65], v[44:45]
	v_add_f64_e32 v[38:39], v[56:57], v[38:39]
	s_delay_alu instid0(VALU_DEP_1) | instskip(NEXT) | instid1(VALU_DEP_1)
	v_dual_cndmask_b32 v31, v39, v37, s3 :: v_dual_cndmask_b32 v13, v38, v36, s3
	v_bitop3_b32 v21, v31, v11, 0x80000000 bitop3:0x78
	v_cndmask_b32_e64 v11, 0x7ff80000, v30, s0
	s_delay_alu instid0(VALU_DEP_3) | instskip(SKIP_3) | instid1(VALU_DEP_2)
	v_cndmask_b32_e64 v12, 0, v13, s0
	v_and_or_b32 v31, v32, s22, 0x7fe00000
	v_cndmask_b32_e32 v30, 0, v42, vcc_lo
	v_cndmask_b32_e64 v13, 0x7ff80000, v21, s0
	v_dual_mul_f64 v[10:11], v[30:31], v[10:11] :: v_dual_lshrrev_b32 v21, 20, v32
	s_delay_alu instid0(VALU_DEP_2) | instskip(NEXT) | instid1(VALU_DEP_2)
	v_mul_f64_e32 v[12:13], v[30:31], v[12:13]
	v_add_nc_u32_e32 v30, 0xffffff09, v21
	s_delay_alu instid0(VALU_DEP_1) | instskip(NEXT) | instid1(VALU_DEP_1)
	v_lshrrev_b16 v21, 15, v30
	v_add_nc_u16 v21, v30, v21
	s_delay_alu instid0(VALU_DEP_1) | instskip(NEXT) | instid1(VALU_DEP_1)
	v_ashrrev_i16 v21, 1, v21
	v_bfe_i32 v31, v21, 0, 16
	s_delay_alu instid0(VALU_DEP_1) | instskip(NEXT) | instid1(VALU_DEP_1)
	v_lshl_add_u32 v21, v31, 20, 0x3ff00000
	v_mul_f64_e32 v[10:11], v[10:11], v[20:21]
	v_dual_mul_f64 v[12:13], v[12:13], v[20:21] :: v_dual_sub_nc_u32 v21, v30, v31
	v_mov_b32_e32 v30, v20
	s_delay_alu instid0(VALU_DEP_2) | instskip(NEXT) | instid1(VALU_DEP_1)
	v_lshl_add_u32 v31, v21, 20, 0x3ff00000
	v_mul_f64_e32 v[32:33], v[10:11], v[30:31]
	s_delay_alu instid0(VALU_DEP_4)
	v_mul_f64_e32 v[30:31], v[12:13], v[30:31]
.LBB253_360:                            ;   in Loop: Header=BB253_233 Depth=1
	s_or_b32 exec_lo, exec_lo, s27
                                        ; implicit-def: $vgpr34_vgpr35
                                        ; implicit-def: $vgpr10_vgpr11
                                        ; implicit-def: $vgpr21
.LBB253_361:                            ;   in Loop: Header=BB253_233 Depth=1
	s_and_not1_saveexec_b32 s1, s26
	s_cbranch_execz .LBB253_367
; %bb.362:                              ;   in Loop: Header=BB253_233 Depth=1
	v_add_f64_e64 v[30:31], v[12:13], -v[12:13]
	v_cmp_ne_u32_e32 vcc_lo, 0, v10
	v_cmp_ne_u32_e64 s0, 0x7ff00000, v21
	s_or_b32 s0, vcc_lo, s0
	s_delay_alu instid0(SALU_CYCLE_1) | instskip(NEXT) | instid1(SALU_CYCLE_1)
	s_and_saveexec_b32 s2, s0
	s_xor_b32 s0, exec_lo, s2
; %bb.363:                              ;   in Loop: Header=BB253_233 Depth=1
                                        ; implicit-def: $vgpr34_vgpr35
                                        ; implicit-def: $vgpr10_vgpr11
; %bb.364:                              ;   in Loop: Header=BB253_233 Depth=1
	s_delay_alu instid0(SALU_CYCLE_1)
	s_or_saveexec_b32 s0, s0
	v_mov_b64_e32 v[32:33], v[30:31]
	s_xor_b32 exec_lo, exec_lo, s0
; %bb.365:                              ;   in Loop: Header=BB253_233 Depth=1
	v_cmp_lt_i64_e32 vcc_lo, -1, v[34:35]
	v_dual_cndmask_b32 v33, 0, v35 :: v_dual_cndmask_b32 v32, 0, v10
	v_dual_cndmask_b32 v31, 0, v31 :: v_dual_cndmask_b32 v30, 0, v30
; %bb.366:                              ;   in Loop: Header=BB253_233 Depth=1
	s_or_b32 exec_lo, exec_lo, s0
.LBB253_367:                            ;   in Loop: Header=BB253_233 Depth=1
	s_delay_alu instid0(SALU_CYCLE_1)
	s_or_b32 exec_lo, exec_lo, s1
                                        ; implicit-def: $vgpr12_vgpr13
.LBB253_368:                            ;   in Loop: Header=BB253_233 Depth=1
	s_and_not1_saveexec_b32 s2, s25
	s_cbranch_execz .LBB253_378
; %bb.369:                              ;   in Loop: Header=BB253_233 Depth=1
	v_cmp_ngt_f64_e64 s0, 0x41d00000, |v[12:13]|
                                        ; implicit-def: $vgpr30
                                        ; implicit-def: $vgpr10_vgpr11
                                        ; implicit-def: $vgpr32_vgpr33
	s_and_saveexec_b32 s1, s0
	s_delay_alu instid0(SALU_CYCLE_1)
	s_xor_b32 s1, exec_lo, s1
	s_cbranch_execz .LBB253_371
; %bb.370:                              ;   in Loop: Header=BB253_233 Depth=1
	v_ldexp_f64 v[10:11], |v[12:13]|, 0xffffff80
	v_cmp_le_f64_e64 vcc_lo, 0x7b000000, |v[12:13]|
	v_trig_preop_f64 v[32:33], |v[12:13]|, 0
	v_and_b32_e32 v21, 0x7fffffff, v13
	v_trig_preop_f64 v[34:35], |v[12:13]|, 1
	v_trig_preop_f64 v[44:45], |v[12:13]|, 2
	s_delay_alu instid0(VALU_DEP_3) | instskip(NEXT) | instid1(VALU_DEP_1)
	v_dual_cndmask_b32 v11, v21, v11 :: v_dual_cndmask_b32 v10, v12, v10
	v_mul_f64_e32 v[36:37], v[32:33], v[10:11]
	s_delay_alu instid0(VALU_DEP_4) | instskip(NEXT) | instid1(VALU_DEP_4)
	v_mul_f64_e32 v[38:39], v[34:35], v[10:11]
	v_mul_f64_e32 v[50:51], v[44:45], v[10:11]
	s_delay_alu instid0(VALU_DEP_3) | instskip(NEXT) | instid1(VALU_DEP_3)
	v_fma_f64 v[32:33], v[32:33], v[10:11], -v[36:37]
	v_fma_f64 v[34:35], v[34:35], v[10:11], -v[38:39]
	s_delay_alu instid0(VALU_DEP_3) | instskip(NEXT) | instid1(VALU_DEP_3)
	v_fma_f64 v[10:11], v[44:45], v[10:11], -v[50:51]
	v_add_f64_e32 v[40:41], v[38:39], v[32:33]
	s_delay_alu instid0(VALU_DEP_1) | instskip(SKIP_1) | instid1(VALU_DEP_2)
	v_add_f64_e64 v[42:43], v[40:41], -v[38:39]
	v_add_f64_e32 v[48:49], v[36:37], v[40:41]
	v_add_f64_e64 v[46:47], v[40:41], -v[42:43]
	v_add_f64_e64 v[32:33], v[32:33], -v[42:43]
	s_delay_alu instid0(VALU_DEP_3) | instskip(NEXT) | instid1(VALU_DEP_3)
	v_ldexp_f64 v[42:43], v[48:49], -2
	v_add_f64_e64 v[38:39], v[38:39], -v[46:47]
	v_add_f64_e32 v[46:47], v[50:51], v[34:35]
	s_delay_alu instid0(VALU_DEP_3) | instskip(NEXT) | instid1(VALU_DEP_3)
	v_cmp_neq_f64_e64 vcc_lo, 0x7ff00000, |v[42:43]|
	v_add_f64_e32 v[32:33], v[32:33], v[38:39]
	v_fract_f64_e32 v[38:39], v[42:43]
	s_delay_alu instid0(VALU_DEP_1) | instskip(NEXT) | instid1(VALU_DEP_1)
	v_ldexp_f64 v[38:39], v[38:39], 2
	v_dual_add_f64 v[36:37], v[48:49], -v[36:37] :: v_dual_cndmask_b32 v38, 0, v38, vcc_lo
	s_delay_alu instid0(VALU_DEP_1) | instskip(SKIP_1) | instid1(VALU_DEP_1)
	v_dual_add_f64 v[36:37], v[40:41], -v[36:37] :: v_dual_cndmask_b32 v39, 0, v39, vcc_lo
	v_add_f64_e32 v[40:41], v[46:47], v[32:33]
	v_add_f64_e32 v[42:43], v[36:37], v[40:41]
	v_add_f64_e64 v[52:53], v[40:41], -v[46:47]
	s_delay_alu instid0(VALU_DEP_2) | instskip(NEXT) | instid1(VALU_DEP_2)
	v_add_f64_e32 v[48:49], v[42:43], v[38:39]
	v_add_f64_e64 v[58:59], v[40:41], -v[52:53]
	v_add_f64_e64 v[32:33], v[32:33], -v[52:53]
	;; [unrolled: 1-line block ×3, first 2 shown]
	s_delay_alu instid0(VALU_DEP_4) | instskip(SKIP_1) | instid1(VALU_DEP_3)
	v_cmp_gt_f64_e32 vcc_lo, 0, v[48:49]
	v_add_f64_e64 v[48:49], v[46:47], -v[50:51]
	v_add_f64_e64 v[36:37], v[40:41], -v[36:37]
	v_cndmask_b32_e64 v21, 0, 0x40100000, vcc_lo
	s_delay_alu instid0(VALU_DEP_3) | instskip(SKIP_2) | instid1(VALU_DEP_4)
	v_add_f64_e64 v[56:57], v[46:47], -v[48:49]
	v_add_f64_e64 v[34:35], v[34:35], -v[48:49]
	;; [unrolled: 1-line block ×3, first 2 shown]
	v_add_f64_e32 v[38:39], v[38:39], v[20:21]
	s_delay_alu instid0(VALU_DEP_4) | instskip(NEXT) | instid1(VALU_DEP_3)
	v_add_f64_e64 v[48:49], v[50:51], -v[56:57]
	v_add_f64_e32 v[32:33], v[32:33], v[46:47]
	s_delay_alu instid0(VALU_DEP_3) | instskip(NEXT) | instid1(VALU_DEP_3)
	v_add_f64_e32 v[54:55], v[42:43], v[38:39]
	v_add_f64_e32 v[34:35], v[34:35], v[48:49]
	s_delay_alu instid0(VALU_DEP_2) | instskip(NEXT) | instid1(VALU_DEP_2)
	v_cvt_i32_f64_e32 v21, v[54:55]
	v_add_f64_e32 v[32:33], v[34:35], v[32:33]
	s_delay_alu instid0(VALU_DEP_2) | instskip(NEXT) | instid1(VALU_DEP_2)
	v_cvt_f64_i32_e32 v[52:53], v21
	v_add_f64_e32 v[10:11], v[10:11], v[32:33]
	s_delay_alu instid0(VALU_DEP_2) | instskip(NEXT) | instid1(VALU_DEP_2)
	v_add_f64_e64 v[38:39], v[38:39], -v[52:53]
	v_add_f64_e32 v[10:11], v[36:37], v[10:11]
	s_delay_alu instid0(VALU_DEP_2) | instskip(NEXT) | instid1(VALU_DEP_1)
	v_add_f64_e32 v[34:35], v[42:43], v[38:39]
	v_add_f64_e64 v[32:33], v[34:35], -v[38:39]
	v_cmp_le_f64_e32 vcc_lo, 0.5, v[34:35]
	s_delay_alu instid0(VALU_DEP_2) | instskip(SKIP_2) | instid1(VALU_DEP_3)
	v_add_f64_e64 v[32:33], v[42:43], -v[32:33]
	v_add_co_ci_u32_e64 v30, null, 0, v21, vcc_lo
	v_cndmask_b32_e64 v21, 0, 0x3ff00000, vcc_lo
	v_add_f64_e32 v[10:11], v[10:11], v[32:33]
	s_delay_alu instid0(VALU_DEP_2) | instskip(NEXT) | instid1(VALU_DEP_1)
	v_add_f64_e64 v[32:33], v[34:35], -v[20:21]
	v_add_f64_e32 v[34:35], v[32:33], v[10:11]
	s_delay_alu instid0(VALU_DEP_1) | instskip(SKIP_1) | instid1(VALU_DEP_2)
	v_mul_f64_e32 v[36:37], 0x3ff921fb54442d18, v[34:35]
	v_add_f64_e64 v[32:33], v[34:35], -v[32:33]
	v_fma_f64 v[38:39], v[34:35], s[6:7], -v[36:37]
	s_delay_alu instid0(VALU_DEP_2) | instskip(NEXT) | instid1(VALU_DEP_2)
	v_add_f64_e64 v[10:11], v[10:11], -v[32:33]
	v_fmac_f64_e32 v[38:39], 0x3c91a62633145c07, v[34:35]
	s_delay_alu instid0(VALU_DEP_1) | instskip(NEXT) | instid1(VALU_DEP_1)
	v_fmac_f64_e32 v[38:39], 0x3ff921fb54442d18, v[10:11]
	v_add_f64_e32 v[10:11], v[36:37], v[38:39]
	s_delay_alu instid0(VALU_DEP_1) | instskip(NEXT) | instid1(VALU_DEP_1)
	v_add_f64_e64 v[32:33], v[10:11], -v[36:37]
	v_add_f64_e64 v[32:33], v[38:39], -v[32:33]
	s_and_not1_saveexec_b32 s1, s1
	s_cbranch_execz .LBB253_373
	s_branch .LBB253_372
.LBB253_371:                            ;   in Loop: Header=BB253_233 Depth=1
	s_and_not1_saveexec_b32 s1, s1
	s_cbranch_execz .LBB253_373
.LBB253_372:                            ;   in Loop: Header=BB253_233 Depth=1
	v_mul_f64_e64 v[10:11], |v[12:13]|, s[8:9]
	s_delay_alu instid0(VALU_DEP_1) | instskip(NEXT) | instid1(VALU_DEP_1)
	v_rndne_f64_e32 v[34:35], v[10:11]
	v_fma_f64 v[10:11], v[34:35], s[10:11], |v[12:13]|
	v_mul_f64_e32 v[32:33], 0xbc91a62633145c00, v[34:35]
	v_cvt_i32_f64_e32 v30, v[34:35]
	s_delay_alu instid0(VALU_DEP_3) | instskip(NEXT) | instid1(VALU_DEP_3)
	v_fmamk_f64 v[40:41], v[34:35], 0xbc91a62633145c00, v[10:11]
	v_add_f64_e32 v[36:37], v[10:11], v[32:33]
	s_delay_alu instid0(VALU_DEP_1) | instskip(NEXT) | instid1(VALU_DEP_3)
	v_add_f64_e64 v[38:39], v[10:11], -v[36:37]
	v_add_f64_e64 v[10:11], v[36:37], -v[40:41]
	s_delay_alu instid0(VALU_DEP_2) | instskip(SKIP_1) | instid1(VALU_DEP_2)
	v_add_f64_e32 v[36:37], v[38:39], v[32:33]
	v_fmamk_f64 v[32:33], v[34:35], 0x3c91a62633145c00, v[32:33]
	v_add_f64_e32 v[10:11], v[10:11], v[36:37]
	s_delay_alu instid0(VALU_DEP_1) | instskip(NEXT) | instid1(VALU_DEP_1)
	v_add_f64_e64 v[32:33], v[10:11], -v[32:33]
	v_fmac_f64_e32 v[32:33], 0xb97b839a252049c0, v[34:35]
	s_delay_alu instid0(VALU_DEP_1) | instskip(NEXT) | instid1(VALU_DEP_1)
	v_add_f64_e32 v[10:11], v[40:41], v[32:33]
	v_add_f64_e64 v[36:37], v[10:11], -v[40:41]
	s_delay_alu instid0(VALU_DEP_1)
	v_add_f64_e64 v[32:33], v[32:33], -v[36:37]
.LBB253_373:                            ;   in Loop: Header=BB253_233 Depth=1
	s_or_b32 exec_lo, exec_lo, s1
                                        ; implicit-def: $vgpr38
                                        ; implicit-def: $vgpr34_vgpr35
                                        ; implicit-def: $vgpr36_vgpr37
	s_and_saveexec_b32 s1, s0
	s_delay_alu instid0(SALU_CYCLE_1)
	s_xor_b32 s0, exec_lo, s1
	s_cbranch_execz .LBB253_375
; %bb.374:                              ;   in Loop: Header=BB253_233 Depth=1
	v_ldexp_f64 v[34:35], |v[12:13]|, 0xffffff80
	v_cmp_le_f64_e64 vcc_lo, 0x7b000000, |v[12:13]|
	v_trig_preop_f64 v[36:37], |v[12:13]|, 0
	v_and_b32_e32 v21, 0x7fffffff, v13
	v_trig_preop_f64 v[38:39], |v[12:13]|, 1
	v_trig_preop_f64 v[48:49], |v[12:13]|, 2
	s_delay_alu instid0(VALU_DEP_3) | instskip(NEXT) | instid1(VALU_DEP_1)
	v_dual_cndmask_b32 v35, v21, v35 :: v_dual_cndmask_b32 v34, v12, v34
	v_mul_f64_e32 v[40:41], v[36:37], v[34:35]
	s_delay_alu instid0(VALU_DEP_4) | instskip(NEXT) | instid1(VALU_DEP_4)
	v_mul_f64_e32 v[42:43], v[38:39], v[34:35]
	v_mul_f64_e32 v[54:55], v[48:49], v[34:35]
	s_delay_alu instid0(VALU_DEP_3) | instskip(NEXT) | instid1(VALU_DEP_3)
	v_fma_f64 v[36:37], v[36:37], v[34:35], -v[40:41]
	v_fma_f64 v[38:39], v[38:39], v[34:35], -v[42:43]
	s_delay_alu instid0(VALU_DEP_3) | instskip(NEXT) | instid1(VALU_DEP_3)
	v_fma_f64 v[34:35], v[48:49], v[34:35], -v[54:55]
	v_add_f64_e32 v[44:45], v[42:43], v[36:37]
	s_delay_alu instid0(VALU_DEP_1) | instskip(SKIP_1) | instid1(VALU_DEP_2)
	v_add_f64_e64 v[46:47], v[44:45], -v[42:43]
	v_add_f64_e32 v[52:53], v[40:41], v[44:45]
	v_add_f64_e64 v[50:51], v[44:45], -v[46:47]
	v_add_f64_e64 v[36:37], v[36:37], -v[46:47]
	s_delay_alu instid0(VALU_DEP_3) | instskip(NEXT) | instid1(VALU_DEP_3)
	v_ldexp_f64 v[46:47], v[52:53], -2
	v_add_f64_e64 v[42:43], v[42:43], -v[50:51]
	v_add_f64_e32 v[50:51], v[54:55], v[38:39]
	s_delay_alu instid0(VALU_DEP_3) | instskip(NEXT) | instid1(VALU_DEP_3)
	v_cmp_neq_f64_e64 vcc_lo, 0x7ff00000, |v[46:47]|
	v_add_f64_e32 v[36:37], v[36:37], v[42:43]
	v_fract_f64_e32 v[42:43], v[46:47]
	s_delay_alu instid0(VALU_DEP_1) | instskip(NEXT) | instid1(VALU_DEP_1)
	v_ldexp_f64 v[42:43], v[42:43], 2
	v_dual_add_f64 v[40:41], v[52:53], -v[40:41] :: v_dual_cndmask_b32 v42, 0, v42, vcc_lo
	s_delay_alu instid0(VALU_DEP_1) | instskip(SKIP_1) | instid1(VALU_DEP_1)
	v_dual_add_f64 v[40:41], v[44:45], -v[40:41] :: v_dual_cndmask_b32 v43, 0, v43, vcc_lo
	v_add_f64_e32 v[44:45], v[50:51], v[36:37]
	v_add_f64_e32 v[46:47], v[40:41], v[44:45]
	v_add_f64_e64 v[56:57], v[44:45], -v[50:51]
	s_delay_alu instid0(VALU_DEP_2) | instskip(NEXT) | instid1(VALU_DEP_2)
	v_add_f64_e32 v[52:53], v[46:47], v[42:43]
	v_add_f64_e64 v[62:63], v[44:45], -v[56:57]
	v_add_f64_e64 v[36:37], v[36:37], -v[56:57]
	;; [unrolled: 1-line block ×3, first 2 shown]
	s_delay_alu instid0(VALU_DEP_4) | instskip(SKIP_2) | instid1(VALU_DEP_2)
	v_cmp_gt_f64_e32 vcc_lo, 0, v[52:53]
	v_add_f64_e64 v[52:53], v[50:51], -v[54:55]
	v_cndmask_b32_e64 v21, 0, 0x40100000, vcc_lo
	v_add_f64_e64 v[60:61], v[50:51], -v[52:53]
	v_add_f64_e64 v[38:39], v[38:39], -v[52:53]
	;; [unrolled: 1-line block ×3, first 2 shown]
	s_delay_alu instid0(VALU_DEP_4) | instskip(NEXT) | instid1(VALU_DEP_4)
	v_add_f64_e32 v[42:43], v[42:43], v[20:21]
	v_add_f64_e64 v[52:53], v[54:55], -v[60:61]
	s_delay_alu instid0(VALU_DEP_3) | instskip(NEXT) | instid1(VALU_DEP_3)
	v_add_f64_e32 v[36:37], v[36:37], v[50:51]
	v_add_f64_e32 v[58:59], v[46:47], v[42:43]
	s_delay_alu instid0(VALU_DEP_3) | instskip(NEXT) | instid1(VALU_DEP_2)
	v_add_f64_e32 v[38:39], v[38:39], v[52:53]
	v_cvt_i32_f64_e32 v21, v[58:59]
	s_delay_alu instid0(VALU_DEP_2) | instskip(SKIP_1) | instid1(VALU_DEP_3)
	v_add_f64_e32 v[36:37], v[38:39], v[36:37]
	v_add_f64_e64 v[38:39], v[44:45], -v[40:41]
	v_cvt_f64_i32_e32 v[56:57], v21
	s_delay_alu instid0(VALU_DEP_3) | instskip(NEXT) | instid1(VALU_DEP_2)
	v_add_f64_e32 v[34:35], v[34:35], v[36:37]
	v_add_f64_e64 v[42:43], v[42:43], -v[56:57]
	s_delay_alu instid0(VALU_DEP_2) | instskip(NEXT) | instid1(VALU_DEP_2)
	v_add_f64_e32 v[34:35], v[38:39], v[34:35]
	v_add_f64_e32 v[48:49], v[46:47], v[42:43]
	s_delay_alu instid0(VALU_DEP_1) | instskip(SKIP_1) | instid1(VALU_DEP_2)
	v_add_f64_e64 v[36:37], v[48:49], -v[42:43]
	v_cmp_le_f64_e32 vcc_lo, 0.5, v[48:49]
	v_add_f64_e64 v[36:37], v[46:47], -v[36:37]
	v_add_co_ci_u32_e64 v38, null, 0, v21, vcc_lo
	v_cndmask_b32_e64 v21, 0, 0x3ff00000, vcc_lo
	s_delay_alu instid0(VALU_DEP_3) | instskip(NEXT) | instid1(VALU_DEP_2)
	v_add_f64_e32 v[34:35], v[34:35], v[36:37]
	v_add_f64_e64 v[36:37], v[48:49], -v[20:21]
	s_delay_alu instid0(VALU_DEP_1) | instskip(NEXT) | instid1(VALU_DEP_1)
	v_add_f64_e32 v[40:41], v[36:37], v[34:35]
	v_mul_f64_e32 v[42:43], 0x3ff921fb54442d18, v[40:41]
	v_add_f64_e64 v[36:37], v[40:41], -v[36:37]
	s_delay_alu instid0(VALU_DEP_2) | instskip(NEXT) | instid1(VALU_DEP_2)
	v_fma_f64 v[44:45], v[40:41], s[6:7], -v[42:43]
	v_add_f64_e64 v[34:35], v[34:35], -v[36:37]
	s_delay_alu instid0(VALU_DEP_2) | instskip(NEXT) | instid1(VALU_DEP_1)
	v_fmac_f64_e32 v[44:45], 0x3c91a62633145c07, v[40:41]
	v_fmac_f64_e32 v[44:45], 0x3ff921fb54442d18, v[34:35]
	s_delay_alu instid0(VALU_DEP_1) | instskip(NEXT) | instid1(VALU_DEP_1)
	v_add_f64_e32 v[34:35], v[42:43], v[44:45]
	v_add_f64_e64 v[36:37], v[34:35], -v[42:43]
	s_delay_alu instid0(VALU_DEP_1)
	v_add_f64_e64 v[36:37], v[44:45], -v[36:37]
	s_and_not1_saveexec_b32 s0, s0
	s_cbranch_execnz .LBB253_376
	s_branch .LBB253_377
.LBB253_375:                            ;   in Loop: Header=BB253_233 Depth=1
	s_and_not1_saveexec_b32 s0, s0
	s_cbranch_execz .LBB253_377
.LBB253_376:                            ;   in Loop: Header=BB253_233 Depth=1
	v_mul_f64_e64 v[34:35], |v[12:13]|, s[8:9]
	s_delay_alu instid0(VALU_DEP_1) | instskip(NEXT) | instid1(VALU_DEP_1)
	v_rndne_f64_e32 v[38:39], v[34:35]
	v_fma_f64 v[34:35], v[38:39], s[10:11], |v[12:13]|
	v_mul_f64_e32 v[36:37], 0xbc91a62633145c00, v[38:39]
	s_delay_alu instid0(VALU_DEP_2) | instskip(NEXT) | instid1(VALU_DEP_2)
	v_fmamk_f64 v[44:45], v[38:39], 0xbc91a62633145c00, v[34:35]
	v_add_f64_e32 v[40:41], v[34:35], v[36:37]
	s_delay_alu instid0(VALU_DEP_1) | instskip(NEXT) | instid1(VALU_DEP_3)
	v_add_f64_e64 v[42:43], v[34:35], -v[40:41]
	v_add_f64_e64 v[34:35], v[40:41], -v[44:45]
	s_delay_alu instid0(VALU_DEP_2) | instskip(SKIP_1) | instid1(VALU_DEP_2)
	v_add_f64_e32 v[40:41], v[42:43], v[36:37]
	v_fmamk_f64 v[36:37], v[38:39], 0x3c91a62633145c00, v[36:37]
	v_add_f64_e32 v[34:35], v[34:35], v[40:41]
	s_delay_alu instid0(VALU_DEP_1) | instskip(NEXT) | instid1(VALU_DEP_1)
	v_add_f64_e64 v[36:37], v[34:35], -v[36:37]
	v_fmac_f64_e32 v[36:37], 0xb97b839a252049c0, v[38:39]
	v_cvt_i32_f64_e32 v38, v[38:39]
	s_delay_alu instid0(VALU_DEP_2) | instskip(NEXT) | instid1(VALU_DEP_1)
	v_add_f64_e32 v[34:35], v[44:45], v[36:37]
	v_add_f64_e64 v[40:41], v[34:35], -v[44:45]
	s_delay_alu instid0(VALU_DEP_1)
	v_add_f64_e64 v[36:37], v[36:37], -v[40:41]
.LBB253_377:                            ;   in Loop: Header=BB253_233 Depth=1
	s_or_b32 exec_lo, exec_lo, s0
	v_cmp_class_f64_e64 s0, v[12:13], 0x1f8
	v_mul_f64_e32 v[40:41], v[10:11], v[10:11]
	v_mul_f64_e32 v[42:43], v[34:35], v[34:35]
	s_delay_alu instid0(VALU_DEP_4) | instskip(SKIP_2) | instid1(VALU_DEP_3)
	v_dual_mul_f64 v[52:53], 0.5, v[32:33] :: v_dual_bitop2_b32 v12, 1, v38 bitop3:0x40
	v_dual_mul_f64 v[60:61], 0.5, v[36:37] :: v_dual_bitop2_b32 v21, 1, v30 bitop3:0x40
	v_lshlrev_b32_e32 v13, 30, v38
	v_cmp_eq_u32_e64 s1, 0, v12
	v_lshlrev_b32_e32 v12, 30, v30
	s_delay_alu instid0(VALU_DEP_4) | instskip(NEXT) | instid1(VALU_DEP_4)
	v_cmp_eq_u32_e32 vcc_lo, 0, v21
	v_dual_mul_f64 v[44:45], 0.5, v[40:41] :: v_dual_bitop2_b32 v13, v13, v31 bitop3:0x14
	v_mul_f64_e64 v[54:55], v[10:11], -v[40:41]
	v_fmamk_f64 v[58:59], v[40:41], 0x3de5e0b2f9a43bb8, v[26:27]
	v_mul_f64_e64 v[62:63], v[34:35], -v[42:43]
	v_fmamk_f64 v[66:67], v[42:43], 0x3de5e0b2f9a43bb8, v[26:27]
	s_delay_alu instid0(VALU_DEP_3) | instskip(NEXT) | instid1(VALU_DEP_1)
	v_fmaak_f64 v[58:59], v[40:41], v[58:59], 0x3ec71de3796cde01
	v_fmaak_f64 v[58:59], v[40:41], v[58:59], 0xbf2a01a019e83e5c
	s_delay_alu instid0(VALU_DEP_1) | instskip(SKIP_1) | instid1(VALU_DEP_2)
	v_fmaak_f64 v[58:59], v[40:41], v[58:59], 0x3f81111111110bb3
	v_add_f64_e64 v[48:49], -v[44:45], 1.0
	v_fmac_f64_e32 v[52:53], v[54:55], v[58:59]
	v_mul_f64_e32 v[58:59], v[40:41], v[40:41]
	s_delay_alu instid0(VALU_DEP_3) | instskip(NEXT) | instid1(VALU_DEP_3)
	v_add_f64_e64 v[56:57], -v[48:49], 1.0
	v_fma_f64 v[52:53], v[40:41], v[52:53], -v[32:33]
	s_delay_alu instid0(VALU_DEP_2) | instskip(SKIP_1) | instid1(VALU_DEP_3)
	v_add_f64_e64 v[44:45], v[56:57], -v[44:45]
	v_fmaak_f64 v[56:57], v[42:43], v[66:67], 0x3ec71de3796cde01
	v_fmac_f64_e32 v[52:53], 0xbfc5555555555555, v[54:55]
	s_delay_alu instid0(VALU_DEP_2) | instskip(NEXT) | instid1(VALU_DEP_1)
	v_fmaak_f64 v[56:57], v[42:43], v[56:57], 0xbf2a01a019e83e5c
	v_fmaak_f64 v[56:57], v[42:43], v[56:57], 0x3f81111111110bb3
	s_delay_alu instid0(VALU_DEP_1) | instskip(SKIP_2) | instid1(VALU_DEP_2)
	v_fmac_f64_e32 v[60:61], v[62:63], v[56:57]
	v_fmamk_f64 v[56:57], v[40:41], 0xbda907db46cc5e42, v[24:25]
	v_fma_f64 v[32:33], v[10:11], -v[32:33], v[44:45]
	v_fmaak_f64 v[44:45], v[40:41], v[56:57], 0xbe927e4fa17f65f6
	v_add_f64_e64 v[10:11], v[10:11], -v[52:53]
	v_fmamk_f64 v[56:57], v[42:43], 0xbda907db46cc5e42, v[24:25]
	s_delay_alu instid0(VALU_DEP_3) | instskip(NEXT) | instid1(VALU_DEP_1)
	v_fmaak_f64 v[44:45], v[40:41], v[44:45], 0x3efa01a019f4ec90
	v_fmaak_f64 v[44:45], v[40:41], v[44:45], 0xbf56c16c16c16967
	s_delay_alu instid0(VALU_DEP_1) | instskip(SKIP_2) | instid1(VALU_DEP_3)
	v_fmaak_f64 v[40:41], v[40:41], v[44:45], 0x3fa5555555555555
	v_fma_f64 v[60:61], v[42:43], v[60:61], -v[36:37]
	v_fmaak_f64 v[44:45], v[42:43], v[56:57], 0xbe927e4fa17f65f6
	v_fmac_f64_e32 v[32:33], v[58:59], v[40:41]
	s_delay_alu instid0(VALU_DEP_2) | instskip(SKIP_1) | instid1(VALU_DEP_2)
	v_fmaak_f64 v[40:41], v[42:43], v[44:45], 0x3efa01a019f4ec90
	v_xor_b32_e32 v11, 0x80000000, v11
	v_fmaak_f64 v[40:41], v[42:43], v[40:41], 0xbf56c16c16c16967
	s_delay_alu instid0(VALU_DEP_1) | instskip(SKIP_2) | instid1(VALU_DEP_1)
	v_fmaak_f64 v[40:41], v[42:43], v[40:41], 0x3fa5555555555555
	v_fmac_f64_e32 v[60:61], 0xbfc5555555555555, v[62:63]
	v_add_f64_e32 v[32:33], v[48:49], v[32:33]
	v_dual_mul_f64 v[46:47], 0.5, v[42:43] :: v_dual_cndmask_b32 v10, v10, v32, vcc_lo
	s_delay_alu instid0(VALU_DEP_1) | instskip(NEXT) | instid1(VALU_DEP_2)
	v_add_f64_e64 v[50:51], -v[46:47], 1.0
	v_dual_cndmask_b32 v11, v11, v33, vcc_lo :: v_dual_cndmask_b32 v32, 0, v10, s0
	s_delay_alu instid0(VALU_DEP_1) | instskip(NEXT) | instid1(VALU_DEP_1)
	v_bitop3_b32 v11, v11, v12, 0x80000000 bitop3:0x78
	v_cndmask_b32_e64 v33, 0x7ff80000, v11, s0
	s_delay_alu instid0(VALU_DEP_4) | instskip(NEXT) | instid1(VALU_DEP_1)
	v_add_f64_e64 v[64:65], -v[50:51], 1.0
	v_add_f64_e64 v[46:47], v[64:65], -v[46:47]
	v_mul_f64_e32 v[64:65], v[42:43], v[42:43]
	s_delay_alu instid0(VALU_DEP_2) | instskip(SKIP_1) | instid1(VALU_DEP_2)
	v_fma_f64 v[36:37], v[34:35], -v[36:37], v[46:47]
	v_add_f64_e64 v[34:35], v[34:35], -v[60:61]
	v_fmac_f64_e32 v[36:37], v[64:65], v[40:41]
	s_delay_alu instid0(VALU_DEP_1) | instskip(NEXT) | instid1(VALU_DEP_1)
	v_add_f64_e32 v[36:37], v[50:51], v[36:37]
	v_dual_cndmask_b32 v30, v37, v35, s1 :: v_dual_cndmask_b32 v21, v36, v34, s1
	s_delay_alu instid0(VALU_DEP_1) | instskip(NEXT) | instid1(VALU_DEP_2)
	v_bitop3_b32 v12, v30, v13, 0x80000000 bitop3:0x78
	v_cndmask_b32_e64 v30, 0, v21, s0
	s_delay_alu instid0(VALU_DEP_2)
	v_cndmask_b32_e64 v31, 0x7ff80000, v12, s0
.LBB253_378:                            ;   in Loop: Header=BB253_233 Depth=1
	s_or_b32 exec_lo, exec_lo, s2
                                        ; implicit-def: $vgpr10_vgpr11
.LBB253_379:                            ;   in Loop: Header=BB253_233 Depth=1
	s_and_not1_saveexec_b32 s1, s24
	s_cbranch_execz .LBB253_381
; %bb.380:                              ;   in Loop: Header=BB253_233 Depth=1
	v_mul_f64_e32 v[12:13], 0xbff71547652b82fe, v[10:11]
	v_cmp_ngt_f64_e32 vcc_lo, 0xc0900000, v[10:11]
	v_cmp_nlt_f64_e64 s0, 0x4090cc00, v[10:11]
	s_delay_alu instid0(VALU_DEP_3) | instskip(NEXT) | instid1(VALU_DEP_1)
	v_rndne_f64_e32 v[12:13], v[12:13]
	v_fma_f64 v[32:33], v[12:13], s[16:17], -v[10:11]
	v_cvt_i32_f64_e32 v21, v[12:13]
	s_delay_alu instid0(VALU_DEP_2) | instskip(NEXT) | instid1(VALU_DEP_1)
	v_fmac_f64_e32 v[32:33], 0xbc7abc9e3b39803f, v[12:13]
	v_fmamk_f64 v[34:35], v[32:33], 0x3e5ade156a5dcb37, v[22:23]
	s_delay_alu instid0(VALU_DEP_1) | instskip(NEXT) | instid1(VALU_DEP_1)
	v_fmaak_f64 v[34:35], v[32:33], v[34:35], 0x3ec71dee623fde64
	v_fmaak_f64 v[34:35], v[32:33], v[34:35], 0x3efa01997c89e6b0
	s_delay_alu instid0(VALU_DEP_1) | instskip(NEXT) | instid1(VALU_DEP_1)
	v_fmaak_f64 v[34:35], v[32:33], v[34:35], 0x3f2a01a014761f6e
	v_fmaak_f64 v[34:35], v[32:33], v[34:35], 0x3f56c16c1852b7b0
	;; [unrolled: 3-line block ×4, first 2 shown]
	s_delay_alu instid0(VALU_DEP_1) | instskip(NEXT) | instid1(VALU_DEP_1)
	v_fma_f64 v[34:35], v[32:33], v[34:35], 1.0
	v_fma_f64 v[12:13], v[32:33], v[34:35], 1.0
	s_delay_alu instid0(VALU_DEP_1) | instskip(NEXT) | instid1(VALU_DEP_1)
	v_ldexp_f64 v[12:13], v[12:13], v21
	v_cndmask_b32_e32 v13, 0x7ff00000, v13, vcc_lo
	s_and_b32 vcc_lo, s0, vcc_lo
	s_delay_alu instid0(VALU_DEP_1) | instid1(SALU_CYCLE_1)
	v_dual_cndmask_b32 v32, 0, v12, vcc_lo :: v_dual_cndmask_b32 v33, 0, v13, s0
.LBB253_381:                            ;   in Loop: Header=BB253_233 Depth=1
	s_or_b32 exec_lo, exec_lo, s1
	s_delay_alu instid0(VALU_DEP_1) | instskip(SKIP_1) | instid1(VALU_DEP_1)
	v_add_f64_e32 v[30:31], s[14:15], v[30:31]
	s_mov_b32 s0, exec_lo
	v_xor_b32_e32 v11, 0x80000000, v31
	s_delay_alu instid0(VALU_DEP_3) | instskip(NEXT) | instid1(VALU_DEP_1)
	v_add_f64_e32 v[32:33], s[12:13], v[32:33]
	v_cmp_gt_f64_e32 vcc_lo, 0, v[32:33]
	v_xor_b32_e32 v10, 0x80000000, v33
	s_delay_alu instid0(VALU_DEP_1) | instskip(SKIP_3) | instid1(VALU_DEP_1)
	v_cndmask_b32_e32 v35, v33, v10, vcc_lo
	v_cmp_gt_f64_e32 vcc_lo, 0, v[30:31]
	v_dual_cndmask_b32 v37, v31, v11 :: v_dual_mov_b32 v34, v32
	v_mov_b32_e32 v36, v30
                                        ; implicit-def: $vgpr12_vgpr13
	v_cmpx_ge_f64_e32 v[34:35], v[36:37]
	s_xor_b32 s1, exec_lo, s0
	s_cbranch_execz .LBB253_387
; %bb.382:                              ;   in Loop: Header=BB253_233 Depth=1
	v_cmp_neq_f64_e32 vcc_lo, 0, v[32:33]
	v_cmp_neq_f64_e64 s0, 0, v[30:31]
                                        ; implicit-def: $vgpr12_vgpr13
	s_or_b32 s0, vcc_lo, s0
	s_delay_alu instid0(SALU_CYCLE_1) | instskip(NEXT) | instid1(SALU_CYCLE_1)
	s_and_saveexec_b32 s2, s0
	s_xor_b32 s0, exec_lo, s2
	s_cbranch_execz .LBB253_384
; %bb.383:                              ;   in Loop: Header=BB253_233 Depth=1
	v_div_scale_f64 v[10:11], null, v[32:33], v[32:33], v[30:31]
	v_div_scale_f64 v[36:37], vcc_lo, v[30:31], v[32:33], v[30:31]
	s_delay_alu instid0(VALU_DEP_2) | instskip(SKIP_1) | instid1(TRANS32_DEP_1)
	v_rcp_f64_e32 v[12:13], v[10:11]
	v_nop
	v_fma_f64 v[34:35], -v[10:11], v[12:13], 1.0
	s_delay_alu instid0(VALU_DEP_1) | instskip(NEXT) | instid1(VALU_DEP_1)
	v_fmac_f64_e32 v[12:13], v[12:13], v[34:35]
	v_fma_f64 v[34:35], -v[10:11], v[12:13], 1.0
	s_delay_alu instid0(VALU_DEP_1) | instskip(NEXT) | instid1(VALU_DEP_1)
	v_fmac_f64_e32 v[12:13], v[12:13], v[34:35]
	v_mul_f64_e32 v[34:35], v[36:37], v[12:13]
	s_delay_alu instid0(VALU_DEP_1) | instskip(NEXT) | instid1(VALU_DEP_1)
	v_fma_f64 v[10:11], -v[10:11], v[34:35], v[36:37]
	v_div_fmas_f64 v[10:11], v[10:11], v[12:13], v[34:35]
	s_delay_alu instid0(VALU_DEP_1) | instskip(NEXT) | instid1(VALU_DEP_1)
	v_div_fixup_f64 v[10:11], v[10:11], v[32:33], v[30:31]
	v_fmac_f64_e32 v[32:33], v[30:31], v[10:11]
	s_delay_alu instid0(VALU_DEP_1) | instskip(SKIP_1) | instid1(VALU_DEP_2)
	v_div_scale_f64 v[12:13], null, v[32:33], v[32:33], 1.0
	v_div_scale_f64 v[36:37], vcc_lo, 1.0, v[32:33], 1.0
	v_rcp_f64_e32 v[30:31], v[12:13]
	v_nop
	s_delay_alu instid0(TRANS32_DEP_1) | instskip(NEXT) | instid1(VALU_DEP_1)
	v_fma_f64 v[34:35], -v[12:13], v[30:31], 1.0
	v_fmac_f64_e32 v[30:31], v[30:31], v[34:35]
	s_delay_alu instid0(VALU_DEP_1) | instskip(NEXT) | instid1(VALU_DEP_1)
	v_fma_f64 v[34:35], -v[12:13], v[30:31], 1.0
	v_fmac_f64_e32 v[30:31], v[30:31], v[34:35]
	s_delay_alu instid0(VALU_DEP_1) | instskip(NEXT) | instid1(VALU_DEP_1)
	v_mul_f64_e32 v[34:35], v[36:37], v[30:31]
	v_fma_f64 v[12:13], -v[12:13], v[34:35], v[36:37]
                                        ; implicit-def: $vgpr36_vgpr37
	s_delay_alu instid0(VALU_DEP_1) | instskip(SKIP_1) | instid1(VALU_DEP_2)
	v_div_fmas_f64 v[12:13], v[12:13], v[30:31], v[34:35]
	v_fma_f64 v[30:31], s[14:15], v[10:11], s[12:13]
                                        ; implicit-def: $vgpr34_vgpr35
	v_div_fixup_f64 v[12:13], v[12:13], v[32:33], 1.0
	v_fma_f64 v[32:33], -s[12:13], v[10:11], s[14:15]
	s_delay_alu instid0(VALU_DEP_2) | instskip(NEXT) | instid1(VALU_DEP_2)
	v_mul_f64_e32 v[10:11], v[30:31], v[12:13]
	v_mul_f64_e32 v[12:13], v[32:33], v[12:13]
.LBB253_384:                            ;   in Loop: Header=BB253_233 Depth=1
	s_and_not1_saveexec_b32 s2, s0
	s_cbranch_execz .LBB253_386
; %bb.385:                              ;   in Loop: Header=BB253_233 Depth=1
	v_div_scale_f64 v[10:11], null, v[34:35], v[34:35], s[12:13]
	v_div_scale_f64 v[12:13], null, v[36:37], v[36:37], s[14:15]
	v_div_scale_f64 v[42:43], vcc_lo, s[12:13], v[34:35], s[12:13]
	s_delay_alu instid0(VALU_DEP_3) | instskip(NEXT) | instid1(VALU_DEP_2)
	v_rcp_f64_e32 v[30:31], v[10:11]
	v_rcp_f64_e32 v[32:33], v[12:13]
	s_delay_alu instid0(TRANS32_DEP_2) | instskip(NEXT) | instid1(TRANS32_DEP_1)
	v_fma_f64 v[38:39], -v[10:11], v[30:31], 1.0
	v_fma_f64 v[40:41], -v[12:13], v[32:33], 1.0
	s_delay_alu instid0(VALU_DEP_2) | instskip(NEXT) | instid1(VALU_DEP_2)
	v_fmac_f64_e32 v[30:31], v[30:31], v[38:39]
	v_fmac_f64_e32 v[32:33], v[32:33], v[40:41]
	s_delay_alu instid0(VALU_DEP_2) | instskip(NEXT) | instid1(VALU_DEP_2)
	v_fma_f64 v[38:39], -v[10:11], v[30:31], 1.0
	v_fma_f64 v[40:41], -v[12:13], v[32:33], 1.0
	s_delay_alu instid0(VALU_DEP_2) | instskip(SKIP_1) | instid1(VALU_DEP_3)
	v_fmac_f64_e32 v[30:31], v[30:31], v[38:39]
	v_div_scale_f64 v[38:39], s0, s[14:15], v[36:37], s[14:15]
	v_fmac_f64_e32 v[32:33], v[32:33], v[40:41]
	s_delay_alu instid0(VALU_DEP_3) | instskip(NEXT) | instid1(VALU_DEP_2)
	v_mul_f64_e32 v[40:41], v[42:43], v[30:31]
	v_mul_f64_e32 v[44:45], v[38:39], v[32:33]
	s_delay_alu instid0(VALU_DEP_2) | instskip(NEXT) | instid1(VALU_DEP_2)
	v_fma_f64 v[10:11], -v[10:11], v[40:41], v[42:43]
	v_fma_f64 v[12:13], -v[12:13], v[44:45], v[38:39]
	s_delay_alu instid0(VALU_DEP_2) | instskip(SKIP_1) | instid1(VALU_DEP_2)
	v_div_fmas_f64 v[10:11], v[10:11], v[30:31], v[40:41]
	s_mov_b32 vcc_lo, s0
	v_div_fmas_f64 v[12:13], v[12:13], v[32:33], v[44:45]
	s_delay_alu instid0(VALU_DEP_2) | instskip(NEXT) | instid1(VALU_DEP_2)
	v_div_fixup_f64 v[10:11], v[10:11], v[34:35], s[12:13]
	v_div_fixup_f64 v[12:13], v[12:13], v[36:37], s[14:15]
.LBB253_386:                            ;   in Loop: Header=BB253_233 Depth=1
	s_or_b32 exec_lo, exec_lo, s2
                                        ; implicit-def: $vgpr30_vgpr31
                                        ; implicit-def: $vgpr32_vgpr33
.LBB253_387:                            ;   in Loop: Header=BB253_233 Depth=1
	s_and_not1_saveexec_b32 s0, s1
	s_cbranch_execz .LBB253_389
; %bb.388:                              ;   in Loop: Header=BB253_233 Depth=1
	v_div_scale_f64 v[10:11], null, v[30:31], v[30:31], v[32:33]
	v_div_scale_f64 v[36:37], vcc_lo, v[32:33], v[30:31], v[32:33]
	s_delay_alu instid0(VALU_DEP_2) | instskip(SKIP_1) | instid1(TRANS32_DEP_1)
	v_rcp_f64_e32 v[12:13], v[10:11]
	v_nop
	v_fma_f64 v[34:35], -v[10:11], v[12:13], 1.0
	s_delay_alu instid0(VALU_DEP_1) | instskip(NEXT) | instid1(VALU_DEP_1)
	v_fmac_f64_e32 v[12:13], v[12:13], v[34:35]
	v_fma_f64 v[34:35], -v[10:11], v[12:13], 1.0
	s_delay_alu instid0(VALU_DEP_1) | instskip(NEXT) | instid1(VALU_DEP_1)
	v_fmac_f64_e32 v[12:13], v[12:13], v[34:35]
	v_mul_f64_e32 v[34:35], v[36:37], v[12:13]
	s_delay_alu instid0(VALU_DEP_1) | instskip(NEXT) | instid1(VALU_DEP_1)
	v_fma_f64 v[10:11], -v[10:11], v[34:35], v[36:37]
	v_div_fmas_f64 v[10:11], v[10:11], v[12:13], v[34:35]
	s_delay_alu instid0(VALU_DEP_1) | instskip(NEXT) | instid1(VALU_DEP_1)
	v_div_fixup_f64 v[10:11], v[10:11], v[30:31], v[32:33]
	v_fmac_f64_e32 v[30:31], v[32:33], v[10:11]
	s_delay_alu instid0(VALU_DEP_1) | instskip(SKIP_1) | instid1(VALU_DEP_2)
	v_div_scale_f64 v[12:13], null, v[30:31], v[30:31], 1.0
	v_div_scale_f64 v[36:37], vcc_lo, 1.0, v[30:31], 1.0
	v_rcp_f64_e32 v[32:33], v[12:13]
	v_nop
	s_delay_alu instid0(TRANS32_DEP_1) | instskip(NEXT) | instid1(VALU_DEP_1)
	v_fma_f64 v[34:35], -v[12:13], v[32:33], 1.0
	v_fmac_f64_e32 v[32:33], v[32:33], v[34:35]
	s_delay_alu instid0(VALU_DEP_1) | instskip(NEXT) | instid1(VALU_DEP_1)
	v_fma_f64 v[34:35], -v[12:13], v[32:33], 1.0
	v_fmac_f64_e32 v[32:33], v[32:33], v[34:35]
	s_delay_alu instid0(VALU_DEP_1) | instskip(NEXT) | instid1(VALU_DEP_1)
	v_mul_f64_e32 v[34:35], v[36:37], v[32:33]
	v_fma_f64 v[12:13], -v[12:13], v[34:35], v[36:37]
	s_delay_alu instid0(VALU_DEP_1) | instskip(SKIP_1) | instid1(VALU_DEP_2)
	v_div_fmas_f64 v[12:13], v[12:13], v[32:33], v[34:35]
	v_fma_f64 v[32:33], s[12:13], v[10:11], s[14:15]
	v_div_fixup_f64 v[12:13], v[12:13], v[30:31], 1.0
	v_fma_f64 v[30:31], s[14:15], v[10:11], -s[12:13]
	s_delay_alu instid0(VALU_DEP_2) | instskip(NEXT) | instid1(VALU_DEP_2)
	v_mul_f64_e32 v[10:11], v[32:33], v[12:13]
	v_mul_f64_e32 v[12:13], v[30:31], v[12:13]
.LBB253_389:                            ;   in Loop: Header=BB253_233 Depth=1
	s_or_b32 exec_lo, exec_lo, s0
	v_xor_b32_e32 v31, 0x80000000, v5
	v_mov_b32_e32 v30, v4
                                        ; implicit-def: $vgpr32_vgpr33
	s_mov_b32 s0, exec_lo
	s_delay_alu instid0(VALU_DEP_2) | instskip(NEXT) | instid1(VALU_DEP_1)
	v_and_b32_e32 v36, 0x7fffffff, v31
	v_or_b32_e32 v21, v36, v4
	s_delay_alu instid0(VALU_DEP_1)
	v_cmpx_ne_u32_e32 0, v21
	s_xor_b32 s24, exec_lo, s0
	s_cbranch_execz .LBB253_431
; %bb.390:                              ;   in Loop: Header=BB253_233 Depth=1
	v_xor_b32_e32 v35, 0x80000000, v3
                                        ; implicit-def: $vgpr32_vgpr33
	s_mov_b32 s0, exec_lo
	v_mov_b32_e32 v34, v2
	s_delay_alu instid0(VALU_DEP_2) | instskip(NEXT) | instid1(VALU_DEP_1)
	v_and_b32_e32 v21, 0x7fffffff, v35
	v_or_b32_e32 v30, v21, v2
	s_delay_alu instid0(VALU_DEP_1)
	v_cmpx_ne_u32_e32 0, v30
	s_xor_b32 s25, exec_lo, s0
	s_cbranch_execz .LBB253_420
; %bb.391:                              ;   in Loop: Header=BB253_233 Depth=1
                                        ; implicit-def: $vgpr32_vgpr33
	s_mov_b32 s0, exec_lo
	v_cmpx_gt_u32_e32 0x7ff00000, v36
	s_xor_b32 s26, exec_lo, s0
	s_cbranch_execz .LBB253_413
; %bb.392:                              ;   in Loop: Header=BB253_233 Depth=1
	v_add_nc_u32_e32 v21, 0xbf79d1be, v35
                                        ; implicit-def: $vgpr32_vgpr33
	s_mov_b32 s0, exec_lo
	s_delay_alu instid0(VALU_DEP_1)
	v_cmpx_lt_u32_e32 0x108aa2, v21
	s_xor_b32 s27, exec_lo, s0
	s_cbranch_execz .LBB253_402
; %bb.393:                              ;   in Loop: Header=BB253_233 Depth=1
	v_cmp_ngt_f64_e64 s0, 0x41d00000, |v[4:5]|
                                        ; implicit-def: $vgpr30
                                        ; implicit-def: $vgpr32_vgpr33
                                        ; implicit-def: $vgpr34_vgpr35
	s_and_saveexec_b32 s1, s0
	s_delay_alu instid0(SALU_CYCLE_1)
	s_xor_b32 s1, exec_lo, s1
	s_cbranch_execz .LBB253_395
; %bb.394:                              ;   in Loop: Header=BB253_233 Depth=1
	v_ldexp_f64 v[32:33], |v[4:5]|, 0xffffff80
	v_cmp_le_f64_e64 vcc_lo, 0x7b000000, |v[4:5]|
	v_trig_preop_f64 v[34:35], |v[4:5]|, 0
	v_and_b32_e32 v21, 0x7fffffff, v5
	v_trig_preop_f64 v[36:37], |v[4:5]|, 1
	v_trig_preop_f64 v[46:47], |v[4:5]|, 2
	s_delay_alu instid0(VALU_DEP_3) | instskip(NEXT) | instid1(VALU_DEP_1)
	v_dual_cndmask_b32 v33, v21, v33 :: v_dual_cndmask_b32 v32, v4, v32
	v_mul_f64_e32 v[38:39], v[34:35], v[32:33]
	s_delay_alu instid0(VALU_DEP_4) | instskip(NEXT) | instid1(VALU_DEP_4)
	v_mul_f64_e32 v[40:41], v[36:37], v[32:33]
	v_mul_f64_e32 v[52:53], v[46:47], v[32:33]
	s_delay_alu instid0(VALU_DEP_3) | instskip(NEXT) | instid1(VALU_DEP_3)
	v_fma_f64 v[34:35], v[34:35], v[32:33], -v[38:39]
	v_fma_f64 v[36:37], v[36:37], v[32:33], -v[40:41]
	s_delay_alu instid0(VALU_DEP_3) | instskip(NEXT) | instid1(VALU_DEP_3)
	v_fma_f64 v[32:33], v[46:47], v[32:33], -v[52:53]
	v_add_f64_e32 v[42:43], v[40:41], v[34:35]
	s_delay_alu instid0(VALU_DEP_1) | instskip(SKIP_1) | instid1(VALU_DEP_2)
	v_add_f64_e64 v[44:45], v[42:43], -v[40:41]
	v_add_f64_e32 v[50:51], v[38:39], v[42:43]
	v_add_f64_e64 v[48:49], v[42:43], -v[44:45]
	v_add_f64_e64 v[34:35], v[34:35], -v[44:45]
	s_delay_alu instid0(VALU_DEP_3) | instskip(NEXT) | instid1(VALU_DEP_3)
	v_ldexp_f64 v[44:45], v[50:51], -2
	v_add_f64_e64 v[40:41], v[40:41], -v[48:49]
	v_add_f64_e32 v[48:49], v[52:53], v[36:37]
	s_delay_alu instid0(VALU_DEP_3) | instskip(NEXT) | instid1(VALU_DEP_3)
	v_cmp_neq_f64_e64 vcc_lo, 0x7ff00000, |v[44:45]|
	v_add_f64_e32 v[34:35], v[34:35], v[40:41]
	v_fract_f64_e32 v[40:41], v[44:45]
	s_delay_alu instid0(VALU_DEP_1) | instskip(NEXT) | instid1(VALU_DEP_1)
	v_ldexp_f64 v[40:41], v[40:41], 2
	v_dual_add_f64 v[38:39], v[50:51], -v[38:39] :: v_dual_cndmask_b32 v40, 0, v40, vcc_lo
	s_delay_alu instid0(VALU_DEP_1) | instskip(SKIP_1) | instid1(VALU_DEP_1)
	v_dual_add_f64 v[38:39], v[42:43], -v[38:39] :: v_dual_cndmask_b32 v41, 0, v41, vcc_lo
	v_add_f64_e32 v[42:43], v[48:49], v[34:35]
	v_add_f64_e32 v[44:45], v[38:39], v[42:43]
	v_add_f64_e64 v[54:55], v[42:43], -v[48:49]
	s_delay_alu instid0(VALU_DEP_2) | instskip(NEXT) | instid1(VALU_DEP_2)
	v_add_f64_e32 v[50:51], v[44:45], v[40:41]
	v_add_f64_e64 v[60:61], v[42:43], -v[54:55]
	v_add_f64_e64 v[34:35], v[34:35], -v[54:55]
	;; [unrolled: 1-line block ×3, first 2 shown]
	s_delay_alu instid0(VALU_DEP_4) | instskip(SKIP_1) | instid1(VALU_DEP_3)
	v_cmp_gt_f64_e32 vcc_lo, 0, v[50:51]
	v_add_f64_e64 v[50:51], v[48:49], -v[52:53]
	v_add_f64_e64 v[38:39], v[42:43], -v[38:39]
	v_cndmask_b32_e64 v21, 0, 0x40100000, vcc_lo
	s_delay_alu instid0(VALU_DEP_3) | instskip(SKIP_2) | instid1(VALU_DEP_4)
	v_add_f64_e64 v[58:59], v[48:49], -v[50:51]
	v_add_f64_e64 v[36:37], v[36:37], -v[50:51]
	;; [unrolled: 1-line block ×3, first 2 shown]
	v_add_f64_e32 v[40:41], v[40:41], v[20:21]
	s_delay_alu instid0(VALU_DEP_4) | instskip(NEXT) | instid1(VALU_DEP_3)
	v_add_f64_e64 v[50:51], v[52:53], -v[58:59]
	v_add_f64_e32 v[34:35], v[34:35], v[48:49]
	s_delay_alu instid0(VALU_DEP_3) | instskip(NEXT) | instid1(VALU_DEP_3)
	v_add_f64_e32 v[56:57], v[44:45], v[40:41]
	v_add_f64_e32 v[36:37], v[36:37], v[50:51]
	s_delay_alu instid0(VALU_DEP_2) | instskip(NEXT) | instid1(VALU_DEP_2)
	v_cvt_i32_f64_e32 v21, v[56:57]
	v_add_f64_e32 v[34:35], v[36:37], v[34:35]
	s_delay_alu instid0(VALU_DEP_2) | instskip(NEXT) | instid1(VALU_DEP_2)
	v_cvt_f64_i32_e32 v[54:55], v21
	v_add_f64_e32 v[32:33], v[32:33], v[34:35]
	s_delay_alu instid0(VALU_DEP_2) | instskip(NEXT) | instid1(VALU_DEP_2)
	v_add_f64_e64 v[40:41], v[40:41], -v[54:55]
	v_add_f64_e32 v[32:33], v[38:39], v[32:33]
	s_delay_alu instid0(VALU_DEP_2) | instskip(NEXT) | instid1(VALU_DEP_1)
	v_add_f64_e32 v[36:37], v[44:45], v[40:41]
	v_add_f64_e64 v[34:35], v[36:37], -v[40:41]
	v_cmp_le_f64_e32 vcc_lo, 0.5, v[36:37]
	s_delay_alu instid0(VALU_DEP_2) | instskip(SKIP_2) | instid1(VALU_DEP_3)
	v_add_f64_e64 v[34:35], v[44:45], -v[34:35]
	v_add_co_ci_u32_e64 v30, null, 0, v21, vcc_lo
	v_cndmask_b32_e64 v21, 0, 0x3ff00000, vcc_lo
	v_add_f64_e32 v[32:33], v[32:33], v[34:35]
	s_delay_alu instid0(VALU_DEP_2) | instskip(NEXT) | instid1(VALU_DEP_1)
	v_add_f64_e64 v[34:35], v[36:37], -v[20:21]
	v_add_f64_e32 v[36:37], v[34:35], v[32:33]
	s_delay_alu instid0(VALU_DEP_1) | instskip(SKIP_1) | instid1(VALU_DEP_2)
	v_mul_f64_e32 v[38:39], 0x3ff921fb54442d18, v[36:37]
	v_add_f64_e64 v[34:35], v[36:37], -v[34:35]
	v_fma_f64 v[40:41], v[36:37], s[6:7], -v[38:39]
	s_delay_alu instid0(VALU_DEP_2) | instskip(NEXT) | instid1(VALU_DEP_2)
	v_add_f64_e64 v[32:33], v[32:33], -v[34:35]
	v_fmac_f64_e32 v[40:41], 0x3c91a62633145c07, v[36:37]
	s_delay_alu instid0(VALU_DEP_1) | instskip(NEXT) | instid1(VALU_DEP_1)
	v_fmac_f64_e32 v[40:41], 0x3ff921fb54442d18, v[32:33]
	v_add_f64_e32 v[32:33], v[38:39], v[40:41]
	s_delay_alu instid0(VALU_DEP_1) | instskip(NEXT) | instid1(VALU_DEP_1)
	v_add_f64_e64 v[34:35], v[32:33], -v[38:39]
	v_add_f64_e64 v[34:35], v[40:41], -v[34:35]
	s_and_not1_saveexec_b32 s1, s1
	s_cbranch_execz .LBB253_397
	s_branch .LBB253_396
.LBB253_395:                            ;   in Loop: Header=BB253_233 Depth=1
	s_and_not1_saveexec_b32 s1, s1
	s_cbranch_execz .LBB253_397
.LBB253_396:                            ;   in Loop: Header=BB253_233 Depth=1
	v_mul_f64_e64 v[32:33], |v[4:5]|, s[8:9]
	s_delay_alu instid0(VALU_DEP_1) | instskip(NEXT) | instid1(VALU_DEP_1)
	v_rndne_f64_e32 v[36:37], v[32:33]
	v_fma_f64 v[32:33], v[36:37], s[10:11], |v[4:5]|
	v_mul_f64_e32 v[34:35], 0xbc91a62633145c00, v[36:37]
	v_cvt_i32_f64_e32 v30, v[36:37]
	s_delay_alu instid0(VALU_DEP_3) | instskip(NEXT) | instid1(VALU_DEP_3)
	v_fmamk_f64 v[42:43], v[36:37], 0xbc91a62633145c00, v[32:33]
	v_add_f64_e32 v[38:39], v[32:33], v[34:35]
	s_delay_alu instid0(VALU_DEP_1) | instskip(NEXT) | instid1(VALU_DEP_3)
	v_add_f64_e64 v[40:41], v[32:33], -v[38:39]
	v_add_f64_e64 v[32:33], v[38:39], -v[42:43]
	s_delay_alu instid0(VALU_DEP_2) | instskip(SKIP_1) | instid1(VALU_DEP_2)
	v_add_f64_e32 v[38:39], v[40:41], v[34:35]
	v_fmamk_f64 v[34:35], v[36:37], 0x3c91a62633145c00, v[34:35]
	v_add_f64_e32 v[32:33], v[32:33], v[38:39]
	s_delay_alu instid0(VALU_DEP_1) | instskip(NEXT) | instid1(VALU_DEP_1)
	v_add_f64_e64 v[34:35], v[32:33], -v[34:35]
	v_fmac_f64_e32 v[34:35], 0xb97b839a252049c0, v[36:37]
	s_delay_alu instid0(VALU_DEP_1) | instskip(NEXT) | instid1(VALU_DEP_1)
	v_add_f64_e32 v[32:33], v[42:43], v[34:35]
	v_add_f64_e64 v[38:39], v[32:33], -v[42:43]
	s_delay_alu instid0(VALU_DEP_1)
	v_add_f64_e64 v[34:35], v[34:35], -v[38:39]
.LBB253_397:                            ;   in Loop: Header=BB253_233 Depth=1
	s_or_b32 exec_lo, exec_lo, s1
                                        ; implicit-def: $vgpr40
                                        ; implicit-def: $vgpr36_vgpr37
                                        ; implicit-def: $vgpr38_vgpr39
	s_and_saveexec_b32 s1, s0
	s_delay_alu instid0(SALU_CYCLE_1)
	s_xor_b32 s0, exec_lo, s1
	s_cbranch_execz .LBB253_399
; %bb.398:                              ;   in Loop: Header=BB253_233 Depth=1
	v_ldexp_f64 v[36:37], |v[4:5]|, 0xffffff80
	v_cmp_le_f64_e64 vcc_lo, 0x7b000000, |v[4:5]|
	v_trig_preop_f64 v[38:39], |v[4:5]|, 0
	v_and_b32_e32 v21, 0x7fffffff, v5
	v_trig_preop_f64 v[40:41], |v[4:5]|, 1
	v_trig_preop_f64 v[50:51], |v[4:5]|, 2
	s_delay_alu instid0(VALU_DEP_3) | instskip(NEXT) | instid1(VALU_DEP_1)
	v_dual_cndmask_b32 v37, v21, v37 :: v_dual_cndmask_b32 v36, v4, v36
	v_mul_f64_e32 v[42:43], v[38:39], v[36:37]
	s_delay_alu instid0(VALU_DEP_4) | instskip(NEXT) | instid1(VALU_DEP_4)
	v_mul_f64_e32 v[44:45], v[40:41], v[36:37]
	v_mul_f64_e32 v[56:57], v[50:51], v[36:37]
	s_delay_alu instid0(VALU_DEP_3) | instskip(NEXT) | instid1(VALU_DEP_3)
	v_fma_f64 v[38:39], v[38:39], v[36:37], -v[42:43]
	v_fma_f64 v[40:41], v[40:41], v[36:37], -v[44:45]
	s_delay_alu instid0(VALU_DEP_3) | instskip(NEXT) | instid1(VALU_DEP_3)
	v_fma_f64 v[36:37], v[50:51], v[36:37], -v[56:57]
	v_add_f64_e32 v[46:47], v[44:45], v[38:39]
	s_delay_alu instid0(VALU_DEP_1) | instskip(SKIP_1) | instid1(VALU_DEP_2)
	v_add_f64_e64 v[48:49], v[46:47], -v[44:45]
	v_add_f64_e32 v[54:55], v[42:43], v[46:47]
	v_add_f64_e64 v[52:53], v[46:47], -v[48:49]
	v_add_f64_e64 v[38:39], v[38:39], -v[48:49]
	s_delay_alu instid0(VALU_DEP_3) | instskip(NEXT) | instid1(VALU_DEP_3)
	v_ldexp_f64 v[48:49], v[54:55], -2
	v_add_f64_e64 v[44:45], v[44:45], -v[52:53]
	v_add_f64_e32 v[52:53], v[56:57], v[40:41]
	s_delay_alu instid0(VALU_DEP_3) | instskip(NEXT) | instid1(VALU_DEP_3)
	v_cmp_neq_f64_e64 vcc_lo, 0x7ff00000, |v[48:49]|
	v_add_f64_e32 v[38:39], v[38:39], v[44:45]
	v_fract_f64_e32 v[44:45], v[48:49]
	s_delay_alu instid0(VALU_DEP_1) | instskip(NEXT) | instid1(VALU_DEP_1)
	v_ldexp_f64 v[44:45], v[44:45], 2
	v_dual_add_f64 v[42:43], v[54:55], -v[42:43] :: v_dual_cndmask_b32 v44, 0, v44, vcc_lo
	s_delay_alu instid0(VALU_DEP_1) | instskip(SKIP_1) | instid1(VALU_DEP_1)
	v_dual_add_f64 v[42:43], v[46:47], -v[42:43] :: v_dual_cndmask_b32 v45, 0, v45, vcc_lo
	v_add_f64_e32 v[46:47], v[52:53], v[38:39]
	v_add_f64_e32 v[48:49], v[42:43], v[46:47]
	v_add_f64_e64 v[58:59], v[46:47], -v[52:53]
	s_delay_alu instid0(VALU_DEP_2) | instskip(NEXT) | instid1(VALU_DEP_2)
	v_add_f64_e32 v[54:55], v[48:49], v[44:45]
	v_add_f64_e64 v[64:65], v[46:47], -v[58:59]
	v_add_f64_e64 v[38:39], v[38:39], -v[58:59]
	;; [unrolled: 1-line block ×3, first 2 shown]
	s_delay_alu instid0(VALU_DEP_4) | instskip(SKIP_2) | instid1(VALU_DEP_2)
	v_cmp_gt_f64_e32 vcc_lo, 0, v[54:55]
	v_add_f64_e64 v[54:55], v[52:53], -v[56:57]
	v_cndmask_b32_e64 v21, 0, 0x40100000, vcc_lo
	v_add_f64_e64 v[62:63], v[52:53], -v[54:55]
	v_add_f64_e64 v[40:41], v[40:41], -v[54:55]
	;; [unrolled: 1-line block ×3, first 2 shown]
	s_delay_alu instid0(VALU_DEP_4) | instskip(NEXT) | instid1(VALU_DEP_4)
	v_add_f64_e32 v[44:45], v[44:45], v[20:21]
	v_add_f64_e64 v[54:55], v[56:57], -v[62:63]
	s_delay_alu instid0(VALU_DEP_3) | instskip(NEXT) | instid1(VALU_DEP_3)
	v_add_f64_e32 v[38:39], v[38:39], v[52:53]
	v_add_f64_e32 v[60:61], v[48:49], v[44:45]
	s_delay_alu instid0(VALU_DEP_3) | instskip(NEXT) | instid1(VALU_DEP_2)
	v_add_f64_e32 v[40:41], v[40:41], v[54:55]
	v_cvt_i32_f64_e32 v21, v[60:61]
	s_delay_alu instid0(VALU_DEP_2) | instskip(SKIP_1) | instid1(VALU_DEP_3)
	v_add_f64_e32 v[38:39], v[40:41], v[38:39]
	v_add_f64_e64 v[40:41], v[46:47], -v[42:43]
	v_cvt_f64_i32_e32 v[58:59], v21
	s_delay_alu instid0(VALU_DEP_3) | instskip(NEXT) | instid1(VALU_DEP_2)
	v_add_f64_e32 v[36:37], v[36:37], v[38:39]
	v_add_f64_e64 v[44:45], v[44:45], -v[58:59]
	s_delay_alu instid0(VALU_DEP_2) | instskip(NEXT) | instid1(VALU_DEP_2)
	v_add_f64_e32 v[36:37], v[40:41], v[36:37]
	v_add_f64_e32 v[50:51], v[48:49], v[44:45]
	s_delay_alu instid0(VALU_DEP_1) | instskip(SKIP_1) | instid1(VALU_DEP_2)
	v_add_f64_e64 v[38:39], v[50:51], -v[44:45]
	v_cmp_le_f64_e32 vcc_lo, 0.5, v[50:51]
	v_add_f64_e64 v[38:39], v[48:49], -v[38:39]
	v_add_co_ci_u32_e64 v40, null, 0, v21, vcc_lo
	v_cndmask_b32_e64 v21, 0, 0x3ff00000, vcc_lo
	s_delay_alu instid0(VALU_DEP_3) | instskip(NEXT) | instid1(VALU_DEP_2)
	v_add_f64_e32 v[36:37], v[36:37], v[38:39]
	v_add_f64_e64 v[38:39], v[50:51], -v[20:21]
	s_delay_alu instid0(VALU_DEP_1) | instskip(NEXT) | instid1(VALU_DEP_1)
	v_add_f64_e32 v[42:43], v[38:39], v[36:37]
	v_mul_f64_e32 v[44:45], 0x3ff921fb54442d18, v[42:43]
	v_add_f64_e64 v[38:39], v[42:43], -v[38:39]
	s_delay_alu instid0(VALU_DEP_2) | instskip(NEXT) | instid1(VALU_DEP_2)
	v_fma_f64 v[46:47], v[42:43], s[6:7], -v[44:45]
	v_add_f64_e64 v[36:37], v[36:37], -v[38:39]
	s_delay_alu instid0(VALU_DEP_2) | instskip(NEXT) | instid1(VALU_DEP_1)
	v_fmac_f64_e32 v[46:47], 0x3c91a62633145c07, v[42:43]
	v_fmac_f64_e32 v[46:47], 0x3ff921fb54442d18, v[36:37]
	s_delay_alu instid0(VALU_DEP_1) | instskip(NEXT) | instid1(VALU_DEP_1)
	v_add_f64_e32 v[36:37], v[44:45], v[46:47]
	v_add_f64_e64 v[38:39], v[36:37], -v[44:45]
	s_delay_alu instid0(VALU_DEP_1)
	v_add_f64_e64 v[38:39], v[46:47], -v[38:39]
	s_and_not1_saveexec_b32 s0, s0
	s_cbranch_execnz .LBB253_400
	s_branch .LBB253_401
.LBB253_399:                            ;   in Loop: Header=BB253_233 Depth=1
	s_and_not1_saveexec_b32 s0, s0
	s_cbranch_execz .LBB253_401
.LBB253_400:                            ;   in Loop: Header=BB253_233 Depth=1
	v_mul_f64_e64 v[36:37], |v[4:5]|, s[8:9]
	s_delay_alu instid0(VALU_DEP_1) | instskip(NEXT) | instid1(VALU_DEP_1)
	v_rndne_f64_e32 v[40:41], v[36:37]
	v_fma_f64 v[36:37], v[40:41], s[10:11], |v[4:5]|
	v_mul_f64_e32 v[38:39], 0xbc91a62633145c00, v[40:41]
	s_delay_alu instid0(VALU_DEP_2) | instskip(NEXT) | instid1(VALU_DEP_2)
	v_fmamk_f64 v[46:47], v[40:41], 0xbc91a62633145c00, v[36:37]
	v_add_f64_e32 v[42:43], v[36:37], v[38:39]
	s_delay_alu instid0(VALU_DEP_1) | instskip(NEXT) | instid1(VALU_DEP_3)
	v_add_f64_e64 v[44:45], v[36:37], -v[42:43]
	v_add_f64_e64 v[36:37], v[42:43], -v[46:47]
	s_delay_alu instid0(VALU_DEP_2) | instskip(SKIP_1) | instid1(VALU_DEP_2)
	v_add_f64_e32 v[42:43], v[44:45], v[38:39]
	v_fmamk_f64 v[38:39], v[40:41], 0x3c91a62633145c00, v[38:39]
	v_add_f64_e32 v[36:37], v[36:37], v[42:43]
	s_delay_alu instid0(VALU_DEP_1) | instskip(NEXT) | instid1(VALU_DEP_1)
	v_add_f64_e64 v[38:39], v[36:37], -v[38:39]
	v_fmac_f64_e32 v[38:39], 0xb97b839a252049c0, v[40:41]
	v_cvt_i32_f64_e32 v40, v[40:41]
	s_delay_alu instid0(VALU_DEP_2) | instskip(NEXT) | instid1(VALU_DEP_1)
	v_add_f64_e32 v[36:37], v[46:47], v[38:39]
	v_add_f64_e64 v[42:43], v[36:37], -v[46:47]
	s_delay_alu instid0(VALU_DEP_1)
	v_add_f64_e64 v[38:39], v[38:39], -v[42:43]
.LBB253_401:                            ;   in Loop: Header=BB253_233 Depth=1
	s_or_b32 exec_lo, exec_lo, s0
	v_mul_f64_e32 v[42:43], 0xbff71547652b82fe, v[2:3]
	v_mul_f64_e32 v[44:45], v[32:33], v[32:33]
	s_delay_alu instid0(VALU_DEP_3)
	v_mul_f64_e32 v[58:59], 0.5, v[34:35]
	v_cmp_class_f64_e64 s0, v[4:5], 0x1f8
	v_lshlrev_b32_e32 v4, 30, v40
	v_mul_f64_e32 v[46:47], v[36:37], v[36:37]
	v_cmp_ngt_f64_e64 s1, 0xc0900000, v[2:3]
	v_cmp_nlt_f64_e64 s2, 0x4090cc00, v[2:3]
	v_rndne_f64_e32 v[42:43], v[42:43]
	v_mul_f64_e32 v[48:49], 0.5, v[44:45]
	s_delay_alu instid0(VALU_DEP_2) | instskip(NEXT) | instid1(VALU_DEP_2)
	v_fma_f64 v[50:51], v[42:43], s[16:17], -v[2:3]
	v_add_f64_e64 v[54:55], -v[48:49], 1.0
	v_cvt_i32_f64_e32 v21, v[42:43]
	v_and_b32_e32 v2, 1, v40
	s_delay_alu instid0(VALU_DEP_1) | instskip(SKIP_3) | instid1(VALU_DEP_2)
	v_cmp_eq_u32_e64 s3, 0, v2
	v_mul_f64_e32 v[68:69], 0.5, v[38:39]
	v_fmac_f64_e32 v[50:51], 0xbc7abc9e3b39803f, v[42:43]
	v_add_f64_e64 v[62:63], -v[54:55], 1.0
	v_fmamk_f64 v[66:67], v[50:51], 0x3e5ade156a5dcb37, v[22:23]
	s_delay_alu instid0(VALU_DEP_2) | instskip(NEXT) | instid1(VALU_DEP_2)
	v_add_f64_e64 v[48:49], v[62:63], -v[48:49]
	v_fmaak_f64 v[66:67], v[50:51], v[66:67], 0x3ec71dee623fde64
	s_delay_alu instid0(VALU_DEP_1) | instskip(NEXT) | instid1(VALU_DEP_1)
	v_fmaak_f64 v[66:67], v[50:51], v[66:67], 0x3efa01997c89e6b0
	v_fmaak_f64 v[66:67], v[50:51], v[66:67], 0x3f2a01a014761f6e
	s_delay_alu instid0(VALU_DEP_1) | instskip(NEXT) | instid1(VALU_DEP_1)
	v_fmaak_f64 v[62:63], v[50:51], v[66:67], 0x3f56c16c1852b7b0
	;; [unrolled: 3-line block ×4, first 2 shown]
	v_fma_f64 v[62:63], v[50:51], v[62:63], 1.0
	s_delay_alu instid0(VALU_DEP_1) | instskip(NEXT) | instid1(VALU_DEP_1)
	v_fma_f64 v[42:43], v[50:51], v[62:63], 1.0
	v_ldexp_f64 v[42:43], v[42:43], v21
	v_and_b32_e32 v21, 1, v30
	v_fmamk_f64 v[64:65], v[44:45], 0x3de5e0b2f9a43bb8, v[26:27]
	v_lshlrev_b32_e32 v30, 30, v30
	v_mul_f64_e32 v[52:53], 0.5, v[46:47]
	v_mul_f64_e64 v[70:71], v[36:37], -v[46:47]
	v_cmp_eq_u32_e32 vcc_lo, 0, v21
	v_mul_f64_e64 v[60:61], v[32:33], -v[44:45]
	v_fmamk_f64 v[74:75], v[46:47], 0x3de5e0b2f9a43bb8, v[26:27]
	v_fmaak_f64 v[64:65], v[44:45], v[64:65], 0x3ec71de3796cde01
	v_mul_f64_e32 v[66:67], v[44:45], v[44:45]
	s_delay_alu instid0(VALU_DEP_2) | instskip(NEXT) | instid1(VALU_DEP_1)
	v_fmaak_f64 v[64:65], v[44:45], v[64:65], 0xbf2a01a019e83e5c
	v_fmaak_f64 v[64:65], v[44:45], v[64:65], 0x3f81111111110bb3
	v_cndmask_b32_e64 v5, 0x7ff00000, v43, s1
	v_add_f64_e64 v[56:57], -v[52:53], 1.0
	s_delay_alu instid0(VALU_DEP_3) | instskip(SKIP_1) | instid1(VALU_DEP_1)
	v_fmac_f64_e32 v[58:59], v[60:61], v[64:65]
	v_fmaak_f64 v[64:65], v[46:47], v[74:75], 0x3ec71de3796cde01
	v_fmaak_f64 v[64:65], v[46:47], v[64:65], 0xbf2a01a019e83e5c
	s_delay_alu instid0(VALU_DEP_1) | instskip(NEXT) | instid1(VALU_DEP_1)
	v_fmaak_f64 v[64:65], v[46:47], v[64:65], 0x3f81111111110bb3
	v_fmac_f64_e32 v[68:69], v[70:71], v[64:65]
	v_fmamk_f64 v[64:65], v[44:45], 0xbda907db46cc5e42, v[24:25]
	v_add_f64_e64 v[72:73], -v[56:57], 1.0
	v_fma_f64 v[58:59], v[44:45], v[58:59], -v[34:35]
	v_fma_f64 v[34:35], v[32:33], -v[34:35], v[48:49]
	s_delay_alu instid0(VALU_DEP_4) | instskip(SKIP_1) | instid1(VALU_DEP_2)
	v_fmaak_f64 v[48:49], v[44:45], v[64:65], 0xbe927e4fa17f65f6
	v_mul_f64_e32 v[64:65], v[46:47], v[46:47]
	v_fmaak_f64 v[48:49], v[44:45], v[48:49], 0x3efa01a019f4ec90
	s_delay_alu instid0(VALU_DEP_1) | instskip(NEXT) | instid1(VALU_DEP_1)
	v_fmaak_f64 v[48:49], v[44:45], v[48:49], 0xbf56c16c16c16967
	v_fmaak_f64 v[44:45], v[44:45], v[48:49], 0x3fa5555555555555
	v_fma_f64 v[48:49], v[46:47], v[68:69], -v[38:39]
	v_fmac_f64_e32 v[58:59], 0xbfc5555555555555, v[60:61]
	s_delay_alu instid0(VALU_DEP_3) | instskip(NEXT) | instid1(VALU_DEP_3)
	v_fmac_f64_e32 v[34:35], v[66:67], v[44:45]
	v_fmac_f64_e32 v[48:49], 0xbfc5555555555555, v[70:71]
	s_delay_alu instid0(VALU_DEP_3) | instskip(NEXT) | instid1(VALU_DEP_3)
	v_add_f64_e64 v[32:33], v[32:33], -v[58:59]
	v_add_f64_e32 v[34:35], v[54:55], v[34:35]
	s_delay_alu instid0(VALU_DEP_2) | instskip(NEXT) | instid1(VALU_DEP_1)
	v_xor_b32_e32 v3, 0x80000000, v33
	v_dual_cndmask_b32 v21, v32, v34 :: v_dual_cndmask_b32 v2, v3, v35
	s_and_b32 vcc_lo, s2, s1
	v_add_f64_e64 v[52:53], v[72:73], -v[52:53]
	v_fmamk_f64 v[72:73], v[46:47], 0xbda907db46cc5e42, v[24:25]
	v_xor_b32_e32 v3, v4, v31
	v_bitop3_b32 v30, v2, v30, 0x80000000 bitop3:0x78
	s_delay_alu instid0(VALU_DEP_4) | instskip(NEXT) | instid1(VALU_DEP_4)
	v_dual_fma_f64 v[38:39], v[36:37], -v[38:39], v[52:53] :: v_dual_cndmask_b32 v2, 0, v21, s0
	v_fmaak_f64 v[52:53], v[46:47], v[72:73], 0xbe927e4fa17f65f6
	v_add_f64_e64 v[36:37], v[36:37], -v[48:49]
	s_delay_alu instid0(VALU_DEP_2) | instskip(NEXT) | instid1(VALU_DEP_1)
	v_fmaak_f64 v[44:45], v[46:47], v[52:53], 0x3efa01a019f4ec90
	v_fmaak_f64 v[44:45], v[46:47], v[44:45], 0xbf56c16c16c16967
	s_delay_alu instid0(VALU_DEP_1) | instskip(NEXT) | instid1(VALU_DEP_1)
	v_fmaak_f64 v[44:45], v[46:47], v[44:45], 0x3fa5555555555555
	v_fmac_f64_e32 v[38:39], v[64:65], v[44:45]
	s_delay_alu instid0(VALU_DEP_1) | instskip(NEXT) | instid1(VALU_DEP_1)
	v_add_f64_e32 v[38:39], v[56:57], v[38:39]
	v_dual_cndmask_b32 v31, v39, v37, s3 :: v_dual_cndmask_b32 v4, v38, v36, s3
	s_delay_alu instid0(VALU_DEP_1) | instskip(SKIP_1) | instid1(VALU_DEP_3)
	v_bitop3_b32 v21, v31, v3, 0x80000000 bitop3:0x78
	v_cndmask_b32_e64 v3, 0x7ff80000, v30, s0
	v_dual_cndmask_b32 v4, 0, v4, s0 :: v_dual_cndmask_b32 v31, 0, v5, s2
	v_cndmask_b32_e32 v30, 0, v42, vcc_lo
	s_delay_alu instid0(VALU_DEP_4) | instskip(NEXT) | instid1(VALU_DEP_2)
	v_cndmask_b32_e64 v5, 0x7ff80000, v21, s0
	v_mul_f64_e32 v[32:33], v[30:31], v[2:3]
	s_delay_alu instid0(VALU_DEP_2)
	v_mul_f64_e32 v[30:31], v[30:31], v[4:5]
                                        ; implicit-def: $vgpr4_vgpr5
.LBB253_402:                            ;   in Loop: Header=BB253_233 Depth=1
	s_and_not1_saveexec_b32 s27, s27
	s_cbranch_execz .LBB253_412
; %bb.403:                              ;   in Loop: Header=BB253_233 Depth=1
	v_cmp_ngt_f64_e64 s0, 0x41d00000, |v[4:5]|
                                        ; implicit-def: $vgpr30
                                        ; implicit-def: $vgpr32_vgpr33
                                        ; implicit-def: $vgpr34_vgpr35
	s_and_saveexec_b32 s1, s0
	s_delay_alu instid0(SALU_CYCLE_1)
	s_xor_b32 s1, exec_lo, s1
	s_cbranch_execz .LBB253_405
; %bb.404:                              ;   in Loop: Header=BB253_233 Depth=1
	v_ldexp_f64 v[32:33], |v[4:5]|, 0xffffff80
	v_cmp_le_f64_e64 vcc_lo, 0x7b000000, |v[4:5]|
	v_trig_preop_f64 v[34:35], |v[4:5]|, 0
	v_and_b32_e32 v21, 0x7fffffff, v5
	v_trig_preop_f64 v[36:37], |v[4:5]|, 1
	v_trig_preop_f64 v[46:47], |v[4:5]|, 2
	s_delay_alu instid0(VALU_DEP_3) | instskip(NEXT) | instid1(VALU_DEP_1)
	v_dual_cndmask_b32 v33, v21, v33 :: v_dual_cndmask_b32 v32, v4, v32
	v_mul_f64_e32 v[38:39], v[34:35], v[32:33]
	s_delay_alu instid0(VALU_DEP_4) | instskip(NEXT) | instid1(VALU_DEP_4)
	v_mul_f64_e32 v[40:41], v[36:37], v[32:33]
	v_mul_f64_e32 v[52:53], v[46:47], v[32:33]
	s_delay_alu instid0(VALU_DEP_3) | instskip(NEXT) | instid1(VALU_DEP_3)
	v_fma_f64 v[34:35], v[34:35], v[32:33], -v[38:39]
	v_fma_f64 v[36:37], v[36:37], v[32:33], -v[40:41]
	s_delay_alu instid0(VALU_DEP_3) | instskip(NEXT) | instid1(VALU_DEP_3)
	v_fma_f64 v[32:33], v[46:47], v[32:33], -v[52:53]
	v_add_f64_e32 v[42:43], v[40:41], v[34:35]
	s_delay_alu instid0(VALU_DEP_1) | instskip(SKIP_1) | instid1(VALU_DEP_2)
	v_add_f64_e64 v[44:45], v[42:43], -v[40:41]
	v_add_f64_e32 v[50:51], v[38:39], v[42:43]
	v_add_f64_e64 v[48:49], v[42:43], -v[44:45]
	v_add_f64_e64 v[34:35], v[34:35], -v[44:45]
	s_delay_alu instid0(VALU_DEP_3) | instskip(NEXT) | instid1(VALU_DEP_3)
	v_ldexp_f64 v[44:45], v[50:51], -2
	v_add_f64_e64 v[40:41], v[40:41], -v[48:49]
	v_add_f64_e32 v[48:49], v[52:53], v[36:37]
	s_delay_alu instid0(VALU_DEP_3) | instskip(NEXT) | instid1(VALU_DEP_3)
	v_cmp_neq_f64_e64 vcc_lo, 0x7ff00000, |v[44:45]|
	v_add_f64_e32 v[34:35], v[34:35], v[40:41]
	v_fract_f64_e32 v[40:41], v[44:45]
	s_delay_alu instid0(VALU_DEP_1) | instskip(NEXT) | instid1(VALU_DEP_1)
	v_ldexp_f64 v[40:41], v[40:41], 2
	v_dual_add_f64 v[38:39], v[50:51], -v[38:39] :: v_dual_cndmask_b32 v40, 0, v40, vcc_lo
	s_delay_alu instid0(VALU_DEP_1) | instskip(SKIP_1) | instid1(VALU_DEP_1)
	v_dual_add_f64 v[38:39], v[42:43], -v[38:39] :: v_dual_cndmask_b32 v41, 0, v41, vcc_lo
	v_add_f64_e32 v[42:43], v[48:49], v[34:35]
	v_add_f64_e32 v[44:45], v[38:39], v[42:43]
	v_add_f64_e64 v[54:55], v[42:43], -v[48:49]
	s_delay_alu instid0(VALU_DEP_2) | instskip(NEXT) | instid1(VALU_DEP_2)
	v_add_f64_e32 v[50:51], v[44:45], v[40:41]
	v_add_f64_e64 v[60:61], v[42:43], -v[54:55]
	v_add_f64_e64 v[34:35], v[34:35], -v[54:55]
	;; [unrolled: 1-line block ×3, first 2 shown]
	s_delay_alu instid0(VALU_DEP_4) | instskip(SKIP_1) | instid1(VALU_DEP_3)
	v_cmp_gt_f64_e32 vcc_lo, 0, v[50:51]
	v_add_f64_e64 v[50:51], v[48:49], -v[52:53]
	v_add_f64_e64 v[38:39], v[42:43], -v[38:39]
	v_cndmask_b32_e64 v21, 0, 0x40100000, vcc_lo
	s_delay_alu instid0(VALU_DEP_3) | instskip(SKIP_2) | instid1(VALU_DEP_4)
	v_add_f64_e64 v[58:59], v[48:49], -v[50:51]
	v_add_f64_e64 v[36:37], v[36:37], -v[50:51]
	;; [unrolled: 1-line block ×3, first 2 shown]
	v_add_f64_e32 v[40:41], v[40:41], v[20:21]
	s_delay_alu instid0(VALU_DEP_4) | instskip(NEXT) | instid1(VALU_DEP_3)
	v_add_f64_e64 v[50:51], v[52:53], -v[58:59]
	v_add_f64_e32 v[34:35], v[34:35], v[48:49]
	s_delay_alu instid0(VALU_DEP_3) | instskip(NEXT) | instid1(VALU_DEP_3)
	v_add_f64_e32 v[56:57], v[44:45], v[40:41]
	v_add_f64_e32 v[36:37], v[36:37], v[50:51]
	s_delay_alu instid0(VALU_DEP_2) | instskip(NEXT) | instid1(VALU_DEP_2)
	v_cvt_i32_f64_e32 v21, v[56:57]
	v_add_f64_e32 v[34:35], v[36:37], v[34:35]
	s_delay_alu instid0(VALU_DEP_2) | instskip(NEXT) | instid1(VALU_DEP_2)
	v_cvt_f64_i32_e32 v[54:55], v21
	v_add_f64_e32 v[32:33], v[32:33], v[34:35]
	s_delay_alu instid0(VALU_DEP_2) | instskip(NEXT) | instid1(VALU_DEP_2)
	v_add_f64_e64 v[40:41], v[40:41], -v[54:55]
	v_add_f64_e32 v[32:33], v[38:39], v[32:33]
	s_delay_alu instid0(VALU_DEP_2) | instskip(NEXT) | instid1(VALU_DEP_1)
	v_add_f64_e32 v[36:37], v[44:45], v[40:41]
	v_add_f64_e64 v[34:35], v[36:37], -v[40:41]
	v_cmp_le_f64_e32 vcc_lo, 0.5, v[36:37]
	s_delay_alu instid0(VALU_DEP_2) | instskip(SKIP_2) | instid1(VALU_DEP_3)
	v_add_f64_e64 v[34:35], v[44:45], -v[34:35]
	v_add_co_ci_u32_e64 v30, null, 0, v21, vcc_lo
	v_cndmask_b32_e64 v21, 0, 0x3ff00000, vcc_lo
	v_add_f64_e32 v[32:33], v[32:33], v[34:35]
	s_delay_alu instid0(VALU_DEP_2) | instskip(NEXT) | instid1(VALU_DEP_1)
	v_add_f64_e64 v[34:35], v[36:37], -v[20:21]
	v_add_f64_e32 v[36:37], v[34:35], v[32:33]
	s_delay_alu instid0(VALU_DEP_1) | instskip(SKIP_1) | instid1(VALU_DEP_2)
	v_mul_f64_e32 v[38:39], 0x3ff921fb54442d18, v[36:37]
	v_add_f64_e64 v[34:35], v[36:37], -v[34:35]
	v_fma_f64 v[40:41], v[36:37], s[6:7], -v[38:39]
	s_delay_alu instid0(VALU_DEP_2) | instskip(NEXT) | instid1(VALU_DEP_2)
	v_add_f64_e64 v[32:33], v[32:33], -v[34:35]
	v_fmac_f64_e32 v[40:41], 0x3c91a62633145c07, v[36:37]
	s_delay_alu instid0(VALU_DEP_1) | instskip(NEXT) | instid1(VALU_DEP_1)
	v_fmac_f64_e32 v[40:41], 0x3ff921fb54442d18, v[32:33]
	v_add_f64_e32 v[32:33], v[38:39], v[40:41]
	s_delay_alu instid0(VALU_DEP_1) | instskip(NEXT) | instid1(VALU_DEP_1)
	v_add_f64_e64 v[34:35], v[32:33], -v[38:39]
	v_add_f64_e64 v[34:35], v[40:41], -v[34:35]
	s_and_not1_saveexec_b32 s1, s1
	s_cbranch_execz .LBB253_407
	s_branch .LBB253_406
.LBB253_405:                            ;   in Loop: Header=BB253_233 Depth=1
	s_and_not1_saveexec_b32 s1, s1
	s_cbranch_execz .LBB253_407
.LBB253_406:                            ;   in Loop: Header=BB253_233 Depth=1
	v_mul_f64_e64 v[32:33], |v[4:5]|, s[8:9]
	s_delay_alu instid0(VALU_DEP_1) | instskip(NEXT) | instid1(VALU_DEP_1)
	v_rndne_f64_e32 v[36:37], v[32:33]
	v_fma_f64 v[32:33], v[36:37], s[10:11], |v[4:5]|
	v_mul_f64_e32 v[34:35], 0xbc91a62633145c00, v[36:37]
	v_cvt_i32_f64_e32 v30, v[36:37]
	s_delay_alu instid0(VALU_DEP_3) | instskip(NEXT) | instid1(VALU_DEP_3)
	v_fmamk_f64 v[42:43], v[36:37], 0xbc91a62633145c00, v[32:33]
	v_add_f64_e32 v[38:39], v[32:33], v[34:35]
	s_delay_alu instid0(VALU_DEP_1) | instskip(NEXT) | instid1(VALU_DEP_3)
	v_add_f64_e64 v[40:41], v[32:33], -v[38:39]
	v_add_f64_e64 v[32:33], v[38:39], -v[42:43]
	s_delay_alu instid0(VALU_DEP_2) | instskip(SKIP_1) | instid1(VALU_DEP_2)
	v_add_f64_e32 v[38:39], v[40:41], v[34:35]
	v_fmamk_f64 v[34:35], v[36:37], 0x3c91a62633145c00, v[34:35]
	v_add_f64_e32 v[32:33], v[32:33], v[38:39]
	s_delay_alu instid0(VALU_DEP_1) | instskip(NEXT) | instid1(VALU_DEP_1)
	v_add_f64_e64 v[34:35], v[32:33], -v[34:35]
	v_fmac_f64_e32 v[34:35], 0xb97b839a252049c0, v[36:37]
	s_delay_alu instid0(VALU_DEP_1) | instskip(NEXT) | instid1(VALU_DEP_1)
	v_add_f64_e32 v[32:33], v[42:43], v[34:35]
	v_add_f64_e64 v[38:39], v[32:33], -v[42:43]
	s_delay_alu instid0(VALU_DEP_1)
	v_add_f64_e64 v[34:35], v[34:35], -v[38:39]
.LBB253_407:                            ;   in Loop: Header=BB253_233 Depth=1
	s_or_b32 exec_lo, exec_lo, s1
                                        ; implicit-def: $vgpr40
                                        ; implicit-def: $vgpr36_vgpr37
                                        ; implicit-def: $vgpr38_vgpr39
	s_and_saveexec_b32 s1, s0
	s_delay_alu instid0(SALU_CYCLE_1)
	s_xor_b32 s0, exec_lo, s1
	s_cbranch_execz .LBB253_409
; %bb.408:                              ;   in Loop: Header=BB253_233 Depth=1
	v_ldexp_f64 v[36:37], |v[4:5]|, 0xffffff80
	v_cmp_le_f64_e64 vcc_lo, 0x7b000000, |v[4:5]|
	v_trig_preop_f64 v[38:39], |v[4:5]|, 0
	v_and_b32_e32 v21, 0x7fffffff, v5
	v_trig_preop_f64 v[40:41], |v[4:5]|, 1
	v_trig_preop_f64 v[50:51], |v[4:5]|, 2
	s_delay_alu instid0(VALU_DEP_3) | instskip(NEXT) | instid1(VALU_DEP_1)
	v_dual_cndmask_b32 v37, v21, v37 :: v_dual_cndmask_b32 v36, v4, v36
	v_mul_f64_e32 v[42:43], v[38:39], v[36:37]
	s_delay_alu instid0(VALU_DEP_4) | instskip(NEXT) | instid1(VALU_DEP_4)
	v_mul_f64_e32 v[44:45], v[40:41], v[36:37]
	v_mul_f64_e32 v[56:57], v[50:51], v[36:37]
	s_delay_alu instid0(VALU_DEP_3) | instskip(NEXT) | instid1(VALU_DEP_3)
	v_fma_f64 v[38:39], v[38:39], v[36:37], -v[42:43]
	v_fma_f64 v[40:41], v[40:41], v[36:37], -v[44:45]
	s_delay_alu instid0(VALU_DEP_3) | instskip(NEXT) | instid1(VALU_DEP_3)
	v_fma_f64 v[36:37], v[50:51], v[36:37], -v[56:57]
	v_add_f64_e32 v[46:47], v[44:45], v[38:39]
	s_delay_alu instid0(VALU_DEP_1) | instskip(SKIP_1) | instid1(VALU_DEP_2)
	v_add_f64_e64 v[48:49], v[46:47], -v[44:45]
	v_add_f64_e32 v[54:55], v[42:43], v[46:47]
	v_add_f64_e64 v[52:53], v[46:47], -v[48:49]
	v_add_f64_e64 v[38:39], v[38:39], -v[48:49]
	s_delay_alu instid0(VALU_DEP_3) | instskip(NEXT) | instid1(VALU_DEP_3)
	v_ldexp_f64 v[48:49], v[54:55], -2
	v_add_f64_e64 v[44:45], v[44:45], -v[52:53]
	v_add_f64_e32 v[52:53], v[56:57], v[40:41]
	s_delay_alu instid0(VALU_DEP_3) | instskip(NEXT) | instid1(VALU_DEP_3)
	v_cmp_neq_f64_e64 vcc_lo, 0x7ff00000, |v[48:49]|
	v_add_f64_e32 v[38:39], v[38:39], v[44:45]
	v_fract_f64_e32 v[44:45], v[48:49]
	s_delay_alu instid0(VALU_DEP_1) | instskip(NEXT) | instid1(VALU_DEP_1)
	v_ldexp_f64 v[44:45], v[44:45], 2
	v_dual_add_f64 v[42:43], v[54:55], -v[42:43] :: v_dual_cndmask_b32 v44, 0, v44, vcc_lo
	s_delay_alu instid0(VALU_DEP_1) | instskip(SKIP_1) | instid1(VALU_DEP_1)
	v_dual_add_f64 v[42:43], v[46:47], -v[42:43] :: v_dual_cndmask_b32 v45, 0, v45, vcc_lo
	v_add_f64_e32 v[46:47], v[52:53], v[38:39]
	v_add_f64_e32 v[48:49], v[42:43], v[46:47]
	v_add_f64_e64 v[58:59], v[46:47], -v[52:53]
	s_delay_alu instid0(VALU_DEP_2) | instskip(NEXT) | instid1(VALU_DEP_2)
	v_add_f64_e32 v[54:55], v[48:49], v[44:45]
	v_add_f64_e64 v[64:65], v[46:47], -v[58:59]
	v_add_f64_e64 v[38:39], v[38:39], -v[58:59]
	;; [unrolled: 1-line block ×3, first 2 shown]
	s_delay_alu instid0(VALU_DEP_4) | instskip(SKIP_2) | instid1(VALU_DEP_2)
	v_cmp_gt_f64_e32 vcc_lo, 0, v[54:55]
	v_add_f64_e64 v[54:55], v[52:53], -v[56:57]
	v_cndmask_b32_e64 v21, 0, 0x40100000, vcc_lo
	v_add_f64_e64 v[62:63], v[52:53], -v[54:55]
	v_add_f64_e64 v[40:41], v[40:41], -v[54:55]
	;; [unrolled: 1-line block ×3, first 2 shown]
	s_delay_alu instid0(VALU_DEP_4) | instskip(NEXT) | instid1(VALU_DEP_4)
	v_add_f64_e32 v[44:45], v[44:45], v[20:21]
	v_add_f64_e64 v[54:55], v[56:57], -v[62:63]
	s_delay_alu instid0(VALU_DEP_3) | instskip(NEXT) | instid1(VALU_DEP_3)
	v_add_f64_e32 v[38:39], v[38:39], v[52:53]
	v_add_f64_e32 v[60:61], v[48:49], v[44:45]
	s_delay_alu instid0(VALU_DEP_3) | instskip(NEXT) | instid1(VALU_DEP_2)
	v_add_f64_e32 v[40:41], v[40:41], v[54:55]
	v_cvt_i32_f64_e32 v21, v[60:61]
	s_delay_alu instid0(VALU_DEP_2) | instskip(SKIP_1) | instid1(VALU_DEP_3)
	v_add_f64_e32 v[38:39], v[40:41], v[38:39]
	v_add_f64_e64 v[40:41], v[46:47], -v[42:43]
	v_cvt_f64_i32_e32 v[58:59], v21
	s_delay_alu instid0(VALU_DEP_3) | instskip(NEXT) | instid1(VALU_DEP_2)
	v_add_f64_e32 v[36:37], v[36:37], v[38:39]
	v_add_f64_e64 v[44:45], v[44:45], -v[58:59]
	s_delay_alu instid0(VALU_DEP_2) | instskip(NEXT) | instid1(VALU_DEP_2)
	v_add_f64_e32 v[36:37], v[40:41], v[36:37]
	v_add_f64_e32 v[50:51], v[48:49], v[44:45]
	s_delay_alu instid0(VALU_DEP_1) | instskip(SKIP_1) | instid1(VALU_DEP_2)
	v_add_f64_e64 v[38:39], v[50:51], -v[44:45]
	v_cmp_le_f64_e32 vcc_lo, 0.5, v[50:51]
	v_add_f64_e64 v[38:39], v[48:49], -v[38:39]
	v_add_co_ci_u32_e64 v40, null, 0, v21, vcc_lo
	v_cndmask_b32_e64 v21, 0, 0x3ff00000, vcc_lo
	s_delay_alu instid0(VALU_DEP_3) | instskip(NEXT) | instid1(VALU_DEP_2)
	v_add_f64_e32 v[36:37], v[36:37], v[38:39]
	v_add_f64_e64 v[38:39], v[50:51], -v[20:21]
	s_delay_alu instid0(VALU_DEP_1) | instskip(NEXT) | instid1(VALU_DEP_1)
	v_add_f64_e32 v[42:43], v[38:39], v[36:37]
	v_mul_f64_e32 v[44:45], 0x3ff921fb54442d18, v[42:43]
	v_add_f64_e64 v[38:39], v[42:43], -v[38:39]
	s_delay_alu instid0(VALU_DEP_2) | instskip(NEXT) | instid1(VALU_DEP_2)
	v_fma_f64 v[46:47], v[42:43], s[6:7], -v[44:45]
	v_add_f64_e64 v[36:37], v[36:37], -v[38:39]
	s_delay_alu instid0(VALU_DEP_2) | instskip(NEXT) | instid1(VALU_DEP_1)
	v_fmac_f64_e32 v[46:47], 0x3c91a62633145c07, v[42:43]
	v_fmac_f64_e32 v[46:47], 0x3ff921fb54442d18, v[36:37]
	s_delay_alu instid0(VALU_DEP_1) | instskip(NEXT) | instid1(VALU_DEP_1)
	v_add_f64_e32 v[36:37], v[44:45], v[46:47]
	v_add_f64_e64 v[38:39], v[36:37], -v[44:45]
	s_delay_alu instid0(VALU_DEP_1)
	v_add_f64_e64 v[38:39], v[46:47], -v[38:39]
	s_and_not1_saveexec_b32 s0, s0
	s_cbranch_execnz .LBB253_410
	s_branch .LBB253_411
.LBB253_409:                            ;   in Loop: Header=BB253_233 Depth=1
	s_and_not1_saveexec_b32 s0, s0
	s_cbranch_execz .LBB253_411
.LBB253_410:                            ;   in Loop: Header=BB253_233 Depth=1
	v_mul_f64_e64 v[36:37], |v[4:5]|, s[8:9]
	s_delay_alu instid0(VALU_DEP_1) | instskip(NEXT) | instid1(VALU_DEP_1)
	v_rndne_f64_e32 v[40:41], v[36:37]
	v_fma_f64 v[36:37], v[40:41], s[10:11], |v[4:5]|
	v_mul_f64_e32 v[38:39], 0xbc91a62633145c00, v[40:41]
	s_delay_alu instid0(VALU_DEP_2) | instskip(NEXT) | instid1(VALU_DEP_2)
	v_fmamk_f64 v[46:47], v[40:41], 0xbc91a62633145c00, v[36:37]
	v_add_f64_e32 v[42:43], v[36:37], v[38:39]
	s_delay_alu instid0(VALU_DEP_1) | instskip(NEXT) | instid1(VALU_DEP_3)
	v_add_f64_e64 v[44:45], v[36:37], -v[42:43]
	v_add_f64_e64 v[36:37], v[42:43], -v[46:47]
	s_delay_alu instid0(VALU_DEP_2) | instskip(SKIP_1) | instid1(VALU_DEP_2)
	v_add_f64_e32 v[42:43], v[44:45], v[38:39]
	v_fmamk_f64 v[38:39], v[40:41], 0x3c91a62633145c00, v[38:39]
	v_add_f64_e32 v[36:37], v[36:37], v[42:43]
	s_delay_alu instid0(VALU_DEP_1) | instskip(NEXT) | instid1(VALU_DEP_1)
	v_add_f64_e64 v[38:39], v[36:37], -v[38:39]
	v_fmac_f64_e32 v[38:39], 0xb97b839a252049c0, v[40:41]
	v_cvt_i32_f64_e32 v40, v[40:41]
	s_delay_alu instid0(VALU_DEP_2) | instskip(NEXT) | instid1(VALU_DEP_1)
	v_add_f64_e32 v[36:37], v[46:47], v[38:39]
	v_add_f64_e64 v[42:43], v[36:37], -v[46:47]
	s_delay_alu instid0(VALU_DEP_1)
	v_add_f64_e64 v[38:39], v[38:39], -v[42:43]
.LBB253_411:                            ;   in Loop: Header=BB253_233 Depth=1
	s_or_b32 exec_lo, exec_lo, s0
	v_add_f64_e64 v[2:3], -v[2:3], s[18:19]
	v_mul_f64_e32 v[44:45], v[32:33], v[32:33]
	s_delay_alu instid0(VALU_DEP_3)
	v_mul_f64_e32 v[58:59], 0.5, v[34:35]
	v_cmp_class_f64_e64 s0, v[4:5], 0x1f8
	v_lshlrev_b32_e32 v5, 30, v40
	v_mul_f64_e32 v[46:47], v[36:37], v[36:37]
	v_mul_f64_e32 v[42:43], 0x3ff71547652b82fe, v[2:3]
	v_mul_f64_e32 v[48:49], 0.5, v[44:45]
	v_cmp_nlt_f64_e64 s1, 0x40900000, v[2:3]
	v_cmp_ngt_f64_e64 s2, 0xc090cc00, v[2:3]
	s_delay_alu instid0(VALU_DEP_4) | instskip(NEXT) | instid1(VALU_DEP_4)
	v_rndne_f64_e32 v[42:43], v[42:43]
	v_add_f64_e64 v[54:55], -v[48:49], 1.0
	s_delay_alu instid0(VALU_DEP_2) | instskip(NEXT) | instid1(VALU_DEP_2)
	v_fmamk_f64 v[52:53], v[42:43], 0xbfe62e42fefa39ef, v[2:3]
	v_add_f64_e64 v[62:63], -v[54:55], 1.0
	v_cvt_i32_f64_e32 v21, v[42:43]
	v_and_b32_e32 v2, 1, v40
	s_delay_alu instid0(VALU_DEP_4) | instskip(NEXT) | instid1(VALU_DEP_2)
	v_fmac_f64_e32 v[52:53], 0xbc7abc9e3b39803f, v[42:43]
	v_cmp_eq_u32_e64 s3, 0, v2
	v_mul_f64_e32 v[68:69], 0.5, v[38:39]
	v_add_f64_e64 v[48:49], v[62:63], -v[48:49]
	s_delay_alu instid0(VALU_DEP_4) | instskip(NEXT) | instid1(VALU_DEP_1)
	v_fmamk_f64 v[66:67], v[52:53], 0x3e5ade156a5dcb37, v[22:23]
	v_fmaak_f64 v[66:67], v[52:53], v[66:67], 0x3ec71dee623fde64
	s_delay_alu instid0(VALU_DEP_1) | instskip(NEXT) | instid1(VALU_DEP_1)
	v_fmaak_f64 v[66:67], v[52:53], v[66:67], 0x3efa01997c89e6b0
	v_fmaak_f64 v[66:67], v[52:53], v[66:67], 0x3f2a01a014761f6e
	s_delay_alu instid0(VALU_DEP_1) | instskip(NEXT) | instid1(VALU_DEP_1)
	v_fmaak_f64 v[62:63], v[52:53], v[66:67], 0x3f56c16c1852b7b0
	;; [unrolled: 3-line block ×4, first 2 shown]
	v_fma_f64 v[62:63], v[52:53], v[62:63], 1.0
	s_delay_alu instid0(VALU_DEP_1) | instskip(NEXT) | instid1(VALU_DEP_1)
	v_fma_f64 v[42:43], v[52:53], v[62:63], 1.0
	v_ldexp_f64 v[42:43], v[42:43], v21
	v_and_b32_e32 v21, 1, v30
	v_fmamk_f64 v[64:65], v[44:45], 0x3de5e0b2f9a43bb8, v[26:27]
	v_lshlrev_b32_e32 v30, 30, v30
	v_mul_f64_e32 v[50:51], 0.5, v[46:47]
	v_mul_f64_e64 v[70:71], v[36:37], -v[46:47]
	v_cmp_eq_u32_e32 vcc_lo, 0, v21
	v_mul_f64_e64 v[60:61], v[32:33], -v[44:45]
	v_fmamk_f64 v[74:75], v[46:47], 0x3de5e0b2f9a43bb8, v[26:27]
	v_fmaak_f64 v[64:65], v[44:45], v[64:65], 0x3ec71de3796cde01
	v_mul_f64_e32 v[66:67], v[44:45], v[44:45]
	s_delay_alu instid0(VALU_DEP_2) | instskip(NEXT) | instid1(VALU_DEP_1)
	v_fmaak_f64 v[64:65], v[44:45], v[64:65], 0xbf2a01a019e83e5c
	v_fmaak_f64 v[64:65], v[44:45], v[64:65], 0x3f81111111110bb3
	v_cndmask_b32_e64 v4, 0x7ff00000, v43, s1
	v_add_f64_e64 v[56:57], -v[50:51], 1.0
	s_delay_alu instid0(VALU_DEP_3) | instskip(SKIP_1) | instid1(VALU_DEP_1)
	v_fmac_f64_e32 v[58:59], v[60:61], v[64:65]
	v_fmaak_f64 v[64:65], v[46:47], v[74:75], 0x3ec71de3796cde01
	v_fmaak_f64 v[64:65], v[46:47], v[64:65], 0xbf2a01a019e83e5c
	s_delay_alu instid0(VALU_DEP_1) | instskip(NEXT) | instid1(VALU_DEP_1)
	v_fmaak_f64 v[64:65], v[46:47], v[64:65], 0x3f81111111110bb3
	v_fmac_f64_e32 v[68:69], v[70:71], v[64:65]
	v_fmamk_f64 v[64:65], v[44:45], 0xbda907db46cc5e42, v[24:25]
	v_add_f64_e64 v[72:73], -v[56:57], 1.0
	v_fma_f64 v[58:59], v[44:45], v[58:59], -v[34:35]
	v_fma_f64 v[34:35], v[32:33], -v[34:35], v[48:49]
	s_delay_alu instid0(VALU_DEP_4) | instskip(NEXT) | instid1(VALU_DEP_1)
	v_fmaak_f64 v[48:49], v[44:45], v[64:65], 0xbe927e4fa17f65f6
	v_fmaak_f64 v[48:49], v[44:45], v[48:49], 0x3efa01a019f4ec90
	s_delay_alu instid0(VALU_DEP_1) | instskip(NEXT) | instid1(VALU_DEP_1)
	v_fmaak_f64 v[48:49], v[44:45], v[48:49], 0xbf56c16c16c16967
	v_fmaak_f64 v[44:45], v[44:45], v[48:49], 0x3fa5555555555555
	v_fma_f64 v[48:49], v[46:47], v[68:69], -v[38:39]
	v_add_f64_e64 v[50:51], v[72:73], -v[50:51]
	v_fmamk_f64 v[72:73], v[46:47], 0xbda907db46cc5e42, v[24:25]
	v_fmac_f64_e32 v[58:59], 0xbfc5555555555555, v[60:61]
	v_fmac_f64_e32 v[34:35], v[66:67], v[44:45]
	;; [unrolled: 1-line block ×3, first 2 shown]
	s_delay_alu instid0(VALU_DEP_3) | instskip(NEXT) | instid1(VALU_DEP_3)
	v_add_f64_e64 v[32:33], v[32:33], -v[58:59]
	v_add_f64_e32 v[34:35], v[54:55], v[34:35]
	s_delay_alu instid0(VALU_DEP_2) | instskip(NEXT) | instid1(VALU_DEP_2)
	v_xor_b32_e32 v3, 0x80000000, v33
	v_dual_cndmask_b32 v21, v32, v34, vcc_lo :: v_dual_cndmask_b32 v32, 0, v4, s2
	v_mul_f64_e32 v[64:65], v[46:47], v[46:47]
	v_fma_f64 v[38:39], v[36:37], -v[38:39], v[50:51]
	v_fmaak_f64 v[50:51], v[46:47], v[72:73], 0xbe927e4fa17f65f6
	v_dual_add_f64 v[36:37], v[36:37], -v[48:49] :: v_dual_cndmask_b32 v2, v3, v35, vcc_lo
	v_xor_b32_e32 v3, v5, v31
	s_and_b32 vcc_lo, s2, s1
	s_delay_alu instid0(VALU_DEP_3) | instskip(NEXT) | instid1(VALU_DEP_3)
	v_fmaak_f64 v[44:45], v[46:47], v[50:51], 0x3efa01a019f4ec90
	v_bitop3_b32 v30, v2, v30, 0x80000000 bitop3:0x78
	v_cndmask_b32_e64 v2, 0, v21, s0
	s_delay_alu instid0(VALU_DEP_3) | instskip(NEXT) | instid1(VALU_DEP_1)
	v_fmaak_f64 v[44:45], v[46:47], v[44:45], 0xbf56c16c16c16967
	v_fmaak_f64 v[44:45], v[46:47], v[44:45], 0x3fa5555555555555
	s_delay_alu instid0(VALU_DEP_1) | instskip(NEXT) | instid1(VALU_DEP_1)
	v_fmac_f64_e32 v[38:39], v[64:65], v[44:45]
	v_add_f64_e32 v[38:39], v[56:57], v[38:39]
	s_delay_alu instid0(VALU_DEP_1) | instskip(NEXT) | instid1(VALU_DEP_1)
	v_dual_cndmask_b32 v31, v39, v37, s3 :: v_dual_cndmask_b32 v5, v38, v36, s3
	v_bitop3_b32 v21, v31, v3, 0x80000000 bitop3:0x78
	v_cndmask_b32_e64 v3, 0x7ff80000, v30, s0
	s_delay_alu instid0(VALU_DEP_3) | instskip(SKIP_3) | instid1(VALU_DEP_2)
	v_cndmask_b32_e64 v4, 0, v5, s0
	v_and_or_b32 v31, v32, s22, 0x7fe00000
	v_cndmask_b32_e32 v30, 0, v42, vcc_lo
	v_cndmask_b32_e64 v5, 0x7ff80000, v21, s0
	v_dual_mul_f64 v[2:3], v[30:31], v[2:3] :: v_dual_lshrrev_b32 v21, 20, v32
	s_delay_alu instid0(VALU_DEP_2) | instskip(NEXT) | instid1(VALU_DEP_2)
	v_mul_f64_e32 v[4:5], v[30:31], v[4:5]
	v_add_nc_u32_e32 v30, 0xffffff09, v21
	s_delay_alu instid0(VALU_DEP_1) | instskip(NEXT) | instid1(VALU_DEP_1)
	v_lshrrev_b16 v21, 15, v30
	v_add_nc_u16 v21, v30, v21
	s_delay_alu instid0(VALU_DEP_1) | instskip(NEXT) | instid1(VALU_DEP_1)
	v_ashrrev_i16 v21, 1, v21
	v_bfe_i32 v31, v21, 0, 16
	s_delay_alu instid0(VALU_DEP_1) | instskip(NEXT) | instid1(VALU_DEP_1)
	v_lshl_add_u32 v21, v31, 20, 0x3ff00000
	v_mul_f64_e32 v[2:3], v[2:3], v[20:21]
	v_dual_mul_f64 v[4:5], v[4:5], v[20:21] :: v_dual_sub_nc_u32 v21, v30, v31
	v_mov_b32_e32 v30, v20
	s_delay_alu instid0(VALU_DEP_2) | instskip(NEXT) | instid1(VALU_DEP_1)
	v_lshl_add_u32 v31, v21, 20, 0x3ff00000
	v_mul_f64_e32 v[32:33], v[2:3], v[30:31]
	s_delay_alu instid0(VALU_DEP_4)
	v_mul_f64_e32 v[30:31], v[4:5], v[30:31]
.LBB253_412:                            ;   in Loop: Header=BB253_233 Depth=1
	s_or_b32 exec_lo, exec_lo, s27
                                        ; implicit-def: $vgpr34_vgpr35
                                        ; implicit-def: $vgpr2_vgpr3
                                        ; implicit-def: $vgpr21
.LBB253_413:                            ;   in Loop: Header=BB253_233 Depth=1
	s_and_not1_saveexec_b32 s1, s26
	s_cbranch_execz .LBB253_419
; %bb.414:                              ;   in Loop: Header=BB253_233 Depth=1
	v_add_f64_e64 v[30:31], v[4:5], -v[4:5]
	v_cmp_ne_u32_e32 vcc_lo, 0, v2
	v_cmp_ne_u32_e64 s0, 0x7ff00000, v21
	s_or_b32 s0, vcc_lo, s0
	s_delay_alu instid0(SALU_CYCLE_1) | instskip(NEXT) | instid1(SALU_CYCLE_1)
	s_and_saveexec_b32 s2, s0
	s_xor_b32 s0, exec_lo, s2
; %bb.415:                              ;   in Loop: Header=BB253_233 Depth=1
                                        ; implicit-def: $vgpr34_vgpr35
                                        ; implicit-def: $vgpr2_vgpr3
; %bb.416:                              ;   in Loop: Header=BB253_233 Depth=1
	s_delay_alu instid0(SALU_CYCLE_1)
	s_or_saveexec_b32 s0, s0
	v_mov_b64_e32 v[32:33], v[30:31]
	s_xor_b32 exec_lo, exec_lo, s0
; %bb.417:                              ;   in Loop: Header=BB253_233 Depth=1
	v_cmp_lt_i64_e32 vcc_lo, -1, v[34:35]
	v_dual_cndmask_b32 v33, 0, v35 :: v_dual_cndmask_b32 v32, 0, v2
	v_dual_cndmask_b32 v31, 0, v31 :: v_dual_cndmask_b32 v30, 0, v30
; %bb.418:                              ;   in Loop: Header=BB253_233 Depth=1
	s_or_b32 exec_lo, exec_lo, s0
.LBB253_419:                            ;   in Loop: Header=BB253_233 Depth=1
	s_delay_alu instid0(SALU_CYCLE_1)
	s_or_b32 exec_lo, exec_lo, s1
                                        ; implicit-def: $vgpr4_vgpr5
.LBB253_420:                            ;   in Loop: Header=BB253_233 Depth=1
	s_and_not1_saveexec_b32 s2, s25
	s_cbranch_execz .LBB253_430
; %bb.421:                              ;   in Loop: Header=BB253_233 Depth=1
	v_cmp_ngt_f64_e64 s0, 0x41d00000, |v[4:5]|
                                        ; implicit-def: $vgpr30
                                        ; implicit-def: $vgpr2_vgpr3
                                        ; implicit-def: $vgpr32_vgpr33
	s_and_saveexec_b32 s1, s0
	s_delay_alu instid0(SALU_CYCLE_1)
	s_xor_b32 s1, exec_lo, s1
	s_cbranch_execz .LBB253_423
; %bb.422:                              ;   in Loop: Header=BB253_233 Depth=1
	v_ldexp_f64 v[2:3], |v[4:5]|, 0xffffff80
	v_cmp_le_f64_e64 vcc_lo, 0x7b000000, |v[4:5]|
	v_trig_preop_f64 v[32:33], |v[4:5]|, 0
	v_and_b32_e32 v21, 0x7fffffff, v5
	v_trig_preop_f64 v[34:35], |v[4:5]|, 1
	v_trig_preop_f64 v[44:45], |v[4:5]|, 2
	s_delay_alu instid0(VALU_DEP_3) | instskip(NEXT) | instid1(VALU_DEP_1)
	v_dual_cndmask_b32 v3, v21, v3 :: v_dual_cndmask_b32 v2, v4, v2
	v_mul_f64_e32 v[36:37], v[32:33], v[2:3]
	s_delay_alu instid0(VALU_DEP_4) | instskip(NEXT) | instid1(VALU_DEP_4)
	v_mul_f64_e32 v[38:39], v[34:35], v[2:3]
	v_mul_f64_e32 v[50:51], v[44:45], v[2:3]
	s_delay_alu instid0(VALU_DEP_3) | instskip(NEXT) | instid1(VALU_DEP_3)
	v_fma_f64 v[32:33], v[32:33], v[2:3], -v[36:37]
	v_fma_f64 v[34:35], v[34:35], v[2:3], -v[38:39]
	s_delay_alu instid0(VALU_DEP_3) | instskip(NEXT) | instid1(VALU_DEP_3)
	v_fma_f64 v[2:3], v[44:45], v[2:3], -v[50:51]
	v_add_f64_e32 v[40:41], v[38:39], v[32:33]
	s_delay_alu instid0(VALU_DEP_1) | instskip(SKIP_1) | instid1(VALU_DEP_2)
	v_add_f64_e64 v[42:43], v[40:41], -v[38:39]
	v_add_f64_e32 v[48:49], v[36:37], v[40:41]
	v_add_f64_e64 v[46:47], v[40:41], -v[42:43]
	v_add_f64_e64 v[32:33], v[32:33], -v[42:43]
	s_delay_alu instid0(VALU_DEP_3) | instskip(NEXT) | instid1(VALU_DEP_3)
	v_ldexp_f64 v[42:43], v[48:49], -2
	v_add_f64_e64 v[38:39], v[38:39], -v[46:47]
	v_add_f64_e32 v[46:47], v[50:51], v[34:35]
	s_delay_alu instid0(VALU_DEP_3) | instskip(NEXT) | instid1(VALU_DEP_3)
	v_cmp_neq_f64_e64 vcc_lo, 0x7ff00000, |v[42:43]|
	v_add_f64_e32 v[32:33], v[32:33], v[38:39]
	v_fract_f64_e32 v[38:39], v[42:43]
	s_delay_alu instid0(VALU_DEP_1) | instskip(NEXT) | instid1(VALU_DEP_1)
	v_ldexp_f64 v[38:39], v[38:39], 2
	v_dual_add_f64 v[36:37], v[48:49], -v[36:37] :: v_dual_cndmask_b32 v38, 0, v38, vcc_lo
	s_delay_alu instid0(VALU_DEP_1) | instskip(SKIP_1) | instid1(VALU_DEP_1)
	v_dual_add_f64 v[36:37], v[40:41], -v[36:37] :: v_dual_cndmask_b32 v39, 0, v39, vcc_lo
	v_add_f64_e32 v[40:41], v[46:47], v[32:33]
	v_add_f64_e32 v[42:43], v[36:37], v[40:41]
	v_add_f64_e64 v[52:53], v[40:41], -v[46:47]
	s_delay_alu instid0(VALU_DEP_2) | instskip(NEXT) | instid1(VALU_DEP_2)
	v_add_f64_e32 v[48:49], v[42:43], v[38:39]
	v_add_f64_e64 v[58:59], v[40:41], -v[52:53]
	v_add_f64_e64 v[32:33], v[32:33], -v[52:53]
	;; [unrolled: 1-line block ×3, first 2 shown]
	s_delay_alu instid0(VALU_DEP_4) | instskip(SKIP_1) | instid1(VALU_DEP_3)
	v_cmp_gt_f64_e32 vcc_lo, 0, v[48:49]
	v_add_f64_e64 v[48:49], v[46:47], -v[50:51]
	v_add_f64_e64 v[36:37], v[40:41], -v[36:37]
	v_cndmask_b32_e64 v21, 0, 0x40100000, vcc_lo
	s_delay_alu instid0(VALU_DEP_3) | instskip(SKIP_2) | instid1(VALU_DEP_4)
	v_add_f64_e64 v[56:57], v[46:47], -v[48:49]
	v_add_f64_e64 v[34:35], v[34:35], -v[48:49]
	;; [unrolled: 1-line block ×3, first 2 shown]
	v_add_f64_e32 v[38:39], v[38:39], v[20:21]
	s_delay_alu instid0(VALU_DEP_4) | instskip(NEXT) | instid1(VALU_DEP_3)
	v_add_f64_e64 v[48:49], v[50:51], -v[56:57]
	v_add_f64_e32 v[32:33], v[32:33], v[46:47]
	s_delay_alu instid0(VALU_DEP_3) | instskip(NEXT) | instid1(VALU_DEP_3)
	v_add_f64_e32 v[54:55], v[42:43], v[38:39]
	v_add_f64_e32 v[34:35], v[34:35], v[48:49]
	s_delay_alu instid0(VALU_DEP_2) | instskip(NEXT) | instid1(VALU_DEP_2)
	v_cvt_i32_f64_e32 v21, v[54:55]
	v_add_f64_e32 v[32:33], v[34:35], v[32:33]
	s_delay_alu instid0(VALU_DEP_2) | instskip(NEXT) | instid1(VALU_DEP_2)
	v_cvt_f64_i32_e32 v[52:53], v21
	v_add_f64_e32 v[2:3], v[2:3], v[32:33]
	s_delay_alu instid0(VALU_DEP_2) | instskip(NEXT) | instid1(VALU_DEP_2)
	v_add_f64_e64 v[38:39], v[38:39], -v[52:53]
	v_add_f64_e32 v[2:3], v[36:37], v[2:3]
	s_delay_alu instid0(VALU_DEP_2) | instskip(NEXT) | instid1(VALU_DEP_1)
	v_add_f64_e32 v[34:35], v[42:43], v[38:39]
	v_add_f64_e64 v[32:33], v[34:35], -v[38:39]
	v_cmp_le_f64_e32 vcc_lo, 0.5, v[34:35]
	s_delay_alu instid0(VALU_DEP_2) | instskip(SKIP_2) | instid1(VALU_DEP_3)
	v_add_f64_e64 v[32:33], v[42:43], -v[32:33]
	v_add_co_ci_u32_e64 v30, null, 0, v21, vcc_lo
	v_cndmask_b32_e64 v21, 0, 0x3ff00000, vcc_lo
	v_add_f64_e32 v[2:3], v[2:3], v[32:33]
	s_delay_alu instid0(VALU_DEP_2) | instskip(NEXT) | instid1(VALU_DEP_1)
	v_add_f64_e64 v[32:33], v[34:35], -v[20:21]
	v_add_f64_e32 v[34:35], v[32:33], v[2:3]
	s_delay_alu instid0(VALU_DEP_1) | instskip(SKIP_1) | instid1(VALU_DEP_2)
	v_mul_f64_e32 v[36:37], 0x3ff921fb54442d18, v[34:35]
	v_add_f64_e64 v[32:33], v[34:35], -v[32:33]
	v_fma_f64 v[38:39], v[34:35], s[6:7], -v[36:37]
	s_delay_alu instid0(VALU_DEP_2) | instskip(NEXT) | instid1(VALU_DEP_2)
	v_add_f64_e64 v[2:3], v[2:3], -v[32:33]
	v_fmac_f64_e32 v[38:39], 0x3c91a62633145c07, v[34:35]
	s_delay_alu instid0(VALU_DEP_1) | instskip(NEXT) | instid1(VALU_DEP_1)
	v_fmac_f64_e32 v[38:39], 0x3ff921fb54442d18, v[2:3]
	v_add_f64_e32 v[2:3], v[36:37], v[38:39]
	s_delay_alu instid0(VALU_DEP_1) | instskip(NEXT) | instid1(VALU_DEP_1)
	v_add_f64_e64 v[32:33], v[2:3], -v[36:37]
	v_add_f64_e64 v[32:33], v[38:39], -v[32:33]
	s_and_not1_saveexec_b32 s1, s1
	s_cbranch_execz .LBB253_425
	s_branch .LBB253_424
.LBB253_423:                            ;   in Loop: Header=BB253_233 Depth=1
	s_and_not1_saveexec_b32 s1, s1
	s_cbranch_execz .LBB253_425
.LBB253_424:                            ;   in Loop: Header=BB253_233 Depth=1
	v_mul_f64_e64 v[2:3], |v[4:5]|, s[8:9]
	s_delay_alu instid0(VALU_DEP_1) | instskip(NEXT) | instid1(VALU_DEP_1)
	v_rndne_f64_e32 v[34:35], v[2:3]
	v_fma_f64 v[2:3], v[34:35], s[10:11], |v[4:5]|
	v_mul_f64_e32 v[32:33], 0xbc91a62633145c00, v[34:35]
	v_cvt_i32_f64_e32 v30, v[34:35]
	s_delay_alu instid0(VALU_DEP_3) | instskip(NEXT) | instid1(VALU_DEP_3)
	v_fmamk_f64 v[40:41], v[34:35], 0xbc91a62633145c00, v[2:3]
	v_add_f64_e32 v[36:37], v[2:3], v[32:33]
	s_delay_alu instid0(VALU_DEP_1) | instskip(NEXT) | instid1(VALU_DEP_3)
	v_add_f64_e64 v[38:39], v[2:3], -v[36:37]
	v_add_f64_e64 v[2:3], v[36:37], -v[40:41]
	s_delay_alu instid0(VALU_DEP_2) | instskip(SKIP_1) | instid1(VALU_DEP_2)
	v_add_f64_e32 v[36:37], v[38:39], v[32:33]
	v_fmamk_f64 v[32:33], v[34:35], 0x3c91a62633145c00, v[32:33]
	v_add_f64_e32 v[2:3], v[2:3], v[36:37]
	s_delay_alu instid0(VALU_DEP_1) | instskip(NEXT) | instid1(VALU_DEP_1)
	v_add_f64_e64 v[32:33], v[2:3], -v[32:33]
	v_fmac_f64_e32 v[32:33], 0xb97b839a252049c0, v[34:35]
	s_delay_alu instid0(VALU_DEP_1) | instskip(NEXT) | instid1(VALU_DEP_1)
	v_add_f64_e32 v[2:3], v[40:41], v[32:33]
	v_add_f64_e64 v[36:37], v[2:3], -v[40:41]
	s_delay_alu instid0(VALU_DEP_1)
	v_add_f64_e64 v[32:33], v[32:33], -v[36:37]
.LBB253_425:                            ;   in Loop: Header=BB253_233 Depth=1
	s_or_b32 exec_lo, exec_lo, s1
                                        ; implicit-def: $vgpr38
                                        ; implicit-def: $vgpr34_vgpr35
                                        ; implicit-def: $vgpr36_vgpr37
	s_and_saveexec_b32 s1, s0
	s_delay_alu instid0(SALU_CYCLE_1)
	s_xor_b32 s0, exec_lo, s1
	s_cbranch_execz .LBB253_427
; %bb.426:                              ;   in Loop: Header=BB253_233 Depth=1
	v_ldexp_f64 v[34:35], |v[4:5]|, 0xffffff80
	v_cmp_le_f64_e64 vcc_lo, 0x7b000000, |v[4:5]|
	v_trig_preop_f64 v[36:37], |v[4:5]|, 0
	v_and_b32_e32 v21, 0x7fffffff, v5
	v_trig_preop_f64 v[38:39], |v[4:5]|, 1
	v_trig_preop_f64 v[48:49], |v[4:5]|, 2
	s_delay_alu instid0(VALU_DEP_3) | instskip(NEXT) | instid1(VALU_DEP_1)
	v_dual_cndmask_b32 v35, v21, v35 :: v_dual_cndmask_b32 v34, v4, v34
	v_mul_f64_e32 v[40:41], v[36:37], v[34:35]
	s_delay_alu instid0(VALU_DEP_4) | instskip(NEXT) | instid1(VALU_DEP_4)
	v_mul_f64_e32 v[42:43], v[38:39], v[34:35]
	v_mul_f64_e32 v[54:55], v[48:49], v[34:35]
	s_delay_alu instid0(VALU_DEP_3) | instskip(NEXT) | instid1(VALU_DEP_3)
	v_fma_f64 v[36:37], v[36:37], v[34:35], -v[40:41]
	v_fma_f64 v[38:39], v[38:39], v[34:35], -v[42:43]
	s_delay_alu instid0(VALU_DEP_3) | instskip(NEXT) | instid1(VALU_DEP_3)
	v_fma_f64 v[34:35], v[48:49], v[34:35], -v[54:55]
	v_add_f64_e32 v[44:45], v[42:43], v[36:37]
	s_delay_alu instid0(VALU_DEP_1) | instskip(SKIP_1) | instid1(VALU_DEP_2)
	v_add_f64_e64 v[46:47], v[44:45], -v[42:43]
	v_add_f64_e32 v[52:53], v[40:41], v[44:45]
	v_add_f64_e64 v[50:51], v[44:45], -v[46:47]
	v_add_f64_e64 v[36:37], v[36:37], -v[46:47]
	s_delay_alu instid0(VALU_DEP_3) | instskip(NEXT) | instid1(VALU_DEP_3)
	v_ldexp_f64 v[46:47], v[52:53], -2
	v_add_f64_e64 v[42:43], v[42:43], -v[50:51]
	v_add_f64_e32 v[50:51], v[54:55], v[38:39]
	s_delay_alu instid0(VALU_DEP_3) | instskip(NEXT) | instid1(VALU_DEP_3)
	v_cmp_neq_f64_e64 vcc_lo, 0x7ff00000, |v[46:47]|
	v_add_f64_e32 v[36:37], v[36:37], v[42:43]
	v_fract_f64_e32 v[42:43], v[46:47]
	s_delay_alu instid0(VALU_DEP_1) | instskip(NEXT) | instid1(VALU_DEP_1)
	v_ldexp_f64 v[42:43], v[42:43], 2
	v_dual_add_f64 v[40:41], v[52:53], -v[40:41] :: v_dual_cndmask_b32 v42, 0, v42, vcc_lo
	s_delay_alu instid0(VALU_DEP_1) | instskip(SKIP_1) | instid1(VALU_DEP_1)
	v_dual_add_f64 v[40:41], v[44:45], -v[40:41] :: v_dual_cndmask_b32 v43, 0, v43, vcc_lo
	v_add_f64_e32 v[44:45], v[50:51], v[36:37]
	v_add_f64_e32 v[46:47], v[40:41], v[44:45]
	v_add_f64_e64 v[56:57], v[44:45], -v[50:51]
	s_delay_alu instid0(VALU_DEP_2) | instskip(NEXT) | instid1(VALU_DEP_2)
	v_add_f64_e32 v[52:53], v[46:47], v[42:43]
	v_add_f64_e64 v[62:63], v[44:45], -v[56:57]
	v_add_f64_e64 v[36:37], v[36:37], -v[56:57]
	;; [unrolled: 1-line block ×3, first 2 shown]
	s_delay_alu instid0(VALU_DEP_4) | instskip(SKIP_2) | instid1(VALU_DEP_2)
	v_cmp_gt_f64_e32 vcc_lo, 0, v[52:53]
	v_add_f64_e64 v[52:53], v[50:51], -v[54:55]
	v_cndmask_b32_e64 v21, 0, 0x40100000, vcc_lo
	v_add_f64_e64 v[60:61], v[50:51], -v[52:53]
	v_add_f64_e64 v[38:39], v[38:39], -v[52:53]
	;; [unrolled: 1-line block ×3, first 2 shown]
	s_delay_alu instid0(VALU_DEP_4) | instskip(NEXT) | instid1(VALU_DEP_4)
	v_add_f64_e32 v[42:43], v[42:43], v[20:21]
	v_add_f64_e64 v[52:53], v[54:55], -v[60:61]
	s_delay_alu instid0(VALU_DEP_3) | instskip(NEXT) | instid1(VALU_DEP_3)
	v_add_f64_e32 v[36:37], v[36:37], v[50:51]
	v_add_f64_e32 v[58:59], v[46:47], v[42:43]
	s_delay_alu instid0(VALU_DEP_3) | instskip(NEXT) | instid1(VALU_DEP_2)
	v_add_f64_e32 v[38:39], v[38:39], v[52:53]
	v_cvt_i32_f64_e32 v21, v[58:59]
	s_delay_alu instid0(VALU_DEP_2) | instskip(SKIP_1) | instid1(VALU_DEP_3)
	v_add_f64_e32 v[36:37], v[38:39], v[36:37]
	v_add_f64_e64 v[38:39], v[44:45], -v[40:41]
	v_cvt_f64_i32_e32 v[56:57], v21
	s_delay_alu instid0(VALU_DEP_3) | instskip(NEXT) | instid1(VALU_DEP_2)
	v_add_f64_e32 v[34:35], v[34:35], v[36:37]
	v_add_f64_e64 v[42:43], v[42:43], -v[56:57]
	s_delay_alu instid0(VALU_DEP_2) | instskip(NEXT) | instid1(VALU_DEP_2)
	v_add_f64_e32 v[34:35], v[38:39], v[34:35]
	v_add_f64_e32 v[48:49], v[46:47], v[42:43]
	s_delay_alu instid0(VALU_DEP_1) | instskip(SKIP_1) | instid1(VALU_DEP_2)
	v_add_f64_e64 v[36:37], v[48:49], -v[42:43]
	v_cmp_le_f64_e32 vcc_lo, 0.5, v[48:49]
	v_add_f64_e64 v[36:37], v[46:47], -v[36:37]
	v_add_co_ci_u32_e64 v38, null, 0, v21, vcc_lo
	v_cndmask_b32_e64 v21, 0, 0x3ff00000, vcc_lo
	s_delay_alu instid0(VALU_DEP_3) | instskip(NEXT) | instid1(VALU_DEP_2)
	v_add_f64_e32 v[34:35], v[34:35], v[36:37]
	v_add_f64_e64 v[36:37], v[48:49], -v[20:21]
	s_delay_alu instid0(VALU_DEP_1) | instskip(NEXT) | instid1(VALU_DEP_1)
	v_add_f64_e32 v[40:41], v[36:37], v[34:35]
	v_mul_f64_e32 v[42:43], 0x3ff921fb54442d18, v[40:41]
	v_add_f64_e64 v[36:37], v[40:41], -v[36:37]
	s_delay_alu instid0(VALU_DEP_2) | instskip(NEXT) | instid1(VALU_DEP_2)
	v_fma_f64 v[44:45], v[40:41], s[6:7], -v[42:43]
	v_add_f64_e64 v[34:35], v[34:35], -v[36:37]
	s_delay_alu instid0(VALU_DEP_2) | instskip(NEXT) | instid1(VALU_DEP_1)
	v_fmac_f64_e32 v[44:45], 0x3c91a62633145c07, v[40:41]
	v_fmac_f64_e32 v[44:45], 0x3ff921fb54442d18, v[34:35]
	s_delay_alu instid0(VALU_DEP_1) | instskip(NEXT) | instid1(VALU_DEP_1)
	v_add_f64_e32 v[34:35], v[42:43], v[44:45]
	v_add_f64_e64 v[36:37], v[34:35], -v[42:43]
	s_delay_alu instid0(VALU_DEP_1)
	v_add_f64_e64 v[36:37], v[44:45], -v[36:37]
	s_and_not1_saveexec_b32 s0, s0
	s_cbranch_execnz .LBB253_428
	s_branch .LBB253_429
.LBB253_427:                            ;   in Loop: Header=BB253_233 Depth=1
	s_and_not1_saveexec_b32 s0, s0
	s_cbranch_execz .LBB253_429
.LBB253_428:                            ;   in Loop: Header=BB253_233 Depth=1
	v_mul_f64_e64 v[34:35], |v[4:5]|, s[8:9]
	s_delay_alu instid0(VALU_DEP_1) | instskip(NEXT) | instid1(VALU_DEP_1)
	v_rndne_f64_e32 v[38:39], v[34:35]
	v_fma_f64 v[34:35], v[38:39], s[10:11], |v[4:5]|
	v_mul_f64_e32 v[36:37], 0xbc91a62633145c00, v[38:39]
	s_delay_alu instid0(VALU_DEP_2) | instskip(NEXT) | instid1(VALU_DEP_2)
	v_fmamk_f64 v[44:45], v[38:39], 0xbc91a62633145c00, v[34:35]
	v_add_f64_e32 v[40:41], v[34:35], v[36:37]
	s_delay_alu instid0(VALU_DEP_1) | instskip(NEXT) | instid1(VALU_DEP_3)
	v_add_f64_e64 v[42:43], v[34:35], -v[40:41]
	v_add_f64_e64 v[34:35], v[40:41], -v[44:45]
	s_delay_alu instid0(VALU_DEP_2) | instskip(SKIP_1) | instid1(VALU_DEP_2)
	v_add_f64_e32 v[40:41], v[42:43], v[36:37]
	v_fmamk_f64 v[36:37], v[38:39], 0x3c91a62633145c00, v[36:37]
	v_add_f64_e32 v[34:35], v[34:35], v[40:41]
	s_delay_alu instid0(VALU_DEP_1) | instskip(NEXT) | instid1(VALU_DEP_1)
	v_add_f64_e64 v[36:37], v[34:35], -v[36:37]
	v_fmac_f64_e32 v[36:37], 0xb97b839a252049c0, v[38:39]
	v_cvt_i32_f64_e32 v38, v[38:39]
	s_delay_alu instid0(VALU_DEP_2) | instskip(NEXT) | instid1(VALU_DEP_1)
	v_add_f64_e32 v[34:35], v[44:45], v[36:37]
	v_add_f64_e64 v[40:41], v[34:35], -v[44:45]
	s_delay_alu instid0(VALU_DEP_1)
	v_add_f64_e64 v[36:37], v[36:37], -v[40:41]
.LBB253_429:                            ;   in Loop: Header=BB253_233 Depth=1
	s_or_b32 exec_lo, exec_lo, s0
	v_cmp_class_f64_e64 s0, v[4:5], 0x1f8
	v_mul_f64_e32 v[40:41], v[2:3], v[2:3]
	v_mul_f64_e32 v[42:43], v[34:35], v[34:35]
	s_delay_alu instid0(VALU_DEP_4) | instskip(SKIP_2) | instid1(VALU_DEP_3)
	v_dual_mul_f64 v[52:53], 0.5, v[32:33] :: v_dual_bitop2_b32 v4, 1, v38 bitop3:0x40
	v_dual_mul_f64 v[60:61], 0.5, v[36:37] :: v_dual_bitop2_b32 v21, 1, v30 bitop3:0x40
	v_lshlrev_b32_e32 v5, 30, v38
	v_cmp_eq_u32_e64 s1, 0, v4
	v_lshlrev_b32_e32 v4, 30, v30
	s_delay_alu instid0(VALU_DEP_4) | instskip(NEXT) | instid1(VALU_DEP_4)
	v_cmp_eq_u32_e32 vcc_lo, 0, v21
	v_dual_mul_f64 v[44:45], 0.5, v[40:41] :: v_dual_bitop2_b32 v5, v5, v31 bitop3:0x14
	v_mul_f64_e64 v[54:55], v[2:3], -v[40:41]
	v_fmamk_f64 v[58:59], v[40:41], 0x3de5e0b2f9a43bb8, v[26:27]
	v_mul_f64_e64 v[62:63], v[34:35], -v[42:43]
	v_fmamk_f64 v[66:67], v[42:43], 0x3de5e0b2f9a43bb8, v[26:27]
	s_delay_alu instid0(VALU_DEP_3) | instskip(NEXT) | instid1(VALU_DEP_1)
	v_fmaak_f64 v[58:59], v[40:41], v[58:59], 0x3ec71de3796cde01
	v_fmaak_f64 v[58:59], v[40:41], v[58:59], 0xbf2a01a019e83e5c
	s_delay_alu instid0(VALU_DEP_1) | instskip(SKIP_1) | instid1(VALU_DEP_2)
	v_fmaak_f64 v[58:59], v[40:41], v[58:59], 0x3f81111111110bb3
	v_add_f64_e64 v[48:49], -v[44:45], 1.0
	v_fmac_f64_e32 v[52:53], v[54:55], v[58:59]
	v_mul_f64_e32 v[58:59], v[40:41], v[40:41]
	s_delay_alu instid0(VALU_DEP_3) | instskip(NEXT) | instid1(VALU_DEP_3)
	v_add_f64_e64 v[56:57], -v[48:49], 1.0
	v_fma_f64 v[52:53], v[40:41], v[52:53], -v[32:33]
	s_delay_alu instid0(VALU_DEP_2) | instskip(SKIP_1) | instid1(VALU_DEP_3)
	v_add_f64_e64 v[44:45], v[56:57], -v[44:45]
	v_fmaak_f64 v[56:57], v[42:43], v[66:67], 0x3ec71de3796cde01
	v_fmac_f64_e32 v[52:53], 0xbfc5555555555555, v[54:55]
	s_delay_alu instid0(VALU_DEP_2) | instskip(NEXT) | instid1(VALU_DEP_1)
	v_fmaak_f64 v[56:57], v[42:43], v[56:57], 0xbf2a01a019e83e5c
	v_fmaak_f64 v[56:57], v[42:43], v[56:57], 0x3f81111111110bb3
	s_delay_alu instid0(VALU_DEP_1) | instskip(SKIP_2) | instid1(VALU_DEP_2)
	v_fmac_f64_e32 v[60:61], v[62:63], v[56:57]
	v_fmamk_f64 v[56:57], v[40:41], 0xbda907db46cc5e42, v[24:25]
	v_fma_f64 v[32:33], v[2:3], -v[32:33], v[44:45]
	v_fmaak_f64 v[44:45], v[40:41], v[56:57], 0xbe927e4fa17f65f6
	v_add_f64_e64 v[2:3], v[2:3], -v[52:53]
	v_fmamk_f64 v[56:57], v[42:43], 0xbda907db46cc5e42, v[24:25]
	s_delay_alu instid0(VALU_DEP_3) | instskip(NEXT) | instid1(VALU_DEP_1)
	v_fmaak_f64 v[44:45], v[40:41], v[44:45], 0x3efa01a019f4ec90
	v_fmaak_f64 v[44:45], v[40:41], v[44:45], 0xbf56c16c16c16967
	s_delay_alu instid0(VALU_DEP_1) | instskip(SKIP_2) | instid1(VALU_DEP_3)
	v_fmaak_f64 v[40:41], v[40:41], v[44:45], 0x3fa5555555555555
	v_fma_f64 v[60:61], v[42:43], v[60:61], -v[36:37]
	v_fmaak_f64 v[44:45], v[42:43], v[56:57], 0xbe927e4fa17f65f6
	v_fmac_f64_e32 v[32:33], v[58:59], v[40:41]
	s_delay_alu instid0(VALU_DEP_2) | instskip(SKIP_1) | instid1(VALU_DEP_2)
	v_fmaak_f64 v[40:41], v[42:43], v[44:45], 0x3efa01a019f4ec90
	v_xor_b32_e32 v3, 0x80000000, v3
	v_fmaak_f64 v[40:41], v[42:43], v[40:41], 0xbf56c16c16c16967
	s_delay_alu instid0(VALU_DEP_1) | instskip(SKIP_2) | instid1(VALU_DEP_1)
	v_fmaak_f64 v[40:41], v[42:43], v[40:41], 0x3fa5555555555555
	v_fmac_f64_e32 v[60:61], 0xbfc5555555555555, v[62:63]
	v_add_f64_e32 v[32:33], v[48:49], v[32:33]
	v_dual_mul_f64 v[46:47], 0.5, v[42:43] :: v_dual_cndmask_b32 v2, v2, v32, vcc_lo
	s_delay_alu instid0(VALU_DEP_1) | instskip(NEXT) | instid1(VALU_DEP_2)
	v_add_f64_e64 v[50:51], -v[46:47], 1.0
	v_dual_cndmask_b32 v3, v3, v33, vcc_lo :: v_dual_cndmask_b32 v32, 0, v2, s0
	s_delay_alu instid0(VALU_DEP_1) | instskip(NEXT) | instid1(VALU_DEP_1)
	v_bitop3_b32 v3, v3, v4, 0x80000000 bitop3:0x78
	v_cndmask_b32_e64 v33, 0x7ff80000, v3, s0
	s_delay_alu instid0(VALU_DEP_4) | instskip(NEXT) | instid1(VALU_DEP_1)
	v_add_f64_e64 v[64:65], -v[50:51], 1.0
	v_add_f64_e64 v[46:47], v[64:65], -v[46:47]
	v_mul_f64_e32 v[64:65], v[42:43], v[42:43]
	s_delay_alu instid0(VALU_DEP_2) | instskip(SKIP_1) | instid1(VALU_DEP_2)
	v_fma_f64 v[36:37], v[34:35], -v[36:37], v[46:47]
	v_add_f64_e64 v[34:35], v[34:35], -v[60:61]
	v_fmac_f64_e32 v[36:37], v[64:65], v[40:41]
	s_delay_alu instid0(VALU_DEP_1) | instskip(NEXT) | instid1(VALU_DEP_1)
	v_add_f64_e32 v[36:37], v[50:51], v[36:37]
	v_dual_cndmask_b32 v30, v37, v35, s1 :: v_dual_cndmask_b32 v21, v36, v34, s1
	s_delay_alu instid0(VALU_DEP_1) | instskip(NEXT) | instid1(VALU_DEP_2)
	v_bitop3_b32 v4, v30, v5, 0x80000000 bitop3:0x78
	v_cndmask_b32_e64 v30, 0, v21, s0
	s_delay_alu instid0(VALU_DEP_2)
	v_cndmask_b32_e64 v31, 0x7ff80000, v4, s0
.LBB253_430:                            ;   in Loop: Header=BB253_233 Depth=1
	s_or_b32 exec_lo, exec_lo, s2
                                        ; implicit-def: $vgpr2_vgpr3
.LBB253_431:                            ;   in Loop: Header=BB253_233 Depth=1
	s_and_not1_saveexec_b32 s1, s24
	s_cbranch_execz .LBB253_433
; %bb.432:                              ;   in Loop: Header=BB253_233 Depth=1
	v_mul_f64_e32 v[4:5], 0xbff71547652b82fe, v[2:3]
	v_cmp_ngt_f64_e32 vcc_lo, 0xc0900000, v[2:3]
	v_cmp_nlt_f64_e64 s0, 0x4090cc00, v[2:3]
	s_delay_alu instid0(VALU_DEP_3) | instskip(NEXT) | instid1(VALU_DEP_1)
	v_rndne_f64_e32 v[4:5], v[4:5]
	v_fma_f64 v[32:33], v[4:5], s[16:17], -v[2:3]
	v_cvt_i32_f64_e32 v21, v[4:5]
	s_delay_alu instid0(VALU_DEP_2) | instskip(NEXT) | instid1(VALU_DEP_1)
	v_fmac_f64_e32 v[32:33], 0xbc7abc9e3b39803f, v[4:5]
	v_fmamk_f64 v[34:35], v[32:33], 0x3e5ade156a5dcb37, v[22:23]
	s_delay_alu instid0(VALU_DEP_1) | instskip(NEXT) | instid1(VALU_DEP_1)
	v_fmaak_f64 v[34:35], v[32:33], v[34:35], 0x3ec71dee623fde64
	v_fmaak_f64 v[34:35], v[32:33], v[34:35], 0x3efa01997c89e6b0
	s_delay_alu instid0(VALU_DEP_1) | instskip(NEXT) | instid1(VALU_DEP_1)
	v_fmaak_f64 v[34:35], v[32:33], v[34:35], 0x3f2a01a014761f6e
	v_fmaak_f64 v[34:35], v[32:33], v[34:35], 0x3f56c16c1852b7b0
	;; [unrolled: 3-line block ×4, first 2 shown]
	s_delay_alu instid0(VALU_DEP_1) | instskip(NEXT) | instid1(VALU_DEP_1)
	v_fma_f64 v[34:35], v[32:33], v[34:35], 1.0
	v_fma_f64 v[4:5], v[32:33], v[34:35], 1.0
	s_delay_alu instid0(VALU_DEP_1) | instskip(NEXT) | instid1(VALU_DEP_1)
	v_ldexp_f64 v[4:5], v[4:5], v21
	v_cndmask_b32_e32 v5, 0x7ff00000, v5, vcc_lo
	s_and_b32 vcc_lo, s0, vcc_lo
	s_delay_alu instid0(VALU_DEP_1) | instid1(SALU_CYCLE_1)
	v_dual_cndmask_b32 v32, 0, v4, vcc_lo :: v_dual_cndmask_b32 v33, 0, v5, s0
.LBB253_433:                            ;   in Loop: Header=BB253_233 Depth=1
	s_or_b32 exec_lo, exec_lo, s1
	s_delay_alu instid0(VALU_DEP_1) | instskip(SKIP_1) | instid1(VALU_DEP_1)
	v_add_f64_e32 v[30:31], s[14:15], v[30:31]
	s_mov_b32 s0, exec_lo
	v_xor_b32_e32 v3, 0x80000000, v31
	s_delay_alu instid0(VALU_DEP_3) | instskip(NEXT) | instid1(VALU_DEP_1)
	v_add_f64_e32 v[32:33], s[12:13], v[32:33]
	v_cmp_gt_f64_e32 vcc_lo, 0, v[32:33]
	v_xor_b32_e32 v2, 0x80000000, v33
	s_delay_alu instid0(VALU_DEP_1) | instskip(SKIP_3) | instid1(VALU_DEP_1)
	v_cndmask_b32_e32 v35, v33, v2, vcc_lo
	v_cmp_gt_f64_e32 vcc_lo, 0, v[30:31]
	v_dual_cndmask_b32 v37, v31, v3 :: v_dual_mov_b32 v34, v32
	v_mov_b32_e32 v36, v30
                                        ; implicit-def: $vgpr4_vgpr5
	v_cmpx_ge_f64_e32 v[34:35], v[36:37]
	s_xor_b32 s1, exec_lo, s0
	s_cbranch_execz .LBB253_439
; %bb.434:                              ;   in Loop: Header=BB253_233 Depth=1
	v_cmp_neq_f64_e32 vcc_lo, 0, v[32:33]
	v_cmp_neq_f64_e64 s0, 0, v[30:31]
                                        ; implicit-def: $vgpr4_vgpr5
	s_or_b32 s0, vcc_lo, s0
	s_delay_alu instid0(SALU_CYCLE_1) | instskip(NEXT) | instid1(SALU_CYCLE_1)
	s_and_saveexec_b32 s2, s0
	s_xor_b32 s0, exec_lo, s2
	s_cbranch_execz .LBB253_436
; %bb.435:                              ;   in Loop: Header=BB253_233 Depth=1
	v_div_scale_f64 v[2:3], null, v[32:33], v[32:33], v[30:31]
	v_div_scale_f64 v[36:37], vcc_lo, v[30:31], v[32:33], v[30:31]
	s_delay_alu instid0(VALU_DEP_2) | instskip(SKIP_1) | instid1(TRANS32_DEP_1)
	v_rcp_f64_e32 v[4:5], v[2:3]
	v_nop
	v_fma_f64 v[34:35], -v[2:3], v[4:5], 1.0
	s_delay_alu instid0(VALU_DEP_1) | instskip(NEXT) | instid1(VALU_DEP_1)
	v_fmac_f64_e32 v[4:5], v[4:5], v[34:35]
	v_fma_f64 v[34:35], -v[2:3], v[4:5], 1.0
	s_delay_alu instid0(VALU_DEP_1) | instskip(NEXT) | instid1(VALU_DEP_1)
	v_fmac_f64_e32 v[4:5], v[4:5], v[34:35]
	v_mul_f64_e32 v[34:35], v[36:37], v[4:5]
	s_delay_alu instid0(VALU_DEP_1) | instskip(NEXT) | instid1(VALU_DEP_1)
	v_fma_f64 v[2:3], -v[2:3], v[34:35], v[36:37]
	v_div_fmas_f64 v[2:3], v[2:3], v[4:5], v[34:35]
	s_delay_alu instid0(VALU_DEP_1) | instskip(NEXT) | instid1(VALU_DEP_1)
	v_div_fixup_f64 v[2:3], v[2:3], v[32:33], v[30:31]
	v_fmac_f64_e32 v[32:33], v[30:31], v[2:3]
	s_delay_alu instid0(VALU_DEP_1) | instskip(SKIP_1) | instid1(VALU_DEP_2)
	v_div_scale_f64 v[4:5], null, v[32:33], v[32:33], 1.0
	v_div_scale_f64 v[36:37], vcc_lo, 1.0, v[32:33], 1.0
	v_rcp_f64_e32 v[30:31], v[4:5]
	v_nop
	s_delay_alu instid0(TRANS32_DEP_1) | instskip(NEXT) | instid1(VALU_DEP_1)
	v_fma_f64 v[34:35], -v[4:5], v[30:31], 1.0
	v_fmac_f64_e32 v[30:31], v[30:31], v[34:35]
	s_delay_alu instid0(VALU_DEP_1) | instskip(NEXT) | instid1(VALU_DEP_1)
	v_fma_f64 v[34:35], -v[4:5], v[30:31], 1.0
	v_fmac_f64_e32 v[30:31], v[30:31], v[34:35]
	s_delay_alu instid0(VALU_DEP_1) | instskip(NEXT) | instid1(VALU_DEP_1)
	v_mul_f64_e32 v[34:35], v[36:37], v[30:31]
	v_fma_f64 v[4:5], -v[4:5], v[34:35], v[36:37]
                                        ; implicit-def: $vgpr36_vgpr37
	s_delay_alu instid0(VALU_DEP_1) | instskip(SKIP_1) | instid1(VALU_DEP_2)
	v_div_fmas_f64 v[4:5], v[4:5], v[30:31], v[34:35]
	v_fma_f64 v[30:31], s[14:15], v[2:3], s[12:13]
                                        ; implicit-def: $vgpr34_vgpr35
	v_div_fixup_f64 v[4:5], v[4:5], v[32:33], 1.0
	v_fma_f64 v[32:33], -s[12:13], v[2:3], s[14:15]
	s_delay_alu instid0(VALU_DEP_2) | instskip(NEXT) | instid1(VALU_DEP_2)
	v_mul_f64_e32 v[2:3], v[30:31], v[4:5]
	v_mul_f64_e32 v[4:5], v[32:33], v[4:5]
.LBB253_436:                            ;   in Loop: Header=BB253_233 Depth=1
	s_and_not1_saveexec_b32 s2, s0
	s_cbranch_execz .LBB253_438
; %bb.437:                              ;   in Loop: Header=BB253_233 Depth=1
	v_div_scale_f64 v[2:3], null, v[34:35], v[34:35], s[12:13]
	v_div_scale_f64 v[4:5], null, v[36:37], v[36:37], s[14:15]
	v_div_scale_f64 v[42:43], vcc_lo, s[12:13], v[34:35], s[12:13]
	s_delay_alu instid0(VALU_DEP_3) | instskip(NEXT) | instid1(VALU_DEP_2)
	v_rcp_f64_e32 v[30:31], v[2:3]
	v_rcp_f64_e32 v[32:33], v[4:5]
	s_delay_alu instid0(TRANS32_DEP_2) | instskip(NEXT) | instid1(TRANS32_DEP_1)
	v_fma_f64 v[38:39], -v[2:3], v[30:31], 1.0
	v_fma_f64 v[40:41], -v[4:5], v[32:33], 1.0
	s_delay_alu instid0(VALU_DEP_2) | instskip(NEXT) | instid1(VALU_DEP_2)
	v_fmac_f64_e32 v[30:31], v[30:31], v[38:39]
	v_fmac_f64_e32 v[32:33], v[32:33], v[40:41]
	s_delay_alu instid0(VALU_DEP_2) | instskip(NEXT) | instid1(VALU_DEP_2)
	v_fma_f64 v[38:39], -v[2:3], v[30:31], 1.0
	v_fma_f64 v[40:41], -v[4:5], v[32:33], 1.0
	s_delay_alu instid0(VALU_DEP_2) | instskip(SKIP_1) | instid1(VALU_DEP_3)
	v_fmac_f64_e32 v[30:31], v[30:31], v[38:39]
	v_div_scale_f64 v[38:39], s0, s[14:15], v[36:37], s[14:15]
	v_fmac_f64_e32 v[32:33], v[32:33], v[40:41]
	s_delay_alu instid0(VALU_DEP_3) | instskip(NEXT) | instid1(VALU_DEP_2)
	v_mul_f64_e32 v[40:41], v[42:43], v[30:31]
	v_mul_f64_e32 v[44:45], v[38:39], v[32:33]
	s_delay_alu instid0(VALU_DEP_2) | instskip(NEXT) | instid1(VALU_DEP_2)
	v_fma_f64 v[2:3], -v[2:3], v[40:41], v[42:43]
	v_fma_f64 v[4:5], -v[4:5], v[44:45], v[38:39]
	s_delay_alu instid0(VALU_DEP_2) | instskip(SKIP_1) | instid1(VALU_DEP_2)
	v_div_fmas_f64 v[2:3], v[2:3], v[30:31], v[40:41]
	s_mov_b32 vcc_lo, s0
	v_div_fmas_f64 v[4:5], v[4:5], v[32:33], v[44:45]
	s_delay_alu instid0(VALU_DEP_2) | instskip(NEXT) | instid1(VALU_DEP_2)
	v_div_fixup_f64 v[2:3], v[2:3], v[34:35], s[12:13]
	v_div_fixup_f64 v[4:5], v[4:5], v[36:37], s[14:15]
.LBB253_438:                            ;   in Loop: Header=BB253_233 Depth=1
	s_or_b32 exec_lo, exec_lo, s2
                                        ; implicit-def: $vgpr30_vgpr31
                                        ; implicit-def: $vgpr32_vgpr33
.LBB253_439:                            ;   in Loop: Header=BB253_233 Depth=1
	s_and_not1_saveexec_b32 s0, s1
	s_cbranch_execz .LBB253_232
; %bb.440:                              ;   in Loop: Header=BB253_233 Depth=1
	v_div_scale_f64 v[2:3], null, v[30:31], v[30:31], v[32:33]
	v_div_scale_f64 v[36:37], vcc_lo, v[32:33], v[30:31], v[32:33]
	s_delay_alu instid0(VALU_DEP_2) | instskip(SKIP_1) | instid1(TRANS32_DEP_1)
	v_rcp_f64_e32 v[4:5], v[2:3]
	v_nop
	v_fma_f64 v[34:35], -v[2:3], v[4:5], 1.0
	s_delay_alu instid0(VALU_DEP_1) | instskip(NEXT) | instid1(VALU_DEP_1)
	v_fmac_f64_e32 v[4:5], v[4:5], v[34:35]
	v_fma_f64 v[34:35], -v[2:3], v[4:5], 1.0
	s_delay_alu instid0(VALU_DEP_1) | instskip(NEXT) | instid1(VALU_DEP_1)
	v_fmac_f64_e32 v[4:5], v[4:5], v[34:35]
	v_mul_f64_e32 v[34:35], v[36:37], v[4:5]
	s_delay_alu instid0(VALU_DEP_1) | instskip(NEXT) | instid1(VALU_DEP_1)
	v_fma_f64 v[2:3], -v[2:3], v[34:35], v[36:37]
	v_div_fmas_f64 v[2:3], v[2:3], v[4:5], v[34:35]
	s_delay_alu instid0(VALU_DEP_1) | instskip(NEXT) | instid1(VALU_DEP_1)
	v_div_fixup_f64 v[2:3], v[2:3], v[30:31], v[32:33]
	v_fmac_f64_e32 v[30:31], v[32:33], v[2:3]
	s_delay_alu instid0(VALU_DEP_1) | instskip(SKIP_1) | instid1(VALU_DEP_2)
	v_div_scale_f64 v[4:5], null, v[30:31], v[30:31], 1.0
	v_div_scale_f64 v[36:37], vcc_lo, 1.0, v[30:31], 1.0
	v_rcp_f64_e32 v[32:33], v[4:5]
	v_nop
	s_delay_alu instid0(TRANS32_DEP_1) | instskip(NEXT) | instid1(VALU_DEP_1)
	v_fma_f64 v[34:35], -v[4:5], v[32:33], 1.0
	v_fmac_f64_e32 v[32:33], v[32:33], v[34:35]
	s_delay_alu instid0(VALU_DEP_1) | instskip(NEXT) | instid1(VALU_DEP_1)
	v_fma_f64 v[34:35], -v[4:5], v[32:33], 1.0
	v_fmac_f64_e32 v[32:33], v[32:33], v[34:35]
	s_delay_alu instid0(VALU_DEP_1) | instskip(NEXT) | instid1(VALU_DEP_1)
	v_mul_f64_e32 v[34:35], v[36:37], v[32:33]
	v_fma_f64 v[4:5], -v[4:5], v[34:35], v[36:37]
	s_delay_alu instid0(VALU_DEP_1) | instskip(SKIP_1) | instid1(VALU_DEP_2)
	v_div_fmas_f64 v[4:5], v[4:5], v[32:33], v[34:35]
	v_fma_f64 v[32:33], s[12:13], v[2:3], s[14:15]
	v_div_fixup_f64 v[4:5], v[4:5], v[30:31], 1.0
	v_fma_f64 v[30:31], s[14:15], v[2:3], -s[12:13]
	s_delay_alu instid0(VALU_DEP_2) | instskip(NEXT) | instid1(VALU_DEP_2)
	v_mul_f64_e32 v[2:3], v[32:33], v[4:5]
	v_mul_f64_e32 v[4:5], v[30:31], v[4:5]
	s_branch .LBB253_232
.LBB253_441:
	s_sendmsg sendmsg(MSG_DEALLOC_VGPRS)
	s_endpgm
	.section	.rodata,"a",@progbits
	.p2align	6, 0x0
	.amdhsa_kernel _ZN2at6native12_GLOBAL__N_125multi_tensor_apply_kernelINS1_18TensorListMetadataILi1EEENS1_14UnaryOpFunctorIN3c107complexIdEELi1ELi1ELi0EEEJNS0_7SigmoidIS8_EEEEEvT_T0_DpT1_
		.amdhsa_group_segment_fixed_size 0
		.amdhsa_private_segment_fixed_size 0
		.amdhsa_kernarg_size 3648
		.amdhsa_user_sgpr_count 2
		.amdhsa_user_sgpr_dispatch_ptr 0
		.amdhsa_user_sgpr_queue_ptr 0
		.amdhsa_user_sgpr_kernarg_segment_ptr 1
		.amdhsa_user_sgpr_dispatch_id 0
		.amdhsa_user_sgpr_kernarg_preload_length 0
		.amdhsa_user_sgpr_kernarg_preload_offset 0
		.amdhsa_user_sgpr_private_segment_size 0
		.amdhsa_wavefront_size32 1
		.amdhsa_uses_dynamic_stack 0
		.amdhsa_enable_private_segment 0
		.amdhsa_system_sgpr_workgroup_id_x 1
		.amdhsa_system_sgpr_workgroup_id_y 0
		.amdhsa_system_sgpr_workgroup_id_z 0
		.amdhsa_system_sgpr_workgroup_info 0
		.amdhsa_system_vgpr_workitem_id 0
		.amdhsa_next_free_vgpr 98
		.amdhsa_next_free_sgpr 44
		.amdhsa_named_barrier_count 0
		.amdhsa_reserve_vcc 1
		.amdhsa_float_round_mode_32 0
		.amdhsa_float_round_mode_16_64 0
		.amdhsa_float_denorm_mode_32 3
		.amdhsa_float_denorm_mode_16_64 3
		.amdhsa_fp16_overflow 0
		.amdhsa_memory_ordered 1
		.amdhsa_forward_progress 1
		.amdhsa_inst_pref_size 255
		.amdhsa_round_robin_scheduling 0
		.amdhsa_exception_fp_ieee_invalid_op 0
		.amdhsa_exception_fp_denorm_src 0
		.amdhsa_exception_fp_ieee_div_zero 0
		.amdhsa_exception_fp_ieee_overflow 0
		.amdhsa_exception_fp_ieee_underflow 0
		.amdhsa_exception_fp_ieee_inexact 0
		.amdhsa_exception_int_div_zero 0
	.end_amdhsa_kernel
	.section	.text._ZN2at6native12_GLOBAL__N_125multi_tensor_apply_kernelINS1_18TensorListMetadataILi1EEENS1_14UnaryOpFunctorIN3c107complexIdEELi1ELi1ELi0EEEJNS0_7SigmoidIS8_EEEEEvT_T0_DpT1_,"axG",@progbits,_ZN2at6native12_GLOBAL__N_125multi_tensor_apply_kernelINS1_18TensorListMetadataILi1EEENS1_14UnaryOpFunctorIN3c107complexIdEELi1ELi1ELi0EEEJNS0_7SigmoidIS8_EEEEEvT_T0_DpT1_,comdat
.Lfunc_end253:
	.size	_ZN2at6native12_GLOBAL__N_125multi_tensor_apply_kernelINS1_18TensorListMetadataILi1EEENS1_14UnaryOpFunctorIN3c107complexIdEELi1ELi1ELi0EEEJNS0_7SigmoidIS8_EEEEEvT_T0_DpT1_, .Lfunc_end253-_ZN2at6native12_GLOBAL__N_125multi_tensor_apply_kernelINS1_18TensorListMetadataILi1EEENS1_14UnaryOpFunctorIN3c107complexIdEELi1ELi1ELi0EEEJNS0_7SigmoidIS8_EEEEEvT_T0_DpT1_
                                        ; -- End function
	.set _ZN2at6native12_GLOBAL__N_125multi_tensor_apply_kernelINS1_18TensorListMetadataILi1EEENS1_14UnaryOpFunctorIN3c107complexIdEELi1ELi1ELi0EEEJNS0_7SigmoidIS8_EEEEEvT_T0_DpT1_.num_vgpr, 98
	.set _ZN2at6native12_GLOBAL__N_125multi_tensor_apply_kernelINS1_18TensorListMetadataILi1EEENS1_14UnaryOpFunctorIN3c107complexIdEELi1ELi1ELi0EEEJNS0_7SigmoidIS8_EEEEEvT_T0_DpT1_.num_agpr, 0
	.set _ZN2at6native12_GLOBAL__N_125multi_tensor_apply_kernelINS1_18TensorListMetadataILi1EEENS1_14UnaryOpFunctorIN3c107complexIdEELi1ELi1ELi0EEEJNS0_7SigmoidIS8_EEEEEvT_T0_DpT1_.numbered_sgpr, 44
	.set _ZN2at6native12_GLOBAL__N_125multi_tensor_apply_kernelINS1_18TensorListMetadataILi1EEENS1_14UnaryOpFunctorIN3c107complexIdEELi1ELi1ELi0EEEJNS0_7SigmoidIS8_EEEEEvT_T0_DpT1_.num_named_barrier, 0
	.set _ZN2at6native12_GLOBAL__N_125multi_tensor_apply_kernelINS1_18TensorListMetadataILi1EEENS1_14UnaryOpFunctorIN3c107complexIdEELi1ELi1ELi0EEEJNS0_7SigmoidIS8_EEEEEvT_T0_DpT1_.private_seg_size, 0
	.set _ZN2at6native12_GLOBAL__N_125multi_tensor_apply_kernelINS1_18TensorListMetadataILi1EEENS1_14UnaryOpFunctorIN3c107complexIdEELi1ELi1ELi0EEEJNS0_7SigmoidIS8_EEEEEvT_T0_DpT1_.uses_vcc, 1
	.set _ZN2at6native12_GLOBAL__N_125multi_tensor_apply_kernelINS1_18TensorListMetadataILi1EEENS1_14UnaryOpFunctorIN3c107complexIdEELi1ELi1ELi0EEEJNS0_7SigmoidIS8_EEEEEvT_T0_DpT1_.uses_flat_scratch, 0
	.set _ZN2at6native12_GLOBAL__N_125multi_tensor_apply_kernelINS1_18TensorListMetadataILi1EEENS1_14UnaryOpFunctorIN3c107complexIdEELi1ELi1ELi0EEEJNS0_7SigmoidIS8_EEEEEvT_T0_DpT1_.has_dyn_sized_stack, 0
	.set _ZN2at6native12_GLOBAL__N_125multi_tensor_apply_kernelINS1_18TensorListMetadataILi1EEENS1_14UnaryOpFunctorIN3c107complexIdEELi1ELi1ELi0EEEJNS0_7SigmoidIS8_EEEEEvT_T0_DpT1_.has_recursion, 0
	.set _ZN2at6native12_GLOBAL__N_125multi_tensor_apply_kernelINS1_18TensorListMetadataILi1EEENS1_14UnaryOpFunctorIN3c107complexIdEELi1ELi1ELi0EEEJNS0_7SigmoidIS8_EEEEEvT_T0_DpT1_.has_indirect_call, 0
	.section	.AMDGPU.csdata,"",@progbits
; Kernel info:
; codeLenInByte = 69648
; TotalNumSgprs: 46
; NumVgprs: 98
; ScratchSize: 0
; MemoryBound: 1
; FloatMode: 240
; IeeeMode: 1
; LDSByteSize: 0 bytes/workgroup (compile time only)
; SGPRBlocks: 0
; VGPRBlocks: 6
; NumSGPRsForWavesPerEU: 46
; NumVGPRsForWavesPerEU: 98
; NamedBarCnt: 0
; Occupancy: 9
; WaveLimiterHint : 0
; COMPUTE_PGM_RSRC2:SCRATCH_EN: 0
; COMPUTE_PGM_RSRC2:USER_SGPR: 2
; COMPUTE_PGM_RSRC2:TRAP_HANDLER: 0
; COMPUTE_PGM_RSRC2:TGID_X_EN: 1
; COMPUTE_PGM_RSRC2:TGID_Y_EN: 0
; COMPUTE_PGM_RSRC2:TGID_Z_EN: 0
; COMPUTE_PGM_RSRC2:TIDIG_COMP_CNT: 0
	.section	.text._ZN2at6native12_GLOBAL__N_125multi_tensor_apply_kernelINS1_18TensorListMetadataILi1EEENS1_14UnaryOpFunctorIN3c107complexIfEELi1ELi1ELi0EEEJNS0_7SigmoidIS8_EEEEEvT_T0_DpT1_,"axG",@progbits,_ZN2at6native12_GLOBAL__N_125multi_tensor_apply_kernelINS1_18TensorListMetadataILi1EEENS1_14UnaryOpFunctorIN3c107complexIfEELi1ELi1ELi0EEEJNS0_7SigmoidIS8_EEEEEvT_T0_DpT1_,comdat
	.globl	_ZN2at6native12_GLOBAL__N_125multi_tensor_apply_kernelINS1_18TensorListMetadataILi1EEENS1_14UnaryOpFunctorIN3c107complexIfEELi1ELi1ELi0EEEJNS0_7SigmoidIS8_EEEEEvT_T0_DpT1_ ; -- Begin function _ZN2at6native12_GLOBAL__N_125multi_tensor_apply_kernelINS1_18TensorListMetadataILi1EEENS1_14UnaryOpFunctorIN3c107complexIfEELi1ELi1ELi0EEEJNS0_7SigmoidIS8_EEEEEvT_T0_DpT1_
	.p2align	8
	.type	_ZN2at6native12_GLOBAL__N_125multi_tensor_apply_kernelINS1_18TensorListMetadataILi1EEENS1_14UnaryOpFunctorIN3c107complexIfEELi1ELi1ELi0EEEJNS0_7SigmoidIS8_EEEEEvT_T0_DpT1_,@function
_ZN2at6native12_GLOBAL__N_125multi_tensor_apply_kernelINS1_18TensorListMetadataILi1EEENS1_14UnaryOpFunctorIN3c107complexIfEELi1ELi1ELi0EEEJNS0_7SigmoidIS8_EEEEEvT_T0_DpT1_: ; @_ZN2at6native12_GLOBAL__N_125multi_tensor_apply_kernelINS1_18TensorListMetadataILi1EEENS1_14UnaryOpFunctorIN3c107complexIfEELi1ELi1ELi0EEEJNS0_7SigmoidIS8_EEEEEvT_T0_DpT1_
; %bb.0:
	s_bfe_u32 s2, ttmp6, 0x4000c
	s_and_b32 s3, ttmp6, 15
	s_add_co_i32 s2, s2, 1
	s_getreg_b32 s4, hwreg(HW_REG_IB_STS2, 6, 4)
	s_mul_i32 s2, ttmp9, s2
	s_delay_alu instid0(SALU_CYCLE_1)
	s_add_co_i32 s3, s3, s2
	s_cmp_eq_u32 s4, 0
	s_cselect_b32 s2, ttmp9, s3
	s_mov_b32 s3, 0
	s_load_u8 s12, s[0:1], s2 offset:0x6e0
	s_add_nc_u64 s[4:5], s[0:1], s[2:3]
	s_mul_u64 s[6:7], s[2:3], 3
	s_delay_alu instid0(SALU_CYCLE_1)
	s_add_nc_u64 s[4:5], s[4:5], s[6:7]
	s_load_b32 s6, s[4:5], 0x820
	s_wait_kmcnt 0x0
	s_clause 0x2
	s_load_b64 s[10:11], s[0:1], s12 offset:0x0 scale_offset
	s_load_b64 s[14:15], s[0:1], s12 offset:0x370 scale_offset
	s_load_b64 s[8:9], s[0:1], 0xd30
	s_ashr_i32 s7, s6, 31
	s_wait_kmcnt 0x0
	s_and_b64 s[4:5], s[10:11], 31
	s_and_b32 s2, s14, 3
	s_lshl_b64 s[12:13], s[6:7], 19
	s_or_b64 s[2:3], s[4:5], s[2:3]
	s_lshl_b64 s[4:5], s[6:7], 16
	s_cmp_eq_u64 s[2:3], 0
	s_sub_nc_u64 s[14:15], s[14:15], s[4:5]
	s_cbranch_scc1 .LBB254_229
; %bb.1:
	v_cmp_lt_i64_e64 s2, s[14:15], 1
	s_and_b32 vcc_lo, exec_lo, s2
	s_cbranch_vccnz .LBB254_228
; %bb.2:
	s_load_b32 s2, s[0:1], 0xd44
	v_min_i64 v[2:3], 0x10000, s[14:15]
	v_min_u64 v[6:7], 0x10000, s[14:15]
	v_dual_mov_b32 v5, 0 :: v_dual_lshlrev_b32 v4, 3, v0
	s_mov_b32 s3, 0
	s_add_nc_u64 s[4:5], s[10:11], s[12:13]
	s_mov_b32 s7, s3
	s_delay_alu instid0(VALU_DEP_1)
	v_mov_b32_e32 v1, v5
	v_add_nc_u64_e32 v[10:11], s[4:5], v[4:5]
	s_mov_b32 s27, s3
	s_mov_b32 s16, s9
	;; [unrolled: 1-line block ×6, first 2 shown]
	s_mov_b64 s[28:29], 0
	s_mov_b32 s30, 0x7fffff
	s_mov_b32 s31, 0xb94c1982
	;; [unrolled: 1-line block ×3, first 2 shown]
	s_wait_kmcnt 0x0
	s_and_b32 s2, s2, 0xffff
	s_mov_b32 s34, 0x7f000000
	v_add_nc_u64_e32 v[8:9], s[2:3], v[0:1]
	s_lshl_b32 s6, s2, 1
	s_mul_i32 s26, s2, 3
	s_lshl_b32 s18, s2, 2
	s_lshl_b32 s20, s2, 5
	s_mul_u64 s[24:25], s[2:3], 24
	s_lshl_b32 s22, s2, 4
	v_lshlrev_b32_e32 v4, 3, v8
	v_add_nc_u64_e32 v[12:13], s[26:27], v[0:1]
	v_add_nc_u64_e32 v[14:15], s[6:7], v[0:1]
	s_mov_b64 s[26:27], 0xfe5163ab
	s_delay_alu instid0(VALU_DEP_3)
	v_add_nc_u64_e32 v[16:17], s[4:5], v[4:5]
	s_branch .LBB254_4
.LBB254_3:                              ;   in Loop: Header=BB254_4 Depth=1
	s_wait_xcnt 0x0
	s_or_b32 exec_lo, exec_lo, s2
	s_add_nc_u64 s[28:29], s[28:29], s[18:19]
	v_add_nc_u64_e32 v[10:11], s[20:21], v[10:11]
	v_cmp_ge_i64_e32 vcc_lo, s[28:29], v[2:3]
	v_add_nc_u64_e32 v[16:17], s[20:21], v[16:17]
	s_cbranch_vccnz .LBB254_228
.LBB254_4:                              ; =>This Inner Loop Header: Depth=1
	v_add_nc_u64_e32 v[18:19], s[28:29], v[0:1]
	v_dual_mov_b32 v24, 0 :: v_dual_mov_b32 v25, 0
	s_delay_alu instid0(VALU_DEP_2)
	v_cmp_lt_u64_e64 s2, v[18:19], v[6:7]
	s_and_saveexec_b32 s3, s2
	s_cbranch_execz .LBB254_6
; %bb.5:                                ;   in Loop: Header=BB254_4 Depth=1
	global_load_b64 v[24:25], v[10:11], off
.LBB254_6:                              ;   in Loop: Header=BB254_4 Depth=1
	s_wait_xcnt 0x0
	s_or_b32 exec_lo, exec_lo, s3
	v_add_nc_u64_e32 v[18:19], s[28:29], v[8:9]
	v_dual_mov_b32 v26, 0 :: v_dual_mov_b32 v28, 0
	v_mov_b32_e32 v29, 0
	s_delay_alu instid0(VALU_DEP_3)
	v_cmp_lt_u64_e64 s3, v[18:19], v[6:7]
	s_and_saveexec_b32 s4, s3
	s_cbranch_execz .LBB254_8
; %bb.7:                                ;   in Loop: Header=BB254_4 Depth=1
	global_load_b64 v[28:29], v[16:17], off
.LBB254_8:                              ;   in Loop: Header=BB254_4 Depth=1
	s_wait_xcnt 0x0
	s_or_b32 exec_lo, exec_lo, s4
	v_add_nc_u64_e32 v[18:19], s[28:29], v[14:15]
	v_mov_b32_e32 v27, 0
	s_delay_alu instid0(VALU_DEP_2)
	v_cmp_lt_u64_e64 s4, v[18:19], v[6:7]
	v_add_nc_u64_e32 v[18:19], s[22:23], v[10:11]
	s_and_saveexec_b32 s5, s4
	s_cbranch_execz .LBB254_10
; %bb.9:                                ;   in Loop: Header=BB254_4 Depth=1
	global_load_b64 v[26:27], v[18:19], off
.LBB254_10:                             ;   in Loop: Header=BB254_4 Depth=1
	s_wait_xcnt 0x0
	s_or_b32 exec_lo, exec_lo, s5
	v_add_nc_u64_e32 v[20:21], s[28:29], v[12:13]
	v_mov_b32_e32 v22, 0
	s_delay_alu instid0(VALU_DEP_1) | instskip(NEXT) | instid1(VALU_DEP_3)
	v_mov_b32_e32 v23, v22
	v_cmp_lt_u64_e64 s5, v[20:21], v[6:7]
	v_add_nc_u64_e32 v[20:21], s[24:25], v[10:11]
	s_and_saveexec_b32 s6, s5
	s_cbranch_execz .LBB254_12
; %bb.11:                               ;   in Loop: Header=BB254_4 Depth=1
	global_load_b64 v[22:23], v[20:21], off
.LBB254_12:                             ;   in Loop: Header=BB254_4 Depth=1
	s_wait_xcnt 0x0
	s_or_b32 exec_lo, exec_lo, s6
	s_wait_loadcnt 0x0
	v_and_b32_e32 v32, 0x7fffffff, v25
	v_xor_b32_e32 v31, 0x80000000, v25
	s_mov_b32 s6, exec_lo
	s_delay_alu instid0(VALU_DEP_2)
	v_cmpx_ne_u32_e32 0, v32
	s_xor_b32 s35, exec_lo, s6
	s_cbranch_execz .LBB254_54
; %bb.13:                               ;   in Loop: Header=BB254_4 Depth=1
	v_and_b32_e32 v33, 0x7fffffff, v24
	s_mov_b32 s6, exec_lo
	s_delay_alu instid0(VALU_DEP_1)
	v_cmpx_ne_u32_e32 0, v33
	s_xor_b32 s36, exec_lo, s6
	s_cbranch_execz .LBB254_43
; %bb.14:                               ;   in Loop: Header=BB254_4 Depth=1
	v_xor_b32_e32 v4, 0x80000000, v24
	s_mov_b32 s6, exec_lo
	v_cmpx_gt_u32_e32 0x7f800000, v32
	s_xor_b32 s37, exec_lo, s6
	s_cbranch_execz .LBB254_36
; %bb.15:                               ;   in Loop: Header=BB254_4 Depth=1
	v_add_nc_u32_e32 v4, 0xbd4e8de8, v4
	s_mov_b32 s6, exec_lo
	s_delay_alu instid0(VALU_DEP_1)
	v_cmpx_lt_u32_e32 0x8e8e5c, v4
	s_xor_b32 s38, exec_lo, s6
	s_cbranch_execz .LBB254_25
; %bb.16:                               ;   in Loop: Header=BB254_4 Depth=1
	v_cmp_ngt_f32_e64 s39, 0x48000000, |v25|
                                        ; implicit-def: $vgpr33
                                        ; implicit-def: $vgpr30
	s_and_saveexec_b32 s6, s39
	s_delay_alu instid0(SALU_CYCLE_1)
	s_xor_b32 s40, exec_lo, s6
	s_cbranch_execz .LBB254_18
; %bb.17:                               ;   in Loop: Header=BB254_4 Depth=1
	v_and_or_b32 v4, v32, s30, 0x800000
	v_dual_mov_b32 v45, v5 :: v_dual_lshrrev_b32 v30, 23, v32
	v_mov_b32_e32 v47, v5
	s_delay_alu instid0(VALU_DEP_3) | instskip(NEXT) | instid1(VALU_DEP_3)
	v_mul_u64_e32 v[34:35], s[26:27], v[4:5]
	v_dual_mov_b32 v37, v5 :: v_dual_add_nc_u32 v30, 0xffffff88, v30
	s_delay_alu instid0(VALU_DEP_1) | instskip(SKIP_1) | instid1(VALU_DEP_1)
	v_cmp_lt_u32_e32 vcc_lo, 63, v30
	v_cndmask_b32_e64 v33, 0, 0xffffffc0, vcc_lo
	v_add_nc_u32_e32 v30, v33, v30
	s_delay_alu instid0(VALU_DEP_1) | instskip(NEXT) | instid1(VALU_DEP_1)
	v_cmp_lt_u32_e64 s6, 31, v30
	v_cndmask_b32_e64 v33, 0, 0xffffffe0, s6
	v_mov_b32_e32 v36, v35
	s_delay_alu instid0(VALU_DEP_1) | instskip(NEXT) | instid1(VALU_DEP_1)
	v_mad_nc_u64_u32 v[36:37], 0x3c439041, v4, v[36:37]
	v_dual_mov_b32 v39, v5 :: v_dual_mov_b32 v38, v37
	s_delay_alu instid0(VALU_DEP_1) | instskip(NEXT) | instid1(VALU_DEP_1)
	v_mad_nc_u64_u32 v[38:39], 0xdb629599, v4, v[38:39]
	v_dual_mov_b32 v41, v5 :: v_dual_mov_b32 v40, v39
	;; [unrolled: 3-line block ×3, first 2 shown]
	s_delay_alu instid0(VALU_DEP_1) | instskip(NEXT) | instid1(VALU_DEP_1)
	v_mad_nc_u64_u32 v[42:43], 0xfc2757d1, v4, v[42:43]
	v_mov_b32_e32 v44, v43
	s_delay_alu instid0(VALU_DEP_1) | instskip(NEXT) | instid1(VALU_DEP_1)
	v_mad_nc_u64_u32 v[44:45], 0x4e441529, v4, v[44:45]
	v_mov_b32_e32 v46, v45
	s_delay_alu instid0(VALU_DEP_1) | instskip(NEXT) | instid1(VALU_DEP_3)
	v_mad_nc_u64_u32 v[46:47], 0xa2f9836e, v4, v[46:47]
	v_dual_cndmask_b32 v33, v44, v40 :: v_dual_add_nc_u32 v4, v33, v30
	s_delay_alu instid0(VALU_DEP_2) | instskip(NEXT) | instid1(VALU_DEP_2)
	v_cndmask_b32_e32 v37, v47, v44, vcc_lo
	v_cmp_lt_u32_e64 s7, 31, v4
	s_delay_alu instid0(VALU_DEP_4) | instskip(SKIP_1) | instid1(VALU_DEP_3)
	v_cndmask_b32_e32 v35, v46, v42, vcc_lo
	v_cndmask_b32_e32 v39, v42, v38, vcc_lo
	v_cndmask_b32_e64 v30, 0, 0xffffffe0, s7
	s_delay_alu instid0(VALU_DEP_1) | instskip(NEXT) | instid1(VALU_DEP_4)
	v_add_nc_u32_e32 v4, v30, v4
	v_dual_cndmask_b32 v30, v40, v36, vcc_lo :: v_dual_cndmask_b32 v36, v35, v33, s6
	v_cndmask_b32_e64 v35, v37, v35, s6
	s_delay_alu instid0(VALU_DEP_3) | instskip(NEXT) | instid1(VALU_DEP_3)
	v_dual_cndmask_b32 v33, v33, v39, s6 :: v_dual_sub_nc_u32 v37, 32, v4
	v_cndmask_b32_e64 v39, v39, v30, s6
	s_delay_alu instid0(VALU_DEP_2) | instskip(NEXT) | instid1(VALU_DEP_2)
	v_dual_cndmask_b32 v35, v35, v36, s7 :: v_dual_cndmask_b32 v36, v36, v33, s7
	v_cndmask_b32_e64 v33, v33, v39, s7
	s_delay_alu instid0(VALU_DEP_2) | instskip(SKIP_2) | instid1(VALU_DEP_4)
	v_alignbit_b32 v40, v35, v36, v37
	v_cndmask_b32_e32 v34, v38, v34, vcc_lo
	v_cmp_eq_u32_e32 vcc_lo, 0, v4
	v_alignbit_b32 v38, v36, v33, v37
	s_delay_alu instid0(VALU_DEP_4) | instskip(NEXT) | instid1(VALU_DEP_1)
	v_cndmask_b32_e32 v4, v40, v35, vcc_lo
	v_bfe_u32 v35, v4, 29, 1
	v_cndmask_b32_e64 v30, v30, v34, s6
	s_delay_alu instid0(VALU_DEP_2) | instskip(NEXT) | instid1(VALU_DEP_2)
	v_dual_cndmask_b32 v34, v38, v36, vcc_lo :: v_dual_sub_nc_u32 v38, 0, v35
	v_cndmask_b32_e64 v30, v39, v30, s7
	s_delay_alu instid0(VALU_DEP_2) | instskip(NEXT) | instid1(VALU_DEP_2)
	v_alignbit_b32 v36, v4, v34, 30
	v_alignbit_b32 v37, v33, v30, v37
	s_delay_alu instid0(VALU_DEP_1) | instskip(NEXT) | instid1(VALU_DEP_1)
	v_dual_cndmask_b32 v33, v37, v33, vcc_lo :: v_dual_bitop2_b32 v36, v36, v38 bitop3:0x14
	v_clz_i32_u32_e32 v37, v36
	s_delay_alu instid0(VALU_DEP_2) | instskip(NEXT) | instid1(VALU_DEP_2)
	v_alignbit_b32 v34, v34, v33, 30
	v_min_u32_e32 v37, 32, v37
	v_alignbit_b32 v30, v33, v30, 30
	s_delay_alu instid0(VALU_DEP_2) | instskip(NEXT) | instid1(VALU_DEP_2)
	v_dual_sub_nc_u32 v34, 31, v37 :: v_dual_bitop2_b32 v33, v34, v38 bitop3:0x14
	v_dual_lshrrev_b32 v38, 29, v4 :: v_dual_bitop2_b32 v30, v30, v38 bitop3:0x14
	v_dual_lshlrev_b32 v39, 23, v37 :: v_dual_lshrrev_b32 v4, 30, v4
	s_delay_alu instid0(VALU_DEP_3) | instskip(NEXT) | instid1(VALU_DEP_3)
	v_alignbit_b32 v36, v36, v33, v34
	v_alignbit_b32 v30, v33, v30, v34
	s_delay_alu instid0(VALU_DEP_4) | instskip(NEXT) | instid1(VALU_DEP_2)
	v_lshlrev_b32_e32 v33, 31, v38
	v_alignbit_b32 v34, v36, v30, 9
	s_delay_alu instid0(VALU_DEP_2) | instskip(SKIP_1) | instid1(VALU_DEP_3)
	v_dual_lshrrev_b32 v36, 9, v36 :: v_dual_bitop2_b32 v38, 0.5, v33 bitop3:0x54
	v_or_b32_e32 v33, 0x33000000, v33
	v_clz_i32_u32_e32 v40, v34
	s_delay_alu instid0(VALU_DEP_3) | instskip(NEXT) | instid1(VALU_DEP_2)
	v_sub_nc_u32_e32 v38, v38, v39
	v_min_u32_e32 v39, 32, v40
	s_delay_alu instid0(VALU_DEP_1) | instskip(NEXT) | instid1(VALU_DEP_1)
	v_add_lshl_u32 v37, v39, v37, 23
	v_dual_sub_nc_u32 v33, v33, v37 :: v_dual_bitop2_b32 v36, v36, v38 bitop3:0x54
	v_not_b32_e32 v38, v39
	s_delay_alu instid0(VALU_DEP_2) | instskip(NEXT) | instid1(VALU_DEP_2)
	v_mul_f32_e32 v40, 0x3fc90fda, v36
	v_alignbit_b32 v30, v34, v30, v38
	s_delay_alu instid0(VALU_DEP_2) | instskip(NEXT) | instid1(VALU_DEP_2)
	v_fma_f32 v34, 0x3fc90fda, v36, -v40
	v_lshrrev_b32_e32 v30, 9, v30
	s_delay_alu instid0(VALU_DEP_2) | instskip(NEXT) | instid1(VALU_DEP_2)
	v_fmac_f32_e32 v34, 0x33a22168, v36
	v_dual_add_nc_u32 v33, v35, v4 :: v_dual_bitop2_b32 v30, v33, v30 bitop3:0x54
	s_delay_alu instid0(VALU_DEP_1) | instskip(NEXT) | instid1(VALU_DEP_1)
	v_fmac_f32_e32 v34, 0x3fc90fda, v30
	v_add_f32_e32 v30, v40, v34
	s_and_not1_saveexec_b32 s6, s40
	s_branch .LBB254_19
.LBB254_18:                             ;   in Loop: Header=BB254_4 Depth=1
	s_and_not1_saveexec_b32 s6, s40
.LBB254_19:                             ;   in Loop: Header=BB254_4 Depth=1
	v_mul_f32_e64 v4, 0x3f22f983, |v25|
	s_delay_alu instid0(VALU_DEP_1) | instskip(NEXT) | instid1(VALU_DEP_1)
	v_rndne_f32_e32 v4, v4
	v_fma_f32 v30, 0xbfc90fda, v4, |v25|
	v_cvt_i32_f32_e32 v33, v4
	s_delay_alu instid0(VALU_DEP_2) | instskip(NEXT) | instid1(VALU_DEP_1)
	v_fmac_f32_e32 v30, 0xb3a22168, v4
	v_fmac_f32_e32 v30, 0xa7c234c4, v4
; %bb.20:                               ;   in Loop: Header=BB254_4 Depth=1
	s_or_b32 exec_lo, exec_lo, s6
                                        ; implicit-def: $vgpr34
                                        ; implicit-def: $vgpr4
	s_and_saveexec_b32 s6, s39
	s_delay_alu instid0(SALU_CYCLE_1)
	s_xor_b32 s39, exec_lo, s6
	s_cbranch_execz .LBB254_22
; %bb.21:                               ;   in Loop: Header=BB254_4 Depth=1
	v_and_or_b32 v4, v32, s30, 0x800000
	v_mov_b32_e32 v45, v5
	s_delay_alu instid0(VALU_DEP_2) | instskip(NEXT) | instid1(VALU_DEP_1)
	v_mul_u64_e32 v[34:35], s[26:27], v[4:5]
	v_dual_mov_b32 v37, v5 :: v_dual_mov_b32 v36, v35
	v_lshrrev_b32_e32 v35, 23, v32
	s_delay_alu instid0(VALU_DEP_2) | instskip(SKIP_1) | instid1(VALU_DEP_3)
	v_mad_nc_u64_u32 v[36:37], 0x3c439041, v4, v[36:37]
	v_mov_b32_e32 v39, v5
	v_add_nc_u32_e32 v35, 0xffffff88, v35
	s_delay_alu instid0(VALU_DEP_1) | instskip(NEXT) | instid1(VALU_DEP_4)
	v_cmp_lt_u32_e32 vcc_lo, 63, v35
	v_mov_b32_e32 v38, v37
	v_cndmask_b32_e64 v37, 0, 0xffffffc0, vcc_lo
	s_delay_alu instid0(VALU_DEP_2) | instskip(NEXT) | instid1(VALU_DEP_1)
	v_mad_nc_u64_u32 v[38:39], 0xdb629599, v4, v[38:39]
	v_dual_mov_b32 v41, v5 :: v_dual_mov_b32 v40, v39
	s_delay_alu instid0(VALU_DEP_2) | instskip(NEXT) | instid1(VALU_DEP_2)
	v_cndmask_b32_e32 v34, v38, v34, vcc_lo
	v_mad_nc_u64_u32 v[40:41], 0xf534ddc0, v4, v[40:41]
	s_delay_alu instid0(VALU_DEP_1) | instskip(NEXT) | instid1(VALU_DEP_1)
	v_dual_mov_b32 v43, v5 :: v_dual_mov_b32 v42, v41
	v_mad_nc_u64_u32 v[42:43], 0xfc2757d1, v4, v[42:43]
	s_delay_alu instid0(VALU_DEP_1) | instskip(NEXT) | instid1(VALU_DEP_1)
	v_mov_b32_e32 v44, v43
	v_mad_nc_u64_u32 v[44:45], 0x4e441529, v4, v[44:45]
	v_add_nc_u32_e32 v35, v37, v35
	v_mov_b32_e32 v47, v5
	s_delay_alu instid0(VALU_DEP_2) | instskip(NEXT) | instid1(VALU_DEP_4)
	v_cmp_lt_u32_e64 s6, 31, v35
	v_mov_b32_e32 v46, v45
	s_delay_alu instid0(VALU_DEP_2) | instskip(NEXT) | instid1(VALU_DEP_2)
	v_cndmask_b32_e64 v37, 0, 0xffffffe0, s6
	v_mad_nc_u64_u32 v[46:47], 0xa2f9836e, v4, v[46:47]
	s_delay_alu instid0(VALU_DEP_2) | instskip(NEXT) | instid1(VALU_DEP_2)
	v_dual_cndmask_b32 v37, v44, v40 :: v_dual_add_nc_u32 v4, v37, v35
	v_cndmask_b32_e32 v39, v46, v42, vcc_lo
	s_delay_alu instid0(VALU_DEP_2) | instskip(NEXT) | instid1(VALU_DEP_4)
	v_cmp_lt_u32_e64 s7, 31, v4
	v_dual_cndmask_b32 v41, v47, v44 :: v_dual_cndmask_b32 v42, v42, v38
	s_delay_alu instid0(VALU_DEP_2) | instskip(NEXT) | instid1(VALU_DEP_1)
	v_cndmask_b32_e64 v35, 0, 0xffffffe0, s7
	v_add_nc_u32_e32 v4, v35, v4
	v_dual_cndmask_b32 v35, v40, v36, vcc_lo :: v_dual_cndmask_b32 v36, v39, v37, s6
	s_delay_alu instid0(VALU_DEP_4) | instskip(NEXT) | instid1(VALU_DEP_3)
	v_cndmask_b32_e64 v39, v41, v39, s6
	v_dual_cndmask_b32 v37, v37, v42, s6 :: v_dual_sub_nc_u32 v40, 32, v4
	s_delay_alu instid0(VALU_DEP_3) | instskip(SKIP_1) | instid1(VALU_DEP_3)
	v_cndmask_b32_e64 v41, v42, v35, s6
	v_cmp_eq_u32_e32 vcc_lo, 0, v4
	v_dual_cndmask_b32 v39, v39, v36, s7 :: v_dual_cndmask_b32 v36, v36, v37, s7
	s_delay_alu instid0(VALU_DEP_1) | instskip(NEXT) | instid1(VALU_DEP_1)
	v_alignbit_b32 v42, v39, v36, v40
	v_dual_cndmask_b32 v37, v37, v41, s7 :: v_dual_cndmask_b32 v4, v42, v39, vcc_lo
	s_delay_alu instid0(VALU_DEP_1) | instskip(NEXT) | instid1(VALU_DEP_1)
	v_alignbit_b32 v38, v36, v37, v40
	v_dual_cndmask_b32 v34, v35, v34, s6 :: v_dual_cndmask_b32 v35, v38, v36, vcc_lo
	s_delay_alu instid0(VALU_DEP_3) | instskip(NEXT) | instid1(VALU_DEP_2)
	v_bfe_u32 v36, v4, 29, 1
	v_cndmask_b32_e64 v34, v41, v34, s7
	s_delay_alu instid0(VALU_DEP_3) | instskip(NEXT) | instid1(VALU_DEP_3)
	v_alignbit_b32 v38, v4, v35, 30
	v_sub_nc_u32_e32 v39, 0, v36
	s_delay_alu instid0(VALU_DEP_3) | instskip(NEXT) | instid1(VALU_DEP_1)
	v_alignbit_b32 v40, v37, v34, v40
	v_dual_cndmask_b32 v37, v40, v37, vcc_lo :: v_dual_bitop2_b32 v38, v38, v39 bitop3:0x14
	s_delay_alu instid0(VALU_DEP_1) | instskip(NEXT) | instid1(VALU_DEP_2)
	v_clz_i32_u32_e32 v40, v38
	v_alignbit_b32 v35, v35, v37, 30
	v_alignbit_b32 v34, v37, v34, 30
	s_delay_alu instid0(VALU_DEP_3) | instskip(NEXT) | instid1(VALU_DEP_3)
	v_min_u32_e32 v40, 32, v40
	v_xor_b32_e32 v35, v35, v39
	s_delay_alu instid0(VALU_DEP_3) | instskip(NEXT) | instid1(VALU_DEP_3)
	v_dual_lshrrev_b32 v39, 29, v4 :: v_dual_bitop2_b32 v34, v34, v39 bitop3:0x14
	v_dual_sub_nc_u32 v37, 31, v40 :: v_dual_lshlrev_b32 v41, 23, v40
	s_delay_alu instid0(VALU_DEP_1) | instskip(NEXT) | instid1(VALU_DEP_3)
	v_alignbit_b32 v38, v38, v35, v37
	v_alignbit_b32 v34, v35, v34, v37
	s_delay_alu instid0(VALU_DEP_4) | instskip(NEXT) | instid1(VALU_DEP_2)
	v_lshlrev_b32_e32 v35, 31, v39
	v_alignbit_b32 v37, v38, v34, 9
	s_delay_alu instid0(VALU_DEP_2) | instskip(SKIP_1) | instid1(VALU_DEP_3)
	v_dual_lshrrev_b32 v38, 9, v38 :: v_dual_bitop2_b32 v39, 0.5, v35 bitop3:0x54
	v_or_b32_e32 v35, 0x33000000, v35
	v_clz_i32_u32_e32 v42, v37
	s_delay_alu instid0(VALU_DEP_3) | instskip(NEXT) | instid1(VALU_DEP_2)
	v_sub_nc_u32_e32 v39, v39, v41
	v_min_u32_e32 v41, 32, v42
	s_delay_alu instid0(VALU_DEP_1) | instskip(NEXT) | instid1(VALU_DEP_3)
	v_add_lshl_u32 v40, v41, v40, 23
	v_or_b32_e32 v38, v38, v39
	v_not_b32_e32 v39, v41
	s_delay_alu instid0(VALU_DEP_2) | instskip(NEXT) | instid1(VALU_DEP_2)
	v_dual_mul_f32 v42, 0x3fc90fda, v38 :: v_dual_sub_nc_u32 v35, v35, v40
	v_alignbit_b32 v34, v37, v34, v39
	s_delay_alu instid0(VALU_DEP_2) | instskip(NEXT) | instid1(VALU_DEP_2)
	v_fma_f32 v37, 0x3fc90fda, v38, -v42
	v_lshrrev_b32_e32 v34, 9, v34
	s_delay_alu instid0(VALU_DEP_2) | instskip(NEXT) | instid1(VALU_DEP_2)
	v_fmac_f32_e32 v37, 0x33a22168, v38
	v_or_b32_e32 v34, v35, v34
	s_delay_alu instid0(VALU_DEP_1) | instskip(NEXT) | instid1(VALU_DEP_1)
	v_dual_fmac_f32 v37, 0x3fc90fda, v34 :: v_dual_lshrrev_b32 v34, 30, v4
	v_dual_add_nc_u32 v34, v36, v34 :: v_dual_add_f32 v4, v42, v37
	s_and_not1_saveexec_b32 s6, s39
	s_cbranch_execnz .LBB254_23
	s_branch .LBB254_24
.LBB254_22:                             ;   in Loop: Header=BB254_4 Depth=1
	s_and_not1_saveexec_b32 s6, s39
.LBB254_23:                             ;   in Loop: Header=BB254_4 Depth=1
	v_mul_f32_e64 v4, 0x3f22f983, |v25|
	s_delay_alu instid0(VALU_DEP_1) | instskip(NEXT) | instid1(VALU_DEP_1)
	v_rndne_f32_e32 v34, v4
	v_fma_f32 v4, 0xbfc90fda, v34, |v25|
	s_delay_alu instid0(VALU_DEP_1) | instskip(NEXT) | instid1(VALU_DEP_1)
	v_fmac_f32_e32 v4, 0xb3a22168, v34
	v_fmac_f32_e32 v4, 0xa7c234c4, v34
	v_cvt_i32_f32_e32 v34, v34
.LBB254_24:                             ;   in Loop: Header=BB254_4 Depth=1
	s_or_b32 exec_lo, exec_lo, s6
	s_delay_alu instid0(VALU_DEP_1) | instskip(SKIP_2) | instid1(VALU_DEP_3)
	v_dual_mul_f32 v38, v4, v4 :: v_dual_bitop2_b32 v37, 1, v33 bitop3:0x40
	v_dual_mul_f32 v35, 0xbfb8aa3b, v24 :: v_dual_mul_f32 v36, v30, v30
	v_cmp_ngt_f32_e64 s6, 0xc2b17218, v24
	v_cmp_eq_u32_e32 vcc_lo, 0, v37
	s_delay_alu instid0(VALU_DEP_4) | instskip(NEXT) | instid1(VALU_DEP_4)
	v_fmaak_f32 v43, s31, v38, 0x3c0881c4
	v_rndne_f32_e32 v39, v35
	v_fmaak_f32 v42, s33, v36, 0xbab64f3b
	v_fma_f32 v40, 0xbfb8aa3b, v24, -v35
	v_lshlrev_b32_e32 v33, 30, v33
	v_fmaak_f32 v43, v38, v43, 0xbe2aaa9d
	s_delay_alu instid0(VALU_DEP_4) | instskip(SKIP_1) | instid1(VALU_DEP_3)
	v_dual_sub_f32 v35, v35, v39 :: v_dual_fmaak_f32 v42, v36, v42, 0x3d2aabf7
	v_cvt_i32_f32_e32 v39, v39
	v_mul_f32_e32 v43, v38, v43
	v_fmaak_f32 v41, s31, v36, 0x3c0881c4
	s_delay_alu instid0(VALU_DEP_4) | instskip(NEXT) | instid1(VALU_DEP_3)
	v_fmaak_f32 v42, v36, v42, 0xbf000004
	v_fmac_f32_e32 v4, v4, v43
	s_delay_alu instid0(VALU_DEP_3) | instskip(NEXT) | instid1(VALU_DEP_1)
	v_fmaak_f32 v41, v36, v41, 0xbe2aaa9d
	v_dual_fmac_f32 v40, 0xb2a5705f, v24 :: v_dual_mul_f32 v41, v36, v41
	s_delay_alu instid0(VALU_DEP_1) | instskip(SKIP_1) | instid1(VALU_DEP_3)
	v_dual_fmaak_f32 v44, s33, v38, 0xbab64f3b :: v_dual_add_f32 v35, v35, v40
	v_fma_f32 v36, v36, v42, 1.0
	v_fmac_f32_e32 v30, v30, v41
	s_delay_alu instid0(VALU_DEP_3) | instskip(NEXT) | instid1(VALU_DEP_4)
	v_fmaak_f32 v40, v38, v44, 0x3d2aabf7
	v_exp_f32_e32 v35, v35
	s_delay_alu instid0(VALU_DEP_2) | instskip(NEXT) | instid1(VALU_DEP_2)
	v_cndmask_b32_e64 v30, -v30, v36, vcc_lo
	v_fmaak_f32 v40, v38, v40, 0xbf000004
	s_delay_alu instid0(TRANS32_DEP_1) | instskip(SKIP_1) | instid1(VALU_DEP_3)
	v_ldexp_f32 v35, v35, v39
	v_and_b32_e32 v39, 1, v34
	v_fma_f32 v38, v38, v40, 1.0
	v_lshlrev_b32_e32 v34, 30, v34
	v_bitop3_b32 v30, v33, v30, 0x80000000 bitop3:0x6c
	s_delay_alu instid0(VALU_DEP_4) | instskip(NEXT) | instid1(VALU_DEP_3)
	v_cmp_eq_u32_e32 vcc_lo, 0, v39
	v_and_or_b32 v32, 0x80000000, v34, v32
	v_cndmask_b32_e32 v4, v38, v4, vcc_lo
	v_cmp_nlt_f32_e32 vcc_lo, 0x42ce8ed0, v24
	s_delay_alu instid0(VALU_DEP_2) | instskip(SKIP_2) | instid1(VALU_DEP_2)
	v_xor3_b32 v4, v32, v4, v31
	v_cndmask_b32_e32 v34, 0, v35, vcc_lo
	v_cmp_class_f32_e64 vcc_lo, v25, 0x1f8
                                        ; implicit-def: $vgpr32
	v_cndmask_b32_e64 v24, 0x7f800000, v34, s6
	v_cndmask_b32_e32 v25, 0x7fc00000, v30, vcc_lo
	v_cndmask_b32_e32 v4, 0x7fc00000, v4, vcc_lo
	s_delay_alu instid0(VALU_DEP_1)
	v_dual_mul_f32 v30, v24, v25 :: v_dual_mul_f32 v31, v24, v4
                                        ; implicit-def: $vgpr25
.LBB254_25:                             ;   in Loop: Header=BB254_4 Depth=1
	s_and_not1_saveexec_b32 s38, s38
	s_cbranch_execz .LBB254_28
; %bb.26:                               ;   in Loop: Header=BB254_4 Depth=1
	v_cmp_ngt_f32_e64 s39, 0x48000000, |v25|
                                        ; implicit-def: $vgpr33
                                        ; implicit-def: $vgpr30
	s_and_saveexec_b32 s6, s39
	s_delay_alu instid0(SALU_CYCLE_1)
	s_xor_b32 s40, exec_lo, s6
	s_cbranch_execz .LBB254_29
; %bb.27:                               ;   in Loop: Header=BB254_4 Depth=1
	v_and_or_b32 v4, v32, s30, 0x800000
	v_dual_mov_b32 v45, v5 :: v_dual_lshrrev_b32 v30, 23, v32
	v_mov_b32_e32 v47, v5
	s_delay_alu instid0(VALU_DEP_3) | instskip(NEXT) | instid1(VALU_DEP_3)
	v_mul_u64_e32 v[34:35], s[26:27], v[4:5]
	v_dual_mov_b32 v37, v5 :: v_dual_add_nc_u32 v30, 0xffffff88, v30
	s_delay_alu instid0(VALU_DEP_1) | instskip(SKIP_1) | instid1(VALU_DEP_1)
	v_cmp_lt_u32_e32 vcc_lo, 63, v30
	v_cndmask_b32_e64 v33, 0, 0xffffffc0, vcc_lo
	v_add_nc_u32_e32 v30, v33, v30
	s_delay_alu instid0(VALU_DEP_1) | instskip(NEXT) | instid1(VALU_DEP_1)
	v_cmp_lt_u32_e64 s6, 31, v30
	v_cndmask_b32_e64 v33, 0, 0xffffffe0, s6
	v_mov_b32_e32 v36, v35
	s_delay_alu instid0(VALU_DEP_1) | instskip(NEXT) | instid1(VALU_DEP_1)
	v_mad_nc_u64_u32 v[36:37], 0x3c439041, v4, v[36:37]
	v_dual_mov_b32 v39, v5 :: v_dual_mov_b32 v38, v37
	s_delay_alu instid0(VALU_DEP_1) | instskip(NEXT) | instid1(VALU_DEP_1)
	v_mad_nc_u64_u32 v[38:39], 0xdb629599, v4, v[38:39]
	v_dual_mov_b32 v41, v5 :: v_dual_mov_b32 v40, v39
	;; [unrolled: 3-line block ×3, first 2 shown]
	s_delay_alu instid0(VALU_DEP_1) | instskip(NEXT) | instid1(VALU_DEP_1)
	v_mad_nc_u64_u32 v[42:43], 0xfc2757d1, v4, v[42:43]
	v_mov_b32_e32 v44, v43
	s_delay_alu instid0(VALU_DEP_1) | instskip(NEXT) | instid1(VALU_DEP_1)
	v_mad_nc_u64_u32 v[44:45], 0x4e441529, v4, v[44:45]
	v_mov_b32_e32 v46, v45
	s_delay_alu instid0(VALU_DEP_1) | instskip(NEXT) | instid1(VALU_DEP_3)
	v_mad_nc_u64_u32 v[46:47], 0xa2f9836e, v4, v[46:47]
	v_dual_cndmask_b32 v33, v44, v40 :: v_dual_add_nc_u32 v4, v33, v30
	s_delay_alu instid0(VALU_DEP_2) | instskip(NEXT) | instid1(VALU_DEP_2)
	v_cndmask_b32_e32 v37, v47, v44, vcc_lo
	v_cmp_lt_u32_e64 s7, 31, v4
	s_delay_alu instid0(VALU_DEP_4) | instskip(SKIP_1) | instid1(VALU_DEP_3)
	v_cndmask_b32_e32 v35, v46, v42, vcc_lo
	v_cndmask_b32_e32 v39, v42, v38, vcc_lo
	v_cndmask_b32_e64 v30, 0, 0xffffffe0, s7
	s_delay_alu instid0(VALU_DEP_1) | instskip(NEXT) | instid1(VALU_DEP_4)
	v_add_nc_u32_e32 v4, v30, v4
	v_dual_cndmask_b32 v30, v40, v36, vcc_lo :: v_dual_cndmask_b32 v36, v35, v33, s6
	v_cndmask_b32_e64 v35, v37, v35, s6
	s_delay_alu instid0(VALU_DEP_3) | instskip(NEXT) | instid1(VALU_DEP_3)
	v_dual_cndmask_b32 v33, v33, v39, s6 :: v_dual_sub_nc_u32 v37, 32, v4
	v_cndmask_b32_e64 v39, v39, v30, s6
	s_delay_alu instid0(VALU_DEP_2) | instskip(NEXT) | instid1(VALU_DEP_2)
	v_dual_cndmask_b32 v35, v35, v36, s7 :: v_dual_cndmask_b32 v36, v36, v33, s7
	v_cndmask_b32_e64 v33, v33, v39, s7
	s_delay_alu instid0(VALU_DEP_2) | instskip(SKIP_2) | instid1(VALU_DEP_4)
	v_alignbit_b32 v40, v35, v36, v37
	v_cndmask_b32_e32 v34, v38, v34, vcc_lo
	v_cmp_eq_u32_e32 vcc_lo, 0, v4
	v_alignbit_b32 v38, v36, v33, v37
	s_delay_alu instid0(VALU_DEP_4) | instskip(NEXT) | instid1(VALU_DEP_1)
	v_cndmask_b32_e32 v4, v40, v35, vcc_lo
	v_bfe_u32 v35, v4, 29, 1
	v_cndmask_b32_e64 v30, v30, v34, s6
	s_delay_alu instid0(VALU_DEP_2) | instskip(NEXT) | instid1(VALU_DEP_2)
	v_dual_cndmask_b32 v34, v38, v36, vcc_lo :: v_dual_sub_nc_u32 v38, 0, v35
	v_cndmask_b32_e64 v30, v39, v30, s7
	s_delay_alu instid0(VALU_DEP_2) | instskip(NEXT) | instid1(VALU_DEP_2)
	v_alignbit_b32 v36, v4, v34, 30
	v_alignbit_b32 v37, v33, v30, v37
	s_delay_alu instid0(VALU_DEP_1) | instskip(NEXT) | instid1(VALU_DEP_1)
	v_dual_cndmask_b32 v33, v37, v33, vcc_lo :: v_dual_bitop2_b32 v36, v36, v38 bitop3:0x14
	v_clz_i32_u32_e32 v37, v36
	s_delay_alu instid0(VALU_DEP_2) | instskip(NEXT) | instid1(VALU_DEP_2)
	v_alignbit_b32 v34, v34, v33, 30
	v_min_u32_e32 v37, 32, v37
	v_alignbit_b32 v30, v33, v30, 30
	s_delay_alu instid0(VALU_DEP_2) | instskip(NEXT) | instid1(VALU_DEP_2)
	v_dual_sub_nc_u32 v34, 31, v37 :: v_dual_bitop2_b32 v33, v34, v38 bitop3:0x14
	v_dual_lshrrev_b32 v38, 29, v4 :: v_dual_bitop2_b32 v30, v30, v38 bitop3:0x14
	v_dual_lshlrev_b32 v39, 23, v37 :: v_dual_lshrrev_b32 v4, 30, v4
	s_delay_alu instid0(VALU_DEP_3) | instskip(NEXT) | instid1(VALU_DEP_3)
	v_alignbit_b32 v36, v36, v33, v34
	v_alignbit_b32 v30, v33, v30, v34
	s_delay_alu instid0(VALU_DEP_4) | instskip(NEXT) | instid1(VALU_DEP_2)
	v_lshlrev_b32_e32 v33, 31, v38
	v_alignbit_b32 v34, v36, v30, 9
	s_delay_alu instid0(VALU_DEP_2) | instskip(SKIP_1) | instid1(VALU_DEP_3)
	v_dual_lshrrev_b32 v36, 9, v36 :: v_dual_bitop2_b32 v38, 0.5, v33 bitop3:0x54
	v_or_b32_e32 v33, 0x33000000, v33
	v_clz_i32_u32_e32 v40, v34
	s_delay_alu instid0(VALU_DEP_3) | instskip(NEXT) | instid1(VALU_DEP_2)
	v_sub_nc_u32_e32 v38, v38, v39
	v_min_u32_e32 v39, 32, v40
	s_delay_alu instid0(VALU_DEP_1) | instskip(NEXT) | instid1(VALU_DEP_1)
	v_add_lshl_u32 v37, v39, v37, 23
	v_dual_sub_nc_u32 v33, v33, v37 :: v_dual_bitop2_b32 v36, v36, v38 bitop3:0x54
	v_not_b32_e32 v38, v39
	s_delay_alu instid0(VALU_DEP_2) | instskip(NEXT) | instid1(VALU_DEP_2)
	v_mul_f32_e32 v40, 0x3fc90fda, v36
	v_alignbit_b32 v30, v34, v30, v38
	s_delay_alu instid0(VALU_DEP_2) | instskip(NEXT) | instid1(VALU_DEP_2)
	v_fma_f32 v34, 0x3fc90fda, v36, -v40
	v_lshrrev_b32_e32 v30, 9, v30
	s_delay_alu instid0(VALU_DEP_2) | instskip(NEXT) | instid1(VALU_DEP_2)
	v_fmac_f32_e32 v34, 0x33a22168, v36
	v_dual_add_nc_u32 v33, v35, v4 :: v_dual_bitop2_b32 v30, v33, v30 bitop3:0x54
	s_delay_alu instid0(VALU_DEP_1) | instskip(NEXT) | instid1(VALU_DEP_1)
	v_fmac_f32_e32 v34, 0x3fc90fda, v30
	v_add_f32_e32 v30, v40, v34
	s_and_not1_saveexec_b32 s6, s40
	s_branch .LBB254_30
.LBB254_28:                             ;   in Loop: Header=BB254_4 Depth=1
	s_or_b32 exec_lo, exec_lo, s38
                                        ; implicit-def: $vgpr4
                                        ; implicit-def: $vgpr24
                                        ; implicit-def: $vgpr33
	s_and_not1_saveexec_b32 s6, s37
	s_cbranch_execnz .LBB254_37
	s_branch .LBB254_42
.LBB254_29:                             ;   in Loop: Header=BB254_4 Depth=1
	s_and_not1_saveexec_b32 s6, s40
.LBB254_30:                             ;   in Loop: Header=BB254_4 Depth=1
	v_mul_f32_e64 v4, 0x3f22f983, |v25|
	s_delay_alu instid0(VALU_DEP_1) | instskip(NEXT) | instid1(VALU_DEP_1)
	v_rndne_f32_e32 v4, v4
	v_fma_f32 v30, 0xbfc90fda, v4, |v25|
	v_cvt_i32_f32_e32 v33, v4
	s_delay_alu instid0(VALU_DEP_2) | instskip(NEXT) | instid1(VALU_DEP_1)
	v_fmac_f32_e32 v30, 0xb3a22168, v4
	v_fmac_f32_e32 v30, 0xa7c234c4, v4
; %bb.31:                               ;   in Loop: Header=BB254_4 Depth=1
	s_or_b32 exec_lo, exec_lo, s6
                                        ; implicit-def: $vgpr34
                                        ; implicit-def: $vgpr4
	s_and_saveexec_b32 s6, s39
	s_delay_alu instid0(SALU_CYCLE_1)
	s_xor_b32 s39, exec_lo, s6
	s_cbranch_execz .LBB254_33
; %bb.32:                               ;   in Loop: Header=BB254_4 Depth=1
	v_and_or_b32 v4, v32, s30, 0x800000
	v_mov_b32_e32 v45, v5
	s_delay_alu instid0(VALU_DEP_2) | instskip(NEXT) | instid1(VALU_DEP_1)
	v_mul_u64_e32 v[34:35], s[26:27], v[4:5]
	v_dual_mov_b32 v37, v5 :: v_dual_mov_b32 v36, v35
	v_lshrrev_b32_e32 v35, 23, v32
	s_delay_alu instid0(VALU_DEP_2) | instskip(SKIP_1) | instid1(VALU_DEP_3)
	v_mad_nc_u64_u32 v[36:37], 0x3c439041, v4, v[36:37]
	v_mov_b32_e32 v39, v5
	v_add_nc_u32_e32 v35, 0xffffff88, v35
	s_delay_alu instid0(VALU_DEP_1) | instskip(NEXT) | instid1(VALU_DEP_4)
	v_cmp_lt_u32_e32 vcc_lo, 63, v35
	v_mov_b32_e32 v38, v37
	v_cndmask_b32_e64 v37, 0, 0xffffffc0, vcc_lo
	s_delay_alu instid0(VALU_DEP_2) | instskip(NEXT) | instid1(VALU_DEP_1)
	v_mad_nc_u64_u32 v[38:39], 0xdb629599, v4, v[38:39]
	v_dual_mov_b32 v41, v5 :: v_dual_mov_b32 v40, v39
	s_delay_alu instid0(VALU_DEP_2) | instskip(NEXT) | instid1(VALU_DEP_2)
	v_cndmask_b32_e32 v34, v38, v34, vcc_lo
	v_mad_nc_u64_u32 v[40:41], 0xf534ddc0, v4, v[40:41]
	s_delay_alu instid0(VALU_DEP_1) | instskip(NEXT) | instid1(VALU_DEP_1)
	v_dual_mov_b32 v43, v5 :: v_dual_mov_b32 v42, v41
	v_mad_nc_u64_u32 v[42:43], 0xfc2757d1, v4, v[42:43]
	s_delay_alu instid0(VALU_DEP_1) | instskip(NEXT) | instid1(VALU_DEP_1)
	v_mov_b32_e32 v44, v43
	v_mad_nc_u64_u32 v[44:45], 0x4e441529, v4, v[44:45]
	v_add_nc_u32_e32 v35, v37, v35
	v_mov_b32_e32 v47, v5
	s_delay_alu instid0(VALU_DEP_2) | instskip(NEXT) | instid1(VALU_DEP_4)
	v_cmp_lt_u32_e64 s6, 31, v35
	v_mov_b32_e32 v46, v45
	s_delay_alu instid0(VALU_DEP_2) | instskip(NEXT) | instid1(VALU_DEP_2)
	v_cndmask_b32_e64 v37, 0, 0xffffffe0, s6
	v_mad_nc_u64_u32 v[46:47], 0xa2f9836e, v4, v[46:47]
	s_delay_alu instid0(VALU_DEP_2) | instskip(NEXT) | instid1(VALU_DEP_2)
	v_dual_cndmask_b32 v37, v44, v40 :: v_dual_add_nc_u32 v4, v37, v35
	v_cndmask_b32_e32 v39, v46, v42, vcc_lo
	s_delay_alu instid0(VALU_DEP_2) | instskip(NEXT) | instid1(VALU_DEP_4)
	v_cmp_lt_u32_e64 s7, 31, v4
	v_dual_cndmask_b32 v41, v47, v44 :: v_dual_cndmask_b32 v42, v42, v38
	s_delay_alu instid0(VALU_DEP_2) | instskip(NEXT) | instid1(VALU_DEP_1)
	v_cndmask_b32_e64 v35, 0, 0xffffffe0, s7
	v_add_nc_u32_e32 v4, v35, v4
	v_dual_cndmask_b32 v35, v40, v36, vcc_lo :: v_dual_cndmask_b32 v36, v39, v37, s6
	s_delay_alu instid0(VALU_DEP_4) | instskip(NEXT) | instid1(VALU_DEP_3)
	v_cndmask_b32_e64 v39, v41, v39, s6
	v_dual_cndmask_b32 v37, v37, v42, s6 :: v_dual_sub_nc_u32 v40, 32, v4
	s_delay_alu instid0(VALU_DEP_3) | instskip(SKIP_1) | instid1(VALU_DEP_3)
	v_cndmask_b32_e64 v41, v42, v35, s6
	v_cmp_eq_u32_e32 vcc_lo, 0, v4
	v_dual_cndmask_b32 v39, v39, v36, s7 :: v_dual_cndmask_b32 v36, v36, v37, s7
	s_delay_alu instid0(VALU_DEP_1) | instskip(NEXT) | instid1(VALU_DEP_1)
	v_alignbit_b32 v42, v39, v36, v40
	v_dual_cndmask_b32 v37, v37, v41, s7 :: v_dual_cndmask_b32 v4, v42, v39, vcc_lo
	s_delay_alu instid0(VALU_DEP_1) | instskip(NEXT) | instid1(VALU_DEP_1)
	v_alignbit_b32 v38, v36, v37, v40
	v_dual_cndmask_b32 v34, v35, v34, s6 :: v_dual_cndmask_b32 v35, v38, v36, vcc_lo
	s_delay_alu instid0(VALU_DEP_3) | instskip(NEXT) | instid1(VALU_DEP_2)
	v_bfe_u32 v36, v4, 29, 1
	v_cndmask_b32_e64 v34, v41, v34, s7
	s_delay_alu instid0(VALU_DEP_3) | instskip(NEXT) | instid1(VALU_DEP_3)
	v_alignbit_b32 v38, v4, v35, 30
	v_sub_nc_u32_e32 v39, 0, v36
	s_delay_alu instid0(VALU_DEP_3) | instskip(NEXT) | instid1(VALU_DEP_1)
	v_alignbit_b32 v40, v37, v34, v40
	v_dual_cndmask_b32 v37, v40, v37, vcc_lo :: v_dual_bitop2_b32 v38, v38, v39 bitop3:0x14
	s_delay_alu instid0(VALU_DEP_1) | instskip(NEXT) | instid1(VALU_DEP_2)
	v_clz_i32_u32_e32 v40, v38
	v_alignbit_b32 v35, v35, v37, 30
	v_alignbit_b32 v34, v37, v34, 30
	s_delay_alu instid0(VALU_DEP_3) | instskip(NEXT) | instid1(VALU_DEP_3)
	v_min_u32_e32 v40, 32, v40
	v_xor_b32_e32 v35, v35, v39
	s_delay_alu instid0(VALU_DEP_3) | instskip(NEXT) | instid1(VALU_DEP_3)
	v_dual_lshrrev_b32 v39, 29, v4 :: v_dual_bitop2_b32 v34, v34, v39 bitop3:0x14
	v_dual_sub_nc_u32 v37, 31, v40 :: v_dual_lshlrev_b32 v41, 23, v40
	s_delay_alu instid0(VALU_DEP_1) | instskip(NEXT) | instid1(VALU_DEP_3)
	v_alignbit_b32 v38, v38, v35, v37
	v_alignbit_b32 v34, v35, v34, v37
	s_delay_alu instid0(VALU_DEP_4) | instskip(NEXT) | instid1(VALU_DEP_2)
	v_lshlrev_b32_e32 v35, 31, v39
	v_alignbit_b32 v37, v38, v34, 9
	s_delay_alu instid0(VALU_DEP_2) | instskip(SKIP_1) | instid1(VALU_DEP_3)
	v_dual_lshrrev_b32 v38, 9, v38 :: v_dual_bitop2_b32 v39, 0.5, v35 bitop3:0x54
	v_or_b32_e32 v35, 0x33000000, v35
	v_clz_i32_u32_e32 v42, v37
	s_delay_alu instid0(VALU_DEP_3) | instskip(NEXT) | instid1(VALU_DEP_2)
	v_sub_nc_u32_e32 v39, v39, v41
	v_min_u32_e32 v41, 32, v42
	s_delay_alu instid0(VALU_DEP_1) | instskip(NEXT) | instid1(VALU_DEP_3)
	v_add_lshl_u32 v40, v41, v40, 23
	v_or_b32_e32 v38, v38, v39
	v_not_b32_e32 v39, v41
	s_delay_alu instid0(VALU_DEP_2) | instskip(NEXT) | instid1(VALU_DEP_2)
	v_dual_mul_f32 v42, 0x3fc90fda, v38 :: v_dual_sub_nc_u32 v35, v35, v40
	v_alignbit_b32 v34, v37, v34, v39
	s_delay_alu instid0(VALU_DEP_2) | instskip(NEXT) | instid1(VALU_DEP_2)
	v_fma_f32 v37, 0x3fc90fda, v38, -v42
	v_lshrrev_b32_e32 v34, 9, v34
	s_delay_alu instid0(VALU_DEP_2) | instskip(NEXT) | instid1(VALU_DEP_2)
	v_fmac_f32_e32 v37, 0x33a22168, v38
	v_or_b32_e32 v34, v35, v34
	s_delay_alu instid0(VALU_DEP_1) | instskip(NEXT) | instid1(VALU_DEP_1)
	v_dual_fmac_f32 v37, 0x3fc90fda, v34 :: v_dual_lshrrev_b32 v34, 30, v4
	v_dual_add_nc_u32 v34, v36, v34 :: v_dual_add_f32 v4, v42, v37
	s_and_not1_saveexec_b32 s6, s39
	s_cbranch_execnz .LBB254_34
	s_branch .LBB254_35
.LBB254_33:                             ;   in Loop: Header=BB254_4 Depth=1
	s_and_not1_saveexec_b32 s6, s39
.LBB254_34:                             ;   in Loop: Header=BB254_4 Depth=1
	v_mul_f32_e64 v4, 0x3f22f983, |v25|
	s_delay_alu instid0(VALU_DEP_1) | instskip(NEXT) | instid1(VALU_DEP_1)
	v_rndne_f32_e32 v34, v4
	v_fma_f32 v4, 0xbfc90fda, v34, |v25|
	s_delay_alu instid0(VALU_DEP_1) | instskip(NEXT) | instid1(VALU_DEP_1)
	v_fmac_f32_e32 v4, 0xb3a22168, v34
	v_fmac_f32_e32 v4, 0xa7c234c4, v34
	v_cvt_i32_f32_e32 v34, v34
.LBB254_35:                             ;   in Loop: Header=BB254_4 Depth=1
	s_or_b32 exec_lo, exec_lo, s6
	v_sub_f32_e32 v24, 0xc322e3bc, v24
	s_delay_alu instid0(VALU_DEP_2) | instskip(NEXT) | instid1(VALU_DEP_3)
	v_dual_mul_f32 v38, v30, v30 :: v_dual_mul_f32 v39, v4, v4
	v_dual_lshlrev_b32 v34, 30, v34 :: v_dual_bitop2_b32 v40, 1, v34 bitop3:0x40
	s_delay_alu instid0(VALU_DEP_3) | instskip(NEXT) | instid1(VALU_DEP_3)
	v_mul_f32_e32 v35, 0x3fb8aa3b, v24
	v_dual_fmaak_f32 v41, s31, v38, 0x3c0881c4 :: v_dual_fmaak_f32 v42, s31, v39, 0x3c0881c4
	s_delay_alu instid0(VALU_DEP_3) | instskip(NEXT) | instid1(VALU_DEP_3)
	v_and_or_b32 v32, 0x80000000, v34, v32
	v_fma_f32 v36, 0x3fb8aa3b, v24, -v35
	v_rndne_f32_e32 v37, v35
	s_delay_alu instid0(VALU_DEP_4) | instskip(NEXT) | instid1(VALU_DEP_2)
	v_fmaak_f32 v41, v38, v41, 0xbe2aaa9d
	v_sub_f32_e32 v35, v35, v37
	v_cmp_ngt_f32_e32 vcc_lo, 0xc2ce8ed0, v24
	v_fmac_f32_e32 v36, 0x32a5705f, v24
	v_cvt_i32_f32_e32 v37, v37
	s_delay_alu instid0(VALU_DEP_2) | instskip(SKIP_1) | instid1(VALU_DEP_2)
	v_dual_mul_f32 v41, v38, v41 :: v_dual_add_f32 v35, v35, v36
	v_dual_lshlrev_b32 v36, 30, v33 :: v_dual_bitop2_b32 v33, 1, v33 bitop3:0x40
	v_fmac_f32_e32 v30, v30, v41
	s_delay_alu instid0(VALU_DEP_3) | instskip(SKIP_1) | instid1(TRANS32_DEP_1)
	v_exp_f32_e32 v35, v35
	v_nop
	v_ldexp_f32 v35, v35, v37
	s_delay_alu instid0(VALU_DEP_1) | instskip(SKIP_3) | instid1(VALU_DEP_4)
	v_cndmask_b32_e32 v35, 0, v35, vcc_lo
	v_cmp_nlt_f32_e32 vcc_lo, 0x42b17218, v24
	v_fmaak_f32 v24, v39, v42, 0xbe2aaa9d
	v_fmaak_f32 v37, s33, v38, 0xbab64f3b
	v_cndmask_b32_e32 v34, 0x7f800000, v35, vcc_lo
	s_delay_alu instid0(VALU_DEP_3) | instskip(SKIP_1) | instid1(VALU_DEP_2)
	v_dual_fmaak_f32 v43, s33, v39, 0xbab64f3b :: v_dual_mul_f32 v24, v39, v24
	v_cmp_eq_u32_e32 vcc_lo, 0, v40
	v_dual_fmaak_f32 v35, v39, v43, 0x3d2aabf7 :: v_dual_lshrrev_b32 v42, 23, v34
	s_delay_alu instid0(VALU_DEP_3) | instskip(NEXT) | instid1(VALU_DEP_2)
	v_fmac_f32_e32 v4, v4, v24
	v_subrev_nc_u32_e32 v42, 19, v42
	s_delay_alu instid0(VALU_DEP_3) | instskip(NEXT) | instid1(VALU_DEP_1)
	v_fmaak_f32 v35, v39, v35, 0xbf000004
	v_fma_f32 v24, v39, v35, 1.0
	s_delay_alu instid0(VALU_DEP_1) | instskip(NEXT) | instid1(VALU_DEP_1)
	v_dual_fmaak_f32 v37, v38, v37, 0x3d2aabf7 :: v_dual_cndmask_b32 v4, v24, v4
	v_fmaak_f32 v37, v38, v37, 0xbf000004
	v_cmp_eq_u32_e32 vcc_lo, 0, v33
	s_delay_alu instid0(VALU_DEP_3) | instskip(NEXT) | instid1(VALU_DEP_3)
	v_xor3_b32 v4, v32, v4, v31
	v_fma_f32 v35, v38, v37, 1.0
	v_lshrrev_b16 v37, 15, v42
	s_delay_alu instid0(VALU_DEP_2) | instskip(NEXT) | instid1(VALU_DEP_2)
	v_cndmask_b32_e64 v24, -v30, v35, vcc_lo
	v_add_nc_u16 v30, v42, v37
	v_cmp_class_f32_e64 vcc_lo, v25, 0x1f8
	s_delay_alu instid0(VALU_DEP_3) | instskip(NEXT) | instid1(VALU_DEP_3)
	v_bitop3_b32 v24, v36, v24, 0x80000000 bitop3:0x6c
	v_ashrrev_i16 v30, 1, v30
	v_cndmask_b32_e32 v25, 0x7fc00000, v4, vcc_lo
	v_and_or_b32 v4, 0x7fffff, v34, s34
	s_delay_alu instid0(VALU_DEP_3) | instskip(NEXT) | instid1(VALU_DEP_1)
	v_bfe_i32 v30, v30, 0, 16
	v_dual_cndmask_b32 v24, 0x7fc00000, v24 :: v_dual_sub_nc_u32 v31, v42, v30
	s_delay_alu instid0(VALU_DEP_1) | instskip(SKIP_1) | instid1(VALU_DEP_3)
	v_pk_mul_f32 v[24:25], v[24:25], v[4:5] op_sel_hi:[1,0]
	v_lshl_add_u32 v4, v30, 23, 1.0
	v_lshl_add_u32 v30, v31, 23, 1.0
	s_delay_alu instid0(VALU_DEP_2) | instskip(NEXT) | instid1(VALU_DEP_1)
	v_pk_mul_f32 v[24:25], v[24:25], v[4:5] op_sel_hi:[1,0]
	v_pk_mul_f32 v[30:31], v[24:25], v[30:31] op_sel_hi:[1,0]
	s_or_b32 exec_lo, exec_lo, s38
                                        ; implicit-def: $vgpr4
                                        ; implicit-def: $vgpr24
                                        ; implicit-def: $vgpr33
.LBB254_36:                             ;   in Loop: Header=BB254_4 Depth=1
	s_and_not1_saveexec_b32 s6, s37
	s_cbranch_execz .LBB254_42
.LBB254_37:                             ;   in Loop: Header=BB254_4 Depth=1
	s_mov_b32 s7, exec_lo
                                        ; implicit-def: $vgpr31
	v_cmpx_ne_u32_e32 0x7f800000, v33
	s_xor_b32 s7, exec_lo, s7
; %bb.38:                               ;   in Loop: Header=BB254_4 Depth=1
	v_sub_f32_e32 v31, v25, v25
                                        ; implicit-def: $vgpr4
                                        ; implicit-def: $vgpr24_vgpr25
	s_delay_alu instid0(VALU_DEP_1)
	v_mov_b32_e32 v30, v31
; %bb.39:                               ;   in Loop: Header=BB254_4 Depth=1
	s_and_not1_saveexec_b32 s7, s7
; %bb.40:                               ;   in Loop: Header=BB254_4 Depth=1
	v_pk_add_f32 v[30:31], v[24:25], v[24:25] neg_lo:[0,1] neg_hi:[0,1]
	v_cmp_lt_i32_e32 vcc_lo, -1, v4
	s_delay_alu instid0(VALU_DEP_2)
	v_dual_cndmask_b32 v30, 0, -v24, vcc_lo :: v_dual_cndmask_b32 v31, 0, v31, vcc_lo
; %bb.41:                               ;   in Loop: Header=BB254_4 Depth=1
	s_or_b32 exec_lo, exec_lo, s7
.LBB254_42:                             ;   in Loop: Header=BB254_4 Depth=1
	s_delay_alu instid0(SALU_CYCLE_1)
	s_or_b32 exec_lo, exec_lo, s6
                                        ; implicit-def: $vgpr25
                                        ; implicit-def: $vgpr32
.LBB254_43:                             ;   in Loop: Header=BB254_4 Depth=1
	s_and_not1_saveexec_b32 s36, s36
	s_cbranch_execz .LBB254_53
; %bb.44:                               ;   in Loop: Header=BB254_4 Depth=1
	v_lshrrev_b32_e32 v24, 23, v32
	v_cmp_ngt_f32_e64 s37, 0x48000000, |v25|
	v_and_or_b32 v4, v32, s30, 0x800000
                                        ; implicit-def: $vgpr30
	s_delay_alu instid0(VALU_DEP_3) | instskip(SKIP_1) | instid1(SALU_CYCLE_1)
	v_add_nc_u32_e32 v33, 0xffffff88, v24
                                        ; implicit-def: $vgpr24
	s_and_saveexec_b32 s6, s37
	s_xor_b32 s38, exec_lo, s6
	s_cbranch_execz .LBB254_46
; %bb.45:                               ;   in Loop: Header=BB254_4 Depth=1
	v_mul_u64_e32 v[34:35], s[26:27], v[4:5]
	v_mov_b32_e32 v37, v5
	v_cmp_lt_u32_e32 vcc_lo, 63, v33
	v_mov_b32_e32 v47, v5
	v_cndmask_b32_e64 v24, 0, 0xffffffc0, vcc_lo
	s_delay_alu instid0(VALU_DEP_1) | instskip(NEXT) | instid1(VALU_DEP_1)
	v_add_nc_u32_e32 v24, v24, v33
	v_cmp_lt_u32_e64 s6, 31, v24
	s_delay_alu instid0(VALU_DEP_1) | instskip(NEXT) | instid1(VALU_DEP_1)
	v_cndmask_b32_e64 v30, 0, 0xffffffe0, s6
	v_dual_add_nc_u32 v24, v30, v24 :: v_dual_mov_b32 v36, v35
	s_delay_alu instid0(VALU_DEP_1) | instskip(NEXT) | instid1(VALU_DEP_2)
	v_cmp_lt_u32_e64 s7, 31, v24
	v_mad_nc_u64_u32 v[36:37], 0x3c439041, v4, v[36:37]
	v_mov_b32_e32 v39, v5
	s_delay_alu instid0(VALU_DEP_3) | instskip(NEXT) | instid1(VALU_DEP_3)
	v_cndmask_b32_e64 v30, 0, 0xffffffe0, s7
	v_mov_b32_e32 v38, v37
	s_delay_alu instid0(VALU_DEP_1) | instskip(NEXT) | instid1(VALU_DEP_1)
	v_mad_nc_u64_u32 v[38:39], 0xdb629599, v4, v[38:39]
	v_dual_mov_b32 v41, v5 :: v_dual_mov_b32 v40, v39
	s_delay_alu instid0(VALU_DEP_2) | instskip(NEXT) | instid1(VALU_DEP_2)
	v_cndmask_b32_e32 v34, v38, v34, vcc_lo
	v_mad_nc_u64_u32 v[40:41], 0xf534ddc0, v4, v[40:41]
	s_delay_alu instid0(VALU_DEP_1) | instskip(NEXT) | instid1(VALU_DEP_1)
	v_dual_mov_b32 v43, v5 :: v_dual_mov_b32 v42, v41
	v_mad_nc_u64_u32 v[42:43], 0xfc2757d1, v4, v[42:43]
	s_delay_alu instid0(VALU_DEP_1) | instskip(NEXT) | instid1(VALU_DEP_2)
	v_dual_mov_b32 v45, v5 :: v_dual_mov_b32 v44, v43
	v_cndmask_b32_e32 v41, v42, v38, vcc_lo
	s_delay_alu instid0(VALU_DEP_2) | instskip(NEXT) | instid1(VALU_DEP_1)
	v_mad_nc_u64_u32 v[44:45], 0x4e441529, v4, v[44:45]
	v_mov_b32_e32 v46, v45
	s_delay_alu instid0(VALU_DEP_1) | instskip(NEXT) | instid1(VALU_DEP_1)
	v_mad_nc_u64_u32 v[46:47], 0xa2f9836e, v4, v[46:47]
	v_dual_cndmask_b32 v35, v44, v40, vcc_lo :: v_dual_cndmask_b32 v37, v46, v42, vcc_lo
	s_delay_alu instid0(VALU_DEP_2) | instskip(SKIP_1) | instid1(VALU_DEP_3)
	v_cndmask_b32_e32 v39, v47, v44, vcc_lo
	v_add_nc_u32_e32 v24, v30, v24
	v_dual_cndmask_b32 v30, v40, v36, vcc_lo :: v_dual_cndmask_b32 v36, v37, v35, s6
	s_delay_alu instid0(VALU_DEP_3) | instskip(NEXT) | instid1(VALU_DEP_3)
	v_cndmask_b32_e64 v37, v39, v37, s6
	v_dual_cndmask_b32 v35, v35, v41, s6 :: v_dual_sub_nc_u32 v39, 32, v24
	s_delay_alu instid0(VALU_DEP_3) | instskip(SKIP_1) | instid1(VALU_DEP_3)
	v_cndmask_b32_e64 v40, v41, v30, s6
	v_cmp_eq_u32_e32 vcc_lo, 0, v24
	v_dual_cndmask_b32 v37, v37, v36, s7 :: v_dual_cndmask_b32 v36, v36, v35, s7
	v_cndmask_b32_e64 v30, v30, v34, s6
	s_delay_alu instid0(VALU_DEP_2) | instskip(NEXT) | instid1(VALU_DEP_1)
	v_alignbit_b32 v41, v37, v36, v39
	v_dual_cndmask_b32 v35, v35, v40, s7 :: v_dual_cndmask_b32 v24, v41, v37, vcc_lo
	s_delay_alu instid0(VALU_DEP_1) | instskip(NEXT) | instid1(VALU_DEP_1)
	v_alignbit_b32 v38, v36, v35, v39
	v_cndmask_b32_e32 v34, v38, v36, vcc_lo
	s_delay_alu instid0(VALU_DEP_3) | instskip(NEXT) | instid1(VALU_DEP_1)
	v_bfe_u32 v36, v24, 29, 1
	v_dual_sub_nc_u32 v38, 0, v36 :: v_dual_cndmask_b32 v30, v40, v30, s7
	s_delay_alu instid0(VALU_DEP_3) | instskip(NEXT) | instid1(VALU_DEP_2)
	v_alignbit_b32 v37, v24, v34, 30
	v_alignbit_b32 v39, v35, v30, v39
	s_delay_alu instid0(VALU_DEP_1) | instskip(NEXT) | instid1(VALU_DEP_1)
	v_dual_cndmask_b32 v35, v39, v35, vcc_lo :: v_dual_bitop2_b32 v37, v37, v38 bitop3:0x14
	v_clz_i32_u32_e32 v39, v37
	s_delay_alu instid0(VALU_DEP_2) | instskip(NEXT) | instid1(VALU_DEP_2)
	v_alignbit_b32 v34, v34, v35, 30
	v_min_u32_e32 v39, 32, v39
	v_alignbit_b32 v30, v35, v30, 30
	s_delay_alu instid0(VALU_DEP_2) | instskip(NEXT) | instid1(VALU_DEP_2)
	v_dual_sub_nc_u32 v35, 31, v39 :: v_dual_bitop2_b32 v34, v34, v38 bitop3:0x14
	v_dual_lshrrev_b32 v38, 29, v24 :: v_dual_bitop2_b32 v30, v30, v38 bitop3:0x14
	v_lshlrev_b32_e32 v40, 23, v39
	s_delay_alu instid0(VALU_DEP_3) | instskip(NEXT) | instid1(VALU_DEP_3)
	v_alignbit_b32 v37, v37, v34, v35
	v_alignbit_b32 v30, v34, v30, v35
	s_delay_alu instid0(VALU_DEP_4) | instskip(NEXT) | instid1(VALU_DEP_2)
	v_lshlrev_b32_e32 v34, 31, v38
	v_alignbit_b32 v35, v37, v30, 9
	s_delay_alu instid0(VALU_DEP_2) | instskip(SKIP_1) | instid1(VALU_DEP_3)
	v_dual_lshrrev_b32 v37, 9, v37 :: v_dual_bitop2_b32 v38, 0.5, v34 bitop3:0x54
	v_or_b32_e32 v34, 0x33000000, v34
	v_clz_i32_u32_e32 v41, v35
	s_delay_alu instid0(VALU_DEP_3) | instskip(NEXT) | instid1(VALU_DEP_2)
	v_sub_nc_u32_e32 v38, v38, v40
	v_min_u32_e32 v40, 32, v41
	s_delay_alu instid0(VALU_DEP_1) | instskip(NEXT) | instid1(VALU_DEP_3)
	v_add_lshl_u32 v39, v40, v39, 23
	v_or_b32_e32 v37, v37, v38
	v_not_b32_e32 v38, v40
	s_delay_alu instid0(VALU_DEP_2) | instskip(NEXT) | instid1(VALU_DEP_2)
	v_dual_mul_f32 v41, 0x3fc90fda, v37 :: v_dual_sub_nc_u32 v34, v34, v39
	v_alignbit_b32 v30, v35, v30, v38
	s_delay_alu instid0(VALU_DEP_2) | instskip(NEXT) | instid1(VALU_DEP_1)
	v_fma_f32 v35, 0x3fc90fda, v37, -v41
	v_dual_fmac_f32 v35, 0x33a22168, v37 :: v_dual_lshrrev_b32 v30, 9, v30
	s_delay_alu instid0(VALU_DEP_1) | instskip(NEXT) | instid1(VALU_DEP_1)
	v_or_b32_e32 v30, v34, v30
	v_dual_fmac_f32 v35, 0x3fc90fda, v30 :: v_dual_lshrrev_b32 v30, 30, v24
	s_delay_alu instid0(VALU_DEP_1)
	v_dual_add_f32 v24, v41, v35 :: v_dual_add_nc_u32 v30, v36, v30
.LBB254_46:                             ;   in Loop: Header=BB254_4 Depth=1
	s_or_saveexec_b32 s6, s38
	v_mul_f32_e64 v34, 0x3f22f983, |v25|
	s_delay_alu instid0(VALU_DEP_1)
	v_rndne_f32_e32 v36, v34
	s_xor_b32 exec_lo, exec_lo, s6
; %bb.47:                               ;   in Loop: Header=BB254_4 Depth=1
	s_delay_alu instid0(VALU_DEP_1) | instskip(SKIP_1) | instid1(VALU_DEP_2)
	v_fma_f32 v24, 0xbfc90fda, v36, |v25|
	v_cvt_i32_f32_e32 v30, v36
	v_fmac_f32_e32 v24, 0xb3a22168, v36
	s_delay_alu instid0(VALU_DEP_1)
	v_fmac_f32_e32 v24, 0xa7c234c4, v36
; %bb.48:                               ;   in Loop: Header=BB254_4 Depth=1
	s_or_b32 exec_lo, exec_lo, s6
                                        ; implicit-def: $vgpr35
                                        ; implicit-def: $vgpr34
	s_and_saveexec_b32 s6, s37
	s_delay_alu instid0(SALU_CYCLE_1)
	s_xor_b32 s37, exec_lo, s6
	s_cbranch_execz .LBB254_50
; %bb.49:                               ;   in Loop: Header=BB254_4 Depth=1
	v_mul_u64_e32 v[34:35], s[26:27], v[4:5]
	v_mov_b32_e32 v37, v5
	v_cmp_lt_u32_e32 vcc_lo, 63, v33
	s_delay_alu instid0(VALU_DEP_3) | instskip(SKIP_1) | instid1(VALU_DEP_2)
	v_dual_mov_b32 v47, v5 :: v_dual_mov_b32 v36, v35
	v_cndmask_b32_e64 v35, 0, 0xffffffc0, vcc_lo
	v_mad_nc_u64_u32 v[36:37], 0x3c439041, v4, v[36:37]
	s_delay_alu instid0(VALU_DEP_2) | instskip(NEXT) | instid1(VALU_DEP_1)
	v_dual_mov_b32 v39, v5 :: v_dual_add_nc_u32 v33, v35, v33
	v_cmp_lt_u32_e64 s6, 31, v33
	s_delay_alu instid0(VALU_DEP_3) | instskip(NEXT) | instid1(VALU_DEP_2)
	v_mov_b32_e32 v38, v37
	v_cndmask_b32_e64 v35, 0, 0xffffffe0, s6
	s_delay_alu instid0(VALU_DEP_2) | instskip(NEXT) | instid1(VALU_DEP_1)
	v_mad_nc_u64_u32 v[38:39], 0xdb629599, v4, v[38:39]
	v_dual_mov_b32 v41, v5 :: v_dual_mov_b32 v40, v39
	s_delay_alu instid0(VALU_DEP_2) | instskip(NEXT) | instid1(VALU_DEP_2)
	v_cndmask_b32_e32 v34, v38, v34, vcc_lo
	v_mad_nc_u64_u32 v[40:41], 0xf534ddc0, v4, v[40:41]
	s_delay_alu instid0(VALU_DEP_1) | instskip(NEXT) | instid1(VALU_DEP_1)
	v_dual_mov_b32 v43, v5 :: v_dual_mov_b32 v42, v41
	v_mad_nc_u64_u32 v[42:43], 0xfc2757d1, v4, v[42:43]
	s_delay_alu instid0(VALU_DEP_1) | instskip(NEXT) | instid1(VALU_DEP_2)
	v_dual_mov_b32 v45, v5 :: v_dual_mov_b32 v44, v43
	v_cndmask_b32_e32 v41, v42, v38, vcc_lo
	s_delay_alu instid0(VALU_DEP_2) | instskip(NEXT) | instid1(VALU_DEP_1)
	v_mad_nc_u64_u32 v[44:45], 0x4e441529, v4, v[44:45]
	v_mov_b32_e32 v46, v45
	s_delay_alu instid0(VALU_DEP_1) | instskip(NEXT) | instid1(VALU_DEP_3)
	v_mad_nc_u64_u32 v[46:47], 0xa2f9836e, v4, v[46:47]
	v_dual_cndmask_b32 v35, v44, v40 :: v_dual_add_nc_u32 v4, v35, v33
	s_delay_alu instid0(VALU_DEP_1) | instskip(NEXT) | instid1(VALU_DEP_1)
	v_cmp_lt_u32_e64 s7, 31, v4
	v_cndmask_b32_e64 v33, 0, 0xffffffe0, s7
	s_delay_alu instid0(VALU_DEP_4) | instskip(NEXT) | instid1(VALU_DEP_2)
	v_dual_cndmask_b32 v37, v46, v42, vcc_lo :: v_dual_cndmask_b32 v39, v47, v44, vcc_lo
	v_add_nc_u32_e32 v4, v33, v4
	s_delay_alu instid0(VALU_DEP_2) | instskip(NEXT) | instid1(VALU_DEP_3)
	v_dual_cndmask_b32 v33, v40, v36, vcc_lo :: v_dual_cndmask_b32 v36, v37, v35, s6
	v_cndmask_b32_e64 v37, v39, v37, s6
	s_delay_alu instid0(VALU_DEP_3) | instskip(NEXT) | instid1(VALU_DEP_3)
	v_dual_cndmask_b32 v35, v35, v41, s6 :: v_dual_sub_nc_u32 v39, 32, v4
	v_cndmask_b32_e64 v40, v41, v33, s6
	v_cmp_eq_u32_e32 vcc_lo, 0, v4
	s_delay_alu instid0(VALU_DEP_3) | instskip(NEXT) | instid1(VALU_DEP_1)
	v_dual_cndmask_b32 v37, v37, v36, s7 :: v_dual_cndmask_b32 v36, v36, v35, s7
	v_alignbit_b32 v41, v37, v36, v39
	s_delay_alu instid0(VALU_DEP_1) | instskip(NEXT) | instid1(VALU_DEP_1)
	v_dual_cndmask_b32 v35, v35, v40, s7 :: v_dual_cndmask_b32 v4, v41, v37, vcc_lo
	v_alignbit_b32 v38, v36, v35, v39
	s_delay_alu instid0(VALU_DEP_1) | instskip(NEXT) | instid1(VALU_DEP_3)
	v_dual_cndmask_b32 v33, v33, v34, s6 :: v_dual_cndmask_b32 v34, v38, v36, vcc_lo
	v_bfe_u32 v36, v4, 29, 1
	s_delay_alu instid0(VALU_DEP_2) | instskip(NEXT) | instid1(VALU_DEP_3)
	v_cndmask_b32_e64 v33, v40, v33, s7
	v_alignbit_b32 v37, v4, v34, 30
	s_delay_alu instid0(VALU_DEP_3) | instskip(NEXT) | instid1(VALU_DEP_3)
	v_sub_nc_u32_e32 v38, 0, v36
	v_alignbit_b32 v39, v35, v33, v39
	s_delay_alu instid0(VALU_DEP_1) | instskip(NEXT) | instid1(VALU_DEP_1)
	v_dual_cndmask_b32 v35, v39, v35, vcc_lo :: v_dual_bitop2_b32 v37, v37, v38 bitop3:0x14
	v_clz_i32_u32_e32 v39, v37
	s_delay_alu instid0(VALU_DEP_2) | instskip(SKIP_1) | instid1(VALU_DEP_3)
	v_alignbit_b32 v34, v34, v35, 30
	v_alignbit_b32 v33, v35, v33, 30
	v_min_u32_e32 v39, 32, v39
	s_delay_alu instid0(VALU_DEP_3) | instskip(NEXT) | instid1(VALU_DEP_3)
	v_xor_b32_e32 v34, v34, v38
	v_dual_lshrrev_b32 v38, 29, v4 :: v_dual_bitop2_b32 v33, v33, v38 bitop3:0x14
	s_delay_alu instid0(VALU_DEP_3) | instskip(SKIP_1) | instid1(VALU_DEP_2)
	v_dual_lshrrev_b32 v4, 30, v4 :: v_dual_sub_nc_u32 v35, 31, v39
	v_lshlrev_b32_e32 v40, 23, v39
	v_alignbit_b32 v37, v37, v34, v35
	s_delay_alu instid0(VALU_DEP_4) | instskip(SKIP_1) | instid1(VALU_DEP_2)
	v_alignbit_b32 v33, v34, v33, v35
	v_lshlrev_b32_e32 v34, 31, v38
	v_alignbit_b32 v35, v37, v33, 9
	s_delay_alu instid0(VALU_DEP_2) | instskip(SKIP_1) | instid1(VALU_DEP_3)
	v_dual_lshrrev_b32 v37, 9, v37 :: v_dual_bitop2_b32 v38, 0.5, v34 bitop3:0x54
	v_or_b32_e32 v34, 0x33000000, v34
	v_clz_i32_u32_e32 v41, v35
	s_delay_alu instid0(VALU_DEP_3) | instskip(NEXT) | instid1(VALU_DEP_2)
	v_sub_nc_u32_e32 v38, v38, v40
	v_min_u32_e32 v40, 32, v41
	s_delay_alu instid0(VALU_DEP_1) | instskip(NEXT) | instid1(VALU_DEP_3)
	v_add_lshl_u32 v39, v40, v39, 23
	v_or_b32_e32 v37, v37, v38
	v_not_b32_e32 v38, v40
	s_delay_alu instid0(VALU_DEP_2) | instskip(NEXT) | instid1(VALU_DEP_2)
	v_dual_mul_f32 v41, 0x3fc90fda, v37 :: v_dual_sub_nc_u32 v34, v34, v39
	v_alignbit_b32 v33, v35, v33, v38
	s_delay_alu instid0(VALU_DEP_2) | instskip(NEXT) | instid1(VALU_DEP_2)
	v_fma_f32 v35, 0x3fc90fda, v37, -v41
	v_lshrrev_b32_e32 v33, 9, v33
	s_delay_alu instid0(VALU_DEP_2) | instskip(NEXT) | instid1(VALU_DEP_2)
	v_fmac_f32_e32 v35, 0x33a22168, v37
	v_or_b32_e32 v33, v34, v33
	s_delay_alu instid0(VALU_DEP_1) | instskip(NEXT) | instid1(VALU_DEP_1)
	v_fmac_f32_e32 v35, 0x3fc90fda, v33
	v_dual_add_f32 v34, v41, v35 :: v_dual_add_nc_u32 v35, v36, v4
                                        ; implicit-def: $vgpr36
	s_and_not1_saveexec_b32 s6, s37
	s_cbranch_execnz .LBB254_51
	s_branch .LBB254_52
.LBB254_50:                             ;   in Loop: Header=BB254_4 Depth=1
	s_and_not1_saveexec_b32 s6, s37
.LBB254_51:                             ;   in Loop: Header=BB254_4 Depth=1
	v_fma_f32 v34, 0xbfc90fda, v36, |v25|
	v_cvt_i32_f32_e32 v35, v36
	s_delay_alu instid0(VALU_DEP_2) | instskip(NEXT) | instid1(VALU_DEP_1)
	v_fmac_f32_e32 v34, 0xb3a22168, v36
	v_fmac_f32_e32 v34, 0xa7c234c4, v36
.LBB254_52:                             ;   in Loop: Header=BB254_4 Depth=1
	s_or_b32 exec_lo, exec_lo, s6
	s_delay_alu instid0(VALU_DEP_1) | instskip(SKIP_1) | instid1(VALU_DEP_2)
	v_dual_mul_f32 v4, v24, v24 :: v_dual_mul_f32 v33, v34, v34
	v_dual_lshlrev_b32 v30, 30, v30 :: v_dual_bitop2_b32 v36, 1, v30 bitop3:0x40
	v_fmaak_f32 v39, s31, v33, 0x3c0881c4
	s_delay_alu instid0(VALU_DEP_2) | instskip(NEXT) | instid1(VALU_DEP_2)
	v_cmp_eq_u32_e32 vcc_lo, 0, v36
	v_fmaak_f32 v39, v33, v39, 0xbe2aaa9d
	s_delay_alu instid0(VALU_DEP_1) | instskip(NEXT) | instid1(VALU_DEP_1)
	v_dual_fmaak_f32 v40, s33, v33, 0xbab64f3b :: v_dual_mul_f32 v39, v33, v39
	v_fmaak_f32 v40, v33, v40, 0x3d2aabf7
	s_delay_alu instid0(VALU_DEP_2) | instskip(NEXT) | instid1(VALU_DEP_2)
	v_dual_fmaak_f32 v37, s31, v4, 0x3c0881c4 :: v_dual_fmac_f32 v34, v34, v39
	v_fmaak_f32 v40, v33, v40, 0xbf000004
	s_delay_alu instid0(VALU_DEP_1) | instskip(NEXT) | instid1(VALU_DEP_3)
	v_fma_f32 v33, v33, v40, 1.0
	v_fmaak_f32 v37, v4, v37, 0xbe2aaa9d
	s_delay_alu instid0(VALU_DEP_1) | instskip(NEXT) | instid1(VALU_DEP_1)
	v_dual_fmaak_f32 v38, s33, v4, 0xbab64f3b :: v_dual_mul_f32 v37, v4, v37
	v_fmaak_f32 v38, v4, v38, 0x3d2aabf7
	s_delay_alu instid0(VALU_DEP_2) | instskip(NEXT) | instid1(VALU_DEP_2)
	v_dual_fmac_f32 v24, v24, v37 :: v_dual_bitop2_b32 v41, 1, v35 bitop3:0x40
	v_dual_fmaak_f32 v38, v4, v38, 0xbf000004 :: v_dual_lshlrev_b32 v35, 30, v35
	s_delay_alu instid0(VALU_DEP_1) | instskip(NEXT) | instid1(VALU_DEP_2)
	v_and_or_b32 v32, 0x80000000, v35, v32
	v_fma_f32 v4, v4, v38, 1.0
	s_delay_alu instid0(VALU_DEP_1) | instskip(SKIP_1) | instid1(VALU_DEP_2)
	v_cndmask_b32_e64 v4, -v24, v4, vcc_lo
	v_cmp_eq_u32_e32 vcc_lo, 0, v41
	v_bitop3_b32 v4, v30, v4, 0x80000000 bitop3:0x6c
	v_cndmask_b32_e32 v24, v33, v34, vcc_lo
	v_cmp_class_f32_e64 vcc_lo, v25, 0x1f8
	s_delay_alu instid0(VALU_DEP_2) | instskip(NEXT) | instid1(VALU_DEP_4)
	v_xor3_b32 v24, v32, v24, v31
	v_cndmask_b32_e32 v30, 0x7fc00000, v4, vcc_lo
	s_delay_alu instid0(VALU_DEP_2)
	v_cndmask_b32_e32 v31, 0x7fc00000, v24, vcc_lo
.LBB254_53:                             ;   in Loop: Header=BB254_4 Depth=1
	s_or_b32 exec_lo, exec_lo, s36
                                        ; implicit-def: $vgpr24
.LBB254_54:                             ;   in Loop: Header=BB254_4 Depth=1
	s_and_not1_saveexec_b32 s6, s35
	s_cbranch_execz .LBB254_56
; %bb.55:                               ;   in Loop: Header=BB254_4 Depth=1
	v_mul_f32_e32 v4, 0xbfb8aa3b, v24
	v_cmp_nlt_f32_e32 vcc_lo, 0x42ce8ed0, v24
	s_delay_alu instid0(VALU_DEP_2) | instskip(SKIP_1) | instid1(VALU_DEP_2)
	v_rndne_f32_e32 v25, v4
	v_fma_f32 v30, 0xbfb8aa3b, v24, -v4
	v_sub_f32_e32 v4, v4, v25
	s_delay_alu instid0(VALU_DEP_2) | instskip(SKIP_1) | instid1(VALU_DEP_2)
	v_fmac_f32_e32 v30, 0xb2a5705f, v24
	v_cvt_i32_f32_e32 v25, v25
	v_add_f32_e32 v4, v4, v30
	s_delay_alu instid0(VALU_DEP_1) | instskip(SKIP_1) | instid1(TRANS32_DEP_1)
	v_exp_f32_e32 v4, v4
	v_nop
	v_ldexp_f32 v4, v4, v25
	s_delay_alu instid0(VALU_DEP_1) | instskip(SKIP_1) | instid1(VALU_DEP_2)
	v_cndmask_b32_e32 v4, 0, v4, vcc_lo
	v_cmp_ngt_f32_e32 vcc_lo, 0xc2b17218, v24
	v_cndmask_b32_e32 v30, 0x7f800000, v4, vcc_lo
.LBB254_56:                             ;   in Loop: Header=BB254_4 Depth=1
	s_or_b32 exec_lo, exec_lo, s6
	v_mov_b64_e32 v[24:25], s[8:9]
	s_mov_b32 s6, exec_lo
	s_delay_alu instid0(VALU_DEP_1) | instskip(NEXT) | instid1(VALU_DEP_1)
	v_pk_add_f32 v[30:31], v[30:31], v[24:25]
                                        ; implicit-def: $vgpr24_vgpr25
	v_cmp_gt_f32_e32 vcc_lo, 0, v31
	v_cndmask_b32_e64 v4, v31, -v31, vcc_lo
	s_delay_alu instid0(VALU_DEP_3) | instskip(SKIP_1) | instid1(VALU_DEP_1)
	v_cmp_gt_f32_e32 vcc_lo, 0, v30
	v_cndmask_b32_e64 v32, v30, -v30, vcc_lo
	v_cmpx_ge_f32_e32 v32, v4
	s_xor_b32 s7, exec_lo, s6
	s_cbranch_execz .LBB254_62
; %bb.57:                               ;   in Loop: Header=BB254_4 Depth=1
	v_cmp_neq_f32_e32 vcc_lo, 0, v30
	v_cmp_neq_f32_e64 s6, 0, v31
                                        ; implicit-def: $vgpr24_vgpr25
	s_or_b32 s6, vcc_lo, s6
	s_delay_alu instid0(SALU_CYCLE_1) | instskip(NEXT) | instid1(SALU_CYCLE_1)
	s_and_saveexec_b32 s35, s6
	s_xor_b32 s6, exec_lo, s35
	s_cbranch_execz .LBB254_59
; %bb.58:                               ;   in Loop: Header=BB254_4 Depth=1
	v_div_scale_f32 v4, null, v30, v30, v31
	v_div_scale_f32 v32, vcc_lo, v31, v30, v31
	s_delay_alu instid0(VALU_DEP_2) | instskip(SKIP_1) | instid1(TRANS32_DEP_1)
	v_rcp_f32_e32 v24, v4
	v_nop
	v_fma_f32 v25, -v4, v24, 1.0
	s_delay_alu instid0(VALU_DEP_1) | instskip(NEXT) | instid1(VALU_DEP_1)
	v_fmac_f32_e32 v24, v25, v24
	v_mul_f32_e32 v25, v32, v24
	s_delay_alu instid0(VALU_DEP_1) | instskip(NEXT) | instid1(VALU_DEP_1)
	v_fma_f32 v33, -v4, v25, v32
	v_fmac_f32_e32 v25, v33, v24
	s_delay_alu instid0(VALU_DEP_1) | instskip(NEXT) | instid1(VALU_DEP_1)
	v_fma_f32 v4, -v4, v25, v32
	v_div_fmas_f32 v4, v4, v24, v25
	s_delay_alu instid0(VALU_DEP_1) | instskip(NEXT) | instid1(VALU_DEP_1)
	v_div_fixup_f32 v4, v4, v30, v31
	v_fmac_f32_e32 v30, v31, v4
	s_delay_alu instid0(VALU_DEP_1) | instskip(SKIP_1) | instid1(VALU_DEP_2)
	v_div_scale_f32 v31, null, v30, v30, 1.0
	v_div_scale_f32 v32, vcc_lo, 1.0, v30, 1.0
	v_rcp_f32_e32 v34, v31
	v_nop
	s_delay_alu instid0(TRANS32_DEP_1) | instskip(NEXT) | instid1(VALU_DEP_1)
	v_fma_f32 v24, -v31, v34, 1.0
	v_fmac_f32_e32 v34, v24, v34
	s_delay_alu instid0(VALU_DEP_1) | instskip(NEXT) | instid1(VALU_DEP_1)
	v_mul_f32_e32 v35, v32, v34
	v_fma_f32 v24, -v31, v35, v32
	s_delay_alu instid0(VALU_DEP_1) | instskip(SKIP_1) | instid1(VALU_DEP_2)
	v_fmac_f32_e32 v35, v24, v34
	v_mov_b64_e32 v[24:25], s[8:9]
	v_fma_f32 v31, -v31, v35, v32
	v_mov_b64_e32 v[32:33], s[16:17]
	s_delay_alu instid0(VALU_DEP_2) | instskip(NEXT) | instid1(VALU_DEP_2)
	v_div_fmas_f32 v31, v31, v34, v35
	v_pk_fma_f32 v[34:35], v[4:5], v[32:33], v[24:25] op_sel_hi:[0,1,1] neg_lo:[1,0,0] neg_hi:[1,0,0]
	v_pk_fma_f32 v[24:25], v[4:5], v[32:33], v[24:25]
	s_delay_alu instid0(VALU_DEP_3) | instskip(NEXT) | instid1(VALU_DEP_3)
	v_div_fixup_f32 v4, v31, v30, 1.0
                                        ; implicit-def: $vgpr32
	v_mov_b32_e32 v25, v35
	s_delay_alu instid0(VALU_DEP_1)
	v_pk_mul_f32 v[24:25], v[24:25], v[4:5] op_sel_hi:[1,0]
                                        ; implicit-def: $vgpr4
.LBB254_59:                             ;   in Loop: Header=BB254_4 Depth=1
	s_and_not1_saveexec_b32 s35, s6
	s_cbranch_execz .LBB254_61
; %bb.60:                               ;   in Loop: Header=BB254_4 Depth=1
	v_div_scale_f32 v24, null, v4, v4, s9
	v_div_scale_f32 v25, null, v32, v32, s8
	v_div_scale_f32 v35, vcc_lo, s9, v4, s9
	s_delay_alu instid0(VALU_DEP_3) | instskip(NEXT) | instid1(VALU_DEP_2)
	v_rcp_f32_e32 v30, v24
	v_rcp_f32_e32 v31, v25
	s_delay_alu instid0(TRANS32_DEP_2) | instskip(NEXT) | instid1(TRANS32_DEP_1)
	v_fma_f32 v33, -v24, v30, 1.0
	v_fma_f32 v34, -v25, v31, 1.0
	s_delay_alu instid0(VALU_DEP_1) | instskip(SKIP_1) | instid1(VALU_DEP_1)
	v_dual_fmac_f32 v30, v33, v30 :: v_dual_fmac_f32 v31, v34, v31
	v_div_scale_f32 v33, s6, s8, v32, s8
	v_dual_mul_f32 v34, v35, v30 :: v_dual_mul_f32 v36, v33, v31
	s_delay_alu instid0(VALU_DEP_1) | instskip(NEXT) | instid1(VALU_DEP_1)
	v_dual_fma_f32 v37, -v24, v34, v35 :: v_dual_fma_f32 v38, -v25, v36, v33
	v_dual_fmac_f32 v34, v37, v30 :: v_dual_fmac_f32 v36, v38, v31
	s_delay_alu instid0(VALU_DEP_1) | instskip(NEXT) | instid1(VALU_DEP_1)
	v_dual_fma_f32 v24, -v24, v34, v35 :: v_dual_fma_f32 v25, -v25, v36, v33
	v_div_fmas_f32 v24, v24, v30, v34
	s_mov_b32 vcc_lo, s6
	s_delay_alu instid0(VALU_DEP_2) | instskip(NEXT) | instid1(VALU_DEP_2)
	v_div_fmas_f32 v30, v25, v31, v36
	v_div_fixup_f32 v25, v24, v4, s9
	s_delay_alu instid0(VALU_DEP_2)
	v_div_fixup_f32 v24, v30, v32, s8
.LBB254_61:                             ;   in Loop: Header=BB254_4 Depth=1
	s_or_b32 exec_lo, exec_lo, s35
                                        ; implicit-def: $vgpr30_vgpr31
.LBB254_62:                             ;   in Loop: Header=BB254_4 Depth=1
	s_and_not1_saveexec_b32 s6, s7
	s_cbranch_execz .LBB254_64
; %bb.63:                               ;   in Loop: Header=BB254_4 Depth=1
	v_div_scale_f32 v4, null, v31, v31, v30
	v_div_scale_f32 v32, vcc_lo, v30, v31, v30
	s_delay_alu instid0(VALU_DEP_2) | instskip(SKIP_1) | instid1(TRANS32_DEP_1)
	v_rcp_f32_e32 v24, v4
	v_nop
	v_fma_f32 v25, -v4, v24, 1.0
	s_delay_alu instid0(VALU_DEP_1) | instskip(NEXT) | instid1(VALU_DEP_1)
	v_fmac_f32_e32 v24, v25, v24
	v_mul_f32_e32 v25, v32, v24
	s_delay_alu instid0(VALU_DEP_1) | instskip(NEXT) | instid1(VALU_DEP_1)
	v_fma_f32 v33, -v4, v25, v32
	v_fmac_f32_e32 v25, v33, v24
	s_delay_alu instid0(VALU_DEP_1) | instskip(NEXT) | instid1(VALU_DEP_1)
	v_fma_f32 v4, -v4, v25, v32
	v_div_fmas_f32 v4, v4, v24, v25
	s_delay_alu instid0(VALU_DEP_1) | instskip(NEXT) | instid1(VALU_DEP_1)
	v_div_fixup_f32 v4, v4, v31, v30
	v_fmac_f32_e32 v31, v30, v4
	s_delay_alu instid0(VALU_DEP_1) | instskip(SKIP_1) | instid1(VALU_DEP_2)
	v_div_scale_f32 v30, null, v31, v31, 1.0
	v_div_scale_f32 v32, vcc_lo, 1.0, v31, 1.0
	v_rcp_f32_e32 v34, v30
	v_nop
	s_delay_alu instid0(TRANS32_DEP_1) | instskip(NEXT) | instid1(VALU_DEP_1)
	v_fma_f32 v24, -v30, v34, 1.0
	v_fmac_f32_e32 v34, v24, v34
	s_delay_alu instid0(VALU_DEP_1) | instskip(NEXT) | instid1(VALU_DEP_1)
	v_mul_f32_e32 v35, v32, v34
	v_fma_f32 v24, -v30, v35, v32
	s_delay_alu instid0(VALU_DEP_1) | instskip(SKIP_1) | instid1(VALU_DEP_2)
	v_fmac_f32_e32 v35, v24, v34
	v_mov_b64_e32 v[24:25], s[16:17]
	v_fma_f32 v30, -v30, v35, v32
	v_mov_b64_e32 v[32:33], s[8:9]
	s_delay_alu instid0(VALU_DEP_2) | instskip(NEXT) | instid1(VALU_DEP_2)
	v_div_fmas_f32 v30, v30, v34, v35
	v_pk_fma_f32 v[34:35], v[4:5], v[32:33], v[24:25] op_sel_hi:[0,1,1] neg_lo:[0,0,1] neg_hi:[0,0,1]
	v_pk_fma_f32 v[24:25], v[4:5], v[32:33], v[24:25]
	s_delay_alu instid0(VALU_DEP_3) | instskip(NEXT) | instid1(VALU_DEP_3)
	v_div_fixup_f32 v4, v30, v31, 1.0
	v_mov_b32_e32 v25, v35
	s_delay_alu instid0(VALU_DEP_1)
	v_pk_mul_f32 v[24:25], v[24:25], v[4:5] op_sel_hi:[1,0]
.LBB254_64:                             ;   in Loop: Header=BB254_4 Depth=1
	s_or_b32 exec_lo, exec_lo, s6
	v_and_b32_e32 v32, 0x7fffffff, v29
	v_xor_b32_e32 v31, 0x80000000, v29
	s_mov_b32 s6, exec_lo
	s_delay_alu instid0(VALU_DEP_2)
	v_cmpx_ne_u32_e32 0, v32
	s_xor_b32 s35, exec_lo, s6
	s_cbranch_execz .LBB254_106
; %bb.65:                               ;   in Loop: Header=BB254_4 Depth=1
	v_and_b32_e32 v33, 0x7fffffff, v28
	s_mov_b32 s6, exec_lo
	s_delay_alu instid0(VALU_DEP_1)
	v_cmpx_ne_u32_e32 0, v33
	s_xor_b32 s36, exec_lo, s6
	s_cbranch_execz .LBB254_95
; %bb.66:                               ;   in Loop: Header=BB254_4 Depth=1
	v_xor_b32_e32 v4, 0x80000000, v28
	s_mov_b32 s6, exec_lo
	v_cmpx_gt_u32_e32 0x7f800000, v32
	s_xor_b32 s37, exec_lo, s6
	s_cbranch_execz .LBB254_88
; %bb.67:                               ;   in Loop: Header=BB254_4 Depth=1
	v_add_nc_u32_e32 v4, 0xbd4e8de8, v4
	s_mov_b32 s6, exec_lo
	s_delay_alu instid0(VALU_DEP_1)
	v_cmpx_lt_u32_e32 0x8e8e5c, v4
	s_xor_b32 s38, exec_lo, s6
	s_cbranch_execz .LBB254_77
; %bb.68:                               ;   in Loop: Header=BB254_4 Depth=1
	v_cmp_ngt_f32_e64 s39, 0x48000000, |v29|
                                        ; implicit-def: $vgpr33
                                        ; implicit-def: $vgpr30
	s_and_saveexec_b32 s6, s39
	s_delay_alu instid0(SALU_CYCLE_1)
	s_xor_b32 s40, exec_lo, s6
	s_cbranch_execz .LBB254_70
; %bb.69:                               ;   in Loop: Header=BB254_4 Depth=1
	v_and_or_b32 v4, v32, s30, 0x800000
	v_dual_mov_b32 v45, v5 :: v_dual_lshrrev_b32 v30, 23, v32
	v_mov_b32_e32 v47, v5
	s_delay_alu instid0(VALU_DEP_3) | instskip(NEXT) | instid1(VALU_DEP_3)
	v_mul_u64_e32 v[34:35], s[26:27], v[4:5]
	v_dual_mov_b32 v37, v5 :: v_dual_add_nc_u32 v30, 0xffffff88, v30
	s_delay_alu instid0(VALU_DEP_1) | instskip(SKIP_1) | instid1(VALU_DEP_1)
	v_cmp_lt_u32_e32 vcc_lo, 63, v30
	v_cndmask_b32_e64 v33, 0, 0xffffffc0, vcc_lo
	v_add_nc_u32_e32 v30, v33, v30
	s_delay_alu instid0(VALU_DEP_1) | instskip(NEXT) | instid1(VALU_DEP_1)
	v_cmp_lt_u32_e64 s6, 31, v30
	v_cndmask_b32_e64 v33, 0, 0xffffffe0, s6
	v_mov_b32_e32 v36, v35
	s_delay_alu instid0(VALU_DEP_1) | instskip(NEXT) | instid1(VALU_DEP_1)
	v_mad_nc_u64_u32 v[36:37], 0x3c439041, v4, v[36:37]
	v_dual_mov_b32 v39, v5 :: v_dual_mov_b32 v38, v37
	s_delay_alu instid0(VALU_DEP_1) | instskip(NEXT) | instid1(VALU_DEP_1)
	v_mad_nc_u64_u32 v[38:39], 0xdb629599, v4, v[38:39]
	v_dual_mov_b32 v41, v5 :: v_dual_mov_b32 v40, v39
	;; [unrolled: 3-line block ×3, first 2 shown]
	s_delay_alu instid0(VALU_DEP_1) | instskip(NEXT) | instid1(VALU_DEP_1)
	v_mad_nc_u64_u32 v[42:43], 0xfc2757d1, v4, v[42:43]
	v_mov_b32_e32 v44, v43
	s_delay_alu instid0(VALU_DEP_1) | instskip(NEXT) | instid1(VALU_DEP_1)
	v_mad_nc_u64_u32 v[44:45], 0x4e441529, v4, v[44:45]
	v_mov_b32_e32 v46, v45
	s_delay_alu instid0(VALU_DEP_1) | instskip(NEXT) | instid1(VALU_DEP_3)
	v_mad_nc_u64_u32 v[46:47], 0xa2f9836e, v4, v[46:47]
	v_dual_cndmask_b32 v33, v44, v40 :: v_dual_add_nc_u32 v4, v33, v30
	s_delay_alu instid0(VALU_DEP_2) | instskip(NEXT) | instid1(VALU_DEP_2)
	v_cndmask_b32_e32 v37, v47, v44, vcc_lo
	v_cmp_lt_u32_e64 s7, 31, v4
	s_delay_alu instid0(VALU_DEP_4) | instskip(SKIP_1) | instid1(VALU_DEP_3)
	v_cndmask_b32_e32 v35, v46, v42, vcc_lo
	v_cndmask_b32_e32 v39, v42, v38, vcc_lo
	v_cndmask_b32_e64 v30, 0, 0xffffffe0, s7
	s_delay_alu instid0(VALU_DEP_1) | instskip(NEXT) | instid1(VALU_DEP_4)
	v_add_nc_u32_e32 v4, v30, v4
	v_dual_cndmask_b32 v30, v40, v36, vcc_lo :: v_dual_cndmask_b32 v36, v35, v33, s6
	v_cndmask_b32_e64 v35, v37, v35, s6
	s_delay_alu instid0(VALU_DEP_3) | instskip(NEXT) | instid1(VALU_DEP_3)
	v_dual_cndmask_b32 v33, v33, v39, s6 :: v_dual_sub_nc_u32 v37, 32, v4
	v_cndmask_b32_e64 v39, v39, v30, s6
	s_delay_alu instid0(VALU_DEP_2) | instskip(NEXT) | instid1(VALU_DEP_2)
	v_dual_cndmask_b32 v35, v35, v36, s7 :: v_dual_cndmask_b32 v36, v36, v33, s7
	v_cndmask_b32_e64 v33, v33, v39, s7
	s_delay_alu instid0(VALU_DEP_2) | instskip(SKIP_2) | instid1(VALU_DEP_4)
	v_alignbit_b32 v40, v35, v36, v37
	v_cndmask_b32_e32 v34, v38, v34, vcc_lo
	v_cmp_eq_u32_e32 vcc_lo, 0, v4
	v_alignbit_b32 v38, v36, v33, v37
	s_delay_alu instid0(VALU_DEP_4) | instskip(NEXT) | instid1(VALU_DEP_1)
	v_cndmask_b32_e32 v4, v40, v35, vcc_lo
	v_bfe_u32 v35, v4, 29, 1
	v_cndmask_b32_e64 v30, v30, v34, s6
	s_delay_alu instid0(VALU_DEP_2) | instskip(NEXT) | instid1(VALU_DEP_2)
	v_dual_cndmask_b32 v34, v38, v36, vcc_lo :: v_dual_sub_nc_u32 v38, 0, v35
	v_cndmask_b32_e64 v30, v39, v30, s7
	s_delay_alu instid0(VALU_DEP_2) | instskip(NEXT) | instid1(VALU_DEP_2)
	v_alignbit_b32 v36, v4, v34, 30
	v_alignbit_b32 v37, v33, v30, v37
	s_delay_alu instid0(VALU_DEP_1) | instskip(NEXT) | instid1(VALU_DEP_1)
	v_dual_cndmask_b32 v33, v37, v33, vcc_lo :: v_dual_bitop2_b32 v36, v36, v38 bitop3:0x14
	v_clz_i32_u32_e32 v37, v36
	s_delay_alu instid0(VALU_DEP_2) | instskip(NEXT) | instid1(VALU_DEP_2)
	v_alignbit_b32 v34, v34, v33, 30
	v_min_u32_e32 v37, 32, v37
	v_alignbit_b32 v30, v33, v30, 30
	s_delay_alu instid0(VALU_DEP_2) | instskip(NEXT) | instid1(VALU_DEP_2)
	v_dual_sub_nc_u32 v34, 31, v37 :: v_dual_bitop2_b32 v33, v34, v38 bitop3:0x14
	v_dual_lshrrev_b32 v38, 29, v4 :: v_dual_bitop2_b32 v30, v30, v38 bitop3:0x14
	v_dual_lshlrev_b32 v39, 23, v37 :: v_dual_lshrrev_b32 v4, 30, v4
	s_delay_alu instid0(VALU_DEP_3) | instskip(NEXT) | instid1(VALU_DEP_3)
	v_alignbit_b32 v36, v36, v33, v34
	v_alignbit_b32 v30, v33, v30, v34
	s_delay_alu instid0(VALU_DEP_4) | instskip(NEXT) | instid1(VALU_DEP_2)
	v_lshlrev_b32_e32 v33, 31, v38
	v_alignbit_b32 v34, v36, v30, 9
	s_delay_alu instid0(VALU_DEP_2) | instskip(SKIP_1) | instid1(VALU_DEP_3)
	v_dual_lshrrev_b32 v36, 9, v36 :: v_dual_bitop2_b32 v38, 0.5, v33 bitop3:0x54
	v_or_b32_e32 v33, 0x33000000, v33
	v_clz_i32_u32_e32 v40, v34
	s_delay_alu instid0(VALU_DEP_3) | instskip(NEXT) | instid1(VALU_DEP_2)
	v_sub_nc_u32_e32 v38, v38, v39
	v_min_u32_e32 v39, 32, v40
	s_delay_alu instid0(VALU_DEP_1) | instskip(NEXT) | instid1(VALU_DEP_1)
	v_add_lshl_u32 v37, v39, v37, 23
	v_dual_sub_nc_u32 v33, v33, v37 :: v_dual_bitop2_b32 v36, v36, v38 bitop3:0x54
	v_not_b32_e32 v38, v39
	s_delay_alu instid0(VALU_DEP_2) | instskip(NEXT) | instid1(VALU_DEP_2)
	v_mul_f32_e32 v40, 0x3fc90fda, v36
	v_alignbit_b32 v30, v34, v30, v38
	s_delay_alu instid0(VALU_DEP_2) | instskip(NEXT) | instid1(VALU_DEP_2)
	v_fma_f32 v34, 0x3fc90fda, v36, -v40
	v_lshrrev_b32_e32 v30, 9, v30
	s_delay_alu instid0(VALU_DEP_2) | instskip(NEXT) | instid1(VALU_DEP_2)
	v_fmac_f32_e32 v34, 0x33a22168, v36
	v_dual_add_nc_u32 v33, v35, v4 :: v_dual_bitop2_b32 v30, v33, v30 bitop3:0x54
	s_delay_alu instid0(VALU_DEP_1) | instskip(NEXT) | instid1(VALU_DEP_1)
	v_fmac_f32_e32 v34, 0x3fc90fda, v30
	v_add_f32_e32 v30, v40, v34
	s_and_not1_saveexec_b32 s6, s40
	s_branch .LBB254_71
.LBB254_70:                             ;   in Loop: Header=BB254_4 Depth=1
	s_and_not1_saveexec_b32 s6, s40
.LBB254_71:                             ;   in Loop: Header=BB254_4 Depth=1
	v_mul_f32_e64 v4, 0x3f22f983, |v29|
	s_delay_alu instid0(VALU_DEP_1) | instskip(NEXT) | instid1(VALU_DEP_1)
	v_rndne_f32_e32 v4, v4
	v_fma_f32 v30, 0xbfc90fda, v4, |v29|
	v_cvt_i32_f32_e32 v33, v4
	s_delay_alu instid0(VALU_DEP_2) | instskip(NEXT) | instid1(VALU_DEP_1)
	v_fmac_f32_e32 v30, 0xb3a22168, v4
	v_fmac_f32_e32 v30, 0xa7c234c4, v4
; %bb.72:                               ;   in Loop: Header=BB254_4 Depth=1
	s_or_b32 exec_lo, exec_lo, s6
                                        ; implicit-def: $vgpr34
                                        ; implicit-def: $vgpr4
	s_and_saveexec_b32 s6, s39
	s_delay_alu instid0(SALU_CYCLE_1)
	s_xor_b32 s39, exec_lo, s6
	s_cbranch_execz .LBB254_74
; %bb.73:                               ;   in Loop: Header=BB254_4 Depth=1
	v_and_or_b32 v4, v32, s30, 0x800000
	v_mov_b32_e32 v45, v5
	s_delay_alu instid0(VALU_DEP_2) | instskip(NEXT) | instid1(VALU_DEP_1)
	v_mul_u64_e32 v[34:35], s[26:27], v[4:5]
	v_dual_mov_b32 v37, v5 :: v_dual_mov_b32 v36, v35
	v_lshrrev_b32_e32 v35, 23, v32
	s_delay_alu instid0(VALU_DEP_2) | instskip(SKIP_1) | instid1(VALU_DEP_3)
	v_mad_nc_u64_u32 v[36:37], 0x3c439041, v4, v[36:37]
	v_mov_b32_e32 v39, v5
	v_add_nc_u32_e32 v35, 0xffffff88, v35
	s_delay_alu instid0(VALU_DEP_1) | instskip(NEXT) | instid1(VALU_DEP_4)
	v_cmp_lt_u32_e32 vcc_lo, 63, v35
	v_mov_b32_e32 v38, v37
	v_cndmask_b32_e64 v37, 0, 0xffffffc0, vcc_lo
	s_delay_alu instid0(VALU_DEP_2) | instskip(NEXT) | instid1(VALU_DEP_1)
	v_mad_nc_u64_u32 v[38:39], 0xdb629599, v4, v[38:39]
	v_dual_mov_b32 v41, v5 :: v_dual_mov_b32 v40, v39
	s_delay_alu instid0(VALU_DEP_2) | instskip(NEXT) | instid1(VALU_DEP_2)
	v_cndmask_b32_e32 v34, v38, v34, vcc_lo
	v_mad_nc_u64_u32 v[40:41], 0xf534ddc0, v4, v[40:41]
	s_delay_alu instid0(VALU_DEP_1) | instskip(NEXT) | instid1(VALU_DEP_1)
	v_dual_mov_b32 v43, v5 :: v_dual_mov_b32 v42, v41
	v_mad_nc_u64_u32 v[42:43], 0xfc2757d1, v4, v[42:43]
	s_delay_alu instid0(VALU_DEP_1) | instskip(NEXT) | instid1(VALU_DEP_1)
	v_mov_b32_e32 v44, v43
	v_mad_nc_u64_u32 v[44:45], 0x4e441529, v4, v[44:45]
	v_add_nc_u32_e32 v35, v37, v35
	v_mov_b32_e32 v47, v5
	s_delay_alu instid0(VALU_DEP_2) | instskip(NEXT) | instid1(VALU_DEP_4)
	v_cmp_lt_u32_e64 s6, 31, v35
	v_mov_b32_e32 v46, v45
	s_delay_alu instid0(VALU_DEP_2) | instskip(NEXT) | instid1(VALU_DEP_2)
	v_cndmask_b32_e64 v37, 0, 0xffffffe0, s6
	v_mad_nc_u64_u32 v[46:47], 0xa2f9836e, v4, v[46:47]
	s_delay_alu instid0(VALU_DEP_2) | instskip(NEXT) | instid1(VALU_DEP_2)
	v_dual_cndmask_b32 v37, v44, v40 :: v_dual_add_nc_u32 v4, v37, v35
	v_cndmask_b32_e32 v39, v46, v42, vcc_lo
	s_delay_alu instid0(VALU_DEP_2) | instskip(NEXT) | instid1(VALU_DEP_4)
	v_cmp_lt_u32_e64 s7, 31, v4
	v_dual_cndmask_b32 v41, v47, v44 :: v_dual_cndmask_b32 v42, v42, v38
	s_delay_alu instid0(VALU_DEP_2) | instskip(NEXT) | instid1(VALU_DEP_1)
	v_cndmask_b32_e64 v35, 0, 0xffffffe0, s7
	v_add_nc_u32_e32 v4, v35, v4
	v_dual_cndmask_b32 v35, v40, v36, vcc_lo :: v_dual_cndmask_b32 v36, v39, v37, s6
	s_delay_alu instid0(VALU_DEP_4) | instskip(NEXT) | instid1(VALU_DEP_3)
	v_cndmask_b32_e64 v39, v41, v39, s6
	v_dual_cndmask_b32 v37, v37, v42, s6 :: v_dual_sub_nc_u32 v40, 32, v4
	s_delay_alu instid0(VALU_DEP_3) | instskip(SKIP_1) | instid1(VALU_DEP_3)
	v_cndmask_b32_e64 v41, v42, v35, s6
	v_cmp_eq_u32_e32 vcc_lo, 0, v4
	v_dual_cndmask_b32 v39, v39, v36, s7 :: v_dual_cndmask_b32 v36, v36, v37, s7
	s_delay_alu instid0(VALU_DEP_1) | instskip(NEXT) | instid1(VALU_DEP_1)
	v_alignbit_b32 v42, v39, v36, v40
	v_dual_cndmask_b32 v37, v37, v41, s7 :: v_dual_cndmask_b32 v4, v42, v39, vcc_lo
	s_delay_alu instid0(VALU_DEP_1) | instskip(NEXT) | instid1(VALU_DEP_1)
	v_alignbit_b32 v38, v36, v37, v40
	v_dual_cndmask_b32 v34, v35, v34, s6 :: v_dual_cndmask_b32 v35, v38, v36, vcc_lo
	s_delay_alu instid0(VALU_DEP_3) | instskip(NEXT) | instid1(VALU_DEP_2)
	v_bfe_u32 v36, v4, 29, 1
	v_cndmask_b32_e64 v34, v41, v34, s7
	s_delay_alu instid0(VALU_DEP_3) | instskip(NEXT) | instid1(VALU_DEP_3)
	v_alignbit_b32 v38, v4, v35, 30
	v_sub_nc_u32_e32 v39, 0, v36
	s_delay_alu instid0(VALU_DEP_3) | instskip(NEXT) | instid1(VALU_DEP_1)
	v_alignbit_b32 v40, v37, v34, v40
	v_dual_cndmask_b32 v37, v40, v37, vcc_lo :: v_dual_bitop2_b32 v38, v38, v39 bitop3:0x14
	s_delay_alu instid0(VALU_DEP_1) | instskip(NEXT) | instid1(VALU_DEP_2)
	v_clz_i32_u32_e32 v40, v38
	v_alignbit_b32 v35, v35, v37, 30
	v_alignbit_b32 v34, v37, v34, 30
	s_delay_alu instid0(VALU_DEP_3) | instskip(NEXT) | instid1(VALU_DEP_3)
	v_min_u32_e32 v40, 32, v40
	v_xor_b32_e32 v35, v35, v39
	s_delay_alu instid0(VALU_DEP_3) | instskip(NEXT) | instid1(VALU_DEP_3)
	v_dual_lshrrev_b32 v39, 29, v4 :: v_dual_bitop2_b32 v34, v34, v39 bitop3:0x14
	v_dual_sub_nc_u32 v37, 31, v40 :: v_dual_lshlrev_b32 v41, 23, v40
	s_delay_alu instid0(VALU_DEP_1) | instskip(NEXT) | instid1(VALU_DEP_3)
	v_alignbit_b32 v38, v38, v35, v37
	v_alignbit_b32 v34, v35, v34, v37
	s_delay_alu instid0(VALU_DEP_4) | instskip(NEXT) | instid1(VALU_DEP_2)
	v_lshlrev_b32_e32 v35, 31, v39
	v_alignbit_b32 v37, v38, v34, 9
	s_delay_alu instid0(VALU_DEP_2) | instskip(SKIP_1) | instid1(VALU_DEP_3)
	v_dual_lshrrev_b32 v38, 9, v38 :: v_dual_bitop2_b32 v39, 0.5, v35 bitop3:0x54
	v_or_b32_e32 v35, 0x33000000, v35
	v_clz_i32_u32_e32 v42, v37
	s_delay_alu instid0(VALU_DEP_3) | instskip(NEXT) | instid1(VALU_DEP_2)
	v_sub_nc_u32_e32 v39, v39, v41
	v_min_u32_e32 v41, 32, v42
	s_delay_alu instid0(VALU_DEP_1) | instskip(NEXT) | instid1(VALU_DEP_3)
	v_add_lshl_u32 v40, v41, v40, 23
	v_or_b32_e32 v38, v38, v39
	v_not_b32_e32 v39, v41
	s_delay_alu instid0(VALU_DEP_2) | instskip(NEXT) | instid1(VALU_DEP_2)
	v_dual_mul_f32 v42, 0x3fc90fda, v38 :: v_dual_sub_nc_u32 v35, v35, v40
	v_alignbit_b32 v34, v37, v34, v39
	s_delay_alu instid0(VALU_DEP_2) | instskip(NEXT) | instid1(VALU_DEP_2)
	v_fma_f32 v37, 0x3fc90fda, v38, -v42
	v_lshrrev_b32_e32 v34, 9, v34
	s_delay_alu instid0(VALU_DEP_2) | instskip(NEXT) | instid1(VALU_DEP_2)
	v_fmac_f32_e32 v37, 0x33a22168, v38
	v_or_b32_e32 v34, v35, v34
	s_delay_alu instid0(VALU_DEP_1) | instskip(NEXT) | instid1(VALU_DEP_1)
	v_dual_fmac_f32 v37, 0x3fc90fda, v34 :: v_dual_lshrrev_b32 v34, 30, v4
	v_dual_add_nc_u32 v34, v36, v34 :: v_dual_add_f32 v4, v42, v37
	s_and_not1_saveexec_b32 s6, s39
	s_cbranch_execnz .LBB254_75
	s_branch .LBB254_76
.LBB254_74:                             ;   in Loop: Header=BB254_4 Depth=1
	s_and_not1_saveexec_b32 s6, s39
.LBB254_75:                             ;   in Loop: Header=BB254_4 Depth=1
	v_mul_f32_e64 v4, 0x3f22f983, |v29|
	s_delay_alu instid0(VALU_DEP_1) | instskip(NEXT) | instid1(VALU_DEP_1)
	v_rndne_f32_e32 v34, v4
	v_fma_f32 v4, 0xbfc90fda, v34, |v29|
	s_delay_alu instid0(VALU_DEP_1) | instskip(NEXT) | instid1(VALU_DEP_1)
	v_fmac_f32_e32 v4, 0xb3a22168, v34
	v_fmac_f32_e32 v4, 0xa7c234c4, v34
	v_cvt_i32_f32_e32 v34, v34
.LBB254_76:                             ;   in Loop: Header=BB254_4 Depth=1
	s_or_b32 exec_lo, exec_lo, s6
	s_delay_alu instid0(VALU_DEP_1) | instskip(SKIP_2) | instid1(VALU_DEP_3)
	v_dual_mul_f32 v38, v4, v4 :: v_dual_bitop2_b32 v37, 1, v33 bitop3:0x40
	v_dual_mul_f32 v35, 0xbfb8aa3b, v28 :: v_dual_mul_f32 v36, v30, v30
	v_cmp_ngt_f32_e64 s6, 0xc2b17218, v28
	v_cmp_eq_u32_e32 vcc_lo, 0, v37
	s_delay_alu instid0(VALU_DEP_4) | instskip(NEXT) | instid1(VALU_DEP_4)
	v_fmaak_f32 v43, s31, v38, 0x3c0881c4
	v_rndne_f32_e32 v39, v35
	v_fmaak_f32 v42, s33, v36, 0xbab64f3b
	v_fma_f32 v40, 0xbfb8aa3b, v28, -v35
	v_lshlrev_b32_e32 v33, 30, v33
	v_fmaak_f32 v43, v38, v43, 0xbe2aaa9d
	s_delay_alu instid0(VALU_DEP_4) | instskip(SKIP_1) | instid1(VALU_DEP_3)
	v_dual_sub_f32 v35, v35, v39 :: v_dual_fmaak_f32 v42, v36, v42, 0x3d2aabf7
	v_cvt_i32_f32_e32 v39, v39
	v_mul_f32_e32 v43, v38, v43
	v_fmaak_f32 v41, s31, v36, 0x3c0881c4
	s_delay_alu instid0(VALU_DEP_4) | instskip(NEXT) | instid1(VALU_DEP_3)
	v_fmaak_f32 v42, v36, v42, 0xbf000004
	v_fmac_f32_e32 v4, v4, v43
	s_delay_alu instid0(VALU_DEP_3) | instskip(NEXT) | instid1(VALU_DEP_1)
	v_fmaak_f32 v41, v36, v41, 0xbe2aaa9d
	v_dual_fmac_f32 v40, 0xb2a5705f, v28 :: v_dual_mul_f32 v41, v36, v41
	s_delay_alu instid0(VALU_DEP_1) | instskip(SKIP_1) | instid1(VALU_DEP_3)
	v_dual_fmaak_f32 v44, s33, v38, 0xbab64f3b :: v_dual_add_f32 v35, v35, v40
	v_fma_f32 v36, v36, v42, 1.0
	v_fmac_f32_e32 v30, v30, v41
	s_delay_alu instid0(VALU_DEP_3) | instskip(NEXT) | instid1(VALU_DEP_4)
	v_fmaak_f32 v40, v38, v44, 0x3d2aabf7
	v_exp_f32_e32 v35, v35
	s_delay_alu instid0(VALU_DEP_2) | instskip(NEXT) | instid1(VALU_DEP_2)
	v_cndmask_b32_e64 v30, -v30, v36, vcc_lo
	v_fmaak_f32 v40, v38, v40, 0xbf000004
	s_delay_alu instid0(TRANS32_DEP_1) | instskip(SKIP_1) | instid1(VALU_DEP_3)
	v_ldexp_f32 v35, v35, v39
	v_and_b32_e32 v39, 1, v34
	v_fma_f32 v38, v38, v40, 1.0
	v_lshlrev_b32_e32 v34, 30, v34
	v_bitop3_b32 v30, v33, v30, 0x80000000 bitop3:0x6c
	s_delay_alu instid0(VALU_DEP_4) | instskip(NEXT) | instid1(VALU_DEP_3)
	v_cmp_eq_u32_e32 vcc_lo, 0, v39
	v_and_or_b32 v32, 0x80000000, v34, v32
	v_cndmask_b32_e32 v4, v38, v4, vcc_lo
	v_cmp_nlt_f32_e32 vcc_lo, 0x42ce8ed0, v28
	s_delay_alu instid0(VALU_DEP_2) | instskip(SKIP_2) | instid1(VALU_DEP_2)
	v_xor3_b32 v4, v32, v4, v31
	v_cndmask_b32_e32 v34, 0, v35, vcc_lo
	v_cmp_class_f32_e64 vcc_lo, v29, 0x1f8
                                        ; implicit-def: $vgpr32
	v_cndmask_b32_e64 v28, 0x7f800000, v34, s6
	v_cndmask_b32_e32 v29, 0x7fc00000, v30, vcc_lo
	v_cndmask_b32_e32 v4, 0x7fc00000, v4, vcc_lo
	s_delay_alu instid0(VALU_DEP_1)
	v_dual_mul_f32 v30, v28, v29 :: v_dual_mul_f32 v31, v28, v4
                                        ; implicit-def: $vgpr29
.LBB254_77:                             ;   in Loop: Header=BB254_4 Depth=1
	s_and_not1_saveexec_b32 s38, s38
	s_cbranch_execz .LBB254_87
; %bb.78:                               ;   in Loop: Header=BB254_4 Depth=1
	v_cmp_ngt_f32_e64 s39, 0x48000000, |v29|
                                        ; implicit-def: $vgpr33
                                        ; implicit-def: $vgpr30
	s_and_saveexec_b32 s6, s39
	s_delay_alu instid0(SALU_CYCLE_1)
	s_xor_b32 s40, exec_lo, s6
	s_cbranch_execz .LBB254_80
; %bb.79:                               ;   in Loop: Header=BB254_4 Depth=1
	v_and_or_b32 v4, v32, s30, 0x800000
	v_dual_mov_b32 v45, v5 :: v_dual_lshrrev_b32 v30, 23, v32
	v_mov_b32_e32 v47, v5
	s_delay_alu instid0(VALU_DEP_3) | instskip(NEXT) | instid1(VALU_DEP_3)
	v_mul_u64_e32 v[34:35], s[26:27], v[4:5]
	v_dual_mov_b32 v37, v5 :: v_dual_add_nc_u32 v30, 0xffffff88, v30
	s_delay_alu instid0(VALU_DEP_1) | instskip(SKIP_1) | instid1(VALU_DEP_1)
	v_cmp_lt_u32_e32 vcc_lo, 63, v30
	v_cndmask_b32_e64 v33, 0, 0xffffffc0, vcc_lo
	v_add_nc_u32_e32 v30, v33, v30
	s_delay_alu instid0(VALU_DEP_1) | instskip(NEXT) | instid1(VALU_DEP_1)
	v_cmp_lt_u32_e64 s6, 31, v30
	v_cndmask_b32_e64 v33, 0, 0xffffffe0, s6
	v_mov_b32_e32 v36, v35
	s_delay_alu instid0(VALU_DEP_1) | instskip(NEXT) | instid1(VALU_DEP_1)
	v_mad_nc_u64_u32 v[36:37], 0x3c439041, v4, v[36:37]
	v_dual_mov_b32 v39, v5 :: v_dual_mov_b32 v38, v37
	s_delay_alu instid0(VALU_DEP_1) | instskip(NEXT) | instid1(VALU_DEP_1)
	v_mad_nc_u64_u32 v[38:39], 0xdb629599, v4, v[38:39]
	v_dual_mov_b32 v41, v5 :: v_dual_mov_b32 v40, v39
	;; [unrolled: 3-line block ×3, first 2 shown]
	s_delay_alu instid0(VALU_DEP_1) | instskip(NEXT) | instid1(VALU_DEP_1)
	v_mad_nc_u64_u32 v[42:43], 0xfc2757d1, v4, v[42:43]
	v_mov_b32_e32 v44, v43
	s_delay_alu instid0(VALU_DEP_1) | instskip(NEXT) | instid1(VALU_DEP_1)
	v_mad_nc_u64_u32 v[44:45], 0x4e441529, v4, v[44:45]
	v_mov_b32_e32 v46, v45
	s_delay_alu instid0(VALU_DEP_1) | instskip(NEXT) | instid1(VALU_DEP_3)
	v_mad_nc_u64_u32 v[46:47], 0xa2f9836e, v4, v[46:47]
	v_dual_cndmask_b32 v33, v44, v40 :: v_dual_add_nc_u32 v4, v33, v30
	s_delay_alu instid0(VALU_DEP_2) | instskip(NEXT) | instid1(VALU_DEP_2)
	v_cndmask_b32_e32 v37, v47, v44, vcc_lo
	v_cmp_lt_u32_e64 s7, 31, v4
	s_delay_alu instid0(VALU_DEP_4) | instskip(SKIP_1) | instid1(VALU_DEP_3)
	v_cndmask_b32_e32 v35, v46, v42, vcc_lo
	v_cndmask_b32_e32 v39, v42, v38, vcc_lo
	v_cndmask_b32_e64 v30, 0, 0xffffffe0, s7
	s_delay_alu instid0(VALU_DEP_1) | instskip(NEXT) | instid1(VALU_DEP_4)
	v_add_nc_u32_e32 v4, v30, v4
	v_dual_cndmask_b32 v30, v40, v36, vcc_lo :: v_dual_cndmask_b32 v36, v35, v33, s6
	v_cndmask_b32_e64 v35, v37, v35, s6
	s_delay_alu instid0(VALU_DEP_3) | instskip(NEXT) | instid1(VALU_DEP_3)
	v_dual_cndmask_b32 v33, v33, v39, s6 :: v_dual_sub_nc_u32 v37, 32, v4
	v_cndmask_b32_e64 v39, v39, v30, s6
	s_delay_alu instid0(VALU_DEP_2) | instskip(NEXT) | instid1(VALU_DEP_2)
	v_dual_cndmask_b32 v35, v35, v36, s7 :: v_dual_cndmask_b32 v36, v36, v33, s7
	v_cndmask_b32_e64 v33, v33, v39, s7
	s_delay_alu instid0(VALU_DEP_2) | instskip(SKIP_2) | instid1(VALU_DEP_4)
	v_alignbit_b32 v40, v35, v36, v37
	v_cndmask_b32_e32 v34, v38, v34, vcc_lo
	v_cmp_eq_u32_e32 vcc_lo, 0, v4
	v_alignbit_b32 v38, v36, v33, v37
	s_delay_alu instid0(VALU_DEP_4) | instskip(NEXT) | instid1(VALU_DEP_1)
	v_cndmask_b32_e32 v4, v40, v35, vcc_lo
	v_bfe_u32 v35, v4, 29, 1
	v_cndmask_b32_e64 v30, v30, v34, s6
	s_delay_alu instid0(VALU_DEP_2) | instskip(NEXT) | instid1(VALU_DEP_2)
	v_dual_cndmask_b32 v34, v38, v36, vcc_lo :: v_dual_sub_nc_u32 v38, 0, v35
	v_cndmask_b32_e64 v30, v39, v30, s7
	s_delay_alu instid0(VALU_DEP_2) | instskip(NEXT) | instid1(VALU_DEP_2)
	v_alignbit_b32 v36, v4, v34, 30
	v_alignbit_b32 v37, v33, v30, v37
	s_delay_alu instid0(VALU_DEP_1) | instskip(NEXT) | instid1(VALU_DEP_1)
	v_dual_cndmask_b32 v33, v37, v33, vcc_lo :: v_dual_bitop2_b32 v36, v36, v38 bitop3:0x14
	v_clz_i32_u32_e32 v37, v36
	s_delay_alu instid0(VALU_DEP_2) | instskip(NEXT) | instid1(VALU_DEP_2)
	v_alignbit_b32 v34, v34, v33, 30
	v_min_u32_e32 v37, 32, v37
	v_alignbit_b32 v30, v33, v30, 30
	s_delay_alu instid0(VALU_DEP_2) | instskip(NEXT) | instid1(VALU_DEP_2)
	v_dual_sub_nc_u32 v34, 31, v37 :: v_dual_bitop2_b32 v33, v34, v38 bitop3:0x14
	v_dual_lshrrev_b32 v38, 29, v4 :: v_dual_bitop2_b32 v30, v30, v38 bitop3:0x14
	v_dual_lshlrev_b32 v39, 23, v37 :: v_dual_lshrrev_b32 v4, 30, v4
	s_delay_alu instid0(VALU_DEP_3) | instskip(NEXT) | instid1(VALU_DEP_3)
	v_alignbit_b32 v36, v36, v33, v34
	v_alignbit_b32 v30, v33, v30, v34
	s_delay_alu instid0(VALU_DEP_4) | instskip(NEXT) | instid1(VALU_DEP_2)
	v_lshlrev_b32_e32 v33, 31, v38
	v_alignbit_b32 v34, v36, v30, 9
	s_delay_alu instid0(VALU_DEP_2) | instskip(SKIP_1) | instid1(VALU_DEP_3)
	v_dual_lshrrev_b32 v36, 9, v36 :: v_dual_bitop2_b32 v38, 0.5, v33 bitop3:0x54
	v_or_b32_e32 v33, 0x33000000, v33
	v_clz_i32_u32_e32 v40, v34
	s_delay_alu instid0(VALU_DEP_3) | instskip(NEXT) | instid1(VALU_DEP_2)
	v_sub_nc_u32_e32 v38, v38, v39
	v_min_u32_e32 v39, 32, v40
	s_delay_alu instid0(VALU_DEP_1) | instskip(NEXT) | instid1(VALU_DEP_1)
	v_add_lshl_u32 v37, v39, v37, 23
	v_dual_sub_nc_u32 v33, v33, v37 :: v_dual_bitop2_b32 v36, v36, v38 bitop3:0x54
	v_not_b32_e32 v38, v39
	s_delay_alu instid0(VALU_DEP_2) | instskip(NEXT) | instid1(VALU_DEP_2)
	v_mul_f32_e32 v40, 0x3fc90fda, v36
	v_alignbit_b32 v30, v34, v30, v38
	s_delay_alu instid0(VALU_DEP_2) | instskip(NEXT) | instid1(VALU_DEP_2)
	v_fma_f32 v34, 0x3fc90fda, v36, -v40
	v_lshrrev_b32_e32 v30, 9, v30
	s_delay_alu instid0(VALU_DEP_2) | instskip(NEXT) | instid1(VALU_DEP_2)
	v_fmac_f32_e32 v34, 0x33a22168, v36
	v_dual_add_nc_u32 v33, v35, v4 :: v_dual_bitop2_b32 v30, v33, v30 bitop3:0x54
	s_delay_alu instid0(VALU_DEP_1) | instskip(NEXT) | instid1(VALU_DEP_1)
	v_fmac_f32_e32 v34, 0x3fc90fda, v30
	v_add_f32_e32 v30, v40, v34
	s_and_not1_saveexec_b32 s6, s40
	s_branch .LBB254_81
.LBB254_80:                             ;   in Loop: Header=BB254_4 Depth=1
	s_and_not1_saveexec_b32 s6, s40
.LBB254_81:                             ;   in Loop: Header=BB254_4 Depth=1
	v_mul_f32_e64 v4, 0x3f22f983, |v29|
	s_delay_alu instid0(VALU_DEP_1) | instskip(NEXT) | instid1(VALU_DEP_1)
	v_rndne_f32_e32 v4, v4
	v_fma_f32 v30, 0xbfc90fda, v4, |v29|
	v_cvt_i32_f32_e32 v33, v4
	s_delay_alu instid0(VALU_DEP_2) | instskip(NEXT) | instid1(VALU_DEP_1)
	v_fmac_f32_e32 v30, 0xb3a22168, v4
	v_fmac_f32_e32 v30, 0xa7c234c4, v4
; %bb.82:                               ;   in Loop: Header=BB254_4 Depth=1
	s_or_b32 exec_lo, exec_lo, s6
                                        ; implicit-def: $vgpr34
                                        ; implicit-def: $vgpr4
	s_and_saveexec_b32 s6, s39
	s_delay_alu instid0(SALU_CYCLE_1)
	s_xor_b32 s39, exec_lo, s6
	s_cbranch_execz .LBB254_84
; %bb.83:                               ;   in Loop: Header=BB254_4 Depth=1
	v_and_or_b32 v4, v32, s30, 0x800000
	v_mov_b32_e32 v45, v5
	s_delay_alu instid0(VALU_DEP_2) | instskip(NEXT) | instid1(VALU_DEP_1)
	v_mul_u64_e32 v[34:35], s[26:27], v[4:5]
	v_dual_mov_b32 v37, v5 :: v_dual_mov_b32 v36, v35
	v_lshrrev_b32_e32 v35, 23, v32
	s_delay_alu instid0(VALU_DEP_2) | instskip(SKIP_1) | instid1(VALU_DEP_3)
	v_mad_nc_u64_u32 v[36:37], 0x3c439041, v4, v[36:37]
	v_mov_b32_e32 v39, v5
	v_add_nc_u32_e32 v35, 0xffffff88, v35
	s_delay_alu instid0(VALU_DEP_1) | instskip(NEXT) | instid1(VALU_DEP_4)
	v_cmp_lt_u32_e32 vcc_lo, 63, v35
	v_mov_b32_e32 v38, v37
	v_cndmask_b32_e64 v37, 0, 0xffffffc0, vcc_lo
	s_delay_alu instid0(VALU_DEP_2) | instskip(NEXT) | instid1(VALU_DEP_1)
	v_mad_nc_u64_u32 v[38:39], 0xdb629599, v4, v[38:39]
	v_dual_mov_b32 v41, v5 :: v_dual_mov_b32 v40, v39
	s_delay_alu instid0(VALU_DEP_2) | instskip(NEXT) | instid1(VALU_DEP_2)
	v_cndmask_b32_e32 v34, v38, v34, vcc_lo
	v_mad_nc_u64_u32 v[40:41], 0xf534ddc0, v4, v[40:41]
	s_delay_alu instid0(VALU_DEP_1) | instskip(NEXT) | instid1(VALU_DEP_1)
	v_dual_mov_b32 v43, v5 :: v_dual_mov_b32 v42, v41
	v_mad_nc_u64_u32 v[42:43], 0xfc2757d1, v4, v[42:43]
	s_delay_alu instid0(VALU_DEP_1) | instskip(NEXT) | instid1(VALU_DEP_1)
	v_mov_b32_e32 v44, v43
	v_mad_nc_u64_u32 v[44:45], 0x4e441529, v4, v[44:45]
	v_add_nc_u32_e32 v35, v37, v35
	v_mov_b32_e32 v47, v5
	s_delay_alu instid0(VALU_DEP_2) | instskip(NEXT) | instid1(VALU_DEP_4)
	v_cmp_lt_u32_e64 s6, 31, v35
	v_mov_b32_e32 v46, v45
	s_delay_alu instid0(VALU_DEP_2) | instskip(NEXT) | instid1(VALU_DEP_2)
	v_cndmask_b32_e64 v37, 0, 0xffffffe0, s6
	v_mad_nc_u64_u32 v[46:47], 0xa2f9836e, v4, v[46:47]
	s_delay_alu instid0(VALU_DEP_2) | instskip(NEXT) | instid1(VALU_DEP_2)
	v_dual_cndmask_b32 v37, v44, v40 :: v_dual_add_nc_u32 v4, v37, v35
	v_cndmask_b32_e32 v39, v46, v42, vcc_lo
	s_delay_alu instid0(VALU_DEP_2) | instskip(NEXT) | instid1(VALU_DEP_4)
	v_cmp_lt_u32_e64 s7, 31, v4
	v_dual_cndmask_b32 v41, v47, v44 :: v_dual_cndmask_b32 v42, v42, v38
	s_delay_alu instid0(VALU_DEP_2) | instskip(NEXT) | instid1(VALU_DEP_1)
	v_cndmask_b32_e64 v35, 0, 0xffffffe0, s7
	v_add_nc_u32_e32 v4, v35, v4
	v_dual_cndmask_b32 v35, v40, v36, vcc_lo :: v_dual_cndmask_b32 v36, v39, v37, s6
	s_delay_alu instid0(VALU_DEP_4) | instskip(NEXT) | instid1(VALU_DEP_3)
	v_cndmask_b32_e64 v39, v41, v39, s6
	v_dual_cndmask_b32 v37, v37, v42, s6 :: v_dual_sub_nc_u32 v40, 32, v4
	s_delay_alu instid0(VALU_DEP_3) | instskip(SKIP_1) | instid1(VALU_DEP_3)
	v_cndmask_b32_e64 v41, v42, v35, s6
	v_cmp_eq_u32_e32 vcc_lo, 0, v4
	v_dual_cndmask_b32 v39, v39, v36, s7 :: v_dual_cndmask_b32 v36, v36, v37, s7
	s_delay_alu instid0(VALU_DEP_1) | instskip(NEXT) | instid1(VALU_DEP_1)
	v_alignbit_b32 v42, v39, v36, v40
	v_dual_cndmask_b32 v37, v37, v41, s7 :: v_dual_cndmask_b32 v4, v42, v39, vcc_lo
	s_delay_alu instid0(VALU_DEP_1) | instskip(NEXT) | instid1(VALU_DEP_1)
	v_alignbit_b32 v38, v36, v37, v40
	v_dual_cndmask_b32 v34, v35, v34, s6 :: v_dual_cndmask_b32 v35, v38, v36, vcc_lo
	s_delay_alu instid0(VALU_DEP_3) | instskip(NEXT) | instid1(VALU_DEP_2)
	v_bfe_u32 v36, v4, 29, 1
	v_cndmask_b32_e64 v34, v41, v34, s7
	s_delay_alu instid0(VALU_DEP_3) | instskip(NEXT) | instid1(VALU_DEP_3)
	v_alignbit_b32 v38, v4, v35, 30
	v_sub_nc_u32_e32 v39, 0, v36
	s_delay_alu instid0(VALU_DEP_3) | instskip(NEXT) | instid1(VALU_DEP_1)
	v_alignbit_b32 v40, v37, v34, v40
	v_dual_cndmask_b32 v37, v40, v37, vcc_lo :: v_dual_bitop2_b32 v38, v38, v39 bitop3:0x14
	s_delay_alu instid0(VALU_DEP_1) | instskip(NEXT) | instid1(VALU_DEP_2)
	v_clz_i32_u32_e32 v40, v38
	v_alignbit_b32 v35, v35, v37, 30
	v_alignbit_b32 v34, v37, v34, 30
	s_delay_alu instid0(VALU_DEP_3) | instskip(NEXT) | instid1(VALU_DEP_3)
	v_min_u32_e32 v40, 32, v40
	v_xor_b32_e32 v35, v35, v39
	s_delay_alu instid0(VALU_DEP_3) | instskip(NEXT) | instid1(VALU_DEP_3)
	v_dual_lshrrev_b32 v39, 29, v4 :: v_dual_bitop2_b32 v34, v34, v39 bitop3:0x14
	v_dual_sub_nc_u32 v37, 31, v40 :: v_dual_lshlrev_b32 v41, 23, v40
	s_delay_alu instid0(VALU_DEP_1) | instskip(NEXT) | instid1(VALU_DEP_3)
	v_alignbit_b32 v38, v38, v35, v37
	v_alignbit_b32 v34, v35, v34, v37
	s_delay_alu instid0(VALU_DEP_4) | instskip(NEXT) | instid1(VALU_DEP_2)
	v_lshlrev_b32_e32 v35, 31, v39
	v_alignbit_b32 v37, v38, v34, 9
	s_delay_alu instid0(VALU_DEP_2) | instskip(SKIP_1) | instid1(VALU_DEP_3)
	v_dual_lshrrev_b32 v38, 9, v38 :: v_dual_bitop2_b32 v39, 0.5, v35 bitop3:0x54
	v_or_b32_e32 v35, 0x33000000, v35
	v_clz_i32_u32_e32 v42, v37
	s_delay_alu instid0(VALU_DEP_3) | instskip(NEXT) | instid1(VALU_DEP_2)
	v_sub_nc_u32_e32 v39, v39, v41
	v_min_u32_e32 v41, 32, v42
	s_delay_alu instid0(VALU_DEP_1) | instskip(NEXT) | instid1(VALU_DEP_3)
	v_add_lshl_u32 v40, v41, v40, 23
	v_or_b32_e32 v38, v38, v39
	v_not_b32_e32 v39, v41
	s_delay_alu instid0(VALU_DEP_2) | instskip(NEXT) | instid1(VALU_DEP_2)
	v_dual_mul_f32 v42, 0x3fc90fda, v38 :: v_dual_sub_nc_u32 v35, v35, v40
	v_alignbit_b32 v34, v37, v34, v39
	s_delay_alu instid0(VALU_DEP_2) | instskip(NEXT) | instid1(VALU_DEP_2)
	v_fma_f32 v37, 0x3fc90fda, v38, -v42
	v_lshrrev_b32_e32 v34, 9, v34
	s_delay_alu instid0(VALU_DEP_2) | instskip(NEXT) | instid1(VALU_DEP_2)
	v_fmac_f32_e32 v37, 0x33a22168, v38
	v_or_b32_e32 v34, v35, v34
	s_delay_alu instid0(VALU_DEP_1) | instskip(NEXT) | instid1(VALU_DEP_1)
	v_dual_fmac_f32 v37, 0x3fc90fda, v34 :: v_dual_lshrrev_b32 v34, 30, v4
	v_dual_add_nc_u32 v34, v36, v34 :: v_dual_add_f32 v4, v42, v37
	s_and_not1_saveexec_b32 s6, s39
	s_cbranch_execnz .LBB254_85
	s_branch .LBB254_86
.LBB254_84:                             ;   in Loop: Header=BB254_4 Depth=1
	s_and_not1_saveexec_b32 s6, s39
.LBB254_85:                             ;   in Loop: Header=BB254_4 Depth=1
	v_mul_f32_e64 v4, 0x3f22f983, |v29|
	s_delay_alu instid0(VALU_DEP_1) | instskip(NEXT) | instid1(VALU_DEP_1)
	v_rndne_f32_e32 v34, v4
	v_fma_f32 v4, 0xbfc90fda, v34, |v29|
	s_delay_alu instid0(VALU_DEP_1) | instskip(NEXT) | instid1(VALU_DEP_1)
	v_fmac_f32_e32 v4, 0xb3a22168, v34
	v_fmac_f32_e32 v4, 0xa7c234c4, v34
	v_cvt_i32_f32_e32 v34, v34
.LBB254_86:                             ;   in Loop: Header=BB254_4 Depth=1
	s_or_b32 exec_lo, exec_lo, s6
	v_sub_f32_e32 v28, 0xc322e3bc, v28
	s_delay_alu instid0(VALU_DEP_2) | instskip(NEXT) | instid1(VALU_DEP_3)
	v_dual_mul_f32 v38, v30, v30 :: v_dual_mul_f32 v39, v4, v4
	v_dual_lshlrev_b32 v34, 30, v34 :: v_dual_bitop2_b32 v40, 1, v34 bitop3:0x40
	s_delay_alu instid0(VALU_DEP_3) | instskip(NEXT) | instid1(VALU_DEP_3)
	v_mul_f32_e32 v35, 0x3fb8aa3b, v28
	v_dual_fmaak_f32 v41, s31, v38, 0x3c0881c4 :: v_dual_fmaak_f32 v42, s31, v39, 0x3c0881c4
	s_delay_alu instid0(VALU_DEP_3) | instskip(NEXT) | instid1(VALU_DEP_3)
	v_and_or_b32 v32, 0x80000000, v34, v32
	v_fma_f32 v36, 0x3fb8aa3b, v28, -v35
	v_rndne_f32_e32 v37, v35
	s_delay_alu instid0(VALU_DEP_4) | instskip(NEXT) | instid1(VALU_DEP_2)
	v_fmaak_f32 v41, v38, v41, 0xbe2aaa9d
	v_sub_f32_e32 v35, v35, v37
	v_cmp_ngt_f32_e32 vcc_lo, 0xc2ce8ed0, v28
	v_fmac_f32_e32 v36, 0x32a5705f, v28
	v_cvt_i32_f32_e32 v37, v37
	s_delay_alu instid0(VALU_DEP_2) | instskip(SKIP_1) | instid1(VALU_DEP_2)
	v_dual_mul_f32 v41, v38, v41 :: v_dual_add_f32 v35, v35, v36
	v_dual_lshlrev_b32 v36, 30, v33 :: v_dual_bitop2_b32 v33, 1, v33 bitop3:0x40
	v_fmac_f32_e32 v30, v30, v41
	s_delay_alu instid0(VALU_DEP_3) | instskip(SKIP_1) | instid1(TRANS32_DEP_1)
	v_exp_f32_e32 v35, v35
	v_nop
	v_ldexp_f32 v35, v35, v37
	s_delay_alu instid0(VALU_DEP_1) | instskip(SKIP_3) | instid1(VALU_DEP_4)
	v_cndmask_b32_e32 v35, 0, v35, vcc_lo
	v_cmp_nlt_f32_e32 vcc_lo, 0x42b17218, v28
	v_fmaak_f32 v28, v39, v42, 0xbe2aaa9d
	v_fmaak_f32 v37, s33, v38, 0xbab64f3b
	v_cndmask_b32_e32 v34, 0x7f800000, v35, vcc_lo
	s_delay_alu instid0(VALU_DEP_3) | instskip(SKIP_1) | instid1(VALU_DEP_2)
	v_dual_fmaak_f32 v43, s33, v39, 0xbab64f3b :: v_dual_mul_f32 v28, v39, v28
	v_cmp_eq_u32_e32 vcc_lo, 0, v40
	v_dual_fmaak_f32 v35, v39, v43, 0x3d2aabf7 :: v_dual_lshrrev_b32 v42, 23, v34
	s_delay_alu instid0(VALU_DEP_3) | instskip(NEXT) | instid1(VALU_DEP_2)
	v_fmac_f32_e32 v4, v4, v28
	v_subrev_nc_u32_e32 v42, 19, v42
	s_delay_alu instid0(VALU_DEP_3) | instskip(NEXT) | instid1(VALU_DEP_1)
	v_fmaak_f32 v35, v39, v35, 0xbf000004
	v_fma_f32 v28, v39, v35, 1.0
	s_delay_alu instid0(VALU_DEP_1) | instskip(NEXT) | instid1(VALU_DEP_1)
	v_dual_fmaak_f32 v37, v38, v37, 0x3d2aabf7 :: v_dual_cndmask_b32 v4, v28, v4
	v_fmaak_f32 v37, v38, v37, 0xbf000004
	v_cmp_eq_u32_e32 vcc_lo, 0, v33
	s_delay_alu instid0(VALU_DEP_3) | instskip(NEXT) | instid1(VALU_DEP_3)
	v_xor3_b32 v4, v32, v4, v31
	v_fma_f32 v35, v38, v37, 1.0
	v_lshrrev_b16 v37, 15, v42
	s_delay_alu instid0(VALU_DEP_2) | instskip(NEXT) | instid1(VALU_DEP_2)
	v_cndmask_b32_e64 v28, -v30, v35, vcc_lo
	v_add_nc_u16 v30, v42, v37
	v_cmp_class_f32_e64 vcc_lo, v29, 0x1f8
	s_delay_alu instid0(VALU_DEP_3) | instskip(NEXT) | instid1(VALU_DEP_3)
	v_bitop3_b32 v28, v36, v28, 0x80000000 bitop3:0x6c
	v_ashrrev_i16 v30, 1, v30
	v_cndmask_b32_e32 v29, 0x7fc00000, v4, vcc_lo
	v_and_or_b32 v4, 0x7fffff, v34, s34
	s_delay_alu instid0(VALU_DEP_3) | instskip(NEXT) | instid1(VALU_DEP_1)
	v_bfe_i32 v30, v30, 0, 16
	v_dual_cndmask_b32 v28, 0x7fc00000, v28 :: v_dual_sub_nc_u32 v31, v42, v30
	s_delay_alu instid0(VALU_DEP_1) | instskip(SKIP_1) | instid1(VALU_DEP_3)
	v_pk_mul_f32 v[28:29], v[28:29], v[4:5] op_sel_hi:[1,0]
	v_lshl_add_u32 v4, v30, 23, 1.0
	v_lshl_add_u32 v30, v31, 23, 1.0
	s_delay_alu instid0(VALU_DEP_2) | instskip(NEXT) | instid1(VALU_DEP_1)
	v_pk_mul_f32 v[28:29], v[28:29], v[4:5] op_sel_hi:[1,0]
	v_pk_mul_f32 v[30:31], v[28:29], v[30:31] op_sel_hi:[1,0]
.LBB254_87:                             ;   in Loop: Header=BB254_4 Depth=1
	s_or_b32 exec_lo, exec_lo, s38
                                        ; implicit-def: $vgpr4
                                        ; implicit-def: $vgpr28
                                        ; implicit-def: $vgpr33
.LBB254_88:                             ;   in Loop: Header=BB254_4 Depth=1
	s_and_not1_saveexec_b32 s6, s37
	s_cbranch_execz .LBB254_94
; %bb.89:                               ;   in Loop: Header=BB254_4 Depth=1
	s_mov_b32 s7, exec_lo
                                        ; implicit-def: $vgpr31
	v_cmpx_ne_u32_e32 0x7f800000, v33
	s_xor_b32 s7, exec_lo, s7
; %bb.90:                               ;   in Loop: Header=BB254_4 Depth=1
	v_sub_f32_e32 v31, v29, v29
                                        ; implicit-def: $vgpr4
                                        ; implicit-def: $vgpr28_vgpr29
	s_delay_alu instid0(VALU_DEP_1)
	v_mov_b32_e32 v30, v31
; %bb.91:                               ;   in Loop: Header=BB254_4 Depth=1
	s_and_not1_saveexec_b32 s7, s7
; %bb.92:                               ;   in Loop: Header=BB254_4 Depth=1
	v_pk_add_f32 v[30:31], v[28:29], v[28:29] neg_lo:[0,1] neg_hi:[0,1]
	v_cmp_lt_i32_e32 vcc_lo, -1, v4
	s_delay_alu instid0(VALU_DEP_2)
	v_dual_cndmask_b32 v30, 0, -v28, vcc_lo :: v_dual_cndmask_b32 v31, 0, v31, vcc_lo
; %bb.93:                               ;   in Loop: Header=BB254_4 Depth=1
	s_or_b32 exec_lo, exec_lo, s7
.LBB254_94:                             ;   in Loop: Header=BB254_4 Depth=1
	s_delay_alu instid0(SALU_CYCLE_1)
	s_or_b32 exec_lo, exec_lo, s6
                                        ; implicit-def: $vgpr29
                                        ; implicit-def: $vgpr32
.LBB254_95:                             ;   in Loop: Header=BB254_4 Depth=1
	s_and_not1_saveexec_b32 s36, s36
	s_cbranch_execz .LBB254_105
; %bb.96:                               ;   in Loop: Header=BB254_4 Depth=1
	v_lshrrev_b32_e32 v28, 23, v32
	v_cmp_ngt_f32_e64 s37, 0x48000000, |v29|
	v_and_or_b32 v4, v32, s30, 0x800000
                                        ; implicit-def: $vgpr30
	s_delay_alu instid0(VALU_DEP_3) | instskip(SKIP_1) | instid1(SALU_CYCLE_1)
	v_add_nc_u32_e32 v33, 0xffffff88, v28
                                        ; implicit-def: $vgpr28
	s_and_saveexec_b32 s6, s37
	s_xor_b32 s38, exec_lo, s6
	s_cbranch_execz .LBB254_98
; %bb.97:                               ;   in Loop: Header=BB254_4 Depth=1
	v_mul_u64_e32 v[34:35], s[26:27], v[4:5]
	v_mov_b32_e32 v37, v5
	v_cmp_lt_u32_e32 vcc_lo, 63, v33
	v_mov_b32_e32 v47, v5
	v_cndmask_b32_e64 v28, 0, 0xffffffc0, vcc_lo
	s_delay_alu instid0(VALU_DEP_1) | instskip(NEXT) | instid1(VALU_DEP_1)
	v_add_nc_u32_e32 v28, v28, v33
	v_cmp_lt_u32_e64 s6, 31, v28
	s_delay_alu instid0(VALU_DEP_1) | instskip(NEXT) | instid1(VALU_DEP_1)
	v_cndmask_b32_e64 v30, 0, 0xffffffe0, s6
	v_dual_add_nc_u32 v28, v30, v28 :: v_dual_mov_b32 v36, v35
	s_delay_alu instid0(VALU_DEP_1) | instskip(NEXT) | instid1(VALU_DEP_2)
	v_cmp_lt_u32_e64 s7, 31, v28
	v_mad_nc_u64_u32 v[36:37], 0x3c439041, v4, v[36:37]
	v_mov_b32_e32 v39, v5
	s_delay_alu instid0(VALU_DEP_3) | instskip(NEXT) | instid1(VALU_DEP_3)
	v_cndmask_b32_e64 v30, 0, 0xffffffe0, s7
	v_mov_b32_e32 v38, v37
	s_delay_alu instid0(VALU_DEP_1) | instskip(NEXT) | instid1(VALU_DEP_1)
	v_mad_nc_u64_u32 v[38:39], 0xdb629599, v4, v[38:39]
	v_dual_mov_b32 v41, v5 :: v_dual_mov_b32 v40, v39
	s_delay_alu instid0(VALU_DEP_2) | instskip(NEXT) | instid1(VALU_DEP_2)
	v_cndmask_b32_e32 v34, v38, v34, vcc_lo
	v_mad_nc_u64_u32 v[40:41], 0xf534ddc0, v4, v[40:41]
	s_delay_alu instid0(VALU_DEP_1) | instskip(NEXT) | instid1(VALU_DEP_1)
	v_dual_mov_b32 v43, v5 :: v_dual_mov_b32 v42, v41
	v_mad_nc_u64_u32 v[42:43], 0xfc2757d1, v4, v[42:43]
	s_delay_alu instid0(VALU_DEP_1) | instskip(NEXT) | instid1(VALU_DEP_2)
	v_dual_mov_b32 v45, v5 :: v_dual_mov_b32 v44, v43
	v_cndmask_b32_e32 v41, v42, v38, vcc_lo
	s_delay_alu instid0(VALU_DEP_2) | instskip(NEXT) | instid1(VALU_DEP_1)
	v_mad_nc_u64_u32 v[44:45], 0x4e441529, v4, v[44:45]
	v_mov_b32_e32 v46, v45
	s_delay_alu instid0(VALU_DEP_1) | instskip(NEXT) | instid1(VALU_DEP_1)
	v_mad_nc_u64_u32 v[46:47], 0xa2f9836e, v4, v[46:47]
	v_dual_cndmask_b32 v35, v44, v40, vcc_lo :: v_dual_cndmask_b32 v37, v46, v42, vcc_lo
	s_delay_alu instid0(VALU_DEP_2) | instskip(SKIP_1) | instid1(VALU_DEP_3)
	v_cndmask_b32_e32 v39, v47, v44, vcc_lo
	v_add_nc_u32_e32 v28, v30, v28
	v_dual_cndmask_b32 v30, v40, v36, vcc_lo :: v_dual_cndmask_b32 v36, v37, v35, s6
	s_delay_alu instid0(VALU_DEP_3) | instskip(NEXT) | instid1(VALU_DEP_3)
	v_cndmask_b32_e64 v37, v39, v37, s6
	v_dual_cndmask_b32 v35, v35, v41, s6 :: v_dual_sub_nc_u32 v39, 32, v28
	s_delay_alu instid0(VALU_DEP_3) | instskip(SKIP_1) | instid1(VALU_DEP_3)
	v_cndmask_b32_e64 v40, v41, v30, s6
	v_cmp_eq_u32_e32 vcc_lo, 0, v28
	v_dual_cndmask_b32 v37, v37, v36, s7 :: v_dual_cndmask_b32 v36, v36, v35, s7
	v_cndmask_b32_e64 v30, v30, v34, s6
	s_delay_alu instid0(VALU_DEP_2) | instskip(NEXT) | instid1(VALU_DEP_1)
	v_alignbit_b32 v41, v37, v36, v39
	v_dual_cndmask_b32 v35, v35, v40, s7 :: v_dual_cndmask_b32 v28, v41, v37, vcc_lo
	s_delay_alu instid0(VALU_DEP_1) | instskip(NEXT) | instid1(VALU_DEP_1)
	v_alignbit_b32 v38, v36, v35, v39
	v_cndmask_b32_e32 v34, v38, v36, vcc_lo
	s_delay_alu instid0(VALU_DEP_3) | instskip(NEXT) | instid1(VALU_DEP_1)
	v_bfe_u32 v36, v28, 29, 1
	v_dual_sub_nc_u32 v38, 0, v36 :: v_dual_cndmask_b32 v30, v40, v30, s7
	s_delay_alu instid0(VALU_DEP_3) | instskip(NEXT) | instid1(VALU_DEP_2)
	v_alignbit_b32 v37, v28, v34, 30
	v_alignbit_b32 v39, v35, v30, v39
	s_delay_alu instid0(VALU_DEP_1) | instskip(NEXT) | instid1(VALU_DEP_1)
	v_dual_cndmask_b32 v35, v39, v35, vcc_lo :: v_dual_bitop2_b32 v37, v37, v38 bitop3:0x14
	v_clz_i32_u32_e32 v39, v37
	s_delay_alu instid0(VALU_DEP_2) | instskip(NEXT) | instid1(VALU_DEP_2)
	v_alignbit_b32 v34, v34, v35, 30
	v_min_u32_e32 v39, 32, v39
	v_alignbit_b32 v30, v35, v30, 30
	s_delay_alu instid0(VALU_DEP_2) | instskip(NEXT) | instid1(VALU_DEP_2)
	v_dual_sub_nc_u32 v35, 31, v39 :: v_dual_bitop2_b32 v34, v34, v38 bitop3:0x14
	v_dual_lshrrev_b32 v38, 29, v28 :: v_dual_bitop2_b32 v30, v30, v38 bitop3:0x14
	v_lshlrev_b32_e32 v40, 23, v39
	s_delay_alu instid0(VALU_DEP_3) | instskip(NEXT) | instid1(VALU_DEP_3)
	v_alignbit_b32 v37, v37, v34, v35
	v_alignbit_b32 v30, v34, v30, v35
	s_delay_alu instid0(VALU_DEP_4) | instskip(NEXT) | instid1(VALU_DEP_2)
	v_lshlrev_b32_e32 v34, 31, v38
	v_alignbit_b32 v35, v37, v30, 9
	s_delay_alu instid0(VALU_DEP_2) | instskip(SKIP_1) | instid1(VALU_DEP_3)
	v_dual_lshrrev_b32 v37, 9, v37 :: v_dual_bitop2_b32 v38, 0.5, v34 bitop3:0x54
	v_or_b32_e32 v34, 0x33000000, v34
	v_clz_i32_u32_e32 v41, v35
	s_delay_alu instid0(VALU_DEP_3) | instskip(NEXT) | instid1(VALU_DEP_2)
	v_sub_nc_u32_e32 v38, v38, v40
	v_min_u32_e32 v40, 32, v41
	s_delay_alu instid0(VALU_DEP_1) | instskip(NEXT) | instid1(VALU_DEP_3)
	v_add_lshl_u32 v39, v40, v39, 23
	v_or_b32_e32 v37, v37, v38
	v_not_b32_e32 v38, v40
	s_delay_alu instid0(VALU_DEP_2) | instskip(NEXT) | instid1(VALU_DEP_2)
	v_dual_mul_f32 v41, 0x3fc90fda, v37 :: v_dual_sub_nc_u32 v34, v34, v39
	v_alignbit_b32 v30, v35, v30, v38
	s_delay_alu instid0(VALU_DEP_2) | instskip(NEXT) | instid1(VALU_DEP_1)
	v_fma_f32 v35, 0x3fc90fda, v37, -v41
	v_dual_fmac_f32 v35, 0x33a22168, v37 :: v_dual_lshrrev_b32 v30, 9, v30
	s_delay_alu instid0(VALU_DEP_1) | instskip(NEXT) | instid1(VALU_DEP_1)
	v_or_b32_e32 v30, v34, v30
	v_dual_fmac_f32 v35, 0x3fc90fda, v30 :: v_dual_lshrrev_b32 v30, 30, v28
	s_delay_alu instid0(VALU_DEP_1)
	v_dual_add_f32 v28, v41, v35 :: v_dual_add_nc_u32 v30, v36, v30
.LBB254_98:                             ;   in Loop: Header=BB254_4 Depth=1
	s_or_saveexec_b32 s6, s38
	v_mul_f32_e64 v34, 0x3f22f983, |v29|
	s_delay_alu instid0(VALU_DEP_1)
	v_rndne_f32_e32 v36, v34
	s_xor_b32 exec_lo, exec_lo, s6
; %bb.99:                               ;   in Loop: Header=BB254_4 Depth=1
	s_delay_alu instid0(VALU_DEP_1) | instskip(SKIP_1) | instid1(VALU_DEP_2)
	v_fma_f32 v28, 0xbfc90fda, v36, |v29|
	v_cvt_i32_f32_e32 v30, v36
	v_fmac_f32_e32 v28, 0xb3a22168, v36
	s_delay_alu instid0(VALU_DEP_1)
	v_fmac_f32_e32 v28, 0xa7c234c4, v36
; %bb.100:                              ;   in Loop: Header=BB254_4 Depth=1
	s_or_b32 exec_lo, exec_lo, s6
                                        ; implicit-def: $vgpr35
                                        ; implicit-def: $vgpr34
	s_and_saveexec_b32 s6, s37
	s_delay_alu instid0(SALU_CYCLE_1)
	s_xor_b32 s37, exec_lo, s6
	s_cbranch_execz .LBB254_102
; %bb.101:                              ;   in Loop: Header=BB254_4 Depth=1
	v_mul_u64_e32 v[34:35], s[26:27], v[4:5]
	v_mov_b32_e32 v37, v5
	v_cmp_lt_u32_e32 vcc_lo, 63, v33
	s_delay_alu instid0(VALU_DEP_3) | instskip(SKIP_1) | instid1(VALU_DEP_2)
	v_dual_mov_b32 v47, v5 :: v_dual_mov_b32 v36, v35
	v_cndmask_b32_e64 v35, 0, 0xffffffc0, vcc_lo
	v_mad_nc_u64_u32 v[36:37], 0x3c439041, v4, v[36:37]
	s_delay_alu instid0(VALU_DEP_2) | instskip(NEXT) | instid1(VALU_DEP_1)
	v_dual_mov_b32 v39, v5 :: v_dual_add_nc_u32 v33, v35, v33
	v_cmp_lt_u32_e64 s6, 31, v33
	s_delay_alu instid0(VALU_DEP_3) | instskip(NEXT) | instid1(VALU_DEP_2)
	v_mov_b32_e32 v38, v37
	v_cndmask_b32_e64 v35, 0, 0xffffffe0, s6
	s_delay_alu instid0(VALU_DEP_2) | instskip(NEXT) | instid1(VALU_DEP_1)
	v_mad_nc_u64_u32 v[38:39], 0xdb629599, v4, v[38:39]
	v_dual_mov_b32 v41, v5 :: v_dual_mov_b32 v40, v39
	s_delay_alu instid0(VALU_DEP_2) | instskip(NEXT) | instid1(VALU_DEP_2)
	v_cndmask_b32_e32 v34, v38, v34, vcc_lo
	v_mad_nc_u64_u32 v[40:41], 0xf534ddc0, v4, v[40:41]
	s_delay_alu instid0(VALU_DEP_1) | instskip(NEXT) | instid1(VALU_DEP_1)
	v_dual_mov_b32 v43, v5 :: v_dual_mov_b32 v42, v41
	v_mad_nc_u64_u32 v[42:43], 0xfc2757d1, v4, v[42:43]
	s_delay_alu instid0(VALU_DEP_1) | instskip(NEXT) | instid1(VALU_DEP_2)
	v_dual_mov_b32 v45, v5 :: v_dual_mov_b32 v44, v43
	v_cndmask_b32_e32 v41, v42, v38, vcc_lo
	s_delay_alu instid0(VALU_DEP_2) | instskip(NEXT) | instid1(VALU_DEP_1)
	v_mad_nc_u64_u32 v[44:45], 0x4e441529, v4, v[44:45]
	v_mov_b32_e32 v46, v45
	s_delay_alu instid0(VALU_DEP_1) | instskip(NEXT) | instid1(VALU_DEP_3)
	v_mad_nc_u64_u32 v[46:47], 0xa2f9836e, v4, v[46:47]
	v_dual_cndmask_b32 v35, v44, v40 :: v_dual_add_nc_u32 v4, v35, v33
	s_delay_alu instid0(VALU_DEP_1) | instskip(NEXT) | instid1(VALU_DEP_1)
	v_cmp_lt_u32_e64 s7, 31, v4
	v_cndmask_b32_e64 v33, 0, 0xffffffe0, s7
	s_delay_alu instid0(VALU_DEP_4) | instskip(NEXT) | instid1(VALU_DEP_2)
	v_dual_cndmask_b32 v37, v46, v42, vcc_lo :: v_dual_cndmask_b32 v39, v47, v44, vcc_lo
	v_add_nc_u32_e32 v4, v33, v4
	s_delay_alu instid0(VALU_DEP_2) | instskip(NEXT) | instid1(VALU_DEP_3)
	v_dual_cndmask_b32 v33, v40, v36, vcc_lo :: v_dual_cndmask_b32 v36, v37, v35, s6
	v_cndmask_b32_e64 v37, v39, v37, s6
	s_delay_alu instid0(VALU_DEP_3) | instskip(NEXT) | instid1(VALU_DEP_3)
	v_dual_cndmask_b32 v35, v35, v41, s6 :: v_dual_sub_nc_u32 v39, 32, v4
	v_cndmask_b32_e64 v40, v41, v33, s6
	v_cmp_eq_u32_e32 vcc_lo, 0, v4
	s_delay_alu instid0(VALU_DEP_3) | instskip(NEXT) | instid1(VALU_DEP_1)
	v_dual_cndmask_b32 v37, v37, v36, s7 :: v_dual_cndmask_b32 v36, v36, v35, s7
	v_alignbit_b32 v41, v37, v36, v39
	s_delay_alu instid0(VALU_DEP_1) | instskip(NEXT) | instid1(VALU_DEP_1)
	v_dual_cndmask_b32 v35, v35, v40, s7 :: v_dual_cndmask_b32 v4, v41, v37, vcc_lo
	v_alignbit_b32 v38, v36, v35, v39
	s_delay_alu instid0(VALU_DEP_1) | instskip(NEXT) | instid1(VALU_DEP_3)
	v_dual_cndmask_b32 v33, v33, v34, s6 :: v_dual_cndmask_b32 v34, v38, v36, vcc_lo
	v_bfe_u32 v36, v4, 29, 1
	s_delay_alu instid0(VALU_DEP_2) | instskip(NEXT) | instid1(VALU_DEP_3)
	v_cndmask_b32_e64 v33, v40, v33, s7
	v_alignbit_b32 v37, v4, v34, 30
	s_delay_alu instid0(VALU_DEP_3) | instskip(NEXT) | instid1(VALU_DEP_3)
	v_sub_nc_u32_e32 v38, 0, v36
	v_alignbit_b32 v39, v35, v33, v39
	s_delay_alu instid0(VALU_DEP_1) | instskip(NEXT) | instid1(VALU_DEP_1)
	v_dual_cndmask_b32 v35, v39, v35, vcc_lo :: v_dual_bitop2_b32 v37, v37, v38 bitop3:0x14
	v_clz_i32_u32_e32 v39, v37
	s_delay_alu instid0(VALU_DEP_2) | instskip(SKIP_1) | instid1(VALU_DEP_3)
	v_alignbit_b32 v34, v34, v35, 30
	v_alignbit_b32 v33, v35, v33, 30
	v_min_u32_e32 v39, 32, v39
	s_delay_alu instid0(VALU_DEP_3) | instskip(NEXT) | instid1(VALU_DEP_3)
	v_xor_b32_e32 v34, v34, v38
	v_dual_lshrrev_b32 v38, 29, v4 :: v_dual_bitop2_b32 v33, v33, v38 bitop3:0x14
	s_delay_alu instid0(VALU_DEP_3) | instskip(SKIP_1) | instid1(VALU_DEP_2)
	v_dual_lshrrev_b32 v4, 30, v4 :: v_dual_sub_nc_u32 v35, 31, v39
	v_lshlrev_b32_e32 v40, 23, v39
	v_alignbit_b32 v37, v37, v34, v35
	s_delay_alu instid0(VALU_DEP_4) | instskip(SKIP_1) | instid1(VALU_DEP_2)
	v_alignbit_b32 v33, v34, v33, v35
	v_lshlrev_b32_e32 v34, 31, v38
	v_alignbit_b32 v35, v37, v33, 9
	s_delay_alu instid0(VALU_DEP_2) | instskip(SKIP_1) | instid1(VALU_DEP_3)
	v_dual_lshrrev_b32 v37, 9, v37 :: v_dual_bitop2_b32 v38, 0.5, v34 bitop3:0x54
	v_or_b32_e32 v34, 0x33000000, v34
	v_clz_i32_u32_e32 v41, v35
	s_delay_alu instid0(VALU_DEP_3) | instskip(NEXT) | instid1(VALU_DEP_2)
	v_sub_nc_u32_e32 v38, v38, v40
	v_min_u32_e32 v40, 32, v41
	s_delay_alu instid0(VALU_DEP_1) | instskip(NEXT) | instid1(VALU_DEP_3)
	v_add_lshl_u32 v39, v40, v39, 23
	v_or_b32_e32 v37, v37, v38
	v_not_b32_e32 v38, v40
	s_delay_alu instid0(VALU_DEP_2) | instskip(NEXT) | instid1(VALU_DEP_2)
	v_dual_mul_f32 v41, 0x3fc90fda, v37 :: v_dual_sub_nc_u32 v34, v34, v39
	v_alignbit_b32 v33, v35, v33, v38
	s_delay_alu instid0(VALU_DEP_2) | instskip(NEXT) | instid1(VALU_DEP_2)
	v_fma_f32 v35, 0x3fc90fda, v37, -v41
	v_lshrrev_b32_e32 v33, 9, v33
	s_delay_alu instid0(VALU_DEP_2) | instskip(NEXT) | instid1(VALU_DEP_2)
	v_fmac_f32_e32 v35, 0x33a22168, v37
	v_or_b32_e32 v33, v34, v33
	s_delay_alu instid0(VALU_DEP_1) | instskip(NEXT) | instid1(VALU_DEP_1)
	v_fmac_f32_e32 v35, 0x3fc90fda, v33
	v_dual_add_f32 v34, v41, v35 :: v_dual_add_nc_u32 v35, v36, v4
                                        ; implicit-def: $vgpr36
	s_and_not1_saveexec_b32 s6, s37
	s_cbranch_execnz .LBB254_103
	s_branch .LBB254_104
.LBB254_102:                            ;   in Loop: Header=BB254_4 Depth=1
	s_and_not1_saveexec_b32 s6, s37
.LBB254_103:                            ;   in Loop: Header=BB254_4 Depth=1
	v_fma_f32 v34, 0xbfc90fda, v36, |v29|
	v_cvt_i32_f32_e32 v35, v36
	s_delay_alu instid0(VALU_DEP_2) | instskip(NEXT) | instid1(VALU_DEP_1)
	v_fmac_f32_e32 v34, 0xb3a22168, v36
	v_fmac_f32_e32 v34, 0xa7c234c4, v36
.LBB254_104:                            ;   in Loop: Header=BB254_4 Depth=1
	s_or_b32 exec_lo, exec_lo, s6
	s_delay_alu instid0(VALU_DEP_1) | instskip(SKIP_1) | instid1(VALU_DEP_2)
	v_dual_mul_f32 v4, v28, v28 :: v_dual_mul_f32 v33, v34, v34
	v_dual_lshlrev_b32 v30, 30, v30 :: v_dual_bitop2_b32 v36, 1, v30 bitop3:0x40
	v_fmaak_f32 v39, s31, v33, 0x3c0881c4
	s_delay_alu instid0(VALU_DEP_2) | instskip(NEXT) | instid1(VALU_DEP_2)
	v_cmp_eq_u32_e32 vcc_lo, 0, v36
	v_fmaak_f32 v39, v33, v39, 0xbe2aaa9d
	s_delay_alu instid0(VALU_DEP_1) | instskip(NEXT) | instid1(VALU_DEP_1)
	v_dual_fmaak_f32 v40, s33, v33, 0xbab64f3b :: v_dual_mul_f32 v39, v33, v39
	v_fmaak_f32 v40, v33, v40, 0x3d2aabf7
	s_delay_alu instid0(VALU_DEP_2) | instskip(NEXT) | instid1(VALU_DEP_2)
	v_dual_fmaak_f32 v37, s31, v4, 0x3c0881c4 :: v_dual_fmac_f32 v34, v34, v39
	v_fmaak_f32 v40, v33, v40, 0xbf000004
	s_delay_alu instid0(VALU_DEP_1) | instskip(NEXT) | instid1(VALU_DEP_3)
	v_fma_f32 v33, v33, v40, 1.0
	v_fmaak_f32 v37, v4, v37, 0xbe2aaa9d
	s_delay_alu instid0(VALU_DEP_1) | instskip(NEXT) | instid1(VALU_DEP_1)
	v_dual_fmaak_f32 v38, s33, v4, 0xbab64f3b :: v_dual_mul_f32 v37, v4, v37
	v_fmaak_f32 v38, v4, v38, 0x3d2aabf7
	s_delay_alu instid0(VALU_DEP_2) | instskip(NEXT) | instid1(VALU_DEP_2)
	v_dual_fmac_f32 v28, v28, v37 :: v_dual_bitop2_b32 v41, 1, v35 bitop3:0x40
	v_dual_fmaak_f32 v38, v4, v38, 0xbf000004 :: v_dual_lshlrev_b32 v35, 30, v35
	s_delay_alu instid0(VALU_DEP_1) | instskip(NEXT) | instid1(VALU_DEP_2)
	v_and_or_b32 v32, 0x80000000, v35, v32
	v_fma_f32 v4, v4, v38, 1.0
	s_delay_alu instid0(VALU_DEP_1) | instskip(SKIP_1) | instid1(VALU_DEP_2)
	v_cndmask_b32_e64 v4, -v28, v4, vcc_lo
	v_cmp_eq_u32_e32 vcc_lo, 0, v41
	v_bitop3_b32 v4, v30, v4, 0x80000000 bitop3:0x6c
	v_cndmask_b32_e32 v28, v33, v34, vcc_lo
	v_cmp_class_f32_e64 vcc_lo, v29, 0x1f8
	s_delay_alu instid0(VALU_DEP_2) | instskip(NEXT) | instid1(VALU_DEP_4)
	v_xor3_b32 v28, v32, v28, v31
	v_cndmask_b32_e32 v30, 0x7fc00000, v4, vcc_lo
	s_delay_alu instid0(VALU_DEP_2)
	v_cndmask_b32_e32 v31, 0x7fc00000, v28, vcc_lo
.LBB254_105:                            ;   in Loop: Header=BB254_4 Depth=1
	s_or_b32 exec_lo, exec_lo, s36
                                        ; implicit-def: $vgpr28
.LBB254_106:                            ;   in Loop: Header=BB254_4 Depth=1
	s_and_not1_saveexec_b32 s6, s35
	s_cbranch_execz .LBB254_108
; %bb.107:                              ;   in Loop: Header=BB254_4 Depth=1
	v_mul_f32_e32 v4, 0xbfb8aa3b, v28
	v_cmp_nlt_f32_e32 vcc_lo, 0x42ce8ed0, v28
	s_delay_alu instid0(VALU_DEP_2) | instskip(SKIP_1) | instid1(VALU_DEP_2)
	v_rndne_f32_e32 v29, v4
	v_fma_f32 v30, 0xbfb8aa3b, v28, -v4
	v_sub_f32_e32 v4, v4, v29
	s_delay_alu instid0(VALU_DEP_2) | instskip(SKIP_1) | instid1(VALU_DEP_2)
	v_fmac_f32_e32 v30, 0xb2a5705f, v28
	v_cvt_i32_f32_e32 v29, v29
	v_add_f32_e32 v4, v4, v30
	s_delay_alu instid0(VALU_DEP_1) | instskip(SKIP_1) | instid1(TRANS32_DEP_1)
	v_exp_f32_e32 v4, v4
	v_nop
	v_ldexp_f32 v4, v4, v29
	s_delay_alu instid0(VALU_DEP_1) | instskip(SKIP_1) | instid1(VALU_DEP_2)
	v_cndmask_b32_e32 v4, 0, v4, vcc_lo
	v_cmp_ngt_f32_e32 vcc_lo, 0xc2b17218, v28
	v_cndmask_b32_e32 v30, 0x7f800000, v4, vcc_lo
.LBB254_108:                            ;   in Loop: Header=BB254_4 Depth=1
	s_or_b32 exec_lo, exec_lo, s6
	v_mov_b64_e32 v[28:29], s[8:9]
	s_mov_b32 s6, exec_lo
	s_delay_alu instid0(VALU_DEP_1) | instskip(NEXT) | instid1(VALU_DEP_1)
	v_pk_add_f32 v[30:31], v[30:31], v[28:29]
                                        ; implicit-def: $vgpr28_vgpr29
	v_cmp_gt_f32_e32 vcc_lo, 0, v31
	v_cndmask_b32_e64 v4, v31, -v31, vcc_lo
	s_delay_alu instid0(VALU_DEP_3) | instskip(SKIP_1) | instid1(VALU_DEP_1)
	v_cmp_gt_f32_e32 vcc_lo, 0, v30
	v_cndmask_b32_e64 v32, v30, -v30, vcc_lo
	v_cmpx_ge_f32_e32 v32, v4
	s_xor_b32 s7, exec_lo, s6
	s_cbranch_execz .LBB254_114
; %bb.109:                              ;   in Loop: Header=BB254_4 Depth=1
	v_cmp_neq_f32_e32 vcc_lo, 0, v30
	v_cmp_neq_f32_e64 s6, 0, v31
                                        ; implicit-def: $vgpr28_vgpr29
	s_or_b32 s6, vcc_lo, s6
	s_delay_alu instid0(SALU_CYCLE_1) | instskip(NEXT) | instid1(SALU_CYCLE_1)
	s_and_saveexec_b32 s35, s6
	s_xor_b32 s6, exec_lo, s35
	s_cbranch_execz .LBB254_111
; %bb.110:                              ;   in Loop: Header=BB254_4 Depth=1
	v_div_scale_f32 v4, null, v30, v30, v31
	v_div_scale_f32 v32, vcc_lo, v31, v30, v31
	s_delay_alu instid0(VALU_DEP_2) | instskip(SKIP_1) | instid1(TRANS32_DEP_1)
	v_rcp_f32_e32 v28, v4
	v_nop
	v_fma_f32 v29, -v4, v28, 1.0
	s_delay_alu instid0(VALU_DEP_1) | instskip(NEXT) | instid1(VALU_DEP_1)
	v_fmac_f32_e32 v28, v29, v28
	v_mul_f32_e32 v29, v32, v28
	s_delay_alu instid0(VALU_DEP_1) | instskip(NEXT) | instid1(VALU_DEP_1)
	v_fma_f32 v33, -v4, v29, v32
	v_fmac_f32_e32 v29, v33, v28
	s_delay_alu instid0(VALU_DEP_1) | instskip(NEXT) | instid1(VALU_DEP_1)
	v_fma_f32 v4, -v4, v29, v32
	v_div_fmas_f32 v4, v4, v28, v29
	s_delay_alu instid0(VALU_DEP_1) | instskip(NEXT) | instid1(VALU_DEP_1)
	v_div_fixup_f32 v4, v4, v30, v31
	v_fmac_f32_e32 v30, v31, v4
	s_delay_alu instid0(VALU_DEP_1) | instskip(SKIP_1) | instid1(VALU_DEP_2)
	v_div_scale_f32 v31, null, v30, v30, 1.0
	v_div_scale_f32 v32, vcc_lo, 1.0, v30, 1.0
	v_rcp_f32_e32 v34, v31
	v_nop
	s_delay_alu instid0(TRANS32_DEP_1) | instskip(NEXT) | instid1(VALU_DEP_1)
	v_fma_f32 v28, -v31, v34, 1.0
	v_fmac_f32_e32 v34, v28, v34
	s_delay_alu instid0(VALU_DEP_1) | instskip(NEXT) | instid1(VALU_DEP_1)
	v_mul_f32_e32 v35, v32, v34
	v_fma_f32 v28, -v31, v35, v32
	s_delay_alu instid0(VALU_DEP_1) | instskip(SKIP_1) | instid1(VALU_DEP_2)
	v_fmac_f32_e32 v35, v28, v34
	v_mov_b64_e32 v[28:29], s[8:9]
	v_fma_f32 v31, -v31, v35, v32
	v_mov_b64_e32 v[32:33], s[16:17]
	s_delay_alu instid0(VALU_DEP_2) | instskip(NEXT) | instid1(VALU_DEP_2)
	v_div_fmas_f32 v31, v31, v34, v35
	v_pk_fma_f32 v[34:35], v[4:5], v[32:33], v[28:29] op_sel_hi:[0,1,1] neg_lo:[1,0,0] neg_hi:[1,0,0]
	v_pk_fma_f32 v[28:29], v[4:5], v[32:33], v[28:29]
	s_delay_alu instid0(VALU_DEP_3) | instskip(NEXT) | instid1(VALU_DEP_3)
	v_div_fixup_f32 v4, v31, v30, 1.0
                                        ; implicit-def: $vgpr32
	v_mov_b32_e32 v29, v35
	s_delay_alu instid0(VALU_DEP_1)
	v_pk_mul_f32 v[28:29], v[28:29], v[4:5] op_sel_hi:[1,0]
                                        ; implicit-def: $vgpr4
.LBB254_111:                            ;   in Loop: Header=BB254_4 Depth=1
	s_and_not1_saveexec_b32 s35, s6
	s_cbranch_execz .LBB254_113
; %bb.112:                              ;   in Loop: Header=BB254_4 Depth=1
	v_div_scale_f32 v28, null, v4, v4, s9
	v_div_scale_f32 v29, null, v32, v32, s8
	v_div_scale_f32 v35, vcc_lo, s9, v4, s9
	s_delay_alu instid0(VALU_DEP_3) | instskip(NEXT) | instid1(VALU_DEP_2)
	v_rcp_f32_e32 v30, v28
	v_rcp_f32_e32 v31, v29
	s_delay_alu instid0(TRANS32_DEP_2) | instskip(NEXT) | instid1(TRANS32_DEP_1)
	v_fma_f32 v33, -v28, v30, 1.0
	v_fma_f32 v34, -v29, v31, 1.0
	s_delay_alu instid0(VALU_DEP_1) | instskip(SKIP_1) | instid1(VALU_DEP_1)
	v_dual_fmac_f32 v30, v33, v30 :: v_dual_fmac_f32 v31, v34, v31
	v_div_scale_f32 v33, s6, s8, v32, s8
	v_dual_mul_f32 v34, v35, v30 :: v_dual_mul_f32 v36, v33, v31
	s_delay_alu instid0(VALU_DEP_1) | instskip(NEXT) | instid1(VALU_DEP_1)
	v_dual_fma_f32 v37, -v28, v34, v35 :: v_dual_fma_f32 v38, -v29, v36, v33
	v_dual_fmac_f32 v34, v37, v30 :: v_dual_fmac_f32 v36, v38, v31
	s_delay_alu instid0(VALU_DEP_1) | instskip(NEXT) | instid1(VALU_DEP_1)
	v_dual_fma_f32 v28, -v28, v34, v35 :: v_dual_fma_f32 v29, -v29, v36, v33
	v_div_fmas_f32 v28, v28, v30, v34
	s_mov_b32 vcc_lo, s6
	s_delay_alu instid0(VALU_DEP_2) | instskip(NEXT) | instid1(VALU_DEP_2)
	v_div_fmas_f32 v30, v29, v31, v36
	v_div_fixup_f32 v29, v28, v4, s9
	s_delay_alu instid0(VALU_DEP_2)
	v_div_fixup_f32 v28, v30, v32, s8
.LBB254_113:                            ;   in Loop: Header=BB254_4 Depth=1
	s_or_b32 exec_lo, exec_lo, s35
                                        ; implicit-def: $vgpr30_vgpr31
.LBB254_114:                            ;   in Loop: Header=BB254_4 Depth=1
	s_and_not1_saveexec_b32 s6, s7
	s_cbranch_execz .LBB254_116
; %bb.115:                              ;   in Loop: Header=BB254_4 Depth=1
	v_div_scale_f32 v4, null, v31, v31, v30
	v_div_scale_f32 v32, vcc_lo, v30, v31, v30
	s_delay_alu instid0(VALU_DEP_2) | instskip(SKIP_1) | instid1(TRANS32_DEP_1)
	v_rcp_f32_e32 v28, v4
	v_nop
	v_fma_f32 v29, -v4, v28, 1.0
	s_delay_alu instid0(VALU_DEP_1) | instskip(NEXT) | instid1(VALU_DEP_1)
	v_fmac_f32_e32 v28, v29, v28
	v_mul_f32_e32 v29, v32, v28
	s_delay_alu instid0(VALU_DEP_1) | instskip(NEXT) | instid1(VALU_DEP_1)
	v_fma_f32 v33, -v4, v29, v32
	v_fmac_f32_e32 v29, v33, v28
	s_delay_alu instid0(VALU_DEP_1) | instskip(NEXT) | instid1(VALU_DEP_1)
	v_fma_f32 v4, -v4, v29, v32
	v_div_fmas_f32 v4, v4, v28, v29
	s_delay_alu instid0(VALU_DEP_1) | instskip(NEXT) | instid1(VALU_DEP_1)
	v_div_fixup_f32 v4, v4, v31, v30
	v_fmac_f32_e32 v31, v30, v4
	s_delay_alu instid0(VALU_DEP_1) | instskip(SKIP_1) | instid1(VALU_DEP_2)
	v_div_scale_f32 v30, null, v31, v31, 1.0
	v_div_scale_f32 v32, vcc_lo, 1.0, v31, 1.0
	v_rcp_f32_e32 v34, v30
	v_nop
	s_delay_alu instid0(TRANS32_DEP_1) | instskip(NEXT) | instid1(VALU_DEP_1)
	v_fma_f32 v28, -v30, v34, 1.0
	v_fmac_f32_e32 v34, v28, v34
	s_delay_alu instid0(VALU_DEP_1) | instskip(NEXT) | instid1(VALU_DEP_1)
	v_mul_f32_e32 v35, v32, v34
	v_fma_f32 v28, -v30, v35, v32
	s_delay_alu instid0(VALU_DEP_1) | instskip(SKIP_1) | instid1(VALU_DEP_2)
	v_fmac_f32_e32 v35, v28, v34
	v_mov_b64_e32 v[28:29], s[16:17]
	v_fma_f32 v30, -v30, v35, v32
	v_mov_b64_e32 v[32:33], s[8:9]
	s_delay_alu instid0(VALU_DEP_2) | instskip(NEXT) | instid1(VALU_DEP_2)
	v_div_fmas_f32 v30, v30, v34, v35
	v_pk_fma_f32 v[34:35], v[4:5], v[32:33], v[28:29] op_sel_hi:[0,1,1] neg_lo:[0,0,1] neg_hi:[0,0,1]
	v_pk_fma_f32 v[28:29], v[4:5], v[32:33], v[28:29]
	s_delay_alu instid0(VALU_DEP_3) | instskip(NEXT) | instid1(VALU_DEP_3)
	v_div_fixup_f32 v4, v30, v31, 1.0
	v_mov_b32_e32 v29, v35
	s_delay_alu instid0(VALU_DEP_1)
	v_pk_mul_f32 v[28:29], v[28:29], v[4:5] op_sel_hi:[1,0]
.LBB254_116:                            ;   in Loop: Header=BB254_4 Depth=1
	s_or_b32 exec_lo, exec_lo, s6
	v_and_b32_e32 v32, 0x7fffffff, v27
	v_xor_b32_e32 v31, 0x80000000, v27
	s_mov_b32 s6, exec_lo
	s_delay_alu instid0(VALU_DEP_2)
	v_cmpx_ne_u32_e32 0, v32
	s_xor_b32 s35, exec_lo, s6
	s_cbranch_execz .LBB254_158
; %bb.117:                              ;   in Loop: Header=BB254_4 Depth=1
	v_and_b32_e32 v33, 0x7fffffff, v26
	s_mov_b32 s6, exec_lo
	s_delay_alu instid0(VALU_DEP_1)
	v_cmpx_ne_u32_e32 0, v33
	s_xor_b32 s36, exec_lo, s6
	s_cbranch_execz .LBB254_147
; %bb.118:                              ;   in Loop: Header=BB254_4 Depth=1
	v_xor_b32_e32 v4, 0x80000000, v26
	s_mov_b32 s6, exec_lo
	v_cmpx_gt_u32_e32 0x7f800000, v32
	s_xor_b32 s37, exec_lo, s6
	s_cbranch_execz .LBB254_140
; %bb.119:                              ;   in Loop: Header=BB254_4 Depth=1
	v_add_nc_u32_e32 v4, 0xbd4e8de8, v4
	s_mov_b32 s6, exec_lo
	s_delay_alu instid0(VALU_DEP_1)
	v_cmpx_lt_u32_e32 0x8e8e5c, v4
	s_xor_b32 s38, exec_lo, s6
	s_cbranch_execz .LBB254_129
; %bb.120:                              ;   in Loop: Header=BB254_4 Depth=1
	v_cmp_ngt_f32_e64 s39, 0x48000000, |v27|
                                        ; implicit-def: $vgpr33
                                        ; implicit-def: $vgpr30
	s_and_saveexec_b32 s6, s39
	s_delay_alu instid0(SALU_CYCLE_1)
	s_xor_b32 s40, exec_lo, s6
	s_cbranch_execz .LBB254_122
; %bb.121:                              ;   in Loop: Header=BB254_4 Depth=1
	v_and_or_b32 v4, v32, s30, 0x800000
	v_dual_mov_b32 v45, v5 :: v_dual_lshrrev_b32 v30, 23, v32
	v_mov_b32_e32 v47, v5
	s_delay_alu instid0(VALU_DEP_3) | instskip(NEXT) | instid1(VALU_DEP_3)
	v_mul_u64_e32 v[34:35], s[26:27], v[4:5]
	v_dual_mov_b32 v37, v5 :: v_dual_add_nc_u32 v30, 0xffffff88, v30
	s_delay_alu instid0(VALU_DEP_1) | instskip(SKIP_1) | instid1(VALU_DEP_1)
	v_cmp_lt_u32_e32 vcc_lo, 63, v30
	v_cndmask_b32_e64 v33, 0, 0xffffffc0, vcc_lo
	v_add_nc_u32_e32 v30, v33, v30
	s_delay_alu instid0(VALU_DEP_1) | instskip(NEXT) | instid1(VALU_DEP_1)
	v_cmp_lt_u32_e64 s6, 31, v30
	v_cndmask_b32_e64 v33, 0, 0xffffffe0, s6
	v_mov_b32_e32 v36, v35
	s_delay_alu instid0(VALU_DEP_1) | instskip(NEXT) | instid1(VALU_DEP_1)
	v_mad_nc_u64_u32 v[36:37], 0x3c439041, v4, v[36:37]
	v_dual_mov_b32 v39, v5 :: v_dual_mov_b32 v38, v37
	s_delay_alu instid0(VALU_DEP_1) | instskip(NEXT) | instid1(VALU_DEP_1)
	v_mad_nc_u64_u32 v[38:39], 0xdb629599, v4, v[38:39]
	v_dual_mov_b32 v41, v5 :: v_dual_mov_b32 v40, v39
	;; [unrolled: 3-line block ×3, first 2 shown]
	s_delay_alu instid0(VALU_DEP_1) | instskip(NEXT) | instid1(VALU_DEP_1)
	v_mad_nc_u64_u32 v[42:43], 0xfc2757d1, v4, v[42:43]
	v_mov_b32_e32 v44, v43
	s_delay_alu instid0(VALU_DEP_1) | instskip(NEXT) | instid1(VALU_DEP_1)
	v_mad_nc_u64_u32 v[44:45], 0x4e441529, v4, v[44:45]
	v_mov_b32_e32 v46, v45
	s_delay_alu instid0(VALU_DEP_1) | instskip(NEXT) | instid1(VALU_DEP_3)
	v_mad_nc_u64_u32 v[46:47], 0xa2f9836e, v4, v[46:47]
	v_dual_cndmask_b32 v33, v44, v40 :: v_dual_add_nc_u32 v4, v33, v30
	s_delay_alu instid0(VALU_DEP_2) | instskip(NEXT) | instid1(VALU_DEP_2)
	v_cndmask_b32_e32 v37, v47, v44, vcc_lo
	v_cmp_lt_u32_e64 s7, 31, v4
	s_delay_alu instid0(VALU_DEP_4) | instskip(SKIP_1) | instid1(VALU_DEP_3)
	v_cndmask_b32_e32 v35, v46, v42, vcc_lo
	v_cndmask_b32_e32 v39, v42, v38, vcc_lo
	v_cndmask_b32_e64 v30, 0, 0xffffffe0, s7
	s_delay_alu instid0(VALU_DEP_1) | instskip(NEXT) | instid1(VALU_DEP_4)
	v_add_nc_u32_e32 v4, v30, v4
	v_dual_cndmask_b32 v30, v40, v36, vcc_lo :: v_dual_cndmask_b32 v36, v35, v33, s6
	v_cndmask_b32_e64 v35, v37, v35, s6
	s_delay_alu instid0(VALU_DEP_3) | instskip(NEXT) | instid1(VALU_DEP_3)
	v_dual_cndmask_b32 v33, v33, v39, s6 :: v_dual_sub_nc_u32 v37, 32, v4
	v_cndmask_b32_e64 v39, v39, v30, s6
	s_delay_alu instid0(VALU_DEP_2) | instskip(NEXT) | instid1(VALU_DEP_2)
	v_dual_cndmask_b32 v35, v35, v36, s7 :: v_dual_cndmask_b32 v36, v36, v33, s7
	v_cndmask_b32_e64 v33, v33, v39, s7
	s_delay_alu instid0(VALU_DEP_2) | instskip(SKIP_2) | instid1(VALU_DEP_4)
	v_alignbit_b32 v40, v35, v36, v37
	v_cndmask_b32_e32 v34, v38, v34, vcc_lo
	v_cmp_eq_u32_e32 vcc_lo, 0, v4
	v_alignbit_b32 v38, v36, v33, v37
	s_delay_alu instid0(VALU_DEP_4) | instskip(NEXT) | instid1(VALU_DEP_1)
	v_cndmask_b32_e32 v4, v40, v35, vcc_lo
	v_bfe_u32 v35, v4, 29, 1
	v_cndmask_b32_e64 v30, v30, v34, s6
	s_delay_alu instid0(VALU_DEP_2) | instskip(NEXT) | instid1(VALU_DEP_2)
	v_dual_cndmask_b32 v34, v38, v36, vcc_lo :: v_dual_sub_nc_u32 v38, 0, v35
	v_cndmask_b32_e64 v30, v39, v30, s7
	s_delay_alu instid0(VALU_DEP_2) | instskip(NEXT) | instid1(VALU_DEP_2)
	v_alignbit_b32 v36, v4, v34, 30
	v_alignbit_b32 v37, v33, v30, v37
	s_delay_alu instid0(VALU_DEP_1) | instskip(NEXT) | instid1(VALU_DEP_1)
	v_dual_cndmask_b32 v33, v37, v33, vcc_lo :: v_dual_bitop2_b32 v36, v36, v38 bitop3:0x14
	v_clz_i32_u32_e32 v37, v36
	s_delay_alu instid0(VALU_DEP_2) | instskip(NEXT) | instid1(VALU_DEP_2)
	v_alignbit_b32 v34, v34, v33, 30
	v_min_u32_e32 v37, 32, v37
	v_alignbit_b32 v30, v33, v30, 30
	s_delay_alu instid0(VALU_DEP_2) | instskip(NEXT) | instid1(VALU_DEP_2)
	v_dual_sub_nc_u32 v34, 31, v37 :: v_dual_bitop2_b32 v33, v34, v38 bitop3:0x14
	v_dual_lshrrev_b32 v38, 29, v4 :: v_dual_bitop2_b32 v30, v30, v38 bitop3:0x14
	v_dual_lshlrev_b32 v39, 23, v37 :: v_dual_lshrrev_b32 v4, 30, v4
	s_delay_alu instid0(VALU_DEP_3) | instskip(NEXT) | instid1(VALU_DEP_3)
	v_alignbit_b32 v36, v36, v33, v34
	v_alignbit_b32 v30, v33, v30, v34
	s_delay_alu instid0(VALU_DEP_4) | instskip(NEXT) | instid1(VALU_DEP_2)
	v_lshlrev_b32_e32 v33, 31, v38
	v_alignbit_b32 v34, v36, v30, 9
	s_delay_alu instid0(VALU_DEP_2) | instskip(SKIP_1) | instid1(VALU_DEP_3)
	v_dual_lshrrev_b32 v36, 9, v36 :: v_dual_bitop2_b32 v38, 0.5, v33 bitop3:0x54
	v_or_b32_e32 v33, 0x33000000, v33
	v_clz_i32_u32_e32 v40, v34
	s_delay_alu instid0(VALU_DEP_3) | instskip(NEXT) | instid1(VALU_DEP_2)
	v_sub_nc_u32_e32 v38, v38, v39
	v_min_u32_e32 v39, 32, v40
	s_delay_alu instid0(VALU_DEP_1) | instskip(NEXT) | instid1(VALU_DEP_1)
	v_add_lshl_u32 v37, v39, v37, 23
	v_dual_sub_nc_u32 v33, v33, v37 :: v_dual_bitop2_b32 v36, v36, v38 bitop3:0x54
	v_not_b32_e32 v38, v39
	s_delay_alu instid0(VALU_DEP_2) | instskip(NEXT) | instid1(VALU_DEP_2)
	v_mul_f32_e32 v40, 0x3fc90fda, v36
	v_alignbit_b32 v30, v34, v30, v38
	s_delay_alu instid0(VALU_DEP_2) | instskip(NEXT) | instid1(VALU_DEP_2)
	v_fma_f32 v34, 0x3fc90fda, v36, -v40
	v_lshrrev_b32_e32 v30, 9, v30
	s_delay_alu instid0(VALU_DEP_2) | instskip(NEXT) | instid1(VALU_DEP_2)
	v_fmac_f32_e32 v34, 0x33a22168, v36
	v_dual_add_nc_u32 v33, v35, v4 :: v_dual_bitop2_b32 v30, v33, v30 bitop3:0x54
	s_delay_alu instid0(VALU_DEP_1) | instskip(NEXT) | instid1(VALU_DEP_1)
	v_fmac_f32_e32 v34, 0x3fc90fda, v30
	v_add_f32_e32 v30, v40, v34
	s_and_not1_saveexec_b32 s6, s40
	s_branch .LBB254_123
.LBB254_122:                            ;   in Loop: Header=BB254_4 Depth=1
	s_and_not1_saveexec_b32 s6, s40
.LBB254_123:                            ;   in Loop: Header=BB254_4 Depth=1
	v_mul_f32_e64 v4, 0x3f22f983, |v27|
	s_delay_alu instid0(VALU_DEP_1) | instskip(NEXT) | instid1(VALU_DEP_1)
	v_rndne_f32_e32 v4, v4
	v_fma_f32 v30, 0xbfc90fda, v4, |v27|
	v_cvt_i32_f32_e32 v33, v4
	s_delay_alu instid0(VALU_DEP_2) | instskip(NEXT) | instid1(VALU_DEP_1)
	v_fmac_f32_e32 v30, 0xb3a22168, v4
	v_fmac_f32_e32 v30, 0xa7c234c4, v4
; %bb.124:                              ;   in Loop: Header=BB254_4 Depth=1
	s_or_b32 exec_lo, exec_lo, s6
                                        ; implicit-def: $vgpr34
                                        ; implicit-def: $vgpr4
	s_and_saveexec_b32 s6, s39
	s_delay_alu instid0(SALU_CYCLE_1)
	s_xor_b32 s39, exec_lo, s6
	s_cbranch_execz .LBB254_126
; %bb.125:                              ;   in Loop: Header=BB254_4 Depth=1
	v_and_or_b32 v4, v32, s30, 0x800000
	v_mov_b32_e32 v45, v5
	s_delay_alu instid0(VALU_DEP_2) | instskip(NEXT) | instid1(VALU_DEP_1)
	v_mul_u64_e32 v[34:35], s[26:27], v[4:5]
	v_dual_mov_b32 v37, v5 :: v_dual_mov_b32 v36, v35
	v_lshrrev_b32_e32 v35, 23, v32
	s_delay_alu instid0(VALU_DEP_2) | instskip(SKIP_1) | instid1(VALU_DEP_3)
	v_mad_nc_u64_u32 v[36:37], 0x3c439041, v4, v[36:37]
	v_mov_b32_e32 v39, v5
	v_add_nc_u32_e32 v35, 0xffffff88, v35
	s_delay_alu instid0(VALU_DEP_1) | instskip(NEXT) | instid1(VALU_DEP_4)
	v_cmp_lt_u32_e32 vcc_lo, 63, v35
	v_mov_b32_e32 v38, v37
	v_cndmask_b32_e64 v37, 0, 0xffffffc0, vcc_lo
	s_delay_alu instid0(VALU_DEP_2) | instskip(NEXT) | instid1(VALU_DEP_1)
	v_mad_nc_u64_u32 v[38:39], 0xdb629599, v4, v[38:39]
	v_dual_mov_b32 v41, v5 :: v_dual_mov_b32 v40, v39
	s_delay_alu instid0(VALU_DEP_2) | instskip(NEXT) | instid1(VALU_DEP_2)
	v_cndmask_b32_e32 v34, v38, v34, vcc_lo
	v_mad_nc_u64_u32 v[40:41], 0xf534ddc0, v4, v[40:41]
	s_delay_alu instid0(VALU_DEP_1) | instskip(NEXT) | instid1(VALU_DEP_1)
	v_dual_mov_b32 v43, v5 :: v_dual_mov_b32 v42, v41
	v_mad_nc_u64_u32 v[42:43], 0xfc2757d1, v4, v[42:43]
	s_delay_alu instid0(VALU_DEP_1) | instskip(NEXT) | instid1(VALU_DEP_1)
	v_mov_b32_e32 v44, v43
	v_mad_nc_u64_u32 v[44:45], 0x4e441529, v4, v[44:45]
	v_add_nc_u32_e32 v35, v37, v35
	v_mov_b32_e32 v47, v5
	s_delay_alu instid0(VALU_DEP_2) | instskip(NEXT) | instid1(VALU_DEP_4)
	v_cmp_lt_u32_e64 s6, 31, v35
	v_mov_b32_e32 v46, v45
	s_delay_alu instid0(VALU_DEP_2) | instskip(NEXT) | instid1(VALU_DEP_2)
	v_cndmask_b32_e64 v37, 0, 0xffffffe0, s6
	v_mad_nc_u64_u32 v[46:47], 0xa2f9836e, v4, v[46:47]
	s_delay_alu instid0(VALU_DEP_2) | instskip(NEXT) | instid1(VALU_DEP_2)
	v_dual_cndmask_b32 v37, v44, v40 :: v_dual_add_nc_u32 v4, v37, v35
	v_cndmask_b32_e32 v39, v46, v42, vcc_lo
	s_delay_alu instid0(VALU_DEP_2) | instskip(NEXT) | instid1(VALU_DEP_4)
	v_cmp_lt_u32_e64 s7, 31, v4
	v_dual_cndmask_b32 v41, v47, v44 :: v_dual_cndmask_b32 v42, v42, v38
	s_delay_alu instid0(VALU_DEP_2) | instskip(NEXT) | instid1(VALU_DEP_1)
	v_cndmask_b32_e64 v35, 0, 0xffffffe0, s7
	v_add_nc_u32_e32 v4, v35, v4
	v_dual_cndmask_b32 v35, v40, v36, vcc_lo :: v_dual_cndmask_b32 v36, v39, v37, s6
	s_delay_alu instid0(VALU_DEP_4) | instskip(NEXT) | instid1(VALU_DEP_3)
	v_cndmask_b32_e64 v39, v41, v39, s6
	v_dual_cndmask_b32 v37, v37, v42, s6 :: v_dual_sub_nc_u32 v40, 32, v4
	s_delay_alu instid0(VALU_DEP_3) | instskip(SKIP_1) | instid1(VALU_DEP_3)
	v_cndmask_b32_e64 v41, v42, v35, s6
	v_cmp_eq_u32_e32 vcc_lo, 0, v4
	v_dual_cndmask_b32 v39, v39, v36, s7 :: v_dual_cndmask_b32 v36, v36, v37, s7
	s_delay_alu instid0(VALU_DEP_1) | instskip(NEXT) | instid1(VALU_DEP_1)
	v_alignbit_b32 v42, v39, v36, v40
	v_dual_cndmask_b32 v37, v37, v41, s7 :: v_dual_cndmask_b32 v4, v42, v39, vcc_lo
	s_delay_alu instid0(VALU_DEP_1) | instskip(NEXT) | instid1(VALU_DEP_1)
	v_alignbit_b32 v38, v36, v37, v40
	v_dual_cndmask_b32 v34, v35, v34, s6 :: v_dual_cndmask_b32 v35, v38, v36, vcc_lo
	s_delay_alu instid0(VALU_DEP_3) | instskip(NEXT) | instid1(VALU_DEP_2)
	v_bfe_u32 v36, v4, 29, 1
	v_cndmask_b32_e64 v34, v41, v34, s7
	s_delay_alu instid0(VALU_DEP_3) | instskip(NEXT) | instid1(VALU_DEP_3)
	v_alignbit_b32 v38, v4, v35, 30
	v_sub_nc_u32_e32 v39, 0, v36
	s_delay_alu instid0(VALU_DEP_3) | instskip(NEXT) | instid1(VALU_DEP_1)
	v_alignbit_b32 v40, v37, v34, v40
	v_dual_cndmask_b32 v37, v40, v37, vcc_lo :: v_dual_bitop2_b32 v38, v38, v39 bitop3:0x14
	s_delay_alu instid0(VALU_DEP_1) | instskip(NEXT) | instid1(VALU_DEP_2)
	v_clz_i32_u32_e32 v40, v38
	v_alignbit_b32 v35, v35, v37, 30
	v_alignbit_b32 v34, v37, v34, 30
	s_delay_alu instid0(VALU_DEP_3) | instskip(NEXT) | instid1(VALU_DEP_3)
	v_min_u32_e32 v40, 32, v40
	v_xor_b32_e32 v35, v35, v39
	s_delay_alu instid0(VALU_DEP_3) | instskip(NEXT) | instid1(VALU_DEP_3)
	v_dual_lshrrev_b32 v39, 29, v4 :: v_dual_bitop2_b32 v34, v34, v39 bitop3:0x14
	v_dual_sub_nc_u32 v37, 31, v40 :: v_dual_lshlrev_b32 v41, 23, v40
	s_delay_alu instid0(VALU_DEP_1) | instskip(NEXT) | instid1(VALU_DEP_3)
	v_alignbit_b32 v38, v38, v35, v37
	v_alignbit_b32 v34, v35, v34, v37
	s_delay_alu instid0(VALU_DEP_4) | instskip(NEXT) | instid1(VALU_DEP_2)
	v_lshlrev_b32_e32 v35, 31, v39
	v_alignbit_b32 v37, v38, v34, 9
	s_delay_alu instid0(VALU_DEP_2) | instskip(SKIP_1) | instid1(VALU_DEP_3)
	v_dual_lshrrev_b32 v38, 9, v38 :: v_dual_bitop2_b32 v39, 0.5, v35 bitop3:0x54
	v_or_b32_e32 v35, 0x33000000, v35
	v_clz_i32_u32_e32 v42, v37
	s_delay_alu instid0(VALU_DEP_3) | instskip(NEXT) | instid1(VALU_DEP_2)
	v_sub_nc_u32_e32 v39, v39, v41
	v_min_u32_e32 v41, 32, v42
	s_delay_alu instid0(VALU_DEP_1) | instskip(NEXT) | instid1(VALU_DEP_3)
	v_add_lshl_u32 v40, v41, v40, 23
	v_or_b32_e32 v38, v38, v39
	v_not_b32_e32 v39, v41
	s_delay_alu instid0(VALU_DEP_2) | instskip(NEXT) | instid1(VALU_DEP_2)
	v_dual_mul_f32 v42, 0x3fc90fda, v38 :: v_dual_sub_nc_u32 v35, v35, v40
	v_alignbit_b32 v34, v37, v34, v39
	s_delay_alu instid0(VALU_DEP_2) | instskip(NEXT) | instid1(VALU_DEP_2)
	v_fma_f32 v37, 0x3fc90fda, v38, -v42
	v_lshrrev_b32_e32 v34, 9, v34
	s_delay_alu instid0(VALU_DEP_2) | instskip(NEXT) | instid1(VALU_DEP_2)
	v_fmac_f32_e32 v37, 0x33a22168, v38
	v_or_b32_e32 v34, v35, v34
	s_delay_alu instid0(VALU_DEP_1) | instskip(NEXT) | instid1(VALU_DEP_1)
	v_dual_fmac_f32 v37, 0x3fc90fda, v34 :: v_dual_lshrrev_b32 v34, 30, v4
	v_dual_add_nc_u32 v34, v36, v34 :: v_dual_add_f32 v4, v42, v37
	s_and_not1_saveexec_b32 s6, s39
	s_cbranch_execnz .LBB254_127
	s_branch .LBB254_128
.LBB254_126:                            ;   in Loop: Header=BB254_4 Depth=1
	s_and_not1_saveexec_b32 s6, s39
.LBB254_127:                            ;   in Loop: Header=BB254_4 Depth=1
	v_mul_f32_e64 v4, 0x3f22f983, |v27|
	s_delay_alu instid0(VALU_DEP_1) | instskip(NEXT) | instid1(VALU_DEP_1)
	v_rndne_f32_e32 v34, v4
	v_fma_f32 v4, 0xbfc90fda, v34, |v27|
	s_delay_alu instid0(VALU_DEP_1) | instskip(NEXT) | instid1(VALU_DEP_1)
	v_fmac_f32_e32 v4, 0xb3a22168, v34
	v_fmac_f32_e32 v4, 0xa7c234c4, v34
	v_cvt_i32_f32_e32 v34, v34
.LBB254_128:                            ;   in Loop: Header=BB254_4 Depth=1
	s_or_b32 exec_lo, exec_lo, s6
	s_delay_alu instid0(VALU_DEP_1) | instskip(SKIP_2) | instid1(VALU_DEP_3)
	v_dual_mul_f32 v35, 0xbfb8aa3b, v26 :: v_dual_mul_f32 v38, v4, v4
	v_dual_mul_f32 v36, v30, v30 :: v_dual_bitop2_b32 v37, 1, v33 bitop3:0x40
	v_cmp_ngt_f32_e64 s6, 0xc2b17218, v26
	v_rndne_f32_e32 v39, v35
	s_delay_alu instid0(VALU_DEP_4) | instskip(NEXT) | instid1(VALU_DEP_4)
	v_fmaak_f32 v43, s31, v38, 0x3c0881c4
	v_fmaak_f32 v42, s33, v36, 0xbab64f3b
	v_fma_f32 v40, 0xbfb8aa3b, v26, -v35
	v_cmp_eq_u32_e32 vcc_lo, 0, v37
	v_sub_f32_e32 v35, v35, v39
	v_fmaak_f32 v43, v38, v43, 0xbe2aaa9d
	v_fmaak_f32 v42, v36, v42, 0x3d2aabf7
	v_cvt_i32_f32_e32 v39, v39
	s_delay_alu instid0(VALU_DEP_3) | instskip(SKIP_1) | instid1(VALU_DEP_4)
	v_dual_lshlrev_b32 v33, 30, v33 :: v_dual_mul_f32 v43, v38, v43
	v_fmaak_f32 v41, s31, v36, 0x3c0881c4
	v_fmaak_f32 v42, v36, v42, 0xbf000004
	s_delay_alu instid0(VALU_DEP_3) | instskip(NEXT) | instid1(VALU_DEP_3)
	v_fmac_f32_e32 v4, v4, v43
	v_fmaak_f32 v41, v36, v41, 0xbe2aaa9d
	s_delay_alu instid0(VALU_DEP_1) | instskip(NEXT) | instid1(VALU_DEP_1)
	v_dual_fmac_f32 v40, 0xb2a5705f, v26 :: v_dual_mul_f32 v41, v36, v41
	v_dual_fmaak_f32 v44, s33, v38, 0xbab64f3b :: v_dual_add_f32 v35, v35, v40
	v_fma_f32 v36, v36, v42, 1.0
	s_delay_alu instid0(VALU_DEP_3) | instskip(NEXT) | instid1(VALU_DEP_3)
	v_fmac_f32_e32 v30, v30, v41
	v_fmaak_f32 v40, v38, v44, 0x3d2aabf7
	s_delay_alu instid0(VALU_DEP_4) | instskip(NEXT) | instid1(VALU_DEP_2)
	v_exp_f32_e32 v35, v35
	v_cndmask_b32_e64 v30, -v30, v36, vcc_lo
	s_delay_alu instid0(VALU_DEP_2) | instskip(NEXT) | instid1(TRANS32_DEP_1)
	v_fmaak_f32 v40, v38, v40, 0xbf000004
	v_ldexp_f32 v35, v35, v39
	v_and_b32_e32 v39, 1, v34
	s_delay_alu instid0(VALU_DEP_3) | instskip(SKIP_2) | instid1(VALU_DEP_4)
	v_fma_f32 v38, v38, v40, 1.0
	v_lshlrev_b32_e32 v34, 30, v34
	v_bitop3_b32 v30, v33, v30, 0x80000000 bitop3:0x6c
	v_cmp_eq_u32_e32 vcc_lo, 0, v39
	s_delay_alu instid0(VALU_DEP_3) | instskip(SKIP_2) | instid1(VALU_DEP_2)
	v_and_or_b32 v32, 0x80000000, v34, v32
	v_cndmask_b32_e32 v4, v38, v4, vcc_lo
	v_cmp_nlt_f32_e32 vcc_lo, 0x42ce8ed0, v26
	v_xor3_b32 v4, v32, v4, v31
	v_cndmask_b32_e32 v34, 0, v35, vcc_lo
	v_cmp_class_f32_e64 vcc_lo, v27, 0x1f8
                                        ; implicit-def: $vgpr32
	s_delay_alu instid0(VALU_DEP_2) | instskip(SKIP_2) | instid1(VALU_DEP_1)
	v_cndmask_b32_e64 v26, 0x7f800000, v34, s6
	v_cndmask_b32_e32 v27, 0x7fc00000, v30, vcc_lo
	v_cndmask_b32_e32 v4, 0x7fc00000, v4, vcc_lo
	v_dual_mul_f32 v30, v26, v27 :: v_dual_mul_f32 v31, v26, v4
                                        ; implicit-def: $vgpr27
.LBB254_129:                            ;   in Loop: Header=BB254_4 Depth=1
	s_and_not1_saveexec_b32 s38, s38
	s_cbranch_execz .LBB254_139
; %bb.130:                              ;   in Loop: Header=BB254_4 Depth=1
	v_cmp_ngt_f32_e64 s39, 0x48000000, |v27|
                                        ; implicit-def: $vgpr33
                                        ; implicit-def: $vgpr30
	s_and_saveexec_b32 s6, s39
	s_delay_alu instid0(SALU_CYCLE_1)
	s_xor_b32 s40, exec_lo, s6
	s_cbranch_execz .LBB254_132
; %bb.131:                              ;   in Loop: Header=BB254_4 Depth=1
	v_and_or_b32 v4, v32, s30, 0x800000
	v_dual_mov_b32 v45, v5 :: v_dual_lshrrev_b32 v30, 23, v32
	v_mov_b32_e32 v47, v5
	s_delay_alu instid0(VALU_DEP_3) | instskip(NEXT) | instid1(VALU_DEP_3)
	v_mul_u64_e32 v[34:35], s[26:27], v[4:5]
	v_dual_mov_b32 v37, v5 :: v_dual_add_nc_u32 v30, 0xffffff88, v30
	s_delay_alu instid0(VALU_DEP_1) | instskip(SKIP_1) | instid1(VALU_DEP_1)
	v_cmp_lt_u32_e32 vcc_lo, 63, v30
	v_cndmask_b32_e64 v33, 0, 0xffffffc0, vcc_lo
	v_add_nc_u32_e32 v30, v33, v30
	s_delay_alu instid0(VALU_DEP_1) | instskip(NEXT) | instid1(VALU_DEP_1)
	v_cmp_lt_u32_e64 s6, 31, v30
	v_cndmask_b32_e64 v33, 0, 0xffffffe0, s6
	v_mov_b32_e32 v36, v35
	s_delay_alu instid0(VALU_DEP_1) | instskip(NEXT) | instid1(VALU_DEP_1)
	v_mad_nc_u64_u32 v[36:37], 0x3c439041, v4, v[36:37]
	v_dual_mov_b32 v39, v5 :: v_dual_mov_b32 v38, v37
	s_delay_alu instid0(VALU_DEP_1) | instskip(NEXT) | instid1(VALU_DEP_1)
	v_mad_nc_u64_u32 v[38:39], 0xdb629599, v4, v[38:39]
	v_dual_mov_b32 v41, v5 :: v_dual_mov_b32 v40, v39
	;; [unrolled: 3-line block ×3, first 2 shown]
	s_delay_alu instid0(VALU_DEP_1) | instskip(NEXT) | instid1(VALU_DEP_1)
	v_mad_nc_u64_u32 v[42:43], 0xfc2757d1, v4, v[42:43]
	v_mov_b32_e32 v44, v43
	s_delay_alu instid0(VALU_DEP_1) | instskip(NEXT) | instid1(VALU_DEP_1)
	v_mad_nc_u64_u32 v[44:45], 0x4e441529, v4, v[44:45]
	v_mov_b32_e32 v46, v45
	s_delay_alu instid0(VALU_DEP_1) | instskip(NEXT) | instid1(VALU_DEP_3)
	v_mad_nc_u64_u32 v[46:47], 0xa2f9836e, v4, v[46:47]
	v_dual_cndmask_b32 v33, v44, v40 :: v_dual_add_nc_u32 v4, v33, v30
	s_delay_alu instid0(VALU_DEP_2) | instskip(NEXT) | instid1(VALU_DEP_2)
	v_cndmask_b32_e32 v37, v47, v44, vcc_lo
	v_cmp_lt_u32_e64 s7, 31, v4
	s_delay_alu instid0(VALU_DEP_4) | instskip(SKIP_1) | instid1(VALU_DEP_3)
	v_cndmask_b32_e32 v35, v46, v42, vcc_lo
	v_cndmask_b32_e32 v39, v42, v38, vcc_lo
	v_cndmask_b32_e64 v30, 0, 0xffffffe0, s7
	s_delay_alu instid0(VALU_DEP_1) | instskip(NEXT) | instid1(VALU_DEP_4)
	v_add_nc_u32_e32 v4, v30, v4
	v_dual_cndmask_b32 v30, v40, v36, vcc_lo :: v_dual_cndmask_b32 v36, v35, v33, s6
	v_cndmask_b32_e64 v35, v37, v35, s6
	s_delay_alu instid0(VALU_DEP_3) | instskip(NEXT) | instid1(VALU_DEP_3)
	v_dual_cndmask_b32 v33, v33, v39, s6 :: v_dual_sub_nc_u32 v37, 32, v4
	v_cndmask_b32_e64 v39, v39, v30, s6
	s_delay_alu instid0(VALU_DEP_2) | instskip(NEXT) | instid1(VALU_DEP_2)
	v_dual_cndmask_b32 v35, v35, v36, s7 :: v_dual_cndmask_b32 v36, v36, v33, s7
	v_cndmask_b32_e64 v33, v33, v39, s7
	s_delay_alu instid0(VALU_DEP_2) | instskip(SKIP_2) | instid1(VALU_DEP_4)
	v_alignbit_b32 v40, v35, v36, v37
	v_cndmask_b32_e32 v34, v38, v34, vcc_lo
	v_cmp_eq_u32_e32 vcc_lo, 0, v4
	v_alignbit_b32 v38, v36, v33, v37
	s_delay_alu instid0(VALU_DEP_4) | instskip(NEXT) | instid1(VALU_DEP_1)
	v_cndmask_b32_e32 v4, v40, v35, vcc_lo
	v_bfe_u32 v35, v4, 29, 1
	v_cndmask_b32_e64 v30, v30, v34, s6
	s_delay_alu instid0(VALU_DEP_2) | instskip(NEXT) | instid1(VALU_DEP_2)
	v_dual_cndmask_b32 v34, v38, v36, vcc_lo :: v_dual_sub_nc_u32 v38, 0, v35
	v_cndmask_b32_e64 v30, v39, v30, s7
	s_delay_alu instid0(VALU_DEP_2) | instskip(NEXT) | instid1(VALU_DEP_2)
	v_alignbit_b32 v36, v4, v34, 30
	v_alignbit_b32 v37, v33, v30, v37
	s_delay_alu instid0(VALU_DEP_1) | instskip(NEXT) | instid1(VALU_DEP_1)
	v_dual_cndmask_b32 v33, v37, v33, vcc_lo :: v_dual_bitop2_b32 v36, v36, v38 bitop3:0x14
	v_clz_i32_u32_e32 v37, v36
	s_delay_alu instid0(VALU_DEP_2) | instskip(NEXT) | instid1(VALU_DEP_2)
	v_alignbit_b32 v34, v34, v33, 30
	v_min_u32_e32 v37, 32, v37
	v_alignbit_b32 v30, v33, v30, 30
	s_delay_alu instid0(VALU_DEP_2) | instskip(NEXT) | instid1(VALU_DEP_2)
	v_dual_sub_nc_u32 v34, 31, v37 :: v_dual_bitop2_b32 v33, v34, v38 bitop3:0x14
	v_dual_lshrrev_b32 v38, 29, v4 :: v_dual_bitop2_b32 v30, v30, v38 bitop3:0x14
	v_dual_lshlrev_b32 v39, 23, v37 :: v_dual_lshrrev_b32 v4, 30, v4
	s_delay_alu instid0(VALU_DEP_3) | instskip(NEXT) | instid1(VALU_DEP_3)
	v_alignbit_b32 v36, v36, v33, v34
	v_alignbit_b32 v30, v33, v30, v34
	s_delay_alu instid0(VALU_DEP_4) | instskip(NEXT) | instid1(VALU_DEP_2)
	v_lshlrev_b32_e32 v33, 31, v38
	v_alignbit_b32 v34, v36, v30, 9
	s_delay_alu instid0(VALU_DEP_2) | instskip(SKIP_1) | instid1(VALU_DEP_3)
	v_dual_lshrrev_b32 v36, 9, v36 :: v_dual_bitop2_b32 v38, 0.5, v33 bitop3:0x54
	v_or_b32_e32 v33, 0x33000000, v33
	v_clz_i32_u32_e32 v40, v34
	s_delay_alu instid0(VALU_DEP_3) | instskip(NEXT) | instid1(VALU_DEP_2)
	v_sub_nc_u32_e32 v38, v38, v39
	v_min_u32_e32 v39, 32, v40
	s_delay_alu instid0(VALU_DEP_1) | instskip(NEXT) | instid1(VALU_DEP_1)
	v_add_lshl_u32 v37, v39, v37, 23
	v_dual_sub_nc_u32 v33, v33, v37 :: v_dual_bitop2_b32 v36, v36, v38 bitop3:0x54
	v_not_b32_e32 v38, v39
	s_delay_alu instid0(VALU_DEP_2) | instskip(NEXT) | instid1(VALU_DEP_2)
	v_mul_f32_e32 v40, 0x3fc90fda, v36
	v_alignbit_b32 v30, v34, v30, v38
	s_delay_alu instid0(VALU_DEP_2) | instskip(NEXT) | instid1(VALU_DEP_2)
	v_fma_f32 v34, 0x3fc90fda, v36, -v40
	v_lshrrev_b32_e32 v30, 9, v30
	s_delay_alu instid0(VALU_DEP_2) | instskip(NEXT) | instid1(VALU_DEP_2)
	v_fmac_f32_e32 v34, 0x33a22168, v36
	v_dual_add_nc_u32 v33, v35, v4 :: v_dual_bitop2_b32 v30, v33, v30 bitop3:0x54
	s_delay_alu instid0(VALU_DEP_1) | instskip(NEXT) | instid1(VALU_DEP_1)
	v_fmac_f32_e32 v34, 0x3fc90fda, v30
	v_add_f32_e32 v30, v40, v34
	s_and_not1_saveexec_b32 s6, s40
	s_branch .LBB254_133
.LBB254_132:                            ;   in Loop: Header=BB254_4 Depth=1
	s_and_not1_saveexec_b32 s6, s40
.LBB254_133:                            ;   in Loop: Header=BB254_4 Depth=1
	v_mul_f32_e64 v4, 0x3f22f983, |v27|
	s_delay_alu instid0(VALU_DEP_1) | instskip(NEXT) | instid1(VALU_DEP_1)
	v_rndne_f32_e32 v4, v4
	v_fma_f32 v30, 0xbfc90fda, v4, |v27|
	v_cvt_i32_f32_e32 v33, v4
	s_delay_alu instid0(VALU_DEP_2) | instskip(NEXT) | instid1(VALU_DEP_1)
	v_fmac_f32_e32 v30, 0xb3a22168, v4
	v_fmac_f32_e32 v30, 0xa7c234c4, v4
; %bb.134:                              ;   in Loop: Header=BB254_4 Depth=1
	s_or_b32 exec_lo, exec_lo, s6
                                        ; implicit-def: $vgpr34
                                        ; implicit-def: $vgpr4
	s_and_saveexec_b32 s6, s39
	s_delay_alu instid0(SALU_CYCLE_1)
	s_xor_b32 s39, exec_lo, s6
	s_cbranch_execz .LBB254_136
; %bb.135:                              ;   in Loop: Header=BB254_4 Depth=1
	v_and_or_b32 v4, v32, s30, 0x800000
	v_mov_b32_e32 v45, v5
	s_delay_alu instid0(VALU_DEP_2) | instskip(NEXT) | instid1(VALU_DEP_1)
	v_mul_u64_e32 v[34:35], s[26:27], v[4:5]
	v_dual_mov_b32 v37, v5 :: v_dual_mov_b32 v36, v35
	v_lshrrev_b32_e32 v35, 23, v32
	s_delay_alu instid0(VALU_DEP_2) | instskip(SKIP_1) | instid1(VALU_DEP_3)
	v_mad_nc_u64_u32 v[36:37], 0x3c439041, v4, v[36:37]
	v_mov_b32_e32 v39, v5
	v_add_nc_u32_e32 v35, 0xffffff88, v35
	s_delay_alu instid0(VALU_DEP_1) | instskip(NEXT) | instid1(VALU_DEP_4)
	v_cmp_lt_u32_e32 vcc_lo, 63, v35
	v_mov_b32_e32 v38, v37
	v_cndmask_b32_e64 v37, 0, 0xffffffc0, vcc_lo
	s_delay_alu instid0(VALU_DEP_2) | instskip(NEXT) | instid1(VALU_DEP_1)
	v_mad_nc_u64_u32 v[38:39], 0xdb629599, v4, v[38:39]
	v_dual_mov_b32 v41, v5 :: v_dual_mov_b32 v40, v39
	s_delay_alu instid0(VALU_DEP_2) | instskip(NEXT) | instid1(VALU_DEP_2)
	v_cndmask_b32_e32 v34, v38, v34, vcc_lo
	v_mad_nc_u64_u32 v[40:41], 0xf534ddc0, v4, v[40:41]
	s_delay_alu instid0(VALU_DEP_1) | instskip(NEXT) | instid1(VALU_DEP_1)
	v_dual_mov_b32 v43, v5 :: v_dual_mov_b32 v42, v41
	v_mad_nc_u64_u32 v[42:43], 0xfc2757d1, v4, v[42:43]
	s_delay_alu instid0(VALU_DEP_1) | instskip(NEXT) | instid1(VALU_DEP_1)
	v_mov_b32_e32 v44, v43
	v_mad_nc_u64_u32 v[44:45], 0x4e441529, v4, v[44:45]
	v_add_nc_u32_e32 v35, v37, v35
	v_mov_b32_e32 v47, v5
	s_delay_alu instid0(VALU_DEP_2) | instskip(NEXT) | instid1(VALU_DEP_4)
	v_cmp_lt_u32_e64 s6, 31, v35
	v_mov_b32_e32 v46, v45
	s_delay_alu instid0(VALU_DEP_2) | instskip(NEXT) | instid1(VALU_DEP_2)
	v_cndmask_b32_e64 v37, 0, 0xffffffe0, s6
	v_mad_nc_u64_u32 v[46:47], 0xa2f9836e, v4, v[46:47]
	s_delay_alu instid0(VALU_DEP_2) | instskip(NEXT) | instid1(VALU_DEP_2)
	v_dual_cndmask_b32 v37, v44, v40 :: v_dual_add_nc_u32 v4, v37, v35
	v_cndmask_b32_e32 v39, v46, v42, vcc_lo
	s_delay_alu instid0(VALU_DEP_2) | instskip(NEXT) | instid1(VALU_DEP_4)
	v_cmp_lt_u32_e64 s7, 31, v4
	v_dual_cndmask_b32 v41, v47, v44 :: v_dual_cndmask_b32 v42, v42, v38
	s_delay_alu instid0(VALU_DEP_2) | instskip(NEXT) | instid1(VALU_DEP_1)
	v_cndmask_b32_e64 v35, 0, 0xffffffe0, s7
	v_add_nc_u32_e32 v4, v35, v4
	v_dual_cndmask_b32 v35, v40, v36, vcc_lo :: v_dual_cndmask_b32 v36, v39, v37, s6
	s_delay_alu instid0(VALU_DEP_4) | instskip(NEXT) | instid1(VALU_DEP_3)
	v_cndmask_b32_e64 v39, v41, v39, s6
	v_dual_cndmask_b32 v37, v37, v42, s6 :: v_dual_sub_nc_u32 v40, 32, v4
	s_delay_alu instid0(VALU_DEP_3) | instskip(SKIP_1) | instid1(VALU_DEP_3)
	v_cndmask_b32_e64 v41, v42, v35, s6
	v_cmp_eq_u32_e32 vcc_lo, 0, v4
	v_dual_cndmask_b32 v39, v39, v36, s7 :: v_dual_cndmask_b32 v36, v36, v37, s7
	s_delay_alu instid0(VALU_DEP_1) | instskip(NEXT) | instid1(VALU_DEP_1)
	v_alignbit_b32 v42, v39, v36, v40
	v_dual_cndmask_b32 v37, v37, v41, s7 :: v_dual_cndmask_b32 v4, v42, v39, vcc_lo
	s_delay_alu instid0(VALU_DEP_1) | instskip(NEXT) | instid1(VALU_DEP_1)
	v_alignbit_b32 v38, v36, v37, v40
	v_dual_cndmask_b32 v34, v35, v34, s6 :: v_dual_cndmask_b32 v35, v38, v36, vcc_lo
	s_delay_alu instid0(VALU_DEP_3) | instskip(NEXT) | instid1(VALU_DEP_2)
	v_bfe_u32 v36, v4, 29, 1
	v_cndmask_b32_e64 v34, v41, v34, s7
	s_delay_alu instid0(VALU_DEP_3) | instskip(NEXT) | instid1(VALU_DEP_3)
	v_alignbit_b32 v38, v4, v35, 30
	v_sub_nc_u32_e32 v39, 0, v36
	s_delay_alu instid0(VALU_DEP_3) | instskip(NEXT) | instid1(VALU_DEP_1)
	v_alignbit_b32 v40, v37, v34, v40
	v_dual_cndmask_b32 v37, v40, v37, vcc_lo :: v_dual_bitop2_b32 v38, v38, v39 bitop3:0x14
	s_delay_alu instid0(VALU_DEP_1) | instskip(NEXT) | instid1(VALU_DEP_2)
	v_clz_i32_u32_e32 v40, v38
	v_alignbit_b32 v35, v35, v37, 30
	v_alignbit_b32 v34, v37, v34, 30
	s_delay_alu instid0(VALU_DEP_3) | instskip(NEXT) | instid1(VALU_DEP_3)
	v_min_u32_e32 v40, 32, v40
	v_xor_b32_e32 v35, v35, v39
	s_delay_alu instid0(VALU_DEP_3) | instskip(NEXT) | instid1(VALU_DEP_3)
	v_dual_lshrrev_b32 v39, 29, v4 :: v_dual_bitop2_b32 v34, v34, v39 bitop3:0x14
	v_dual_sub_nc_u32 v37, 31, v40 :: v_dual_lshlrev_b32 v41, 23, v40
	s_delay_alu instid0(VALU_DEP_1) | instskip(NEXT) | instid1(VALU_DEP_3)
	v_alignbit_b32 v38, v38, v35, v37
	v_alignbit_b32 v34, v35, v34, v37
	s_delay_alu instid0(VALU_DEP_4) | instskip(NEXT) | instid1(VALU_DEP_2)
	v_lshlrev_b32_e32 v35, 31, v39
	v_alignbit_b32 v37, v38, v34, 9
	s_delay_alu instid0(VALU_DEP_2) | instskip(SKIP_1) | instid1(VALU_DEP_3)
	v_dual_lshrrev_b32 v38, 9, v38 :: v_dual_bitop2_b32 v39, 0.5, v35 bitop3:0x54
	v_or_b32_e32 v35, 0x33000000, v35
	v_clz_i32_u32_e32 v42, v37
	s_delay_alu instid0(VALU_DEP_3) | instskip(NEXT) | instid1(VALU_DEP_2)
	v_sub_nc_u32_e32 v39, v39, v41
	v_min_u32_e32 v41, 32, v42
	s_delay_alu instid0(VALU_DEP_1) | instskip(NEXT) | instid1(VALU_DEP_3)
	v_add_lshl_u32 v40, v41, v40, 23
	v_or_b32_e32 v38, v38, v39
	v_not_b32_e32 v39, v41
	s_delay_alu instid0(VALU_DEP_2) | instskip(NEXT) | instid1(VALU_DEP_2)
	v_dual_mul_f32 v42, 0x3fc90fda, v38 :: v_dual_sub_nc_u32 v35, v35, v40
	v_alignbit_b32 v34, v37, v34, v39
	s_delay_alu instid0(VALU_DEP_2) | instskip(NEXT) | instid1(VALU_DEP_2)
	v_fma_f32 v37, 0x3fc90fda, v38, -v42
	v_lshrrev_b32_e32 v34, 9, v34
	s_delay_alu instid0(VALU_DEP_2) | instskip(NEXT) | instid1(VALU_DEP_2)
	v_fmac_f32_e32 v37, 0x33a22168, v38
	v_or_b32_e32 v34, v35, v34
	s_delay_alu instid0(VALU_DEP_1) | instskip(NEXT) | instid1(VALU_DEP_1)
	v_dual_fmac_f32 v37, 0x3fc90fda, v34 :: v_dual_lshrrev_b32 v34, 30, v4
	v_dual_add_nc_u32 v34, v36, v34 :: v_dual_add_f32 v4, v42, v37
	s_and_not1_saveexec_b32 s6, s39
	s_cbranch_execnz .LBB254_137
	s_branch .LBB254_138
.LBB254_136:                            ;   in Loop: Header=BB254_4 Depth=1
	s_and_not1_saveexec_b32 s6, s39
.LBB254_137:                            ;   in Loop: Header=BB254_4 Depth=1
	v_mul_f32_e64 v4, 0x3f22f983, |v27|
	s_delay_alu instid0(VALU_DEP_1) | instskip(NEXT) | instid1(VALU_DEP_1)
	v_rndne_f32_e32 v34, v4
	v_fma_f32 v4, 0xbfc90fda, v34, |v27|
	s_delay_alu instid0(VALU_DEP_1) | instskip(NEXT) | instid1(VALU_DEP_1)
	v_fmac_f32_e32 v4, 0xb3a22168, v34
	v_fmac_f32_e32 v4, 0xa7c234c4, v34
	v_cvt_i32_f32_e32 v34, v34
.LBB254_138:                            ;   in Loop: Header=BB254_4 Depth=1
	s_or_b32 exec_lo, exec_lo, s6
	v_sub_f32_e32 v26, 0xc322e3bc, v26
	s_delay_alu instid0(VALU_DEP_2) | instskip(SKIP_1) | instid1(VALU_DEP_3)
	v_dual_lshlrev_b32 v34, 30, v34 :: v_dual_bitop2_b32 v40, 1, v34 bitop3:0x40
	v_mul_f32_e32 v39, v4, v4
	v_mul_f32_e32 v35, 0x3fb8aa3b, v26
	s_delay_alu instid0(VALU_DEP_3) | instskip(NEXT) | instid1(VALU_DEP_3)
	v_and_or_b32 v32, 0x80000000, v34, v32
	v_fmaak_f32 v42, s31, v39, 0x3c0881c4
	s_delay_alu instid0(VALU_DEP_3) | instskip(SKIP_1) | instid1(VALU_DEP_1)
	v_fma_f32 v36, 0x3fb8aa3b, v26, -v35
	v_rndne_f32_e32 v37, v35
	v_dual_sub_f32 v35, v35, v37 :: v_dual_fmac_f32 v36, 0x32a5705f, v26
	v_cvt_i32_f32_e32 v37, v37
	v_cmp_ngt_f32_e32 vcc_lo, 0xc2ce8ed0, v26
	s_delay_alu instid0(VALU_DEP_3) | instskip(SKIP_1) | instid1(VALU_DEP_2)
	v_dual_add_f32 v35, v35, v36 :: v_dual_lshlrev_b32 v36, 30, v33
	v_and_b32_e32 v33, 1, v33
	v_exp_f32_e32 v35, v35
	v_nop
	s_delay_alu instid0(TRANS32_DEP_1) | instskip(NEXT) | instid1(VALU_DEP_1)
	v_ldexp_f32 v35, v35, v37
	v_dual_mul_f32 v38, v30, v30 :: v_dual_cndmask_b32 v35, 0, v35
	s_delay_alu instid0(VALU_DEP_1) | instskip(SKIP_1) | instid1(VALU_DEP_2)
	v_fmaak_f32 v41, s31, v38, 0x3c0881c4
	v_cmp_nlt_f32_e32 vcc_lo, 0x42b17218, v26
	v_dual_fmaak_f32 v26, v39, v42, 0xbe2aaa9d :: v_dual_fmaak_f32 v41, v38, v41, 0xbe2aaa9d
	s_delay_alu instid0(VALU_DEP_4) | instskip(SKIP_1) | instid1(VALU_DEP_3)
	v_cndmask_b32_e32 v34, 0x7f800000, v35, vcc_lo
	v_cmp_eq_u32_e32 vcc_lo, 0, v40
	v_dual_mul_f32 v26, v39, v26 :: v_dual_mul_f32 v41, v38, v41
	s_delay_alu instid0(VALU_DEP_3) | instskip(SKIP_1) | instid1(VALU_DEP_3)
	v_dual_fmaak_f32 v43, s33, v39, 0xbab64f3b :: v_dual_lshrrev_b32 v42, 23, v34
	v_fmaak_f32 v37, s33, v38, 0xbab64f3b
	v_dual_fmac_f32 v4, v4, v26 :: v_dual_fmac_f32 v30, v30, v41
	s_delay_alu instid0(VALU_DEP_3) | instskip(NEXT) | instid1(VALU_DEP_4)
	v_fmaak_f32 v35, v39, v43, 0x3d2aabf7
	v_subrev_nc_u32_e32 v42, 19, v42
	s_delay_alu instid0(VALU_DEP_4) | instskip(NEXT) | instid1(VALU_DEP_3)
	v_fmaak_f32 v37, v38, v37, 0x3d2aabf7
	v_fmaak_f32 v35, v39, v35, 0xbf000004
	s_delay_alu instid0(VALU_DEP_2) | instskip(NEXT) | instid1(VALU_DEP_2)
	v_fmaak_f32 v37, v38, v37, 0xbf000004
	v_fma_f32 v26, v39, v35, 1.0
	s_delay_alu instid0(VALU_DEP_2) | instskip(SKIP_1) | instid1(VALU_DEP_3)
	v_fma_f32 v35, v38, v37, 1.0
	v_lshrrev_b16 v37, 15, v42
	v_cndmask_b32_e32 v4, v26, v4, vcc_lo
	v_cmp_eq_u32_e32 vcc_lo, 0, v33
	s_delay_alu instid0(VALU_DEP_2) | instskip(SKIP_3) | instid1(VALU_DEP_3)
	v_xor3_b32 v4, v32, v4, v31
	v_cndmask_b32_e64 v26, -v30, v35, vcc_lo
	v_add_nc_u16 v30, v42, v37
	v_cmp_class_f32_e64 vcc_lo, v27, 0x1f8
	v_bitop3_b32 v26, v36, v26, 0x80000000 bitop3:0x6c
	s_delay_alu instid0(VALU_DEP_3) | instskip(SKIP_2) | instid1(VALU_DEP_4)
	v_ashrrev_i16 v30, 1, v30
	v_cndmask_b32_e32 v27, 0x7fc00000, v4, vcc_lo
	v_and_or_b32 v4, 0x7fffff, v34, s34
	v_cndmask_b32_e32 v26, 0x7fc00000, v26, vcc_lo
	s_delay_alu instid0(VALU_DEP_4) | instskip(NEXT) | instid1(VALU_DEP_2)
	v_bfe_i32 v30, v30, 0, 16
	v_pk_mul_f32 v[26:27], v[26:27], v[4:5] op_sel_hi:[1,0]
	s_delay_alu instid0(VALU_DEP_2) | instskip(SKIP_1) | instid1(VALU_DEP_2)
	v_sub_nc_u32_e32 v31, v42, v30
	v_lshl_add_u32 v4, v30, 23, 1.0
	v_lshl_add_u32 v30, v31, 23, 1.0
	s_delay_alu instid0(VALU_DEP_2) | instskip(NEXT) | instid1(VALU_DEP_1)
	v_pk_mul_f32 v[26:27], v[26:27], v[4:5] op_sel_hi:[1,0]
	v_pk_mul_f32 v[30:31], v[26:27], v[30:31] op_sel_hi:[1,0]
.LBB254_139:                            ;   in Loop: Header=BB254_4 Depth=1
	s_or_b32 exec_lo, exec_lo, s38
                                        ; implicit-def: $vgpr4
                                        ; implicit-def: $vgpr26
                                        ; implicit-def: $vgpr33
.LBB254_140:                            ;   in Loop: Header=BB254_4 Depth=1
	s_and_not1_saveexec_b32 s6, s37
	s_cbranch_execz .LBB254_146
; %bb.141:                              ;   in Loop: Header=BB254_4 Depth=1
	s_mov_b32 s7, exec_lo
                                        ; implicit-def: $vgpr31
	v_cmpx_ne_u32_e32 0x7f800000, v33
	s_xor_b32 s7, exec_lo, s7
; %bb.142:                              ;   in Loop: Header=BB254_4 Depth=1
	v_sub_f32_e32 v31, v27, v27
                                        ; implicit-def: $vgpr4
                                        ; implicit-def: $vgpr26_vgpr27
	s_delay_alu instid0(VALU_DEP_1)
	v_mov_b32_e32 v30, v31
; %bb.143:                              ;   in Loop: Header=BB254_4 Depth=1
	s_and_not1_saveexec_b32 s7, s7
; %bb.144:                              ;   in Loop: Header=BB254_4 Depth=1
	v_pk_add_f32 v[30:31], v[26:27], v[26:27] neg_lo:[0,1] neg_hi:[0,1]
	v_cmp_lt_i32_e32 vcc_lo, -1, v4
	s_delay_alu instid0(VALU_DEP_2)
	v_dual_cndmask_b32 v30, 0, -v26, vcc_lo :: v_dual_cndmask_b32 v31, 0, v31, vcc_lo
; %bb.145:                              ;   in Loop: Header=BB254_4 Depth=1
	s_or_b32 exec_lo, exec_lo, s7
.LBB254_146:                            ;   in Loop: Header=BB254_4 Depth=1
	s_delay_alu instid0(SALU_CYCLE_1)
	s_or_b32 exec_lo, exec_lo, s6
                                        ; implicit-def: $vgpr27
                                        ; implicit-def: $vgpr32
.LBB254_147:                            ;   in Loop: Header=BB254_4 Depth=1
	s_and_not1_saveexec_b32 s36, s36
	s_cbranch_execz .LBB254_157
; %bb.148:                              ;   in Loop: Header=BB254_4 Depth=1
	v_lshrrev_b32_e32 v26, 23, v32
	v_cmp_ngt_f32_e64 s37, 0x48000000, |v27|
	v_and_or_b32 v4, v32, s30, 0x800000
                                        ; implicit-def: $vgpr30
	s_delay_alu instid0(VALU_DEP_3) | instskip(SKIP_1) | instid1(SALU_CYCLE_1)
	v_add_nc_u32_e32 v33, 0xffffff88, v26
                                        ; implicit-def: $vgpr26
	s_and_saveexec_b32 s6, s37
	s_xor_b32 s38, exec_lo, s6
	s_cbranch_execz .LBB254_150
; %bb.149:                              ;   in Loop: Header=BB254_4 Depth=1
	v_mul_u64_e32 v[34:35], s[26:27], v[4:5]
	v_mov_b32_e32 v37, v5
	v_cmp_lt_u32_e32 vcc_lo, 63, v33
	v_mov_b32_e32 v47, v5
	v_cndmask_b32_e64 v26, 0, 0xffffffc0, vcc_lo
	s_delay_alu instid0(VALU_DEP_1) | instskip(NEXT) | instid1(VALU_DEP_1)
	v_add_nc_u32_e32 v26, v26, v33
	v_cmp_lt_u32_e64 s6, 31, v26
	s_delay_alu instid0(VALU_DEP_1) | instskip(NEXT) | instid1(VALU_DEP_1)
	v_cndmask_b32_e64 v30, 0, 0xffffffe0, s6
	v_dual_add_nc_u32 v26, v30, v26 :: v_dual_mov_b32 v36, v35
	s_delay_alu instid0(VALU_DEP_1) | instskip(NEXT) | instid1(VALU_DEP_2)
	v_cmp_lt_u32_e64 s7, 31, v26
	v_mad_nc_u64_u32 v[36:37], 0x3c439041, v4, v[36:37]
	v_mov_b32_e32 v39, v5
	s_delay_alu instid0(VALU_DEP_3) | instskip(NEXT) | instid1(VALU_DEP_3)
	v_cndmask_b32_e64 v30, 0, 0xffffffe0, s7
	v_mov_b32_e32 v38, v37
	s_delay_alu instid0(VALU_DEP_1) | instskip(NEXT) | instid1(VALU_DEP_1)
	v_mad_nc_u64_u32 v[38:39], 0xdb629599, v4, v[38:39]
	v_dual_mov_b32 v41, v5 :: v_dual_mov_b32 v40, v39
	s_delay_alu instid0(VALU_DEP_2) | instskip(NEXT) | instid1(VALU_DEP_2)
	v_cndmask_b32_e32 v34, v38, v34, vcc_lo
	v_mad_nc_u64_u32 v[40:41], 0xf534ddc0, v4, v[40:41]
	v_dual_mov_b32 v43, v5 :: v_dual_add_nc_u32 v26, v30, v26
	s_delay_alu instid0(VALU_DEP_2) | instskip(NEXT) | instid1(VALU_DEP_1)
	v_dual_cndmask_b32 v30, v40, v36, vcc_lo :: v_dual_mov_b32 v42, v41
	v_mad_nc_u64_u32 v[42:43], 0xfc2757d1, v4, v[42:43]
	s_delay_alu instid0(VALU_DEP_1) | instskip(NEXT) | instid1(VALU_DEP_2)
	v_dual_mov_b32 v45, v5 :: v_dual_mov_b32 v44, v43
	v_cndmask_b32_e32 v41, v42, v38, vcc_lo
	s_delay_alu instid0(VALU_DEP_2) | instskip(NEXT) | instid1(VALU_DEP_1)
	v_mad_nc_u64_u32 v[44:45], 0x4e441529, v4, v[44:45]
	v_mov_b32_e32 v46, v45
	s_delay_alu instid0(VALU_DEP_1) | instskip(NEXT) | instid1(VALU_DEP_1)
	v_mad_nc_u64_u32 v[46:47], 0xa2f9836e, v4, v[46:47]
	v_dual_cndmask_b32 v35, v44, v40, vcc_lo :: v_dual_cndmask_b32 v37, v46, v42, vcc_lo
	s_delay_alu instid0(VALU_DEP_2) | instskip(SKIP_1) | instid1(VALU_DEP_2)
	v_cndmask_b32_e32 v39, v47, v44, vcc_lo
	v_cmp_eq_u32_e32 vcc_lo, 0, v26
	v_dual_cndmask_b32 v36, v37, v35, s6 :: v_dual_cndmask_b32 v37, v39, v37, s6
	v_dual_cndmask_b32 v35, v35, v41, s6 :: v_dual_sub_nc_u32 v39, 32, v26
	v_cndmask_b32_e64 v40, v41, v30, s6
	s_delay_alu instid0(VALU_DEP_3) | instskip(NEXT) | instid1(VALU_DEP_3)
	v_dual_cndmask_b32 v30, v30, v34, s6 :: v_dual_cndmask_b32 v37, v37, v36, s7
	v_cndmask_b32_e64 v36, v36, v35, s7
	s_delay_alu instid0(VALU_DEP_1) | instskip(NEXT) | instid1(VALU_DEP_1)
	v_alignbit_b32 v41, v37, v36, v39
	v_dual_cndmask_b32 v35, v35, v40, s7 :: v_dual_cndmask_b32 v26, v41, v37, vcc_lo
	s_delay_alu instid0(VALU_DEP_1) | instskip(NEXT) | instid1(VALU_DEP_1)
	v_alignbit_b32 v38, v36, v35, v39
	v_cndmask_b32_e32 v34, v38, v36, vcc_lo
	s_delay_alu instid0(VALU_DEP_3) | instskip(NEXT) | instid1(VALU_DEP_1)
	v_bfe_u32 v36, v26, 29, 1
	v_dual_sub_nc_u32 v38, 0, v36 :: v_dual_cndmask_b32 v30, v40, v30, s7
	s_delay_alu instid0(VALU_DEP_3) | instskip(NEXT) | instid1(VALU_DEP_2)
	v_alignbit_b32 v37, v26, v34, 30
	v_alignbit_b32 v39, v35, v30, v39
	s_delay_alu instid0(VALU_DEP_1) | instskip(NEXT) | instid1(VALU_DEP_1)
	v_dual_cndmask_b32 v35, v39, v35, vcc_lo :: v_dual_bitop2_b32 v37, v37, v38 bitop3:0x14
	v_clz_i32_u32_e32 v39, v37
	s_delay_alu instid0(VALU_DEP_2) | instskip(NEXT) | instid1(VALU_DEP_2)
	v_alignbit_b32 v34, v34, v35, 30
	v_min_u32_e32 v39, 32, v39
	v_alignbit_b32 v30, v35, v30, 30
	s_delay_alu instid0(VALU_DEP_2) | instskip(NEXT) | instid1(VALU_DEP_2)
	v_dual_sub_nc_u32 v35, 31, v39 :: v_dual_bitop2_b32 v34, v34, v38 bitop3:0x14
	v_xor_b32_e32 v30, v30, v38
	v_dual_lshrrev_b32 v38, 29, v26 :: v_dual_lshlrev_b32 v40, 23, v39
	s_delay_alu instid0(VALU_DEP_3) | instskip(NEXT) | instid1(VALU_DEP_3)
	v_alignbit_b32 v37, v37, v34, v35
	v_alignbit_b32 v30, v34, v30, v35
	s_delay_alu instid0(VALU_DEP_3) | instskip(NEXT) | instid1(VALU_DEP_2)
	v_lshlrev_b32_e32 v34, 31, v38
	v_alignbit_b32 v35, v37, v30, 9
	s_delay_alu instid0(VALU_DEP_2) | instskip(SKIP_1) | instid1(VALU_DEP_3)
	v_dual_lshrrev_b32 v37, 9, v37 :: v_dual_bitop2_b32 v38, 0.5, v34 bitop3:0x54
	v_or_b32_e32 v34, 0x33000000, v34
	v_clz_i32_u32_e32 v41, v35
	s_delay_alu instid0(VALU_DEP_3) | instskip(NEXT) | instid1(VALU_DEP_2)
	v_sub_nc_u32_e32 v38, v38, v40
	v_min_u32_e32 v40, 32, v41
	s_delay_alu instid0(VALU_DEP_1) | instskip(NEXT) | instid1(VALU_DEP_3)
	v_add_lshl_u32 v39, v40, v39, 23
	v_or_b32_e32 v37, v37, v38
	v_not_b32_e32 v38, v40
	s_delay_alu instid0(VALU_DEP_2) | instskip(NEXT) | instid1(VALU_DEP_2)
	v_dual_mul_f32 v41, 0x3fc90fda, v37 :: v_dual_sub_nc_u32 v34, v34, v39
	v_alignbit_b32 v30, v35, v30, v38
	s_delay_alu instid0(VALU_DEP_2) | instskip(NEXT) | instid1(VALU_DEP_1)
	v_fma_f32 v35, 0x3fc90fda, v37, -v41
	v_dual_fmac_f32 v35, 0x33a22168, v37 :: v_dual_lshrrev_b32 v30, 9, v30
	s_delay_alu instid0(VALU_DEP_1) | instskip(NEXT) | instid1(VALU_DEP_1)
	v_or_b32_e32 v30, v34, v30
	v_fmac_f32_e32 v35, 0x3fc90fda, v30
	v_lshrrev_b32_e32 v30, 30, v26
	s_delay_alu instid0(VALU_DEP_1)
	v_dual_add_nc_u32 v30, v36, v30 :: v_dual_add_f32 v26, v41, v35
.LBB254_150:                            ;   in Loop: Header=BB254_4 Depth=1
	s_or_saveexec_b32 s6, s38
	v_mul_f32_e64 v34, 0x3f22f983, |v27|
	s_delay_alu instid0(VALU_DEP_1)
	v_rndne_f32_e32 v36, v34
	s_xor_b32 exec_lo, exec_lo, s6
; %bb.151:                              ;   in Loop: Header=BB254_4 Depth=1
	s_delay_alu instid0(VALU_DEP_1) | instskip(SKIP_1) | instid1(VALU_DEP_2)
	v_fma_f32 v26, 0xbfc90fda, v36, |v27|
	v_cvt_i32_f32_e32 v30, v36
	v_fmac_f32_e32 v26, 0xb3a22168, v36
	s_delay_alu instid0(VALU_DEP_1)
	v_fmac_f32_e32 v26, 0xa7c234c4, v36
; %bb.152:                              ;   in Loop: Header=BB254_4 Depth=1
	s_or_b32 exec_lo, exec_lo, s6
                                        ; implicit-def: $vgpr35
                                        ; implicit-def: $vgpr34
	s_and_saveexec_b32 s6, s37
	s_delay_alu instid0(SALU_CYCLE_1)
	s_xor_b32 s37, exec_lo, s6
	s_cbranch_execz .LBB254_154
; %bb.153:                              ;   in Loop: Header=BB254_4 Depth=1
	v_mul_u64_e32 v[34:35], s[26:27], v[4:5]
	v_mov_b32_e32 v37, v5
	v_cmp_lt_u32_e32 vcc_lo, 63, v33
	s_delay_alu instid0(VALU_DEP_3) | instskip(SKIP_1) | instid1(VALU_DEP_2)
	v_dual_mov_b32 v47, v5 :: v_dual_mov_b32 v36, v35
	v_cndmask_b32_e64 v35, 0, 0xffffffc0, vcc_lo
	v_mad_nc_u64_u32 v[36:37], 0x3c439041, v4, v[36:37]
	s_delay_alu instid0(VALU_DEP_2) | instskip(NEXT) | instid1(VALU_DEP_1)
	v_dual_mov_b32 v39, v5 :: v_dual_add_nc_u32 v33, v35, v33
	v_cmp_lt_u32_e64 s6, 31, v33
	s_delay_alu instid0(VALU_DEP_3) | instskip(NEXT) | instid1(VALU_DEP_2)
	v_mov_b32_e32 v38, v37
	v_cndmask_b32_e64 v35, 0, 0xffffffe0, s6
	s_delay_alu instid0(VALU_DEP_2) | instskip(NEXT) | instid1(VALU_DEP_1)
	v_mad_nc_u64_u32 v[38:39], 0xdb629599, v4, v[38:39]
	v_dual_mov_b32 v41, v5 :: v_dual_mov_b32 v40, v39
	s_delay_alu instid0(VALU_DEP_2) | instskip(NEXT) | instid1(VALU_DEP_2)
	v_cndmask_b32_e32 v34, v38, v34, vcc_lo
	v_mad_nc_u64_u32 v[40:41], 0xf534ddc0, v4, v[40:41]
	s_delay_alu instid0(VALU_DEP_1) | instskip(NEXT) | instid1(VALU_DEP_1)
	v_dual_mov_b32 v43, v5 :: v_dual_mov_b32 v42, v41
	v_mad_nc_u64_u32 v[42:43], 0xfc2757d1, v4, v[42:43]
	s_delay_alu instid0(VALU_DEP_1) | instskip(NEXT) | instid1(VALU_DEP_2)
	v_dual_mov_b32 v45, v5 :: v_dual_mov_b32 v44, v43
	v_cndmask_b32_e32 v41, v42, v38, vcc_lo
	s_delay_alu instid0(VALU_DEP_2) | instskip(NEXT) | instid1(VALU_DEP_1)
	v_mad_nc_u64_u32 v[44:45], 0x4e441529, v4, v[44:45]
	v_mov_b32_e32 v46, v45
	s_delay_alu instid0(VALU_DEP_1) | instskip(NEXT) | instid1(VALU_DEP_3)
	v_mad_nc_u64_u32 v[46:47], 0xa2f9836e, v4, v[46:47]
	v_dual_cndmask_b32 v35, v44, v40 :: v_dual_add_nc_u32 v4, v35, v33
	s_delay_alu instid0(VALU_DEP_1) | instskip(NEXT) | instid1(VALU_DEP_1)
	v_cmp_lt_u32_e64 s7, 31, v4
	v_cndmask_b32_e64 v33, 0, 0xffffffe0, s7
	s_delay_alu instid0(VALU_DEP_4) | instskip(NEXT) | instid1(VALU_DEP_2)
	v_dual_cndmask_b32 v37, v46, v42, vcc_lo :: v_dual_cndmask_b32 v39, v47, v44, vcc_lo
	v_add_nc_u32_e32 v4, v33, v4
	s_delay_alu instid0(VALU_DEP_2) | instskip(NEXT) | instid1(VALU_DEP_3)
	v_dual_cndmask_b32 v33, v40, v36, vcc_lo :: v_dual_cndmask_b32 v36, v37, v35, s6
	v_cndmask_b32_e64 v37, v39, v37, s6
	s_delay_alu instid0(VALU_DEP_3) | instskip(NEXT) | instid1(VALU_DEP_3)
	v_dual_cndmask_b32 v35, v35, v41, s6 :: v_dual_sub_nc_u32 v39, 32, v4
	v_cndmask_b32_e64 v40, v41, v33, s6
	v_cmp_eq_u32_e32 vcc_lo, 0, v4
	s_delay_alu instid0(VALU_DEP_3) | instskip(NEXT) | instid1(VALU_DEP_1)
	v_dual_cndmask_b32 v37, v37, v36, s7 :: v_dual_cndmask_b32 v36, v36, v35, s7
	v_alignbit_b32 v41, v37, v36, v39
	s_delay_alu instid0(VALU_DEP_1) | instskip(NEXT) | instid1(VALU_DEP_1)
	v_dual_cndmask_b32 v35, v35, v40, s7 :: v_dual_cndmask_b32 v4, v41, v37, vcc_lo
	v_alignbit_b32 v38, v36, v35, v39
	s_delay_alu instid0(VALU_DEP_1) | instskip(NEXT) | instid1(VALU_DEP_3)
	v_dual_cndmask_b32 v33, v33, v34, s6 :: v_dual_cndmask_b32 v34, v38, v36, vcc_lo
	v_bfe_u32 v36, v4, 29, 1
	s_delay_alu instid0(VALU_DEP_2) | instskip(NEXT) | instid1(VALU_DEP_3)
	v_cndmask_b32_e64 v33, v40, v33, s7
	v_alignbit_b32 v37, v4, v34, 30
	s_delay_alu instid0(VALU_DEP_3) | instskip(NEXT) | instid1(VALU_DEP_3)
	v_sub_nc_u32_e32 v38, 0, v36
	v_alignbit_b32 v39, v35, v33, v39
	s_delay_alu instid0(VALU_DEP_1) | instskip(NEXT) | instid1(VALU_DEP_1)
	v_dual_cndmask_b32 v35, v39, v35, vcc_lo :: v_dual_bitop2_b32 v37, v37, v38 bitop3:0x14
	v_clz_i32_u32_e32 v39, v37
	s_delay_alu instid0(VALU_DEP_2) | instskip(SKIP_1) | instid1(VALU_DEP_3)
	v_alignbit_b32 v34, v34, v35, 30
	v_alignbit_b32 v33, v35, v33, 30
	v_min_u32_e32 v39, 32, v39
	s_delay_alu instid0(VALU_DEP_3) | instskip(NEXT) | instid1(VALU_DEP_3)
	v_xor_b32_e32 v34, v34, v38
	v_dual_lshrrev_b32 v38, 29, v4 :: v_dual_bitop2_b32 v33, v33, v38 bitop3:0x14
	s_delay_alu instid0(VALU_DEP_3) | instskip(SKIP_1) | instid1(VALU_DEP_2)
	v_dual_lshrrev_b32 v4, 30, v4 :: v_dual_sub_nc_u32 v35, 31, v39
	v_lshlrev_b32_e32 v40, 23, v39
	v_alignbit_b32 v37, v37, v34, v35
	s_delay_alu instid0(VALU_DEP_4) | instskip(SKIP_1) | instid1(VALU_DEP_2)
	v_alignbit_b32 v33, v34, v33, v35
	v_lshlrev_b32_e32 v34, 31, v38
	v_alignbit_b32 v35, v37, v33, 9
	s_delay_alu instid0(VALU_DEP_2) | instskip(SKIP_1) | instid1(VALU_DEP_3)
	v_dual_lshrrev_b32 v37, 9, v37 :: v_dual_bitop2_b32 v38, 0.5, v34 bitop3:0x54
	v_or_b32_e32 v34, 0x33000000, v34
	v_clz_i32_u32_e32 v41, v35
	s_delay_alu instid0(VALU_DEP_3) | instskip(NEXT) | instid1(VALU_DEP_2)
	v_sub_nc_u32_e32 v38, v38, v40
	v_min_u32_e32 v40, 32, v41
	s_delay_alu instid0(VALU_DEP_1) | instskip(NEXT) | instid1(VALU_DEP_3)
	v_add_lshl_u32 v39, v40, v39, 23
	v_or_b32_e32 v37, v37, v38
	v_not_b32_e32 v38, v40
	s_delay_alu instid0(VALU_DEP_2) | instskip(NEXT) | instid1(VALU_DEP_2)
	v_dual_mul_f32 v41, 0x3fc90fda, v37 :: v_dual_sub_nc_u32 v34, v34, v39
	v_alignbit_b32 v33, v35, v33, v38
	s_delay_alu instid0(VALU_DEP_2) | instskip(NEXT) | instid1(VALU_DEP_2)
	v_fma_f32 v35, 0x3fc90fda, v37, -v41
	v_lshrrev_b32_e32 v33, 9, v33
	s_delay_alu instid0(VALU_DEP_2) | instskip(NEXT) | instid1(VALU_DEP_2)
	v_fmac_f32_e32 v35, 0x33a22168, v37
	v_or_b32_e32 v33, v34, v33
	s_delay_alu instid0(VALU_DEP_1) | instskip(NEXT) | instid1(VALU_DEP_1)
	v_fmac_f32_e32 v35, 0x3fc90fda, v33
	v_dual_add_f32 v34, v41, v35 :: v_dual_add_nc_u32 v35, v36, v4
                                        ; implicit-def: $vgpr36
	s_and_not1_saveexec_b32 s6, s37
	s_cbranch_execnz .LBB254_155
	s_branch .LBB254_156
.LBB254_154:                            ;   in Loop: Header=BB254_4 Depth=1
	s_and_not1_saveexec_b32 s6, s37
.LBB254_155:                            ;   in Loop: Header=BB254_4 Depth=1
	v_fma_f32 v34, 0xbfc90fda, v36, |v27|
	v_cvt_i32_f32_e32 v35, v36
	s_delay_alu instid0(VALU_DEP_2) | instskip(NEXT) | instid1(VALU_DEP_1)
	v_fmac_f32_e32 v34, 0xb3a22168, v36
	v_fmac_f32_e32 v34, 0xa7c234c4, v36
.LBB254_156:                            ;   in Loop: Header=BB254_4 Depth=1
	s_or_b32 exec_lo, exec_lo, s6
	s_delay_alu instid0(VALU_DEP_1) | instskip(SKIP_2) | instid1(VALU_DEP_3)
	v_mul_f32_e32 v33, v34, v34
	v_mul_f32_e32 v4, v26, v26
	v_dual_lshlrev_b32 v30, 30, v30 :: v_dual_bitop2_b32 v36, 1, v30 bitop3:0x40
	v_fmaak_f32 v39, s31, v33, 0x3c0881c4
	s_delay_alu instid0(VALU_DEP_3) | instskip(NEXT) | instid1(VALU_DEP_3)
	v_fmaak_f32 v38, s33, v4, 0xbab64f3b
	v_cmp_eq_u32_e32 vcc_lo, 0, v36
	v_dual_lshlrev_b32 v35, 30, v35 :: v_dual_bitop2_b32 v41, 1, v35 bitop3:0x40
	s_delay_alu instid0(VALU_DEP_4) | instskip(SKIP_1) | instid1(VALU_DEP_3)
	v_fmaak_f32 v39, v33, v39, 0xbe2aaa9d
	v_fmaak_f32 v40, s33, v33, 0xbab64f3b
	v_and_or_b32 v32, 0x80000000, v35, v32
	s_delay_alu instid0(VALU_DEP_2) | instskip(NEXT) | instid1(VALU_DEP_1)
	v_dual_mul_f32 v39, v33, v39 :: v_dual_fmaak_f32 v40, v33, v40, 0x3d2aabf7
	v_dual_fmaak_f32 v37, s31, v4, 0x3c0881c4 :: v_dual_fmac_f32 v34, v34, v39
	s_delay_alu instid0(VALU_DEP_2) | instskip(NEXT) | instid1(VALU_DEP_1)
	v_fmaak_f32 v40, v33, v40, 0xbf000004
	v_fma_f32 v33, v33, v40, 1.0
	s_delay_alu instid0(VALU_DEP_3) | instskip(NEXT) | instid1(VALU_DEP_1)
	v_fmaak_f32 v37, v4, v37, 0xbe2aaa9d
	v_dual_fmaak_f32 v38, v4, v38, 0x3d2aabf7 :: v_dual_mul_f32 v37, v4, v37
	s_delay_alu instid0(VALU_DEP_1) | instskip(NEXT) | instid1(VALU_DEP_2)
	v_fmaak_f32 v38, v4, v38, 0xbf000004
	v_fmac_f32_e32 v26, v26, v37
	s_delay_alu instid0(VALU_DEP_2) | instskip(NEXT) | instid1(VALU_DEP_1)
	v_fma_f32 v4, v4, v38, 1.0
	v_cndmask_b32_e64 v4, -v26, v4, vcc_lo
	v_cmp_eq_u32_e32 vcc_lo, 0, v41
	s_delay_alu instid0(VALU_DEP_2) | instskip(SKIP_2) | instid1(VALU_DEP_2)
	v_bitop3_b32 v4, v30, v4, 0x80000000 bitop3:0x6c
	v_cndmask_b32_e32 v26, v33, v34, vcc_lo
	v_cmp_class_f32_e64 vcc_lo, v27, 0x1f8
	v_xor3_b32 v26, v32, v26, v31
	s_delay_alu instid0(VALU_DEP_4) | instskip(NEXT) | instid1(VALU_DEP_2)
	v_cndmask_b32_e32 v30, 0x7fc00000, v4, vcc_lo
	v_cndmask_b32_e32 v31, 0x7fc00000, v26, vcc_lo
.LBB254_157:                            ;   in Loop: Header=BB254_4 Depth=1
	s_or_b32 exec_lo, exec_lo, s36
                                        ; implicit-def: $vgpr26
.LBB254_158:                            ;   in Loop: Header=BB254_4 Depth=1
	s_and_not1_saveexec_b32 s6, s35
	s_cbranch_execz .LBB254_160
; %bb.159:                              ;   in Loop: Header=BB254_4 Depth=1
	v_mul_f32_e32 v4, 0xbfb8aa3b, v26
	v_cmp_nlt_f32_e32 vcc_lo, 0x42ce8ed0, v26
	s_delay_alu instid0(VALU_DEP_2) | instskip(SKIP_1) | instid1(VALU_DEP_2)
	v_rndne_f32_e32 v27, v4
	v_fma_f32 v30, 0xbfb8aa3b, v26, -v4
	v_sub_f32_e32 v4, v4, v27
	s_delay_alu instid0(VALU_DEP_2) | instskip(SKIP_1) | instid1(VALU_DEP_2)
	v_fmac_f32_e32 v30, 0xb2a5705f, v26
	v_cvt_i32_f32_e32 v27, v27
	v_add_f32_e32 v4, v4, v30
	s_delay_alu instid0(VALU_DEP_1) | instskip(SKIP_1) | instid1(TRANS32_DEP_1)
	v_exp_f32_e32 v4, v4
	v_nop
	v_ldexp_f32 v4, v4, v27
	s_delay_alu instid0(VALU_DEP_1) | instskip(SKIP_1) | instid1(VALU_DEP_2)
	v_cndmask_b32_e32 v4, 0, v4, vcc_lo
	v_cmp_ngt_f32_e32 vcc_lo, 0xc2b17218, v26
	v_cndmask_b32_e32 v30, 0x7f800000, v4, vcc_lo
.LBB254_160:                            ;   in Loop: Header=BB254_4 Depth=1
	s_or_b32 exec_lo, exec_lo, s6
	v_mov_b64_e32 v[26:27], s[8:9]
	s_mov_b32 s6, exec_lo
	s_delay_alu instid0(VALU_DEP_1) | instskip(NEXT) | instid1(VALU_DEP_1)
	v_pk_add_f32 v[30:31], v[30:31], v[26:27]
                                        ; implicit-def: $vgpr26_vgpr27
	v_cmp_gt_f32_e32 vcc_lo, 0, v31
	v_cndmask_b32_e64 v4, v31, -v31, vcc_lo
	s_delay_alu instid0(VALU_DEP_3) | instskip(SKIP_1) | instid1(VALU_DEP_1)
	v_cmp_gt_f32_e32 vcc_lo, 0, v30
	v_cndmask_b32_e64 v32, v30, -v30, vcc_lo
	v_cmpx_ge_f32_e32 v32, v4
	s_xor_b32 s7, exec_lo, s6
	s_cbranch_execz .LBB254_166
; %bb.161:                              ;   in Loop: Header=BB254_4 Depth=1
	v_cmp_neq_f32_e32 vcc_lo, 0, v30
	v_cmp_neq_f32_e64 s6, 0, v31
                                        ; implicit-def: $vgpr26_vgpr27
	s_or_b32 s6, vcc_lo, s6
	s_delay_alu instid0(SALU_CYCLE_1) | instskip(NEXT) | instid1(SALU_CYCLE_1)
	s_and_saveexec_b32 s35, s6
	s_xor_b32 s6, exec_lo, s35
	s_cbranch_execz .LBB254_163
; %bb.162:                              ;   in Loop: Header=BB254_4 Depth=1
	v_div_scale_f32 v4, null, v30, v30, v31
	v_div_scale_f32 v32, vcc_lo, v31, v30, v31
	s_delay_alu instid0(VALU_DEP_2) | instskip(SKIP_1) | instid1(TRANS32_DEP_1)
	v_rcp_f32_e32 v26, v4
	v_nop
	v_fma_f32 v27, -v4, v26, 1.0
	s_delay_alu instid0(VALU_DEP_1) | instskip(NEXT) | instid1(VALU_DEP_1)
	v_fmac_f32_e32 v26, v27, v26
	v_mul_f32_e32 v27, v32, v26
	s_delay_alu instid0(VALU_DEP_1) | instskip(NEXT) | instid1(VALU_DEP_1)
	v_fma_f32 v33, -v4, v27, v32
	v_fmac_f32_e32 v27, v33, v26
	s_delay_alu instid0(VALU_DEP_1) | instskip(NEXT) | instid1(VALU_DEP_1)
	v_fma_f32 v4, -v4, v27, v32
	v_div_fmas_f32 v4, v4, v26, v27
	s_delay_alu instid0(VALU_DEP_1) | instskip(NEXT) | instid1(VALU_DEP_1)
	v_div_fixup_f32 v4, v4, v30, v31
	v_fmac_f32_e32 v30, v31, v4
	s_delay_alu instid0(VALU_DEP_1) | instskip(SKIP_1) | instid1(VALU_DEP_2)
	v_div_scale_f32 v31, null, v30, v30, 1.0
	v_div_scale_f32 v32, vcc_lo, 1.0, v30, 1.0
	v_rcp_f32_e32 v34, v31
	v_nop
	s_delay_alu instid0(TRANS32_DEP_1) | instskip(NEXT) | instid1(VALU_DEP_1)
	v_fma_f32 v26, -v31, v34, 1.0
	v_fmac_f32_e32 v34, v26, v34
	s_delay_alu instid0(VALU_DEP_1) | instskip(NEXT) | instid1(VALU_DEP_1)
	v_mul_f32_e32 v35, v32, v34
	v_fma_f32 v26, -v31, v35, v32
	s_delay_alu instid0(VALU_DEP_1) | instskip(SKIP_1) | instid1(VALU_DEP_2)
	v_fmac_f32_e32 v35, v26, v34
	v_mov_b64_e32 v[26:27], s[8:9]
	v_fma_f32 v31, -v31, v35, v32
	v_mov_b64_e32 v[32:33], s[16:17]
	s_delay_alu instid0(VALU_DEP_2) | instskip(NEXT) | instid1(VALU_DEP_2)
	v_div_fmas_f32 v31, v31, v34, v35
	v_pk_fma_f32 v[34:35], v[4:5], v[32:33], v[26:27] op_sel_hi:[0,1,1] neg_lo:[1,0,0] neg_hi:[1,0,0]
	v_pk_fma_f32 v[26:27], v[4:5], v[32:33], v[26:27]
	s_delay_alu instid0(VALU_DEP_3) | instskip(NEXT) | instid1(VALU_DEP_3)
	v_div_fixup_f32 v4, v31, v30, 1.0
                                        ; implicit-def: $vgpr32
	v_mov_b32_e32 v27, v35
	s_delay_alu instid0(VALU_DEP_1)
	v_pk_mul_f32 v[26:27], v[26:27], v[4:5] op_sel_hi:[1,0]
                                        ; implicit-def: $vgpr4
.LBB254_163:                            ;   in Loop: Header=BB254_4 Depth=1
	s_and_not1_saveexec_b32 s35, s6
	s_cbranch_execz .LBB254_165
; %bb.164:                              ;   in Loop: Header=BB254_4 Depth=1
	v_div_scale_f32 v26, null, v4, v4, s9
	v_div_scale_f32 v27, null, v32, v32, s8
	v_div_scale_f32 v35, vcc_lo, s9, v4, s9
	s_delay_alu instid0(VALU_DEP_3) | instskip(NEXT) | instid1(VALU_DEP_2)
	v_rcp_f32_e32 v30, v26
	v_rcp_f32_e32 v31, v27
	s_delay_alu instid0(TRANS32_DEP_2) | instskip(NEXT) | instid1(TRANS32_DEP_1)
	v_fma_f32 v33, -v26, v30, 1.0
	v_fma_f32 v34, -v27, v31, 1.0
	s_delay_alu instid0(VALU_DEP_1) | instskip(SKIP_1) | instid1(VALU_DEP_1)
	v_dual_fmac_f32 v30, v33, v30 :: v_dual_fmac_f32 v31, v34, v31
	v_div_scale_f32 v33, s6, s8, v32, s8
	v_dual_mul_f32 v34, v35, v30 :: v_dual_mul_f32 v36, v33, v31
	s_delay_alu instid0(VALU_DEP_1) | instskip(NEXT) | instid1(VALU_DEP_1)
	v_dual_fma_f32 v37, -v26, v34, v35 :: v_dual_fma_f32 v38, -v27, v36, v33
	v_dual_fmac_f32 v34, v37, v30 :: v_dual_fmac_f32 v36, v38, v31
	s_delay_alu instid0(VALU_DEP_1) | instskip(NEXT) | instid1(VALU_DEP_1)
	v_dual_fma_f32 v26, -v26, v34, v35 :: v_dual_fma_f32 v27, -v27, v36, v33
	v_div_fmas_f32 v26, v26, v30, v34
	s_mov_b32 vcc_lo, s6
	s_delay_alu instid0(VALU_DEP_2) | instskip(NEXT) | instid1(VALU_DEP_2)
	v_div_fmas_f32 v30, v27, v31, v36
	v_div_fixup_f32 v27, v26, v4, s9
	s_delay_alu instid0(VALU_DEP_2)
	v_div_fixup_f32 v26, v30, v32, s8
.LBB254_165:                            ;   in Loop: Header=BB254_4 Depth=1
	s_or_b32 exec_lo, exec_lo, s35
                                        ; implicit-def: $vgpr30_vgpr31
.LBB254_166:                            ;   in Loop: Header=BB254_4 Depth=1
	s_and_not1_saveexec_b32 s6, s7
	s_cbranch_execz .LBB254_168
; %bb.167:                              ;   in Loop: Header=BB254_4 Depth=1
	v_div_scale_f32 v4, null, v31, v31, v30
	v_div_scale_f32 v32, vcc_lo, v30, v31, v30
	s_delay_alu instid0(VALU_DEP_2) | instskip(SKIP_1) | instid1(TRANS32_DEP_1)
	v_rcp_f32_e32 v26, v4
	v_nop
	v_fma_f32 v27, -v4, v26, 1.0
	s_delay_alu instid0(VALU_DEP_1) | instskip(NEXT) | instid1(VALU_DEP_1)
	v_fmac_f32_e32 v26, v27, v26
	v_mul_f32_e32 v27, v32, v26
	s_delay_alu instid0(VALU_DEP_1) | instskip(NEXT) | instid1(VALU_DEP_1)
	v_fma_f32 v33, -v4, v27, v32
	v_fmac_f32_e32 v27, v33, v26
	s_delay_alu instid0(VALU_DEP_1) | instskip(NEXT) | instid1(VALU_DEP_1)
	v_fma_f32 v4, -v4, v27, v32
	v_div_fmas_f32 v4, v4, v26, v27
	s_delay_alu instid0(VALU_DEP_1) | instskip(NEXT) | instid1(VALU_DEP_1)
	v_div_fixup_f32 v4, v4, v31, v30
	v_fmac_f32_e32 v31, v30, v4
	s_delay_alu instid0(VALU_DEP_1) | instskip(SKIP_1) | instid1(VALU_DEP_2)
	v_div_scale_f32 v30, null, v31, v31, 1.0
	v_div_scale_f32 v32, vcc_lo, 1.0, v31, 1.0
	v_rcp_f32_e32 v34, v30
	v_nop
	s_delay_alu instid0(TRANS32_DEP_1) | instskip(NEXT) | instid1(VALU_DEP_1)
	v_fma_f32 v26, -v30, v34, 1.0
	v_fmac_f32_e32 v34, v26, v34
	s_delay_alu instid0(VALU_DEP_1) | instskip(NEXT) | instid1(VALU_DEP_1)
	v_mul_f32_e32 v35, v32, v34
	v_fma_f32 v26, -v30, v35, v32
	s_delay_alu instid0(VALU_DEP_1) | instskip(SKIP_1) | instid1(VALU_DEP_2)
	v_fmac_f32_e32 v35, v26, v34
	v_mov_b64_e32 v[26:27], s[16:17]
	v_fma_f32 v30, -v30, v35, v32
	v_mov_b64_e32 v[32:33], s[8:9]
	s_delay_alu instid0(VALU_DEP_2) | instskip(NEXT) | instid1(VALU_DEP_2)
	v_div_fmas_f32 v30, v30, v34, v35
	v_pk_fma_f32 v[34:35], v[4:5], v[32:33], v[26:27] op_sel_hi:[0,1,1] neg_lo:[0,0,1] neg_hi:[0,0,1]
	v_pk_fma_f32 v[26:27], v[4:5], v[32:33], v[26:27]
	s_delay_alu instid0(VALU_DEP_3) | instskip(NEXT) | instid1(VALU_DEP_3)
	v_div_fixup_f32 v4, v30, v31, 1.0
	v_mov_b32_e32 v27, v35
	s_delay_alu instid0(VALU_DEP_1)
	v_pk_mul_f32 v[26:27], v[26:27], v[4:5] op_sel_hi:[1,0]
.LBB254_168:                            ;   in Loop: Header=BB254_4 Depth=1
	s_or_b32 exec_lo, exec_lo, s6
	v_and_b32_e32 v32, 0x7fffffff, v23
	v_xor_b32_e32 v31, 0x80000000, v23
	s_mov_b32 s6, exec_lo
	s_delay_alu instid0(VALU_DEP_2)
	v_cmpx_ne_u32_e32 0, v32
	s_xor_b32 s35, exec_lo, s6
	s_cbranch_execz .LBB254_210
; %bb.169:                              ;   in Loop: Header=BB254_4 Depth=1
	v_and_b32_e32 v33, 0x7fffffff, v22
	s_mov_b32 s6, exec_lo
	s_delay_alu instid0(VALU_DEP_1)
	v_cmpx_ne_u32_e32 0, v33
	s_xor_b32 s36, exec_lo, s6
	s_cbranch_execz .LBB254_199
; %bb.170:                              ;   in Loop: Header=BB254_4 Depth=1
	v_xor_b32_e32 v4, 0x80000000, v22
	s_mov_b32 s6, exec_lo
	v_cmpx_gt_u32_e32 0x7f800000, v32
	s_xor_b32 s37, exec_lo, s6
	s_cbranch_execz .LBB254_192
; %bb.171:                              ;   in Loop: Header=BB254_4 Depth=1
	v_add_nc_u32_e32 v4, 0xbd4e8de8, v4
	s_mov_b32 s6, exec_lo
	s_delay_alu instid0(VALU_DEP_1)
	v_cmpx_lt_u32_e32 0x8e8e5c, v4
	s_xor_b32 s38, exec_lo, s6
	s_cbranch_execz .LBB254_181
; %bb.172:                              ;   in Loop: Header=BB254_4 Depth=1
	v_cmp_ngt_f32_e64 s39, 0x48000000, |v23|
                                        ; implicit-def: $vgpr33
                                        ; implicit-def: $vgpr30
	s_and_saveexec_b32 s6, s39
	s_delay_alu instid0(SALU_CYCLE_1)
	s_xor_b32 s40, exec_lo, s6
	s_cbranch_execz .LBB254_174
; %bb.173:                              ;   in Loop: Header=BB254_4 Depth=1
	v_and_or_b32 v4, v32, s30, 0x800000
	v_dual_mov_b32 v45, v5 :: v_dual_lshrrev_b32 v30, 23, v32
	v_mov_b32_e32 v47, v5
	s_delay_alu instid0(VALU_DEP_3) | instskip(NEXT) | instid1(VALU_DEP_3)
	v_mul_u64_e32 v[34:35], s[26:27], v[4:5]
	v_dual_mov_b32 v37, v5 :: v_dual_add_nc_u32 v30, 0xffffff88, v30
	s_delay_alu instid0(VALU_DEP_1) | instskip(SKIP_1) | instid1(VALU_DEP_1)
	v_cmp_lt_u32_e32 vcc_lo, 63, v30
	v_cndmask_b32_e64 v33, 0, 0xffffffc0, vcc_lo
	v_add_nc_u32_e32 v30, v33, v30
	s_delay_alu instid0(VALU_DEP_1) | instskip(NEXT) | instid1(VALU_DEP_1)
	v_cmp_lt_u32_e64 s6, 31, v30
	v_cndmask_b32_e64 v33, 0, 0xffffffe0, s6
	v_mov_b32_e32 v36, v35
	s_delay_alu instid0(VALU_DEP_1) | instskip(NEXT) | instid1(VALU_DEP_1)
	v_mad_nc_u64_u32 v[36:37], 0x3c439041, v4, v[36:37]
	v_dual_mov_b32 v39, v5 :: v_dual_mov_b32 v38, v37
	s_delay_alu instid0(VALU_DEP_1) | instskip(NEXT) | instid1(VALU_DEP_1)
	v_mad_nc_u64_u32 v[38:39], 0xdb629599, v4, v[38:39]
	v_dual_mov_b32 v41, v5 :: v_dual_mov_b32 v40, v39
	;; [unrolled: 3-line block ×3, first 2 shown]
	s_delay_alu instid0(VALU_DEP_1) | instskip(NEXT) | instid1(VALU_DEP_1)
	v_mad_nc_u64_u32 v[42:43], 0xfc2757d1, v4, v[42:43]
	v_mov_b32_e32 v44, v43
	s_delay_alu instid0(VALU_DEP_1) | instskip(NEXT) | instid1(VALU_DEP_1)
	v_mad_nc_u64_u32 v[44:45], 0x4e441529, v4, v[44:45]
	v_mov_b32_e32 v46, v45
	s_delay_alu instid0(VALU_DEP_1) | instskip(NEXT) | instid1(VALU_DEP_3)
	v_mad_nc_u64_u32 v[46:47], 0xa2f9836e, v4, v[46:47]
	v_dual_cndmask_b32 v33, v44, v40 :: v_dual_add_nc_u32 v4, v33, v30
	s_delay_alu instid0(VALU_DEP_2) | instskip(NEXT) | instid1(VALU_DEP_2)
	v_cndmask_b32_e32 v37, v47, v44, vcc_lo
	v_cmp_lt_u32_e64 s7, 31, v4
	s_delay_alu instid0(VALU_DEP_4) | instskip(SKIP_1) | instid1(VALU_DEP_3)
	v_cndmask_b32_e32 v35, v46, v42, vcc_lo
	v_cndmask_b32_e32 v39, v42, v38, vcc_lo
	v_cndmask_b32_e64 v30, 0, 0xffffffe0, s7
	s_delay_alu instid0(VALU_DEP_1) | instskip(NEXT) | instid1(VALU_DEP_4)
	v_add_nc_u32_e32 v4, v30, v4
	v_dual_cndmask_b32 v30, v40, v36, vcc_lo :: v_dual_cndmask_b32 v36, v35, v33, s6
	v_cndmask_b32_e64 v35, v37, v35, s6
	s_delay_alu instid0(VALU_DEP_3) | instskip(NEXT) | instid1(VALU_DEP_3)
	v_dual_cndmask_b32 v33, v33, v39, s6 :: v_dual_sub_nc_u32 v37, 32, v4
	v_cndmask_b32_e64 v39, v39, v30, s6
	s_delay_alu instid0(VALU_DEP_2) | instskip(NEXT) | instid1(VALU_DEP_2)
	v_dual_cndmask_b32 v35, v35, v36, s7 :: v_dual_cndmask_b32 v36, v36, v33, s7
	v_cndmask_b32_e64 v33, v33, v39, s7
	s_delay_alu instid0(VALU_DEP_2) | instskip(SKIP_2) | instid1(VALU_DEP_4)
	v_alignbit_b32 v40, v35, v36, v37
	v_cndmask_b32_e32 v34, v38, v34, vcc_lo
	v_cmp_eq_u32_e32 vcc_lo, 0, v4
	v_alignbit_b32 v38, v36, v33, v37
	s_delay_alu instid0(VALU_DEP_4) | instskip(NEXT) | instid1(VALU_DEP_1)
	v_cndmask_b32_e32 v4, v40, v35, vcc_lo
	v_bfe_u32 v35, v4, 29, 1
	v_cndmask_b32_e64 v30, v30, v34, s6
	s_delay_alu instid0(VALU_DEP_2) | instskip(NEXT) | instid1(VALU_DEP_2)
	v_dual_cndmask_b32 v34, v38, v36, vcc_lo :: v_dual_sub_nc_u32 v38, 0, v35
	v_cndmask_b32_e64 v30, v39, v30, s7
	s_delay_alu instid0(VALU_DEP_2) | instskip(NEXT) | instid1(VALU_DEP_2)
	v_alignbit_b32 v36, v4, v34, 30
	v_alignbit_b32 v37, v33, v30, v37
	s_delay_alu instid0(VALU_DEP_1) | instskip(NEXT) | instid1(VALU_DEP_1)
	v_dual_cndmask_b32 v33, v37, v33, vcc_lo :: v_dual_bitop2_b32 v36, v36, v38 bitop3:0x14
	v_clz_i32_u32_e32 v37, v36
	s_delay_alu instid0(VALU_DEP_2) | instskip(NEXT) | instid1(VALU_DEP_2)
	v_alignbit_b32 v34, v34, v33, 30
	v_min_u32_e32 v37, 32, v37
	v_alignbit_b32 v30, v33, v30, 30
	s_delay_alu instid0(VALU_DEP_2) | instskip(NEXT) | instid1(VALU_DEP_2)
	v_dual_sub_nc_u32 v34, 31, v37 :: v_dual_bitop2_b32 v33, v34, v38 bitop3:0x14
	v_dual_lshrrev_b32 v38, 29, v4 :: v_dual_bitop2_b32 v30, v30, v38 bitop3:0x14
	v_dual_lshlrev_b32 v39, 23, v37 :: v_dual_lshrrev_b32 v4, 30, v4
	s_delay_alu instid0(VALU_DEP_3) | instskip(NEXT) | instid1(VALU_DEP_3)
	v_alignbit_b32 v36, v36, v33, v34
	v_alignbit_b32 v30, v33, v30, v34
	s_delay_alu instid0(VALU_DEP_4) | instskip(NEXT) | instid1(VALU_DEP_2)
	v_lshlrev_b32_e32 v33, 31, v38
	v_alignbit_b32 v34, v36, v30, 9
	s_delay_alu instid0(VALU_DEP_2) | instskip(SKIP_1) | instid1(VALU_DEP_3)
	v_dual_lshrrev_b32 v36, 9, v36 :: v_dual_bitop2_b32 v38, 0.5, v33 bitop3:0x54
	v_or_b32_e32 v33, 0x33000000, v33
	v_clz_i32_u32_e32 v40, v34
	s_delay_alu instid0(VALU_DEP_3) | instskip(NEXT) | instid1(VALU_DEP_2)
	v_sub_nc_u32_e32 v38, v38, v39
	v_min_u32_e32 v39, 32, v40
	s_delay_alu instid0(VALU_DEP_1) | instskip(NEXT) | instid1(VALU_DEP_1)
	v_add_lshl_u32 v37, v39, v37, 23
	v_dual_sub_nc_u32 v33, v33, v37 :: v_dual_bitop2_b32 v36, v36, v38 bitop3:0x54
	v_not_b32_e32 v38, v39
	s_delay_alu instid0(VALU_DEP_2) | instskip(NEXT) | instid1(VALU_DEP_2)
	v_mul_f32_e32 v40, 0x3fc90fda, v36
	v_alignbit_b32 v30, v34, v30, v38
	s_delay_alu instid0(VALU_DEP_2) | instskip(NEXT) | instid1(VALU_DEP_2)
	v_fma_f32 v34, 0x3fc90fda, v36, -v40
	v_lshrrev_b32_e32 v30, 9, v30
	s_delay_alu instid0(VALU_DEP_2) | instskip(NEXT) | instid1(VALU_DEP_2)
	v_fmac_f32_e32 v34, 0x33a22168, v36
	v_dual_add_nc_u32 v33, v35, v4 :: v_dual_bitop2_b32 v30, v33, v30 bitop3:0x54
	s_delay_alu instid0(VALU_DEP_1) | instskip(NEXT) | instid1(VALU_DEP_1)
	v_fmac_f32_e32 v34, 0x3fc90fda, v30
	v_add_f32_e32 v30, v40, v34
	s_and_not1_saveexec_b32 s6, s40
	s_branch .LBB254_175
.LBB254_174:                            ;   in Loop: Header=BB254_4 Depth=1
	s_and_not1_saveexec_b32 s6, s40
.LBB254_175:                            ;   in Loop: Header=BB254_4 Depth=1
	v_mul_f32_e64 v4, 0x3f22f983, |v23|
	s_delay_alu instid0(VALU_DEP_1) | instskip(NEXT) | instid1(VALU_DEP_1)
	v_rndne_f32_e32 v4, v4
	v_fma_f32 v30, 0xbfc90fda, v4, |v23|
	v_cvt_i32_f32_e32 v33, v4
	s_delay_alu instid0(VALU_DEP_2) | instskip(NEXT) | instid1(VALU_DEP_1)
	v_fmac_f32_e32 v30, 0xb3a22168, v4
	v_fmac_f32_e32 v30, 0xa7c234c4, v4
; %bb.176:                              ;   in Loop: Header=BB254_4 Depth=1
	s_or_b32 exec_lo, exec_lo, s6
                                        ; implicit-def: $vgpr34
                                        ; implicit-def: $vgpr4
	s_and_saveexec_b32 s6, s39
	s_delay_alu instid0(SALU_CYCLE_1)
	s_xor_b32 s39, exec_lo, s6
	s_cbranch_execz .LBB254_178
; %bb.177:                              ;   in Loop: Header=BB254_4 Depth=1
	v_and_or_b32 v4, v32, s30, 0x800000
	v_mov_b32_e32 v45, v5
	s_delay_alu instid0(VALU_DEP_2) | instskip(NEXT) | instid1(VALU_DEP_1)
	v_mul_u64_e32 v[34:35], s[26:27], v[4:5]
	v_dual_mov_b32 v37, v5 :: v_dual_mov_b32 v36, v35
	v_lshrrev_b32_e32 v35, 23, v32
	s_delay_alu instid0(VALU_DEP_2) | instskip(SKIP_1) | instid1(VALU_DEP_3)
	v_mad_nc_u64_u32 v[36:37], 0x3c439041, v4, v[36:37]
	v_mov_b32_e32 v39, v5
	v_add_nc_u32_e32 v35, 0xffffff88, v35
	s_delay_alu instid0(VALU_DEP_1) | instskip(NEXT) | instid1(VALU_DEP_4)
	v_cmp_lt_u32_e32 vcc_lo, 63, v35
	v_mov_b32_e32 v38, v37
	v_cndmask_b32_e64 v37, 0, 0xffffffc0, vcc_lo
	s_delay_alu instid0(VALU_DEP_2) | instskip(NEXT) | instid1(VALU_DEP_1)
	v_mad_nc_u64_u32 v[38:39], 0xdb629599, v4, v[38:39]
	v_dual_mov_b32 v41, v5 :: v_dual_mov_b32 v40, v39
	s_delay_alu instid0(VALU_DEP_2) | instskip(NEXT) | instid1(VALU_DEP_2)
	v_cndmask_b32_e32 v34, v38, v34, vcc_lo
	v_mad_nc_u64_u32 v[40:41], 0xf534ddc0, v4, v[40:41]
	s_delay_alu instid0(VALU_DEP_1) | instskip(NEXT) | instid1(VALU_DEP_1)
	v_dual_mov_b32 v43, v5 :: v_dual_mov_b32 v42, v41
	v_mad_nc_u64_u32 v[42:43], 0xfc2757d1, v4, v[42:43]
	s_delay_alu instid0(VALU_DEP_1) | instskip(NEXT) | instid1(VALU_DEP_1)
	v_mov_b32_e32 v44, v43
	v_mad_nc_u64_u32 v[44:45], 0x4e441529, v4, v[44:45]
	v_add_nc_u32_e32 v35, v37, v35
	v_mov_b32_e32 v47, v5
	s_delay_alu instid0(VALU_DEP_2) | instskip(NEXT) | instid1(VALU_DEP_4)
	v_cmp_lt_u32_e64 s6, 31, v35
	v_mov_b32_e32 v46, v45
	s_delay_alu instid0(VALU_DEP_2) | instskip(NEXT) | instid1(VALU_DEP_2)
	v_cndmask_b32_e64 v37, 0, 0xffffffe0, s6
	v_mad_nc_u64_u32 v[46:47], 0xa2f9836e, v4, v[46:47]
	s_delay_alu instid0(VALU_DEP_2) | instskip(NEXT) | instid1(VALU_DEP_2)
	v_dual_cndmask_b32 v37, v44, v40 :: v_dual_add_nc_u32 v4, v37, v35
	v_cndmask_b32_e32 v39, v46, v42, vcc_lo
	s_delay_alu instid0(VALU_DEP_2) | instskip(NEXT) | instid1(VALU_DEP_4)
	v_cmp_lt_u32_e64 s7, 31, v4
	v_dual_cndmask_b32 v41, v47, v44 :: v_dual_cndmask_b32 v42, v42, v38
	s_delay_alu instid0(VALU_DEP_2) | instskip(NEXT) | instid1(VALU_DEP_1)
	v_cndmask_b32_e64 v35, 0, 0xffffffe0, s7
	v_add_nc_u32_e32 v4, v35, v4
	v_dual_cndmask_b32 v35, v40, v36, vcc_lo :: v_dual_cndmask_b32 v36, v39, v37, s6
	s_delay_alu instid0(VALU_DEP_4) | instskip(NEXT) | instid1(VALU_DEP_3)
	v_cndmask_b32_e64 v39, v41, v39, s6
	v_dual_cndmask_b32 v37, v37, v42, s6 :: v_dual_sub_nc_u32 v40, 32, v4
	s_delay_alu instid0(VALU_DEP_3) | instskip(SKIP_1) | instid1(VALU_DEP_3)
	v_cndmask_b32_e64 v41, v42, v35, s6
	v_cmp_eq_u32_e32 vcc_lo, 0, v4
	v_dual_cndmask_b32 v39, v39, v36, s7 :: v_dual_cndmask_b32 v36, v36, v37, s7
	s_delay_alu instid0(VALU_DEP_1) | instskip(NEXT) | instid1(VALU_DEP_1)
	v_alignbit_b32 v42, v39, v36, v40
	v_dual_cndmask_b32 v37, v37, v41, s7 :: v_dual_cndmask_b32 v4, v42, v39, vcc_lo
	s_delay_alu instid0(VALU_DEP_1) | instskip(NEXT) | instid1(VALU_DEP_1)
	v_alignbit_b32 v38, v36, v37, v40
	v_dual_cndmask_b32 v34, v35, v34, s6 :: v_dual_cndmask_b32 v35, v38, v36, vcc_lo
	s_delay_alu instid0(VALU_DEP_3) | instskip(NEXT) | instid1(VALU_DEP_2)
	v_bfe_u32 v36, v4, 29, 1
	v_cndmask_b32_e64 v34, v41, v34, s7
	s_delay_alu instid0(VALU_DEP_3) | instskip(NEXT) | instid1(VALU_DEP_3)
	v_alignbit_b32 v38, v4, v35, 30
	v_sub_nc_u32_e32 v39, 0, v36
	s_delay_alu instid0(VALU_DEP_3) | instskip(NEXT) | instid1(VALU_DEP_1)
	v_alignbit_b32 v40, v37, v34, v40
	v_dual_cndmask_b32 v37, v40, v37, vcc_lo :: v_dual_bitop2_b32 v38, v38, v39 bitop3:0x14
	s_delay_alu instid0(VALU_DEP_1) | instskip(NEXT) | instid1(VALU_DEP_2)
	v_clz_i32_u32_e32 v40, v38
	v_alignbit_b32 v35, v35, v37, 30
	v_alignbit_b32 v34, v37, v34, 30
	s_delay_alu instid0(VALU_DEP_3) | instskip(NEXT) | instid1(VALU_DEP_3)
	v_min_u32_e32 v40, 32, v40
	v_xor_b32_e32 v35, v35, v39
	s_delay_alu instid0(VALU_DEP_3) | instskip(NEXT) | instid1(VALU_DEP_3)
	v_dual_lshrrev_b32 v39, 29, v4 :: v_dual_bitop2_b32 v34, v34, v39 bitop3:0x14
	v_dual_sub_nc_u32 v37, 31, v40 :: v_dual_lshlrev_b32 v41, 23, v40
	s_delay_alu instid0(VALU_DEP_1) | instskip(NEXT) | instid1(VALU_DEP_3)
	v_alignbit_b32 v38, v38, v35, v37
	v_alignbit_b32 v34, v35, v34, v37
	s_delay_alu instid0(VALU_DEP_4) | instskip(NEXT) | instid1(VALU_DEP_2)
	v_lshlrev_b32_e32 v35, 31, v39
	v_alignbit_b32 v37, v38, v34, 9
	s_delay_alu instid0(VALU_DEP_2) | instskip(SKIP_1) | instid1(VALU_DEP_3)
	v_dual_lshrrev_b32 v38, 9, v38 :: v_dual_bitop2_b32 v39, 0.5, v35 bitop3:0x54
	v_or_b32_e32 v35, 0x33000000, v35
	v_clz_i32_u32_e32 v42, v37
	s_delay_alu instid0(VALU_DEP_3) | instskip(NEXT) | instid1(VALU_DEP_2)
	v_sub_nc_u32_e32 v39, v39, v41
	v_min_u32_e32 v41, 32, v42
	s_delay_alu instid0(VALU_DEP_1) | instskip(NEXT) | instid1(VALU_DEP_3)
	v_add_lshl_u32 v40, v41, v40, 23
	v_or_b32_e32 v38, v38, v39
	v_not_b32_e32 v39, v41
	s_delay_alu instid0(VALU_DEP_2) | instskip(NEXT) | instid1(VALU_DEP_2)
	v_dual_mul_f32 v42, 0x3fc90fda, v38 :: v_dual_sub_nc_u32 v35, v35, v40
	v_alignbit_b32 v34, v37, v34, v39
	s_delay_alu instid0(VALU_DEP_2) | instskip(NEXT) | instid1(VALU_DEP_2)
	v_fma_f32 v37, 0x3fc90fda, v38, -v42
	v_lshrrev_b32_e32 v34, 9, v34
	s_delay_alu instid0(VALU_DEP_2) | instskip(NEXT) | instid1(VALU_DEP_2)
	v_fmac_f32_e32 v37, 0x33a22168, v38
	v_or_b32_e32 v34, v35, v34
	s_delay_alu instid0(VALU_DEP_1) | instskip(NEXT) | instid1(VALU_DEP_1)
	v_dual_fmac_f32 v37, 0x3fc90fda, v34 :: v_dual_lshrrev_b32 v34, 30, v4
	v_dual_add_nc_u32 v34, v36, v34 :: v_dual_add_f32 v4, v42, v37
	s_and_not1_saveexec_b32 s6, s39
	s_cbranch_execnz .LBB254_179
	s_branch .LBB254_180
.LBB254_178:                            ;   in Loop: Header=BB254_4 Depth=1
	s_and_not1_saveexec_b32 s6, s39
.LBB254_179:                            ;   in Loop: Header=BB254_4 Depth=1
	v_mul_f32_e64 v4, 0x3f22f983, |v23|
	s_delay_alu instid0(VALU_DEP_1) | instskip(NEXT) | instid1(VALU_DEP_1)
	v_rndne_f32_e32 v34, v4
	v_fma_f32 v4, 0xbfc90fda, v34, |v23|
	s_delay_alu instid0(VALU_DEP_1) | instskip(NEXT) | instid1(VALU_DEP_1)
	v_fmac_f32_e32 v4, 0xb3a22168, v34
	v_fmac_f32_e32 v4, 0xa7c234c4, v34
	v_cvt_i32_f32_e32 v34, v34
.LBB254_180:                            ;   in Loop: Header=BB254_4 Depth=1
	s_or_b32 exec_lo, exec_lo, s6
	s_delay_alu instid0(VALU_DEP_1) | instskip(SKIP_2) | instid1(VALU_DEP_3)
	v_dual_mul_f32 v35, 0xbfb8aa3b, v22 :: v_dual_mul_f32 v38, v4, v4
	v_dual_mul_f32 v36, v30, v30 :: v_dual_bitop2_b32 v37, 1, v33 bitop3:0x40
	v_cmp_ngt_f32_e64 s6, 0xc2b17218, v22
	v_rndne_f32_e32 v39, v35
	s_delay_alu instid0(VALU_DEP_4) | instskip(NEXT) | instid1(VALU_DEP_4)
	v_fmaak_f32 v43, s31, v38, 0x3c0881c4
	v_fmaak_f32 v42, s33, v36, 0xbab64f3b
	v_fma_f32 v40, 0xbfb8aa3b, v22, -v35
	v_cmp_eq_u32_e32 vcc_lo, 0, v37
	v_sub_f32_e32 v35, v35, v39
	v_fmaak_f32 v43, v38, v43, 0xbe2aaa9d
	v_fmaak_f32 v42, v36, v42, 0x3d2aabf7
	v_cvt_i32_f32_e32 v39, v39
	s_delay_alu instid0(VALU_DEP_3) | instskip(SKIP_1) | instid1(VALU_DEP_4)
	v_dual_lshlrev_b32 v33, 30, v33 :: v_dual_mul_f32 v43, v38, v43
	v_fmaak_f32 v41, s31, v36, 0x3c0881c4
	v_fmaak_f32 v42, v36, v42, 0xbf000004
	s_delay_alu instid0(VALU_DEP_3) | instskip(NEXT) | instid1(VALU_DEP_3)
	v_fmac_f32_e32 v4, v4, v43
	v_fmaak_f32 v41, v36, v41, 0xbe2aaa9d
	s_delay_alu instid0(VALU_DEP_1) | instskip(NEXT) | instid1(VALU_DEP_1)
	v_dual_fmac_f32 v40, 0xb2a5705f, v22 :: v_dual_mul_f32 v41, v36, v41
	v_dual_fmaak_f32 v44, s33, v38, 0xbab64f3b :: v_dual_add_f32 v35, v35, v40
	v_fma_f32 v36, v36, v42, 1.0
	s_delay_alu instid0(VALU_DEP_3) | instskip(NEXT) | instid1(VALU_DEP_3)
	v_fmac_f32_e32 v30, v30, v41
	v_fmaak_f32 v40, v38, v44, 0x3d2aabf7
	s_delay_alu instid0(VALU_DEP_4) | instskip(NEXT) | instid1(VALU_DEP_2)
	v_exp_f32_e32 v35, v35
	v_cndmask_b32_e64 v30, -v30, v36, vcc_lo
	s_delay_alu instid0(VALU_DEP_2) | instskip(NEXT) | instid1(TRANS32_DEP_1)
	v_fmaak_f32 v40, v38, v40, 0xbf000004
	v_ldexp_f32 v35, v35, v39
	v_and_b32_e32 v39, 1, v34
	s_delay_alu instid0(VALU_DEP_3) | instskip(SKIP_2) | instid1(VALU_DEP_4)
	v_fma_f32 v38, v38, v40, 1.0
	v_lshlrev_b32_e32 v34, 30, v34
	v_bitop3_b32 v30, v33, v30, 0x80000000 bitop3:0x6c
	v_cmp_eq_u32_e32 vcc_lo, 0, v39
	s_delay_alu instid0(VALU_DEP_3) | instskip(SKIP_2) | instid1(VALU_DEP_2)
	v_and_or_b32 v32, 0x80000000, v34, v32
	v_cndmask_b32_e32 v4, v38, v4, vcc_lo
	v_cmp_nlt_f32_e32 vcc_lo, 0x42ce8ed0, v22
	v_xor3_b32 v4, v32, v4, v31
	v_cndmask_b32_e32 v34, 0, v35, vcc_lo
	v_cmp_class_f32_e64 vcc_lo, v23, 0x1f8
                                        ; implicit-def: $vgpr32
	s_delay_alu instid0(VALU_DEP_2) | instskip(SKIP_2) | instid1(VALU_DEP_1)
	v_cndmask_b32_e64 v22, 0x7f800000, v34, s6
	v_cndmask_b32_e32 v23, 0x7fc00000, v30, vcc_lo
	v_cndmask_b32_e32 v4, 0x7fc00000, v4, vcc_lo
	v_dual_mul_f32 v30, v22, v23 :: v_dual_mul_f32 v31, v22, v4
                                        ; implicit-def: $vgpr23
.LBB254_181:                            ;   in Loop: Header=BB254_4 Depth=1
	s_and_not1_saveexec_b32 s38, s38
	s_cbranch_execz .LBB254_191
; %bb.182:                              ;   in Loop: Header=BB254_4 Depth=1
	v_cmp_ngt_f32_e64 s39, 0x48000000, |v23|
                                        ; implicit-def: $vgpr33
                                        ; implicit-def: $vgpr30
	s_and_saveexec_b32 s6, s39
	s_delay_alu instid0(SALU_CYCLE_1)
	s_xor_b32 s40, exec_lo, s6
	s_cbranch_execz .LBB254_184
; %bb.183:                              ;   in Loop: Header=BB254_4 Depth=1
	v_and_or_b32 v4, v32, s30, 0x800000
	v_dual_mov_b32 v45, v5 :: v_dual_lshrrev_b32 v30, 23, v32
	v_mov_b32_e32 v47, v5
	s_delay_alu instid0(VALU_DEP_3) | instskip(NEXT) | instid1(VALU_DEP_3)
	v_mul_u64_e32 v[34:35], s[26:27], v[4:5]
	v_dual_mov_b32 v37, v5 :: v_dual_add_nc_u32 v30, 0xffffff88, v30
	s_delay_alu instid0(VALU_DEP_1) | instskip(SKIP_1) | instid1(VALU_DEP_1)
	v_cmp_lt_u32_e32 vcc_lo, 63, v30
	v_cndmask_b32_e64 v33, 0, 0xffffffc0, vcc_lo
	v_add_nc_u32_e32 v30, v33, v30
	s_delay_alu instid0(VALU_DEP_1) | instskip(NEXT) | instid1(VALU_DEP_1)
	v_cmp_lt_u32_e64 s6, 31, v30
	v_cndmask_b32_e64 v33, 0, 0xffffffe0, s6
	v_mov_b32_e32 v36, v35
	s_delay_alu instid0(VALU_DEP_1) | instskip(NEXT) | instid1(VALU_DEP_1)
	v_mad_nc_u64_u32 v[36:37], 0x3c439041, v4, v[36:37]
	v_dual_mov_b32 v39, v5 :: v_dual_mov_b32 v38, v37
	s_delay_alu instid0(VALU_DEP_1) | instskip(NEXT) | instid1(VALU_DEP_1)
	v_mad_nc_u64_u32 v[38:39], 0xdb629599, v4, v[38:39]
	v_dual_mov_b32 v41, v5 :: v_dual_mov_b32 v40, v39
	;; [unrolled: 3-line block ×3, first 2 shown]
	s_delay_alu instid0(VALU_DEP_1) | instskip(NEXT) | instid1(VALU_DEP_1)
	v_mad_nc_u64_u32 v[42:43], 0xfc2757d1, v4, v[42:43]
	v_mov_b32_e32 v44, v43
	s_delay_alu instid0(VALU_DEP_1) | instskip(NEXT) | instid1(VALU_DEP_1)
	v_mad_nc_u64_u32 v[44:45], 0x4e441529, v4, v[44:45]
	v_mov_b32_e32 v46, v45
	s_delay_alu instid0(VALU_DEP_1) | instskip(NEXT) | instid1(VALU_DEP_3)
	v_mad_nc_u64_u32 v[46:47], 0xa2f9836e, v4, v[46:47]
	v_dual_cndmask_b32 v33, v44, v40 :: v_dual_add_nc_u32 v4, v33, v30
	s_delay_alu instid0(VALU_DEP_2) | instskip(NEXT) | instid1(VALU_DEP_2)
	v_cndmask_b32_e32 v37, v47, v44, vcc_lo
	v_cmp_lt_u32_e64 s7, 31, v4
	s_delay_alu instid0(VALU_DEP_4) | instskip(SKIP_1) | instid1(VALU_DEP_3)
	v_cndmask_b32_e32 v35, v46, v42, vcc_lo
	v_cndmask_b32_e32 v39, v42, v38, vcc_lo
	v_cndmask_b32_e64 v30, 0, 0xffffffe0, s7
	s_delay_alu instid0(VALU_DEP_1) | instskip(NEXT) | instid1(VALU_DEP_4)
	v_add_nc_u32_e32 v4, v30, v4
	v_dual_cndmask_b32 v30, v40, v36, vcc_lo :: v_dual_cndmask_b32 v36, v35, v33, s6
	v_cndmask_b32_e64 v35, v37, v35, s6
	s_delay_alu instid0(VALU_DEP_3) | instskip(NEXT) | instid1(VALU_DEP_3)
	v_dual_cndmask_b32 v33, v33, v39, s6 :: v_dual_sub_nc_u32 v37, 32, v4
	v_cndmask_b32_e64 v39, v39, v30, s6
	s_delay_alu instid0(VALU_DEP_2) | instskip(NEXT) | instid1(VALU_DEP_2)
	v_dual_cndmask_b32 v35, v35, v36, s7 :: v_dual_cndmask_b32 v36, v36, v33, s7
	v_cndmask_b32_e64 v33, v33, v39, s7
	s_delay_alu instid0(VALU_DEP_2) | instskip(SKIP_2) | instid1(VALU_DEP_4)
	v_alignbit_b32 v40, v35, v36, v37
	v_cndmask_b32_e32 v34, v38, v34, vcc_lo
	v_cmp_eq_u32_e32 vcc_lo, 0, v4
	v_alignbit_b32 v38, v36, v33, v37
	s_delay_alu instid0(VALU_DEP_4) | instskip(NEXT) | instid1(VALU_DEP_1)
	v_cndmask_b32_e32 v4, v40, v35, vcc_lo
	v_bfe_u32 v35, v4, 29, 1
	v_cndmask_b32_e64 v30, v30, v34, s6
	s_delay_alu instid0(VALU_DEP_2) | instskip(NEXT) | instid1(VALU_DEP_2)
	v_dual_cndmask_b32 v34, v38, v36, vcc_lo :: v_dual_sub_nc_u32 v38, 0, v35
	v_cndmask_b32_e64 v30, v39, v30, s7
	s_delay_alu instid0(VALU_DEP_2) | instskip(NEXT) | instid1(VALU_DEP_2)
	v_alignbit_b32 v36, v4, v34, 30
	v_alignbit_b32 v37, v33, v30, v37
	s_delay_alu instid0(VALU_DEP_1) | instskip(NEXT) | instid1(VALU_DEP_1)
	v_dual_cndmask_b32 v33, v37, v33, vcc_lo :: v_dual_bitop2_b32 v36, v36, v38 bitop3:0x14
	v_clz_i32_u32_e32 v37, v36
	s_delay_alu instid0(VALU_DEP_2) | instskip(NEXT) | instid1(VALU_DEP_2)
	v_alignbit_b32 v34, v34, v33, 30
	v_min_u32_e32 v37, 32, v37
	v_alignbit_b32 v30, v33, v30, 30
	s_delay_alu instid0(VALU_DEP_2) | instskip(NEXT) | instid1(VALU_DEP_2)
	v_dual_sub_nc_u32 v34, 31, v37 :: v_dual_bitop2_b32 v33, v34, v38 bitop3:0x14
	v_dual_lshrrev_b32 v38, 29, v4 :: v_dual_bitop2_b32 v30, v30, v38 bitop3:0x14
	v_dual_lshlrev_b32 v39, 23, v37 :: v_dual_lshrrev_b32 v4, 30, v4
	s_delay_alu instid0(VALU_DEP_3) | instskip(NEXT) | instid1(VALU_DEP_3)
	v_alignbit_b32 v36, v36, v33, v34
	v_alignbit_b32 v30, v33, v30, v34
	s_delay_alu instid0(VALU_DEP_4) | instskip(NEXT) | instid1(VALU_DEP_2)
	v_lshlrev_b32_e32 v33, 31, v38
	v_alignbit_b32 v34, v36, v30, 9
	s_delay_alu instid0(VALU_DEP_2) | instskip(SKIP_1) | instid1(VALU_DEP_3)
	v_dual_lshrrev_b32 v36, 9, v36 :: v_dual_bitop2_b32 v38, 0.5, v33 bitop3:0x54
	v_or_b32_e32 v33, 0x33000000, v33
	v_clz_i32_u32_e32 v40, v34
	s_delay_alu instid0(VALU_DEP_3) | instskip(NEXT) | instid1(VALU_DEP_2)
	v_sub_nc_u32_e32 v38, v38, v39
	v_min_u32_e32 v39, 32, v40
	s_delay_alu instid0(VALU_DEP_1) | instskip(NEXT) | instid1(VALU_DEP_1)
	v_add_lshl_u32 v37, v39, v37, 23
	v_dual_sub_nc_u32 v33, v33, v37 :: v_dual_bitop2_b32 v36, v36, v38 bitop3:0x54
	v_not_b32_e32 v38, v39
	s_delay_alu instid0(VALU_DEP_2) | instskip(NEXT) | instid1(VALU_DEP_2)
	v_mul_f32_e32 v40, 0x3fc90fda, v36
	v_alignbit_b32 v30, v34, v30, v38
	s_delay_alu instid0(VALU_DEP_2) | instskip(NEXT) | instid1(VALU_DEP_2)
	v_fma_f32 v34, 0x3fc90fda, v36, -v40
	v_lshrrev_b32_e32 v30, 9, v30
	s_delay_alu instid0(VALU_DEP_2) | instskip(NEXT) | instid1(VALU_DEP_2)
	v_fmac_f32_e32 v34, 0x33a22168, v36
	v_dual_add_nc_u32 v33, v35, v4 :: v_dual_bitop2_b32 v30, v33, v30 bitop3:0x54
	s_delay_alu instid0(VALU_DEP_1) | instskip(NEXT) | instid1(VALU_DEP_1)
	v_fmac_f32_e32 v34, 0x3fc90fda, v30
	v_add_f32_e32 v30, v40, v34
	s_and_not1_saveexec_b32 s6, s40
	s_branch .LBB254_185
.LBB254_184:                            ;   in Loop: Header=BB254_4 Depth=1
	s_and_not1_saveexec_b32 s6, s40
.LBB254_185:                            ;   in Loop: Header=BB254_4 Depth=1
	v_mul_f32_e64 v4, 0x3f22f983, |v23|
	s_delay_alu instid0(VALU_DEP_1) | instskip(NEXT) | instid1(VALU_DEP_1)
	v_rndne_f32_e32 v4, v4
	v_fma_f32 v30, 0xbfc90fda, v4, |v23|
	v_cvt_i32_f32_e32 v33, v4
	s_delay_alu instid0(VALU_DEP_2) | instskip(NEXT) | instid1(VALU_DEP_1)
	v_fmac_f32_e32 v30, 0xb3a22168, v4
	v_fmac_f32_e32 v30, 0xa7c234c4, v4
; %bb.186:                              ;   in Loop: Header=BB254_4 Depth=1
	s_or_b32 exec_lo, exec_lo, s6
                                        ; implicit-def: $vgpr34
                                        ; implicit-def: $vgpr4
	s_and_saveexec_b32 s6, s39
	s_delay_alu instid0(SALU_CYCLE_1)
	s_xor_b32 s39, exec_lo, s6
	s_cbranch_execz .LBB254_188
; %bb.187:                              ;   in Loop: Header=BB254_4 Depth=1
	v_and_or_b32 v4, v32, s30, 0x800000
	v_mov_b32_e32 v45, v5
	s_delay_alu instid0(VALU_DEP_2) | instskip(NEXT) | instid1(VALU_DEP_1)
	v_mul_u64_e32 v[34:35], s[26:27], v[4:5]
	v_dual_mov_b32 v37, v5 :: v_dual_mov_b32 v36, v35
	v_lshrrev_b32_e32 v35, 23, v32
	s_delay_alu instid0(VALU_DEP_2) | instskip(SKIP_1) | instid1(VALU_DEP_3)
	v_mad_nc_u64_u32 v[36:37], 0x3c439041, v4, v[36:37]
	v_mov_b32_e32 v39, v5
	v_add_nc_u32_e32 v35, 0xffffff88, v35
	s_delay_alu instid0(VALU_DEP_1) | instskip(NEXT) | instid1(VALU_DEP_4)
	v_cmp_lt_u32_e32 vcc_lo, 63, v35
	v_mov_b32_e32 v38, v37
	v_cndmask_b32_e64 v37, 0, 0xffffffc0, vcc_lo
	s_delay_alu instid0(VALU_DEP_2) | instskip(NEXT) | instid1(VALU_DEP_1)
	v_mad_nc_u64_u32 v[38:39], 0xdb629599, v4, v[38:39]
	v_dual_mov_b32 v41, v5 :: v_dual_mov_b32 v40, v39
	s_delay_alu instid0(VALU_DEP_2) | instskip(NEXT) | instid1(VALU_DEP_2)
	v_cndmask_b32_e32 v34, v38, v34, vcc_lo
	v_mad_nc_u64_u32 v[40:41], 0xf534ddc0, v4, v[40:41]
	s_delay_alu instid0(VALU_DEP_1) | instskip(NEXT) | instid1(VALU_DEP_1)
	v_dual_mov_b32 v43, v5 :: v_dual_mov_b32 v42, v41
	v_mad_nc_u64_u32 v[42:43], 0xfc2757d1, v4, v[42:43]
	s_delay_alu instid0(VALU_DEP_1) | instskip(NEXT) | instid1(VALU_DEP_1)
	v_mov_b32_e32 v44, v43
	v_mad_nc_u64_u32 v[44:45], 0x4e441529, v4, v[44:45]
	v_add_nc_u32_e32 v35, v37, v35
	v_mov_b32_e32 v47, v5
	s_delay_alu instid0(VALU_DEP_2) | instskip(NEXT) | instid1(VALU_DEP_4)
	v_cmp_lt_u32_e64 s6, 31, v35
	v_mov_b32_e32 v46, v45
	s_delay_alu instid0(VALU_DEP_2) | instskip(NEXT) | instid1(VALU_DEP_2)
	v_cndmask_b32_e64 v37, 0, 0xffffffe0, s6
	v_mad_nc_u64_u32 v[46:47], 0xa2f9836e, v4, v[46:47]
	s_delay_alu instid0(VALU_DEP_2) | instskip(NEXT) | instid1(VALU_DEP_2)
	v_dual_cndmask_b32 v37, v44, v40 :: v_dual_add_nc_u32 v4, v37, v35
	v_cndmask_b32_e32 v39, v46, v42, vcc_lo
	s_delay_alu instid0(VALU_DEP_2) | instskip(NEXT) | instid1(VALU_DEP_4)
	v_cmp_lt_u32_e64 s7, 31, v4
	v_dual_cndmask_b32 v41, v47, v44 :: v_dual_cndmask_b32 v42, v42, v38
	s_delay_alu instid0(VALU_DEP_2) | instskip(NEXT) | instid1(VALU_DEP_1)
	v_cndmask_b32_e64 v35, 0, 0xffffffe0, s7
	v_add_nc_u32_e32 v4, v35, v4
	v_dual_cndmask_b32 v35, v40, v36, vcc_lo :: v_dual_cndmask_b32 v36, v39, v37, s6
	s_delay_alu instid0(VALU_DEP_4) | instskip(NEXT) | instid1(VALU_DEP_3)
	v_cndmask_b32_e64 v39, v41, v39, s6
	v_dual_cndmask_b32 v37, v37, v42, s6 :: v_dual_sub_nc_u32 v40, 32, v4
	s_delay_alu instid0(VALU_DEP_3) | instskip(SKIP_1) | instid1(VALU_DEP_3)
	v_cndmask_b32_e64 v41, v42, v35, s6
	v_cmp_eq_u32_e32 vcc_lo, 0, v4
	v_dual_cndmask_b32 v39, v39, v36, s7 :: v_dual_cndmask_b32 v36, v36, v37, s7
	s_delay_alu instid0(VALU_DEP_1) | instskip(NEXT) | instid1(VALU_DEP_1)
	v_alignbit_b32 v42, v39, v36, v40
	v_dual_cndmask_b32 v37, v37, v41, s7 :: v_dual_cndmask_b32 v4, v42, v39, vcc_lo
	s_delay_alu instid0(VALU_DEP_1) | instskip(NEXT) | instid1(VALU_DEP_1)
	v_alignbit_b32 v38, v36, v37, v40
	v_dual_cndmask_b32 v34, v35, v34, s6 :: v_dual_cndmask_b32 v35, v38, v36, vcc_lo
	s_delay_alu instid0(VALU_DEP_3) | instskip(NEXT) | instid1(VALU_DEP_2)
	v_bfe_u32 v36, v4, 29, 1
	v_cndmask_b32_e64 v34, v41, v34, s7
	s_delay_alu instid0(VALU_DEP_3) | instskip(NEXT) | instid1(VALU_DEP_3)
	v_alignbit_b32 v38, v4, v35, 30
	v_sub_nc_u32_e32 v39, 0, v36
	s_delay_alu instid0(VALU_DEP_3) | instskip(NEXT) | instid1(VALU_DEP_1)
	v_alignbit_b32 v40, v37, v34, v40
	v_dual_cndmask_b32 v37, v40, v37, vcc_lo :: v_dual_bitop2_b32 v38, v38, v39 bitop3:0x14
	s_delay_alu instid0(VALU_DEP_1) | instskip(NEXT) | instid1(VALU_DEP_2)
	v_clz_i32_u32_e32 v40, v38
	v_alignbit_b32 v35, v35, v37, 30
	v_alignbit_b32 v34, v37, v34, 30
	s_delay_alu instid0(VALU_DEP_3) | instskip(NEXT) | instid1(VALU_DEP_3)
	v_min_u32_e32 v40, 32, v40
	v_xor_b32_e32 v35, v35, v39
	s_delay_alu instid0(VALU_DEP_3) | instskip(NEXT) | instid1(VALU_DEP_3)
	v_dual_lshrrev_b32 v39, 29, v4 :: v_dual_bitop2_b32 v34, v34, v39 bitop3:0x14
	v_dual_sub_nc_u32 v37, 31, v40 :: v_dual_lshlrev_b32 v41, 23, v40
	s_delay_alu instid0(VALU_DEP_1) | instskip(NEXT) | instid1(VALU_DEP_3)
	v_alignbit_b32 v38, v38, v35, v37
	v_alignbit_b32 v34, v35, v34, v37
	s_delay_alu instid0(VALU_DEP_4) | instskip(NEXT) | instid1(VALU_DEP_2)
	v_lshlrev_b32_e32 v35, 31, v39
	v_alignbit_b32 v37, v38, v34, 9
	s_delay_alu instid0(VALU_DEP_2) | instskip(SKIP_1) | instid1(VALU_DEP_3)
	v_dual_lshrrev_b32 v38, 9, v38 :: v_dual_bitop2_b32 v39, 0.5, v35 bitop3:0x54
	v_or_b32_e32 v35, 0x33000000, v35
	v_clz_i32_u32_e32 v42, v37
	s_delay_alu instid0(VALU_DEP_3) | instskip(NEXT) | instid1(VALU_DEP_2)
	v_sub_nc_u32_e32 v39, v39, v41
	v_min_u32_e32 v41, 32, v42
	s_delay_alu instid0(VALU_DEP_1) | instskip(NEXT) | instid1(VALU_DEP_3)
	v_add_lshl_u32 v40, v41, v40, 23
	v_or_b32_e32 v38, v38, v39
	v_not_b32_e32 v39, v41
	s_delay_alu instid0(VALU_DEP_2) | instskip(NEXT) | instid1(VALU_DEP_2)
	v_dual_mul_f32 v42, 0x3fc90fda, v38 :: v_dual_sub_nc_u32 v35, v35, v40
	v_alignbit_b32 v34, v37, v34, v39
	s_delay_alu instid0(VALU_DEP_2) | instskip(NEXT) | instid1(VALU_DEP_2)
	v_fma_f32 v37, 0x3fc90fda, v38, -v42
	v_lshrrev_b32_e32 v34, 9, v34
	s_delay_alu instid0(VALU_DEP_2) | instskip(NEXT) | instid1(VALU_DEP_2)
	v_fmac_f32_e32 v37, 0x33a22168, v38
	v_or_b32_e32 v34, v35, v34
	s_delay_alu instid0(VALU_DEP_1) | instskip(NEXT) | instid1(VALU_DEP_1)
	v_dual_fmac_f32 v37, 0x3fc90fda, v34 :: v_dual_lshrrev_b32 v34, 30, v4
	v_dual_add_nc_u32 v34, v36, v34 :: v_dual_add_f32 v4, v42, v37
	s_and_not1_saveexec_b32 s6, s39
	s_cbranch_execnz .LBB254_189
	s_branch .LBB254_190
.LBB254_188:                            ;   in Loop: Header=BB254_4 Depth=1
	s_and_not1_saveexec_b32 s6, s39
.LBB254_189:                            ;   in Loop: Header=BB254_4 Depth=1
	v_mul_f32_e64 v4, 0x3f22f983, |v23|
	s_delay_alu instid0(VALU_DEP_1) | instskip(NEXT) | instid1(VALU_DEP_1)
	v_rndne_f32_e32 v34, v4
	v_fma_f32 v4, 0xbfc90fda, v34, |v23|
	s_delay_alu instid0(VALU_DEP_1) | instskip(NEXT) | instid1(VALU_DEP_1)
	v_fmac_f32_e32 v4, 0xb3a22168, v34
	v_fmac_f32_e32 v4, 0xa7c234c4, v34
	v_cvt_i32_f32_e32 v34, v34
.LBB254_190:                            ;   in Loop: Header=BB254_4 Depth=1
	s_or_b32 exec_lo, exec_lo, s6
	v_sub_f32_e32 v22, 0xc322e3bc, v22
	s_delay_alu instid0(VALU_DEP_2) | instskip(SKIP_1) | instid1(VALU_DEP_3)
	v_dual_lshlrev_b32 v34, 30, v34 :: v_dual_bitop2_b32 v40, 1, v34 bitop3:0x40
	v_mul_f32_e32 v39, v4, v4
	v_mul_f32_e32 v35, 0x3fb8aa3b, v22
	s_delay_alu instid0(VALU_DEP_3) | instskip(NEXT) | instid1(VALU_DEP_3)
	v_and_or_b32 v32, 0x80000000, v34, v32
	v_fmaak_f32 v42, s31, v39, 0x3c0881c4
	s_delay_alu instid0(VALU_DEP_3) | instskip(SKIP_1) | instid1(VALU_DEP_1)
	v_fma_f32 v36, 0x3fb8aa3b, v22, -v35
	v_rndne_f32_e32 v37, v35
	v_dual_sub_f32 v35, v35, v37 :: v_dual_fmac_f32 v36, 0x32a5705f, v22
	v_cvt_i32_f32_e32 v37, v37
	v_cmp_ngt_f32_e32 vcc_lo, 0xc2ce8ed0, v22
	s_delay_alu instid0(VALU_DEP_3) | instskip(SKIP_1) | instid1(VALU_DEP_2)
	v_dual_add_f32 v35, v35, v36 :: v_dual_lshlrev_b32 v36, 30, v33
	v_and_b32_e32 v33, 1, v33
	v_exp_f32_e32 v35, v35
	v_nop
	s_delay_alu instid0(TRANS32_DEP_1) | instskip(NEXT) | instid1(VALU_DEP_1)
	v_ldexp_f32 v35, v35, v37
	v_dual_mul_f32 v38, v30, v30 :: v_dual_cndmask_b32 v35, 0, v35
	s_delay_alu instid0(VALU_DEP_1) | instskip(SKIP_1) | instid1(VALU_DEP_2)
	v_fmaak_f32 v41, s31, v38, 0x3c0881c4
	v_cmp_nlt_f32_e32 vcc_lo, 0x42b17218, v22
	v_dual_fmaak_f32 v22, v39, v42, 0xbe2aaa9d :: v_dual_fmaak_f32 v41, v38, v41, 0xbe2aaa9d
	s_delay_alu instid0(VALU_DEP_4) | instskip(SKIP_1) | instid1(VALU_DEP_3)
	v_cndmask_b32_e32 v34, 0x7f800000, v35, vcc_lo
	v_cmp_eq_u32_e32 vcc_lo, 0, v40
	v_dual_mul_f32 v22, v39, v22 :: v_dual_mul_f32 v41, v38, v41
	s_delay_alu instid0(VALU_DEP_3) | instskip(SKIP_1) | instid1(VALU_DEP_3)
	v_dual_fmaak_f32 v43, s33, v39, 0xbab64f3b :: v_dual_lshrrev_b32 v42, 23, v34
	v_fmaak_f32 v37, s33, v38, 0xbab64f3b
	v_dual_fmac_f32 v4, v4, v22 :: v_dual_fmac_f32 v30, v30, v41
	s_delay_alu instid0(VALU_DEP_3) | instskip(NEXT) | instid1(VALU_DEP_4)
	v_fmaak_f32 v35, v39, v43, 0x3d2aabf7
	v_subrev_nc_u32_e32 v42, 19, v42
	s_delay_alu instid0(VALU_DEP_4) | instskip(NEXT) | instid1(VALU_DEP_3)
	v_fmaak_f32 v37, v38, v37, 0x3d2aabf7
	v_fmaak_f32 v35, v39, v35, 0xbf000004
	s_delay_alu instid0(VALU_DEP_2) | instskip(NEXT) | instid1(VALU_DEP_2)
	v_fmaak_f32 v37, v38, v37, 0xbf000004
	v_fma_f32 v22, v39, v35, 1.0
	s_delay_alu instid0(VALU_DEP_2) | instskip(SKIP_1) | instid1(VALU_DEP_3)
	v_fma_f32 v35, v38, v37, 1.0
	v_lshrrev_b16 v37, 15, v42
	v_cndmask_b32_e32 v4, v22, v4, vcc_lo
	v_cmp_eq_u32_e32 vcc_lo, 0, v33
	s_delay_alu instid0(VALU_DEP_2) | instskip(SKIP_3) | instid1(VALU_DEP_3)
	v_xor3_b32 v4, v32, v4, v31
	v_cndmask_b32_e64 v22, -v30, v35, vcc_lo
	v_add_nc_u16 v30, v42, v37
	v_cmp_class_f32_e64 vcc_lo, v23, 0x1f8
	v_bitop3_b32 v22, v36, v22, 0x80000000 bitop3:0x6c
	s_delay_alu instid0(VALU_DEP_3) | instskip(SKIP_2) | instid1(VALU_DEP_4)
	v_ashrrev_i16 v30, 1, v30
	v_cndmask_b32_e32 v23, 0x7fc00000, v4, vcc_lo
	v_and_or_b32 v4, 0x7fffff, v34, s34
	v_cndmask_b32_e32 v22, 0x7fc00000, v22, vcc_lo
	s_delay_alu instid0(VALU_DEP_4) | instskip(NEXT) | instid1(VALU_DEP_2)
	v_bfe_i32 v30, v30, 0, 16
	v_pk_mul_f32 v[22:23], v[22:23], v[4:5] op_sel_hi:[1,0]
	s_delay_alu instid0(VALU_DEP_2) | instskip(SKIP_1) | instid1(VALU_DEP_2)
	v_sub_nc_u32_e32 v31, v42, v30
	v_lshl_add_u32 v4, v30, 23, 1.0
	v_lshl_add_u32 v30, v31, 23, 1.0
	s_delay_alu instid0(VALU_DEP_2) | instskip(NEXT) | instid1(VALU_DEP_1)
	v_pk_mul_f32 v[22:23], v[22:23], v[4:5] op_sel_hi:[1,0]
	v_pk_mul_f32 v[30:31], v[22:23], v[30:31] op_sel_hi:[1,0]
.LBB254_191:                            ;   in Loop: Header=BB254_4 Depth=1
	s_or_b32 exec_lo, exec_lo, s38
                                        ; implicit-def: $vgpr4
                                        ; implicit-def: $vgpr22
                                        ; implicit-def: $vgpr33
.LBB254_192:                            ;   in Loop: Header=BB254_4 Depth=1
	s_and_not1_saveexec_b32 s6, s37
	s_cbranch_execz .LBB254_198
; %bb.193:                              ;   in Loop: Header=BB254_4 Depth=1
	s_mov_b32 s7, exec_lo
                                        ; implicit-def: $vgpr31
	v_cmpx_ne_u32_e32 0x7f800000, v33
	s_xor_b32 s7, exec_lo, s7
; %bb.194:                              ;   in Loop: Header=BB254_4 Depth=1
	v_sub_f32_e32 v31, v23, v23
                                        ; implicit-def: $vgpr4
                                        ; implicit-def: $vgpr22_vgpr23
	s_delay_alu instid0(VALU_DEP_1)
	v_mov_b32_e32 v30, v31
; %bb.195:                              ;   in Loop: Header=BB254_4 Depth=1
	s_and_not1_saveexec_b32 s7, s7
; %bb.196:                              ;   in Loop: Header=BB254_4 Depth=1
	v_pk_add_f32 v[30:31], v[22:23], v[22:23] neg_lo:[0,1] neg_hi:[0,1]
	v_cmp_lt_i32_e32 vcc_lo, -1, v4
	s_delay_alu instid0(VALU_DEP_2)
	v_dual_cndmask_b32 v30, 0, -v22, vcc_lo :: v_dual_cndmask_b32 v31, 0, v31, vcc_lo
; %bb.197:                              ;   in Loop: Header=BB254_4 Depth=1
	s_or_b32 exec_lo, exec_lo, s7
.LBB254_198:                            ;   in Loop: Header=BB254_4 Depth=1
	s_delay_alu instid0(SALU_CYCLE_1)
	s_or_b32 exec_lo, exec_lo, s6
                                        ; implicit-def: $vgpr23
                                        ; implicit-def: $vgpr32
.LBB254_199:                            ;   in Loop: Header=BB254_4 Depth=1
	s_and_not1_saveexec_b32 s36, s36
	s_cbranch_execz .LBB254_209
; %bb.200:                              ;   in Loop: Header=BB254_4 Depth=1
	v_lshrrev_b32_e32 v22, 23, v32
	v_cmp_ngt_f32_e64 s37, 0x48000000, |v23|
	v_and_or_b32 v4, v32, s30, 0x800000
                                        ; implicit-def: $vgpr30
	s_delay_alu instid0(VALU_DEP_3) | instskip(SKIP_1) | instid1(SALU_CYCLE_1)
	v_add_nc_u32_e32 v33, 0xffffff88, v22
                                        ; implicit-def: $vgpr22
	s_and_saveexec_b32 s6, s37
	s_xor_b32 s38, exec_lo, s6
	s_cbranch_execz .LBB254_202
; %bb.201:                              ;   in Loop: Header=BB254_4 Depth=1
	v_mul_u64_e32 v[34:35], s[26:27], v[4:5]
	v_mov_b32_e32 v37, v5
	v_cmp_lt_u32_e32 vcc_lo, 63, v33
	v_mov_b32_e32 v47, v5
	v_cndmask_b32_e64 v22, 0, 0xffffffc0, vcc_lo
	s_delay_alu instid0(VALU_DEP_1) | instskip(NEXT) | instid1(VALU_DEP_1)
	v_add_nc_u32_e32 v22, v22, v33
	v_cmp_lt_u32_e64 s6, 31, v22
	s_delay_alu instid0(VALU_DEP_1) | instskip(NEXT) | instid1(VALU_DEP_1)
	v_cndmask_b32_e64 v30, 0, 0xffffffe0, s6
	v_dual_add_nc_u32 v22, v30, v22 :: v_dual_mov_b32 v36, v35
	s_delay_alu instid0(VALU_DEP_1) | instskip(NEXT) | instid1(VALU_DEP_2)
	v_cmp_lt_u32_e64 s7, 31, v22
	v_mad_nc_u64_u32 v[36:37], 0x3c439041, v4, v[36:37]
	v_mov_b32_e32 v39, v5
	s_delay_alu instid0(VALU_DEP_3) | instskip(NEXT) | instid1(VALU_DEP_3)
	v_cndmask_b32_e64 v30, 0, 0xffffffe0, s7
	v_mov_b32_e32 v38, v37
	s_delay_alu instid0(VALU_DEP_1) | instskip(NEXT) | instid1(VALU_DEP_1)
	v_mad_nc_u64_u32 v[38:39], 0xdb629599, v4, v[38:39]
	v_dual_mov_b32 v41, v5 :: v_dual_mov_b32 v40, v39
	s_delay_alu instid0(VALU_DEP_2) | instskip(NEXT) | instid1(VALU_DEP_2)
	v_cndmask_b32_e32 v34, v38, v34, vcc_lo
	v_mad_nc_u64_u32 v[40:41], 0xf534ddc0, v4, v[40:41]
	v_dual_mov_b32 v43, v5 :: v_dual_add_nc_u32 v22, v30, v22
	s_delay_alu instid0(VALU_DEP_2) | instskip(NEXT) | instid1(VALU_DEP_1)
	v_dual_cndmask_b32 v30, v40, v36, vcc_lo :: v_dual_mov_b32 v42, v41
	v_mad_nc_u64_u32 v[42:43], 0xfc2757d1, v4, v[42:43]
	s_delay_alu instid0(VALU_DEP_1) | instskip(NEXT) | instid1(VALU_DEP_2)
	v_dual_mov_b32 v45, v5 :: v_dual_mov_b32 v44, v43
	v_cndmask_b32_e32 v41, v42, v38, vcc_lo
	s_delay_alu instid0(VALU_DEP_2) | instskip(NEXT) | instid1(VALU_DEP_1)
	v_mad_nc_u64_u32 v[44:45], 0x4e441529, v4, v[44:45]
	v_mov_b32_e32 v46, v45
	s_delay_alu instid0(VALU_DEP_1) | instskip(NEXT) | instid1(VALU_DEP_1)
	v_mad_nc_u64_u32 v[46:47], 0xa2f9836e, v4, v[46:47]
	v_dual_cndmask_b32 v35, v44, v40, vcc_lo :: v_dual_cndmask_b32 v37, v46, v42, vcc_lo
	s_delay_alu instid0(VALU_DEP_2) | instskip(SKIP_1) | instid1(VALU_DEP_2)
	v_cndmask_b32_e32 v39, v47, v44, vcc_lo
	v_cmp_eq_u32_e32 vcc_lo, 0, v22
	v_dual_cndmask_b32 v36, v37, v35, s6 :: v_dual_cndmask_b32 v37, v39, v37, s6
	v_dual_cndmask_b32 v35, v35, v41, s6 :: v_dual_sub_nc_u32 v39, 32, v22
	v_cndmask_b32_e64 v40, v41, v30, s6
	s_delay_alu instid0(VALU_DEP_3) | instskip(NEXT) | instid1(VALU_DEP_3)
	v_dual_cndmask_b32 v30, v30, v34, s6 :: v_dual_cndmask_b32 v37, v37, v36, s7
	v_cndmask_b32_e64 v36, v36, v35, s7
	s_delay_alu instid0(VALU_DEP_1) | instskip(NEXT) | instid1(VALU_DEP_1)
	v_alignbit_b32 v41, v37, v36, v39
	v_dual_cndmask_b32 v35, v35, v40, s7 :: v_dual_cndmask_b32 v22, v41, v37, vcc_lo
	s_delay_alu instid0(VALU_DEP_1) | instskip(NEXT) | instid1(VALU_DEP_1)
	v_alignbit_b32 v38, v36, v35, v39
	v_cndmask_b32_e32 v34, v38, v36, vcc_lo
	s_delay_alu instid0(VALU_DEP_3) | instskip(NEXT) | instid1(VALU_DEP_1)
	v_bfe_u32 v36, v22, 29, 1
	v_dual_sub_nc_u32 v38, 0, v36 :: v_dual_cndmask_b32 v30, v40, v30, s7
	s_delay_alu instid0(VALU_DEP_3) | instskip(NEXT) | instid1(VALU_DEP_2)
	v_alignbit_b32 v37, v22, v34, 30
	v_alignbit_b32 v39, v35, v30, v39
	s_delay_alu instid0(VALU_DEP_1) | instskip(NEXT) | instid1(VALU_DEP_1)
	v_dual_cndmask_b32 v35, v39, v35, vcc_lo :: v_dual_bitop2_b32 v37, v37, v38 bitop3:0x14
	v_clz_i32_u32_e32 v39, v37
	s_delay_alu instid0(VALU_DEP_2) | instskip(NEXT) | instid1(VALU_DEP_2)
	v_alignbit_b32 v34, v34, v35, 30
	v_min_u32_e32 v39, 32, v39
	v_alignbit_b32 v30, v35, v30, 30
	s_delay_alu instid0(VALU_DEP_2) | instskip(NEXT) | instid1(VALU_DEP_2)
	v_dual_sub_nc_u32 v35, 31, v39 :: v_dual_bitop2_b32 v34, v34, v38 bitop3:0x14
	v_xor_b32_e32 v30, v30, v38
	v_dual_lshrrev_b32 v38, 29, v22 :: v_dual_lshlrev_b32 v40, 23, v39
	s_delay_alu instid0(VALU_DEP_3) | instskip(NEXT) | instid1(VALU_DEP_3)
	v_alignbit_b32 v37, v37, v34, v35
	v_alignbit_b32 v30, v34, v30, v35
	s_delay_alu instid0(VALU_DEP_3) | instskip(NEXT) | instid1(VALU_DEP_2)
	v_lshlrev_b32_e32 v34, 31, v38
	v_alignbit_b32 v35, v37, v30, 9
	s_delay_alu instid0(VALU_DEP_2) | instskip(SKIP_1) | instid1(VALU_DEP_3)
	v_dual_lshrrev_b32 v37, 9, v37 :: v_dual_bitop2_b32 v38, 0.5, v34 bitop3:0x54
	v_or_b32_e32 v34, 0x33000000, v34
	v_clz_i32_u32_e32 v41, v35
	s_delay_alu instid0(VALU_DEP_3) | instskip(NEXT) | instid1(VALU_DEP_2)
	v_sub_nc_u32_e32 v38, v38, v40
	v_min_u32_e32 v40, 32, v41
	s_delay_alu instid0(VALU_DEP_1) | instskip(NEXT) | instid1(VALU_DEP_3)
	v_add_lshl_u32 v39, v40, v39, 23
	v_or_b32_e32 v37, v37, v38
	v_not_b32_e32 v38, v40
	s_delay_alu instid0(VALU_DEP_2) | instskip(NEXT) | instid1(VALU_DEP_2)
	v_dual_mul_f32 v41, 0x3fc90fda, v37 :: v_dual_sub_nc_u32 v34, v34, v39
	v_alignbit_b32 v30, v35, v30, v38
	s_delay_alu instid0(VALU_DEP_2) | instskip(NEXT) | instid1(VALU_DEP_1)
	v_fma_f32 v35, 0x3fc90fda, v37, -v41
	v_dual_fmac_f32 v35, 0x33a22168, v37 :: v_dual_lshrrev_b32 v30, 9, v30
	s_delay_alu instid0(VALU_DEP_1) | instskip(NEXT) | instid1(VALU_DEP_1)
	v_or_b32_e32 v30, v34, v30
	v_fmac_f32_e32 v35, 0x3fc90fda, v30
	v_lshrrev_b32_e32 v30, 30, v22
	s_delay_alu instid0(VALU_DEP_1)
	v_dual_add_nc_u32 v30, v36, v30 :: v_dual_add_f32 v22, v41, v35
.LBB254_202:                            ;   in Loop: Header=BB254_4 Depth=1
	s_or_saveexec_b32 s6, s38
	v_mul_f32_e64 v34, 0x3f22f983, |v23|
	s_delay_alu instid0(VALU_DEP_1)
	v_rndne_f32_e32 v36, v34
	s_xor_b32 exec_lo, exec_lo, s6
; %bb.203:                              ;   in Loop: Header=BB254_4 Depth=1
	s_delay_alu instid0(VALU_DEP_1) | instskip(SKIP_1) | instid1(VALU_DEP_2)
	v_fma_f32 v22, 0xbfc90fda, v36, |v23|
	v_cvt_i32_f32_e32 v30, v36
	v_fmac_f32_e32 v22, 0xb3a22168, v36
	s_delay_alu instid0(VALU_DEP_1)
	v_fmac_f32_e32 v22, 0xa7c234c4, v36
; %bb.204:                              ;   in Loop: Header=BB254_4 Depth=1
	s_or_b32 exec_lo, exec_lo, s6
                                        ; implicit-def: $vgpr35
                                        ; implicit-def: $vgpr34
	s_and_saveexec_b32 s6, s37
	s_delay_alu instid0(SALU_CYCLE_1)
	s_xor_b32 s37, exec_lo, s6
	s_cbranch_execz .LBB254_206
; %bb.205:                              ;   in Loop: Header=BB254_4 Depth=1
	v_mul_u64_e32 v[34:35], s[26:27], v[4:5]
	v_mov_b32_e32 v37, v5
	v_cmp_lt_u32_e32 vcc_lo, 63, v33
	s_delay_alu instid0(VALU_DEP_3) | instskip(SKIP_1) | instid1(VALU_DEP_2)
	v_dual_mov_b32 v47, v5 :: v_dual_mov_b32 v36, v35
	v_cndmask_b32_e64 v35, 0, 0xffffffc0, vcc_lo
	v_mad_nc_u64_u32 v[36:37], 0x3c439041, v4, v[36:37]
	s_delay_alu instid0(VALU_DEP_2) | instskip(NEXT) | instid1(VALU_DEP_1)
	v_dual_mov_b32 v39, v5 :: v_dual_add_nc_u32 v33, v35, v33
	v_cmp_lt_u32_e64 s6, 31, v33
	s_delay_alu instid0(VALU_DEP_3) | instskip(NEXT) | instid1(VALU_DEP_2)
	v_mov_b32_e32 v38, v37
	v_cndmask_b32_e64 v35, 0, 0xffffffe0, s6
	s_delay_alu instid0(VALU_DEP_2) | instskip(NEXT) | instid1(VALU_DEP_1)
	v_mad_nc_u64_u32 v[38:39], 0xdb629599, v4, v[38:39]
	v_dual_mov_b32 v41, v5 :: v_dual_mov_b32 v40, v39
	s_delay_alu instid0(VALU_DEP_2) | instskip(NEXT) | instid1(VALU_DEP_2)
	v_cndmask_b32_e32 v34, v38, v34, vcc_lo
	v_mad_nc_u64_u32 v[40:41], 0xf534ddc0, v4, v[40:41]
	s_delay_alu instid0(VALU_DEP_1) | instskip(NEXT) | instid1(VALU_DEP_1)
	v_dual_mov_b32 v43, v5 :: v_dual_mov_b32 v42, v41
	v_mad_nc_u64_u32 v[42:43], 0xfc2757d1, v4, v[42:43]
	s_delay_alu instid0(VALU_DEP_1) | instskip(NEXT) | instid1(VALU_DEP_2)
	v_dual_mov_b32 v45, v5 :: v_dual_mov_b32 v44, v43
	v_cndmask_b32_e32 v41, v42, v38, vcc_lo
	s_delay_alu instid0(VALU_DEP_2) | instskip(NEXT) | instid1(VALU_DEP_1)
	v_mad_nc_u64_u32 v[44:45], 0x4e441529, v4, v[44:45]
	v_mov_b32_e32 v46, v45
	s_delay_alu instid0(VALU_DEP_1) | instskip(NEXT) | instid1(VALU_DEP_3)
	v_mad_nc_u64_u32 v[46:47], 0xa2f9836e, v4, v[46:47]
	v_dual_cndmask_b32 v35, v44, v40 :: v_dual_add_nc_u32 v4, v35, v33
	s_delay_alu instid0(VALU_DEP_1) | instskip(NEXT) | instid1(VALU_DEP_1)
	v_cmp_lt_u32_e64 s7, 31, v4
	v_cndmask_b32_e64 v33, 0, 0xffffffe0, s7
	s_delay_alu instid0(VALU_DEP_4) | instskip(NEXT) | instid1(VALU_DEP_2)
	v_dual_cndmask_b32 v37, v46, v42, vcc_lo :: v_dual_cndmask_b32 v39, v47, v44, vcc_lo
	v_add_nc_u32_e32 v4, v33, v4
	s_delay_alu instid0(VALU_DEP_2) | instskip(NEXT) | instid1(VALU_DEP_3)
	v_dual_cndmask_b32 v33, v40, v36, vcc_lo :: v_dual_cndmask_b32 v36, v37, v35, s6
	v_cndmask_b32_e64 v37, v39, v37, s6
	s_delay_alu instid0(VALU_DEP_3) | instskip(NEXT) | instid1(VALU_DEP_3)
	v_dual_cndmask_b32 v35, v35, v41, s6 :: v_dual_sub_nc_u32 v39, 32, v4
	v_cndmask_b32_e64 v40, v41, v33, s6
	v_cmp_eq_u32_e32 vcc_lo, 0, v4
	s_delay_alu instid0(VALU_DEP_3) | instskip(NEXT) | instid1(VALU_DEP_1)
	v_dual_cndmask_b32 v37, v37, v36, s7 :: v_dual_cndmask_b32 v36, v36, v35, s7
	v_alignbit_b32 v41, v37, v36, v39
	s_delay_alu instid0(VALU_DEP_1) | instskip(NEXT) | instid1(VALU_DEP_1)
	v_dual_cndmask_b32 v35, v35, v40, s7 :: v_dual_cndmask_b32 v4, v41, v37, vcc_lo
	v_alignbit_b32 v38, v36, v35, v39
	s_delay_alu instid0(VALU_DEP_1) | instskip(NEXT) | instid1(VALU_DEP_3)
	v_dual_cndmask_b32 v33, v33, v34, s6 :: v_dual_cndmask_b32 v34, v38, v36, vcc_lo
	v_bfe_u32 v36, v4, 29, 1
	s_delay_alu instid0(VALU_DEP_2) | instskip(NEXT) | instid1(VALU_DEP_3)
	v_cndmask_b32_e64 v33, v40, v33, s7
	v_alignbit_b32 v37, v4, v34, 30
	s_delay_alu instid0(VALU_DEP_3) | instskip(NEXT) | instid1(VALU_DEP_3)
	v_sub_nc_u32_e32 v38, 0, v36
	v_alignbit_b32 v39, v35, v33, v39
	s_delay_alu instid0(VALU_DEP_1) | instskip(NEXT) | instid1(VALU_DEP_1)
	v_dual_cndmask_b32 v35, v39, v35, vcc_lo :: v_dual_bitop2_b32 v37, v37, v38 bitop3:0x14
	v_clz_i32_u32_e32 v39, v37
	s_delay_alu instid0(VALU_DEP_2) | instskip(SKIP_1) | instid1(VALU_DEP_3)
	v_alignbit_b32 v34, v34, v35, 30
	v_alignbit_b32 v33, v35, v33, 30
	v_min_u32_e32 v39, 32, v39
	s_delay_alu instid0(VALU_DEP_3) | instskip(NEXT) | instid1(VALU_DEP_3)
	v_xor_b32_e32 v34, v34, v38
	v_dual_lshrrev_b32 v38, 29, v4 :: v_dual_bitop2_b32 v33, v33, v38 bitop3:0x14
	s_delay_alu instid0(VALU_DEP_3) | instskip(SKIP_1) | instid1(VALU_DEP_2)
	v_dual_lshrrev_b32 v4, 30, v4 :: v_dual_sub_nc_u32 v35, 31, v39
	v_lshlrev_b32_e32 v40, 23, v39
	v_alignbit_b32 v37, v37, v34, v35
	s_delay_alu instid0(VALU_DEP_4) | instskip(SKIP_1) | instid1(VALU_DEP_2)
	v_alignbit_b32 v33, v34, v33, v35
	v_lshlrev_b32_e32 v34, 31, v38
	v_alignbit_b32 v35, v37, v33, 9
	s_delay_alu instid0(VALU_DEP_2) | instskip(SKIP_1) | instid1(VALU_DEP_3)
	v_dual_lshrrev_b32 v37, 9, v37 :: v_dual_bitop2_b32 v38, 0.5, v34 bitop3:0x54
	v_or_b32_e32 v34, 0x33000000, v34
	v_clz_i32_u32_e32 v41, v35
	s_delay_alu instid0(VALU_DEP_3) | instskip(NEXT) | instid1(VALU_DEP_2)
	v_sub_nc_u32_e32 v38, v38, v40
	v_min_u32_e32 v40, 32, v41
	s_delay_alu instid0(VALU_DEP_1) | instskip(NEXT) | instid1(VALU_DEP_3)
	v_add_lshl_u32 v39, v40, v39, 23
	v_or_b32_e32 v37, v37, v38
	v_not_b32_e32 v38, v40
	s_delay_alu instid0(VALU_DEP_2) | instskip(NEXT) | instid1(VALU_DEP_2)
	v_dual_mul_f32 v41, 0x3fc90fda, v37 :: v_dual_sub_nc_u32 v34, v34, v39
	v_alignbit_b32 v33, v35, v33, v38
	s_delay_alu instid0(VALU_DEP_2) | instskip(NEXT) | instid1(VALU_DEP_2)
	v_fma_f32 v35, 0x3fc90fda, v37, -v41
	v_lshrrev_b32_e32 v33, 9, v33
	s_delay_alu instid0(VALU_DEP_2) | instskip(NEXT) | instid1(VALU_DEP_2)
	v_fmac_f32_e32 v35, 0x33a22168, v37
	v_or_b32_e32 v33, v34, v33
	s_delay_alu instid0(VALU_DEP_1) | instskip(NEXT) | instid1(VALU_DEP_1)
	v_fmac_f32_e32 v35, 0x3fc90fda, v33
	v_dual_add_f32 v34, v41, v35 :: v_dual_add_nc_u32 v35, v36, v4
                                        ; implicit-def: $vgpr36
	s_and_not1_saveexec_b32 s6, s37
	s_cbranch_execnz .LBB254_207
	s_branch .LBB254_208
.LBB254_206:                            ;   in Loop: Header=BB254_4 Depth=1
	s_and_not1_saveexec_b32 s6, s37
.LBB254_207:                            ;   in Loop: Header=BB254_4 Depth=1
	v_fma_f32 v34, 0xbfc90fda, v36, |v23|
	v_cvt_i32_f32_e32 v35, v36
	s_delay_alu instid0(VALU_DEP_2) | instskip(NEXT) | instid1(VALU_DEP_1)
	v_fmac_f32_e32 v34, 0xb3a22168, v36
	v_fmac_f32_e32 v34, 0xa7c234c4, v36
.LBB254_208:                            ;   in Loop: Header=BB254_4 Depth=1
	s_or_b32 exec_lo, exec_lo, s6
	s_delay_alu instid0(VALU_DEP_1) | instskip(SKIP_2) | instid1(VALU_DEP_3)
	v_mul_f32_e32 v33, v34, v34
	v_mul_f32_e32 v4, v22, v22
	v_dual_lshlrev_b32 v30, 30, v30 :: v_dual_bitop2_b32 v36, 1, v30 bitop3:0x40
	v_fmaak_f32 v39, s31, v33, 0x3c0881c4
	s_delay_alu instid0(VALU_DEP_3) | instskip(NEXT) | instid1(VALU_DEP_3)
	v_fmaak_f32 v38, s33, v4, 0xbab64f3b
	v_cmp_eq_u32_e32 vcc_lo, 0, v36
	v_dual_lshlrev_b32 v35, 30, v35 :: v_dual_bitop2_b32 v41, 1, v35 bitop3:0x40
	s_delay_alu instid0(VALU_DEP_4) | instskip(SKIP_1) | instid1(VALU_DEP_3)
	v_fmaak_f32 v39, v33, v39, 0xbe2aaa9d
	v_fmaak_f32 v40, s33, v33, 0xbab64f3b
	v_and_or_b32 v32, 0x80000000, v35, v32
	s_delay_alu instid0(VALU_DEP_2) | instskip(NEXT) | instid1(VALU_DEP_1)
	v_dual_mul_f32 v39, v33, v39 :: v_dual_fmaak_f32 v40, v33, v40, 0x3d2aabf7
	v_dual_fmaak_f32 v37, s31, v4, 0x3c0881c4 :: v_dual_fmac_f32 v34, v34, v39
	s_delay_alu instid0(VALU_DEP_2) | instskip(NEXT) | instid1(VALU_DEP_1)
	v_fmaak_f32 v40, v33, v40, 0xbf000004
	v_fma_f32 v33, v33, v40, 1.0
	s_delay_alu instid0(VALU_DEP_3) | instskip(NEXT) | instid1(VALU_DEP_1)
	v_fmaak_f32 v37, v4, v37, 0xbe2aaa9d
	v_dual_fmaak_f32 v38, v4, v38, 0x3d2aabf7 :: v_dual_mul_f32 v37, v4, v37
	s_delay_alu instid0(VALU_DEP_1) | instskip(NEXT) | instid1(VALU_DEP_2)
	v_fmaak_f32 v38, v4, v38, 0xbf000004
	v_fmac_f32_e32 v22, v22, v37
	s_delay_alu instid0(VALU_DEP_2) | instskip(NEXT) | instid1(VALU_DEP_1)
	v_fma_f32 v4, v4, v38, 1.0
	v_cndmask_b32_e64 v4, -v22, v4, vcc_lo
	v_cmp_eq_u32_e32 vcc_lo, 0, v41
	s_delay_alu instid0(VALU_DEP_2) | instskip(SKIP_2) | instid1(VALU_DEP_2)
	v_bitop3_b32 v4, v30, v4, 0x80000000 bitop3:0x6c
	v_cndmask_b32_e32 v22, v33, v34, vcc_lo
	v_cmp_class_f32_e64 vcc_lo, v23, 0x1f8
	v_xor3_b32 v22, v32, v22, v31
	s_delay_alu instid0(VALU_DEP_4) | instskip(NEXT) | instid1(VALU_DEP_2)
	v_cndmask_b32_e32 v30, 0x7fc00000, v4, vcc_lo
	v_cndmask_b32_e32 v31, 0x7fc00000, v22, vcc_lo
.LBB254_209:                            ;   in Loop: Header=BB254_4 Depth=1
	s_or_b32 exec_lo, exec_lo, s36
                                        ; implicit-def: $vgpr22
.LBB254_210:                            ;   in Loop: Header=BB254_4 Depth=1
	s_and_not1_saveexec_b32 s6, s35
	s_cbranch_execz .LBB254_212
; %bb.211:                              ;   in Loop: Header=BB254_4 Depth=1
	v_mul_f32_e32 v4, 0xbfb8aa3b, v22
	v_cmp_nlt_f32_e32 vcc_lo, 0x42ce8ed0, v22
	s_delay_alu instid0(VALU_DEP_2) | instskip(SKIP_1) | instid1(VALU_DEP_2)
	v_rndne_f32_e32 v23, v4
	v_fma_f32 v30, 0xbfb8aa3b, v22, -v4
	v_sub_f32_e32 v4, v4, v23
	s_delay_alu instid0(VALU_DEP_2) | instskip(SKIP_1) | instid1(VALU_DEP_2)
	v_fmac_f32_e32 v30, 0xb2a5705f, v22
	v_cvt_i32_f32_e32 v23, v23
	v_add_f32_e32 v4, v4, v30
	s_delay_alu instid0(VALU_DEP_1) | instskip(SKIP_1) | instid1(TRANS32_DEP_1)
	v_exp_f32_e32 v4, v4
	v_nop
	v_ldexp_f32 v4, v4, v23
	s_delay_alu instid0(VALU_DEP_1) | instskip(SKIP_1) | instid1(VALU_DEP_2)
	v_cndmask_b32_e32 v4, 0, v4, vcc_lo
	v_cmp_ngt_f32_e32 vcc_lo, 0xc2b17218, v22
	v_cndmask_b32_e32 v30, 0x7f800000, v4, vcc_lo
.LBB254_212:                            ;   in Loop: Header=BB254_4 Depth=1
	s_or_b32 exec_lo, exec_lo, s6
	v_mov_b64_e32 v[22:23], s[8:9]
	s_mov_b32 s6, exec_lo
	s_delay_alu instid0(VALU_DEP_1) | instskip(NEXT) | instid1(VALU_DEP_1)
	v_pk_add_f32 v[22:23], v[30:31], v[22:23]
                                        ; implicit-def: $vgpr30_vgpr31
	v_cmp_gt_f32_e32 vcc_lo, 0, v23
	v_cndmask_b32_e64 v4, v23, -v23, vcc_lo
	s_delay_alu instid0(VALU_DEP_3) | instskip(SKIP_1) | instid1(VALU_DEP_1)
	v_cmp_gt_f32_e32 vcc_lo, 0, v22
	v_cndmask_b32_e64 v32, v22, -v22, vcc_lo
	v_cmpx_ge_f32_e32 v32, v4
	s_xor_b32 s7, exec_lo, s6
	s_cbranch_execz .LBB254_222
; %bb.213:                              ;   in Loop: Header=BB254_4 Depth=1
	v_cmp_neq_f32_e32 vcc_lo, 0, v22
	v_cmp_neq_f32_e64 s6, 0, v23
                                        ; implicit-def: $vgpr30_vgpr31
	s_or_b32 s6, vcc_lo, s6
	s_delay_alu instid0(SALU_CYCLE_1) | instskip(NEXT) | instid1(SALU_CYCLE_1)
	s_and_saveexec_b32 s35, s6
	s_xor_b32 s6, exec_lo, s35
	s_cbranch_execz .LBB254_215
; %bb.214:                              ;   in Loop: Header=BB254_4 Depth=1
	v_div_scale_f32 v4, null, v22, v22, v23
	v_div_scale_f32 v32, vcc_lo, v23, v22, v23
	s_delay_alu instid0(VALU_DEP_2) | instskip(SKIP_1) | instid1(TRANS32_DEP_1)
	v_rcp_f32_e32 v30, v4
	v_nop
	v_fma_f32 v31, -v4, v30, 1.0
	s_delay_alu instid0(VALU_DEP_1) | instskip(NEXT) | instid1(VALU_DEP_1)
	v_fmac_f32_e32 v30, v31, v30
	v_mul_f32_e32 v31, v32, v30
	s_delay_alu instid0(VALU_DEP_1) | instskip(NEXT) | instid1(VALU_DEP_1)
	v_fma_f32 v33, -v4, v31, v32
	v_fmac_f32_e32 v31, v33, v30
	s_delay_alu instid0(VALU_DEP_1) | instskip(NEXT) | instid1(VALU_DEP_1)
	v_fma_f32 v4, -v4, v31, v32
	v_div_fmas_f32 v4, v4, v30, v31
	s_delay_alu instid0(VALU_DEP_1) | instskip(NEXT) | instid1(VALU_DEP_1)
	v_div_fixup_f32 v4, v4, v22, v23
	v_fmac_f32_e32 v22, v23, v4
	s_delay_alu instid0(VALU_DEP_1) | instskip(SKIP_1) | instid1(VALU_DEP_2)
	v_div_scale_f32 v23, null, v22, v22, 1.0
	v_div_scale_f32 v32, vcc_lo, 1.0, v22, 1.0
	v_rcp_f32_e32 v34, v23
	v_nop
	s_delay_alu instid0(TRANS32_DEP_1) | instskip(NEXT) | instid1(VALU_DEP_1)
	v_fma_f32 v30, -v23, v34, 1.0
	v_fmac_f32_e32 v34, v30, v34
	s_delay_alu instid0(VALU_DEP_1) | instskip(NEXT) | instid1(VALU_DEP_1)
	v_mul_f32_e32 v35, v32, v34
	v_fma_f32 v30, -v23, v35, v32
	s_delay_alu instid0(VALU_DEP_1) | instskip(SKIP_1) | instid1(VALU_DEP_2)
	v_fmac_f32_e32 v35, v30, v34
	v_mov_b64_e32 v[30:31], s[8:9]
	v_fma_f32 v23, -v23, v35, v32
	v_mov_b64_e32 v[32:33], s[16:17]
	s_delay_alu instid0(VALU_DEP_2) | instskip(NEXT) | instid1(VALU_DEP_2)
	v_div_fmas_f32 v23, v23, v34, v35
	v_pk_fma_f32 v[34:35], v[4:5], v[32:33], v[30:31] op_sel_hi:[0,1,1] neg_lo:[1,0,0] neg_hi:[1,0,0]
	v_pk_fma_f32 v[30:31], v[4:5], v[32:33], v[30:31]
	s_delay_alu instid0(VALU_DEP_3) | instskip(NEXT) | instid1(VALU_DEP_3)
	v_div_fixup_f32 v4, v23, v22, 1.0
                                        ; implicit-def: $vgpr32
	v_mov_b32_e32 v31, v35
	s_delay_alu instid0(VALU_DEP_1)
	v_pk_mul_f32 v[30:31], v[30:31], v[4:5] op_sel_hi:[1,0]
                                        ; implicit-def: $vgpr4
.LBB254_215:                            ;   in Loop: Header=BB254_4 Depth=1
	s_and_not1_saveexec_b32 s35, s6
	s_cbranch_execz .LBB254_217
; %bb.216:                              ;   in Loop: Header=BB254_4 Depth=1
	v_div_scale_f32 v22, null, v4, v4, s9
	v_div_scale_f32 v23, null, v32, v32, s8
	v_div_scale_f32 v35, vcc_lo, s9, v4, s9
	s_delay_alu instid0(VALU_DEP_3) | instskip(NEXT) | instid1(VALU_DEP_2)
	v_rcp_f32_e32 v30, v22
	v_rcp_f32_e32 v31, v23
	s_delay_alu instid0(TRANS32_DEP_2) | instskip(NEXT) | instid1(TRANS32_DEP_1)
	v_fma_f32 v33, -v22, v30, 1.0
	v_fma_f32 v34, -v23, v31, 1.0
	s_delay_alu instid0(VALU_DEP_1) | instskip(SKIP_1) | instid1(VALU_DEP_1)
	v_dual_fmac_f32 v30, v33, v30 :: v_dual_fmac_f32 v31, v34, v31
	v_div_scale_f32 v33, s6, s8, v32, s8
	v_dual_mul_f32 v34, v35, v30 :: v_dual_mul_f32 v36, v33, v31
	s_delay_alu instid0(VALU_DEP_1) | instskip(NEXT) | instid1(VALU_DEP_1)
	v_dual_fma_f32 v37, -v22, v34, v35 :: v_dual_fma_f32 v38, -v23, v36, v33
	v_dual_fmac_f32 v34, v37, v30 :: v_dual_fmac_f32 v36, v38, v31
	s_delay_alu instid0(VALU_DEP_1) | instskip(NEXT) | instid1(VALU_DEP_1)
	v_dual_fma_f32 v22, -v22, v34, v35 :: v_dual_fma_f32 v23, -v23, v36, v33
	v_div_fmas_f32 v22, v22, v30, v34
	s_mov_b32 vcc_lo, s6
	s_delay_alu instid0(VALU_DEP_2) | instskip(NEXT) | instid1(VALU_DEP_2)
	v_div_fmas_f32 v23, v23, v31, v36
	v_div_fixup_f32 v31, v22, v4, s9
	s_delay_alu instid0(VALU_DEP_2)
	v_div_fixup_f32 v30, v23, v32, s8
.LBB254_217:                            ;   in Loop: Header=BB254_4 Depth=1
	s_or_b32 exec_lo, exec_lo, s35
                                        ; implicit-def: $vgpr22_vgpr23
	s_and_not1_saveexec_b32 s6, s7
	s_cbranch_execnz .LBB254_223
.LBB254_218:                            ;   in Loop: Header=BB254_4 Depth=1
	s_or_b32 exec_lo, exec_lo, s6
	s_and_saveexec_b32 s6, s2
	s_delay_alu instid0(SALU_CYCLE_1)
	s_xor_b32 s2, exec_lo, s6
	s_cbranch_execz .LBB254_224
.LBB254_219:                            ;   in Loop: Header=BB254_4 Depth=1
	global_store_b64 v[10:11], v[24:25], off
	s_wait_xcnt 0x0
	s_or_b32 exec_lo, exec_lo, s2
	s_and_saveexec_b32 s2, s3
	s_cbranch_execnz .LBB254_225
.LBB254_220:                            ;   in Loop: Header=BB254_4 Depth=1
	s_or_b32 exec_lo, exec_lo, s2
	s_and_saveexec_b32 s2, s4
	s_cbranch_execz .LBB254_226
.LBB254_221:                            ;   in Loop: Header=BB254_4 Depth=1
	global_store_b64 v[18:19], v[26:27], off
	s_wait_xcnt 0x0
	s_or_b32 exec_lo, exec_lo, s2
	s_and_saveexec_b32 s2, s5
	s_cbranch_execz .LBB254_3
	s_branch .LBB254_227
.LBB254_222:                            ;   in Loop: Header=BB254_4 Depth=1
	s_and_not1_saveexec_b32 s6, s7
	s_cbranch_execz .LBB254_218
.LBB254_223:                            ;   in Loop: Header=BB254_4 Depth=1
	v_div_scale_f32 v4, null, v23, v23, v22
	v_div_scale_f32 v32, vcc_lo, v22, v23, v22
	s_delay_alu instid0(VALU_DEP_2) | instskip(SKIP_1) | instid1(TRANS32_DEP_1)
	v_rcp_f32_e32 v30, v4
	v_nop
	v_fma_f32 v31, -v4, v30, 1.0
	s_delay_alu instid0(VALU_DEP_1) | instskip(NEXT) | instid1(VALU_DEP_1)
	v_fmac_f32_e32 v30, v31, v30
	v_mul_f32_e32 v31, v32, v30
	s_delay_alu instid0(VALU_DEP_1) | instskip(NEXT) | instid1(VALU_DEP_1)
	v_fma_f32 v33, -v4, v31, v32
	v_fmac_f32_e32 v31, v33, v30
	s_delay_alu instid0(VALU_DEP_1) | instskip(NEXT) | instid1(VALU_DEP_1)
	v_fma_f32 v4, -v4, v31, v32
	v_div_fmas_f32 v4, v4, v30, v31
	s_delay_alu instid0(VALU_DEP_1) | instskip(NEXT) | instid1(VALU_DEP_1)
	v_div_fixup_f32 v4, v4, v23, v22
	v_fmac_f32_e32 v23, v22, v4
	s_delay_alu instid0(VALU_DEP_1) | instskip(SKIP_1) | instid1(VALU_DEP_2)
	v_div_scale_f32 v22, null, v23, v23, 1.0
	v_div_scale_f32 v32, vcc_lo, 1.0, v23, 1.0
	v_rcp_f32_e32 v34, v22
	v_nop
	s_delay_alu instid0(TRANS32_DEP_1) | instskip(NEXT) | instid1(VALU_DEP_1)
	v_fma_f32 v30, -v22, v34, 1.0
	v_fmac_f32_e32 v34, v30, v34
	s_delay_alu instid0(VALU_DEP_1) | instskip(NEXT) | instid1(VALU_DEP_1)
	v_mul_f32_e32 v35, v32, v34
	v_fma_f32 v30, -v22, v35, v32
	s_delay_alu instid0(VALU_DEP_1) | instskip(SKIP_1) | instid1(VALU_DEP_2)
	v_fmac_f32_e32 v35, v30, v34
	v_mov_b64_e32 v[30:31], s[16:17]
	v_fma_f32 v22, -v22, v35, v32
	v_mov_b64_e32 v[32:33], s[8:9]
	s_delay_alu instid0(VALU_DEP_2) | instskip(NEXT) | instid1(VALU_DEP_2)
	v_div_fmas_f32 v22, v22, v34, v35
	v_pk_fma_f32 v[34:35], v[4:5], v[32:33], v[30:31] op_sel_hi:[0,1,1] neg_lo:[0,0,1] neg_hi:[0,0,1]
	v_pk_fma_f32 v[30:31], v[4:5], v[32:33], v[30:31]
	s_delay_alu instid0(VALU_DEP_3) | instskip(NEXT) | instid1(VALU_DEP_3)
	v_div_fixup_f32 v4, v22, v23, 1.0
	v_mov_b32_e32 v31, v35
	s_delay_alu instid0(VALU_DEP_1) | instskip(SKIP_2) | instid1(SALU_CYCLE_1)
	v_pk_mul_f32 v[30:31], v[30:31], v[4:5] op_sel_hi:[1,0]
	s_or_b32 exec_lo, exec_lo, s6
	s_and_saveexec_b32 s6, s2
	s_xor_b32 s2, exec_lo, s6
	s_cbranch_execnz .LBB254_219
.LBB254_224:                            ;   in Loop: Header=BB254_4 Depth=1
	s_or_b32 exec_lo, exec_lo, s2
	s_and_saveexec_b32 s2, s3
	s_cbranch_execz .LBB254_220
.LBB254_225:                            ;   in Loop: Header=BB254_4 Depth=1
	global_store_b64 v[16:17], v[28:29], off
	s_wait_xcnt 0x0
	s_or_b32 exec_lo, exec_lo, s2
	s_and_saveexec_b32 s2, s4
	s_cbranch_execnz .LBB254_221
.LBB254_226:                            ;   in Loop: Header=BB254_4 Depth=1
	s_or_b32 exec_lo, exec_lo, s2
	s_and_saveexec_b32 s2, s5
	s_cbranch_execz .LBB254_3
.LBB254_227:                            ;   in Loop: Header=BB254_4 Depth=1
	global_store_b64 v[20:21], v[30:31], off
	s_branch .LBB254_3
.LBB254_228:
	s_cbranch_execz .LBB254_230
	s_branch .LBB254_441
.LBB254_229:
.LBB254_230:
	v_min_i64 v[14:15], 0x10000, s[14:15]
	v_dual_mov_b32 v17, 0 :: v_dual_lshlrev_b32 v16, 2, v0
	s_mov_b32 s2, exec_lo
	s_delay_alu instid0(VALU_DEP_1)
	v_cmpx_lt_i64_e64 v[16:17], v[14:15]
	s_cbranch_execz .LBB254_441
; %bb.231:
	s_load_b32 s2, s[0:1], 0xd44
	v_dual_mov_b32 v1, v17 :: v_dual_lshlrev_b32 v16, 5, v0
	s_wait_xcnt 0x0
	s_add_nc_u64 s[0:1], s[10:11], s[12:13]
	s_mov_b32 s3, 0
	s_mov_b32 s4, s9
	;; [unrolled: 1-line block ×3, first 2 shown]
	v_add_nc_u64_e32 v[18:19], s[0:1], v[16:17]
	s_mov_b32 s12, 0x7fffff
	s_mov_b64 s[6:7], 0xfe5163ab
	s_mov_b32 s13, 0xb94c1982
	s_mov_b32 s14, 0x37d75334
	;; [unrolled: 1-line block ×5, first 2 shown]
	s_wait_kmcnt 0x0
	s_and_b32 s2, s2, 0xffff
	s_delay_alu instid0(SALU_CYCLE_1)
	s_lshl_b32 s10, s2, 5
	s_branch .LBB254_233
.LBB254_232:                            ;   in Loop: Header=BB254_233 Depth=1
	s_or_b32 exec_lo, exec_lo, s0
	v_add_nc_u64_e32 v[0:1], s[2:3], v[0:1]
	s_clause 0x1
	global_store_b128 v[18:19], v[6:9], off
	global_store_b128 v[18:19], v[10:13], off offset:16
	s_wait_xcnt 0x0
	v_add_nc_u64_e32 v[18:19], s[10:11], v[18:19]
	v_lshlrev_b64_e32 v[2:3], 2, v[0:1]
	s_delay_alu instid0(VALU_DEP_1) | instskip(SKIP_1) | instid1(SALU_CYCLE_1)
	v_cmp_ge_i64_e32 vcc_lo, v[2:3], v[14:15]
	s_or_b32 s16, vcc_lo, s16
	s_and_not1_b32 exec_lo, exec_lo, s16
	s_cbranch_execz .LBB254_441
.LBB254_233:                            ; =>This Inner Loop Header: Depth=1
	s_clause 0x1
	global_load_b128 v[8:11], v[18:19], off
	global_load_b128 v[2:5], v[18:19], off offset:16
	s_mov_b32 s0, exec_lo
	s_wait_loadcnt 0x1
	v_and_b32_e32 v12, 0x7fffffff, v9
	v_xor_b32_e32 v7, 0x80000000, v9
	s_wait_xcnt 0x0
	s_delay_alu instid0(VALU_DEP_2)
	v_cmpx_ne_u32_e32 0, v12
	s_xor_b32 s17, exec_lo, s0
	s_cbranch_execz .LBB254_275
; %bb.234:                              ;   in Loop: Header=BB254_233 Depth=1
	v_and_b32_e32 v16, 0x7fffffff, v8
	s_mov_b32 s0, exec_lo
	s_delay_alu instid0(VALU_DEP_1)
	v_cmpx_ne_u32_e32 0, v16
	s_xor_b32 s18, exec_lo, s0
	s_cbranch_execz .LBB254_264
; %bb.235:                              ;   in Loop: Header=BB254_233 Depth=1
	v_xor_b32_e32 v13, 0x80000000, v8
	s_mov_b32 s0, exec_lo
	v_cmpx_gt_u32_e32 0x7f800000, v12
	s_xor_b32 s19, exec_lo, s0
	s_cbranch_execz .LBB254_257
; %bb.236:                              ;   in Loop: Header=BB254_233 Depth=1
	v_add_nc_u32_e32 v6, 0xbd4e8de8, v13
	s_mov_b32 s0, exec_lo
	s_delay_alu instid0(VALU_DEP_1)
	v_cmpx_lt_u32_e32 0x8e8e5c, v6
	s_xor_b32 s20, exec_lo, s0
	s_cbranch_execz .LBB254_246
; %bb.237:                              ;   in Loop: Header=BB254_233 Depth=1
	v_cmp_ngt_f32_e64 s21, 0x48000000, |v9|
                                        ; implicit-def: $vgpr13
                                        ; implicit-def: $vgpr6
	s_and_saveexec_b32 s0, s21
	s_delay_alu instid0(SALU_CYCLE_1)
	s_xor_b32 s22, exec_lo, s0
	s_cbranch_execz .LBB254_239
; %bb.238:                              ;   in Loop: Header=BB254_233 Depth=1
	v_and_or_b32 v16, v12, s12, 0x800000
	v_dual_mov_b32 v31, v17 :: v_dual_lshrrev_b32 v6, 23, v12
	v_mov_b32_e32 v33, v17
	s_delay_alu instid0(VALU_DEP_3) | instskip(NEXT) | instid1(VALU_DEP_1)
	v_mul_u64_e32 v[20:21], s[6:7], v[16:17]
	v_dual_mov_b32 v23, v17 :: v_dual_mov_b32 v22, v21
	s_delay_alu instid0(VALU_DEP_1) | instskip(NEXT) | instid1(VALU_DEP_1)
	v_mad_nc_u64_u32 v[22:23], 0x3c439041, v16, v[22:23]
	v_dual_mov_b32 v25, v17 :: v_dual_mov_b32 v24, v23
	s_delay_alu instid0(VALU_DEP_1) | instskip(NEXT) | instid1(VALU_DEP_1)
	v_mad_nc_u64_u32 v[24:25], 0xdb629599, v16, v[24:25]
	;; [unrolled: 3-line block ×4, first 2 shown]
	v_mov_b32_e32 v30, v29
	s_delay_alu instid0(VALU_DEP_1) | instskip(NEXT) | instid1(VALU_DEP_1)
	v_mad_nc_u64_u32 v[30:31], 0x4e441529, v16, v[30:31]
	v_mov_b32_e32 v32, v31
	s_delay_alu instid0(VALU_DEP_1) | instskip(SKIP_1) | instid1(VALU_DEP_1)
	v_mad_nc_u64_u32 v[32:33], 0xa2f9836e, v16, v[32:33]
	v_add_nc_u32_e32 v6, 0xffffff88, v6
	v_cmp_lt_u32_e32 vcc_lo, 63, v6
	v_cndmask_b32_e64 v13, 0, 0xffffffc0, vcc_lo
	s_delay_alu instid0(VALU_DEP_4) | instskip(NEXT) | instid1(VALU_DEP_2)
	v_cndmask_b32_e32 v21, v32, v28, vcc_lo
	v_dual_cndmask_b32 v25, v28, v24 :: v_dual_add_nc_u32 v6, v13, v6
	s_delay_alu instid0(VALU_DEP_1) | instskip(SKIP_2) | instid1(VALU_DEP_3)
	v_cmp_lt_u32_e64 s0, 31, v6
	v_cndmask_b32_e32 v23, v33, v30, vcc_lo
	v_cndmask_b32_e32 v16, v30, v26, vcc_lo
	v_cndmask_b32_e64 v13, 0, 0xffffffe0, s0
	s_delay_alu instid0(VALU_DEP_1) | instskip(NEXT) | instid1(VALU_DEP_1)
	v_add_nc_u32_e32 v6, v13, v6
	v_cmp_lt_u32_e64 s1, 31, v6
	s_delay_alu instid0(VALU_DEP_1) | instskip(NEXT) | instid1(VALU_DEP_1)
	v_cndmask_b32_e64 v13, 0, 0xffffffe0, s1
	v_add_nc_u32_e32 v6, v13, v6
	v_dual_cndmask_b32 v13, v26, v22, vcc_lo :: v_dual_cndmask_b32 v22, v21, v16, s0
	v_cndmask_b32_e64 v21, v23, v21, s0
	v_cndmask_b32_e64 v16, v16, v25, s0
	s_delay_alu instid0(VALU_DEP_3) | instskip(NEXT) | instid1(VALU_DEP_2)
	v_cndmask_b32_e64 v25, v25, v13, s0
	v_dual_cndmask_b32 v21, v21, v22, s1 :: v_dual_cndmask_b32 v22, v22, v16, s1
	s_delay_alu instid0(VALU_DEP_2) | instskip(NEXT) | instid1(VALU_DEP_1)
	v_dual_sub_nc_u32 v23, 32, v6 :: v_dual_cndmask_b32 v16, v16, v25, s1
	v_alignbit_b32 v26, v21, v22, v23
	v_cndmask_b32_e32 v20, v24, v20, vcc_lo
	v_cmp_eq_u32_e32 vcc_lo, 0, v6
	s_delay_alu instid0(VALU_DEP_4) | instskip(NEXT) | instid1(VALU_DEP_3)
	v_alignbit_b32 v24, v22, v16, v23
	v_dual_cndmask_b32 v6, v26, v21, vcc_lo :: v_dual_cndmask_b32 v13, v13, v20, s0
	s_delay_alu instid0(VALU_DEP_2) | instskip(NEXT) | instid1(VALU_DEP_2)
	v_cndmask_b32_e32 v20, v24, v22, vcc_lo
	v_bfe_u32 v21, v6, 29, 1
	s_delay_alu instid0(VALU_DEP_2) | instskip(NEXT) | instid1(VALU_DEP_2)
	v_alignbit_b32 v22, v6, v20, 30
	v_sub_nc_u32_e32 v24, 0, v21
	s_delay_alu instid0(VALU_DEP_1) | instskip(NEXT) | instid1(VALU_DEP_1)
	v_dual_cndmask_b32 v13, v25, v13, s1 :: v_dual_bitop2_b32 v22, v22, v24 bitop3:0x14
	v_alignbit_b32 v23, v16, v13, v23
	s_delay_alu instid0(VALU_DEP_1) | instskip(NEXT) | instid1(VALU_DEP_3)
	v_cndmask_b32_e32 v16, v23, v16, vcc_lo
	v_clz_i32_u32_e32 v23, v22
	s_delay_alu instid0(VALU_DEP_2) | instskip(NEXT) | instid1(VALU_DEP_2)
	v_alignbit_b32 v20, v20, v16, 30
	v_min_u32_e32 v23, 32, v23
	v_alignbit_b32 v13, v16, v13, 30
	s_delay_alu instid0(VALU_DEP_2) | instskip(NEXT) | instid1(VALU_DEP_2)
	v_dual_sub_nc_u32 v20, 31, v23 :: v_dual_bitop2_b32 v16, v20, v24 bitop3:0x14
	v_dual_lshrrev_b32 v24, 29, v6 :: v_dual_bitop2_b32 v13, v13, v24 bitop3:0x14
	v_lshlrev_b32_e32 v25, 23, v23
	s_delay_alu instid0(VALU_DEP_3) | instskip(NEXT) | instid1(VALU_DEP_3)
	v_alignbit_b32 v22, v22, v16, v20
	v_alignbit_b32 v13, v16, v13, v20
	s_delay_alu instid0(VALU_DEP_4) | instskip(NEXT) | instid1(VALU_DEP_2)
	v_lshlrev_b32_e32 v16, 31, v24
	v_alignbit_b32 v20, v22, v13, 9
	s_delay_alu instid0(VALU_DEP_2) | instskip(SKIP_1) | instid1(VALU_DEP_3)
	v_dual_lshrrev_b32 v22, 9, v22 :: v_dual_bitop2_b32 v24, 0.5, v16 bitop3:0x54
	v_or_b32_e32 v16, 0x33000000, v16
	v_clz_i32_u32_e32 v26, v20
	s_delay_alu instid0(VALU_DEP_3) | instskip(NEXT) | instid1(VALU_DEP_2)
	v_sub_nc_u32_e32 v24, v24, v25
	v_min_u32_e32 v25, 32, v26
	s_delay_alu instid0(VALU_DEP_1) | instskip(NEXT) | instid1(VALU_DEP_3)
	v_add_lshl_u32 v23, v25, v23, 23
	v_or_b32_e32 v22, v22, v24
	v_not_b32_e32 v24, v25
	s_delay_alu instid0(VALU_DEP_3) | instskip(NEXT) | instid1(VALU_DEP_2)
	v_sub_nc_u32_e32 v16, v16, v23
	v_alignbit_b32 v13, v20, v13, v24
	s_delay_alu instid0(VALU_DEP_1) | instskip(NEXT) | instid1(VALU_DEP_1)
	v_dual_mul_f32 v26, 0x3fc90fda, v22 :: v_dual_lshrrev_b32 v13, 9, v13
	v_fma_f32 v20, 0x3fc90fda, v22, -v26
	s_delay_alu instid0(VALU_DEP_2) | instskip(NEXT) | instid1(VALU_DEP_2)
	v_or_b32_e32 v13, v16, v13
	v_fmac_f32_e32 v20, 0x33a22168, v22
	s_delay_alu instid0(VALU_DEP_1) | instskip(NEXT) | instid1(VALU_DEP_1)
	v_dual_fmac_f32 v20, 0x3fc90fda, v13 :: v_dual_lshrrev_b32 v13, 30, v6
	v_dual_add_f32 v6, v26, v20 :: v_dual_add_nc_u32 v13, v21, v13
	s_and_not1_saveexec_b32 s0, s22
	s_branch .LBB254_240
.LBB254_239:                            ;   in Loop: Header=BB254_233 Depth=1
	s_and_not1_saveexec_b32 s0, s22
.LBB254_240:                            ;   in Loop: Header=BB254_233 Depth=1
	v_mul_f32_e64 v6, 0x3f22f983, |v9|
	s_delay_alu instid0(VALU_DEP_1) | instskip(NEXT) | instid1(VALU_DEP_1)
	v_rndne_f32_e32 v13, v6
	v_fma_f32 v6, 0xbfc90fda, v13, |v9|
	s_delay_alu instid0(VALU_DEP_1) | instskip(NEXT) | instid1(VALU_DEP_1)
	v_fmac_f32_e32 v6, 0xb3a22168, v13
	v_fmac_f32_e32 v6, 0xa7c234c4, v13
	v_cvt_i32_f32_e32 v13, v13
; %bb.241:                              ;   in Loop: Header=BB254_233 Depth=1
	s_or_b32 exec_lo, exec_lo, s0
                                        ; implicit-def: $vgpr20
                                        ; implicit-def: $vgpr16
	s_and_saveexec_b32 s0, s21
	s_delay_alu instid0(SALU_CYCLE_1)
	s_xor_b32 s21, exec_lo, s0
	s_cbranch_execz .LBB254_243
; %bb.242:                              ;   in Loop: Header=BB254_233 Depth=1
	v_and_or_b32 v16, v12, s12, 0x800000
	v_dual_mov_b32 v31, v17 :: v_dual_mov_b32 v33, v17
	s_delay_alu instid0(VALU_DEP_2) | instskip(NEXT) | instid1(VALU_DEP_1)
	v_mul_u64_e32 v[20:21], s[6:7], v[16:17]
	v_dual_mov_b32 v23, v17 :: v_dual_mov_b32 v22, v21
	v_lshrrev_b32_e32 v21, 23, v12
	s_delay_alu instid0(VALU_DEP_2) | instskip(SKIP_1) | instid1(VALU_DEP_3)
	v_mad_nc_u64_u32 v[22:23], 0x3c439041, v16, v[22:23]
	v_mov_b32_e32 v25, v17
	v_add_nc_u32_e32 v21, 0xffffff88, v21
	s_delay_alu instid0(VALU_DEP_1) | instskip(NEXT) | instid1(VALU_DEP_4)
	v_cmp_lt_u32_e32 vcc_lo, 63, v21
	v_mov_b32_e32 v24, v23
	v_cndmask_b32_e64 v23, 0, 0xffffffc0, vcc_lo
	s_delay_alu instid0(VALU_DEP_2) | instskip(NEXT) | instid1(VALU_DEP_2)
	v_mad_nc_u64_u32 v[24:25], 0xdb629599, v16, v[24:25]
	v_dual_mov_b32 v27, v17 :: v_dual_add_nc_u32 v21, v23, v21
	s_delay_alu instid0(VALU_DEP_1) | instskip(NEXT) | instid1(VALU_DEP_3)
	v_cmp_lt_u32_e64 s0, 31, v21
	v_mov_b32_e32 v26, v25
	s_delay_alu instid0(VALU_DEP_2) | instskip(SKIP_1) | instid1(VALU_DEP_3)
	v_cndmask_b32_e64 v23, 0, 0xffffffe0, s0
	v_cndmask_b32_e32 v20, v24, v20, vcc_lo
	v_mad_nc_u64_u32 v[26:27], 0xf534ddc0, v16, v[26:27]
	s_delay_alu instid0(VALU_DEP_1) | instskip(NEXT) | instid1(VALU_DEP_1)
	v_dual_mov_b32 v29, v17 :: v_dual_mov_b32 v28, v27
	v_mad_nc_u64_u32 v[28:29], 0xfc2757d1, v16, v[28:29]
	s_delay_alu instid0(VALU_DEP_1) | instskip(NEXT) | instid1(VALU_DEP_1)
	v_mov_b32_e32 v30, v29
	v_mad_nc_u64_u32 v[30:31], 0x4e441529, v16, v[30:31]
	s_delay_alu instid0(VALU_DEP_1) | instskip(NEXT) | instid1(VALU_DEP_1)
	v_mov_b32_e32 v32, v31
	v_mad_nc_u64_u32 v[32:33], 0xa2f9836e, v16, v[32:33]
	s_delay_alu instid0(VALU_DEP_3) | instskip(NEXT) | instid1(VALU_DEP_2)
	v_dual_cndmask_b32 v23, v30, v26 :: v_dual_add_nc_u32 v16, v23, v21
	v_cndmask_b32_e32 v25, v32, v28, vcc_lo
	s_delay_alu instid0(VALU_DEP_2) | instskip(NEXT) | instid1(VALU_DEP_4)
	v_cmp_lt_u32_e64 s1, 31, v16
	v_dual_cndmask_b32 v27, v33, v30 :: v_dual_cndmask_b32 v28, v28, v24
	s_delay_alu instid0(VALU_DEP_2) | instskip(NEXT) | instid1(VALU_DEP_1)
	v_cndmask_b32_e64 v21, 0, 0xffffffe0, s1
	v_dual_cndmask_b32 v21, v26, v22 :: v_dual_add_nc_u32 v16, v21, v16
	s_delay_alu instid0(VALU_DEP_3) | instskip(NEXT) | instid1(VALU_DEP_4)
	v_dual_cndmask_b32 v22, v25, v23, s0 :: v_dual_cndmask_b32 v25, v27, v25, s0
	v_cndmask_b32_e64 v23, v23, v28, s0
	s_delay_alu instid0(VALU_DEP_3) | instskip(SKIP_1) | instid1(VALU_DEP_3)
	v_dual_sub_nc_u32 v26, 32, v16 :: v_dual_cndmask_b32 v27, v28, v21, s0
	v_cmp_eq_u32_e32 vcc_lo, 0, v16
	v_dual_cndmask_b32 v25, v25, v22, s1 :: v_dual_cndmask_b32 v22, v22, v23, s1
	s_delay_alu instid0(VALU_DEP_1) | instskip(NEXT) | instid1(VALU_DEP_1)
	v_alignbit_b32 v28, v25, v22, v26
	v_dual_cndmask_b32 v23, v23, v27, s1 :: v_dual_cndmask_b32 v16, v28, v25, vcc_lo
	s_delay_alu instid0(VALU_DEP_1) | instskip(NEXT) | instid1(VALU_DEP_1)
	v_alignbit_b32 v24, v22, v23, v26
	v_dual_cndmask_b32 v20, v21, v20, s0 :: v_dual_cndmask_b32 v21, v24, v22, vcc_lo
	s_delay_alu instid0(VALU_DEP_3) | instskip(NEXT) | instid1(VALU_DEP_2)
	v_bfe_u32 v22, v16, 29, 1
	v_cndmask_b32_e64 v20, v27, v20, s1
	s_delay_alu instid0(VALU_DEP_3) | instskip(NEXT) | instid1(VALU_DEP_3)
	v_alignbit_b32 v24, v16, v21, 30
	v_sub_nc_u32_e32 v25, 0, v22
	s_delay_alu instid0(VALU_DEP_3) | instskip(NEXT) | instid1(VALU_DEP_1)
	v_alignbit_b32 v26, v23, v20, v26
	v_dual_cndmask_b32 v23, v26, v23, vcc_lo :: v_dual_bitop2_b32 v24, v24, v25 bitop3:0x14
	s_delay_alu instid0(VALU_DEP_1) | instskip(NEXT) | instid1(VALU_DEP_2)
	v_clz_i32_u32_e32 v26, v24
	v_alignbit_b32 v21, v21, v23, 30
	v_alignbit_b32 v20, v23, v20, 30
	s_delay_alu instid0(VALU_DEP_3) | instskip(NEXT) | instid1(VALU_DEP_3)
	v_min_u32_e32 v26, 32, v26
	v_xor_b32_e32 v21, v21, v25
	s_delay_alu instid0(VALU_DEP_3) | instskip(NEXT) | instid1(VALU_DEP_3)
	v_dual_lshrrev_b32 v25, 29, v16 :: v_dual_bitop2_b32 v20, v20, v25 bitop3:0x14
	v_dual_sub_nc_u32 v23, 31, v26 :: v_dual_lshlrev_b32 v27, 23, v26
	s_delay_alu instid0(VALU_DEP_1) | instskip(NEXT) | instid1(VALU_DEP_3)
	v_alignbit_b32 v24, v24, v21, v23
	v_alignbit_b32 v20, v21, v20, v23
	s_delay_alu instid0(VALU_DEP_4) | instskip(NEXT) | instid1(VALU_DEP_2)
	v_lshlrev_b32_e32 v21, 31, v25
	v_alignbit_b32 v23, v24, v20, 9
	s_delay_alu instid0(VALU_DEP_2) | instskip(SKIP_1) | instid1(VALU_DEP_3)
	v_dual_lshrrev_b32 v24, 9, v24 :: v_dual_bitop2_b32 v25, 0.5, v21 bitop3:0x54
	v_or_b32_e32 v21, 0x33000000, v21
	v_clz_i32_u32_e32 v28, v23
	s_delay_alu instid0(VALU_DEP_3) | instskip(NEXT) | instid1(VALU_DEP_2)
	v_sub_nc_u32_e32 v25, v25, v27
	v_min_u32_e32 v27, 32, v28
	s_delay_alu instid0(VALU_DEP_1) | instskip(NEXT) | instid1(VALU_DEP_3)
	v_add_lshl_u32 v26, v27, v26, 23
	v_or_b32_e32 v24, v24, v25
	v_not_b32_e32 v25, v27
	s_delay_alu instid0(VALU_DEP_2) | instskip(NEXT) | instid1(VALU_DEP_2)
	v_dual_mul_f32 v28, 0x3fc90fda, v24 :: v_dual_sub_nc_u32 v21, v21, v26
	v_alignbit_b32 v20, v23, v20, v25
	s_delay_alu instid0(VALU_DEP_2) | instskip(NEXT) | instid1(VALU_DEP_2)
	v_fma_f32 v23, 0x3fc90fda, v24, -v28
	v_lshrrev_b32_e32 v20, 9, v20
	s_delay_alu instid0(VALU_DEP_2) | instskip(NEXT) | instid1(VALU_DEP_2)
	v_fmac_f32_e32 v23, 0x33a22168, v24
	v_or_b32_e32 v20, v21, v20
	s_delay_alu instid0(VALU_DEP_1) | instskip(SKIP_1) | instid1(VALU_DEP_1)
	v_fmac_f32_e32 v23, 0x3fc90fda, v20
	v_lshrrev_b32_e32 v20, 30, v16
	v_dual_add_nc_u32 v20, v22, v20 :: v_dual_add_f32 v16, v28, v23
	s_and_not1_saveexec_b32 s0, s21
	s_cbranch_execnz .LBB254_244
	s_branch .LBB254_245
.LBB254_243:                            ;   in Loop: Header=BB254_233 Depth=1
	s_and_not1_saveexec_b32 s0, s21
.LBB254_244:                            ;   in Loop: Header=BB254_233 Depth=1
	v_mul_f32_e64 v16, 0x3f22f983, |v9|
	s_delay_alu instid0(VALU_DEP_1) | instskip(NEXT) | instid1(VALU_DEP_1)
	v_rndne_f32_e32 v20, v16
	v_fma_f32 v16, 0xbfc90fda, v20, |v9|
	s_delay_alu instid0(VALU_DEP_1) | instskip(NEXT) | instid1(VALU_DEP_1)
	v_fmac_f32_e32 v16, 0xb3a22168, v20
	v_fmac_f32_e32 v16, 0xa7c234c4, v20
	v_cvt_i32_f32_e32 v20, v20
.LBB254_245:                            ;   in Loop: Header=BB254_233 Depth=1
	s_or_b32 exec_lo, exec_lo, s0
	s_delay_alu instid0(VALU_DEP_1) | instskip(SKIP_2) | instid1(VALU_DEP_3)
	v_dual_mul_f32 v24, v16, v16 :: v_dual_bitop2_b32 v23, 1, v13 bitop3:0x40
	v_dual_mul_f32 v21, 0xbfb8aa3b, v8 :: v_dual_mul_f32 v22, v6, v6
	v_cmp_ngt_f32_e64 s0, 0xc2b17218, v8
	v_cmp_eq_u32_e32 vcc_lo, 0, v23
	s_delay_alu instid0(VALU_DEP_4) | instskip(NEXT) | instid1(VALU_DEP_4)
	v_fmaak_f32 v29, s13, v24, 0x3c0881c4
	v_rndne_f32_e32 v25, v21
	v_fmaak_f32 v28, s14, v22, 0xbab64f3b
	v_fma_f32 v26, 0xbfb8aa3b, v8, -v21
	v_lshlrev_b32_e32 v13, 30, v13
	v_fmaak_f32 v29, v24, v29, 0xbe2aaa9d
	s_delay_alu instid0(VALU_DEP_4) | instskip(SKIP_1) | instid1(VALU_DEP_3)
	v_dual_sub_f32 v21, v21, v25 :: v_dual_fmaak_f32 v28, v22, v28, 0x3d2aabf7
	v_cvt_i32_f32_e32 v25, v25
	v_mul_f32_e32 v29, v24, v29
	v_fmaak_f32 v27, s13, v22, 0x3c0881c4
	s_delay_alu instid0(VALU_DEP_4) | instskip(NEXT) | instid1(VALU_DEP_2)
	v_fmaak_f32 v28, v22, v28, 0xbf000004
	v_dual_fmac_f32 v16, v16, v29 :: v_dual_fmaak_f32 v27, v22, v27, 0xbe2aaa9d
	s_delay_alu instid0(VALU_DEP_1) | instskip(NEXT) | instid1(VALU_DEP_1)
	v_dual_fmac_f32 v26, 0xb2a5705f, v8 :: v_dual_mul_f32 v27, v22, v27
	v_dual_fmaak_f32 v30, s14, v24, 0xbab64f3b :: v_dual_add_f32 v21, v21, v26
	s_delay_alu instid0(VALU_DEP_4) | instskip(NEXT) | instid1(VALU_DEP_3)
	v_fma_f32 v22, v22, v28, 1.0
	v_fmac_f32_e32 v6, v6, v27
	s_delay_alu instid0(VALU_DEP_3) | instskip(NEXT) | instid1(VALU_DEP_4)
	v_fmaak_f32 v26, v24, v30, 0x3d2aabf7
	v_exp_f32_e32 v21, v21
	s_delay_alu instid0(VALU_DEP_2) | instskip(NEXT) | instid1(VALU_DEP_2)
	v_cndmask_b32_e64 v6, -v6, v22, vcc_lo
	v_fmaak_f32 v26, v24, v26, 0xbf000004
	s_delay_alu instid0(TRANS32_DEP_1) | instskip(SKIP_1) | instid1(VALU_DEP_3)
	v_ldexp_f32 v21, v21, v25
	v_and_b32_e32 v25, 1, v20
	v_fma_f32 v24, v24, v26, 1.0
	v_lshlrev_b32_e32 v20, 30, v20
	v_bitop3_b32 v6, v13, v6, 0x80000000 bitop3:0x6c
	s_delay_alu instid0(VALU_DEP_4) | instskip(NEXT) | instid1(VALU_DEP_3)
	v_cmp_eq_u32_e32 vcc_lo, 0, v25
	v_and_or_b32 v12, 0x80000000, v20, v12
	v_cndmask_b32_e32 v16, v24, v16, vcc_lo
	v_cmp_nlt_f32_e32 vcc_lo, 0x42ce8ed0, v8
	s_delay_alu instid0(VALU_DEP_2) | instskip(SKIP_2) | instid1(VALU_DEP_2)
	v_xor3_b32 v7, v12, v16, v7
	v_cndmask_b32_e32 v20, 0, v21, vcc_lo
	v_cmp_class_f32_e64 vcc_lo, v9, 0x1f8
	v_cndmask_b32_e64 v12, 0x7f800000, v20, s0
	v_cndmask_b32_e32 v6, 0x7fc00000, v6, vcc_lo
	s_delay_alu instid0(VALU_DEP_1) | instskip(NEXT) | instid1(VALU_DEP_1)
	v_dual_cndmask_b32 v7, 0x7fc00000, v7 :: v_dual_mul_f32 v6, v12, v6
	v_mul_f32_e32 v7, v12, v7
                                        ; implicit-def: $vgpr12
.LBB254_246:                            ;   in Loop: Header=BB254_233 Depth=1
	s_and_not1_saveexec_b32 s20, s20
	s_cbranch_execz .LBB254_249
; %bb.247:                              ;   in Loop: Header=BB254_233 Depth=1
	v_cmp_ngt_f32_e64 s21, 0x48000000, |v9|
                                        ; implicit-def: $vgpr13
                                        ; implicit-def: $vgpr6
	s_and_saveexec_b32 s0, s21
	s_delay_alu instid0(SALU_CYCLE_1)
	s_xor_b32 s22, exec_lo, s0
	s_cbranch_execz .LBB254_250
; %bb.248:                              ;   in Loop: Header=BB254_233 Depth=1
	v_and_or_b32 v16, v12, s12, 0x800000
	v_dual_mov_b32 v31, v17 :: v_dual_lshrrev_b32 v6, 23, v12
	v_mov_b32_e32 v33, v17
	s_delay_alu instid0(VALU_DEP_3) | instskip(NEXT) | instid1(VALU_DEP_1)
	v_mul_u64_e32 v[20:21], s[6:7], v[16:17]
	v_dual_mov_b32 v23, v17 :: v_dual_mov_b32 v22, v21
	s_delay_alu instid0(VALU_DEP_1) | instskip(NEXT) | instid1(VALU_DEP_1)
	v_mad_nc_u64_u32 v[22:23], 0x3c439041, v16, v[22:23]
	v_dual_mov_b32 v25, v17 :: v_dual_mov_b32 v24, v23
	s_delay_alu instid0(VALU_DEP_1) | instskip(NEXT) | instid1(VALU_DEP_1)
	v_mad_nc_u64_u32 v[24:25], 0xdb629599, v16, v[24:25]
	;; [unrolled: 3-line block ×4, first 2 shown]
	v_mov_b32_e32 v30, v29
	s_delay_alu instid0(VALU_DEP_1) | instskip(NEXT) | instid1(VALU_DEP_1)
	v_mad_nc_u64_u32 v[30:31], 0x4e441529, v16, v[30:31]
	v_mov_b32_e32 v32, v31
	s_delay_alu instid0(VALU_DEP_1) | instskip(SKIP_1) | instid1(VALU_DEP_1)
	v_mad_nc_u64_u32 v[32:33], 0xa2f9836e, v16, v[32:33]
	v_add_nc_u32_e32 v6, 0xffffff88, v6
	v_cmp_lt_u32_e32 vcc_lo, 63, v6
	v_cndmask_b32_e64 v13, 0, 0xffffffc0, vcc_lo
	s_delay_alu instid0(VALU_DEP_4) | instskip(NEXT) | instid1(VALU_DEP_2)
	v_cndmask_b32_e32 v21, v32, v28, vcc_lo
	v_dual_cndmask_b32 v25, v28, v24 :: v_dual_add_nc_u32 v6, v13, v6
	s_delay_alu instid0(VALU_DEP_1) | instskip(SKIP_2) | instid1(VALU_DEP_3)
	v_cmp_lt_u32_e64 s0, 31, v6
	v_cndmask_b32_e32 v23, v33, v30, vcc_lo
	v_cndmask_b32_e32 v16, v30, v26, vcc_lo
	v_cndmask_b32_e64 v13, 0, 0xffffffe0, s0
	s_delay_alu instid0(VALU_DEP_1) | instskip(NEXT) | instid1(VALU_DEP_1)
	v_add_nc_u32_e32 v6, v13, v6
	v_cmp_lt_u32_e64 s1, 31, v6
	s_delay_alu instid0(VALU_DEP_1) | instskip(NEXT) | instid1(VALU_DEP_1)
	v_cndmask_b32_e64 v13, 0, 0xffffffe0, s1
	v_add_nc_u32_e32 v6, v13, v6
	v_dual_cndmask_b32 v13, v26, v22, vcc_lo :: v_dual_cndmask_b32 v22, v21, v16, s0
	v_cndmask_b32_e64 v21, v23, v21, s0
	v_cndmask_b32_e64 v16, v16, v25, s0
	s_delay_alu instid0(VALU_DEP_3) | instskip(NEXT) | instid1(VALU_DEP_2)
	v_cndmask_b32_e64 v25, v25, v13, s0
	v_dual_cndmask_b32 v21, v21, v22, s1 :: v_dual_cndmask_b32 v22, v22, v16, s1
	s_delay_alu instid0(VALU_DEP_2) | instskip(NEXT) | instid1(VALU_DEP_1)
	v_dual_sub_nc_u32 v23, 32, v6 :: v_dual_cndmask_b32 v16, v16, v25, s1
	v_alignbit_b32 v26, v21, v22, v23
	v_cndmask_b32_e32 v20, v24, v20, vcc_lo
	v_cmp_eq_u32_e32 vcc_lo, 0, v6
	s_delay_alu instid0(VALU_DEP_4) | instskip(NEXT) | instid1(VALU_DEP_3)
	v_alignbit_b32 v24, v22, v16, v23
	v_dual_cndmask_b32 v6, v26, v21, vcc_lo :: v_dual_cndmask_b32 v13, v13, v20, s0
	s_delay_alu instid0(VALU_DEP_2) | instskip(NEXT) | instid1(VALU_DEP_2)
	v_cndmask_b32_e32 v20, v24, v22, vcc_lo
	v_bfe_u32 v21, v6, 29, 1
	s_delay_alu instid0(VALU_DEP_2) | instskip(NEXT) | instid1(VALU_DEP_2)
	v_alignbit_b32 v22, v6, v20, 30
	v_sub_nc_u32_e32 v24, 0, v21
	s_delay_alu instid0(VALU_DEP_1) | instskip(NEXT) | instid1(VALU_DEP_1)
	v_dual_cndmask_b32 v13, v25, v13, s1 :: v_dual_bitop2_b32 v22, v22, v24 bitop3:0x14
	v_alignbit_b32 v23, v16, v13, v23
	s_delay_alu instid0(VALU_DEP_1) | instskip(NEXT) | instid1(VALU_DEP_3)
	v_cndmask_b32_e32 v16, v23, v16, vcc_lo
	v_clz_i32_u32_e32 v23, v22
	s_delay_alu instid0(VALU_DEP_2) | instskip(NEXT) | instid1(VALU_DEP_2)
	v_alignbit_b32 v20, v20, v16, 30
	v_min_u32_e32 v23, 32, v23
	v_alignbit_b32 v13, v16, v13, 30
	s_delay_alu instid0(VALU_DEP_2) | instskip(NEXT) | instid1(VALU_DEP_2)
	v_dual_sub_nc_u32 v20, 31, v23 :: v_dual_bitop2_b32 v16, v20, v24 bitop3:0x14
	v_dual_lshrrev_b32 v24, 29, v6 :: v_dual_bitop2_b32 v13, v13, v24 bitop3:0x14
	v_lshlrev_b32_e32 v25, 23, v23
	s_delay_alu instid0(VALU_DEP_3) | instskip(NEXT) | instid1(VALU_DEP_3)
	v_alignbit_b32 v22, v22, v16, v20
	v_alignbit_b32 v13, v16, v13, v20
	s_delay_alu instid0(VALU_DEP_4) | instskip(NEXT) | instid1(VALU_DEP_2)
	v_lshlrev_b32_e32 v16, 31, v24
	v_alignbit_b32 v20, v22, v13, 9
	s_delay_alu instid0(VALU_DEP_2) | instskip(SKIP_1) | instid1(VALU_DEP_3)
	v_dual_lshrrev_b32 v22, 9, v22 :: v_dual_bitop2_b32 v24, 0.5, v16 bitop3:0x54
	v_or_b32_e32 v16, 0x33000000, v16
	v_clz_i32_u32_e32 v26, v20
	s_delay_alu instid0(VALU_DEP_3) | instskip(NEXT) | instid1(VALU_DEP_2)
	v_sub_nc_u32_e32 v24, v24, v25
	v_min_u32_e32 v25, 32, v26
	s_delay_alu instid0(VALU_DEP_1) | instskip(NEXT) | instid1(VALU_DEP_3)
	v_add_lshl_u32 v23, v25, v23, 23
	v_or_b32_e32 v22, v22, v24
	v_not_b32_e32 v24, v25
	s_delay_alu instid0(VALU_DEP_3) | instskip(NEXT) | instid1(VALU_DEP_2)
	v_sub_nc_u32_e32 v16, v16, v23
	v_alignbit_b32 v13, v20, v13, v24
	s_delay_alu instid0(VALU_DEP_1) | instskip(NEXT) | instid1(VALU_DEP_1)
	v_dual_mul_f32 v26, 0x3fc90fda, v22 :: v_dual_lshrrev_b32 v13, 9, v13
	v_fma_f32 v20, 0x3fc90fda, v22, -v26
	s_delay_alu instid0(VALU_DEP_2) | instskip(NEXT) | instid1(VALU_DEP_2)
	v_or_b32_e32 v13, v16, v13
	v_fmac_f32_e32 v20, 0x33a22168, v22
	s_delay_alu instid0(VALU_DEP_1) | instskip(NEXT) | instid1(VALU_DEP_1)
	v_dual_fmac_f32 v20, 0x3fc90fda, v13 :: v_dual_lshrrev_b32 v13, 30, v6
	v_dual_add_f32 v6, v26, v20 :: v_dual_add_nc_u32 v13, v21, v13
	s_and_not1_saveexec_b32 s0, s22
	s_branch .LBB254_251
.LBB254_249:                            ;   in Loop: Header=BB254_233 Depth=1
	s_or_b32 exec_lo, exec_lo, s20
                                        ; implicit-def: $vgpr13
                                        ; implicit-def: $vgpr16
	s_and_not1_saveexec_b32 s0, s19
	s_cbranch_execnz .LBB254_258
	s_branch .LBB254_263
.LBB254_250:                            ;   in Loop: Header=BB254_233 Depth=1
	s_and_not1_saveexec_b32 s0, s22
.LBB254_251:                            ;   in Loop: Header=BB254_233 Depth=1
	v_mul_f32_e64 v6, 0x3f22f983, |v9|
	s_delay_alu instid0(VALU_DEP_1) | instskip(NEXT) | instid1(VALU_DEP_1)
	v_rndne_f32_e32 v13, v6
	v_fma_f32 v6, 0xbfc90fda, v13, |v9|
	s_delay_alu instid0(VALU_DEP_1) | instskip(NEXT) | instid1(VALU_DEP_1)
	v_fmac_f32_e32 v6, 0xb3a22168, v13
	v_fmac_f32_e32 v6, 0xa7c234c4, v13
	v_cvt_i32_f32_e32 v13, v13
; %bb.252:                              ;   in Loop: Header=BB254_233 Depth=1
	s_or_b32 exec_lo, exec_lo, s0
                                        ; implicit-def: $vgpr20
                                        ; implicit-def: $vgpr16
	s_and_saveexec_b32 s0, s21
	s_delay_alu instid0(SALU_CYCLE_1)
	s_xor_b32 s21, exec_lo, s0
	s_cbranch_execz .LBB254_254
; %bb.253:                              ;   in Loop: Header=BB254_233 Depth=1
	v_and_or_b32 v16, v12, s12, 0x800000
	v_dual_mov_b32 v31, v17 :: v_dual_mov_b32 v33, v17
	s_delay_alu instid0(VALU_DEP_2) | instskip(NEXT) | instid1(VALU_DEP_1)
	v_mul_u64_e32 v[20:21], s[6:7], v[16:17]
	v_dual_mov_b32 v23, v17 :: v_dual_mov_b32 v22, v21
	v_lshrrev_b32_e32 v21, 23, v12
	s_delay_alu instid0(VALU_DEP_2) | instskip(SKIP_1) | instid1(VALU_DEP_3)
	v_mad_nc_u64_u32 v[22:23], 0x3c439041, v16, v[22:23]
	v_mov_b32_e32 v25, v17
	v_add_nc_u32_e32 v21, 0xffffff88, v21
	s_delay_alu instid0(VALU_DEP_1) | instskip(NEXT) | instid1(VALU_DEP_4)
	v_cmp_lt_u32_e32 vcc_lo, 63, v21
	v_mov_b32_e32 v24, v23
	v_cndmask_b32_e64 v23, 0, 0xffffffc0, vcc_lo
	s_delay_alu instid0(VALU_DEP_2) | instskip(NEXT) | instid1(VALU_DEP_2)
	v_mad_nc_u64_u32 v[24:25], 0xdb629599, v16, v[24:25]
	v_dual_mov_b32 v27, v17 :: v_dual_add_nc_u32 v21, v23, v21
	s_delay_alu instid0(VALU_DEP_1) | instskip(NEXT) | instid1(VALU_DEP_3)
	v_cmp_lt_u32_e64 s0, 31, v21
	v_mov_b32_e32 v26, v25
	s_delay_alu instid0(VALU_DEP_2) | instskip(SKIP_1) | instid1(VALU_DEP_3)
	v_cndmask_b32_e64 v23, 0, 0xffffffe0, s0
	v_cndmask_b32_e32 v20, v24, v20, vcc_lo
	v_mad_nc_u64_u32 v[26:27], 0xf534ddc0, v16, v[26:27]
	s_delay_alu instid0(VALU_DEP_1) | instskip(NEXT) | instid1(VALU_DEP_1)
	v_dual_mov_b32 v29, v17 :: v_dual_mov_b32 v28, v27
	v_mad_nc_u64_u32 v[28:29], 0xfc2757d1, v16, v[28:29]
	s_delay_alu instid0(VALU_DEP_1) | instskip(NEXT) | instid1(VALU_DEP_1)
	v_mov_b32_e32 v30, v29
	v_mad_nc_u64_u32 v[30:31], 0x4e441529, v16, v[30:31]
	s_delay_alu instid0(VALU_DEP_1) | instskip(NEXT) | instid1(VALU_DEP_1)
	v_mov_b32_e32 v32, v31
	v_mad_nc_u64_u32 v[32:33], 0xa2f9836e, v16, v[32:33]
	s_delay_alu instid0(VALU_DEP_3) | instskip(NEXT) | instid1(VALU_DEP_2)
	v_dual_cndmask_b32 v23, v30, v26 :: v_dual_add_nc_u32 v16, v23, v21
	v_cndmask_b32_e32 v25, v32, v28, vcc_lo
	s_delay_alu instid0(VALU_DEP_2) | instskip(NEXT) | instid1(VALU_DEP_4)
	v_cmp_lt_u32_e64 s1, 31, v16
	v_dual_cndmask_b32 v27, v33, v30 :: v_dual_cndmask_b32 v28, v28, v24
	s_delay_alu instid0(VALU_DEP_2) | instskip(NEXT) | instid1(VALU_DEP_1)
	v_cndmask_b32_e64 v21, 0, 0xffffffe0, s1
	v_dual_cndmask_b32 v21, v26, v22 :: v_dual_add_nc_u32 v16, v21, v16
	s_delay_alu instid0(VALU_DEP_3) | instskip(NEXT) | instid1(VALU_DEP_4)
	v_dual_cndmask_b32 v22, v25, v23, s0 :: v_dual_cndmask_b32 v25, v27, v25, s0
	v_cndmask_b32_e64 v23, v23, v28, s0
	s_delay_alu instid0(VALU_DEP_3) | instskip(SKIP_1) | instid1(VALU_DEP_3)
	v_dual_sub_nc_u32 v26, 32, v16 :: v_dual_cndmask_b32 v27, v28, v21, s0
	v_cmp_eq_u32_e32 vcc_lo, 0, v16
	v_dual_cndmask_b32 v25, v25, v22, s1 :: v_dual_cndmask_b32 v22, v22, v23, s1
	s_delay_alu instid0(VALU_DEP_1) | instskip(NEXT) | instid1(VALU_DEP_1)
	v_alignbit_b32 v28, v25, v22, v26
	v_dual_cndmask_b32 v23, v23, v27, s1 :: v_dual_cndmask_b32 v16, v28, v25, vcc_lo
	s_delay_alu instid0(VALU_DEP_1) | instskip(NEXT) | instid1(VALU_DEP_1)
	v_alignbit_b32 v24, v22, v23, v26
	v_dual_cndmask_b32 v20, v21, v20, s0 :: v_dual_cndmask_b32 v21, v24, v22, vcc_lo
	s_delay_alu instid0(VALU_DEP_3) | instskip(NEXT) | instid1(VALU_DEP_2)
	v_bfe_u32 v22, v16, 29, 1
	v_cndmask_b32_e64 v20, v27, v20, s1
	s_delay_alu instid0(VALU_DEP_3) | instskip(NEXT) | instid1(VALU_DEP_3)
	v_alignbit_b32 v24, v16, v21, 30
	v_sub_nc_u32_e32 v25, 0, v22
	s_delay_alu instid0(VALU_DEP_3) | instskip(NEXT) | instid1(VALU_DEP_1)
	v_alignbit_b32 v26, v23, v20, v26
	v_dual_cndmask_b32 v23, v26, v23, vcc_lo :: v_dual_bitop2_b32 v24, v24, v25 bitop3:0x14
	s_delay_alu instid0(VALU_DEP_1) | instskip(NEXT) | instid1(VALU_DEP_2)
	v_clz_i32_u32_e32 v26, v24
	v_alignbit_b32 v21, v21, v23, 30
	v_alignbit_b32 v20, v23, v20, 30
	s_delay_alu instid0(VALU_DEP_3) | instskip(NEXT) | instid1(VALU_DEP_3)
	v_min_u32_e32 v26, 32, v26
	v_xor_b32_e32 v21, v21, v25
	s_delay_alu instid0(VALU_DEP_3) | instskip(NEXT) | instid1(VALU_DEP_3)
	v_dual_lshrrev_b32 v25, 29, v16 :: v_dual_bitop2_b32 v20, v20, v25 bitop3:0x14
	v_dual_sub_nc_u32 v23, 31, v26 :: v_dual_lshlrev_b32 v27, 23, v26
	s_delay_alu instid0(VALU_DEP_1) | instskip(NEXT) | instid1(VALU_DEP_3)
	v_alignbit_b32 v24, v24, v21, v23
	v_alignbit_b32 v20, v21, v20, v23
	s_delay_alu instid0(VALU_DEP_4) | instskip(NEXT) | instid1(VALU_DEP_2)
	v_lshlrev_b32_e32 v21, 31, v25
	v_alignbit_b32 v23, v24, v20, 9
	s_delay_alu instid0(VALU_DEP_2) | instskip(SKIP_1) | instid1(VALU_DEP_3)
	v_dual_lshrrev_b32 v24, 9, v24 :: v_dual_bitop2_b32 v25, 0.5, v21 bitop3:0x54
	v_or_b32_e32 v21, 0x33000000, v21
	v_clz_i32_u32_e32 v28, v23
	s_delay_alu instid0(VALU_DEP_3) | instskip(NEXT) | instid1(VALU_DEP_2)
	v_sub_nc_u32_e32 v25, v25, v27
	v_min_u32_e32 v27, 32, v28
	s_delay_alu instid0(VALU_DEP_1) | instskip(NEXT) | instid1(VALU_DEP_3)
	v_add_lshl_u32 v26, v27, v26, 23
	v_or_b32_e32 v24, v24, v25
	v_not_b32_e32 v25, v27
	s_delay_alu instid0(VALU_DEP_2) | instskip(NEXT) | instid1(VALU_DEP_2)
	v_dual_mul_f32 v28, 0x3fc90fda, v24 :: v_dual_sub_nc_u32 v21, v21, v26
	v_alignbit_b32 v20, v23, v20, v25
	s_delay_alu instid0(VALU_DEP_2) | instskip(NEXT) | instid1(VALU_DEP_2)
	v_fma_f32 v23, 0x3fc90fda, v24, -v28
	v_lshrrev_b32_e32 v20, 9, v20
	s_delay_alu instid0(VALU_DEP_2) | instskip(NEXT) | instid1(VALU_DEP_2)
	v_fmac_f32_e32 v23, 0x33a22168, v24
	v_or_b32_e32 v20, v21, v20
	s_delay_alu instid0(VALU_DEP_1) | instskip(SKIP_1) | instid1(VALU_DEP_1)
	v_fmac_f32_e32 v23, 0x3fc90fda, v20
	v_lshrrev_b32_e32 v20, 30, v16
	v_dual_add_nc_u32 v20, v22, v20 :: v_dual_add_f32 v16, v28, v23
	s_and_not1_saveexec_b32 s0, s21
	s_cbranch_execnz .LBB254_255
	s_branch .LBB254_256
.LBB254_254:                            ;   in Loop: Header=BB254_233 Depth=1
	s_and_not1_saveexec_b32 s0, s21
.LBB254_255:                            ;   in Loop: Header=BB254_233 Depth=1
	v_mul_f32_e64 v16, 0x3f22f983, |v9|
	s_delay_alu instid0(VALU_DEP_1) | instskip(NEXT) | instid1(VALU_DEP_1)
	v_rndne_f32_e32 v20, v16
	v_fma_f32 v16, 0xbfc90fda, v20, |v9|
	s_delay_alu instid0(VALU_DEP_1) | instskip(NEXT) | instid1(VALU_DEP_1)
	v_fmac_f32_e32 v16, 0xb3a22168, v20
	v_fmac_f32_e32 v16, 0xa7c234c4, v20
	v_cvt_i32_f32_e32 v20, v20
.LBB254_256:                            ;   in Loop: Header=BB254_233 Depth=1
	s_or_b32 exec_lo, exec_lo, s0
	v_sub_f32_e32 v21, 0xc322e3bc, v8
	s_delay_alu instid0(VALU_DEP_2) | instskip(NEXT) | instid1(VALU_DEP_2)
	v_dual_lshlrev_b32 v20, 30, v20 :: v_dual_bitop2_b32 v27, 1, v20 bitop3:0x40
	v_dual_mul_f32 v25, v6, v6 :: v_dual_mul_f32 v22, 0x3fb8aa3b, v21
	s_delay_alu instid0(VALU_DEP_2) | instskip(NEXT) | instid1(VALU_DEP_2)
	v_and_or_b32 v12, 0x80000000, v20, v12
	v_fma_f32 v23, 0x3fb8aa3b, v21, -v22
	v_rndne_f32_e32 v24, v22
	s_delay_alu instid0(VALU_DEP_1) | instskip(SKIP_1) | instid1(VALU_DEP_2)
	v_dual_fmac_f32 v23, 0x32a5705f, v21 :: v_dual_sub_f32 v22, v22, v24
	v_cvt_i32_f32_e32 v24, v24
	v_add_f32_e32 v22, v22, v23
	v_cmp_ngt_f32_e32 vcc_lo, 0xc2ce8ed0, v21
	v_dual_lshlrev_b32 v23, 30, v13 :: v_dual_bitop2_b32 v13, 1, v13 bitop3:0x40
	s_delay_alu instid0(VALU_DEP_3) | instskip(SKIP_1) | instid1(TRANS32_DEP_1)
	v_exp_f32_e32 v22, v22
	v_nop
	v_ldexp_f32 v22, v22, v24
	s_delay_alu instid0(VALU_DEP_1) | instskip(NEXT) | instid1(VALU_DEP_1)
	v_dual_mul_f32 v26, v16, v16 :: v_dual_cndmask_b32 v22, 0, v22, vcc_lo
	v_dual_fmaak_f32 v28, s13, v25, 0x3c0881c4 :: v_dual_fmaak_f32 v29, s13, v26, 0x3c0881c4
	v_cmp_nlt_f32_e32 vcc_lo, 0x42b17218, v21
	s_delay_alu instid0(VALU_DEP_2) | instskip(SKIP_4) | instid1(VALU_DEP_4)
	v_dual_fmaak_f32 v28, v25, v28, 0xbe2aaa9d :: v_dual_fmaak_f32 v21, v26, v29, 0xbe2aaa9d
	v_fmaak_f32 v30, s14, v26, 0xbab64f3b
	v_cndmask_b32_e32 v20, 0x7f800000, v22, vcc_lo
	v_fmaak_f32 v24, s14, v25, 0xbab64f3b
	v_cmp_eq_u32_e32 vcc_lo, 0, v27
	v_dual_mul_f32 v21, v26, v21 :: v_dual_fmaak_f32 v22, v26, v30, 0x3d2aabf7
	s_delay_alu instid0(VALU_DEP_4) | instskip(NEXT) | instid1(VALU_DEP_4)
	v_lshrrev_b32_e32 v29, 23, v20
	v_fmaak_f32 v24, v25, v24, 0x3d2aabf7
	s_delay_alu instid0(VALU_DEP_3) | instskip(NEXT) | instid1(VALU_DEP_4)
	v_dual_mul_f32 v28, v25, v28 :: v_dual_fmac_f32 v16, v16, v21
	v_fmaak_f32 v22, v26, v22, 0xbf000004
	s_delay_alu instid0(VALU_DEP_4) | instskip(NEXT) | instid1(VALU_DEP_4)
	v_subrev_nc_u32_e32 v29, 19, v29
	v_fmaak_f32 v24, v25, v24, 0xbf000004
	s_delay_alu instid0(VALU_DEP_3) | instskip(NEXT) | instid1(VALU_DEP_2)
	v_fma_f32 v21, v26, v22, 1.0
	v_fma_f32 v22, v25, v24, 1.0
	s_delay_alu instid0(VALU_DEP_4) | instskip(NEXT) | instid1(VALU_DEP_3)
	v_lshrrev_b16 v24, 15, v29
	v_cndmask_b32_e32 v16, v21, v16, vcc_lo
	v_cmp_eq_u32_e32 vcc_lo, 0, v13
	s_delay_alu instid0(VALU_DEP_3) | instskip(NEXT) | instid1(VALU_DEP_3)
	v_add_nc_u16 v13, v29, v24
	v_xor3_b32 v7, v12, v16, v7
	v_fmac_f32_e32 v6, v6, v28
	v_and_or_b32 v12, 0x7fffff, v20, s15
	s_delay_alu instid0(VALU_DEP_4) | instskip(NEXT) | instid1(VALU_DEP_3)
	v_ashrrev_i16 v13, 1, v13
	v_cndmask_b32_e64 v6, -v6, v22, vcc_lo
	v_cmp_class_f32_e64 vcc_lo, v9, 0x1f8
	s_delay_alu instid0(VALU_DEP_3) | instskip(NEXT) | instid1(VALU_DEP_3)
	v_bfe_i32 v13, v13, 0, 16
	v_bitop3_b32 v6, v23, v6, 0x80000000 bitop3:0x6c
	s_delay_alu instid0(VALU_DEP_2) | instskip(NEXT) | instid1(VALU_DEP_2)
	v_dual_cndmask_b32 v7, 0x7fc00000, v7 :: v_dual_sub_nc_u32 v16, v29, v13
	v_cndmask_b32_e32 v6, 0x7fc00000, v6, vcc_lo
	s_delay_alu instid0(VALU_DEP_2) | instskip(NEXT) | instid1(VALU_DEP_2)
	v_lshl_add_u32 v16, v16, 23, 1.0
	v_pk_mul_f32 v[6:7], v[6:7], v[12:13] op_sel_hi:[1,0]
	v_lshl_add_u32 v12, v13, 23, 1.0
	s_delay_alu instid0(VALU_DEP_1) | instskip(NEXT) | instid1(VALU_DEP_1)
	v_pk_mul_f32 v[6:7], v[6:7], v[12:13] op_sel_hi:[1,0]
	v_pk_mul_f32 v[6:7], v[6:7], v[16:17] op_sel_hi:[1,0]
	s_or_b32 exec_lo, exec_lo, s20
                                        ; implicit-def: $vgpr13
                                        ; implicit-def: $vgpr16
.LBB254_257:                            ;   in Loop: Header=BB254_233 Depth=1
	s_and_not1_saveexec_b32 s0, s19
	s_cbranch_execz .LBB254_263
.LBB254_258:                            ;   in Loop: Header=BB254_233 Depth=1
	v_sub_f32_e32 v7, v9, v9
	s_mov_b32 s1, exec_lo
	v_cmpx_ne_u32_e32 0x7f800000, v16
	s_xor_b32 s1, exec_lo, s1
; %bb.259:                              ;   in Loop: Header=BB254_233 Depth=1
                                        ; implicit-def: $vgpr13
; %bb.260:                              ;   in Loop: Header=BB254_233 Depth=1
	s_delay_alu instid0(SALU_CYCLE_1)
	s_or_saveexec_b32 s1, s1
	v_mov_b32_e32 v6, v7
	s_xor_b32 exec_lo, exec_lo, s1
; %bb.261:                              ;   in Loop: Header=BB254_233 Depth=1
	v_cmp_lt_i32_e32 vcc_lo, -1, v13
	v_dual_cndmask_b32 v6, 0, -v8, vcc_lo :: v_dual_cndmask_b32 v7, 0, v7, vcc_lo
; %bb.262:                              ;   in Loop: Header=BB254_233 Depth=1
	s_or_b32 exec_lo, exec_lo, s1
.LBB254_263:                            ;   in Loop: Header=BB254_233 Depth=1
	s_delay_alu instid0(SALU_CYCLE_1)
	s_or_b32 exec_lo, exec_lo, s0
                                        ; implicit-def: $vgpr12
.LBB254_264:                            ;   in Loop: Header=BB254_233 Depth=1
	s_and_not1_saveexec_b32 s18, s18
	s_cbranch_execz .LBB254_274
; %bb.265:                              ;   in Loop: Header=BB254_233 Depth=1
	v_cmp_ngt_f32_e64 s19, 0x48000000, |v9|
                                        ; implicit-def: $vgpr13
                                        ; implicit-def: $vgpr6
	s_and_saveexec_b32 s0, s19
	s_delay_alu instid0(SALU_CYCLE_1)
	s_xor_b32 s20, exec_lo, s0
	s_cbranch_execz .LBB254_267
; %bb.266:                              ;   in Loop: Header=BB254_233 Depth=1
	v_and_or_b32 v16, v12, s12, 0x800000
	v_dual_mov_b32 v31, v17 :: v_dual_lshrrev_b32 v6, 23, v12
	v_mov_b32_e32 v33, v17
	s_delay_alu instid0(VALU_DEP_3) | instskip(NEXT) | instid1(VALU_DEP_1)
	v_mul_u64_e32 v[20:21], s[6:7], v[16:17]
	v_dual_mov_b32 v23, v17 :: v_dual_mov_b32 v22, v21
	s_delay_alu instid0(VALU_DEP_1) | instskip(NEXT) | instid1(VALU_DEP_1)
	v_mad_nc_u64_u32 v[22:23], 0x3c439041, v16, v[22:23]
	v_dual_mov_b32 v25, v17 :: v_dual_mov_b32 v24, v23
	s_delay_alu instid0(VALU_DEP_1) | instskip(NEXT) | instid1(VALU_DEP_1)
	v_mad_nc_u64_u32 v[24:25], 0xdb629599, v16, v[24:25]
	;; [unrolled: 3-line block ×4, first 2 shown]
	v_mov_b32_e32 v30, v29
	s_delay_alu instid0(VALU_DEP_1) | instskip(NEXT) | instid1(VALU_DEP_1)
	v_mad_nc_u64_u32 v[30:31], 0x4e441529, v16, v[30:31]
	v_mov_b32_e32 v32, v31
	s_delay_alu instid0(VALU_DEP_1) | instskip(SKIP_1) | instid1(VALU_DEP_1)
	v_mad_nc_u64_u32 v[32:33], 0xa2f9836e, v16, v[32:33]
	v_add_nc_u32_e32 v6, 0xffffff88, v6
	v_cmp_lt_u32_e32 vcc_lo, 63, v6
	v_cndmask_b32_e64 v13, 0, 0xffffffc0, vcc_lo
	s_delay_alu instid0(VALU_DEP_4) | instskip(NEXT) | instid1(VALU_DEP_2)
	v_cndmask_b32_e32 v21, v32, v28, vcc_lo
	v_dual_cndmask_b32 v25, v28, v24 :: v_dual_add_nc_u32 v6, v13, v6
	s_delay_alu instid0(VALU_DEP_1) | instskip(SKIP_2) | instid1(VALU_DEP_3)
	v_cmp_lt_u32_e64 s0, 31, v6
	v_cndmask_b32_e32 v23, v33, v30, vcc_lo
	v_cndmask_b32_e32 v16, v30, v26, vcc_lo
	v_cndmask_b32_e64 v13, 0, 0xffffffe0, s0
	s_delay_alu instid0(VALU_DEP_1) | instskip(NEXT) | instid1(VALU_DEP_1)
	v_add_nc_u32_e32 v6, v13, v6
	v_cmp_lt_u32_e64 s1, 31, v6
	s_delay_alu instid0(VALU_DEP_1) | instskip(NEXT) | instid1(VALU_DEP_1)
	v_cndmask_b32_e64 v13, 0, 0xffffffe0, s1
	v_add_nc_u32_e32 v6, v13, v6
	v_dual_cndmask_b32 v13, v26, v22, vcc_lo :: v_dual_cndmask_b32 v22, v21, v16, s0
	v_cndmask_b32_e64 v21, v23, v21, s0
	v_cndmask_b32_e64 v16, v16, v25, s0
	s_delay_alu instid0(VALU_DEP_3) | instskip(NEXT) | instid1(VALU_DEP_2)
	v_cndmask_b32_e64 v25, v25, v13, s0
	v_dual_cndmask_b32 v21, v21, v22, s1 :: v_dual_cndmask_b32 v22, v22, v16, s1
	s_delay_alu instid0(VALU_DEP_2) | instskip(NEXT) | instid1(VALU_DEP_1)
	v_dual_sub_nc_u32 v23, 32, v6 :: v_dual_cndmask_b32 v16, v16, v25, s1
	v_alignbit_b32 v26, v21, v22, v23
	v_cndmask_b32_e32 v20, v24, v20, vcc_lo
	v_cmp_eq_u32_e32 vcc_lo, 0, v6
	s_delay_alu instid0(VALU_DEP_4) | instskip(NEXT) | instid1(VALU_DEP_3)
	v_alignbit_b32 v24, v22, v16, v23
	v_dual_cndmask_b32 v6, v26, v21, vcc_lo :: v_dual_cndmask_b32 v13, v13, v20, s0
	s_delay_alu instid0(VALU_DEP_2) | instskip(NEXT) | instid1(VALU_DEP_2)
	v_cndmask_b32_e32 v20, v24, v22, vcc_lo
	v_bfe_u32 v21, v6, 29, 1
	s_delay_alu instid0(VALU_DEP_2) | instskip(NEXT) | instid1(VALU_DEP_2)
	v_alignbit_b32 v22, v6, v20, 30
	v_sub_nc_u32_e32 v24, 0, v21
	s_delay_alu instid0(VALU_DEP_1) | instskip(NEXT) | instid1(VALU_DEP_1)
	v_dual_cndmask_b32 v13, v25, v13, s1 :: v_dual_bitop2_b32 v22, v22, v24 bitop3:0x14
	v_alignbit_b32 v23, v16, v13, v23
	s_delay_alu instid0(VALU_DEP_1) | instskip(NEXT) | instid1(VALU_DEP_3)
	v_cndmask_b32_e32 v16, v23, v16, vcc_lo
	v_clz_i32_u32_e32 v23, v22
	s_delay_alu instid0(VALU_DEP_2) | instskip(NEXT) | instid1(VALU_DEP_2)
	v_alignbit_b32 v20, v20, v16, 30
	v_min_u32_e32 v23, 32, v23
	v_alignbit_b32 v13, v16, v13, 30
	s_delay_alu instid0(VALU_DEP_2) | instskip(NEXT) | instid1(VALU_DEP_2)
	v_dual_sub_nc_u32 v20, 31, v23 :: v_dual_bitop2_b32 v16, v20, v24 bitop3:0x14
	v_dual_lshrrev_b32 v24, 29, v6 :: v_dual_bitop2_b32 v13, v13, v24 bitop3:0x14
	v_lshlrev_b32_e32 v25, 23, v23
	s_delay_alu instid0(VALU_DEP_3) | instskip(NEXT) | instid1(VALU_DEP_3)
	v_alignbit_b32 v22, v22, v16, v20
	v_alignbit_b32 v13, v16, v13, v20
	s_delay_alu instid0(VALU_DEP_4) | instskip(NEXT) | instid1(VALU_DEP_2)
	v_lshlrev_b32_e32 v16, 31, v24
	v_alignbit_b32 v20, v22, v13, 9
	s_delay_alu instid0(VALU_DEP_2) | instskip(SKIP_1) | instid1(VALU_DEP_3)
	v_dual_lshrrev_b32 v22, 9, v22 :: v_dual_bitop2_b32 v24, 0.5, v16 bitop3:0x54
	v_or_b32_e32 v16, 0x33000000, v16
	v_clz_i32_u32_e32 v26, v20
	s_delay_alu instid0(VALU_DEP_3) | instskip(NEXT) | instid1(VALU_DEP_2)
	v_sub_nc_u32_e32 v24, v24, v25
	v_min_u32_e32 v25, 32, v26
	s_delay_alu instid0(VALU_DEP_1) | instskip(NEXT) | instid1(VALU_DEP_3)
	v_add_lshl_u32 v23, v25, v23, 23
	v_or_b32_e32 v22, v22, v24
	v_not_b32_e32 v24, v25
	s_delay_alu instid0(VALU_DEP_3) | instskip(NEXT) | instid1(VALU_DEP_2)
	v_sub_nc_u32_e32 v16, v16, v23
	v_alignbit_b32 v13, v20, v13, v24
	s_delay_alu instid0(VALU_DEP_1) | instskip(NEXT) | instid1(VALU_DEP_1)
	v_dual_mul_f32 v26, 0x3fc90fda, v22 :: v_dual_lshrrev_b32 v13, 9, v13
	v_fma_f32 v20, 0x3fc90fda, v22, -v26
	s_delay_alu instid0(VALU_DEP_2) | instskip(NEXT) | instid1(VALU_DEP_2)
	v_or_b32_e32 v13, v16, v13
	v_fmac_f32_e32 v20, 0x33a22168, v22
	s_delay_alu instid0(VALU_DEP_1) | instskip(NEXT) | instid1(VALU_DEP_1)
	v_dual_fmac_f32 v20, 0x3fc90fda, v13 :: v_dual_lshrrev_b32 v13, 30, v6
	v_dual_add_f32 v6, v26, v20 :: v_dual_add_nc_u32 v13, v21, v13
	s_and_not1_saveexec_b32 s0, s20
	s_branch .LBB254_268
.LBB254_267:                            ;   in Loop: Header=BB254_233 Depth=1
	s_and_not1_saveexec_b32 s0, s20
.LBB254_268:                            ;   in Loop: Header=BB254_233 Depth=1
	v_mul_f32_e64 v6, 0x3f22f983, |v9|
	s_delay_alu instid0(VALU_DEP_1) | instskip(NEXT) | instid1(VALU_DEP_1)
	v_rndne_f32_e32 v13, v6
	v_fma_f32 v6, 0xbfc90fda, v13, |v9|
	s_delay_alu instid0(VALU_DEP_1) | instskip(NEXT) | instid1(VALU_DEP_1)
	v_fmac_f32_e32 v6, 0xb3a22168, v13
	v_fmac_f32_e32 v6, 0xa7c234c4, v13
	v_cvt_i32_f32_e32 v13, v13
; %bb.269:                              ;   in Loop: Header=BB254_233 Depth=1
	s_or_b32 exec_lo, exec_lo, s0
                                        ; implicit-def: $vgpr20
                                        ; implicit-def: $vgpr16
	s_and_saveexec_b32 s0, s19
	s_delay_alu instid0(SALU_CYCLE_1)
	s_xor_b32 s19, exec_lo, s0
	s_cbranch_execz .LBB254_271
; %bb.270:                              ;   in Loop: Header=BB254_233 Depth=1
	v_and_or_b32 v16, v12, s12, 0x800000
	v_dual_mov_b32 v31, v17 :: v_dual_mov_b32 v33, v17
	s_delay_alu instid0(VALU_DEP_2) | instskip(NEXT) | instid1(VALU_DEP_1)
	v_mul_u64_e32 v[20:21], s[6:7], v[16:17]
	v_dual_mov_b32 v23, v17 :: v_dual_mov_b32 v22, v21
	v_lshrrev_b32_e32 v21, 23, v12
	s_delay_alu instid0(VALU_DEP_2) | instskip(SKIP_1) | instid1(VALU_DEP_3)
	v_mad_nc_u64_u32 v[22:23], 0x3c439041, v16, v[22:23]
	v_mov_b32_e32 v25, v17
	v_add_nc_u32_e32 v21, 0xffffff88, v21
	s_delay_alu instid0(VALU_DEP_1) | instskip(NEXT) | instid1(VALU_DEP_4)
	v_cmp_lt_u32_e32 vcc_lo, 63, v21
	v_mov_b32_e32 v24, v23
	v_cndmask_b32_e64 v23, 0, 0xffffffc0, vcc_lo
	s_delay_alu instid0(VALU_DEP_2) | instskip(NEXT) | instid1(VALU_DEP_2)
	v_mad_nc_u64_u32 v[24:25], 0xdb629599, v16, v[24:25]
	v_dual_mov_b32 v27, v17 :: v_dual_add_nc_u32 v21, v23, v21
	s_delay_alu instid0(VALU_DEP_1) | instskip(NEXT) | instid1(VALU_DEP_3)
	v_cmp_lt_u32_e64 s0, 31, v21
	v_mov_b32_e32 v26, v25
	s_delay_alu instid0(VALU_DEP_2) | instskip(SKIP_1) | instid1(VALU_DEP_3)
	v_cndmask_b32_e64 v23, 0, 0xffffffe0, s0
	v_cndmask_b32_e32 v20, v24, v20, vcc_lo
	v_mad_nc_u64_u32 v[26:27], 0xf534ddc0, v16, v[26:27]
	s_delay_alu instid0(VALU_DEP_1) | instskip(NEXT) | instid1(VALU_DEP_1)
	v_dual_mov_b32 v29, v17 :: v_dual_mov_b32 v28, v27
	v_mad_nc_u64_u32 v[28:29], 0xfc2757d1, v16, v[28:29]
	s_delay_alu instid0(VALU_DEP_1) | instskip(NEXT) | instid1(VALU_DEP_1)
	v_mov_b32_e32 v30, v29
	v_mad_nc_u64_u32 v[30:31], 0x4e441529, v16, v[30:31]
	s_delay_alu instid0(VALU_DEP_1) | instskip(NEXT) | instid1(VALU_DEP_1)
	v_mov_b32_e32 v32, v31
	v_mad_nc_u64_u32 v[32:33], 0xa2f9836e, v16, v[32:33]
	s_delay_alu instid0(VALU_DEP_3) | instskip(NEXT) | instid1(VALU_DEP_2)
	v_dual_cndmask_b32 v23, v30, v26 :: v_dual_add_nc_u32 v16, v23, v21
	v_cndmask_b32_e32 v25, v32, v28, vcc_lo
	s_delay_alu instid0(VALU_DEP_2) | instskip(NEXT) | instid1(VALU_DEP_4)
	v_cmp_lt_u32_e64 s1, 31, v16
	v_dual_cndmask_b32 v27, v33, v30 :: v_dual_cndmask_b32 v28, v28, v24
	s_delay_alu instid0(VALU_DEP_2) | instskip(NEXT) | instid1(VALU_DEP_1)
	v_cndmask_b32_e64 v21, 0, 0xffffffe0, s1
	v_dual_cndmask_b32 v21, v26, v22 :: v_dual_add_nc_u32 v16, v21, v16
	s_delay_alu instid0(VALU_DEP_3) | instskip(NEXT) | instid1(VALU_DEP_4)
	v_dual_cndmask_b32 v22, v25, v23, s0 :: v_dual_cndmask_b32 v25, v27, v25, s0
	v_cndmask_b32_e64 v23, v23, v28, s0
	s_delay_alu instid0(VALU_DEP_3) | instskip(SKIP_1) | instid1(VALU_DEP_3)
	v_dual_sub_nc_u32 v26, 32, v16 :: v_dual_cndmask_b32 v27, v28, v21, s0
	v_cmp_eq_u32_e32 vcc_lo, 0, v16
	v_dual_cndmask_b32 v25, v25, v22, s1 :: v_dual_cndmask_b32 v22, v22, v23, s1
	s_delay_alu instid0(VALU_DEP_1) | instskip(NEXT) | instid1(VALU_DEP_1)
	v_alignbit_b32 v28, v25, v22, v26
	v_dual_cndmask_b32 v23, v23, v27, s1 :: v_dual_cndmask_b32 v16, v28, v25, vcc_lo
	s_delay_alu instid0(VALU_DEP_1) | instskip(NEXT) | instid1(VALU_DEP_1)
	v_alignbit_b32 v24, v22, v23, v26
	v_dual_cndmask_b32 v20, v21, v20, s0 :: v_dual_cndmask_b32 v21, v24, v22, vcc_lo
	s_delay_alu instid0(VALU_DEP_3) | instskip(NEXT) | instid1(VALU_DEP_2)
	v_bfe_u32 v22, v16, 29, 1
	v_cndmask_b32_e64 v20, v27, v20, s1
	s_delay_alu instid0(VALU_DEP_3) | instskip(NEXT) | instid1(VALU_DEP_3)
	v_alignbit_b32 v24, v16, v21, 30
	v_sub_nc_u32_e32 v25, 0, v22
	s_delay_alu instid0(VALU_DEP_3) | instskip(NEXT) | instid1(VALU_DEP_1)
	v_alignbit_b32 v26, v23, v20, v26
	v_dual_cndmask_b32 v23, v26, v23, vcc_lo :: v_dual_bitop2_b32 v24, v24, v25 bitop3:0x14
	s_delay_alu instid0(VALU_DEP_1) | instskip(NEXT) | instid1(VALU_DEP_2)
	v_clz_i32_u32_e32 v26, v24
	v_alignbit_b32 v21, v21, v23, 30
	v_alignbit_b32 v20, v23, v20, 30
	s_delay_alu instid0(VALU_DEP_3) | instskip(NEXT) | instid1(VALU_DEP_3)
	v_min_u32_e32 v26, 32, v26
	v_xor_b32_e32 v21, v21, v25
	s_delay_alu instid0(VALU_DEP_3) | instskip(NEXT) | instid1(VALU_DEP_3)
	v_dual_lshrrev_b32 v25, 29, v16 :: v_dual_bitop2_b32 v20, v20, v25 bitop3:0x14
	v_dual_sub_nc_u32 v23, 31, v26 :: v_dual_lshlrev_b32 v27, 23, v26
	s_delay_alu instid0(VALU_DEP_1) | instskip(NEXT) | instid1(VALU_DEP_3)
	v_alignbit_b32 v24, v24, v21, v23
	v_alignbit_b32 v20, v21, v20, v23
	s_delay_alu instid0(VALU_DEP_4) | instskip(NEXT) | instid1(VALU_DEP_2)
	v_lshlrev_b32_e32 v21, 31, v25
	v_alignbit_b32 v23, v24, v20, 9
	s_delay_alu instid0(VALU_DEP_2) | instskip(SKIP_1) | instid1(VALU_DEP_3)
	v_dual_lshrrev_b32 v24, 9, v24 :: v_dual_bitop2_b32 v25, 0.5, v21 bitop3:0x54
	v_or_b32_e32 v21, 0x33000000, v21
	v_clz_i32_u32_e32 v28, v23
	s_delay_alu instid0(VALU_DEP_3) | instskip(NEXT) | instid1(VALU_DEP_2)
	v_sub_nc_u32_e32 v25, v25, v27
	v_min_u32_e32 v27, 32, v28
	s_delay_alu instid0(VALU_DEP_1) | instskip(NEXT) | instid1(VALU_DEP_3)
	v_add_lshl_u32 v26, v27, v26, 23
	v_or_b32_e32 v24, v24, v25
	v_not_b32_e32 v25, v27
	s_delay_alu instid0(VALU_DEP_2) | instskip(NEXT) | instid1(VALU_DEP_2)
	v_dual_mul_f32 v28, 0x3fc90fda, v24 :: v_dual_sub_nc_u32 v21, v21, v26
	v_alignbit_b32 v20, v23, v20, v25
	s_delay_alu instid0(VALU_DEP_2) | instskip(NEXT) | instid1(VALU_DEP_2)
	v_fma_f32 v23, 0x3fc90fda, v24, -v28
	v_lshrrev_b32_e32 v20, 9, v20
	s_delay_alu instid0(VALU_DEP_2) | instskip(NEXT) | instid1(VALU_DEP_2)
	v_fmac_f32_e32 v23, 0x33a22168, v24
	v_or_b32_e32 v20, v21, v20
	s_delay_alu instid0(VALU_DEP_1) | instskip(SKIP_1) | instid1(VALU_DEP_1)
	v_fmac_f32_e32 v23, 0x3fc90fda, v20
	v_lshrrev_b32_e32 v20, 30, v16
	v_dual_add_nc_u32 v20, v22, v20 :: v_dual_add_f32 v16, v28, v23
	s_and_not1_saveexec_b32 s0, s19
	s_cbranch_execnz .LBB254_272
	s_branch .LBB254_273
.LBB254_271:                            ;   in Loop: Header=BB254_233 Depth=1
	s_and_not1_saveexec_b32 s0, s19
.LBB254_272:                            ;   in Loop: Header=BB254_233 Depth=1
	v_mul_f32_e64 v16, 0x3f22f983, |v9|
	s_delay_alu instid0(VALU_DEP_1) | instskip(NEXT) | instid1(VALU_DEP_1)
	v_rndne_f32_e32 v20, v16
	v_fma_f32 v16, 0xbfc90fda, v20, |v9|
	s_delay_alu instid0(VALU_DEP_1) | instskip(NEXT) | instid1(VALU_DEP_1)
	v_fmac_f32_e32 v16, 0xb3a22168, v20
	v_fmac_f32_e32 v16, 0xa7c234c4, v20
	v_cvt_i32_f32_e32 v20, v20
.LBB254_273:                            ;   in Loop: Header=BB254_233 Depth=1
	s_or_b32 exec_lo, exec_lo, s0
	s_delay_alu instid0(VALU_DEP_1) | instskip(SKIP_1) | instid1(VALU_DEP_2)
	v_dual_mul_f32 v21, v6, v6 :: v_dual_mul_f32 v22, v16, v16
	v_dual_lshlrev_b32 v13, 30, v13 :: v_dual_bitop2_b32 v23, 1, v13 bitop3:0x40
	v_fmaak_f32 v24, s13, v21, 0x3c0881c4
	s_delay_alu instid0(VALU_DEP_3) | instskip(SKIP_1) | instid1(VALU_DEP_4)
	v_fmaak_f32 v26, s13, v22, 0x3c0881c4
	v_fmaak_f32 v27, s14, v22, 0xbab64f3b
	v_cmp_eq_u32_e32 vcc_lo, 0, v23
	s_delay_alu instid0(VALU_DEP_4) | instskip(SKIP_2) | instid1(VALU_DEP_2)
	v_fmaak_f32 v24, v21, v24, 0xbe2aaa9d
	v_fmaak_f32 v25, s14, v21, 0xbab64f3b
	v_fmaak_f32 v26, v22, v26, 0xbe2aaa9d
	v_dual_mul_f32 v24, v21, v24 :: v_dual_fmaak_f32 v25, v21, v25, 0x3d2aabf7
	s_delay_alu instid0(VALU_DEP_2) | instskip(NEXT) | instid1(VALU_DEP_2)
	v_mul_f32_e32 v26, v22, v26
	v_dual_fmac_f32 v6, v6, v24 :: v_dual_fmaak_f32 v25, v21, v25, 0xbf000004
	s_delay_alu instid0(VALU_DEP_2) | instskip(NEXT) | instid1(VALU_DEP_2)
	v_fmac_f32_e32 v16, v16, v26
	v_fma_f32 v21, v21, v25, 1.0
	v_dual_lshlrev_b32 v20, 30, v20 :: v_dual_bitop2_b32 v28, 1, v20 bitop3:0x40
	v_fmaak_f32 v27, v22, v27, 0x3d2aabf7
	s_delay_alu instid0(VALU_DEP_3) | instskip(NEXT) | instid1(VALU_DEP_3)
	v_cndmask_b32_e64 v6, -v6, v21, vcc_lo
	v_cmp_eq_u32_e32 vcc_lo, 0, v28
	s_delay_alu instid0(VALU_DEP_4) | instskip(NEXT) | instid1(VALU_DEP_4)
	v_and_or_b32 v12, 0x80000000, v20, v12
	v_fmaak_f32 v27, v22, v27, 0xbf000004
	s_delay_alu instid0(VALU_DEP_4) | instskip(NEXT) | instid1(VALU_DEP_2)
	v_bitop3_b32 v6, v13, v6, 0x80000000 bitop3:0x6c
	v_fma_f32 v22, v22, v27, 1.0
	s_delay_alu instid0(VALU_DEP_1) | instskip(SKIP_1) | instid1(VALU_DEP_2)
	v_cndmask_b32_e32 v16, v22, v16, vcc_lo
	v_cmp_class_f32_e64 vcc_lo, v9, 0x1f8
	v_xor3_b32 v7, v12, v16, v7
	v_cndmask_b32_e32 v6, 0x7fc00000, v6, vcc_lo
	s_delay_alu instid0(VALU_DEP_2)
	v_cndmask_b32_e32 v7, 0x7fc00000, v7, vcc_lo
.LBB254_274:                            ;   in Loop: Header=BB254_233 Depth=1
	s_or_b32 exec_lo, exec_lo, s18
.LBB254_275:                            ;   in Loop: Header=BB254_233 Depth=1
	s_and_not1_saveexec_b32 s0, s17
	s_cbranch_execz .LBB254_277
; %bb.276:                              ;   in Loop: Header=BB254_233 Depth=1
	v_mul_f32_e32 v6, 0xbfb8aa3b, v8
	v_cmp_nlt_f32_e32 vcc_lo, 0x42ce8ed0, v8
	s_delay_alu instid0(VALU_DEP_2) | instskip(SKIP_1) | instid1(VALU_DEP_2)
	v_rndne_f32_e32 v9, v6
	v_fma_f32 v12, 0xbfb8aa3b, v8, -v6
	v_sub_f32_e32 v6, v6, v9
	s_delay_alu instid0(VALU_DEP_2) | instskip(SKIP_1) | instid1(VALU_DEP_2)
	v_fmac_f32_e32 v12, 0xb2a5705f, v8
	v_cvt_i32_f32_e32 v9, v9
	v_add_f32_e32 v6, v6, v12
	s_delay_alu instid0(VALU_DEP_1) | instskip(SKIP_1) | instid1(TRANS32_DEP_1)
	v_exp_f32_e32 v6, v6
	v_nop
	v_ldexp_f32 v6, v6, v9
	s_delay_alu instid0(VALU_DEP_1) | instskip(SKIP_1) | instid1(VALU_DEP_2)
	v_cndmask_b32_e32 v6, 0, v6, vcc_lo
	v_cmp_ngt_f32_e32 vcc_lo, 0xc2b17218, v8
	v_cndmask_b32_e32 v6, 0x7f800000, v6, vcc_lo
.LBB254_277:                            ;   in Loop: Header=BB254_233 Depth=1
	s_or_b32 exec_lo, exec_lo, s0
	v_mov_b64_e32 v[8:9], s[8:9]
	s_mov_b32 s0, exec_lo
	s_delay_alu instid0(VALU_DEP_1) | instskip(NEXT) | instid1(VALU_DEP_1)
	v_pk_add_f32 v[8:9], v[6:7], v[8:9]
                                        ; implicit-def: $vgpr6_vgpr7
	v_cmp_gt_f32_e32 vcc_lo, 0, v9
	v_cndmask_b32_e64 v12, v9, -v9, vcc_lo
	s_delay_alu instid0(VALU_DEP_3) | instskip(SKIP_1) | instid1(VALU_DEP_1)
	v_cmp_gt_f32_e32 vcc_lo, 0, v8
	v_cndmask_b32_e64 v13, v8, -v8, vcc_lo
	v_cmpx_ge_f32_e32 v13, v12
	s_xor_b32 s1, exec_lo, s0
	s_cbranch_execz .LBB254_283
; %bb.278:                              ;   in Loop: Header=BB254_233 Depth=1
	v_cmp_neq_f32_e32 vcc_lo, 0, v8
	v_cmp_neq_f32_e64 s0, 0, v9
                                        ; implicit-def: $vgpr6_vgpr7
	s_or_b32 s0, vcc_lo, s0
	s_delay_alu instid0(SALU_CYCLE_1) | instskip(NEXT) | instid1(SALU_CYCLE_1)
	s_and_saveexec_b32 s17, s0
	s_xor_b32 s0, exec_lo, s17
	s_cbranch_execz .LBB254_280
; %bb.279:                              ;   in Loop: Header=BB254_233 Depth=1
	v_div_scale_f32 v6, null, v8, v8, v9
	v_div_scale_f32 v13, vcc_lo, v9, v8, v9
	v_mov_b64_e32 v[20:21], s[4:5]
	s_delay_alu instid0(VALU_DEP_3) | instskip(SKIP_1) | instid1(TRANS32_DEP_1)
	v_rcp_f32_e32 v7, v6
	v_nop
	v_fma_f32 v12, -v6, v7, 1.0
	s_delay_alu instid0(VALU_DEP_1) | instskip(NEXT) | instid1(VALU_DEP_1)
	v_fmac_f32_e32 v7, v12, v7
	v_mul_f32_e32 v12, v13, v7
	s_delay_alu instid0(VALU_DEP_1) | instskip(NEXT) | instid1(VALU_DEP_1)
	v_fma_f32 v16, -v6, v12, v13
	v_fmac_f32_e32 v12, v16, v7
	s_delay_alu instid0(VALU_DEP_1) | instskip(NEXT) | instid1(VALU_DEP_1)
	v_fma_f32 v6, -v6, v12, v13
	v_div_fmas_f32 v6, v6, v7, v12
	s_delay_alu instid0(VALU_DEP_1) | instskip(NEXT) | instid1(VALU_DEP_1)
	v_div_fixup_f32 v6, v6, v8, v9
	v_fmac_f32_e32 v8, v9, v6
	s_delay_alu instid0(VALU_DEP_1) | instskip(NEXT) | instid1(VALU_DEP_1)
	v_div_scale_f32 v7, null, v8, v8, 1.0
	v_rcp_f32_e32 v9, v7
	v_nop
	s_delay_alu instid0(TRANS32_DEP_1) | instskip(NEXT) | instid1(VALU_DEP_1)
	v_fma_f32 v12, -v7, v9, 1.0
	v_fmac_f32_e32 v9, v12, v9
	v_div_scale_f32 v16, vcc_lo, 1.0, v8, 1.0
	s_delay_alu instid0(VALU_DEP_1) | instskip(NEXT) | instid1(VALU_DEP_1)
	v_mul_f32_e32 v22, v16, v9
	v_fma_f32 v12, -v7, v22, v16
	s_delay_alu instid0(VALU_DEP_1) | instskip(SKIP_1) | instid1(VALU_DEP_2)
	v_fmac_f32_e32 v22, v12, v9
	v_mov_b64_e32 v[12:13], s[8:9]
	v_fma_f32 v7, -v7, v22, v16
	s_delay_alu instid0(VALU_DEP_1) | instskip(NEXT) | instid1(VALU_DEP_3)
	v_div_fmas_f32 v9, v7, v9, v22
	v_pk_fma_f32 v[22:23], v[6:7], v[20:21], v[12:13] op_sel_hi:[0,1,1] neg_lo:[1,0,0] neg_hi:[1,0,0]
	v_pk_fma_f32 v[6:7], v[6:7], v[20:21], v[12:13]
                                        ; implicit-def: $vgpr12
                                        ; implicit-def: $vgpr13
	s_delay_alu instid0(VALU_DEP_3) | instskip(NEXT) | instid1(VALU_DEP_3)
	v_div_fixup_f32 v8, v9, v8, 1.0
	v_mov_b32_e32 v7, v23
	s_delay_alu instid0(VALU_DEP_1)
	v_pk_mul_f32 v[6:7], v[6:7], v[8:9] op_sel_hi:[1,0]
.LBB254_280:                            ;   in Loop: Header=BB254_233 Depth=1
	s_and_not1_saveexec_b32 s17, s0
	s_cbranch_execz .LBB254_282
; %bb.281:                              ;   in Loop: Header=BB254_233 Depth=1
	v_div_scale_f32 v6, null, v12, v12, s9
	v_div_scale_f32 v7, null, v13, v13, s8
	v_div_scale_f32 v21, vcc_lo, s9, v12, s9
	s_delay_alu instid0(VALU_DEP_3) | instskip(NEXT) | instid1(VALU_DEP_2)
	v_rcp_f32_e32 v8, v6
	v_rcp_f32_e32 v9, v7
	s_delay_alu instid0(TRANS32_DEP_2) | instskip(NEXT) | instid1(TRANS32_DEP_1)
	v_fma_f32 v16, -v6, v8, 1.0
	v_fma_f32 v20, -v7, v9, 1.0
	s_delay_alu instid0(VALU_DEP_1) | instskip(NEXT) | instid1(VALU_DEP_3)
	v_fmac_f32_e32 v9, v20, v9
	v_fmac_f32_e32 v8, v16, v8
	v_div_scale_f32 v16, s0, s8, v13, s8
	s_delay_alu instid0(VALU_DEP_1) | instskip(NEXT) | instid1(VALU_DEP_1)
	v_dual_mul_f32 v22, v16, v9 :: v_dual_mul_f32 v20, v21, v8
	v_dual_fma_f32 v24, -v7, v22, v16 :: v_dual_fma_f32 v23, -v6, v20, v21
	s_delay_alu instid0(VALU_DEP_1) | instskip(NEXT) | instid1(VALU_DEP_1)
	v_dual_fmac_f32 v22, v24, v9 :: v_dual_fmac_f32 v20, v23, v8
	v_dual_fma_f32 v7, -v7, v22, v16 :: v_dual_fma_f32 v6, -v6, v20, v21
	s_delay_alu instid0(VALU_DEP_1) | instskip(SKIP_1) | instid1(VALU_DEP_2)
	v_div_fmas_f32 v6, v6, v8, v20
	s_mov_b32 vcc_lo, s0
	v_div_fmas_f32 v8, v7, v9, v22
	s_delay_alu instid0(VALU_DEP_2) | instskip(NEXT) | instid1(VALU_DEP_2)
	v_div_fixup_f32 v7, v6, v12, s9
	v_div_fixup_f32 v6, v8, v13, s8
.LBB254_282:                            ;   in Loop: Header=BB254_233 Depth=1
	s_or_b32 exec_lo, exec_lo, s17
                                        ; implicit-def: $vgpr8_vgpr9
.LBB254_283:                            ;   in Loop: Header=BB254_233 Depth=1
	s_and_not1_saveexec_b32 s0, s1
	s_cbranch_execz .LBB254_285
; %bb.284:                              ;   in Loop: Header=BB254_233 Depth=1
	v_div_scale_f32 v6, null, v9, v9, v8
	v_div_scale_f32 v13, vcc_lo, v8, v9, v8
	v_mov_b64_e32 v[20:21], s[8:9]
	s_delay_alu instid0(VALU_DEP_3) | instskip(SKIP_1) | instid1(TRANS32_DEP_1)
	v_rcp_f32_e32 v7, v6
	v_nop
	v_fma_f32 v12, -v6, v7, 1.0
	s_delay_alu instid0(VALU_DEP_1) | instskip(NEXT) | instid1(VALU_DEP_1)
	v_fmac_f32_e32 v7, v12, v7
	v_mul_f32_e32 v12, v13, v7
	s_delay_alu instid0(VALU_DEP_1) | instskip(NEXT) | instid1(VALU_DEP_1)
	v_fma_f32 v16, -v6, v12, v13
	v_fmac_f32_e32 v12, v16, v7
	s_delay_alu instid0(VALU_DEP_1) | instskip(NEXT) | instid1(VALU_DEP_1)
	v_fma_f32 v6, -v6, v12, v13
	v_div_fmas_f32 v6, v6, v7, v12
	s_delay_alu instid0(VALU_DEP_1) | instskip(NEXT) | instid1(VALU_DEP_1)
	v_div_fixup_f32 v6, v6, v9, v8
	v_fmac_f32_e32 v9, v8, v6
	s_delay_alu instid0(VALU_DEP_1) | instskip(SKIP_1) | instid1(VALU_DEP_2)
	v_div_scale_f32 v7, null, v9, v9, 1.0
	v_div_scale_f32 v16, vcc_lo, 1.0, v9, 1.0
	v_rcp_f32_e32 v8, v7
	v_nop
	s_delay_alu instid0(TRANS32_DEP_1) | instskip(NEXT) | instid1(VALU_DEP_1)
	v_fma_f32 v12, -v7, v8, 1.0
	v_fmac_f32_e32 v8, v12, v8
	s_delay_alu instid0(VALU_DEP_1) | instskip(NEXT) | instid1(VALU_DEP_1)
	v_mul_f32_e32 v22, v16, v8
	v_fma_f32 v12, -v7, v22, v16
	s_delay_alu instid0(VALU_DEP_1) | instskip(SKIP_1) | instid1(VALU_DEP_2)
	v_fmac_f32_e32 v22, v12, v8
	v_mov_b64_e32 v[12:13], s[4:5]
	v_fma_f32 v7, -v7, v22, v16
	s_delay_alu instid0(VALU_DEP_1) | instskip(NEXT) | instid1(VALU_DEP_3)
	v_div_fmas_f32 v8, v7, v8, v22
	v_pk_fma_f32 v[22:23], v[6:7], v[20:21], v[12:13] op_sel_hi:[0,1,1] neg_lo:[0,0,1] neg_hi:[0,0,1]
	v_pk_fma_f32 v[6:7], v[6:7], v[20:21], v[12:13]
	s_delay_alu instid0(VALU_DEP_3) | instskip(NEXT) | instid1(VALU_DEP_3)
	v_div_fixup_f32 v8, v8, v9, 1.0
	v_mov_b32_e32 v7, v23
	s_delay_alu instid0(VALU_DEP_1)
	v_pk_mul_f32 v[6:7], v[6:7], v[8:9] op_sel_hi:[1,0]
.LBB254_285:                            ;   in Loop: Header=BB254_233 Depth=1
	s_or_b32 exec_lo, exec_lo, s0
	v_and_b32_e32 v8, 0x7fffffff, v11
	v_xor_b32_e32 v13, 0x80000000, v11
	s_mov_b32 s0, exec_lo
	s_delay_alu instid0(VALU_DEP_2)
	v_cmpx_ne_u32_e32 0, v8
	s_xor_b32 s17, exec_lo, s0
	s_cbranch_execz .LBB254_327
; %bb.286:                              ;   in Loop: Header=BB254_233 Depth=1
	v_and_b32_e32 v9, 0x7fffffff, v10
	s_mov_b32 s0, exec_lo
	s_delay_alu instid0(VALU_DEP_1)
	v_cmpx_ne_u32_e32 0, v9
	s_xor_b32 s18, exec_lo, s0
	s_cbranch_execz .LBB254_316
; %bb.287:                              ;   in Loop: Header=BB254_233 Depth=1
	v_xor_b32_e32 v16, 0x80000000, v10
	s_mov_b32 s0, exec_lo
	v_cmpx_gt_u32_e32 0x7f800000, v8
	s_xor_b32 s19, exec_lo, s0
	s_cbranch_execz .LBB254_309
; %bb.288:                              ;   in Loop: Header=BB254_233 Depth=1
	v_add_nc_u32_e32 v9, 0xbd4e8de8, v16
	s_mov_b32 s0, exec_lo
	s_delay_alu instid0(VALU_DEP_1)
	v_cmpx_lt_u32_e32 0x8e8e5c, v9
	s_xor_b32 s20, exec_lo, s0
	s_cbranch_execz .LBB254_298
; %bb.289:                              ;   in Loop: Header=BB254_233 Depth=1
	v_cmp_ngt_f32_e64 s21, 0x48000000, |v11|
                                        ; implicit-def: $vgpr12
                                        ; implicit-def: $vgpr9
	s_and_saveexec_b32 s0, s21
	s_delay_alu instid0(SALU_CYCLE_1)
	s_xor_b32 s22, exec_lo, s0
	s_cbranch_execz .LBB254_291
; %bb.290:                              ;   in Loop: Header=BB254_233 Depth=1
	v_and_or_b32 v16, v8, s12, 0x800000
	v_dual_lshrrev_b32 v9, 23, v8 :: v_dual_mov_b32 v31, v17
	v_mov_b32_e32 v33, v17
	s_delay_alu instid0(VALU_DEP_3) | instskip(SKIP_1) | instid1(VALU_DEP_4)
	v_mul_u64_e32 v[20:21], s[6:7], v[16:17]
	v_mov_b32_e32 v23, v17
	v_add_nc_u32_e32 v9, 0xffffff88, v9
	s_delay_alu instid0(VALU_DEP_1) | instskip(SKIP_1) | instid1(VALU_DEP_1)
	v_cmp_lt_u32_e32 vcc_lo, 63, v9
	v_cndmask_b32_e64 v12, 0, 0xffffffc0, vcc_lo
	v_add_nc_u32_e32 v9, v12, v9
	s_delay_alu instid0(VALU_DEP_1) | instskip(NEXT) | instid1(VALU_DEP_1)
	v_cmp_lt_u32_e64 s0, 31, v9
	v_cndmask_b32_e64 v12, 0, 0xffffffe0, s0
	s_delay_alu instid0(VALU_DEP_1) | instskip(NEXT) | instid1(VALU_DEP_1)
	v_dual_mov_b32 v22, v21 :: v_dual_add_nc_u32 v9, v12, v9
	v_mad_nc_u64_u32 v[22:23], 0x3c439041, v16, v[22:23]
	v_mov_b32_e32 v25, v17
	s_delay_alu instid0(VALU_DEP_3) | instskip(NEXT) | instid1(VALU_DEP_1)
	v_cmp_lt_u32_e64 s1, 31, v9
	v_cndmask_b32_e64 v12, 0, 0xffffffe0, s1
	s_delay_alu instid0(VALU_DEP_4) | instskip(NEXT) | instid1(VALU_DEP_1)
	v_mov_b32_e32 v24, v23
	v_mad_nc_u64_u32 v[24:25], 0xdb629599, v16, v[24:25]
	s_delay_alu instid0(VALU_DEP_1) | instskip(NEXT) | instid1(VALU_DEP_1)
	v_dual_mov_b32 v27, v17 :: v_dual_mov_b32 v26, v25
	v_mad_nc_u64_u32 v[26:27], 0xf534ddc0, v16, v[26:27]
	v_dual_mov_b32 v29, v17 :: v_dual_add_nc_u32 v9, v12, v9
	s_delay_alu instid0(VALU_DEP_2) | instskip(NEXT) | instid1(VALU_DEP_1)
	v_dual_cndmask_b32 v12, v26, v22, vcc_lo :: v_dual_mov_b32 v28, v27
	v_mad_nc_u64_u32 v[28:29], 0xfc2757d1, v16, v[28:29]
	s_delay_alu instid0(VALU_DEP_1) | instskip(NEXT) | instid1(VALU_DEP_1)
	v_dual_mov_b32 v30, v29 :: v_dual_cndmask_b32 v25, v28, v24
	v_mad_nc_u64_u32 v[30:31], 0x4e441529, v16, v[30:31]
	s_delay_alu instid0(VALU_DEP_1) | instskip(NEXT) | instid1(VALU_DEP_1)
	v_mov_b32_e32 v32, v31
	v_mad_nc_u64_u32 v[32:33], 0xa2f9836e, v16, v[32:33]
	s_delay_alu instid0(VALU_DEP_1) | instskip(NEXT) | instid1(VALU_DEP_2)
	v_dual_cndmask_b32 v16, v30, v26 :: v_dual_cndmask_b32 v21, v32, v28
	v_cndmask_b32_e32 v23, v33, v30, vcc_lo
	s_delay_alu instid0(VALU_DEP_1) | instskip(SKIP_1) | instid1(VALU_DEP_2)
	v_dual_cndmask_b32 v22, v21, v16, s0 :: v_dual_cndmask_b32 v21, v23, v21, s0
	v_dual_cndmask_b32 v16, v16, v25, s0 :: v_dual_cndmask_b32 v25, v25, v12, s0
	v_dual_sub_nc_u32 v23, 32, v9 :: v_dual_cndmask_b32 v21, v21, v22, s1
	s_delay_alu instid0(VALU_DEP_2) | instskip(NEXT) | instid1(VALU_DEP_1)
	v_dual_cndmask_b32 v22, v22, v16, s1 :: v_dual_cndmask_b32 v16, v16, v25, s1
	v_alignbit_b32 v26, v21, v22, v23
	v_cndmask_b32_e32 v20, v24, v20, vcc_lo
	v_cmp_eq_u32_e32 vcc_lo, 0, v9
	s_delay_alu instid0(VALU_DEP_4) | instskip(NEXT) | instid1(VALU_DEP_4)
	v_alignbit_b32 v24, v22, v16, v23
	v_cndmask_b32_e32 v9, v26, v21, vcc_lo
	s_delay_alu instid0(VALU_DEP_1) | instskip(SKIP_1) | instid1(VALU_DEP_2)
	v_bfe_u32 v21, v9, 29, 1
	v_cndmask_b32_e64 v12, v12, v20, s0
	v_dual_cndmask_b32 v20, v24, v22, vcc_lo :: v_dual_sub_nc_u32 v24, 0, v21
	s_delay_alu instid0(VALU_DEP_2) | instskip(NEXT) | instid1(VALU_DEP_2)
	v_cndmask_b32_e64 v12, v25, v12, s1
	v_alignbit_b32 v22, v9, v20, 30
	s_delay_alu instid0(VALU_DEP_2) | instskip(NEXT) | instid1(VALU_DEP_2)
	v_alignbit_b32 v23, v16, v12, v23
	v_xor_b32_e32 v22, v22, v24
	s_delay_alu instid0(VALU_DEP_2) | instskip(NEXT) | instid1(VALU_DEP_2)
	v_cndmask_b32_e32 v16, v23, v16, vcc_lo
	v_clz_i32_u32_e32 v23, v22
	s_delay_alu instid0(VALU_DEP_2) | instskip(NEXT) | instid1(VALU_DEP_2)
	v_alignbit_b32 v20, v20, v16, 30
	v_min_u32_e32 v23, 32, v23
	v_alignbit_b32 v12, v16, v12, 30
	s_delay_alu instid0(VALU_DEP_2) | instskip(NEXT) | instid1(VALU_DEP_2)
	v_dual_lshlrev_b32 v25, 23, v23 :: v_dual_bitop2_b32 v16, v20, v24 bitop3:0x14
	v_dual_sub_nc_u32 v20, 31, v23 :: v_dual_bitop2_b32 v12, v12, v24 bitop3:0x14
	v_lshrrev_b32_e32 v24, 29, v9
	s_delay_alu instid0(VALU_DEP_2) | instskip(NEXT) | instid1(VALU_DEP_3)
	v_alignbit_b32 v22, v22, v16, v20
	v_alignbit_b32 v12, v16, v12, v20
	s_delay_alu instid0(VALU_DEP_3) | instskip(NEXT) | instid1(VALU_DEP_2)
	v_lshlrev_b32_e32 v16, 31, v24
	v_alignbit_b32 v20, v22, v12, 9
	s_delay_alu instid0(VALU_DEP_2) | instskip(SKIP_1) | instid1(VALU_DEP_3)
	v_dual_lshrrev_b32 v22, 9, v22 :: v_dual_bitop2_b32 v24, 0.5, v16 bitop3:0x54
	v_or_b32_e32 v16, 0x33000000, v16
	v_clz_i32_u32_e32 v26, v20
	s_delay_alu instid0(VALU_DEP_3) | instskip(NEXT) | instid1(VALU_DEP_2)
	v_sub_nc_u32_e32 v24, v24, v25
	v_min_u32_e32 v25, 32, v26
	s_delay_alu instid0(VALU_DEP_1) | instskip(NEXT) | instid1(VALU_DEP_3)
	v_add_lshl_u32 v23, v25, v23, 23
	v_or_b32_e32 v22, v22, v24
	v_not_b32_e32 v24, v25
	s_delay_alu instid0(VALU_DEP_3) | instskip(NEXT) | instid1(VALU_DEP_3)
	v_sub_nc_u32_e32 v16, v16, v23
	v_mul_f32_e32 v26, 0x3fc90fda, v22
	s_delay_alu instid0(VALU_DEP_3) | instskip(NEXT) | instid1(VALU_DEP_2)
	v_alignbit_b32 v12, v20, v12, v24
	v_fma_f32 v20, 0x3fc90fda, v22, -v26
	s_delay_alu instid0(VALU_DEP_2) | instskip(NEXT) | instid1(VALU_DEP_2)
	v_lshrrev_b32_e32 v12, 9, v12
	v_fmac_f32_e32 v20, 0x33a22168, v22
	s_delay_alu instid0(VALU_DEP_2) | instskip(NEXT) | instid1(VALU_DEP_1)
	v_or_b32_e32 v12, v16, v12
	v_fmac_f32_e32 v20, 0x3fc90fda, v12
	s_delay_alu instid0(VALU_DEP_1) | instskip(NEXT) | instid1(VALU_DEP_1)
	v_dual_add_f32 v9, v26, v20 :: v_dual_lshrrev_b32 v12, 30, v9
	v_add_nc_u32_e32 v12, v21, v12
	s_and_not1_saveexec_b32 s0, s22
	s_branch .LBB254_292
.LBB254_291:                            ;   in Loop: Header=BB254_233 Depth=1
	s_and_not1_saveexec_b32 s0, s22
.LBB254_292:                            ;   in Loop: Header=BB254_233 Depth=1
	v_mul_f32_e64 v9, 0x3f22f983, |v11|
	s_delay_alu instid0(VALU_DEP_1) | instskip(NEXT) | instid1(VALU_DEP_1)
	v_rndne_f32_e32 v12, v9
	v_fma_f32 v9, 0xbfc90fda, v12, |v11|
	s_delay_alu instid0(VALU_DEP_1) | instskip(NEXT) | instid1(VALU_DEP_1)
	v_fmac_f32_e32 v9, 0xb3a22168, v12
	v_fmac_f32_e32 v9, 0xa7c234c4, v12
	v_cvt_i32_f32_e32 v12, v12
; %bb.293:                              ;   in Loop: Header=BB254_233 Depth=1
	s_or_b32 exec_lo, exec_lo, s0
                                        ; implicit-def: $vgpr20
                                        ; implicit-def: $vgpr16
	s_and_saveexec_b32 s0, s21
	s_delay_alu instid0(SALU_CYCLE_1)
	s_xor_b32 s21, exec_lo, s0
	s_cbranch_execz .LBB254_295
; %bb.294:                              ;   in Loop: Header=BB254_233 Depth=1
	v_and_or_b32 v16, v8, s12, 0x800000
	v_dual_mov_b32 v31, v17 :: v_dual_mov_b32 v33, v17
	s_delay_alu instid0(VALU_DEP_2) | instskip(NEXT) | instid1(VALU_DEP_1)
	v_mul_u64_e32 v[20:21], s[6:7], v[16:17]
	v_dual_mov_b32 v23, v17 :: v_dual_mov_b32 v22, v21
	v_lshrrev_b32_e32 v21, 23, v8
	s_delay_alu instid0(VALU_DEP_2) | instskip(SKIP_1) | instid1(VALU_DEP_3)
	v_mad_nc_u64_u32 v[22:23], 0x3c439041, v16, v[22:23]
	v_mov_b32_e32 v25, v17
	v_add_nc_u32_e32 v21, 0xffffff88, v21
	s_delay_alu instid0(VALU_DEP_1) | instskip(NEXT) | instid1(VALU_DEP_4)
	v_cmp_lt_u32_e32 vcc_lo, 63, v21
	v_mov_b32_e32 v24, v23
	v_cndmask_b32_e64 v23, 0, 0xffffffc0, vcc_lo
	s_delay_alu instid0(VALU_DEP_2) | instskip(NEXT) | instid1(VALU_DEP_2)
	v_mad_nc_u64_u32 v[24:25], 0xdb629599, v16, v[24:25]
	v_dual_mov_b32 v27, v17 :: v_dual_add_nc_u32 v21, v23, v21
	s_delay_alu instid0(VALU_DEP_1) | instskip(NEXT) | instid1(VALU_DEP_3)
	v_cmp_lt_u32_e64 s0, 31, v21
	v_mov_b32_e32 v26, v25
	s_delay_alu instid0(VALU_DEP_2) | instskip(SKIP_1) | instid1(VALU_DEP_3)
	v_cndmask_b32_e64 v23, 0, 0xffffffe0, s0
	v_cndmask_b32_e32 v20, v24, v20, vcc_lo
	v_mad_nc_u64_u32 v[26:27], 0xf534ddc0, v16, v[26:27]
	s_delay_alu instid0(VALU_DEP_1) | instskip(NEXT) | instid1(VALU_DEP_1)
	v_dual_mov_b32 v29, v17 :: v_dual_mov_b32 v28, v27
	v_mad_nc_u64_u32 v[28:29], 0xfc2757d1, v16, v[28:29]
	s_delay_alu instid0(VALU_DEP_1) | instskip(NEXT) | instid1(VALU_DEP_1)
	v_mov_b32_e32 v30, v29
	v_mad_nc_u64_u32 v[30:31], 0x4e441529, v16, v[30:31]
	s_delay_alu instid0(VALU_DEP_1) | instskip(NEXT) | instid1(VALU_DEP_1)
	v_mov_b32_e32 v32, v31
	v_mad_nc_u64_u32 v[32:33], 0xa2f9836e, v16, v[32:33]
	s_delay_alu instid0(VALU_DEP_3) | instskip(NEXT) | instid1(VALU_DEP_2)
	v_dual_cndmask_b32 v23, v30, v26 :: v_dual_add_nc_u32 v16, v23, v21
	v_cndmask_b32_e32 v25, v32, v28, vcc_lo
	s_delay_alu instid0(VALU_DEP_2) | instskip(NEXT) | instid1(VALU_DEP_4)
	v_cmp_lt_u32_e64 s1, 31, v16
	v_dual_cndmask_b32 v27, v33, v30 :: v_dual_cndmask_b32 v28, v28, v24
	s_delay_alu instid0(VALU_DEP_2) | instskip(NEXT) | instid1(VALU_DEP_1)
	v_cndmask_b32_e64 v21, 0, 0xffffffe0, s1
	v_dual_cndmask_b32 v21, v26, v22 :: v_dual_add_nc_u32 v16, v21, v16
	s_delay_alu instid0(VALU_DEP_3) | instskip(NEXT) | instid1(VALU_DEP_4)
	v_dual_cndmask_b32 v22, v25, v23, s0 :: v_dual_cndmask_b32 v25, v27, v25, s0
	v_cndmask_b32_e64 v23, v23, v28, s0
	s_delay_alu instid0(VALU_DEP_3) | instskip(SKIP_1) | instid1(VALU_DEP_3)
	v_dual_sub_nc_u32 v26, 32, v16 :: v_dual_cndmask_b32 v27, v28, v21, s0
	v_cmp_eq_u32_e32 vcc_lo, 0, v16
	v_dual_cndmask_b32 v25, v25, v22, s1 :: v_dual_cndmask_b32 v22, v22, v23, s1
	s_delay_alu instid0(VALU_DEP_1) | instskip(NEXT) | instid1(VALU_DEP_1)
	v_alignbit_b32 v28, v25, v22, v26
	v_dual_cndmask_b32 v23, v23, v27, s1 :: v_dual_cndmask_b32 v16, v28, v25, vcc_lo
	s_delay_alu instid0(VALU_DEP_1) | instskip(NEXT) | instid1(VALU_DEP_1)
	v_alignbit_b32 v24, v22, v23, v26
	v_dual_cndmask_b32 v20, v21, v20, s0 :: v_dual_cndmask_b32 v21, v24, v22, vcc_lo
	s_delay_alu instid0(VALU_DEP_3) | instskip(NEXT) | instid1(VALU_DEP_2)
	v_bfe_u32 v22, v16, 29, 1
	v_cndmask_b32_e64 v20, v27, v20, s1
	s_delay_alu instid0(VALU_DEP_3) | instskip(NEXT) | instid1(VALU_DEP_3)
	v_alignbit_b32 v24, v16, v21, 30
	v_sub_nc_u32_e32 v25, 0, v22
	s_delay_alu instid0(VALU_DEP_3) | instskip(NEXT) | instid1(VALU_DEP_1)
	v_alignbit_b32 v26, v23, v20, v26
	v_dual_cndmask_b32 v23, v26, v23, vcc_lo :: v_dual_bitop2_b32 v24, v24, v25 bitop3:0x14
	s_delay_alu instid0(VALU_DEP_1) | instskip(NEXT) | instid1(VALU_DEP_2)
	v_clz_i32_u32_e32 v26, v24
	v_alignbit_b32 v21, v21, v23, 30
	v_alignbit_b32 v20, v23, v20, 30
	s_delay_alu instid0(VALU_DEP_3) | instskip(NEXT) | instid1(VALU_DEP_3)
	v_min_u32_e32 v26, 32, v26
	v_xor_b32_e32 v21, v21, v25
	s_delay_alu instid0(VALU_DEP_3) | instskip(NEXT) | instid1(VALU_DEP_3)
	v_dual_lshrrev_b32 v25, 29, v16 :: v_dual_bitop2_b32 v20, v20, v25 bitop3:0x14
	v_dual_sub_nc_u32 v23, 31, v26 :: v_dual_lshlrev_b32 v27, 23, v26
	s_delay_alu instid0(VALU_DEP_1) | instskip(NEXT) | instid1(VALU_DEP_3)
	v_alignbit_b32 v24, v24, v21, v23
	v_alignbit_b32 v20, v21, v20, v23
	s_delay_alu instid0(VALU_DEP_4) | instskip(NEXT) | instid1(VALU_DEP_2)
	v_lshlrev_b32_e32 v21, 31, v25
	v_alignbit_b32 v23, v24, v20, 9
	s_delay_alu instid0(VALU_DEP_2) | instskip(SKIP_1) | instid1(VALU_DEP_3)
	v_dual_lshrrev_b32 v24, 9, v24 :: v_dual_bitop2_b32 v25, 0.5, v21 bitop3:0x54
	v_or_b32_e32 v21, 0x33000000, v21
	v_clz_i32_u32_e32 v28, v23
	s_delay_alu instid0(VALU_DEP_3) | instskip(NEXT) | instid1(VALU_DEP_2)
	v_sub_nc_u32_e32 v25, v25, v27
	v_min_u32_e32 v27, 32, v28
	s_delay_alu instid0(VALU_DEP_1) | instskip(NEXT) | instid1(VALU_DEP_3)
	v_add_lshl_u32 v26, v27, v26, 23
	v_or_b32_e32 v24, v24, v25
	v_not_b32_e32 v25, v27
	s_delay_alu instid0(VALU_DEP_2) | instskip(NEXT) | instid1(VALU_DEP_2)
	v_dual_mul_f32 v28, 0x3fc90fda, v24 :: v_dual_sub_nc_u32 v21, v21, v26
	v_alignbit_b32 v20, v23, v20, v25
	s_delay_alu instid0(VALU_DEP_2) | instskip(NEXT) | instid1(VALU_DEP_2)
	v_fma_f32 v23, 0x3fc90fda, v24, -v28
	v_lshrrev_b32_e32 v20, 9, v20
	s_delay_alu instid0(VALU_DEP_2) | instskip(NEXT) | instid1(VALU_DEP_2)
	v_fmac_f32_e32 v23, 0x33a22168, v24
	v_or_b32_e32 v20, v21, v20
	s_delay_alu instid0(VALU_DEP_1) | instskip(SKIP_1) | instid1(VALU_DEP_1)
	v_fmac_f32_e32 v23, 0x3fc90fda, v20
	v_lshrrev_b32_e32 v20, 30, v16
	v_dual_add_nc_u32 v20, v22, v20 :: v_dual_add_f32 v16, v28, v23
	s_and_not1_saveexec_b32 s0, s21
	s_cbranch_execnz .LBB254_296
	s_branch .LBB254_297
.LBB254_295:                            ;   in Loop: Header=BB254_233 Depth=1
	s_and_not1_saveexec_b32 s0, s21
.LBB254_296:                            ;   in Loop: Header=BB254_233 Depth=1
	v_mul_f32_e64 v16, 0x3f22f983, |v11|
	s_delay_alu instid0(VALU_DEP_1) | instskip(NEXT) | instid1(VALU_DEP_1)
	v_rndne_f32_e32 v20, v16
	v_fma_f32 v16, 0xbfc90fda, v20, |v11|
	s_delay_alu instid0(VALU_DEP_1) | instskip(NEXT) | instid1(VALU_DEP_1)
	v_fmac_f32_e32 v16, 0xb3a22168, v20
	v_fmac_f32_e32 v16, 0xa7c234c4, v20
	v_cvt_i32_f32_e32 v20, v20
.LBB254_297:                            ;   in Loop: Header=BB254_233 Depth=1
	s_or_b32 exec_lo, exec_lo, s0
	v_dual_mul_f32 v21, 0xbfb8aa3b, v10 :: v_dual_mul_f32 v22, v9, v9
	s_delay_alu instid0(VALU_DEP_2) | instskip(SKIP_1) | instid1(VALU_DEP_3)
	v_mul_f32_e32 v24, v16, v16
	v_cmp_ngt_f32_e64 s0, 0xc2b17218, v10
	v_fma_f32 v26, 0xbfb8aa3b, v10, -v21
	s_delay_alu instid0(VALU_DEP_4) | instskip(NEXT) | instid1(VALU_DEP_4)
	v_fmaak_f32 v27, s13, v22, 0x3c0881c4
	v_fmaak_f32 v29, s13, v24, 0x3c0881c4
	v_rndne_f32_e32 v25, v21
	v_and_b32_e32 v23, 1, v12
	s_delay_alu instid0(VALU_DEP_3) | instskip(NEXT) | instid1(VALU_DEP_3)
	v_fmaak_f32 v29, v24, v29, 0xbe2aaa9d
	v_dual_fmac_f32 v26, 0xb2a5705f, v10 :: v_dual_sub_f32 v21, v21, v25
	v_cvt_i32_f32_e32 v25, v25
	s_delay_alu instid0(VALU_DEP_4) | instskip(NEXT) | instid1(VALU_DEP_4)
	v_cmp_eq_u32_e32 vcc_lo, 0, v23
	v_mul_f32_e32 v29, v24, v29
	v_fmaak_f32 v27, v22, v27, 0xbe2aaa9d
	v_dual_fmaak_f32 v30, s14, v24, 0xbab64f3b :: v_dual_add_f32 v21, v21, v26
	s_delay_alu instid0(VALU_DEP_3) | instskip(NEXT) | instid1(VALU_DEP_3)
	v_fmac_f32_e32 v16, v16, v29
	v_dual_fmaak_f32 v28, s14, v22, 0xbab64f3b :: v_dual_mul_f32 v27, v22, v27
	s_delay_alu instid0(VALU_DEP_3) | instskip(NEXT) | instid1(VALU_DEP_3)
	v_exp_f32_e32 v21, v21
	v_fmaak_f32 v26, v24, v30, 0x3d2aabf7
	s_delay_alu instid0(VALU_DEP_2) | instskip(NEXT) | instid1(VALU_DEP_2)
	v_dual_fmaak_f32 v28, v22, v28, 0x3d2aabf7 :: v_dual_fmac_f32 v9, v9, v27
	v_fmaak_f32 v26, v24, v26, 0xbf000004
	s_delay_alu instid0(TRANS32_DEP_1) | instskip(NEXT) | instid1(VALU_DEP_3)
	v_ldexp_f32 v21, v21, v25
	v_fmaak_f32 v28, v22, v28, 0xbf000004
	s_delay_alu instid0(VALU_DEP_3) | instskip(NEXT) | instid1(VALU_DEP_2)
	v_fma_f32 v24, v24, v26, 1.0
	v_fma_f32 v22, v22, v28, 1.0
	v_dual_lshlrev_b32 v20, 30, v20 :: v_dual_bitop2_b32 v25, 1, v20 bitop3:0x40
	s_delay_alu instid0(VALU_DEP_2) | instskip(NEXT) | instid1(VALU_DEP_2)
	v_cndmask_b32_e64 v9, -v9, v22, vcc_lo
	v_cmp_eq_u32_e32 vcc_lo, 0, v25
	s_delay_alu instid0(VALU_DEP_3) | instskip(SKIP_3) | instid1(VALU_DEP_3)
	v_and_or_b32 v8, 0x80000000, v20, v8
	v_cndmask_b32_e32 v16, v24, v16, vcc_lo
	v_cmp_nlt_f32_e32 vcc_lo, 0x42ce8ed0, v10
	v_lshlrev_b32_e32 v12, 30, v12
	v_xor3_b32 v8, v8, v16, v13
	v_cndmask_b32_e32 v20, 0, v21, vcc_lo
	s_delay_alu instid0(VALU_DEP_3) | instskip(SKIP_1) | instid1(VALU_DEP_3)
	v_bitop3_b32 v9, v12, v9, 0x80000000 bitop3:0x6c
	v_cmp_class_f32_e64 vcc_lo, v11, 0x1f8
	v_cndmask_b32_e64 v10, 0x7f800000, v20, s0
	s_delay_alu instid0(VALU_DEP_3) | instskip(SKIP_1) | instid1(VALU_DEP_1)
	v_cndmask_b32_e32 v9, 0x7fc00000, v9, vcc_lo
	v_cndmask_b32_e32 v8, 0x7fc00000, v8, vcc_lo
	v_dual_mul_f32 v12, v10, v9 :: v_dual_mul_f32 v13, v10, v8
                                        ; implicit-def: $vgpr8_vgpr9_vgpr10_vgpr11
                                        ; implicit-def: $vgpr8
.LBB254_298:                            ;   in Loop: Header=BB254_233 Depth=1
	s_and_not1_saveexec_b32 s20, s20
	s_cbranch_execz .LBB254_308
; %bb.299:                              ;   in Loop: Header=BB254_233 Depth=1
	v_cmp_ngt_f32_e64 s21, 0x48000000, |v11|
                                        ; implicit-def: $vgpr12
                                        ; implicit-def: $vgpr9
	s_and_saveexec_b32 s0, s21
	s_delay_alu instid0(SALU_CYCLE_1)
	s_xor_b32 s22, exec_lo, s0
	s_cbranch_execz .LBB254_301
; %bb.300:                              ;   in Loop: Header=BB254_233 Depth=1
	v_and_or_b32 v16, v8, s12, 0x800000
	v_dual_lshrrev_b32 v9, 23, v8 :: v_dual_mov_b32 v31, v17
	v_mov_b32_e32 v33, v17
	s_delay_alu instid0(VALU_DEP_3) | instskip(SKIP_1) | instid1(VALU_DEP_4)
	v_mul_u64_e32 v[20:21], s[6:7], v[16:17]
	v_mov_b32_e32 v23, v17
	v_add_nc_u32_e32 v9, 0xffffff88, v9
	s_delay_alu instid0(VALU_DEP_1) | instskip(SKIP_1) | instid1(VALU_DEP_1)
	v_cmp_lt_u32_e32 vcc_lo, 63, v9
	v_cndmask_b32_e64 v12, 0, 0xffffffc0, vcc_lo
	v_add_nc_u32_e32 v9, v12, v9
	s_delay_alu instid0(VALU_DEP_1) | instskip(NEXT) | instid1(VALU_DEP_1)
	v_cmp_lt_u32_e64 s0, 31, v9
	v_cndmask_b32_e64 v12, 0, 0xffffffe0, s0
	s_delay_alu instid0(VALU_DEP_1) | instskip(NEXT) | instid1(VALU_DEP_1)
	v_dual_mov_b32 v22, v21 :: v_dual_add_nc_u32 v9, v12, v9
	v_mad_nc_u64_u32 v[22:23], 0x3c439041, v16, v[22:23]
	v_mov_b32_e32 v25, v17
	s_delay_alu instid0(VALU_DEP_3) | instskip(NEXT) | instid1(VALU_DEP_1)
	v_cmp_lt_u32_e64 s1, 31, v9
	v_cndmask_b32_e64 v12, 0, 0xffffffe0, s1
	s_delay_alu instid0(VALU_DEP_4) | instskip(NEXT) | instid1(VALU_DEP_1)
	v_mov_b32_e32 v24, v23
	v_mad_nc_u64_u32 v[24:25], 0xdb629599, v16, v[24:25]
	s_delay_alu instid0(VALU_DEP_1) | instskip(NEXT) | instid1(VALU_DEP_1)
	v_dual_mov_b32 v27, v17 :: v_dual_mov_b32 v26, v25
	v_mad_nc_u64_u32 v[26:27], 0xf534ddc0, v16, v[26:27]
	v_dual_mov_b32 v29, v17 :: v_dual_add_nc_u32 v9, v12, v9
	s_delay_alu instid0(VALU_DEP_2) | instskip(NEXT) | instid1(VALU_DEP_1)
	v_dual_cndmask_b32 v12, v26, v22, vcc_lo :: v_dual_mov_b32 v28, v27
	v_mad_nc_u64_u32 v[28:29], 0xfc2757d1, v16, v[28:29]
	s_delay_alu instid0(VALU_DEP_1) | instskip(NEXT) | instid1(VALU_DEP_1)
	v_dual_mov_b32 v30, v29 :: v_dual_cndmask_b32 v25, v28, v24
	v_mad_nc_u64_u32 v[30:31], 0x4e441529, v16, v[30:31]
	s_delay_alu instid0(VALU_DEP_1) | instskip(NEXT) | instid1(VALU_DEP_1)
	v_mov_b32_e32 v32, v31
	v_mad_nc_u64_u32 v[32:33], 0xa2f9836e, v16, v[32:33]
	s_delay_alu instid0(VALU_DEP_1) | instskip(NEXT) | instid1(VALU_DEP_2)
	v_dual_cndmask_b32 v16, v30, v26 :: v_dual_cndmask_b32 v21, v32, v28
	v_cndmask_b32_e32 v23, v33, v30, vcc_lo
	s_delay_alu instid0(VALU_DEP_1) | instskip(SKIP_1) | instid1(VALU_DEP_2)
	v_dual_cndmask_b32 v22, v21, v16, s0 :: v_dual_cndmask_b32 v21, v23, v21, s0
	v_dual_cndmask_b32 v16, v16, v25, s0 :: v_dual_cndmask_b32 v25, v25, v12, s0
	v_dual_sub_nc_u32 v23, 32, v9 :: v_dual_cndmask_b32 v21, v21, v22, s1
	s_delay_alu instid0(VALU_DEP_2) | instskip(NEXT) | instid1(VALU_DEP_1)
	v_dual_cndmask_b32 v22, v22, v16, s1 :: v_dual_cndmask_b32 v16, v16, v25, s1
	v_alignbit_b32 v26, v21, v22, v23
	v_cndmask_b32_e32 v20, v24, v20, vcc_lo
	v_cmp_eq_u32_e32 vcc_lo, 0, v9
	s_delay_alu instid0(VALU_DEP_4) | instskip(NEXT) | instid1(VALU_DEP_4)
	v_alignbit_b32 v24, v22, v16, v23
	v_cndmask_b32_e32 v9, v26, v21, vcc_lo
	s_delay_alu instid0(VALU_DEP_1) | instskip(SKIP_1) | instid1(VALU_DEP_2)
	v_bfe_u32 v21, v9, 29, 1
	v_cndmask_b32_e64 v12, v12, v20, s0
	v_dual_cndmask_b32 v20, v24, v22, vcc_lo :: v_dual_sub_nc_u32 v24, 0, v21
	s_delay_alu instid0(VALU_DEP_2) | instskip(NEXT) | instid1(VALU_DEP_2)
	v_cndmask_b32_e64 v12, v25, v12, s1
	v_alignbit_b32 v22, v9, v20, 30
	s_delay_alu instid0(VALU_DEP_2) | instskip(NEXT) | instid1(VALU_DEP_2)
	v_alignbit_b32 v23, v16, v12, v23
	v_xor_b32_e32 v22, v22, v24
	s_delay_alu instid0(VALU_DEP_2) | instskip(NEXT) | instid1(VALU_DEP_2)
	v_cndmask_b32_e32 v16, v23, v16, vcc_lo
	v_clz_i32_u32_e32 v23, v22
	s_delay_alu instid0(VALU_DEP_2) | instskip(NEXT) | instid1(VALU_DEP_2)
	v_alignbit_b32 v20, v20, v16, 30
	v_min_u32_e32 v23, 32, v23
	v_alignbit_b32 v12, v16, v12, 30
	s_delay_alu instid0(VALU_DEP_2) | instskip(NEXT) | instid1(VALU_DEP_2)
	v_dual_lshlrev_b32 v25, 23, v23 :: v_dual_bitop2_b32 v16, v20, v24 bitop3:0x14
	v_dual_sub_nc_u32 v20, 31, v23 :: v_dual_bitop2_b32 v12, v12, v24 bitop3:0x14
	v_lshrrev_b32_e32 v24, 29, v9
	s_delay_alu instid0(VALU_DEP_2) | instskip(NEXT) | instid1(VALU_DEP_3)
	v_alignbit_b32 v22, v22, v16, v20
	v_alignbit_b32 v12, v16, v12, v20
	s_delay_alu instid0(VALU_DEP_3) | instskip(NEXT) | instid1(VALU_DEP_2)
	v_lshlrev_b32_e32 v16, 31, v24
	v_alignbit_b32 v20, v22, v12, 9
	s_delay_alu instid0(VALU_DEP_2) | instskip(SKIP_1) | instid1(VALU_DEP_3)
	v_dual_lshrrev_b32 v22, 9, v22 :: v_dual_bitop2_b32 v24, 0.5, v16 bitop3:0x54
	v_or_b32_e32 v16, 0x33000000, v16
	v_clz_i32_u32_e32 v26, v20
	s_delay_alu instid0(VALU_DEP_3) | instskip(NEXT) | instid1(VALU_DEP_2)
	v_sub_nc_u32_e32 v24, v24, v25
	v_min_u32_e32 v25, 32, v26
	s_delay_alu instid0(VALU_DEP_1) | instskip(NEXT) | instid1(VALU_DEP_3)
	v_add_lshl_u32 v23, v25, v23, 23
	v_or_b32_e32 v22, v22, v24
	v_not_b32_e32 v24, v25
	s_delay_alu instid0(VALU_DEP_3) | instskip(NEXT) | instid1(VALU_DEP_3)
	v_sub_nc_u32_e32 v16, v16, v23
	v_mul_f32_e32 v26, 0x3fc90fda, v22
	s_delay_alu instid0(VALU_DEP_3) | instskip(NEXT) | instid1(VALU_DEP_2)
	v_alignbit_b32 v12, v20, v12, v24
	v_fma_f32 v20, 0x3fc90fda, v22, -v26
	s_delay_alu instid0(VALU_DEP_2) | instskip(NEXT) | instid1(VALU_DEP_2)
	v_lshrrev_b32_e32 v12, 9, v12
	v_fmac_f32_e32 v20, 0x33a22168, v22
	s_delay_alu instid0(VALU_DEP_2) | instskip(NEXT) | instid1(VALU_DEP_1)
	v_or_b32_e32 v12, v16, v12
	v_fmac_f32_e32 v20, 0x3fc90fda, v12
	s_delay_alu instid0(VALU_DEP_1) | instskip(NEXT) | instid1(VALU_DEP_1)
	v_dual_add_f32 v9, v26, v20 :: v_dual_lshrrev_b32 v12, 30, v9
	v_add_nc_u32_e32 v12, v21, v12
	s_and_not1_saveexec_b32 s0, s22
	s_branch .LBB254_302
.LBB254_301:                            ;   in Loop: Header=BB254_233 Depth=1
	s_and_not1_saveexec_b32 s0, s22
.LBB254_302:                            ;   in Loop: Header=BB254_233 Depth=1
	v_mul_f32_e64 v9, 0x3f22f983, |v11|
	s_delay_alu instid0(VALU_DEP_1) | instskip(NEXT) | instid1(VALU_DEP_1)
	v_rndne_f32_e32 v12, v9
	v_fma_f32 v9, 0xbfc90fda, v12, |v11|
	s_delay_alu instid0(VALU_DEP_1) | instskip(NEXT) | instid1(VALU_DEP_1)
	v_fmac_f32_e32 v9, 0xb3a22168, v12
	v_fmac_f32_e32 v9, 0xa7c234c4, v12
	v_cvt_i32_f32_e32 v12, v12
; %bb.303:                              ;   in Loop: Header=BB254_233 Depth=1
	s_or_b32 exec_lo, exec_lo, s0
                                        ; implicit-def: $vgpr20
                                        ; implicit-def: $vgpr16
	s_and_saveexec_b32 s0, s21
	s_delay_alu instid0(SALU_CYCLE_1)
	s_xor_b32 s21, exec_lo, s0
	s_cbranch_execz .LBB254_305
; %bb.304:                              ;   in Loop: Header=BB254_233 Depth=1
	v_and_or_b32 v16, v8, s12, 0x800000
	v_dual_mov_b32 v31, v17 :: v_dual_mov_b32 v33, v17
	s_delay_alu instid0(VALU_DEP_2) | instskip(NEXT) | instid1(VALU_DEP_1)
	v_mul_u64_e32 v[20:21], s[6:7], v[16:17]
	v_dual_mov_b32 v23, v17 :: v_dual_mov_b32 v22, v21
	v_lshrrev_b32_e32 v21, 23, v8
	s_delay_alu instid0(VALU_DEP_2) | instskip(SKIP_1) | instid1(VALU_DEP_3)
	v_mad_nc_u64_u32 v[22:23], 0x3c439041, v16, v[22:23]
	v_mov_b32_e32 v25, v17
	v_add_nc_u32_e32 v21, 0xffffff88, v21
	s_delay_alu instid0(VALU_DEP_1) | instskip(NEXT) | instid1(VALU_DEP_4)
	v_cmp_lt_u32_e32 vcc_lo, 63, v21
	v_mov_b32_e32 v24, v23
	v_cndmask_b32_e64 v23, 0, 0xffffffc0, vcc_lo
	s_delay_alu instid0(VALU_DEP_2) | instskip(NEXT) | instid1(VALU_DEP_2)
	v_mad_nc_u64_u32 v[24:25], 0xdb629599, v16, v[24:25]
	v_dual_mov_b32 v27, v17 :: v_dual_add_nc_u32 v21, v23, v21
	s_delay_alu instid0(VALU_DEP_1) | instskip(NEXT) | instid1(VALU_DEP_3)
	v_cmp_lt_u32_e64 s0, 31, v21
	v_mov_b32_e32 v26, v25
	s_delay_alu instid0(VALU_DEP_2) | instskip(SKIP_1) | instid1(VALU_DEP_3)
	v_cndmask_b32_e64 v23, 0, 0xffffffe0, s0
	v_cndmask_b32_e32 v20, v24, v20, vcc_lo
	v_mad_nc_u64_u32 v[26:27], 0xf534ddc0, v16, v[26:27]
	s_delay_alu instid0(VALU_DEP_1) | instskip(NEXT) | instid1(VALU_DEP_1)
	v_dual_mov_b32 v29, v17 :: v_dual_mov_b32 v28, v27
	v_mad_nc_u64_u32 v[28:29], 0xfc2757d1, v16, v[28:29]
	s_delay_alu instid0(VALU_DEP_1) | instskip(NEXT) | instid1(VALU_DEP_1)
	v_mov_b32_e32 v30, v29
	v_mad_nc_u64_u32 v[30:31], 0x4e441529, v16, v[30:31]
	s_delay_alu instid0(VALU_DEP_1) | instskip(NEXT) | instid1(VALU_DEP_1)
	v_mov_b32_e32 v32, v31
	v_mad_nc_u64_u32 v[32:33], 0xa2f9836e, v16, v[32:33]
	s_delay_alu instid0(VALU_DEP_3) | instskip(NEXT) | instid1(VALU_DEP_2)
	v_dual_cndmask_b32 v23, v30, v26 :: v_dual_add_nc_u32 v16, v23, v21
	v_cndmask_b32_e32 v25, v32, v28, vcc_lo
	s_delay_alu instid0(VALU_DEP_2) | instskip(NEXT) | instid1(VALU_DEP_4)
	v_cmp_lt_u32_e64 s1, 31, v16
	v_dual_cndmask_b32 v27, v33, v30 :: v_dual_cndmask_b32 v28, v28, v24
	s_delay_alu instid0(VALU_DEP_2) | instskip(NEXT) | instid1(VALU_DEP_1)
	v_cndmask_b32_e64 v21, 0, 0xffffffe0, s1
	v_dual_cndmask_b32 v21, v26, v22 :: v_dual_add_nc_u32 v16, v21, v16
	s_delay_alu instid0(VALU_DEP_3) | instskip(NEXT) | instid1(VALU_DEP_4)
	v_dual_cndmask_b32 v22, v25, v23, s0 :: v_dual_cndmask_b32 v25, v27, v25, s0
	v_cndmask_b32_e64 v23, v23, v28, s0
	s_delay_alu instid0(VALU_DEP_3) | instskip(SKIP_1) | instid1(VALU_DEP_3)
	v_dual_sub_nc_u32 v26, 32, v16 :: v_dual_cndmask_b32 v27, v28, v21, s0
	v_cmp_eq_u32_e32 vcc_lo, 0, v16
	v_dual_cndmask_b32 v25, v25, v22, s1 :: v_dual_cndmask_b32 v22, v22, v23, s1
	s_delay_alu instid0(VALU_DEP_1) | instskip(NEXT) | instid1(VALU_DEP_1)
	v_alignbit_b32 v28, v25, v22, v26
	v_dual_cndmask_b32 v23, v23, v27, s1 :: v_dual_cndmask_b32 v16, v28, v25, vcc_lo
	s_delay_alu instid0(VALU_DEP_1) | instskip(NEXT) | instid1(VALU_DEP_1)
	v_alignbit_b32 v24, v22, v23, v26
	v_dual_cndmask_b32 v20, v21, v20, s0 :: v_dual_cndmask_b32 v21, v24, v22, vcc_lo
	s_delay_alu instid0(VALU_DEP_3) | instskip(NEXT) | instid1(VALU_DEP_2)
	v_bfe_u32 v22, v16, 29, 1
	v_cndmask_b32_e64 v20, v27, v20, s1
	s_delay_alu instid0(VALU_DEP_3) | instskip(NEXT) | instid1(VALU_DEP_3)
	v_alignbit_b32 v24, v16, v21, 30
	v_sub_nc_u32_e32 v25, 0, v22
	s_delay_alu instid0(VALU_DEP_3) | instskip(NEXT) | instid1(VALU_DEP_1)
	v_alignbit_b32 v26, v23, v20, v26
	v_dual_cndmask_b32 v23, v26, v23, vcc_lo :: v_dual_bitop2_b32 v24, v24, v25 bitop3:0x14
	s_delay_alu instid0(VALU_DEP_1) | instskip(NEXT) | instid1(VALU_DEP_2)
	v_clz_i32_u32_e32 v26, v24
	v_alignbit_b32 v21, v21, v23, 30
	v_alignbit_b32 v20, v23, v20, 30
	s_delay_alu instid0(VALU_DEP_3) | instskip(NEXT) | instid1(VALU_DEP_3)
	v_min_u32_e32 v26, 32, v26
	v_xor_b32_e32 v21, v21, v25
	s_delay_alu instid0(VALU_DEP_3) | instskip(NEXT) | instid1(VALU_DEP_3)
	v_dual_lshrrev_b32 v25, 29, v16 :: v_dual_bitop2_b32 v20, v20, v25 bitop3:0x14
	v_dual_sub_nc_u32 v23, 31, v26 :: v_dual_lshlrev_b32 v27, 23, v26
	s_delay_alu instid0(VALU_DEP_1) | instskip(NEXT) | instid1(VALU_DEP_3)
	v_alignbit_b32 v24, v24, v21, v23
	v_alignbit_b32 v20, v21, v20, v23
	s_delay_alu instid0(VALU_DEP_4) | instskip(NEXT) | instid1(VALU_DEP_2)
	v_lshlrev_b32_e32 v21, 31, v25
	v_alignbit_b32 v23, v24, v20, 9
	s_delay_alu instid0(VALU_DEP_2) | instskip(SKIP_1) | instid1(VALU_DEP_3)
	v_dual_lshrrev_b32 v24, 9, v24 :: v_dual_bitop2_b32 v25, 0.5, v21 bitop3:0x54
	v_or_b32_e32 v21, 0x33000000, v21
	v_clz_i32_u32_e32 v28, v23
	s_delay_alu instid0(VALU_DEP_3) | instskip(NEXT) | instid1(VALU_DEP_2)
	v_sub_nc_u32_e32 v25, v25, v27
	v_min_u32_e32 v27, 32, v28
	s_delay_alu instid0(VALU_DEP_1) | instskip(NEXT) | instid1(VALU_DEP_3)
	v_add_lshl_u32 v26, v27, v26, 23
	v_or_b32_e32 v24, v24, v25
	v_not_b32_e32 v25, v27
	s_delay_alu instid0(VALU_DEP_2) | instskip(NEXT) | instid1(VALU_DEP_2)
	v_dual_mul_f32 v28, 0x3fc90fda, v24 :: v_dual_sub_nc_u32 v21, v21, v26
	v_alignbit_b32 v20, v23, v20, v25
	s_delay_alu instid0(VALU_DEP_2) | instskip(NEXT) | instid1(VALU_DEP_2)
	v_fma_f32 v23, 0x3fc90fda, v24, -v28
	v_lshrrev_b32_e32 v20, 9, v20
	s_delay_alu instid0(VALU_DEP_2) | instskip(NEXT) | instid1(VALU_DEP_2)
	v_fmac_f32_e32 v23, 0x33a22168, v24
	v_or_b32_e32 v20, v21, v20
	s_delay_alu instid0(VALU_DEP_1) | instskip(SKIP_1) | instid1(VALU_DEP_1)
	v_fmac_f32_e32 v23, 0x3fc90fda, v20
	v_lshrrev_b32_e32 v20, 30, v16
	v_dual_add_nc_u32 v20, v22, v20 :: v_dual_add_f32 v16, v28, v23
	s_and_not1_saveexec_b32 s0, s21
	s_cbranch_execnz .LBB254_306
	s_branch .LBB254_307
.LBB254_305:                            ;   in Loop: Header=BB254_233 Depth=1
	s_and_not1_saveexec_b32 s0, s21
.LBB254_306:                            ;   in Loop: Header=BB254_233 Depth=1
	v_mul_f32_e64 v16, 0x3f22f983, |v11|
	s_delay_alu instid0(VALU_DEP_1) | instskip(NEXT) | instid1(VALU_DEP_1)
	v_rndne_f32_e32 v20, v16
	v_fma_f32 v16, 0xbfc90fda, v20, |v11|
	s_delay_alu instid0(VALU_DEP_1) | instskip(NEXT) | instid1(VALU_DEP_1)
	v_fmac_f32_e32 v16, 0xb3a22168, v20
	v_fmac_f32_e32 v16, 0xa7c234c4, v20
	v_cvt_i32_f32_e32 v20, v20
.LBB254_307:                            ;   in Loop: Header=BB254_233 Depth=1
	s_or_b32 exec_lo, exec_lo, s0
	v_sub_f32_e32 v10, 0xc322e3bc, v10
	s_delay_alu instid0(VALU_DEP_2) | instskip(SKIP_1) | instid1(VALU_DEP_3)
	v_dual_mul_f32 v24, v9, v9 :: v_dual_bitop2_b32 v26, 1, v20 bitop3:0x40
	v_mul_f32_e32 v25, v16, v16
	v_mul_f32_e32 v21, 0x3fb8aa3b, v10
	s_delay_alu instid0(VALU_DEP_2) | instskip(NEXT) | instid1(VALU_DEP_2)
	v_dual_fmaak_f32 v27, s13, v24, 0x3c0881c4 :: v_dual_fmaak_f32 v28, s13, v25, 0x3c0881c4
	v_fma_f32 v22, 0x3fb8aa3b, v10, -v21
	v_rndne_f32_e32 v23, v21
	s_delay_alu instid0(VALU_DEP_3) | instskip(NEXT) | instid1(VALU_DEP_2)
	v_fmaak_f32 v27, v24, v27, 0xbe2aaa9d
	v_dual_sub_f32 v21, v21, v23 :: v_dual_fmac_f32 v22, 0x32a5705f, v10
	v_cvt_i32_f32_e32 v23, v23
	v_cmp_ngt_f32_e32 vcc_lo, 0xc2ce8ed0, v10
	s_delay_alu instid0(VALU_DEP_3) | instskip(SKIP_1) | instid1(VALU_DEP_2)
	v_dual_mul_f32 v27, v24, v27 :: v_dual_add_f32 v21, v21, v22
	v_dual_lshlrev_b32 v22, 30, v12 :: v_dual_bitop2_b32 v12, 1, v12 bitop3:0x40
	v_fmac_f32_e32 v9, v9, v27
	s_delay_alu instid0(VALU_DEP_3) | instskip(SKIP_1) | instid1(TRANS32_DEP_1)
	v_exp_f32_e32 v21, v21
	v_nop
	v_ldexp_f32 v21, v21, v23
	s_delay_alu instid0(VALU_DEP_1) | instskip(NEXT) | instid1(VALU_DEP_1)
	v_dual_cndmask_b32 v21, 0, v21 :: v_dual_lshlrev_b32 v20, 30, v20
	v_and_or_b32 v8, 0x80000000, v20, v8
	v_cmp_nlt_f32_e32 vcc_lo, 0x42b17218, v10
	v_fmaak_f32 v20, v25, v28, 0xbe2aaa9d
	v_fmaak_f32 v29, s14, v25, 0xbab64f3b
	v_cndmask_b32_e32 v10, 0x7f800000, v21, vcc_lo
	v_fmaak_f32 v23, s14, v24, 0xbab64f3b
	s_delay_alu instid0(VALU_DEP_3) | instskip(SKIP_1) | instid1(VALU_DEP_3)
	v_dual_mul_f32 v20, v25, v20 :: v_dual_fmaak_f32 v21, v25, v29, 0x3d2aabf7
	v_cmp_eq_u32_e32 vcc_lo, 0, v26
	v_dual_fmaak_f32 v23, v24, v23, 0x3d2aabf7 :: v_dual_lshrrev_b32 v28, 23, v10
	s_delay_alu instid0(VALU_DEP_3) | instskip(SKIP_1) | instid1(VALU_DEP_3)
	v_dual_fmac_f32 v16, v16, v20 :: v_dual_fmaak_f32 v21, v25, v21, 0xbf000004
	v_and_or_b32 v10, 0x7fffff, v10, s15
	v_subrev_nc_u32_e32 v28, 19, v28
	s_delay_alu instid0(VALU_DEP_4) | instskip(NEXT) | instid1(VALU_DEP_4)
	v_fmaak_f32 v23, v24, v23, 0xbf000004
	v_fma_f32 v20, v25, v21, 1.0
	s_delay_alu instid0(VALU_DEP_2) | instskip(NEXT) | instid1(VALU_DEP_4)
	v_fma_f32 v21, v24, v23, 1.0
	v_lshrrev_b16 v23, 15, v28
	s_delay_alu instid0(VALU_DEP_3) | instskip(SKIP_1) | instid1(VALU_DEP_3)
	v_cndmask_b32_e32 v16, v20, v16, vcc_lo
	v_cmp_eq_u32_e32 vcc_lo, 0, v12
	v_add_nc_u16 v12, v28, v23
	s_delay_alu instid0(VALU_DEP_3) | instskip(SKIP_2) | instid1(VALU_DEP_4)
	v_xor3_b32 v8, v8, v16, v13
	v_cndmask_b32_e64 v9, -v9, v21, vcc_lo
	v_cmp_class_f32_e64 vcc_lo, v11, 0x1f8
	v_ashrrev_i16 v12, 1, v12
	s_delay_alu instid0(VALU_DEP_3) | instskip(SKIP_1) | instid1(VALU_DEP_2)
	v_bitop3_b32 v11, v22, v9, 0x80000000 bitop3:0x6c
	v_cndmask_b32_e32 v9, 0x7fc00000, v8, vcc_lo
	v_cndmask_b32_e32 v8, 0x7fc00000, v11, vcc_lo
	s_delay_alu instid0(VALU_DEP_4) | instskip(NEXT) | instid1(VALU_DEP_1)
	v_bfe_i32 v11, v12, 0, 16
	v_pk_mul_f32 v[8:9], v[8:9], v[10:11] op_sel_hi:[1,0]
	v_sub_nc_u32_e32 v12, v28, v11
	v_lshl_add_u32 v10, v11, 23, 1.0
	s_delay_alu instid0(VALU_DEP_2) | instskip(NEXT) | instid1(VALU_DEP_2)
	v_lshl_add_u32 v12, v12, 23, 1.0
	v_pk_mul_f32 v[8:9], v[8:9], v[10:11] op_sel_hi:[1,0]
	s_delay_alu instid0(VALU_DEP_1)
	v_pk_mul_f32 v[12:13], v[8:9], v[12:13] op_sel_hi:[1,0]
.LBB254_308:                            ;   in Loop: Header=BB254_233 Depth=1
	s_or_b32 exec_lo, exec_lo, s20
                                        ; implicit-def: $vgpr8_vgpr9_vgpr10_vgpr11
                                        ; implicit-def: $vgpr16
                                        ; implicit-def: $vgpr9
.LBB254_309:                            ;   in Loop: Header=BB254_233 Depth=1
	s_and_not1_saveexec_b32 s0, s19
	s_cbranch_execz .LBB254_315
; %bb.310:                              ;   in Loop: Header=BB254_233 Depth=1
	v_sub_f32_e32 v13, v11, v11
	s_mov_b32 s1, exec_lo
	v_cmpx_ne_u32_e32 0x7f800000, v9
	s_xor_b32 s1, exec_lo, s1
; %bb.311:                              ;   in Loop: Header=BB254_233 Depth=1
                                        ; implicit-def: $vgpr16
                                        ; implicit-def: $vgpr8_vgpr9_vgpr10_vgpr11
; %bb.312:                              ;   in Loop: Header=BB254_233 Depth=1
	s_delay_alu instid0(SALU_CYCLE_1)
	s_or_saveexec_b32 s1, s1
	v_mov_b32_e32 v12, v13
	s_xor_b32 exec_lo, exec_lo, s1
; %bb.313:                              ;   in Loop: Header=BB254_233 Depth=1
	v_cmp_lt_i32_e32 vcc_lo, -1, v16
	v_dual_cndmask_b32 v12, 0, -v10, vcc_lo :: v_dual_cndmask_b32 v13, 0, v13, vcc_lo
; %bb.314:                              ;   in Loop: Header=BB254_233 Depth=1
	s_or_b32 exec_lo, exec_lo, s1
.LBB254_315:                            ;   in Loop: Header=BB254_233 Depth=1
	s_delay_alu instid0(SALU_CYCLE_1)
	s_or_b32 exec_lo, exec_lo, s0
                                        ; implicit-def: $vgpr8_vgpr9_vgpr10_vgpr11
                                        ; implicit-def: $vgpr8
.LBB254_316:                            ;   in Loop: Header=BB254_233 Depth=1
	s_and_not1_saveexec_b32 s18, s18
	s_cbranch_execz .LBB254_326
; %bb.317:                              ;   in Loop: Header=BB254_233 Depth=1
	v_cmp_ngt_f32_e64 s19, 0x48000000, |v11|
                                        ; implicit-def: $vgpr10
                                        ; implicit-def: $vgpr9
	s_and_saveexec_b32 s0, s19
	s_delay_alu instid0(SALU_CYCLE_1)
	s_xor_b32 s20, exec_lo, s0
	s_cbranch_execz .LBB254_319
; %bb.318:                              ;   in Loop: Header=BB254_233 Depth=1
	v_and_or_b32 v16, v8, s12, 0x800000
	v_dual_lshrrev_b32 v9, 23, v8 :: v_dual_mov_b32 v31, v17
	v_mov_b32_e32 v33, v17
	s_delay_alu instid0(VALU_DEP_3) | instskip(SKIP_1) | instid1(VALU_DEP_4)
	v_mul_u64_e32 v[20:21], s[6:7], v[16:17]
	v_mov_b32_e32 v23, v17
	v_add_nc_u32_e32 v9, 0xffffff88, v9
	s_delay_alu instid0(VALU_DEP_1) | instskip(SKIP_1) | instid1(VALU_DEP_1)
	v_cmp_lt_u32_e32 vcc_lo, 63, v9
	v_cndmask_b32_e64 v10, 0, 0xffffffc0, vcc_lo
	v_add_nc_u32_e32 v9, v10, v9
	s_delay_alu instid0(VALU_DEP_1) | instskip(NEXT) | instid1(VALU_DEP_1)
	v_cmp_lt_u32_e64 s0, 31, v9
	v_cndmask_b32_e64 v10, 0, 0xffffffe0, s0
	s_delay_alu instid0(VALU_DEP_1) | instskip(NEXT) | instid1(VALU_DEP_1)
	v_dual_mov_b32 v22, v21 :: v_dual_add_nc_u32 v9, v10, v9
	v_mad_nc_u64_u32 v[22:23], 0x3c439041, v16, v[22:23]
	v_mov_b32_e32 v25, v17
	s_delay_alu instid0(VALU_DEP_3) | instskip(NEXT) | instid1(VALU_DEP_1)
	v_cmp_lt_u32_e64 s1, 31, v9
	v_cndmask_b32_e64 v10, 0, 0xffffffe0, s1
	s_delay_alu instid0(VALU_DEP_4) | instskip(NEXT) | instid1(VALU_DEP_1)
	v_mov_b32_e32 v24, v23
	v_mad_nc_u64_u32 v[24:25], 0xdb629599, v16, v[24:25]
	s_delay_alu instid0(VALU_DEP_1) | instskip(NEXT) | instid1(VALU_DEP_2)
	v_dual_mov_b32 v27, v17 :: v_dual_mov_b32 v26, v25
	v_cndmask_b32_e32 v20, v24, v20, vcc_lo
	s_delay_alu instid0(VALU_DEP_2) | instskip(NEXT) | instid1(VALU_DEP_1)
	v_mad_nc_u64_u32 v[26:27], 0xf534ddc0, v16, v[26:27]
	v_dual_mov_b32 v29, v17 :: v_dual_mov_b32 v28, v27
	s_delay_alu instid0(VALU_DEP_1) | instskip(NEXT) | instid1(VALU_DEP_1)
	v_mad_nc_u64_u32 v[28:29], 0xfc2757d1, v16, v[28:29]
	v_dual_mov_b32 v30, v29 :: v_dual_cndmask_b32 v23, v28, v24
	s_delay_alu instid0(VALU_DEP_1) | instskip(NEXT) | instid1(VALU_DEP_1)
	v_mad_nc_u64_u32 v[30:31], 0x4e441529, v16, v[30:31]
	v_mov_b32_e32 v32, v31
	s_delay_alu instid0(VALU_DEP_1) | instskip(NEXT) | instid1(VALU_DEP_1)
	v_mad_nc_u64_u32 v[32:33], 0xa2f9836e, v16, v[32:33]
	v_dual_cndmask_b32 v12, v30, v26, vcc_lo :: v_dual_cndmask_b32 v16, v32, v28, vcc_lo
	s_delay_alu instid0(VALU_DEP_2) | instskip(NEXT) | instid1(VALU_DEP_2)
	v_dual_cndmask_b32 v21, v33, v30, vcc_lo :: v_dual_add_nc_u32 v9, v10, v9
	v_dual_cndmask_b32 v10, v26, v22, vcc_lo :: v_dual_cndmask_b32 v22, v16, v12, s0
	s_delay_alu instid0(VALU_DEP_2) | instskip(NEXT) | instid1(VALU_DEP_2)
	v_dual_cndmask_b32 v16, v21, v16, s0 :: v_dual_cndmask_b32 v12, v12, v23, s0
	v_dual_sub_nc_u32 v21, 32, v9 :: v_dual_cndmask_b32 v23, v23, v10, s0
	v_cmp_eq_u32_e32 vcc_lo, 0, v9
	s_delay_alu instid0(VALU_DEP_3) | instskip(NEXT) | instid1(VALU_DEP_4)
	v_dual_cndmask_b32 v16, v16, v22, s1 :: v_dual_cndmask_b32 v10, v10, v20, s0
	v_cndmask_b32_e64 v22, v22, v12, s1
	s_delay_alu instid0(VALU_DEP_1) | instskip(NEXT) | instid1(VALU_DEP_1)
	v_alignbit_b32 v25, v16, v22, v21
	v_dual_cndmask_b32 v12, v12, v23, s1 :: v_dual_cndmask_b32 v9, v25, v16, vcc_lo
	s_delay_alu instid0(VALU_DEP_1) | instskip(NEXT) | instid1(VALU_DEP_2)
	v_alignbit_b32 v24, v22, v12, v21
	v_bfe_u32 v20, v9, 29, 1
	s_delay_alu instid0(VALU_DEP_2) | instskip(NEXT) | instid1(VALU_DEP_2)
	v_cndmask_b32_e32 v16, v24, v22, vcc_lo
	v_dual_cndmask_b32 v10, v23, v10, s1 :: v_dual_sub_nc_u32 v23, 0, v20
	s_delay_alu instid0(VALU_DEP_2) | instskip(NEXT) | instid1(VALU_DEP_2)
	v_alignbit_b32 v22, v9, v16, 30
	v_alignbit_b32 v21, v12, v10, v21
	s_delay_alu instid0(VALU_DEP_1) | instskip(NEXT) | instid1(VALU_DEP_1)
	v_dual_cndmask_b32 v12, v21, v12, vcc_lo :: v_dual_bitop2_b32 v22, v22, v23 bitop3:0x14
	v_clz_i32_u32_e32 v21, v22
	s_delay_alu instid0(VALU_DEP_2) | instskip(SKIP_1) | instid1(VALU_DEP_3)
	v_alignbit_b32 v16, v16, v12, 30
	v_alignbit_b32 v10, v12, v10, 30
	v_min_u32_e32 v21, 32, v21
	s_delay_alu instid0(VALU_DEP_3) | instskip(NEXT) | instid1(VALU_DEP_3)
	v_xor_b32_e32 v12, v16, v23
	v_dual_lshrrev_b32 v23, 29, v9 :: v_dual_bitop2_b32 v10, v10, v23 bitop3:0x14
	s_delay_alu instid0(VALU_DEP_3) | instskip(NEXT) | instid1(VALU_DEP_1)
	v_dual_sub_nc_u32 v16, 31, v21 :: v_dual_lshlrev_b32 v24, 23, v21
	v_alignbit_b32 v22, v22, v12, v16
	s_delay_alu instid0(VALU_DEP_3) | instskip(NEXT) | instid1(VALU_DEP_4)
	v_alignbit_b32 v10, v12, v10, v16
	v_lshlrev_b32_e32 v12, 31, v23
	s_delay_alu instid0(VALU_DEP_2) | instskip(NEXT) | instid1(VALU_DEP_2)
	v_alignbit_b32 v16, v22, v10, 9
	v_dual_lshrrev_b32 v22, 9, v22 :: v_dual_bitop2_b32 v23, 0.5, v12 bitop3:0x54
	v_or_b32_e32 v12, 0x33000000, v12
	s_delay_alu instid0(VALU_DEP_3) | instskip(NEXT) | instid1(VALU_DEP_3)
	v_clz_i32_u32_e32 v25, v16
	v_sub_nc_u32_e32 v23, v23, v24
	s_delay_alu instid0(VALU_DEP_2) | instskip(NEXT) | instid1(VALU_DEP_1)
	v_min_u32_e32 v24, 32, v25
	v_add_lshl_u32 v21, v24, v21, 23
	s_delay_alu instid0(VALU_DEP_1) | instskip(SKIP_1) | instid1(VALU_DEP_1)
	v_dual_sub_nc_u32 v12, v12, v21 :: v_dual_bitop2_b32 v22, v22, v23 bitop3:0x54
	v_not_b32_e32 v23, v24
	v_alignbit_b32 v10, v16, v10, v23
	s_delay_alu instid0(VALU_DEP_1) | instskip(NEXT) | instid1(VALU_DEP_4)
	v_lshrrev_b32_e32 v10, 9, v10
	v_mul_f32_e32 v25, 0x3fc90fda, v22
	s_delay_alu instid0(VALU_DEP_2) | instskip(NEXT) | instid1(VALU_DEP_2)
	v_or_b32_e32 v10, v12, v10
	v_fma_f32 v16, 0x3fc90fda, v22, -v25
	s_delay_alu instid0(VALU_DEP_1) | instskip(NEXT) | instid1(VALU_DEP_1)
	v_fmac_f32_e32 v16, 0x33a22168, v22
	v_fmac_f32_e32 v16, 0x3fc90fda, v10
	s_delay_alu instid0(VALU_DEP_1) | instskip(NEXT) | instid1(VALU_DEP_1)
	v_dual_add_f32 v9, v25, v16 :: v_dual_lshrrev_b32 v10, 30, v9
	v_add_nc_u32_e32 v10, v20, v10
	s_and_not1_saveexec_b32 s0, s20
	s_branch .LBB254_320
.LBB254_319:                            ;   in Loop: Header=BB254_233 Depth=1
	s_and_not1_saveexec_b32 s0, s20
.LBB254_320:                            ;   in Loop: Header=BB254_233 Depth=1
	v_mul_f32_e64 v9, 0x3f22f983, |v11|
	s_delay_alu instid0(VALU_DEP_1) | instskip(NEXT) | instid1(VALU_DEP_1)
	v_rndne_f32_e32 v10, v9
	v_fma_f32 v9, 0xbfc90fda, v10, |v11|
	s_delay_alu instid0(VALU_DEP_1) | instskip(NEXT) | instid1(VALU_DEP_1)
	v_fmac_f32_e32 v9, 0xb3a22168, v10
	v_fmac_f32_e32 v9, 0xa7c234c4, v10
	v_cvt_i32_f32_e32 v10, v10
; %bb.321:                              ;   in Loop: Header=BB254_233 Depth=1
	s_or_b32 exec_lo, exec_lo, s0
                                        ; implicit-def: $vgpr16
                                        ; implicit-def: $vgpr12
	s_and_saveexec_b32 s0, s19
	s_delay_alu instid0(SALU_CYCLE_1)
	s_xor_b32 s19, exec_lo, s0
	s_cbranch_execz .LBB254_323
; %bb.322:                              ;   in Loop: Header=BB254_233 Depth=1
	v_and_or_b32 v16, v8, s12, 0x800000
	v_dual_mov_b32 v31, v17 :: v_dual_lshrrev_b32 v12, 23, v8
	v_mov_b32_e32 v33, v17
	s_delay_alu instid0(VALU_DEP_3) | instskip(NEXT) | instid1(VALU_DEP_1)
	v_mul_u64_e32 v[20:21], s[6:7], v[16:17]
	v_dual_mov_b32 v23, v17 :: v_dual_mov_b32 v22, v21
	s_delay_alu instid0(VALU_DEP_1) | instskip(NEXT) | instid1(VALU_DEP_1)
	v_mad_nc_u64_u32 v[22:23], 0x3c439041, v16, v[22:23]
	v_dual_mov_b32 v25, v17 :: v_dual_mov_b32 v24, v23
	s_delay_alu instid0(VALU_DEP_1) | instskip(NEXT) | instid1(VALU_DEP_1)
	v_mad_nc_u64_u32 v[24:25], 0xdb629599, v16, v[24:25]
	;; [unrolled: 3-line block ×4, first 2 shown]
	v_mov_b32_e32 v30, v29
	s_delay_alu instid0(VALU_DEP_1) | instskip(SKIP_1) | instid1(VALU_DEP_1)
	v_mad_nc_u64_u32 v[30:31], 0x4e441529, v16, v[30:31]
	v_add_nc_u32_e32 v12, 0xffffff88, v12
	v_cmp_lt_u32_e32 vcc_lo, 63, v12
	v_cndmask_b32_e64 v21, 0, 0xffffffc0, vcc_lo
	s_delay_alu instid0(VALU_DEP_4) | instskip(NEXT) | instid1(VALU_DEP_2)
	v_dual_mov_b32 v32, v31 :: v_dual_cndmask_b32 v20, v24, v20, vcc_lo
	v_add_nc_u32_e32 v12, v21, v12
	s_delay_alu instid0(VALU_DEP_2) | instskip(NEXT) | instid1(VALU_DEP_2)
	v_mad_nc_u64_u32 v[32:33], 0xa2f9836e, v16, v[32:33]
	v_cmp_lt_u32_e64 s0, 31, v12
	s_delay_alu instid0(VALU_DEP_1) | instskip(NEXT) | instid1(VALU_DEP_3)
	v_cndmask_b32_e64 v21, 0, 0xffffffe0, s0
	v_dual_cndmask_b32 v23, v32, v28, vcc_lo :: v_dual_cndmask_b32 v25, v33, v30, vcc_lo
	s_delay_alu instid0(VALU_DEP_2) | instskip(SKIP_1) | instid1(VALU_DEP_2)
	v_dual_cndmask_b32 v21, v30, v26 :: v_dual_add_nc_u32 v12, v21, v12
	v_cndmask_b32_e32 v27, v28, v24, vcc_lo
	v_cmp_lt_u32_e64 s1, 31, v12
	s_delay_alu instid0(VALU_DEP_1) | instskip(NEXT) | instid1(VALU_DEP_1)
	v_cndmask_b32_e64 v16, 0, 0xffffffe0, s1
	v_dual_add_nc_u32 v12, v16, v12 :: v_dual_cndmask_b32 v16, v26, v22, vcc_lo
	v_dual_cndmask_b32 v22, v23, v21, s0 :: v_dual_cndmask_b32 v23, v25, v23, s0
	s_delay_alu instid0(VALU_DEP_2) | instskip(NEXT) | instid1(VALU_DEP_3)
	v_dual_cndmask_b32 v21, v21, v27, s0 :: v_dual_sub_nc_u32 v25, 32, v12
	v_cndmask_b32_e64 v26, v27, v16, s0
	v_cmp_eq_u32_e32 vcc_lo, 0, v12
	s_delay_alu instid0(VALU_DEP_3) | instskip(SKIP_1) | instid1(VALU_DEP_2)
	v_dual_cndmask_b32 v23, v23, v22, s1 :: v_dual_cndmask_b32 v22, v22, v21, s1
	v_cndmask_b32_e64 v16, v16, v20, s0
	v_alignbit_b32 v27, v23, v22, v25
	s_delay_alu instid0(VALU_DEP_1) | instskip(NEXT) | instid1(VALU_DEP_1)
	v_dual_cndmask_b32 v21, v21, v26, s1 :: v_dual_cndmask_b32 v12, v27, v23, vcc_lo
	v_alignbit_b32 v24, v22, v21, v25
	s_delay_alu instid0(VALU_DEP_1) | instskip(NEXT) | instid1(VALU_DEP_3)
	v_cndmask_b32_e32 v20, v24, v22, vcc_lo
	v_bfe_u32 v22, v12, 29, 1
	s_delay_alu instid0(VALU_DEP_1) | instskip(NEXT) | instid1(VALU_DEP_3)
	v_dual_sub_nc_u32 v24, 0, v22 :: v_dual_cndmask_b32 v16, v26, v16, s1
	v_alignbit_b32 v23, v12, v20, 30
	s_delay_alu instid0(VALU_DEP_2) | instskip(NEXT) | instid1(VALU_DEP_1)
	v_alignbit_b32 v25, v21, v16, v25
	v_dual_cndmask_b32 v21, v25, v21, vcc_lo :: v_dual_bitop2_b32 v23, v23, v24 bitop3:0x14
	s_delay_alu instid0(VALU_DEP_1) | instskip(NEXT) | instid1(VALU_DEP_2)
	v_clz_i32_u32_e32 v25, v23
	v_alignbit_b32 v20, v20, v21, 30
	s_delay_alu instid0(VALU_DEP_2) | instskip(SKIP_1) | instid1(VALU_DEP_2)
	v_min_u32_e32 v25, 32, v25
	v_alignbit_b32 v16, v21, v16, 30
	v_dual_sub_nc_u32 v21, 31, v25 :: v_dual_bitop2_b32 v20, v20, v24 bitop3:0x14
	s_delay_alu instid0(VALU_DEP_2) | instskip(SKIP_1) | instid1(VALU_DEP_3)
	v_xor_b32_e32 v16, v16, v24
	v_dual_lshrrev_b32 v24, 29, v12 :: v_dual_lshlrev_b32 v26, 23, v25
	v_alignbit_b32 v23, v23, v20, v21
	s_delay_alu instid0(VALU_DEP_3) | instskip(NEXT) | instid1(VALU_DEP_3)
	v_alignbit_b32 v16, v20, v16, v21
	v_lshlrev_b32_e32 v20, 31, v24
	s_delay_alu instid0(VALU_DEP_2) | instskip(NEXT) | instid1(VALU_DEP_2)
	v_alignbit_b32 v21, v23, v16, 9
	v_dual_lshrrev_b32 v23, 9, v23 :: v_dual_bitop2_b32 v24, 0.5, v20 bitop3:0x54
	v_or_b32_e32 v20, 0x33000000, v20
	s_delay_alu instid0(VALU_DEP_3) | instskip(NEXT) | instid1(VALU_DEP_3)
	v_clz_i32_u32_e32 v27, v21
	v_sub_nc_u32_e32 v24, v24, v26
	s_delay_alu instid0(VALU_DEP_2) | instskip(NEXT) | instid1(VALU_DEP_1)
	v_min_u32_e32 v26, 32, v27
	v_add_lshl_u32 v25, v26, v25, 23
	s_delay_alu instid0(VALU_DEP_3) | instskip(SKIP_1) | instid1(VALU_DEP_2)
	v_or_b32_e32 v23, v23, v24
	v_not_b32_e32 v24, v26
	v_dual_mul_f32 v27, 0x3fc90fda, v23 :: v_dual_sub_nc_u32 v20, v20, v25
	s_delay_alu instid0(VALU_DEP_2) | instskip(NEXT) | instid1(VALU_DEP_2)
	v_alignbit_b32 v16, v21, v16, v24
	v_fma_f32 v21, 0x3fc90fda, v23, -v27
	s_delay_alu instid0(VALU_DEP_1) | instskip(NEXT) | instid1(VALU_DEP_1)
	v_dual_fmac_f32 v21, 0x33a22168, v23 :: v_dual_lshrrev_b32 v16, 9, v16
	v_or_b32_e32 v16, v20, v16
	s_delay_alu instid0(VALU_DEP_1) | instskip(SKIP_1) | instid1(VALU_DEP_1)
	v_fmac_f32_e32 v21, 0x3fc90fda, v16
	v_lshrrev_b32_e32 v16, 30, v12
	v_dual_add_nc_u32 v16, v22, v16 :: v_dual_add_f32 v12, v27, v21
	s_and_not1_saveexec_b32 s0, s19
	s_cbranch_execnz .LBB254_324
	s_branch .LBB254_325
.LBB254_323:                            ;   in Loop: Header=BB254_233 Depth=1
	s_and_not1_saveexec_b32 s0, s19
.LBB254_324:                            ;   in Loop: Header=BB254_233 Depth=1
	v_mul_f32_e64 v12, 0x3f22f983, |v11|
	s_delay_alu instid0(VALU_DEP_1) | instskip(NEXT) | instid1(VALU_DEP_1)
	v_rndne_f32_e32 v16, v12
	v_fma_f32 v12, 0xbfc90fda, v16, |v11|
	s_delay_alu instid0(VALU_DEP_1) | instskip(NEXT) | instid1(VALU_DEP_1)
	v_fmac_f32_e32 v12, 0xb3a22168, v16
	v_fmac_f32_e32 v12, 0xa7c234c4, v16
	v_cvt_i32_f32_e32 v16, v16
.LBB254_325:                            ;   in Loop: Header=BB254_233 Depth=1
	s_or_b32 exec_lo, exec_lo, s0
	s_delay_alu instid0(VALU_DEP_1) | instskip(NEXT) | instid1(VALU_DEP_2)
	v_dual_mul_f32 v20, v9, v9 :: v_dual_mul_f32 v21, v12, v12
	v_and_b32_e32 v27, 1, v16
	v_dual_lshlrev_b32 v10, 30, v10 :: v_dual_bitop2_b32 v22, 1, v10 bitop3:0x40
	s_delay_alu instid0(VALU_DEP_3) | instskip(NEXT) | instid1(VALU_DEP_2)
	v_dual_fmaak_f32 v25, s13, v21, 0x3c0881c4 :: v_dual_lshlrev_b32 v16, 30, v16
	v_cmp_eq_u32_e32 vcc_lo, 0, v22
	s_delay_alu instid0(VALU_DEP_2) | instskip(NEXT) | instid1(VALU_DEP_3)
	v_and_or_b32 v8, 0x80000000, v16, v8
	v_fmaak_f32 v25, v21, v25, 0xbe2aaa9d
	s_delay_alu instid0(VALU_DEP_1) | instskip(NEXT) | instid1(VALU_DEP_1)
	v_mul_f32_e32 v25, v21, v25
	v_dual_fmaak_f32 v23, s13, v20, 0x3c0881c4 :: v_dual_fmac_f32 v12, v12, v25
	s_delay_alu instid0(VALU_DEP_1) | instskip(NEXT) | instid1(VALU_DEP_1)
	v_fmaak_f32 v23, v20, v23, 0xbe2aaa9d
	v_dual_fmaak_f32 v24, s14, v20, 0xbab64f3b :: v_dual_mul_f32 v23, v20, v23
	v_fmaak_f32 v26, s14, v21, 0xbab64f3b
	s_delay_alu instid0(VALU_DEP_2) | instskip(NEXT) | instid1(VALU_DEP_2)
	v_dual_fmaak_f32 v24, v20, v24, 0x3d2aabf7 :: v_dual_fmac_f32 v9, v9, v23
	v_fmaak_f32 v26, v21, v26, 0x3d2aabf7
	s_delay_alu instid0(VALU_DEP_2) | instskip(NEXT) | instid1(VALU_DEP_2)
	v_fmaak_f32 v24, v20, v24, 0xbf000004
	v_fmaak_f32 v26, v21, v26, 0xbf000004
	s_delay_alu instid0(VALU_DEP_2) | instskip(NEXT) | instid1(VALU_DEP_2)
	v_fma_f32 v20, v20, v24, 1.0
	v_fma_f32 v21, v21, v26, 1.0
	s_delay_alu instid0(VALU_DEP_2) | instskip(SKIP_1) | instid1(VALU_DEP_2)
	v_cndmask_b32_e64 v9, -v9, v20, vcc_lo
	v_cmp_eq_u32_e32 vcc_lo, 0, v27
	v_bitop3_b32 v9, v10, v9, 0x80000000 bitop3:0x6c
	s_delay_alu instid0(VALU_DEP_4) | instskip(SKIP_1) | instid1(VALU_DEP_2)
	v_cndmask_b32_e32 v12, v21, v12, vcc_lo
	v_cmp_class_f32_e64 vcc_lo, v11, 0x1f8
	v_xor3_b32 v8, v8, v12, v13
	s_delay_alu instid0(VALU_DEP_4) | instskip(NEXT) | instid1(VALU_DEP_2)
	v_cndmask_b32_e32 v12, 0x7fc00000, v9, vcc_lo
	v_cndmask_b32_e32 v13, 0x7fc00000, v8, vcc_lo
.LBB254_326:                            ;   in Loop: Header=BB254_233 Depth=1
	s_or_b32 exec_lo, exec_lo, s18
                                        ; implicit-def: $vgpr8_vgpr9_vgpr10_vgpr11
.LBB254_327:                            ;   in Loop: Header=BB254_233 Depth=1
	s_and_not1_saveexec_b32 s0, s17
	s_cbranch_execz .LBB254_329
; %bb.328:                              ;   in Loop: Header=BB254_233 Depth=1
	v_mul_f32_e32 v8, 0xbfb8aa3b, v10
	v_cmp_nlt_f32_e32 vcc_lo, 0x42ce8ed0, v10
	s_delay_alu instid0(VALU_DEP_2) | instskip(SKIP_1) | instid1(VALU_DEP_1)
	v_rndne_f32_e32 v9, v8
	v_fma_f32 v11, 0xbfb8aa3b, v10, -v8
	v_dual_sub_f32 v8, v8, v9 :: v_dual_fmac_f32 v11, 0xb2a5705f, v10
	v_cvt_i32_f32_e32 v9, v9
	s_delay_alu instid0(VALU_DEP_2) | instskip(NEXT) | instid1(VALU_DEP_1)
	v_add_f32_e32 v8, v8, v11
	v_exp_f32_e32 v8, v8
	v_nop
	s_delay_alu instid0(TRANS32_DEP_1) | instskip(NEXT) | instid1(VALU_DEP_1)
	v_ldexp_f32 v8, v8, v9
	v_cndmask_b32_e32 v8, 0, v8, vcc_lo
	v_cmp_ngt_f32_e32 vcc_lo, 0xc2b17218, v10
	s_delay_alu instid0(VALU_DEP_2)
	v_cndmask_b32_e32 v12, 0x7f800000, v8, vcc_lo
.LBB254_329:                            ;   in Loop: Header=BB254_233 Depth=1
	s_or_b32 exec_lo, exec_lo, s0
	v_mov_b64_e32 v[8:9], s[8:9]
	s_mov_b32 s0, exec_lo
	s_delay_alu instid0(VALU_DEP_1) | instskip(NEXT) | instid1(VALU_DEP_1)
	v_pk_add_f32 v[10:11], v[12:13], v[8:9]
	v_cmp_gt_f32_e32 vcc_lo, 0, v11
	v_cndmask_b32_e64 v12, v11, -v11, vcc_lo
	s_delay_alu instid0(VALU_DEP_3) | instskip(SKIP_1) | instid1(VALU_DEP_1)
	v_cmp_gt_f32_e32 vcc_lo, 0, v10
	v_cndmask_b32_e64 v13, v10, -v10, vcc_lo
	v_cmpx_ge_f32_e32 v13, v12
	s_xor_b32 s1, exec_lo, s0
	s_cbranch_execz .LBB254_335
; %bb.330:                              ;   in Loop: Header=BB254_233 Depth=1
	v_cmp_neq_f32_e32 vcc_lo, 0, v10
	v_cmp_neq_f32_e64 s0, 0, v11
	s_or_b32 s0, vcc_lo, s0
	s_delay_alu instid0(SALU_CYCLE_1) | instskip(NEXT) | instid1(SALU_CYCLE_1)
	s_and_saveexec_b32 s17, s0
	s_xor_b32 s0, exec_lo, s17
	s_cbranch_execz .LBB254_332
; %bb.331:                              ;   in Loop: Header=BB254_233 Depth=1
	v_div_scale_f32 v8, null, v10, v10, v11
	v_div_scale_f32 v13, vcc_lo, v11, v10, v11
	v_mov_b64_e32 v[20:21], s[4:5]
	s_delay_alu instid0(VALU_DEP_3) | instskip(SKIP_1) | instid1(TRANS32_DEP_1)
	v_rcp_f32_e32 v9, v8
	v_nop
	v_fma_f32 v12, -v8, v9, 1.0
	s_delay_alu instid0(VALU_DEP_1) | instskip(NEXT) | instid1(VALU_DEP_1)
	v_fmac_f32_e32 v9, v12, v9
	v_mul_f32_e32 v12, v13, v9
	s_delay_alu instid0(VALU_DEP_1) | instskip(NEXT) | instid1(VALU_DEP_1)
	v_fma_f32 v16, -v8, v12, v13
	v_fmac_f32_e32 v12, v16, v9
	s_delay_alu instid0(VALU_DEP_1) | instskip(NEXT) | instid1(VALU_DEP_1)
	v_fma_f32 v8, -v8, v12, v13
	v_div_fmas_f32 v8, v8, v9, v12
	s_delay_alu instid0(VALU_DEP_1) | instskip(NEXT) | instid1(VALU_DEP_1)
	v_div_fixup_f32 v8, v8, v10, v11
	v_fmac_f32_e32 v10, v11, v8
	s_delay_alu instid0(VALU_DEP_1) | instskip(SKIP_1) | instid1(VALU_DEP_2)
	v_div_scale_f32 v9, null, v10, v10, 1.0
	v_div_scale_f32 v16, vcc_lo, 1.0, v10, 1.0
	v_rcp_f32_e32 v11, v9
	v_nop
	s_delay_alu instid0(TRANS32_DEP_1) | instskip(NEXT) | instid1(VALU_DEP_1)
	v_fma_f32 v12, -v9, v11, 1.0
	v_fmac_f32_e32 v11, v12, v11
	s_delay_alu instid0(VALU_DEP_1) | instskip(NEXT) | instid1(VALU_DEP_1)
	v_mul_f32_e32 v22, v16, v11
	v_fma_f32 v12, -v9, v22, v16
	s_delay_alu instid0(VALU_DEP_1) | instskip(SKIP_1) | instid1(VALU_DEP_2)
	v_fmac_f32_e32 v22, v12, v11
	v_mov_b64_e32 v[12:13], s[8:9]
	v_fma_f32 v9, -v9, v22, v16
	s_delay_alu instid0(VALU_DEP_1) | instskip(NEXT) | instid1(VALU_DEP_3)
	v_div_fmas_f32 v11, v9, v11, v22
	v_pk_fma_f32 v[22:23], v[8:9], v[20:21], v[12:13] op_sel_hi:[0,1,1] neg_lo:[1,0,0] neg_hi:[1,0,0]
	v_pk_fma_f32 v[8:9], v[8:9], v[20:21], v[12:13]
                                        ; implicit-def: $vgpr12
                                        ; implicit-def: $vgpr13
	s_delay_alu instid0(VALU_DEP_3) | instskip(NEXT) | instid1(VALU_DEP_3)
	v_div_fixup_f32 v10, v11, v10, 1.0
	v_mov_b32_e32 v9, v23
	s_delay_alu instid0(VALU_DEP_1)
	v_pk_mul_f32 v[8:9], v[8:9], v[10:11] op_sel_hi:[1,0]
.LBB254_332:                            ;   in Loop: Header=BB254_233 Depth=1
	s_and_not1_saveexec_b32 s17, s0
	s_cbranch_execz .LBB254_334
; %bb.333:                              ;   in Loop: Header=BB254_233 Depth=1
	v_div_scale_f32 v8, null, v12, v12, s9
	v_div_scale_f32 v9, null, v13, v13, s8
	v_div_scale_f32 v21, vcc_lo, s9, v12, s9
	s_delay_alu instid0(VALU_DEP_3) | instskip(NEXT) | instid1(VALU_DEP_2)
	v_rcp_f32_e32 v10, v8
	v_rcp_f32_e32 v11, v9
	s_delay_alu instid0(TRANS32_DEP_2) | instskip(NEXT) | instid1(TRANS32_DEP_1)
	v_fma_f32 v16, -v8, v10, 1.0
	v_fma_f32 v20, -v9, v11, 1.0
	s_delay_alu instid0(VALU_DEP_1) | instskip(NEXT) | instid1(VALU_DEP_3)
	v_fmac_f32_e32 v11, v20, v11
	v_fmac_f32_e32 v10, v16, v10
	v_div_scale_f32 v16, s0, s8, v13, s8
	s_delay_alu instid0(VALU_DEP_1) | instskip(NEXT) | instid1(VALU_DEP_1)
	v_dual_mul_f32 v22, v16, v11 :: v_dual_mul_f32 v20, v21, v10
	v_dual_fma_f32 v24, -v9, v22, v16 :: v_dual_fma_f32 v23, -v8, v20, v21
	s_delay_alu instid0(VALU_DEP_1) | instskip(NEXT) | instid1(VALU_DEP_1)
	v_dual_fmac_f32 v22, v24, v11 :: v_dual_fmac_f32 v20, v23, v10
	v_dual_fma_f32 v9, -v9, v22, v16 :: v_dual_fma_f32 v8, -v8, v20, v21
	s_delay_alu instid0(VALU_DEP_1) | instskip(SKIP_1) | instid1(VALU_DEP_2)
	v_div_fmas_f32 v8, v8, v10, v20
	s_mov_b32 vcc_lo, s0
	v_div_fmas_f32 v10, v9, v11, v22
	s_delay_alu instid0(VALU_DEP_2) | instskip(NEXT) | instid1(VALU_DEP_2)
	v_div_fixup_f32 v9, v8, v12, s9
	v_div_fixup_f32 v8, v10, v13, s8
.LBB254_334:                            ;   in Loop: Header=BB254_233 Depth=1
	s_or_b32 exec_lo, exec_lo, s17
                                        ; implicit-def: $vgpr10_vgpr11
.LBB254_335:                            ;   in Loop: Header=BB254_233 Depth=1
	s_and_not1_saveexec_b32 s0, s1
	s_cbranch_execz .LBB254_337
; %bb.336:                              ;   in Loop: Header=BB254_233 Depth=1
	v_div_scale_f32 v8, null, v11, v11, v10
	v_div_scale_f32 v13, vcc_lo, v10, v11, v10
	v_mov_b64_e32 v[20:21], s[8:9]
	s_delay_alu instid0(VALU_DEP_3) | instskip(SKIP_1) | instid1(TRANS32_DEP_1)
	v_rcp_f32_e32 v9, v8
	v_nop
	v_fma_f32 v12, -v8, v9, 1.0
	s_delay_alu instid0(VALU_DEP_1) | instskip(NEXT) | instid1(VALU_DEP_1)
	v_fmac_f32_e32 v9, v12, v9
	v_mul_f32_e32 v12, v13, v9
	s_delay_alu instid0(VALU_DEP_1) | instskip(NEXT) | instid1(VALU_DEP_1)
	v_fma_f32 v16, -v8, v12, v13
	v_fmac_f32_e32 v12, v16, v9
	s_delay_alu instid0(VALU_DEP_1) | instskip(NEXT) | instid1(VALU_DEP_1)
	v_fma_f32 v8, -v8, v12, v13
	v_div_fmas_f32 v8, v8, v9, v12
	s_delay_alu instid0(VALU_DEP_1) | instskip(NEXT) | instid1(VALU_DEP_1)
	v_div_fixup_f32 v8, v8, v11, v10
	v_fmac_f32_e32 v11, v10, v8
	s_delay_alu instid0(VALU_DEP_1) | instskip(SKIP_1) | instid1(VALU_DEP_2)
	v_div_scale_f32 v9, null, v11, v11, 1.0
	v_div_scale_f32 v16, vcc_lo, 1.0, v11, 1.0
	v_rcp_f32_e32 v10, v9
	v_nop
	s_delay_alu instid0(TRANS32_DEP_1) | instskip(NEXT) | instid1(VALU_DEP_1)
	v_fma_f32 v12, -v9, v10, 1.0
	v_fmac_f32_e32 v10, v12, v10
	s_delay_alu instid0(VALU_DEP_1) | instskip(NEXT) | instid1(VALU_DEP_1)
	v_mul_f32_e32 v22, v16, v10
	v_fma_f32 v12, -v9, v22, v16
	s_delay_alu instid0(VALU_DEP_1) | instskip(SKIP_1) | instid1(VALU_DEP_2)
	v_fmac_f32_e32 v22, v12, v10
	v_mov_b64_e32 v[12:13], s[4:5]
	v_fma_f32 v9, -v9, v22, v16
	s_delay_alu instid0(VALU_DEP_1) | instskip(NEXT) | instid1(VALU_DEP_3)
	v_div_fmas_f32 v10, v9, v10, v22
	v_pk_fma_f32 v[22:23], v[8:9], v[20:21], v[12:13] op_sel_hi:[0,1,1] neg_lo:[0,0,1] neg_hi:[0,0,1]
	v_pk_fma_f32 v[8:9], v[8:9], v[20:21], v[12:13]
	s_delay_alu instid0(VALU_DEP_3) | instskip(NEXT) | instid1(VALU_DEP_3)
	v_div_fixup_f32 v10, v10, v11, 1.0
	v_mov_b32_e32 v9, v23
	s_delay_alu instid0(VALU_DEP_1)
	v_pk_mul_f32 v[8:9], v[8:9], v[10:11] op_sel_hi:[1,0]
.LBB254_337:                            ;   in Loop: Header=BB254_233 Depth=1
	s_or_b32 exec_lo, exec_lo, s0
	s_wait_loadcnt 0x0
	v_and_b32_e32 v12, 0x7fffffff, v3
	v_xor_b32_e32 v11, 0x80000000, v3
	s_mov_b32 s0, exec_lo
	s_delay_alu instid0(VALU_DEP_2)
	v_cmpx_ne_u32_e32 0, v12
	s_xor_b32 s17, exec_lo, s0
	s_cbranch_execz .LBB254_379
; %bb.338:                              ;   in Loop: Header=BB254_233 Depth=1
	v_and_b32_e32 v16, 0x7fffffff, v2
	s_mov_b32 s0, exec_lo
	s_delay_alu instid0(VALU_DEP_1)
	v_cmpx_ne_u32_e32 0, v16
	s_xor_b32 s18, exec_lo, s0
	s_cbranch_execz .LBB254_368
; %bb.339:                              ;   in Loop: Header=BB254_233 Depth=1
	v_xor_b32_e32 v13, 0x80000000, v2
	s_mov_b32 s0, exec_lo
	v_cmpx_gt_u32_e32 0x7f800000, v12
	s_xor_b32 s19, exec_lo, s0
	s_cbranch_execz .LBB254_361
; %bb.340:                              ;   in Loop: Header=BB254_233 Depth=1
	v_add_nc_u32_e32 v10, 0xbd4e8de8, v13
	s_mov_b32 s0, exec_lo
	s_delay_alu instid0(VALU_DEP_1)
	v_cmpx_lt_u32_e32 0x8e8e5c, v10
	s_xor_b32 s20, exec_lo, s0
	s_cbranch_execz .LBB254_350
; %bb.341:                              ;   in Loop: Header=BB254_233 Depth=1
	v_cmp_ngt_f32_e64 s21, 0x48000000, |v3|
                                        ; implicit-def: $vgpr13
                                        ; implicit-def: $vgpr10
	s_and_saveexec_b32 s0, s21
	s_delay_alu instid0(SALU_CYCLE_1)
	s_xor_b32 s22, exec_lo, s0
	s_cbranch_execz .LBB254_343
; %bb.342:                              ;   in Loop: Header=BB254_233 Depth=1
	v_and_or_b32 v16, v12, s12, 0x800000
	v_dual_mov_b32 v31, v17 :: v_dual_lshrrev_b32 v10, 23, v12
	v_mov_b32_e32 v33, v17
	s_delay_alu instid0(VALU_DEP_3) | instskip(NEXT) | instid1(VALU_DEP_1)
	v_mul_u64_e32 v[20:21], s[6:7], v[16:17]
	v_dual_mov_b32 v23, v17 :: v_dual_mov_b32 v22, v21
	s_delay_alu instid0(VALU_DEP_1) | instskip(NEXT) | instid1(VALU_DEP_1)
	v_mad_nc_u64_u32 v[22:23], 0x3c439041, v16, v[22:23]
	v_dual_mov_b32 v25, v17 :: v_dual_mov_b32 v24, v23
	s_delay_alu instid0(VALU_DEP_1) | instskip(NEXT) | instid1(VALU_DEP_1)
	v_mad_nc_u64_u32 v[24:25], 0xdb629599, v16, v[24:25]
	;; [unrolled: 3-line block ×4, first 2 shown]
	v_mov_b32_e32 v30, v29
	s_delay_alu instid0(VALU_DEP_1) | instskip(NEXT) | instid1(VALU_DEP_1)
	v_mad_nc_u64_u32 v[30:31], 0x4e441529, v16, v[30:31]
	v_mov_b32_e32 v32, v31
	s_delay_alu instid0(VALU_DEP_1) | instskip(SKIP_1) | instid1(VALU_DEP_1)
	v_mad_nc_u64_u32 v[32:33], 0xa2f9836e, v16, v[32:33]
	v_add_nc_u32_e32 v10, 0xffffff88, v10
	v_cmp_lt_u32_e32 vcc_lo, 63, v10
	v_cndmask_b32_e64 v13, 0, 0xffffffc0, vcc_lo
	s_delay_alu instid0(VALU_DEP_4) | instskip(NEXT) | instid1(VALU_DEP_2)
	v_cndmask_b32_e32 v21, v32, v28, vcc_lo
	v_dual_cndmask_b32 v25, v28, v24 :: v_dual_add_nc_u32 v10, v13, v10
	s_delay_alu instid0(VALU_DEP_1) | instskip(SKIP_2) | instid1(VALU_DEP_3)
	v_cmp_lt_u32_e64 s0, 31, v10
	v_cndmask_b32_e32 v23, v33, v30, vcc_lo
	v_cndmask_b32_e32 v16, v30, v26, vcc_lo
	v_cndmask_b32_e64 v13, 0, 0xffffffe0, s0
	s_delay_alu instid0(VALU_DEP_1) | instskip(NEXT) | instid1(VALU_DEP_1)
	v_add_nc_u32_e32 v10, v13, v10
	v_cmp_lt_u32_e64 s1, 31, v10
	s_delay_alu instid0(VALU_DEP_1) | instskip(NEXT) | instid1(VALU_DEP_1)
	v_cndmask_b32_e64 v13, 0, 0xffffffe0, s1
	v_add_nc_u32_e32 v10, v13, v10
	v_dual_cndmask_b32 v13, v26, v22, vcc_lo :: v_dual_cndmask_b32 v22, v21, v16, s0
	v_cndmask_b32_e64 v21, v23, v21, s0
	v_cndmask_b32_e64 v16, v16, v25, s0
	s_delay_alu instid0(VALU_DEP_3) | instskip(NEXT) | instid1(VALU_DEP_2)
	v_cndmask_b32_e64 v25, v25, v13, s0
	v_dual_cndmask_b32 v21, v21, v22, s1 :: v_dual_cndmask_b32 v22, v22, v16, s1
	s_delay_alu instid0(VALU_DEP_2) | instskip(NEXT) | instid1(VALU_DEP_1)
	v_dual_sub_nc_u32 v23, 32, v10 :: v_dual_cndmask_b32 v16, v16, v25, s1
	v_alignbit_b32 v26, v21, v22, v23
	v_cndmask_b32_e32 v20, v24, v20, vcc_lo
	v_cmp_eq_u32_e32 vcc_lo, 0, v10
	s_delay_alu instid0(VALU_DEP_4) | instskip(NEXT) | instid1(VALU_DEP_3)
	v_alignbit_b32 v24, v22, v16, v23
	v_dual_cndmask_b32 v10, v26, v21, vcc_lo :: v_dual_cndmask_b32 v13, v13, v20, s0
	s_delay_alu instid0(VALU_DEP_2) | instskip(NEXT) | instid1(VALU_DEP_2)
	v_cndmask_b32_e32 v20, v24, v22, vcc_lo
	v_bfe_u32 v21, v10, 29, 1
	s_delay_alu instid0(VALU_DEP_2) | instskip(NEXT) | instid1(VALU_DEP_2)
	v_alignbit_b32 v22, v10, v20, 30
	v_sub_nc_u32_e32 v24, 0, v21
	s_delay_alu instid0(VALU_DEP_1) | instskip(NEXT) | instid1(VALU_DEP_1)
	v_dual_cndmask_b32 v13, v25, v13, s1 :: v_dual_bitop2_b32 v22, v22, v24 bitop3:0x14
	v_alignbit_b32 v23, v16, v13, v23
	s_delay_alu instid0(VALU_DEP_1) | instskip(NEXT) | instid1(VALU_DEP_3)
	v_cndmask_b32_e32 v16, v23, v16, vcc_lo
	v_clz_i32_u32_e32 v23, v22
	s_delay_alu instid0(VALU_DEP_2) | instskip(NEXT) | instid1(VALU_DEP_2)
	v_alignbit_b32 v20, v20, v16, 30
	v_min_u32_e32 v23, 32, v23
	v_alignbit_b32 v13, v16, v13, 30
	s_delay_alu instid0(VALU_DEP_2) | instskip(NEXT) | instid1(VALU_DEP_2)
	v_dual_sub_nc_u32 v20, 31, v23 :: v_dual_bitop2_b32 v16, v20, v24 bitop3:0x14
	v_dual_lshrrev_b32 v24, 29, v10 :: v_dual_bitop2_b32 v13, v13, v24 bitop3:0x14
	v_lshlrev_b32_e32 v25, 23, v23
	s_delay_alu instid0(VALU_DEP_3) | instskip(NEXT) | instid1(VALU_DEP_3)
	v_alignbit_b32 v22, v22, v16, v20
	v_alignbit_b32 v13, v16, v13, v20
	s_delay_alu instid0(VALU_DEP_4) | instskip(NEXT) | instid1(VALU_DEP_2)
	v_lshlrev_b32_e32 v16, 31, v24
	v_alignbit_b32 v20, v22, v13, 9
	s_delay_alu instid0(VALU_DEP_2) | instskip(SKIP_1) | instid1(VALU_DEP_3)
	v_dual_lshrrev_b32 v22, 9, v22 :: v_dual_bitop2_b32 v24, 0.5, v16 bitop3:0x54
	v_or_b32_e32 v16, 0x33000000, v16
	v_clz_i32_u32_e32 v26, v20
	s_delay_alu instid0(VALU_DEP_3) | instskip(NEXT) | instid1(VALU_DEP_2)
	v_sub_nc_u32_e32 v24, v24, v25
	v_min_u32_e32 v25, 32, v26
	s_delay_alu instid0(VALU_DEP_1) | instskip(NEXT) | instid1(VALU_DEP_3)
	v_add_lshl_u32 v23, v25, v23, 23
	v_or_b32_e32 v22, v22, v24
	v_not_b32_e32 v24, v25
	s_delay_alu instid0(VALU_DEP_3) | instskip(NEXT) | instid1(VALU_DEP_2)
	v_sub_nc_u32_e32 v16, v16, v23
	v_alignbit_b32 v13, v20, v13, v24
	s_delay_alu instid0(VALU_DEP_1) | instskip(NEXT) | instid1(VALU_DEP_1)
	v_dual_mul_f32 v26, 0x3fc90fda, v22 :: v_dual_lshrrev_b32 v13, 9, v13
	v_fma_f32 v20, 0x3fc90fda, v22, -v26
	s_delay_alu instid0(VALU_DEP_2) | instskip(NEXT) | instid1(VALU_DEP_2)
	v_or_b32_e32 v13, v16, v13
	v_fmac_f32_e32 v20, 0x33a22168, v22
	s_delay_alu instid0(VALU_DEP_1) | instskip(NEXT) | instid1(VALU_DEP_1)
	v_dual_fmac_f32 v20, 0x3fc90fda, v13 :: v_dual_lshrrev_b32 v13, 30, v10
	v_dual_add_f32 v10, v26, v20 :: v_dual_add_nc_u32 v13, v21, v13
	s_and_not1_saveexec_b32 s0, s22
	s_branch .LBB254_344
.LBB254_343:                            ;   in Loop: Header=BB254_233 Depth=1
	s_and_not1_saveexec_b32 s0, s22
.LBB254_344:                            ;   in Loop: Header=BB254_233 Depth=1
	v_mul_f32_e64 v10, 0x3f22f983, |v3|
	s_delay_alu instid0(VALU_DEP_1) | instskip(NEXT) | instid1(VALU_DEP_1)
	v_rndne_f32_e32 v13, v10
	v_fma_f32 v10, 0xbfc90fda, v13, |v3|
	s_delay_alu instid0(VALU_DEP_1) | instskip(NEXT) | instid1(VALU_DEP_1)
	v_fmac_f32_e32 v10, 0xb3a22168, v13
	v_fmac_f32_e32 v10, 0xa7c234c4, v13
	v_cvt_i32_f32_e32 v13, v13
; %bb.345:                              ;   in Loop: Header=BB254_233 Depth=1
	s_or_b32 exec_lo, exec_lo, s0
                                        ; implicit-def: $vgpr20
                                        ; implicit-def: $vgpr16
	s_and_saveexec_b32 s0, s21
	s_delay_alu instid0(SALU_CYCLE_1)
	s_xor_b32 s21, exec_lo, s0
	s_cbranch_execz .LBB254_347
; %bb.346:                              ;   in Loop: Header=BB254_233 Depth=1
	v_and_or_b32 v16, v12, s12, 0x800000
	v_dual_mov_b32 v31, v17 :: v_dual_mov_b32 v33, v17
	s_delay_alu instid0(VALU_DEP_2) | instskip(NEXT) | instid1(VALU_DEP_1)
	v_mul_u64_e32 v[20:21], s[6:7], v[16:17]
	v_dual_mov_b32 v23, v17 :: v_dual_mov_b32 v22, v21
	v_lshrrev_b32_e32 v21, 23, v12
	s_delay_alu instid0(VALU_DEP_2) | instskip(SKIP_1) | instid1(VALU_DEP_3)
	v_mad_nc_u64_u32 v[22:23], 0x3c439041, v16, v[22:23]
	v_mov_b32_e32 v25, v17
	v_add_nc_u32_e32 v21, 0xffffff88, v21
	s_delay_alu instid0(VALU_DEP_1) | instskip(NEXT) | instid1(VALU_DEP_4)
	v_cmp_lt_u32_e32 vcc_lo, 63, v21
	v_mov_b32_e32 v24, v23
	v_cndmask_b32_e64 v23, 0, 0xffffffc0, vcc_lo
	s_delay_alu instid0(VALU_DEP_2) | instskip(NEXT) | instid1(VALU_DEP_2)
	v_mad_nc_u64_u32 v[24:25], 0xdb629599, v16, v[24:25]
	v_dual_mov_b32 v27, v17 :: v_dual_add_nc_u32 v21, v23, v21
	s_delay_alu instid0(VALU_DEP_1) | instskip(NEXT) | instid1(VALU_DEP_3)
	v_cmp_lt_u32_e64 s0, 31, v21
	v_mov_b32_e32 v26, v25
	s_delay_alu instid0(VALU_DEP_2) | instskip(SKIP_1) | instid1(VALU_DEP_3)
	v_cndmask_b32_e64 v23, 0, 0xffffffe0, s0
	v_cndmask_b32_e32 v20, v24, v20, vcc_lo
	v_mad_nc_u64_u32 v[26:27], 0xf534ddc0, v16, v[26:27]
	s_delay_alu instid0(VALU_DEP_1) | instskip(NEXT) | instid1(VALU_DEP_1)
	v_dual_mov_b32 v29, v17 :: v_dual_mov_b32 v28, v27
	v_mad_nc_u64_u32 v[28:29], 0xfc2757d1, v16, v[28:29]
	s_delay_alu instid0(VALU_DEP_1) | instskip(NEXT) | instid1(VALU_DEP_1)
	v_mov_b32_e32 v30, v29
	v_mad_nc_u64_u32 v[30:31], 0x4e441529, v16, v[30:31]
	s_delay_alu instid0(VALU_DEP_1) | instskip(NEXT) | instid1(VALU_DEP_1)
	v_mov_b32_e32 v32, v31
	v_mad_nc_u64_u32 v[32:33], 0xa2f9836e, v16, v[32:33]
	s_delay_alu instid0(VALU_DEP_3) | instskip(NEXT) | instid1(VALU_DEP_2)
	v_dual_cndmask_b32 v23, v30, v26 :: v_dual_add_nc_u32 v16, v23, v21
	v_cndmask_b32_e32 v25, v32, v28, vcc_lo
	s_delay_alu instid0(VALU_DEP_2) | instskip(NEXT) | instid1(VALU_DEP_4)
	v_cmp_lt_u32_e64 s1, 31, v16
	v_dual_cndmask_b32 v27, v33, v30 :: v_dual_cndmask_b32 v28, v28, v24
	s_delay_alu instid0(VALU_DEP_2) | instskip(NEXT) | instid1(VALU_DEP_1)
	v_cndmask_b32_e64 v21, 0, 0xffffffe0, s1
	v_dual_cndmask_b32 v21, v26, v22 :: v_dual_add_nc_u32 v16, v21, v16
	s_delay_alu instid0(VALU_DEP_3) | instskip(NEXT) | instid1(VALU_DEP_4)
	v_dual_cndmask_b32 v22, v25, v23, s0 :: v_dual_cndmask_b32 v25, v27, v25, s0
	v_cndmask_b32_e64 v23, v23, v28, s0
	s_delay_alu instid0(VALU_DEP_3) | instskip(SKIP_1) | instid1(VALU_DEP_3)
	v_dual_sub_nc_u32 v26, 32, v16 :: v_dual_cndmask_b32 v27, v28, v21, s0
	v_cmp_eq_u32_e32 vcc_lo, 0, v16
	v_dual_cndmask_b32 v25, v25, v22, s1 :: v_dual_cndmask_b32 v22, v22, v23, s1
	s_delay_alu instid0(VALU_DEP_1) | instskip(NEXT) | instid1(VALU_DEP_1)
	v_alignbit_b32 v28, v25, v22, v26
	v_dual_cndmask_b32 v23, v23, v27, s1 :: v_dual_cndmask_b32 v16, v28, v25, vcc_lo
	s_delay_alu instid0(VALU_DEP_1) | instskip(NEXT) | instid1(VALU_DEP_1)
	v_alignbit_b32 v24, v22, v23, v26
	v_dual_cndmask_b32 v20, v21, v20, s0 :: v_dual_cndmask_b32 v21, v24, v22, vcc_lo
	s_delay_alu instid0(VALU_DEP_3) | instskip(NEXT) | instid1(VALU_DEP_2)
	v_bfe_u32 v22, v16, 29, 1
	v_cndmask_b32_e64 v20, v27, v20, s1
	s_delay_alu instid0(VALU_DEP_3) | instskip(NEXT) | instid1(VALU_DEP_3)
	v_alignbit_b32 v24, v16, v21, 30
	v_sub_nc_u32_e32 v25, 0, v22
	s_delay_alu instid0(VALU_DEP_3) | instskip(NEXT) | instid1(VALU_DEP_1)
	v_alignbit_b32 v26, v23, v20, v26
	v_dual_cndmask_b32 v23, v26, v23, vcc_lo :: v_dual_bitop2_b32 v24, v24, v25 bitop3:0x14
	s_delay_alu instid0(VALU_DEP_1) | instskip(NEXT) | instid1(VALU_DEP_2)
	v_clz_i32_u32_e32 v26, v24
	v_alignbit_b32 v21, v21, v23, 30
	v_alignbit_b32 v20, v23, v20, 30
	s_delay_alu instid0(VALU_DEP_3) | instskip(NEXT) | instid1(VALU_DEP_3)
	v_min_u32_e32 v26, 32, v26
	v_xor_b32_e32 v21, v21, v25
	s_delay_alu instid0(VALU_DEP_3) | instskip(NEXT) | instid1(VALU_DEP_3)
	v_dual_lshrrev_b32 v25, 29, v16 :: v_dual_bitop2_b32 v20, v20, v25 bitop3:0x14
	v_dual_sub_nc_u32 v23, 31, v26 :: v_dual_lshlrev_b32 v27, 23, v26
	s_delay_alu instid0(VALU_DEP_1) | instskip(NEXT) | instid1(VALU_DEP_3)
	v_alignbit_b32 v24, v24, v21, v23
	v_alignbit_b32 v20, v21, v20, v23
	s_delay_alu instid0(VALU_DEP_4) | instskip(NEXT) | instid1(VALU_DEP_2)
	v_lshlrev_b32_e32 v21, 31, v25
	v_alignbit_b32 v23, v24, v20, 9
	s_delay_alu instid0(VALU_DEP_2) | instskip(SKIP_1) | instid1(VALU_DEP_3)
	v_dual_lshrrev_b32 v24, 9, v24 :: v_dual_bitop2_b32 v25, 0.5, v21 bitop3:0x54
	v_or_b32_e32 v21, 0x33000000, v21
	v_clz_i32_u32_e32 v28, v23
	s_delay_alu instid0(VALU_DEP_3) | instskip(NEXT) | instid1(VALU_DEP_2)
	v_sub_nc_u32_e32 v25, v25, v27
	v_min_u32_e32 v27, 32, v28
	s_delay_alu instid0(VALU_DEP_1) | instskip(NEXT) | instid1(VALU_DEP_3)
	v_add_lshl_u32 v26, v27, v26, 23
	v_or_b32_e32 v24, v24, v25
	v_not_b32_e32 v25, v27
	s_delay_alu instid0(VALU_DEP_2) | instskip(NEXT) | instid1(VALU_DEP_2)
	v_dual_mul_f32 v28, 0x3fc90fda, v24 :: v_dual_sub_nc_u32 v21, v21, v26
	v_alignbit_b32 v20, v23, v20, v25
	s_delay_alu instid0(VALU_DEP_2) | instskip(NEXT) | instid1(VALU_DEP_2)
	v_fma_f32 v23, 0x3fc90fda, v24, -v28
	v_lshrrev_b32_e32 v20, 9, v20
	s_delay_alu instid0(VALU_DEP_2) | instskip(NEXT) | instid1(VALU_DEP_2)
	v_fmac_f32_e32 v23, 0x33a22168, v24
	v_or_b32_e32 v20, v21, v20
	s_delay_alu instid0(VALU_DEP_1) | instskip(SKIP_1) | instid1(VALU_DEP_1)
	v_fmac_f32_e32 v23, 0x3fc90fda, v20
	v_lshrrev_b32_e32 v20, 30, v16
	v_dual_add_nc_u32 v20, v22, v20 :: v_dual_add_f32 v16, v28, v23
	s_and_not1_saveexec_b32 s0, s21
	s_cbranch_execnz .LBB254_348
	s_branch .LBB254_349
.LBB254_347:                            ;   in Loop: Header=BB254_233 Depth=1
	s_and_not1_saveexec_b32 s0, s21
.LBB254_348:                            ;   in Loop: Header=BB254_233 Depth=1
	v_mul_f32_e64 v16, 0x3f22f983, |v3|
	s_delay_alu instid0(VALU_DEP_1) | instskip(NEXT) | instid1(VALU_DEP_1)
	v_rndne_f32_e32 v20, v16
	v_fma_f32 v16, 0xbfc90fda, v20, |v3|
	s_delay_alu instid0(VALU_DEP_1) | instskip(NEXT) | instid1(VALU_DEP_1)
	v_fmac_f32_e32 v16, 0xb3a22168, v20
	v_fmac_f32_e32 v16, 0xa7c234c4, v20
	v_cvt_i32_f32_e32 v20, v20
.LBB254_349:                            ;   in Loop: Header=BB254_233 Depth=1
	s_or_b32 exec_lo, exec_lo, s0
	s_delay_alu instid0(VALU_DEP_1) | instskip(SKIP_2) | instid1(VALU_DEP_3)
	v_dual_mul_f32 v21, 0xbfb8aa3b, v2 :: v_dual_mul_f32 v24, v16, v16
	v_dual_mul_f32 v22, v10, v10 :: v_dual_bitop2_b32 v23, 1, v13 bitop3:0x40
	v_cmp_ngt_f32_e64 s0, 0xc2b17218, v2
	v_rndne_f32_e32 v25, v21
	s_delay_alu instid0(VALU_DEP_4) | instskip(NEXT) | instid1(VALU_DEP_4)
	v_fmaak_f32 v29, s13, v24, 0x3c0881c4
	v_fmaak_f32 v28, s14, v22, 0xbab64f3b
	v_fma_f32 v26, 0xbfb8aa3b, v2, -v21
	v_cmp_eq_u32_e32 vcc_lo, 0, v23
	v_sub_f32_e32 v21, v21, v25
	v_fmaak_f32 v29, v24, v29, 0xbe2aaa9d
	v_fmaak_f32 v28, v22, v28, 0x3d2aabf7
	v_cvt_i32_f32_e32 v25, v25
	v_lshlrev_b32_e32 v13, 30, v13
	s_delay_alu instid0(VALU_DEP_4) | instskip(SKIP_2) | instid1(VALU_DEP_2)
	v_mul_f32_e32 v29, v24, v29
	v_fmaak_f32 v27, s13, v22, 0x3c0881c4
	v_fmaak_f32 v28, v22, v28, 0xbf000004
	v_dual_fmac_f32 v16, v16, v29 :: v_dual_fmaak_f32 v27, v22, v27, 0xbe2aaa9d
	s_delay_alu instid0(VALU_DEP_1) | instskip(NEXT) | instid1(VALU_DEP_1)
	v_dual_fmac_f32 v26, 0xb2a5705f, v2 :: v_dual_mul_f32 v27, v22, v27
	v_dual_fmaak_f32 v30, s14, v24, 0xbab64f3b :: v_dual_add_f32 v21, v21, v26
	s_delay_alu instid0(VALU_DEP_4) | instskip(NEXT) | instid1(VALU_DEP_3)
	v_fma_f32 v22, v22, v28, 1.0
	v_fmac_f32_e32 v10, v10, v27
	s_delay_alu instid0(VALU_DEP_3) | instskip(NEXT) | instid1(VALU_DEP_4)
	v_fmaak_f32 v26, v24, v30, 0x3d2aabf7
	v_exp_f32_e32 v21, v21
	s_delay_alu instid0(VALU_DEP_2) | instskip(NEXT) | instid1(VALU_DEP_2)
	v_cndmask_b32_e64 v10, -v10, v22, vcc_lo
	v_fmaak_f32 v26, v24, v26, 0xbf000004
	s_delay_alu instid0(TRANS32_DEP_1) | instskip(SKIP_1) | instid1(VALU_DEP_3)
	v_ldexp_f32 v21, v21, v25
	v_and_b32_e32 v25, 1, v20
	v_fma_f32 v24, v24, v26, 1.0
	v_lshlrev_b32_e32 v20, 30, v20
	v_bitop3_b32 v10, v13, v10, 0x80000000 bitop3:0x6c
	s_delay_alu instid0(VALU_DEP_4) | instskip(NEXT) | instid1(VALU_DEP_3)
	v_cmp_eq_u32_e32 vcc_lo, 0, v25
	v_and_or_b32 v12, 0x80000000, v20, v12
	v_cndmask_b32_e32 v16, v24, v16, vcc_lo
	v_cmp_nlt_f32_e32 vcc_lo, 0x42ce8ed0, v2
	s_delay_alu instid0(VALU_DEP_2) | instskip(SKIP_2) | instid1(VALU_DEP_2)
	v_xor3_b32 v11, v12, v16, v11
	v_cndmask_b32_e32 v20, 0, v21, vcc_lo
	v_cmp_class_f32_e64 vcc_lo, v3, 0x1f8
	v_cndmask_b32_e64 v12, 0x7f800000, v20, s0
	v_cndmask_b32_e32 v10, 0x7fc00000, v10, vcc_lo
	s_delay_alu instid0(VALU_DEP_1) | instskip(NEXT) | instid1(VALU_DEP_1)
	v_dual_cndmask_b32 v11, 0x7fc00000, v11 :: v_dual_mul_f32 v10, v12, v10
	v_mul_f32_e32 v11, v12, v11
                                        ; implicit-def: $vgpr12
.LBB254_350:                            ;   in Loop: Header=BB254_233 Depth=1
	s_and_not1_saveexec_b32 s20, s20
	s_cbranch_execz .LBB254_360
; %bb.351:                              ;   in Loop: Header=BB254_233 Depth=1
	v_cmp_ngt_f32_e64 s21, 0x48000000, |v3|
                                        ; implicit-def: $vgpr13
                                        ; implicit-def: $vgpr10
	s_and_saveexec_b32 s0, s21
	s_delay_alu instid0(SALU_CYCLE_1)
	s_xor_b32 s22, exec_lo, s0
	s_cbranch_execz .LBB254_353
; %bb.352:                              ;   in Loop: Header=BB254_233 Depth=1
	v_and_or_b32 v16, v12, s12, 0x800000
	v_dual_mov_b32 v31, v17 :: v_dual_lshrrev_b32 v10, 23, v12
	v_mov_b32_e32 v33, v17
	s_delay_alu instid0(VALU_DEP_3) | instskip(NEXT) | instid1(VALU_DEP_1)
	v_mul_u64_e32 v[20:21], s[6:7], v[16:17]
	v_dual_mov_b32 v23, v17 :: v_dual_mov_b32 v22, v21
	s_delay_alu instid0(VALU_DEP_1) | instskip(NEXT) | instid1(VALU_DEP_1)
	v_mad_nc_u64_u32 v[22:23], 0x3c439041, v16, v[22:23]
	v_dual_mov_b32 v25, v17 :: v_dual_mov_b32 v24, v23
	s_delay_alu instid0(VALU_DEP_1) | instskip(NEXT) | instid1(VALU_DEP_1)
	v_mad_nc_u64_u32 v[24:25], 0xdb629599, v16, v[24:25]
	;; [unrolled: 3-line block ×4, first 2 shown]
	v_mov_b32_e32 v30, v29
	s_delay_alu instid0(VALU_DEP_1) | instskip(NEXT) | instid1(VALU_DEP_1)
	v_mad_nc_u64_u32 v[30:31], 0x4e441529, v16, v[30:31]
	v_mov_b32_e32 v32, v31
	s_delay_alu instid0(VALU_DEP_1) | instskip(SKIP_1) | instid1(VALU_DEP_1)
	v_mad_nc_u64_u32 v[32:33], 0xa2f9836e, v16, v[32:33]
	v_add_nc_u32_e32 v10, 0xffffff88, v10
	v_cmp_lt_u32_e32 vcc_lo, 63, v10
	v_cndmask_b32_e64 v13, 0, 0xffffffc0, vcc_lo
	s_delay_alu instid0(VALU_DEP_4) | instskip(NEXT) | instid1(VALU_DEP_2)
	v_cndmask_b32_e32 v21, v32, v28, vcc_lo
	v_dual_cndmask_b32 v25, v28, v24 :: v_dual_add_nc_u32 v10, v13, v10
	s_delay_alu instid0(VALU_DEP_1) | instskip(SKIP_2) | instid1(VALU_DEP_3)
	v_cmp_lt_u32_e64 s0, 31, v10
	v_cndmask_b32_e32 v23, v33, v30, vcc_lo
	v_cndmask_b32_e32 v16, v30, v26, vcc_lo
	v_cndmask_b32_e64 v13, 0, 0xffffffe0, s0
	s_delay_alu instid0(VALU_DEP_1) | instskip(NEXT) | instid1(VALU_DEP_1)
	v_add_nc_u32_e32 v10, v13, v10
	v_cmp_lt_u32_e64 s1, 31, v10
	s_delay_alu instid0(VALU_DEP_1) | instskip(NEXT) | instid1(VALU_DEP_1)
	v_cndmask_b32_e64 v13, 0, 0xffffffe0, s1
	v_add_nc_u32_e32 v10, v13, v10
	v_dual_cndmask_b32 v13, v26, v22, vcc_lo :: v_dual_cndmask_b32 v22, v21, v16, s0
	v_cndmask_b32_e64 v21, v23, v21, s0
	v_cndmask_b32_e64 v16, v16, v25, s0
	s_delay_alu instid0(VALU_DEP_3) | instskip(NEXT) | instid1(VALU_DEP_2)
	v_cndmask_b32_e64 v25, v25, v13, s0
	v_dual_cndmask_b32 v21, v21, v22, s1 :: v_dual_cndmask_b32 v22, v22, v16, s1
	s_delay_alu instid0(VALU_DEP_2) | instskip(NEXT) | instid1(VALU_DEP_1)
	v_dual_sub_nc_u32 v23, 32, v10 :: v_dual_cndmask_b32 v16, v16, v25, s1
	v_alignbit_b32 v26, v21, v22, v23
	v_cndmask_b32_e32 v20, v24, v20, vcc_lo
	v_cmp_eq_u32_e32 vcc_lo, 0, v10
	s_delay_alu instid0(VALU_DEP_4) | instskip(NEXT) | instid1(VALU_DEP_3)
	v_alignbit_b32 v24, v22, v16, v23
	v_dual_cndmask_b32 v10, v26, v21, vcc_lo :: v_dual_cndmask_b32 v13, v13, v20, s0
	s_delay_alu instid0(VALU_DEP_2) | instskip(NEXT) | instid1(VALU_DEP_2)
	v_cndmask_b32_e32 v20, v24, v22, vcc_lo
	v_bfe_u32 v21, v10, 29, 1
	s_delay_alu instid0(VALU_DEP_2) | instskip(NEXT) | instid1(VALU_DEP_2)
	v_alignbit_b32 v22, v10, v20, 30
	v_sub_nc_u32_e32 v24, 0, v21
	s_delay_alu instid0(VALU_DEP_1) | instskip(NEXT) | instid1(VALU_DEP_1)
	v_dual_cndmask_b32 v13, v25, v13, s1 :: v_dual_bitop2_b32 v22, v22, v24 bitop3:0x14
	v_alignbit_b32 v23, v16, v13, v23
	s_delay_alu instid0(VALU_DEP_1) | instskip(NEXT) | instid1(VALU_DEP_3)
	v_cndmask_b32_e32 v16, v23, v16, vcc_lo
	v_clz_i32_u32_e32 v23, v22
	s_delay_alu instid0(VALU_DEP_2) | instskip(NEXT) | instid1(VALU_DEP_2)
	v_alignbit_b32 v20, v20, v16, 30
	v_min_u32_e32 v23, 32, v23
	v_alignbit_b32 v13, v16, v13, 30
	s_delay_alu instid0(VALU_DEP_2) | instskip(NEXT) | instid1(VALU_DEP_2)
	v_dual_sub_nc_u32 v20, 31, v23 :: v_dual_bitop2_b32 v16, v20, v24 bitop3:0x14
	v_dual_lshrrev_b32 v24, 29, v10 :: v_dual_bitop2_b32 v13, v13, v24 bitop3:0x14
	v_lshlrev_b32_e32 v25, 23, v23
	s_delay_alu instid0(VALU_DEP_3) | instskip(NEXT) | instid1(VALU_DEP_3)
	v_alignbit_b32 v22, v22, v16, v20
	v_alignbit_b32 v13, v16, v13, v20
	s_delay_alu instid0(VALU_DEP_4) | instskip(NEXT) | instid1(VALU_DEP_2)
	v_lshlrev_b32_e32 v16, 31, v24
	v_alignbit_b32 v20, v22, v13, 9
	s_delay_alu instid0(VALU_DEP_2) | instskip(SKIP_1) | instid1(VALU_DEP_3)
	v_dual_lshrrev_b32 v22, 9, v22 :: v_dual_bitop2_b32 v24, 0.5, v16 bitop3:0x54
	v_or_b32_e32 v16, 0x33000000, v16
	v_clz_i32_u32_e32 v26, v20
	s_delay_alu instid0(VALU_DEP_3) | instskip(NEXT) | instid1(VALU_DEP_2)
	v_sub_nc_u32_e32 v24, v24, v25
	v_min_u32_e32 v25, 32, v26
	s_delay_alu instid0(VALU_DEP_1) | instskip(NEXT) | instid1(VALU_DEP_3)
	v_add_lshl_u32 v23, v25, v23, 23
	v_or_b32_e32 v22, v22, v24
	v_not_b32_e32 v24, v25
	s_delay_alu instid0(VALU_DEP_3) | instskip(NEXT) | instid1(VALU_DEP_2)
	v_sub_nc_u32_e32 v16, v16, v23
	v_alignbit_b32 v13, v20, v13, v24
	s_delay_alu instid0(VALU_DEP_1) | instskip(NEXT) | instid1(VALU_DEP_1)
	v_dual_mul_f32 v26, 0x3fc90fda, v22 :: v_dual_lshrrev_b32 v13, 9, v13
	v_fma_f32 v20, 0x3fc90fda, v22, -v26
	s_delay_alu instid0(VALU_DEP_2) | instskip(NEXT) | instid1(VALU_DEP_2)
	v_or_b32_e32 v13, v16, v13
	v_fmac_f32_e32 v20, 0x33a22168, v22
	s_delay_alu instid0(VALU_DEP_1) | instskip(NEXT) | instid1(VALU_DEP_1)
	v_dual_fmac_f32 v20, 0x3fc90fda, v13 :: v_dual_lshrrev_b32 v13, 30, v10
	v_dual_add_f32 v10, v26, v20 :: v_dual_add_nc_u32 v13, v21, v13
	s_and_not1_saveexec_b32 s0, s22
	s_branch .LBB254_354
.LBB254_353:                            ;   in Loop: Header=BB254_233 Depth=1
	s_and_not1_saveexec_b32 s0, s22
.LBB254_354:                            ;   in Loop: Header=BB254_233 Depth=1
	v_mul_f32_e64 v10, 0x3f22f983, |v3|
	s_delay_alu instid0(VALU_DEP_1) | instskip(NEXT) | instid1(VALU_DEP_1)
	v_rndne_f32_e32 v13, v10
	v_fma_f32 v10, 0xbfc90fda, v13, |v3|
	s_delay_alu instid0(VALU_DEP_1) | instskip(NEXT) | instid1(VALU_DEP_1)
	v_fmac_f32_e32 v10, 0xb3a22168, v13
	v_fmac_f32_e32 v10, 0xa7c234c4, v13
	v_cvt_i32_f32_e32 v13, v13
; %bb.355:                              ;   in Loop: Header=BB254_233 Depth=1
	s_or_b32 exec_lo, exec_lo, s0
                                        ; implicit-def: $vgpr20
                                        ; implicit-def: $vgpr16
	s_and_saveexec_b32 s0, s21
	s_delay_alu instid0(SALU_CYCLE_1)
	s_xor_b32 s21, exec_lo, s0
	s_cbranch_execz .LBB254_357
; %bb.356:                              ;   in Loop: Header=BB254_233 Depth=1
	v_and_or_b32 v16, v12, s12, 0x800000
	v_dual_mov_b32 v31, v17 :: v_dual_mov_b32 v33, v17
	s_delay_alu instid0(VALU_DEP_2) | instskip(NEXT) | instid1(VALU_DEP_1)
	v_mul_u64_e32 v[20:21], s[6:7], v[16:17]
	v_dual_mov_b32 v23, v17 :: v_dual_mov_b32 v22, v21
	v_lshrrev_b32_e32 v21, 23, v12
	s_delay_alu instid0(VALU_DEP_2) | instskip(SKIP_1) | instid1(VALU_DEP_3)
	v_mad_nc_u64_u32 v[22:23], 0x3c439041, v16, v[22:23]
	v_mov_b32_e32 v25, v17
	v_add_nc_u32_e32 v21, 0xffffff88, v21
	s_delay_alu instid0(VALU_DEP_1) | instskip(NEXT) | instid1(VALU_DEP_4)
	v_cmp_lt_u32_e32 vcc_lo, 63, v21
	v_mov_b32_e32 v24, v23
	v_cndmask_b32_e64 v23, 0, 0xffffffc0, vcc_lo
	s_delay_alu instid0(VALU_DEP_2) | instskip(NEXT) | instid1(VALU_DEP_2)
	v_mad_nc_u64_u32 v[24:25], 0xdb629599, v16, v[24:25]
	v_dual_mov_b32 v27, v17 :: v_dual_add_nc_u32 v21, v23, v21
	s_delay_alu instid0(VALU_DEP_1) | instskip(NEXT) | instid1(VALU_DEP_3)
	v_cmp_lt_u32_e64 s0, 31, v21
	v_mov_b32_e32 v26, v25
	s_delay_alu instid0(VALU_DEP_2) | instskip(SKIP_1) | instid1(VALU_DEP_3)
	v_cndmask_b32_e64 v23, 0, 0xffffffe0, s0
	v_cndmask_b32_e32 v20, v24, v20, vcc_lo
	v_mad_nc_u64_u32 v[26:27], 0xf534ddc0, v16, v[26:27]
	s_delay_alu instid0(VALU_DEP_1) | instskip(NEXT) | instid1(VALU_DEP_1)
	v_dual_mov_b32 v29, v17 :: v_dual_mov_b32 v28, v27
	v_mad_nc_u64_u32 v[28:29], 0xfc2757d1, v16, v[28:29]
	s_delay_alu instid0(VALU_DEP_1) | instskip(NEXT) | instid1(VALU_DEP_1)
	v_mov_b32_e32 v30, v29
	v_mad_nc_u64_u32 v[30:31], 0x4e441529, v16, v[30:31]
	s_delay_alu instid0(VALU_DEP_1) | instskip(NEXT) | instid1(VALU_DEP_1)
	v_mov_b32_e32 v32, v31
	v_mad_nc_u64_u32 v[32:33], 0xa2f9836e, v16, v[32:33]
	s_delay_alu instid0(VALU_DEP_3) | instskip(NEXT) | instid1(VALU_DEP_2)
	v_dual_cndmask_b32 v23, v30, v26 :: v_dual_add_nc_u32 v16, v23, v21
	v_cndmask_b32_e32 v25, v32, v28, vcc_lo
	s_delay_alu instid0(VALU_DEP_2) | instskip(NEXT) | instid1(VALU_DEP_4)
	v_cmp_lt_u32_e64 s1, 31, v16
	v_dual_cndmask_b32 v27, v33, v30 :: v_dual_cndmask_b32 v28, v28, v24
	s_delay_alu instid0(VALU_DEP_2) | instskip(NEXT) | instid1(VALU_DEP_1)
	v_cndmask_b32_e64 v21, 0, 0xffffffe0, s1
	v_dual_cndmask_b32 v21, v26, v22 :: v_dual_add_nc_u32 v16, v21, v16
	s_delay_alu instid0(VALU_DEP_3) | instskip(NEXT) | instid1(VALU_DEP_4)
	v_dual_cndmask_b32 v22, v25, v23, s0 :: v_dual_cndmask_b32 v25, v27, v25, s0
	v_cndmask_b32_e64 v23, v23, v28, s0
	s_delay_alu instid0(VALU_DEP_3) | instskip(SKIP_1) | instid1(VALU_DEP_3)
	v_dual_sub_nc_u32 v26, 32, v16 :: v_dual_cndmask_b32 v27, v28, v21, s0
	v_cmp_eq_u32_e32 vcc_lo, 0, v16
	v_dual_cndmask_b32 v25, v25, v22, s1 :: v_dual_cndmask_b32 v22, v22, v23, s1
	s_delay_alu instid0(VALU_DEP_1) | instskip(NEXT) | instid1(VALU_DEP_1)
	v_alignbit_b32 v28, v25, v22, v26
	v_dual_cndmask_b32 v23, v23, v27, s1 :: v_dual_cndmask_b32 v16, v28, v25, vcc_lo
	s_delay_alu instid0(VALU_DEP_1) | instskip(NEXT) | instid1(VALU_DEP_1)
	v_alignbit_b32 v24, v22, v23, v26
	v_dual_cndmask_b32 v20, v21, v20, s0 :: v_dual_cndmask_b32 v21, v24, v22, vcc_lo
	s_delay_alu instid0(VALU_DEP_3) | instskip(NEXT) | instid1(VALU_DEP_2)
	v_bfe_u32 v22, v16, 29, 1
	v_cndmask_b32_e64 v20, v27, v20, s1
	s_delay_alu instid0(VALU_DEP_3) | instskip(NEXT) | instid1(VALU_DEP_3)
	v_alignbit_b32 v24, v16, v21, 30
	v_sub_nc_u32_e32 v25, 0, v22
	s_delay_alu instid0(VALU_DEP_3) | instskip(NEXT) | instid1(VALU_DEP_1)
	v_alignbit_b32 v26, v23, v20, v26
	v_dual_cndmask_b32 v23, v26, v23, vcc_lo :: v_dual_bitop2_b32 v24, v24, v25 bitop3:0x14
	s_delay_alu instid0(VALU_DEP_1) | instskip(NEXT) | instid1(VALU_DEP_2)
	v_clz_i32_u32_e32 v26, v24
	v_alignbit_b32 v21, v21, v23, 30
	v_alignbit_b32 v20, v23, v20, 30
	s_delay_alu instid0(VALU_DEP_3) | instskip(NEXT) | instid1(VALU_DEP_3)
	v_min_u32_e32 v26, 32, v26
	v_xor_b32_e32 v21, v21, v25
	s_delay_alu instid0(VALU_DEP_3) | instskip(NEXT) | instid1(VALU_DEP_3)
	v_dual_lshrrev_b32 v25, 29, v16 :: v_dual_bitop2_b32 v20, v20, v25 bitop3:0x14
	v_dual_sub_nc_u32 v23, 31, v26 :: v_dual_lshlrev_b32 v27, 23, v26
	s_delay_alu instid0(VALU_DEP_1) | instskip(NEXT) | instid1(VALU_DEP_3)
	v_alignbit_b32 v24, v24, v21, v23
	v_alignbit_b32 v20, v21, v20, v23
	s_delay_alu instid0(VALU_DEP_4) | instskip(NEXT) | instid1(VALU_DEP_2)
	v_lshlrev_b32_e32 v21, 31, v25
	v_alignbit_b32 v23, v24, v20, 9
	s_delay_alu instid0(VALU_DEP_2) | instskip(SKIP_1) | instid1(VALU_DEP_3)
	v_dual_lshrrev_b32 v24, 9, v24 :: v_dual_bitop2_b32 v25, 0.5, v21 bitop3:0x54
	v_or_b32_e32 v21, 0x33000000, v21
	v_clz_i32_u32_e32 v28, v23
	s_delay_alu instid0(VALU_DEP_3) | instskip(NEXT) | instid1(VALU_DEP_2)
	v_sub_nc_u32_e32 v25, v25, v27
	v_min_u32_e32 v27, 32, v28
	s_delay_alu instid0(VALU_DEP_1) | instskip(NEXT) | instid1(VALU_DEP_3)
	v_add_lshl_u32 v26, v27, v26, 23
	v_or_b32_e32 v24, v24, v25
	v_not_b32_e32 v25, v27
	s_delay_alu instid0(VALU_DEP_2) | instskip(NEXT) | instid1(VALU_DEP_2)
	v_dual_mul_f32 v28, 0x3fc90fda, v24 :: v_dual_sub_nc_u32 v21, v21, v26
	v_alignbit_b32 v20, v23, v20, v25
	s_delay_alu instid0(VALU_DEP_2) | instskip(NEXT) | instid1(VALU_DEP_2)
	v_fma_f32 v23, 0x3fc90fda, v24, -v28
	v_lshrrev_b32_e32 v20, 9, v20
	s_delay_alu instid0(VALU_DEP_2) | instskip(NEXT) | instid1(VALU_DEP_2)
	v_fmac_f32_e32 v23, 0x33a22168, v24
	v_or_b32_e32 v20, v21, v20
	s_delay_alu instid0(VALU_DEP_1) | instskip(SKIP_1) | instid1(VALU_DEP_1)
	v_fmac_f32_e32 v23, 0x3fc90fda, v20
	v_lshrrev_b32_e32 v20, 30, v16
	v_dual_add_nc_u32 v20, v22, v20 :: v_dual_add_f32 v16, v28, v23
	s_and_not1_saveexec_b32 s0, s21
	s_cbranch_execnz .LBB254_358
	s_branch .LBB254_359
.LBB254_357:                            ;   in Loop: Header=BB254_233 Depth=1
	s_and_not1_saveexec_b32 s0, s21
.LBB254_358:                            ;   in Loop: Header=BB254_233 Depth=1
	v_mul_f32_e64 v16, 0x3f22f983, |v3|
	s_delay_alu instid0(VALU_DEP_1) | instskip(NEXT) | instid1(VALU_DEP_1)
	v_rndne_f32_e32 v20, v16
	v_fma_f32 v16, 0xbfc90fda, v20, |v3|
	s_delay_alu instid0(VALU_DEP_1) | instskip(NEXT) | instid1(VALU_DEP_1)
	v_fmac_f32_e32 v16, 0xb3a22168, v20
	v_fmac_f32_e32 v16, 0xa7c234c4, v20
	v_cvt_i32_f32_e32 v20, v20
.LBB254_359:                            ;   in Loop: Header=BB254_233 Depth=1
	s_or_b32 exec_lo, exec_lo, s0
	v_sub_f32_e32 v21, 0xc322e3bc, v2
	s_delay_alu instid0(VALU_DEP_2) | instskip(NEXT) | instid1(VALU_DEP_2)
	v_dual_mul_f32 v25, v10, v10 :: v_dual_mul_f32 v26, v16, v16
	v_mul_f32_e32 v22, 0x3fb8aa3b, v21
	s_delay_alu instid0(VALU_DEP_2) | instskip(NEXT) | instid1(VALU_DEP_2)
	v_dual_fmaak_f32 v28, s13, v25, 0x3c0881c4 :: v_dual_fmaak_f32 v29, s13, v26, 0x3c0881c4
	v_fma_f32 v23, 0x3fb8aa3b, v21, -v22
	v_rndne_f32_e32 v24, v22
	s_delay_alu instid0(VALU_DEP_3) | instskip(NEXT) | instid1(VALU_DEP_2)
	v_fmaak_f32 v28, v25, v28, 0xbe2aaa9d
	v_dual_sub_f32 v22, v22, v24 :: v_dual_fmac_f32 v23, 0x32a5705f, v21
	v_cvt_i32_f32_e32 v24, v24
	v_cmp_ngt_f32_e32 vcc_lo, 0xc2ce8ed0, v21
	s_delay_alu instid0(VALU_DEP_3) | instskip(SKIP_1) | instid1(VALU_DEP_2)
	v_dual_add_f32 v22, v22, v23 :: v_dual_lshlrev_b32 v23, 30, v13
	v_and_b32_e32 v13, 1, v13
	v_exp_f32_e32 v22, v22
	v_nop
	s_delay_alu instid0(TRANS32_DEP_1) | instskip(SKIP_1) | instid1(VALU_DEP_2)
	v_ldexp_f32 v22, v22, v24
	v_dual_lshlrev_b32 v20, 30, v20 :: v_dual_bitop2_b32 v27, 1, v20 bitop3:0x40
	v_cndmask_b32_e32 v22, 0, v22, vcc_lo
	v_cmp_nlt_f32_e32 vcc_lo, 0x42b17218, v21
	v_fmaak_f32 v21, v26, v29, 0xbe2aaa9d
	v_fmaak_f32 v30, s14, v26, 0xbab64f3b
	v_and_or_b32 v12, 0x80000000, v20, v12
	v_cndmask_b32_e32 v20, 0x7f800000, v22, vcc_lo
	v_fmaak_f32 v24, s14, v25, 0xbab64f3b
	s_delay_alu instid0(VALU_DEP_4) | instskip(SKIP_1) | instid1(VALU_DEP_4)
	v_dual_mul_f32 v21, v26, v21 :: v_dual_fmaak_f32 v22, v26, v30, 0x3d2aabf7
	v_mul_f32_e32 v28, v25, v28
	v_lshrrev_b32_e32 v29, 23, v20
	s_delay_alu instid0(VALU_DEP_4) | instskip(NEXT) | instid1(VALU_DEP_4)
	v_fmaak_f32 v24, v25, v24, 0x3d2aabf7
	v_fmac_f32_e32 v16, v16, v21
	v_fmaak_f32 v22, v26, v22, 0xbf000004
	v_cmp_eq_u32_e32 vcc_lo, 0, v27
	v_subrev_nc_u32_e32 v29, 19, v29
	v_fmaak_f32 v24, v25, v24, 0xbf000004
	s_delay_alu instid0(VALU_DEP_4) | instskip(NEXT) | instid1(VALU_DEP_2)
	v_fma_f32 v21, v26, v22, 1.0
	v_fma_f32 v22, v25, v24, 1.0
	s_delay_alu instid0(VALU_DEP_4) | instskip(NEXT) | instid1(VALU_DEP_3)
	v_lshrrev_b16 v24, 15, v29
	v_cndmask_b32_e32 v16, v21, v16, vcc_lo
	v_cmp_eq_u32_e32 vcc_lo, 0, v13
	s_delay_alu instid0(VALU_DEP_3) | instskip(NEXT) | instid1(VALU_DEP_3)
	v_add_nc_u16 v13, v29, v24
	v_xor3_b32 v11, v12, v16, v11
	v_fmac_f32_e32 v10, v10, v28
	v_and_or_b32 v12, 0x7fffff, v20, s15
	s_delay_alu instid0(VALU_DEP_4) | instskip(NEXT) | instid1(VALU_DEP_3)
	v_ashrrev_i16 v13, 1, v13
	v_cndmask_b32_e64 v10, -v10, v22, vcc_lo
	v_cmp_class_f32_e64 vcc_lo, v3, 0x1f8
	s_delay_alu instid0(VALU_DEP_3) | instskip(NEXT) | instid1(VALU_DEP_3)
	v_bfe_i32 v13, v13, 0, 16
	v_bitop3_b32 v10, v23, v10, 0x80000000 bitop3:0x6c
	s_delay_alu instid0(VALU_DEP_2) | instskip(NEXT) | instid1(VALU_DEP_2)
	v_dual_cndmask_b32 v11, 0x7fc00000, v11 :: v_dual_sub_nc_u32 v16, v29, v13
	v_cndmask_b32_e32 v10, 0x7fc00000, v10, vcc_lo
	s_delay_alu instid0(VALU_DEP_2) | instskip(NEXT) | instid1(VALU_DEP_2)
	v_lshl_add_u32 v16, v16, 23, 1.0
	v_pk_mul_f32 v[10:11], v[10:11], v[12:13] op_sel_hi:[1,0]
	v_lshl_add_u32 v12, v13, 23, 1.0
	s_delay_alu instid0(VALU_DEP_1) | instskip(NEXT) | instid1(VALU_DEP_1)
	v_pk_mul_f32 v[10:11], v[10:11], v[12:13] op_sel_hi:[1,0]
	v_pk_mul_f32 v[10:11], v[10:11], v[16:17] op_sel_hi:[1,0]
.LBB254_360:                            ;   in Loop: Header=BB254_233 Depth=1
	s_or_b32 exec_lo, exec_lo, s20
                                        ; implicit-def: $vgpr13
                                        ; implicit-def: $vgpr16
.LBB254_361:                            ;   in Loop: Header=BB254_233 Depth=1
	s_and_not1_saveexec_b32 s0, s19
	s_cbranch_execz .LBB254_367
; %bb.362:                              ;   in Loop: Header=BB254_233 Depth=1
	v_sub_f32_e32 v11, v3, v3
	s_mov_b32 s1, exec_lo
	v_cmpx_ne_u32_e32 0x7f800000, v16
	s_xor_b32 s1, exec_lo, s1
; %bb.363:                              ;   in Loop: Header=BB254_233 Depth=1
                                        ; implicit-def: $vgpr13
; %bb.364:                              ;   in Loop: Header=BB254_233 Depth=1
	s_delay_alu instid0(SALU_CYCLE_1)
	s_or_saveexec_b32 s1, s1
	v_mov_b32_e32 v10, v11
	s_xor_b32 exec_lo, exec_lo, s1
; %bb.365:                              ;   in Loop: Header=BB254_233 Depth=1
	v_cmp_lt_i32_e32 vcc_lo, -1, v13
	v_dual_cndmask_b32 v10, 0, -v2, vcc_lo :: v_dual_cndmask_b32 v11, 0, v11, vcc_lo
; %bb.366:                              ;   in Loop: Header=BB254_233 Depth=1
	s_or_b32 exec_lo, exec_lo, s1
.LBB254_367:                            ;   in Loop: Header=BB254_233 Depth=1
	s_delay_alu instid0(SALU_CYCLE_1)
	s_or_b32 exec_lo, exec_lo, s0
                                        ; implicit-def: $vgpr12
.LBB254_368:                            ;   in Loop: Header=BB254_233 Depth=1
	s_and_not1_saveexec_b32 s18, s18
	s_cbranch_execz .LBB254_378
; %bb.369:                              ;   in Loop: Header=BB254_233 Depth=1
	v_cmp_ngt_f32_e64 s19, 0x48000000, |v3|
                                        ; implicit-def: $vgpr13
                                        ; implicit-def: $vgpr10
	s_and_saveexec_b32 s0, s19
	s_delay_alu instid0(SALU_CYCLE_1)
	s_xor_b32 s20, exec_lo, s0
	s_cbranch_execz .LBB254_371
; %bb.370:                              ;   in Loop: Header=BB254_233 Depth=1
	v_and_or_b32 v16, v12, s12, 0x800000
	v_dual_mov_b32 v31, v17 :: v_dual_lshrrev_b32 v10, 23, v12
	v_mov_b32_e32 v33, v17
	s_delay_alu instid0(VALU_DEP_3) | instskip(NEXT) | instid1(VALU_DEP_1)
	v_mul_u64_e32 v[20:21], s[6:7], v[16:17]
	v_dual_mov_b32 v23, v17 :: v_dual_mov_b32 v22, v21
	s_delay_alu instid0(VALU_DEP_1) | instskip(NEXT) | instid1(VALU_DEP_1)
	v_mad_nc_u64_u32 v[22:23], 0x3c439041, v16, v[22:23]
	v_dual_mov_b32 v25, v17 :: v_dual_mov_b32 v24, v23
	s_delay_alu instid0(VALU_DEP_1) | instskip(NEXT) | instid1(VALU_DEP_1)
	v_mad_nc_u64_u32 v[24:25], 0xdb629599, v16, v[24:25]
	;; [unrolled: 3-line block ×4, first 2 shown]
	v_mov_b32_e32 v30, v29
	s_delay_alu instid0(VALU_DEP_1) | instskip(NEXT) | instid1(VALU_DEP_1)
	v_mad_nc_u64_u32 v[30:31], 0x4e441529, v16, v[30:31]
	v_mov_b32_e32 v32, v31
	s_delay_alu instid0(VALU_DEP_1) | instskip(SKIP_1) | instid1(VALU_DEP_1)
	v_mad_nc_u64_u32 v[32:33], 0xa2f9836e, v16, v[32:33]
	v_add_nc_u32_e32 v10, 0xffffff88, v10
	v_cmp_lt_u32_e32 vcc_lo, 63, v10
	v_cndmask_b32_e64 v13, 0, 0xffffffc0, vcc_lo
	s_delay_alu instid0(VALU_DEP_4) | instskip(NEXT) | instid1(VALU_DEP_2)
	v_cndmask_b32_e32 v21, v32, v28, vcc_lo
	v_dual_cndmask_b32 v25, v28, v24 :: v_dual_add_nc_u32 v10, v13, v10
	s_delay_alu instid0(VALU_DEP_1) | instskip(SKIP_2) | instid1(VALU_DEP_3)
	v_cmp_lt_u32_e64 s0, 31, v10
	v_cndmask_b32_e32 v23, v33, v30, vcc_lo
	v_cndmask_b32_e32 v16, v30, v26, vcc_lo
	v_cndmask_b32_e64 v13, 0, 0xffffffe0, s0
	s_delay_alu instid0(VALU_DEP_1) | instskip(NEXT) | instid1(VALU_DEP_1)
	v_add_nc_u32_e32 v10, v13, v10
	v_cmp_lt_u32_e64 s1, 31, v10
	s_delay_alu instid0(VALU_DEP_1) | instskip(NEXT) | instid1(VALU_DEP_1)
	v_cndmask_b32_e64 v13, 0, 0xffffffe0, s1
	v_add_nc_u32_e32 v10, v13, v10
	v_dual_cndmask_b32 v13, v26, v22, vcc_lo :: v_dual_cndmask_b32 v22, v21, v16, s0
	v_cndmask_b32_e64 v21, v23, v21, s0
	v_cndmask_b32_e64 v16, v16, v25, s0
	s_delay_alu instid0(VALU_DEP_3) | instskip(NEXT) | instid1(VALU_DEP_2)
	v_cndmask_b32_e64 v25, v25, v13, s0
	v_dual_cndmask_b32 v21, v21, v22, s1 :: v_dual_cndmask_b32 v22, v22, v16, s1
	s_delay_alu instid0(VALU_DEP_2) | instskip(NEXT) | instid1(VALU_DEP_1)
	v_dual_sub_nc_u32 v23, 32, v10 :: v_dual_cndmask_b32 v16, v16, v25, s1
	v_alignbit_b32 v26, v21, v22, v23
	v_cndmask_b32_e32 v20, v24, v20, vcc_lo
	v_cmp_eq_u32_e32 vcc_lo, 0, v10
	s_delay_alu instid0(VALU_DEP_4) | instskip(NEXT) | instid1(VALU_DEP_3)
	v_alignbit_b32 v24, v22, v16, v23
	v_dual_cndmask_b32 v10, v26, v21, vcc_lo :: v_dual_cndmask_b32 v13, v13, v20, s0
	s_delay_alu instid0(VALU_DEP_2) | instskip(NEXT) | instid1(VALU_DEP_2)
	v_cndmask_b32_e32 v20, v24, v22, vcc_lo
	v_bfe_u32 v21, v10, 29, 1
	s_delay_alu instid0(VALU_DEP_2) | instskip(NEXT) | instid1(VALU_DEP_2)
	v_alignbit_b32 v22, v10, v20, 30
	v_sub_nc_u32_e32 v24, 0, v21
	s_delay_alu instid0(VALU_DEP_1) | instskip(NEXT) | instid1(VALU_DEP_1)
	v_dual_cndmask_b32 v13, v25, v13, s1 :: v_dual_bitop2_b32 v22, v22, v24 bitop3:0x14
	v_alignbit_b32 v23, v16, v13, v23
	s_delay_alu instid0(VALU_DEP_1) | instskip(NEXT) | instid1(VALU_DEP_3)
	v_cndmask_b32_e32 v16, v23, v16, vcc_lo
	v_clz_i32_u32_e32 v23, v22
	s_delay_alu instid0(VALU_DEP_2) | instskip(NEXT) | instid1(VALU_DEP_2)
	v_alignbit_b32 v20, v20, v16, 30
	v_min_u32_e32 v23, 32, v23
	v_alignbit_b32 v13, v16, v13, 30
	s_delay_alu instid0(VALU_DEP_2) | instskip(NEXT) | instid1(VALU_DEP_2)
	v_dual_sub_nc_u32 v20, 31, v23 :: v_dual_bitop2_b32 v16, v20, v24 bitop3:0x14
	v_dual_lshrrev_b32 v24, 29, v10 :: v_dual_bitop2_b32 v13, v13, v24 bitop3:0x14
	v_lshlrev_b32_e32 v25, 23, v23
	s_delay_alu instid0(VALU_DEP_3) | instskip(NEXT) | instid1(VALU_DEP_3)
	v_alignbit_b32 v22, v22, v16, v20
	v_alignbit_b32 v13, v16, v13, v20
	s_delay_alu instid0(VALU_DEP_4) | instskip(NEXT) | instid1(VALU_DEP_2)
	v_lshlrev_b32_e32 v16, 31, v24
	v_alignbit_b32 v20, v22, v13, 9
	s_delay_alu instid0(VALU_DEP_2) | instskip(SKIP_1) | instid1(VALU_DEP_3)
	v_dual_lshrrev_b32 v22, 9, v22 :: v_dual_bitop2_b32 v24, 0.5, v16 bitop3:0x54
	v_or_b32_e32 v16, 0x33000000, v16
	v_clz_i32_u32_e32 v26, v20
	s_delay_alu instid0(VALU_DEP_3) | instskip(NEXT) | instid1(VALU_DEP_2)
	v_sub_nc_u32_e32 v24, v24, v25
	v_min_u32_e32 v25, 32, v26
	s_delay_alu instid0(VALU_DEP_1) | instskip(NEXT) | instid1(VALU_DEP_3)
	v_add_lshl_u32 v23, v25, v23, 23
	v_or_b32_e32 v22, v22, v24
	v_not_b32_e32 v24, v25
	s_delay_alu instid0(VALU_DEP_3) | instskip(NEXT) | instid1(VALU_DEP_2)
	v_sub_nc_u32_e32 v16, v16, v23
	v_alignbit_b32 v13, v20, v13, v24
	s_delay_alu instid0(VALU_DEP_1) | instskip(NEXT) | instid1(VALU_DEP_1)
	v_dual_mul_f32 v26, 0x3fc90fda, v22 :: v_dual_lshrrev_b32 v13, 9, v13
	v_fma_f32 v20, 0x3fc90fda, v22, -v26
	s_delay_alu instid0(VALU_DEP_2) | instskip(NEXT) | instid1(VALU_DEP_2)
	v_or_b32_e32 v13, v16, v13
	v_fmac_f32_e32 v20, 0x33a22168, v22
	s_delay_alu instid0(VALU_DEP_1) | instskip(NEXT) | instid1(VALU_DEP_1)
	v_dual_fmac_f32 v20, 0x3fc90fda, v13 :: v_dual_lshrrev_b32 v13, 30, v10
	v_dual_add_f32 v10, v26, v20 :: v_dual_add_nc_u32 v13, v21, v13
	s_and_not1_saveexec_b32 s0, s20
	s_branch .LBB254_372
.LBB254_371:                            ;   in Loop: Header=BB254_233 Depth=1
	s_and_not1_saveexec_b32 s0, s20
.LBB254_372:                            ;   in Loop: Header=BB254_233 Depth=1
	v_mul_f32_e64 v10, 0x3f22f983, |v3|
	s_delay_alu instid0(VALU_DEP_1) | instskip(NEXT) | instid1(VALU_DEP_1)
	v_rndne_f32_e32 v13, v10
	v_fma_f32 v10, 0xbfc90fda, v13, |v3|
	s_delay_alu instid0(VALU_DEP_1) | instskip(NEXT) | instid1(VALU_DEP_1)
	v_fmac_f32_e32 v10, 0xb3a22168, v13
	v_fmac_f32_e32 v10, 0xa7c234c4, v13
	v_cvt_i32_f32_e32 v13, v13
; %bb.373:                              ;   in Loop: Header=BB254_233 Depth=1
	s_or_b32 exec_lo, exec_lo, s0
                                        ; implicit-def: $vgpr20
                                        ; implicit-def: $vgpr16
	s_and_saveexec_b32 s0, s19
	s_delay_alu instid0(SALU_CYCLE_1)
	s_xor_b32 s19, exec_lo, s0
	s_cbranch_execz .LBB254_375
; %bb.374:                              ;   in Loop: Header=BB254_233 Depth=1
	v_and_or_b32 v16, v12, s12, 0x800000
	v_dual_mov_b32 v31, v17 :: v_dual_mov_b32 v33, v17
	s_delay_alu instid0(VALU_DEP_2) | instskip(NEXT) | instid1(VALU_DEP_1)
	v_mul_u64_e32 v[20:21], s[6:7], v[16:17]
	v_dual_mov_b32 v23, v17 :: v_dual_mov_b32 v22, v21
	v_lshrrev_b32_e32 v21, 23, v12
	s_delay_alu instid0(VALU_DEP_2) | instskip(SKIP_1) | instid1(VALU_DEP_3)
	v_mad_nc_u64_u32 v[22:23], 0x3c439041, v16, v[22:23]
	v_mov_b32_e32 v25, v17
	v_add_nc_u32_e32 v21, 0xffffff88, v21
	s_delay_alu instid0(VALU_DEP_1) | instskip(NEXT) | instid1(VALU_DEP_4)
	v_cmp_lt_u32_e32 vcc_lo, 63, v21
	v_mov_b32_e32 v24, v23
	v_cndmask_b32_e64 v23, 0, 0xffffffc0, vcc_lo
	s_delay_alu instid0(VALU_DEP_2) | instskip(NEXT) | instid1(VALU_DEP_2)
	v_mad_nc_u64_u32 v[24:25], 0xdb629599, v16, v[24:25]
	v_dual_mov_b32 v27, v17 :: v_dual_add_nc_u32 v21, v23, v21
	s_delay_alu instid0(VALU_DEP_1) | instskip(NEXT) | instid1(VALU_DEP_3)
	v_cmp_lt_u32_e64 s0, 31, v21
	v_mov_b32_e32 v26, v25
	s_delay_alu instid0(VALU_DEP_2) | instskip(SKIP_1) | instid1(VALU_DEP_3)
	v_cndmask_b32_e64 v23, 0, 0xffffffe0, s0
	v_cndmask_b32_e32 v20, v24, v20, vcc_lo
	v_mad_nc_u64_u32 v[26:27], 0xf534ddc0, v16, v[26:27]
	s_delay_alu instid0(VALU_DEP_1) | instskip(NEXT) | instid1(VALU_DEP_1)
	v_dual_mov_b32 v29, v17 :: v_dual_mov_b32 v28, v27
	v_mad_nc_u64_u32 v[28:29], 0xfc2757d1, v16, v[28:29]
	s_delay_alu instid0(VALU_DEP_1) | instskip(NEXT) | instid1(VALU_DEP_1)
	v_mov_b32_e32 v30, v29
	v_mad_nc_u64_u32 v[30:31], 0x4e441529, v16, v[30:31]
	s_delay_alu instid0(VALU_DEP_1) | instskip(NEXT) | instid1(VALU_DEP_1)
	v_mov_b32_e32 v32, v31
	v_mad_nc_u64_u32 v[32:33], 0xa2f9836e, v16, v[32:33]
	s_delay_alu instid0(VALU_DEP_3) | instskip(NEXT) | instid1(VALU_DEP_2)
	v_dual_cndmask_b32 v23, v30, v26 :: v_dual_add_nc_u32 v16, v23, v21
	v_cndmask_b32_e32 v25, v32, v28, vcc_lo
	s_delay_alu instid0(VALU_DEP_2) | instskip(NEXT) | instid1(VALU_DEP_4)
	v_cmp_lt_u32_e64 s1, 31, v16
	v_dual_cndmask_b32 v27, v33, v30 :: v_dual_cndmask_b32 v28, v28, v24
	s_delay_alu instid0(VALU_DEP_2) | instskip(NEXT) | instid1(VALU_DEP_1)
	v_cndmask_b32_e64 v21, 0, 0xffffffe0, s1
	v_dual_cndmask_b32 v21, v26, v22 :: v_dual_add_nc_u32 v16, v21, v16
	s_delay_alu instid0(VALU_DEP_3) | instskip(NEXT) | instid1(VALU_DEP_4)
	v_dual_cndmask_b32 v22, v25, v23, s0 :: v_dual_cndmask_b32 v25, v27, v25, s0
	v_cndmask_b32_e64 v23, v23, v28, s0
	s_delay_alu instid0(VALU_DEP_3) | instskip(SKIP_1) | instid1(VALU_DEP_3)
	v_dual_sub_nc_u32 v26, 32, v16 :: v_dual_cndmask_b32 v27, v28, v21, s0
	v_cmp_eq_u32_e32 vcc_lo, 0, v16
	v_dual_cndmask_b32 v25, v25, v22, s1 :: v_dual_cndmask_b32 v22, v22, v23, s1
	s_delay_alu instid0(VALU_DEP_1) | instskip(NEXT) | instid1(VALU_DEP_1)
	v_alignbit_b32 v28, v25, v22, v26
	v_dual_cndmask_b32 v23, v23, v27, s1 :: v_dual_cndmask_b32 v16, v28, v25, vcc_lo
	s_delay_alu instid0(VALU_DEP_1) | instskip(NEXT) | instid1(VALU_DEP_1)
	v_alignbit_b32 v24, v22, v23, v26
	v_dual_cndmask_b32 v20, v21, v20, s0 :: v_dual_cndmask_b32 v21, v24, v22, vcc_lo
	s_delay_alu instid0(VALU_DEP_3) | instskip(NEXT) | instid1(VALU_DEP_2)
	v_bfe_u32 v22, v16, 29, 1
	v_cndmask_b32_e64 v20, v27, v20, s1
	s_delay_alu instid0(VALU_DEP_3) | instskip(NEXT) | instid1(VALU_DEP_3)
	v_alignbit_b32 v24, v16, v21, 30
	v_sub_nc_u32_e32 v25, 0, v22
	s_delay_alu instid0(VALU_DEP_3) | instskip(NEXT) | instid1(VALU_DEP_1)
	v_alignbit_b32 v26, v23, v20, v26
	v_dual_cndmask_b32 v23, v26, v23, vcc_lo :: v_dual_bitop2_b32 v24, v24, v25 bitop3:0x14
	s_delay_alu instid0(VALU_DEP_1) | instskip(NEXT) | instid1(VALU_DEP_2)
	v_clz_i32_u32_e32 v26, v24
	v_alignbit_b32 v21, v21, v23, 30
	v_alignbit_b32 v20, v23, v20, 30
	s_delay_alu instid0(VALU_DEP_3) | instskip(NEXT) | instid1(VALU_DEP_3)
	v_min_u32_e32 v26, 32, v26
	v_xor_b32_e32 v21, v21, v25
	s_delay_alu instid0(VALU_DEP_3) | instskip(NEXT) | instid1(VALU_DEP_3)
	v_dual_lshrrev_b32 v25, 29, v16 :: v_dual_bitop2_b32 v20, v20, v25 bitop3:0x14
	v_dual_sub_nc_u32 v23, 31, v26 :: v_dual_lshlrev_b32 v27, 23, v26
	s_delay_alu instid0(VALU_DEP_1) | instskip(NEXT) | instid1(VALU_DEP_3)
	v_alignbit_b32 v24, v24, v21, v23
	v_alignbit_b32 v20, v21, v20, v23
	s_delay_alu instid0(VALU_DEP_4) | instskip(NEXT) | instid1(VALU_DEP_2)
	v_lshlrev_b32_e32 v21, 31, v25
	v_alignbit_b32 v23, v24, v20, 9
	s_delay_alu instid0(VALU_DEP_2) | instskip(SKIP_1) | instid1(VALU_DEP_3)
	v_dual_lshrrev_b32 v24, 9, v24 :: v_dual_bitop2_b32 v25, 0.5, v21 bitop3:0x54
	v_or_b32_e32 v21, 0x33000000, v21
	v_clz_i32_u32_e32 v28, v23
	s_delay_alu instid0(VALU_DEP_3) | instskip(NEXT) | instid1(VALU_DEP_2)
	v_sub_nc_u32_e32 v25, v25, v27
	v_min_u32_e32 v27, 32, v28
	s_delay_alu instid0(VALU_DEP_1) | instskip(NEXT) | instid1(VALU_DEP_3)
	v_add_lshl_u32 v26, v27, v26, 23
	v_or_b32_e32 v24, v24, v25
	v_not_b32_e32 v25, v27
	s_delay_alu instid0(VALU_DEP_2) | instskip(NEXT) | instid1(VALU_DEP_2)
	v_dual_mul_f32 v28, 0x3fc90fda, v24 :: v_dual_sub_nc_u32 v21, v21, v26
	v_alignbit_b32 v20, v23, v20, v25
	s_delay_alu instid0(VALU_DEP_2) | instskip(NEXT) | instid1(VALU_DEP_2)
	v_fma_f32 v23, 0x3fc90fda, v24, -v28
	v_lshrrev_b32_e32 v20, 9, v20
	s_delay_alu instid0(VALU_DEP_2) | instskip(NEXT) | instid1(VALU_DEP_2)
	v_fmac_f32_e32 v23, 0x33a22168, v24
	v_or_b32_e32 v20, v21, v20
	s_delay_alu instid0(VALU_DEP_1) | instskip(SKIP_1) | instid1(VALU_DEP_1)
	v_fmac_f32_e32 v23, 0x3fc90fda, v20
	v_lshrrev_b32_e32 v20, 30, v16
	v_dual_add_nc_u32 v20, v22, v20 :: v_dual_add_f32 v16, v28, v23
	s_and_not1_saveexec_b32 s0, s19
	s_cbranch_execnz .LBB254_376
	s_branch .LBB254_377
.LBB254_375:                            ;   in Loop: Header=BB254_233 Depth=1
	s_and_not1_saveexec_b32 s0, s19
.LBB254_376:                            ;   in Loop: Header=BB254_233 Depth=1
	v_mul_f32_e64 v16, 0x3f22f983, |v3|
	s_delay_alu instid0(VALU_DEP_1) | instskip(NEXT) | instid1(VALU_DEP_1)
	v_rndne_f32_e32 v20, v16
	v_fma_f32 v16, 0xbfc90fda, v20, |v3|
	s_delay_alu instid0(VALU_DEP_1) | instskip(NEXT) | instid1(VALU_DEP_1)
	v_fmac_f32_e32 v16, 0xb3a22168, v20
	v_fmac_f32_e32 v16, 0xa7c234c4, v20
	v_cvt_i32_f32_e32 v20, v20
.LBB254_377:                            ;   in Loop: Header=BB254_233 Depth=1
	s_or_b32 exec_lo, exec_lo, s0
	s_delay_alu instid0(VALU_DEP_1) | instskip(SKIP_1) | instid1(VALU_DEP_2)
	v_dual_mul_f32 v21, v10, v10 :: v_dual_mul_f32 v22, v16, v16
	v_dual_lshlrev_b32 v13, 30, v13 :: v_dual_bitop2_b32 v23, 1, v13 bitop3:0x40
	v_fmaak_f32 v24, s13, v21, 0x3c0881c4
	s_delay_alu instid0(VALU_DEP_3) | instskip(SKIP_1) | instid1(VALU_DEP_4)
	v_fmaak_f32 v26, s13, v22, 0x3c0881c4
	v_fmaak_f32 v27, s14, v22, 0xbab64f3b
	v_cmp_eq_u32_e32 vcc_lo, 0, v23
	s_delay_alu instid0(VALU_DEP_4) | instskip(SKIP_2) | instid1(VALU_DEP_2)
	v_fmaak_f32 v24, v21, v24, 0xbe2aaa9d
	v_fmaak_f32 v25, s14, v21, 0xbab64f3b
	;; [unrolled: 1-line block ×3, first 2 shown]
	v_dual_mul_f32 v24, v21, v24 :: v_dual_fmaak_f32 v25, v21, v25, 0x3d2aabf7
	s_delay_alu instid0(VALU_DEP_2) | instskip(NEXT) | instid1(VALU_DEP_2)
	v_mul_f32_e32 v26, v22, v26
	v_dual_fmac_f32 v10, v10, v24 :: v_dual_fmaak_f32 v25, v21, v25, 0xbf000004
	s_delay_alu instid0(VALU_DEP_2) | instskip(NEXT) | instid1(VALU_DEP_2)
	v_fmac_f32_e32 v16, v16, v26
	v_fma_f32 v21, v21, v25, 1.0
	v_dual_lshlrev_b32 v20, 30, v20 :: v_dual_bitop2_b32 v28, 1, v20 bitop3:0x40
	v_fmaak_f32 v27, v22, v27, 0x3d2aabf7
	s_delay_alu instid0(VALU_DEP_3) | instskip(NEXT) | instid1(VALU_DEP_3)
	v_cndmask_b32_e64 v10, -v10, v21, vcc_lo
	v_cmp_eq_u32_e32 vcc_lo, 0, v28
	s_delay_alu instid0(VALU_DEP_4) | instskip(NEXT) | instid1(VALU_DEP_4)
	v_and_or_b32 v12, 0x80000000, v20, v12
	v_fmaak_f32 v27, v22, v27, 0xbf000004
	s_delay_alu instid0(VALU_DEP_4) | instskip(NEXT) | instid1(VALU_DEP_2)
	v_bitop3_b32 v10, v13, v10, 0x80000000 bitop3:0x6c
	v_fma_f32 v22, v22, v27, 1.0
	s_delay_alu instid0(VALU_DEP_1) | instskip(SKIP_1) | instid1(VALU_DEP_2)
	v_cndmask_b32_e32 v16, v22, v16, vcc_lo
	v_cmp_class_f32_e64 vcc_lo, v3, 0x1f8
	v_xor3_b32 v11, v12, v16, v11
	v_cndmask_b32_e32 v10, 0x7fc00000, v10, vcc_lo
	s_delay_alu instid0(VALU_DEP_2)
	v_cndmask_b32_e32 v11, 0x7fc00000, v11, vcc_lo
.LBB254_378:                            ;   in Loop: Header=BB254_233 Depth=1
	s_or_b32 exec_lo, exec_lo, s18
.LBB254_379:                            ;   in Loop: Header=BB254_233 Depth=1
	s_and_not1_saveexec_b32 s0, s17
	s_cbranch_execz .LBB254_381
; %bb.380:                              ;   in Loop: Header=BB254_233 Depth=1
	v_mul_f32_e32 v3, 0xbfb8aa3b, v2
	v_cmp_nlt_f32_e32 vcc_lo, 0x42ce8ed0, v2
	s_delay_alu instid0(VALU_DEP_2) | instskip(SKIP_1) | instid1(VALU_DEP_2)
	v_rndne_f32_e32 v10, v3
	v_fma_f32 v12, 0xbfb8aa3b, v2, -v3
	v_sub_f32_e32 v3, v3, v10
	s_delay_alu instid0(VALU_DEP_2) | instskip(SKIP_1) | instid1(VALU_DEP_2)
	v_fmac_f32_e32 v12, 0xb2a5705f, v2
	v_cvt_i32_f32_e32 v10, v10
	v_add_f32_e32 v3, v3, v12
	s_delay_alu instid0(VALU_DEP_1) | instskip(SKIP_1) | instid1(TRANS32_DEP_1)
	v_exp_f32_e32 v3, v3
	v_nop
	v_ldexp_f32 v3, v3, v10
	s_delay_alu instid0(VALU_DEP_1) | instskip(SKIP_1) | instid1(VALU_DEP_2)
	v_cndmask_b32_e32 v3, 0, v3, vcc_lo
	v_cmp_ngt_f32_e32 vcc_lo, 0xc2b17218, v2
	v_cndmask_b32_e32 v10, 0x7f800000, v3, vcc_lo
.LBB254_381:                            ;   in Loop: Header=BB254_233 Depth=1
	s_or_b32 exec_lo, exec_lo, s0
	v_mov_b64_e32 v[2:3], s[8:9]
	s_mov_b32 s0, exec_lo
	s_delay_alu instid0(VALU_DEP_1) | instskip(NEXT) | instid1(VALU_DEP_1)
	v_pk_add_f32 v[2:3], v[10:11], v[2:3]
                                        ; implicit-def: $vgpr10_vgpr11
	v_cmp_gt_f32_e32 vcc_lo, 0, v3
	v_cndmask_b32_e64 v12, v3, -v3, vcc_lo
	s_delay_alu instid0(VALU_DEP_3) | instskip(SKIP_1) | instid1(VALU_DEP_1)
	v_cmp_gt_f32_e32 vcc_lo, 0, v2
	v_cndmask_b32_e64 v13, v2, -v2, vcc_lo
	v_cmpx_ge_f32_e32 v13, v12
	s_xor_b32 s1, exec_lo, s0
	s_cbranch_execz .LBB254_387
; %bb.382:                              ;   in Loop: Header=BB254_233 Depth=1
	v_cmp_neq_f32_e32 vcc_lo, 0, v2
	v_cmp_neq_f32_e64 s0, 0, v3
                                        ; implicit-def: $vgpr10_vgpr11
	s_or_b32 s0, vcc_lo, s0
	s_delay_alu instid0(SALU_CYCLE_1) | instskip(NEXT) | instid1(SALU_CYCLE_1)
	s_and_saveexec_b32 s17, s0
	s_xor_b32 s0, exec_lo, s17
	s_cbranch_execz .LBB254_384
; %bb.383:                              ;   in Loop: Header=BB254_233 Depth=1
	v_div_scale_f32 v10, null, v2, v2, v3
	v_div_scale_f32 v13, vcc_lo, v3, v2, v3
	v_mov_b64_e32 v[20:21], s[4:5]
	s_delay_alu instid0(VALU_DEP_3) | instskip(SKIP_1) | instid1(TRANS32_DEP_1)
	v_rcp_f32_e32 v11, v10
	v_nop
	v_fma_f32 v12, -v10, v11, 1.0
	s_delay_alu instid0(VALU_DEP_1) | instskip(NEXT) | instid1(VALU_DEP_1)
	v_fmac_f32_e32 v11, v12, v11
	v_mul_f32_e32 v12, v13, v11
	s_delay_alu instid0(VALU_DEP_1) | instskip(NEXT) | instid1(VALU_DEP_1)
	v_fma_f32 v16, -v10, v12, v13
	v_fmac_f32_e32 v12, v16, v11
	s_delay_alu instid0(VALU_DEP_1) | instskip(NEXT) | instid1(VALU_DEP_1)
	v_fma_f32 v10, -v10, v12, v13
	v_div_fmas_f32 v10, v10, v11, v12
	s_delay_alu instid0(VALU_DEP_1) | instskip(NEXT) | instid1(VALU_DEP_1)
	v_div_fixup_f32 v10, v10, v2, v3
	v_fmac_f32_e32 v2, v3, v10
	s_delay_alu instid0(VALU_DEP_1) | instskip(SKIP_1) | instid1(VALU_DEP_2)
	v_div_scale_f32 v3, null, v2, v2, 1.0
	v_div_scale_f32 v16, vcc_lo, 1.0, v2, 1.0
	v_rcp_f32_e32 v11, v3
	v_nop
	s_delay_alu instid0(TRANS32_DEP_1) | instskip(NEXT) | instid1(VALU_DEP_1)
	v_fma_f32 v12, -v3, v11, 1.0
	v_fmac_f32_e32 v11, v12, v11
	s_delay_alu instid0(VALU_DEP_1) | instskip(NEXT) | instid1(VALU_DEP_1)
	v_mul_f32_e32 v22, v16, v11
	v_fma_f32 v12, -v3, v22, v16
	s_delay_alu instid0(VALU_DEP_1) | instskip(SKIP_1) | instid1(VALU_DEP_2)
	v_fmac_f32_e32 v22, v12, v11
	v_mov_b64_e32 v[12:13], s[8:9]
	v_fma_f32 v3, -v3, v22, v16
	s_delay_alu instid0(VALU_DEP_1) | instskip(NEXT) | instid1(VALU_DEP_3)
	v_div_fmas_f32 v3, v3, v11, v22
	v_pk_fma_f32 v[22:23], v[10:11], v[20:21], v[12:13] op_sel_hi:[0,1,1] neg_lo:[1,0,0] neg_hi:[1,0,0]
	v_pk_fma_f32 v[10:11], v[10:11], v[20:21], v[12:13]
                                        ; implicit-def: $vgpr12
                                        ; implicit-def: $vgpr13
	s_delay_alu instid0(VALU_DEP_3) | instskip(NEXT) | instid1(VALU_DEP_3)
	v_div_fixup_f32 v2, v3, v2, 1.0
	v_mov_b32_e32 v11, v23
	s_delay_alu instid0(VALU_DEP_1)
	v_pk_mul_f32 v[10:11], v[10:11], v[2:3] op_sel_hi:[1,0]
.LBB254_384:                            ;   in Loop: Header=BB254_233 Depth=1
	s_and_not1_saveexec_b32 s17, s0
	s_cbranch_execz .LBB254_386
; %bb.385:                              ;   in Loop: Header=BB254_233 Depth=1
	v_div_scale_f32 v2, null, v12, v12, s9
	v_div_scale_f32 v3, null, v13, v13, s8
	v_div_scale_f32 v21, vcc_lo, s9, v12, s9
	s_delay_alu instid0(VALU_DEP_3) | instskip(NEXT) | instid1(VALU_DEP_2)
	v_rcp_f32_e32 v10, v2
	v_rcp_f32_e32 v11, v3
	s_delay_alu instid0(TRANS32_DEP_2) | instskip(NEXT) | instid1(TRANS32_DEP_1)
	v_fma_f32 v16, -v2, v10, 1.0
	v_fma_f32 v20, -v3, v11, 1.0
	s_delay_alu instid0(VALU_DEP_1) | instskip(NEXT) | instid1(VALU_DEP_3)
	v_fmac_f32_e32 v11, v20, v11
	v_fmac_f32_e32 v10, v16, v10
	v_div_scale_f32 v16, s0, s8, v13, s8
	s_delay_alu instid0(VALU_DEP_1) | instskip(NEXT) | instid1(VALU_DEP_1)
	v_dual_mul_f32 v22, v16, v11 :: v_dual_mul_f32 v20, v21, v10
	v_dual_fma_f32 v24, -v3, v22, v16 :: v_dual_fma_f32 v23, -v2, v20, v21
	s_delay_alu instid0(VALU_DEP_1) | instskip(NEXT) | instid1(VALU_DEP_1)
	v_dual_fmac_f32 v22, v24, v11 :: v_dual_fmac_f32 v20, v23, v10
	v_dual_fma_f32 v3, -v3, v22, v16 :: v_dual_fma_f32 v2, -v2, v20, v21
	s_delay_alu instid0(VALU_DEP_1) | instskip(SKIP_1) | instid1(VALU_DEP_2)
	v_div_fmas_f32 v2, v2, v10, v20
	s_mov_b32 vcc_lo, s0
	v_div_fmas_f32 v3, v3, v11, v22
	s_delay_alu instid0(VALU_DEP_2) | instskip(NEXT) | instid1(VALU_DEP_2)
	v_div_fixup_f32 v11, v2, v12, s9
	v_div_fixup_f32 v10, v3, v13, s8
.LBB254_386:                            ;   in Loop: Header=BB254_233 Depth=1
	s_or_b32 exec_lo, exec_lo, s17
                                        ; implicit-def: $vgpr2_vgpr3
.LBB254_387:                            ;   in Loop: Header=BB254_233 Depth=1
	s_and_not1_saveexec_b32 s0, s1
	s_cbranch_execz .LBB254_389
; %bb.388:                              ;   in Loop: Header=BB254_233 Depth=1
	v_div_scale_f32 v10, null, v3, v3, v2
	v_div_scale_f32 v13, vcc_lo, v2, v3, v2
	v_mov_b64_e32 v[20:21], s[8:9]
	s_delay_alu instid0(VALU_DEP_3) | instskip(SKIP_1) | instid1(TRANS32_DEP_1)
	v_rcp_f32_e32 v11, v10
	v_nop
	v_fma_f32 v12, -v10, v11, 1.0
	s_delay_alu instid0(VALU_DEP_1) | instskip(NEXT) | instid1(VALU_DEP_1)
	v_fmac_f32_e32 v11, v12, v11
	v_mul_f32_e32 v12, v13, v11
	s_delay_alu instid0(VALU_DEP_1) | instskip(NEXT) | instid1(VALU_DEP_1)
	v_fma_f32 v16, -v10, v12, v13
	v_fmac_f32_e32 v12, v16, v11
	s_delay_alu instid0(VALU_DEP_1) | instskip(NEXT) | instid1(VALU_DEP_1)
	v_fma_f32 v10, -v10, v12, v13
	v_div_fmas_f32 v10, v10, v11, v12
	s_delay_alu instid0(VALU_DEP_1) | instskip(NEXT) | instid1(VALU_DEP_1)
	v_div_fixup_f32 v10, v10, v3, v2
	v_fmac_f32_e32 v3, v2, v10
	s_delay_alu instid0(VALU_DEP_1) | instskip(SKIP_1) | instid1(VALU_DEP_2)
	v_div_scale_f32 v2, null, v3, v3, 1.0
	v_div_scale_f32 v16, vcc_lo, 1.0, v3, 1.0
	v_rcp_f32_e32 v11, v2
	v_nop
	s_delay_alu instid0(TRANS32_DEP_1) | instskip(NEXT) | instid1(VALU_DEP_1)
	v_fma_f32 v12, -v2, v11, 1.0
	v_fmac_f32_e32 v11, v12, v11
	s_delay_alu instid0(VALU_DEP_1) | instskip(NEXT) | instid1(VALU_DEP_1)
	v_mul_f32_e32 v22, v16, v11
	v_fma_f32 v12, -v2, v22, v16
	s_delay_alu instid0(VALU_DEP_1) | instskip(SKIP_1) | instid1(VALU_DEP_2)
	v_fmac_f32_e32 v22, v12, v11
	v_mov_b64_e32 v[12:13], s[4:5]
	v_fma_f32 v2, -v2, v22, v16
	s_delay_alu instid0(VALU_DEP_1) | instskip(NEXT) | instid1(VALU_DEP_3)
	v_div_fmas_f32 v2, v2, v11, v22
	v_pk_fma_f32 v[22:23], v[10:11], v[20:21], v[12:13] op_sel_hi:[0,1,1] neg_lo:[0,0,1] neg_hi:[0,0,1]
	v_pk_fma_f32 v[10:11], v[10:11], v[20:21], v[12:13]
	s_delay_alu instid0(VALU_DEP_3) | instskip(NEXT) | instid1(VALU_DEP_3)
	v_div_fixup_f32 v2, v2, v3, 1.0
	v_mov_b32_e32 v11, v23
	s_delay_alu instid0(VALU_DEP_1)
	v_pk_mul_f32 v[10:11], v[10:11], v[2:3] op_sel_hi:[1,0]
.LBB254_389:                            ;   in Loop: Header=BB254_233 Depth=1
	s_or_b32 exec_lo, exec_lo, s0
	v_and_b32_e32 v2, 0x7fffffff, v5
	v_xor_b32_e32 v13, 0x80000000, v5
	s_mov_b32 s0, exec_lo
	s_delay_alu instid0(VALU_DEP_2)
	v_cmpx_ne_u32_e32 0, v2
	s_xor_b32 s17, exec_lo, s0
	s_cbranch_execz .LBB254_431
; %bb.390:                              ;   in Loop: Header=BB254_233 Depth=1
	v_and_b32_e32 v3, 0x7fffffff, v4
	s_mov_b32 s0, exec_lo
	s_delay_alu instid0(VALU_DEP_1)
	v_cmpx_ne_u32_e32 0, v3
	s_xor_b32 s18, exec_lo, s0
	s_cbranch_execz .LBB254_420
; %bb.391:                              ;   in Loop: Header=BB254_233 Depth=1
	v_xor_b32_e32 v16, 0x80000000, v4
	s_mov_b32 s0, exec_lo
	v_cmpx_gt_u32_e32 0x7f800000, v2
	s_xor_b32 s19, exec_lo, s0
	s_cbranch_execz .LBB254_413
; %bb.392:                              ;   in Loop: Header=BB254_233 Depth=1
	v_add_nc_u32_e32 v3, 0xbd4e8de8, v16
	s_mov_b32 s0, exec_lo
	s_delay_alu instid0(VALU_DEP_1)
	v_cmpx_lt_u32_e32 0x8e8e5c, v3
	s_xor_b32 s20, exec_lo, s0
	s_cbranch_execz .LBB254_402
; %bb.393:                              ;   in Loop: Header=BB254_233 Depth=1
	v_cmp_ngt_f32_e64 s21, 0x48000000, |v5|
                                        ; implicit-def: $vgpr12
                                        ; implicit-def: $vgpr3
	s_and_saveexec_b32 s0, s21
	s_delay_alu instid0(SALU_CYCLE_1)
	s_xor_b32 s22, exec_lo, s0
	s_cbranch_execz .LBB254_395
; %bb.394:                              ;   in Loop: Header=BB254_233 Depth=1
	v_and_or_b32 v16, v2, s12, 0x800000
	v_dual_lshrrev_b32 v3, 23, v2 :: v_dual_mov_b32 v31, v17
	v_mov_b32_e32 v33, v17
	s_delay_alu instid0(VALU_DEP_3) | instskip(SKIP_1) | instid1(VALU_DEP_4)
	v_mul_u64_e32 v[20:21], s[6:7], v[16:17]
	v_mov_b32_e32 v23, v17
	v_add_nc_u32_e32 v3, 0xffffff88, v3
	s_delay_alu instid0(VALU_DEP_1) | instskip(SKIP_1) | instid1(VALU_DEP_1)
	v_cmp_lt_u32_e32 vcc_lo, 63, v3
	v_cndmask_b32_e64 v12, 0, 0xffffffc0, vcc_lo
	v_add_nc_u32_e32 v3, v12, v3
	s_delay_alu instid0(VALU_DEP_1) | instskip(NEXT) | instid1(VALU_DEP_1)
	v_cmp_lt_u32_e64 s0, 31, v3
	v_cndmask_b32_e64 v12, 0, 0xffffffe0, s0
	s_delay_alu instid0(VALU_DEP_1) | instskip(NEXT) | instid1(VALU_DEP_1)
	v_dual_mov_b32 v22, v21 :: v_dual_add_nc_u32 v3, v12, v3
	v_mad_nc_u64_u32 v[22:23], 0x3c439041, v16, v[22:23]
	v_mov_b32_e32 v25, v17
	s_delay_alu instid0(VALU_DEP_3) | instskip(NEXT) | instid1(VALU_DEP_1)
	v_cmp_lt_u32_e64 s1, 31, v3
	v_cndmask_b32_e64 v12, 0, 0xffffffe0, s1
	s_delay_alu instid0(VALU_DEP_4) | instskip(NEXT) | instid1(VALU_DEP_1)
	v_mov_b32_e32 v24, v23
	v_mad_nc_u64_u32 v[24:25], 0xdb629599, v16, v[24:25]
	s_delay_alu instid0(VALU_DEP_1) | instskip(NEXT) | instid1(VALU_DEP_2)
	v_dual_mov_b32 v27, v17 :: v_dual_mov_b32 v26, v25
	v_cndmask_b32_e32 v20, v24, v20, vcc_lo
	s_delay_alu instid0(VALU_DEP_2) | instskip(SKIP_1) | instid1(VALU_DEP_2)
	v_mad_nc_u64_u32 v[26:27], 0xf534ddc0, v16, v[26:27]
	v_dual_mov_b32 v29, v17 :: v_dual_add_nc_u32 v3, v12, v3
	v_dual_cndmask_b32 v12, v26, v22, vcc_lo :: v_dual_mov_b32 v28, v27
	s_delay_alu instid0(VALU_DEP_1) | instskip(NEXT) | instid1(VALU_DEP_1)
	v_mad_nc_u64_u32 v[28:29], 0xfc2757d1, v16, v[28:29]
	v_dual_mov_b32 v30, v29 :: v_dual_cndmask_b32 v25, v28, v24
	s_delay_alu instid0(VALU_DEP_1) | instskip(NEXT) | instid1(VALU_DEP_1)
	v_mad_nc_u64_u32 v[30:31], 0x4e441529, v16, v[30:31]
	v_mov_b32_e32 v32, v31
	s_delay_alu instid0(VALU_DEP_1) | instskip(NEXT) | instid1(VALU_DEP_1)
	v_mad_nc_u64_u32 v[32:33], 0xa2f9836e, v16, v[32:33]
	v_dual_cndmask_b32 v16, v30, v26 :: v_dual_cndmask_b32 v21, v32, v28
	s_delay_alu instid0(VALU_DEP_2) | instskip(SKIP_1) | instid1(VALU_DEP_2)
	v_cndmask_b32_e32 v23, v33, v30, vcc_lo
	v_cmp_eq_u32_e32 vcc_lo, 0, v3
	v_dual_cndmask_b32 v22, v21, v16, s0 :: v_dual_cndmask_b32 v21, v23, v21, s0
	v_dual_cndmask_b32 v16, v16, v25, s0 :: v_dual_sub_nc_u32 v23, 32, v3
	s_delay_alu instid0(VALU_DEP_1) | instskip(NEXT) | instid1(VALU_DEP_1)
	v_dual_cndmask_b32 v21, v21, v22, s1 :: v_dual_cndmask_b32 v22, v22, v16, s1
	v_alignbit_b32 v26, v21, v22, v23
	v_cndmask_b32_e64 v25, v25, v12, s0
	s_delay_alu instid0(VALU_DEP_2) | instskip(NEXT) | instid1(VALU_DEP_1)
	v_dual_cndmask_b32 v12, v12, v20, s0 :: v_dual_cndmask_b32 v3, v26, v21, vcc_lo
	v_dual_cndmask_b32 v16, v16, v25, s1 :: v_dual_cndmask_b32 v12, v25, v12, s1
	s_delay_alu instid0(VALU_DEP_2) | instskip(NEXT) | instid1(VALU_DEP_2)
	v_bfe_u32 v21, v3, 29, 1
	v_alignbit_b32 v24, v22, v16, v23
	s_delay_alu instid0(VALU_DEP_3) | instskip(NEXT) | instid1(VALU_DEP_2)
	v_alignbit_b32 v23, v16, v12, v23
	v_dual_cndmask_b32 v20, v24, v22, vcc_lo :: v_dual_sub_nc_u32 v24, 0, v21
	s_delay_alu instid0(VALU_DEP_2) | instskip(NEXT) | instid1(VALU_DEP_2)
	v_cndmask_b32_e32 v16, v23, v16, vcc_lo
	v_alignbit_b32 v22, v3, v20, 30
	s_delay_alu instid0(VALU_DEP_2) | instskip(NEXT) | instid1(VALU_DEP_2)
	v_alignbit_b32 v12, v16, v12, 30
	v_xor_b32_e32 v22, v22, v24
	v_alignbit_b32 v20, v20, v16, 30
	s_delay_alu instid0(VALU_DEP_3) | instskip(NEXT) | instid1(VALU_DEP_3)
	v_xor_b32_e32 v12, v12, v24
	v_clz_i32_u32_e32 v23, v22
	s_delay_alu instid0(VALU_DEP_1) | instskip(NEXT) | instid1(VALU_DEP_4)
	v_min_u32_e32 v23, 32, v23
	v_dual_lshrrev_b32 v24, 29, v3 :: v_dual_bitop2_b32 v16, v20, v24 bitop3:0x14
	s_delay_alu instid0(VALU_DEP_2) | instskip(NEXT) | instid1(VALU_DEP_1)
	v_dual_sub_nc_u32 v20, 31, v23 :: v_dual_lshlrev_b32 v25, 23, v23
	v_alignbit_b32 v22, v22, v16, v20
	v_alignbit_b32 v12, v16, v12, v20
	s_delay_alu instid0(VALU_DEP_4) | instskip(NEXT) | instid1(VALU_DEP_2)
	v_lshlrev_b32_e32 v16, 31, v24
	v_alignbit_b32 v20, v22, v12, 9
	s_delay_alu instid0(VALU_DEP_2) | instskip(SKIP_1) | instid1(VALU_DEP_3)
	v_dual_lshrrev_b32 v22, 9, v22 :: v_dual_bitop2_b32 v24, 0.5, v16 bitop3:0x54
	v_or_b32_e32 v16, 0x33000000, v16
	v_clz_i32_u32_e32 v26, v20
	s_delay_alu instid0(VALU_DEP_3) | instskip(NEXT) | instid1(VALU_DEP_2)
	v_sub_nc_u32_e32 v24, v24, v25
	v_min_u32_e32 v25, 32, v26
	s_delay_alu instid0(VALU_DEP_1) | instskip(NEXT) | instid1(VALU_DEP_3)
	v_add_lshl_u32 v23, v25, v23, 23
	v_or_b32_e32 v22, v22, v24
	v_not_b32_e32 v24, v25
	s_delay_alu instid0(VALU_DEP_3) | instskip(NEXT) | instid1(VALU_DEP_3)
	v_sub_nc_u32_e32 v16, v16, v23
	v_mul_f32_e32 v26, 0x3fc90fda, v22
	s_delay_alu instid0(VALU_DEP_3) | instskip(NEXT) | instid1(VALU_DEP_2)
	v_alignbit_b32 v12, v20, v12, v24
	v_fma_f32 v20, 0x3fc90fda, v22, -v26
	s_delay_alu instid0(VALU_DEP_2) | instskip(NEXT) | instid1(VALU_DEP_2)
	v_lshrrev_b32_e32 v12, 9, v12
	v_fmac_f32_e32 v20, 0x33a22168, v22
	s_delay_alu instid0(VALU_DEP_2) | instskip(NEXT) | instid1(VALU_DEP_1)
	v_or_b32_e32 v12, v16, v12
	v_fmac_f32_e32 v20, 0x3fc90fda, v12
	s_delay_alu instid0(VALU_DEP_1) | instskip(NEXT) | instid1(VALU_DEP_1)
	v_dual_add_f32 v3, v26, v20 :: v_dual_lshrrev_b32 v12, 30, v3
	v_add_nc_u32_e32 v12, v21, v12
	s_and_not1_saveexec_b32 s0, s22
	s_branch .LBB254_396
.LBB254_395:                            ;   in Loop: Header=BB254_233 Depth=1
	s_and_not1_saveexec_b32 s0, s22
.LBB254_396:                            ;   in Loop: Header=BB254_233 Depth=1
	v_mul_f32_e64 v3, 0x3f22f983, |v5|
	s_delay_alu instid0(VALU_DEP_1) | instskip(NEXT) | instid1(VALU_DEP_1)
	v_rndne_f32_e32 v12, v3
	v_fma_f32 v3, 0xbfc90fda, v12, |v5|
	s_delay_alu instid0(VALU_DEP_1) | instskip(NEXT) | instid1(VALU_DEP_1)
	v_fmac_f32_e32 v3, 0xb3a22168, v12
	v_fmac_f32_e32 v3, 0xa7c234c4, v12
	v_cvt_i32_f32_e32 v12, v12
; %bb.397:                              ;   in Loop: Header=BB254_233 Depth=1
	s_or_b32 exec_lo, exec_lo, s0
                                        ; implicit-def: $vgpr20
                                        ; implicit-def: $vgpr16
	s_and_saveexec_b32 s0, s21
	s_delay_alu instid0(SALU_CYCLE_1)
	s_xor_b32 s21, exec_lo, s0
	s_cbranch_execz .LBB254_399
; %bb.398:                              ;   in Loop: Header=BB254_233 Depth=1
	v_and_or_b32 v16, v2, s12, 0x800000
	v_dual_mov_b32 v31, v17 :: v_dual_mov_b32 v33, v17
	s_delay_alu instid0(VALU_DEP_2) | instskip(NEXT) | instid1(VALU_DEP_1)
	v_mul_u64_e32 v[20:21], s[6:7], v[16:17]
	v_dual_mov_b32 v23, v17 :: v_dual_mov_b32 v22, v21
	v_lshrrev_b32_e32 v21, 23, v2
	s_delay_alu instid0(VALU_DEP_2) | instskip(SKIP_1) | instid1(VALU_DEP_3)
	v_mad_nc_u64_u32 v[22:23], 0x3c439041, v16, v[22:23]
	v_mov_b32_e32 v25, v17
	v_add_nc_u32_e32 v21, 0xffffff88, v21
	s_delay_alu instid0(VALU_DEP_1) | instskip(NEXT) | instid1(VALU_DEP_4)
	v_cmp_lt_u32_e32 vcc_lo, 63, v21
	v_mov_b32_e32 v24, v23
	v_cndmask_b32_e64 v23, 0, 0xffffffc0, vcc_lo
	s_delay_alu instid0(VALU_DEP_2) | instskip(NEXT) | instid1(VALU_DEP_2)
	v_mad_nc_u64_u32 v[24:25], 0xdb629599, v16, v[24:25]
	v_dual_mov_b32 v27, v17 :: v_dual_add_nc_u32 v21, v23, v21
	s_delay_alu instid0(VALU_DEP_1) | instskip(NEXT) | instid1(VALU_DEP_3)
	v_cmp_lt_u32_e64 s0, 31, v21
	v_mov_b32_e32 v26, v25
	s_delay_alu instid0(VALU_DEP_2) | instskip(SKIP_1) | instid1(VALU_DEP_3)
	v_cndmask_b32_e64 v23, 0, 0xffffffe0, s0
	v_cndmask_b32_e32 v20, v24, v20, vcc_lo
	v_mad_nc_u64_u32 v[26:27], 0xf534ddc0, v16, v[26:27]
	s_delay_alu instid0(VALU_DEP_1) | instskip(NEXT) | instid1(VALU_DEP_1)
	v_dual_mov_b32 v29, v17 :: v_dual_mov_b32 v28, v27
	v_mad_nc_u64_u32 v[28:29], 0xfc2757d1, v16, v[28:29]
	s_delay_alu instid0(VALU_DEP_1) | instskip(NEXT) | instid1(VALU_DEP_1)
	v_mov_b32_e32 v30, v29
	v_mad_nc_u64_u32 v[30:31], 0x4e441529, v16, v[30:31]
	s_delay_alu instid0(VALU_DEP_1) | instskip(NEXT) | instid1(VALU_DEP_1)
	v_mov_b32_e32 v32, v31
	v_mad_nc_u64_u32 v[32:33], 0xa2f9836e, v16, v[32:33]
	s_delay_alu instid0(VALU_DEP_3) | instskip(NEXT) | instid1(VALU_DEP_2)
	v_dual_cndmask_b32 v23, v30, v26 :: v_dual_add_nc_u32 v16, v23, v21
	v_cndmask_b32_e32 v25, v32, v28, vcc_lo
	s_delay_alu instid0(VALU_DEP_2) | instskip(NEXT) | instid1(VALU_DEP_4)
	v_cmp_lt_u32_e64 s1, 31, v16
	v_dual_cndmask_b32 v27, v33, v30 :: v_dual_cndmask_b32 v28, v28, v24
	s_delay_alu instid0(VALU_DEP_2) | instskip(NEXT) | instid1(VALU_DEP_1)
	v_cndmask_b32_e64 v21, 0, 0xffffffe0, s1
	v_dual_cndmask_b32 v21, v26, v22 :: v_dual_add_nc_u32 v16, v21, v16
	s_delay_alu instid0(VALU_DEP_3) | instskip(NEXT) | instid1(VALU_DEP_4)
	v_dual_cndmask_b32 v22, v25, v23, s0 :: v_dual_cndmask_b32 v25, v27, v25, s0
	v_cndmask_b32_e64 v23, v23, v28, s0
	s_delay_alu instid0(VALU_DEP_3) | instskip(SKIP_1) | instid1(VALU_DEP_3)
	v_dual_sub_nc_u32 v26, 32, v16 :: v_dual_cndmask_b32 v27, v28, v21, s0
	v_cmp_eq_u32_e32 vcc_lo, 0, v16
	v_dual_cndmask_b32 v25, v25, v22, s1 :: v_dual_cndmask_b32 v22, v22, v23, s1
	s_delay_alu instid0(VALU_DEP_1) | instskip(NEXT) | instid1(VALU_DEP_1)
	v_alignbit_b32 v28, v25, v22, v26
	v_dual_cndmask_b32 v23, v23, v27, s1 :: v_dual_cndmask_b32 v16, v28, v25, vcc_lo
	s_delay_alu instid0(VALU_DEP_1) | instskip(NEXT) | instid1(VALU_DEP_1)
	v_alignbit_b32 v24, v22, v23, v26
	v_dual_cndmask_b32 v20, v21, v20, s0 :: v_dual_cndmask_b32 v21, v24, v22, vcc_lo
	s_delay_alu instid0(VALU_DEP_3) | instskip(NEXT) | instid1(VALU_DEP_2)
	v_bfe_u32 v22, v16, 29, 1
	v_cndmask_b32_e64 v20, v27, v20, s1
	s_delay_alu instid0(VALU_DEP_3) | instskip(NEXT) | instid1(VALU_DEP_3)
	v_alignbit_b32 v24, v16, v21, 30
	v_sub_nc_u32_e32 v25, 0, v22
	s_delay_alu instid0(VALU_DEP_3) | instskip(NEXT) | instid1(VALU_DEP_1)
	v_alignbit_b32 v26, v23, v20, v26
	v_dual_cndmask_b32 v23, v26, v23, vcc_lo :: v_dual_bitop2_b32 v24, v24, v25 bitop3:0x14
	s_delay_alu instid0(VALU_DEP_1) | instskip(NEXT) | instid1(VALU_DEP_2)
	v_clz_i32_u32_e32 v26, v24
	v_alignbit_b32 v21, v21, v23, 30
	v_alignbit_b32 v20, v23, v20, 30
	s_delay_alu instid0(VALU_DEP_3) | instskip(NEXT) | instid1(VALU_DEP_3)
	v_min_u32_e32 v26, 32, v26
	v_xor_b32_e32 v21, v21, v25
	s_delay_alu instid0(VALU_DEP_3) | instskip(NEXT) | instid1(VALU_DEP_3)
	v_dual_lshrrev_b32 v25, 29, v16 :: v_dual_bitop2_b32 v20, v20, v25 bitop3:0x14
	v_dual_sub_nc_u32 v23, 31, v26 :: v_dual_lshlrev_b32 v27, 23, v26
	s_delay_alu instid0(VALU_DEP_1) | instskip(NEXT) | instid1(VALU_DEP_3)
	v_alignbit_b32 v24, v24, v21, v23
	v_alignbit_b32 v20, v21, v20, v23
	s_delay_alu instid0(VALU_DEP_4) | instskip(NEXT) | instid1(VALU_DEP_2)
	v_lshlrev_b32_e32 v21, 31, v25
	v_alignbit_b32 v23, v24, v20, 9
	s_delay_alu instid0(VALU_DEP_2) | instskip(SKIP_1) | instid1(VALU_DEP_3)
	v_dual_lshrrev_b32 v24, 9, v24 :: v_dual_bitop2_b32 v25, 0.5, v21 bitop3:0x54
	v_or_b32_e32 v21, 0x33000000, v21
	v_clz_i32_u32_e32 v28, v23
	s_delay_alu instid0(VALU_DEP_3) | instskip(NEXT) | instid1(VALU_DEP_2)
	v_sub_nc_u32_e32 v25, v25, v27
	v_min_u32_e32 v27, 32, v28
	s_delay_alu instid0(VALU_DEP_1) | instskip(NEXT) | instid1(VALU_DEP_3)
	v_add_lshl_u32 v26, v27, v26, 23
	v_or_b32_e32 v24, v24, v25
	v_not_b32_e32 v25, v27
	s_delay_alu instid0(VALU_DEP_2) | instskip(NEXT) | instid1(VALU_DEP_2)
	v_dual_mul_f32 v28, 0x3fc90fda, v24 :: v_dual_sub_nc_u32 v21, v21, v26
	v_alignbit_b32 v20, v23, v20, v25
	s_delay_alu instid0(VALU_DEP_2) | instskip(NEXT) | instid1(VALU_DEP_2)
	v_fma_f32 v23, 0x3fc90fda, v24, -v28
	v_lshrrev_b32_e32 v20, 9, v20
	s_delay_alu instid0(VALU_DEP_2) | instskip(NEXT) | instid1(VALU_DEP_2)
	v_fmac_f32_e32 v23, 0x33a22168, v24
	v_or_b32_e32 v20, v21, v20
	s_delay_alu instid0(VALU_DEP_1) | instskip(SKIP_1) | instid1(VALU_DEP_1)
	v_fmac_f32_e32 v23, 0x3fc90fda, v20
	v_lshrrev_b32_e32 v20, 30, v16
	v_dual_add_nc_u32 v20, v22, v20 :: v_dual_add_f32 v16, v28, v23
	s_and_not1_saveexec_b32 s0, s21
	s_cbranch_execnz .LBB254_400
	s_branch .LBB254_401
.LBB254_399:                            ;   in Loop: Header=BB254_233 Depth=1
	s_and_not1_saveexec_b32 s0, s21
.LBB254_400:                            ;   in Loop: Header=BB254_233 Depth=1
	v_mul_f32_e64 v16, 0x3f22f983, |v5|
	s_delay_alu instid0(VALU_DEP_1) | instskip(NEXT) | instid1(VALU_DEP_1)
	v_rndne_f32_e32 v20, v16
	v_fma_f32 v16, 0xbfc90fda, v20, |v5|
	s_delay_alu instid0(VALU_DEP_1) | instskip(NEXT) | instid1(VALU_DEP_1)
	v_fmac_f32_e32 v16, 0xb3a22168, v20
	v_fmac_f32_e32 v16, 0xa7c234c4, v20
	v_cvt_i32_f32_e32 v20, v20
.LBB254_401:                            ;   in Loop: Header=BB254_233 Depth=1
	s_or_b32 exec_lo, exec_lo, s0
	v_dual_mul_f32 v21, 0xbfb8aa3b, v4 :: v_dual_mul_f32 v22, v3, v3
	s_delay_alu instid0(VALU_DEP_2) | instskip(SKIP_1) | instid1(VALU_DEP_3)
	v_mul_f32_e32 v24, v16, v16
	v_cmp_ngt_f32_e64 s0, 0xc2b17218, v4
	v_fma_f32 v26, 0xbfb8aa3b, v4, -v21
	s_delay_alu instid0(VALU_DEP_4) | instskip(NEXT) | instid1(VALU_DEP_4)
	v_fmaak_f32 v27, s13, v22, 0x3c0881c4
	v_fmaak_f32 v29, s13, v24, 0x3c0881c4
	v_rndne_f32_e32 v25, v21
	v_and_b32_e32 v23, 1, v12
	s_delay_alu instid0(VALU_DEP_3) | instskip(NEXT) | instid1(VALU_DEP_3)
	v_fmaak_f32 v29, v24, v29, 0xbe2aaa9d
	v_dual_fmac_f32 v26, 0xb2a5705f, v4 :: v_dual_sub_f32 v21, v21, v25
	v_cvt_i32_f32_e32 v25, v25
	s_delay_alu instid0(VALU_DEP_4) | instskip(NEXT) | instid1(VALU_DEP_4)
	v_cmp_eq_u32_e32 vcc_lo, 0, v23
	v_mul_f32_e32 v29, v24, v29
	v_fmaak_f32 v27, v22, v27, 0xbe2aaa9d
	v_dual_fmaak_f32 v30, s14, v24, 0xbab64f3b :: v_dual_add_f32 v21, v21, v26
	s_delay_alu instid0(VALU_DEP_3) | instskip(NEXT) | instid1(VALU_DEP_3)
	v_fmac_f32_e32 v16, v16, v29
	v_dual_fmaak_f32 v28, s14, v22, 0xbab64f3b :: v_dual_mul_f32 v27, v22, v27
	s_delay_alu instid0(VALU_DEP_3) | instskip(NEXT) | instid1(VALU_DEP_3)
	v_exp_f32_e32 v21, v21
	v_fmaak_f32 v26, v24, v30, 0x3d2aabf7
	s_delay_alu instid0(VALU_DEP_2) | instskip(NEXT) | instid1(VALU_DEP_2)
	v_dual_fmaak_f32 v28, v22, v28, 0x3d2aabf7 :: v_dual_fmac_f32 v3, v3, v27
	v_fmaak_f32 v26, v24, v26, 0xbf000004
	s_delay_alu instid0(TRANS32_DEP_1) | instskip(NEXT) | instid1(VALU_DEP_3)
	v_ldexp_f32 v21, v21, v25
	v_fmaak_f32 v28, v22, v28, 0xbf000004
	s_delay_alu instid0(VALU_DEP_3) | instskip(NEXT) | instid1(VALU_DEP_2)
	v_fma_f32 v24, v24, v26, 1.0
	v_fma_f32 v22, v22, v28, 1.0
	v_dual_lshlrev_b32 v20, 30, v20 :: v_dual_bitop2_b32 v25, 1, v20 bitop3:0x40
	s_delay_alu instid0(VALU_DEP_2) | instskip(NEXT) | instid1(VALU_DEP_2)
	v_cndmask_b32_e64 v3, -v3, v22, vcc_lo
	v_cmp_eq_u32_e32 vcc_lo, 0, v25
	s_delay_alu instid0(VALU_DEP_3) | instskip(SKIP_3) | instid1(VALU_DEP_3)
	v_and_or_b32 v2, 0x80000000, v20, v2
	v_cndmask_b32_e32 v16, v24, v16, vcc_lo
	v_cmp_nlt_f32_e32 vcc_lo, 0x42ce8ed0, v4
	v_lshlrev_b32_e32 v12, 30, v12
	v_xor3_b32 v2, v2, v16, v13
	v_cndmask_b32_e32 v20, 0, v21, vcc_lo
	s_delay_alu instid0(VALU_DEP_3) | instskip(SKIP_1) | instid1(VALU_DEP_3)
	v_bitop3_b32 v3, v12, v3, 0x80000000 bitop3:0x6c
	v_cmp_class_f32_e64 vcc_lo, v5, 0x1f8
	v_cndmask_b32_e64 v4, 0x7f800000, v20, s0
	s_delay_alu instid0(VALU_DEP_3) | instskip(SKIP_1) | instid1(VALU_DEP_1)
	v_cndmask_b32_e32 v3, 0x7fc00000, v3, vcc_lo
	v_cndmask_b32_e32 v2, 0x7fc00000, v2, vcc_lo
	v_dual_mul_f32 v12, v4, v3 :: v_dual_mul_f32 v13, v4, v2
                                        ; implicit-def: $vgpr2_vgpr3_vgpr4_vgpr5
                                        ; implicit-def: $vgpr2
.LBB254_402:                            ;   in Loop: Header=BB254_233 Depth=1
	s_and_not1_saveexec_b32 s20, s20
	s_cbranch_execz .LBB254_412
; %bb.403:                              ;   in Loop: Header=BB254_233 Depth=1
	v_cmp_ngt_f32_e64 s21, 0x48000000, |v5|
                                        ; implicit-def: $vgpr12
                                        ; implicit-def: $vgpr3
	s_and_saveexec_b32 s0, s21
	s_delay_alu instid0(SALU_CYCLE_1)
	s_xor_b32 s22, exec_lo, s0
	s_cbranch_execz .LBB254_405
; %bb.404:                              ;   in Loop: Header=BB254_233 Depth=1
	v_and_or_b32 v16, v2, s12, 0x800000
	v_dual_lshrrev_b32 v3, 23, v2 :: v_dual_mov_b32 v31, v17
	v_mov_b32_e32 v33, v17
	s_delay_alu instid0(VALU_DEP_3) | instskip(SKIP_1) | instid1(VALU_DEP_4)
	v_mul_u64_e32 v[20:21], s[6:7], v[16:17]
	v_mov_b32_e32 v23, v17
	v_add_nc_u32_e32 v3, 0xffffff88, v3
	s_delay_alu instid0(VALU_DEP_1) | instskip(SKIP_1) | instid1(VALU_DEP_1)
	v_cmp_lt_u32_e32 vcc_lo, 63, v3
	v_cndmask_b32_e64 v12, 0, 0xffffffc0, vcc_lo
	v_add_nc_u32_e32 v3, v12, v3
	s_delay_alu instid0(VALU_DEP_1) | instskip(NEXT) | instid1(VALU_DEP_1)
	v_cmp_lt_u32_e64 s0, 31, v3
	v_cndmask_b32_e64 v12, 0, 0xffffffe0, s0
	s_delay_alu instid0(VALU_DEP_1) | instskip(NEXT) | instid1(VALU_DEP_1)
	v_dual_mov_b32 v22, v21 :: v_dual_add_nc_u32 v3, v12, v3
	v_mad_nc_u64_u32 v[22:23], 0x3c439041, v16, v[22:23]
	v_mov_b32_e32 v25, v17
	s_delay_alu instid0(VALU_DEP_3) | instskip(NEXT) | instid1(VALU_DEP_1)
	v_cmp_lt_u32_e64 s1, 31, v3
	v_cndmask_b32_e64 v12, 0, 0xffffffe0, s1
	s_delay_alu instid0(VALU_DEP_4) | instskip(NEXT) | instid1(VALU_DEP_1)
	v_mov_b32_e32 v24, v23
	v_mad_nc_u64_u32 v[24:25], 0xdb629599, v16, v[24:25]
	s_delay_alu instid0(VALU_DEP_1) | instskip(NEXT) | instid1(VALU_DEP_2)
	v_dual_mov_b32 v27, v17 :: v_dual_mov_b32 v26, v25
	v_cndmask_b32_e32 v20, v24, v20, vcc_lo
	s_delay_alu instid0(VALU_DEP_2) | instskip(SKIP_1) | instid1(VALU_DEP_2)
	v_mad_nc_u64_u32 v[26:27], 0xf534ddc0, v16, v[26:27]
	v_dual_mov_b32 v29, v17 :: v_dual_add_nc_u32 v3, v12, v3
	v_dual_cndmask_b32 v12, v26, v22, vcc_lo :: v_dual_mov_b32 v28, v27
	s_delay_alu instid0(VALU_DEP_1) | instskip(NEXT) | instid1(VALU_DEP_1)
	v_mad_nc_u64_u32 v[28:29], 0xfc2757d1, v16, v[28:29]
	v_dual_mov_b32 v30, v29 :: v_dual_cndmask_b32 v25, v28, v24
	s_delay_alu instid0(VALU_DEP_1) | instskip(NEXT) | instid1(VALU_DEP_1)
	v_mad_nc_u64_u32 v[30:31], 0x4e441529, v16, v[30:31]
	v_mov_b32_e32 v32, v31
	s_delay_alu instid0(VALU_DEP_1) | instskip(NEXT) | instid1(VALU_DEP_1)
	v_mad_nc_u64_u32 v[32:33], 0xa2f9836e, v16, v[32:33]
	v_dual_cndmask_b32 v16, v30, v26 :: v_dual_cndmask_b32 v21, v32, v28
	s_delay_alu instid0(VALU_DEP_2) | instskip(SKIP_1) | instid1(VALU_DEP_2)
	v_cndmask_b32_e32 v23, v33, v30, vcc_lo
	v_cmp_eq_u32_e32 vcc_lo, 0, v3
	v_dual_cndmask_b32 v22, v21, v16, s0 :: v_dual_cndmask_b32 v21, v23, v21, s0
	v_dual_cndmask_b32 v16, v16, v25, s0 :: v_dual_sub_nc_u32 v23, 32, v3
	s_delay_alu instid0(VALU_DEP_1) | instskip(NEXT) | instid1(VALU_DEP_1)
	v_dual_cndmask_b32 v21, v21, v22, s1 :: v_dual_cndmask_b32 v22, v22, v16, s1
	v_alignbit_b32 v26, v21, v22, v23
	v_cndmask_b32_e64 v25, v25, v12, s0
	s_delay_alu instid0(VALU_DEP_2) | instskip(NEXT) | instid1(VALU_DEP_1)
	v_dual_cndmask_b32 v12, v12, v20, s0 :: v_dual_cndmask_b32 v3, v26, v21, vcc_lo
	v_dual_cndmask_b32 v16, v16, v25, s1 :: v_dual_cndmask_b32 v12, v25, v12, s1
	s_delay_alu instid0(VALU_DEP_2) | instskip(NEXT) | instid1(VALU_DEP_2)
	v_bfe_u32 v21, v3, 29, 1
	v_alignbit_b32 v24, v22, v16, v23
	s_delay_alu instid0(VALU_DEP_3) | instskip(NEXT) | instid1(VALU_DEP_2)
	v_alignbit_b32 v23, v16, v12, v23
	v_dual_cndmask_b32 v20, v24, v22, vcc_lo :: v_dual_sub_nc_u32 v24, 0, v21
	s_delay_alu instid0(VALU_DEP_2) | instskip(NEXT) | instid1(VALU_DEP_2)
	v_cndmask_b32_e32 v16, v23, v16, vcc_lo
	v_alignbit_b32 v22, v3, v20, 30
	s_delay_alu instid0(VALU_DEP_2) | instskip(NEXT) | instid1(VALU_DEP_2)
	v_alignbit_b32 v12, v16, v12, 30
	v_xor_b32_e32 v22, v22, v24
	v_alignbit_b32 v20, v20, v16, 30
	s_delay_alu instid0(VALU_DEP_3) | instskip(NEXT) | instid1(VALU_DEP_3)
	v_xor_b32_e32 v12, v12, v24
	v_clz_i32_u32_e32 v23, v22
	s_delay_alu instid0(VALU_DEP_1) | instskip(NEXT) | instid1(VALU_DEP_4)
	v_min_u32_e32 v23, 32, v23
	v_dual_lshrrev_b32 v24, 29, v3 :: v_dual_bitop2_b32 v16, v20, v24 bitop3:0x14
	s_delay_alu instid0(VALU_DEP_2) | instskip(NEXT) | instid1(VALU_DEP_1)
	v_dual_sub_nc_u32 v20, 31, v23 :: v_dual_lshlrev_b32 v25, 23, v23
	v_alignbit_b32 v22, v22, v16, v20
	v_alignbit_b32 v12, v16, v12, v20
	s_delay_alu instid0(VALU_DEP_4) | instskip(NEXT) | instid1(VALU_DEP_2)
	v_lshlrev_b32_e32 v16, 31, v24
	v_alignbit_b32 v20, v22, v12, 9
	s_delay_alu instid0(VALU_DEP_2) | instskip(SKIP_1) | instid1(VALU_DEP_3)
	v_dual_lshrrev_b32 v22, 9, v22 :: v_dual_bitop2_b32 v24, 0.5, v16 bitop3:0x54
	v_or_b32_e32 v16, 0x33000000, v16
	v_clz_i32_u32_e32 v26, v20
	s_delay_alu instid0(VALU_DEP_3) | instskip(NEXT) | instid1(VALU_DEP_2)
	v_sub_nc_u32_e32 v24, v24, v25
	v_min_u32_e32 v25, 32, v26
	s_delay_alu instid0(VALU_DEP_1) | instskip(NEXT) | instid1(VALU_DEP_3)
	v_add_lshl_u32 v23, v25, v23, 23
	v_or_b32_e32 v22, v22, v24
	v_not_b32_e32 v24, v25
	s_delay_alu instid0(VALU_DEP_3) | instskip(NEXT) | instid1(VALU_DEP_3)
	v_sub_nc_u32_e32 v16, v16, v23
	v_mul_f32_e32 v26, 0x3fc90fda, v22
	s_delay_alu instid0(VALU_DEP_3) | instskip(NEXT) | instid1(VALU_DEP_2)
	v_alignbit_b32 v12, v20, v12, v24
	v_fma_f32 v20, 0x3fc90fda, v22, -v26
	s_delay_alu instid0(VALU_DEP_2) | instskip(NEXT) | instid1(VALU_DEP_2)
	v_lshrrev_b32_e32 v12, 9, v12
	v_fmac_f32_e32 v20, 0x33a22168, v22
	s_delay_alu instid0(VALU_DEP_2) | instskip(NEXT) | instid1(VALU_DEP_1)
	v_or_b32_e32 v12, v16, v12
	v_fmac_f32_e32 v20, 0x3fc90fda, v12
	s_delay_alu instid0(VALU_DEP_1) | instskip(NEXT) | instid1(VALU_DEP_1)
	v_dual_add_f32 v3, v26, v20 :: v_dual_lshrrev_b32 v12, 30, v3
	v_add_nc_u32_e32 v12, v21, v12
	s_and_not1_saveexec_b32 s0, s22
	s_branch .LBB254_406
.LBB254_405:                            ;   in Loop: Header=BB254_233 Depth=1
	s_and_not1_saveexec_b32 s0, s22
.LBB254_406:                            ;   in Loop: Header=BB254_233 Depth=1
	v_mul_f32_e64 v3, 0x3f22f983, |v5|
	s_delay_alu instid0(VALU_DEP_1) | instskip(NEXT) | instid1(VALU_DEP_1)
	v_rndne_f32_e32 v12, v3
	v_fma_f32 v3, 0xbfc90fda, v12, |v5|
	s_delay_alu instid0(VALU_DEP_1) | instskip(NEXT) | instid1(VALU_DEP_1)
	v_fmac_f32_e32 v3, 0xb3a22168, v12
	v_fmac_f32_e32 v3, 0xa7c234c4, v12
	v_cvt_i32_f32_e32 v12, v12
; %bb.407:                              ;   in Loop: Header=BB254_233 Depth=1
	s_or_b32 exec_lo, exec_lo, s0
                                        ; implicit-def: $vgpr20
                                        ; implicit-def: $vgpr16
	s_and_saveexec_b32 s0, s21
	s_delay_alu instid0(SALU_CYCLE_1)
	s_xor_b32 s21, exec_lo, s0
	s_cbranch_execz .LBB254_409
; %bb.408:                              ;   in Loop: Header=BB254_233 Depth=1
	v_and_or_b32 v16, v2, s12, 0x800000
	v_dual_mov_b32 v31, v17 :: v_dual_mov_b32 v33, v17
	s_delay_alu instid0(VALU_DEP_2) | instskip(NEXT) | instid1(VALU_DEP_1)
	v_mul_u64_e32 v[20:21], s[6:7], v[16:17]
	v_dual_mov_b32 v23, v17 :: v_dual_mov_b32 v22, v21
	v_lshrrev_b32_e32 v21, 23, v2
	s_delay_alu instid0(VALU_DEP_2) | instskip(SKIP_1) | instid1(VALU_DEP_3)
	v_mad_nc_u64_u32 v[22:23], 0x3c439041, v16, v[22:23]
	v_mov_b32_e32 v25, v17
	v_add_nc_u32_e32 v21, 0xffffff88, v21
	s_delay_alu instid0(VALU_DEP_1) | instskip(NEXT) | instid1(VALU_DEP_4)
	v_cmp_lt_u32_e32 vcc_lo, 63, v21
	v_mov_b32_e32 v24, v23
	v_cndmask_b32_e64 v23, 0, 0xffffffc0, vcc_lo
	s_delay_alu instid0(VALU_DEP_2) | instskip(NEXT) | instid1(VALU_DEP_2)
	v_mad_nc_u64_u32 v[24:25], 0xdb629599, v16, v[24:25]
	v_dual_mov_b32 v27, v17 :: v_dual_add_nc_u32 v21, v23, v21
	s_delay_alu instid0(VALU_DEP_1) | instskip(NEXT) | instid1(VALU_DEP_3)
	v_cmp_lt_u32_e64 s0, 31, v21
	v_mov_b32_e32 v26, v25
	s_delay_alu instid0(VALU_DEP_2) | instskip(SKIP_1) | instid1(VALU_DEP_3)
	v_cndmask_b32_e64 v23, 0, 0xffffffe0, s0
	v_cndmask_b32_e32 v20, v24, v20, vcc_lo
	v_mad_nc_u64_u32 v[26:27], 0xf534ddc0, v16, v[26:27]
	s_delay_alu instid0(VALU_DEP_1) | instskip(NEXT) | instid1(VALU_DEP_1)
	v_dual_mov_b32 v29, v17 :: v_dual_mov_b32 v28, v27
	v_mad_nc_u64_u32 v[28:29], 0xfc2757d1, v16, v[28:29]
	s_delay_alu instid0(VALU_DEP_1) | instskip(NEXT) | instid1(VALU_DEP_1)
	v_mov_b32_e32 v30, v29
	v_mad_nc_u64_u32 v[30:31], 0x4e441529, v16, v[30:31]
	s_delay_alu instid0(VALU_DEP_1) | instskip(NEXT) | instid1(VALU_DEP_1)
	v_mov_b32_e32 v32, v31
	v_mad_nc_u64_u32 v[32:33], 0xa2f9836e, v16, v[32:33]
	s_delay_alu instid0(VALU_DEP_3) | instskip(NEXT) | instid1(VALU_DEP_2)
	v_dual_cndmask_b32 v23, v30, v26 :: v_dual_add_nc_u32 v16, v23, v21
	v_cndmask_b32_e32 v25, v32, v28, vcc_lo
	s_delay_alu instid0(VALU_DEP_2) | instskip(NEXT) | instid1(VALU_DEP_4)
	v_cmp_lt_u32_e64 s1, 31, v16
	v_dual_cndmask_b32 v27, v33, v30 :: v_dual_cndmask_b32 v28, v28, v24
	s_delay_alu instid0(VALU_DEP_2) | instskip(NEXT) | instid1(VALU_DEP_1)
	v_cndmask_b32_e64 v21, 0, 0xffffffe0, s1
	v_dual_cndmask_b32 v21, v26, v22 :: v_dual_add_nc_u32 v16, v21, v16
	s_delay_alu instid0(VALU_DEP_3) | instskip(NEXT) | instid1(VALU_DEP_4)
	v_dual_cndmask_b32 v22, v25, v23, s0 :: v_dual_cndmask_b32 v25, v27, v25, s0
	v_cndmask_b32_e64 v23, v23, v28, s0
	s_delay_alu instid0(VALU_DEP_3) | instskip(SKIP_1) | instid1(VALU_DEP_3)
	v_dual_sub_nc_u32 v26, 32, v16 :: v_dual_cndmask_b32 v27, v28, v21, s0
	v_cmp_eq_u32_e32 vcc_lo, 0, v16
	v_dual_cndmask_b32 v25, v25, v22, s1 :: v_dual_cndmask_b32 v22, v22, v23, s1
	s_delay_alu instid0(VALU_DEP_1) | instskip(NEXT) | instid1(VALU_DEP_1)
	v_alignbit_b32 v28, v25, v22, v26
	v_dual_cndmask_b32 v23, v23, v27, s1 :: v_dual_cndmask_b32 v16, v28, v25, vcc_lo
	s_delay_alu instid0(VALU_DEP_1) | instskip(NEXT) | instid1(VALU_DEP_1)
	v_alignbit_b32 v24, v22, v23, v26
	v_dual_cndmask_b32 v20, v21, v20, s0 :: v_dual_cndmask_b32 v21, v24, v22, vcc_lo
	s_delay_alu instid0(VALU_DEP_3) | instskip(NEXT) | instid1(VALU_DEP_2)
	v_bfe_u32 v22, v16, 29, 1
	v_cndmask_b32_e64 v20, v27, v20, s1
	s_delay_alu instid0(VALU_DEP_3) | instskip(NEXT) | instid1(VALU_DEP_3)
	v_alignbit_b32 v24, v16, v21, 30
	v_sub_nc_u32_e32 v25, 0, v22
	s_delay_alu instid0(VALU_DEP_3) | instskip(NEXT) | instid1(VALU_DEP_1)
	v_alignbit_b32 v26, v23, v20, v26
	v_dual_cndmask_b32 v23, v26, v23, vcc_lo :: v_dual_bitop2_b32 v24, v24, v25 bitop3:0x14
	s_delay_alu instid0(VALU_DEP_1) | instskip(NEXT) | instid1(VALU_DEP_2)
	v_clz_i32_u32_e32 v26, v24
	v_alignbit_b32 v21, v21, v23, 30
	v_alignbit_b32 v20, v23, v20, 30
	s_delay_alu instid0(VALU_DEP_3) | instskip(NEXT) | instid1(VALU_DEP_3)
	v_min_u32_e32 v26, 32, v26
	v_xor_b32_e32 v21, v21, v25
	s_delay_alu instid0(VALU_DEP_3) | instskip(NEXT) | instid1(VALU_DEP_3)
	v_dual_lshrrev_b32 v25, 29, v16 :: v_dual_bitop2_b32 v20, v20, v25 bitop3:0x14
	v_dual_sub_nc_u32 v23, 31, v26 :: v_dual_lshlrev_b32 v27, 23, v26
	s_delay_alu instid0(VALU_DEP_1) | instskip(NEXT) | instid1(VALU_DEP_3)
	v_alignbit_b32 v24, v24, v21, v23
	v_alignbit_b32 v20, v21, v20, v23
	s_delay_alu instid0(VALU_DEP_4) | instskip(NEXT) | instid1(VALU_DEP_2)
	v_lshlrev_b32_e32 v21, 31, v25
	v_alignbit_b32 v23, v24, v20, 9
	s_delay_alu instid0(VALU_DEP_2) | instskip(SKIP_1) | instid1(VALU_DEP_3)
	v_dual_lshrrev_b32 v24, 9, v24 :: v_dual_bitop2_b32 v25, 0.5, v21 bitop3:0x54
	v_or_b32_e32 v21, 0x33000000, v21
	v_clz_i32_u32_e32 v28, v23
	s_delay_alu instid0(VALU_DEP_3) | instskip(NEXT) | instid1(VALU_DEP_2)
	v_sub_nc_u32_e32 v25, v25, v27
	v_min_u32_e32 v27, 32, v28
	s_delay_alu instid0(VALU_DEP_1) | instskip(NEXT) | instid1(VALU_DEP_3)
	v_add_lshl_u32 v26, v27, v26, 23
	v_or_b32_e32 v24, v24, v25
	v_not_b32_e32 v25, v27
	s_delay_alu instid0(VALU_DEP_2) | instskip(NEXT) | instid1(VALU_DEP_2)
	v_dual_mul_f32 v28, 0x3fc90fda, v24 :: v_dual_sub_nc_u32 v21, v21, v26
	v_alignbit_b32 v20, v23, v20, v25
	s_delay_alu instid0(VALU_DEP_2) | instskip(NEXT) | instid1(VALU_DEP_2)
	v_fma_f32 v23, 0x3fc90fda, v24, -v28
	v_lshrrev_b32_e32 v20, 9, v20
	s_delay_alu instid0(VALU_DEP_2) | instskip(NEXT) | instid1(VALU_DEP_2)
	v_fmac_f32_e32 v23, 0x33a22168, v24
	v_or_b32_e32 v20, v21, v20
	s_delay_alu instid0(VALU_DEP_1) | instskip(SKIP_1) | instid1(VALU_DEP_1)
	v_fmac_f32_e32 v23, 0x3fc90fda, v20
	v_lshrrev_b32_e32 v20, 30, v16
	v_dual_add_nc_u32 v20, v22, v20 :: v_dual_add_f32 v16, v28, v23
	s_and_not1_saveexec_b32 s0, s21
	s_cbranch_execnz .LBB254_410
	s_branch .LBB254_411
.LBB254_409:                            ;   in Loop: Header=BB254_233 Depth=1
	s_and_not1_saveexec_b32 s0, s21
.LBB254_410:                            ;   in Loop: Header=BB254_233 Depth=1
	v_mul_f32_e64 v16, 0x3f22f983, |v5|
	s_delay_alu instid0(VALU_DEP_1) | instskip(NEXT) | instid1(VALU_DEP_1)
	v_rndne_f32_e32 v20, v16
	v_fma_f32 v16, 0xbfc90fda, v20, |v5|
	s_delay_alu instid0(VALU_DEP_1) | instskip(NEXT) | instid1(VALU_DEP_1)
	v_fmac_f32_e32 v16, 0xb3a22168, v20
	v_fmac_f32_e32 v16, 0xa7c234c4, v20
	v_cvt_i32_f32_e32 v20, v20
.LBB254_411:                            ;   in Loop: Header=BB254_233 Depth=1
	s_or_b32 exec_lo, exec_lo, s0
	v_sub_f32_e32 v4, 0xc322e3bc, v4
	s_delay_alu instid0(VALU_DEP_2) | instskip(NEXT) | instid1(VALU_DEP_2)
	v_dual_lshlrev_b32 v20, 30, v20 :: v_dual_bitop2_b32 v26, 1, v20 bitop3:0x40
	v_dual_mul_f32 v24, v3, v3 :: v_dual_mul_f32 v21, 0x3fb8aa3b, v4
	s_delay_alu instid0(VALU_DEP_2) | instskip(NEXT) | instid1(VALU_DEP_2)
	v_and_or_b32 v2, 0x80000000, v20, v2
	v_fma_f32 v22, 0x3fb8aa3b, v4, -v21
	v_rndne_f32_e32 v23, v21
	s_delay_alu instid0(VALU_DEP_1) | instskip(SKIP_1) | instid1(VALU_DEP_4)
	v_sub_f32_e32 v21, v21, v23
	v_cmp_ngt_f32_e32 vcc_lo, 0xc2ce8ed0, v4
	v_fmac_f32_e32 v22, 0x32a5705f, v4
	v_cvt_i32_f32_e32 v23, v23
	s_delay_alu instid0(VALU_DEP_2) | instskip(NEXT) | instid1(VALU_DEP_1)
	v_dual_add_f32 v21, v21, v22 :: v_dual_lshlrev_b32 v22, 30, v12
	v_exp_f32_e32 v21, v21
	v_nop
	s_delay_alu instid0(TRANS32_DEP_1) | instskip(NEXT) | instid1(VALU_DEP_1)
	v_ldexp_f32 v21, v21, v23
	v_cndmask_b32_e32 v21, 0, v21, vcc_lo
	v_cmp_nlt_f32_e32 vcc_lo, 0x42b17218, v4
	s_delay_alu instid0(VALU_DEP_2) | instskip(NEXT) | instid1(VALU_DEP_1)
	v_dual_mul_f32 v25, v16, v16 :: v_dual_cndmask_b32 v4, 0x7f800000, v21
	v_dual_fmaak_f32 v27, s13, v24, 0x3c0881c4 :: v_dual_fmaak_f32 v28, s13, v25, 0x3c0881c4
	v_fmaak_f32 v29, s14, v25, 0xbab64f3b
	v_cmp_eq_u32_e32 vcc_lo, 0, v26
	s_delay_alu instid0(VALU_DEP_3) | instskip(NEXT) | instid1(VALU_DEP_3)
	v_dual_fmaak_f32 v27, v24, v27, 0xbe2aaa9d :: v_dual_fmaak_f32 v20, v25, v28, 0xbe2aaa9d
	v_dual_fmaak_f32 v21, v25, v29, 0x3d2aabf7 :: v_dual_lshrrev_b32 v28, 23, v4
	s_delay_alu instid0(VALU_DEP_2) | instskip(NEXT) | instid1(VALU_DEP_3)
	v_dual_mul_f32 v27, v24, v27 :: v_dual_bitop2_b32 v12, 1, v12 bitop3:0x40
	v_mul_f32_e32 v20, v25, v20
	s_delay_alu instid0(VALU_DEP_3) | instskip(SKIP_4) | instid1(VALU_DEP_4)
	v_subrev_nc_u32_e32 v28, 19, v28
	v_fmaak_f32 v23, s14, v24, 0xbab64f3b
	v_fmaak_f32 v21, v25, v21, 0xbf000004
	v_and_or_b32 v4, 0x7fffff, v4, s15
	v_fmac_f32_e32 v16, v16, v20
	v_fmaak_f32 v23, v24, v23, 0x3d2aabf7
	s_delay_alu instid0(VALU_DEP_4) | instskip(SKIP_1) | instid1(VALU_DEP_3)
	v_fma_f32 v20, v25, v21, 1.0
	v_fmac_f32_e32 v3, v3, v27
	v_fmaak_f32 v23, v24, v23, 0xbf000004
	s_delay_alu instid0(VALU_DEP_3) | instskip(SKIP_1) | instid1(VALU_DEP_3)
	v_cndmask_b32_e32 v16, v20, v16, vcc_lo
	v_cmp_eq_u32_e32 vcc_lo, 0, v12
	v_fma_f32 v21, v24, v23, 1.0
	v_lshrrev_b16 v23, 15, v28
	s_delay_alu instid0(VALU_DEP_4) | instskip(NEXT) | instid1(VALU_DEP_3)
	v_xor3_b32 v2, v2, v16, v13
	v_cndmask_b32_e64 v3, -v3, v21, vcc_lo
	s_delay_alu instid0(VALU_DEP_3) | instskip(SKIP_1) | instid1(VALU_DEP_3)
	v_add_nc_u16 v12, v28, v23
	v_cmp_class_f32_e64 vcc_lo, v5, 0x1f8
	v_bitop3_b32 v5, v22, v3, 0x80000000 bitop3:0x6c
	s_delay_alu instid0(VALU_DEP_3) | instskip(SKIP_1) | instid1(VALU_DEP_3)
	v_ashrrev_i16 v12, 1, v12
	v_cndmask_b32_e32 v3, 0x7fc00000, v2, vcc_lo
	v_cndmask_b32_e32 v2, 0x7fc00000, v5, vcc_lo
	s_delay_alu instid0(VALU_DEP_3) | instskip(NEXT) | instid1(VALU_DEP_1)
	v_bfe_i32 v5, v12, 0, 16
	v_pk_mul_f32 v[2:3], v[2:3], v[4:5] op_sel_hi:[1,0]
	v_sub_nc_u32_e32 v12, v28, v5
	v_lshl_add_u32 v4, v5, 23, 1.0
	s_delay_alu instid0(VALU_DEP_2) | instskip(NEXT) | instid1(VALU_DEP_2)
	v_lshl_add_u32 v12, v12, 23, 1.0
	v_pk_mul_f32 v[2:3], v[2:3], v[4:5] op_sel_hi:[1,0]
	s_delay_alu instid0(VALU_DEP_1)
	v_pk_mul_f32 v[12:13], v[2:3], v[12:13] op_sel_hi:[1,0]
.LBB254_412:                            ;   in Loop: Header=BB254_233 Depth=1
	s_or_b32 exec_lo, exec_lo, s20
                                        ; implicit-def: $vgpr2_vgpr3_vgpr4_vgpr5
                                        ; implicit-def: $vgpr16
                                        ; implicit-def: $vgpr3
.LBB254_413:                            ;   in Loop: Header=BB254_233 Depth=1
	s_and_not1_saveexec_b32 s0, s19
	s_cbranch_execz .LBB254_419
; %bb.414:                              ;   in Loop: Header=BB254_233 Depth=1
	v_sub_f32_e32 v13, v5, v5
	s_mov_b32 s1, exec_lo
	v_cmpx_ne_u32_e32 0x7f800000, v3
	s_xor_b32 s1, exec_lo, s1
; %bb.415:                              ;   in Loop: Header=BB254_233 Depth=1
                                        ; implicit-def: $vgpr16
                                        ; implicit-def: $vgpr2_vgpr3_vgpr4_vgpr5
; %bb.416:                              ;   in Loop: Header=BB254_233 Depth=1
	s_delay_alu instid0(SALU_CYCLE_1)
	s_or_saveexec_b32 s1, s1
	v_mov_b32_e32 v12, v13
	s_xor_b32 exec_lo, exec_lo, s1
; %bb.417:                              ;   in Loop: Header=BB254_233 Depth=1
	v_cmp_lt_i32_e32 vcc_lo, -1, v16
	v_dual_cndmask_b32 v12, 0, -v4, vcc_lo :: v_dual_cndmask_b32 v13, 0, v13, vcc_lo
; %bb.418:                              ;   in Loop: Header=BB254_233 Depth=1
	s_or_b32 exec_lo, exec_lo, s1
.LBB254_419:                            ;   in Loop: Header=BB254_233 Depth=1
	s_delay_alu instid0(SALU_CYCLE_1)
	s_or_b32 exec_lo, exec_lo, s0
                                        ; implicit-def: $vgpr2_vgpr3_vgpr4_vgpr5
                                        ; implicit-def: $vgpr2
.LBB254_420:                            ;   in Loop: Header=BB254_233 Depth=1
	s_and_not1_saveexec_b32 s18, s18
	s_cbranch_execz .LBB254_430
; %bb.421:                              ;   in Loop: Header=BB254_233 Depth=1
	v_cmp_ngt_f32_e64 s19, 0x48000000, |v5|
                                        ; implicit-def: $vgpr4
                                        ; implicit-def: $vgpr3
	s_and_saveexec_b32 s0, s19
	s_delay_alu instid0(SALU_CYCLE_1)
	s_xor_b32 s20, exec_lo, s0
	s_cbranch_execz .LBB254_423
; %bb.422:                              ;   in Loop: Header=BB254_233 Depth=1
	v_and_or_b32 v16, v2, s12, 0x800000
	v_dual_lshrrev_b32 v3, 23, v2 :: v_dual_mov_b32 v31, v17
	v_mov_b32_e32 v33, v17
	s_delay_alu instid0(VALU_DEP_3) | instskip(SKIP_1) | instid1(VALU_DEP_4)
	v_mul_u64_e32 v[20:21], s[6:7], v[16:17]
	v_mov_b32_e32 v23, v17
	v_add_nc_u32_e32 v3, 0xffffff88, v3
	s_delay_alu instid0(VALU_DEP_1) | instskip(SKIP_1) | instid1(VALU_DEP_1)
	v_cmp_lt_u32_e32 vcc_lo, 63, v3
	v_cndmask_b32_e64 v4, 0, 0xffffffc0, vcc_lo
	v_add_nc_u32_e32 v3, v4, v3
	s_delay_alu instid0(VALU_DEP_1) | instskip(NEXT) | instid1(VALU_DEP_1)
	v_cmp_lt_u32_e64 s0, 31, v3
	v_cndmask_b32_e64 v4, 0, 0xffffffe0, s0
	s_delay_alu instid0(VALU_DEP_1) | instskip(NEXT) | instid1(VALU_DEP_1)
	v_dual_mov_b32 v22, v21 :: v_dual_add_nc_u32 v3, v4, v3
	v_mad_nc_u64_u32 v[22:23], 0x3c439041, v16, v[22:23]
	v_mov_b32_e32 v25, v17
	s_delay_alu instid0(VALU_DEP_3) | instskip(NEXT) | instid1(VALU_DEP_1)
	v_cmp_lt_u32_e64 s1, 31, v3
	v_cndmask_b32_e64 v4, 0, 0xffffffe0, s1
	s_delay_alu instid0(VALU_DEP_4) | instskip(NEXT) | instid1(VALU_DEP_1)
	v_mov_b32_e32 v24, v23
	v_mad_nc_u64_u32 v[24:25], 0xdb629599, v16, v[24:25]
	s_delay_alu instid0(VALU_DEP_1) | instskip(NEXT) | instid1(VALU_DEP_1)
	v_dual_mov_b32 v27, v17 :: v_dual_mov_b32 v26, v25
	v_mad_nc_u64_u32 v[26:27], 0xf534ddc0, v16, v[26:27]
	v_dual_mov_b32 v29, v17 :: v_dual_add_nc_u32 v3, v4, v3
	s_delay_alu instid0(VALU_DEP_2) | instskip(NEXT) | instid1(VALU_DEP_1)
	v_dual_cndmask_b32 v4, v26, v22, vcc_lo :: v_dual_mov_b32 v28, v27
	v_mad_nc_u64_u32 v[28:29], 0xfc2757d1, v16, v[28:29]
	s_delay_alu instid0(VALU_DEP_1) | instskip(NEXT) | instid1(VALU_DEP_1)
	v_dual_mov_b32 v30, v29 :: v_dual_cndmask_b32 v23, v28, v24
	v_mad_nc_u64_u32 v[30:31], 0x4e441529, v16, v[30:31]
	s_delay_alu instid0(VALU_DEP_1) | instskip(NEXT) | instid1(VALU_DEP_1)
	v_mov_b32_e32 v32, v31
	v_mad_nc_u64_u32 v[32:33], 0xa2f9836e, v16, v[32:33]
	s_delay_alu instid0(VALU_DEP_1) | instskip(NEXT) | instid1(VALU_DEP_1)
	v_dual_cndmask_b32 v12, v30, v26, vcc_lo :: v_dual_cndmask_b32 v16, v32, v28, vcc_lo
	v_dual_cndmask_b32 v21, v33, v30, vcc_lo :: v_dual_cndmask_b32 v22, v16, v12, s0
	s_delay_alu instid0(VALU_DEP_1) | instskip(SKIP_1) | instid1(VALU_DEP_2)
	v_dual_cndmask_b32 v16, v21, v16, s0 :: v_dual_cndmask_b32 v12, v12, v23, s0
	v_dual_sub_nc_u32 v21, 32, v3 :: v_dual_cndmask_b32 v23, v23, v4, s0
	v_dual_cndmask_b32 v16, v16, v22, s1 :: v_dual_cndmask_b32 v22, v22, v12, s1
	s_delay_alu instid0(VALU_DEP_2) | instskip(SKIP_2) | instid1(VALU_DEP_4)
	v_cndmask_b32_e64 v12, v12, v23, s1
	v_cndmask_b32_e32 v20, v24, v20, vcc_lo
	v_cmp_eq_u32_e32 vcc_lo, 0, v3
	v_alignbit_b32 v25, v16, v22, v21
	s_delay_alu instid0(VALU_DEP_4) | instskip(NEXT) | instid1(VALU_DEP_1)
	v_alignbit_b32 v24, v22, v12, v21
	v_dual_cndmask_b32 v3, v25, v16 :: v_dual_cndmask_b32 v16, v24, v22
	v_cndmask_b32_e64 v4, v4, v20, s0
	s_delay_alu instid0(VALU_DEP_2) | instskip(NEXT) | instid1(VALU_DEP_3)
	v_bfe_u32 v20, v3, 29, 1
	v_alignbit_b32 v22, v3, v16, 30
	s_delay_alu instid0(VALU_DEP_3) | instskip(NEXT) | instid1(VALU_DEP_3)
	v_cndmask_b32_e64 v4, v23, v4, s1
	v_sub_nc_u32_e32 v23, 0, v20
	s_delay_alu instid0(VALU_DEP_2) | instskip(NEXT) | instid1(VALU_DEP_1)
	v_alignbit_b32 v21, v12, v4, v21
	v_dual_cndmask_b32 v12, v21, v12, vcc_lo :: v_dual_bitop2_b32 v22, v22, v23 bitop3:0x14
	s_delay_alu instid0(VALU_DEP_1) | instskip(NEXT) | instid1(VALU_DEP_2)
	v_clz_i32_u32_e32 v21, v22
	v_alignbit_b32 v16, v16, v12, 30
	v_alignbit_b32 v4, v12, v4, 30
	s_delay_alu instid0(VALU_DEP_3) | instskip(NEXT) | instid1(VALU_DEP_3)
	v_min_u32_e32 v21, 32, v21
	v_xor_b32_e32 v12, v16, v23
	s_delay_alu instid0(VALU_DEP_3) | instskip(NEXT) | instid1(VALU_DEP_3)
	v_xor_b32_e32 v4, v4, v23
	v_dual_lshrrev_b32 v23, 29, v3 :: v_dual_lshlrev_b32 v24, 23, v21
	v_sub_nc_u32_e32 v16, 31, v21
	s_delay_alu instid0(VALU_DEP_1) | instskip(NEXT) | instid1(VALU_DEP_4)
	v_alignbit_b32 v22, v22, v12, v16
	v_alignbit_b32 v4, v12, v4, v16
	s_delay_alu instid0(VALU_DEP_4) | instskip(NEXT) | instid1(VALU_DEP_2)
	v_lshlrev_b32_e32 v12, 31, v23
	v_alignbit_b32 v16, v22, v4, 9
	s_delay_alu instid0(VALU_DEP_2) | instskip(SKIP_1) | instid1(VALU_DEP_3)
	v_dual_lshrrev_b32 v22, 9, v22 :: v_dual_bitop2_b32 v23, 0.5, v12 bitop3:0x54
	v_or_b32_e32 v12, 0x33000000, v12
	v_clz_i32_u32_e32 v25, v16
	s_delay_alu instid0(VALU_DEP_3) | instskip(NEXT) | instid1(VALU_DEP_2)
	v_sub_nc_u32_e32 v23, v23, v24
	v_min_u32_e32 v24, 32, v25
	s_delay_alu instid0(VALU_DEP_1) | instskip(NEXT) | instid1(VALU_DEP_1)
	v_add_lshl_u32 v21, v24, v21, 23
	v_dual_sub_nc_u32 v12, v12, v21 :: v_dual_bitop2_b32 v22, v22, v23 bitop3:0x54
	v_not_b32_e32 v23, v24
	s_delay_alu instid0(VALU_DEP_1) | instskip(NEXT) | instid1(VALU_DEP_1)
	v_alignbit_b32 v4, v16, v4, v23
	v_lshrrev_b32_e32 v4, 9, v4
	s_delay_alu instid0(VALU_DEP_1) | instskip(SKIP_1) | instid1(VALU_DEP_1)
	v_or_b32_e32 v4, v12, v4
	v_mul_f32_e32 v25, 0x3fc90fda, v22
	v_fma_f32 v16, 0x3fc90fda, v22, -v25
	s_delay_alu instid0(VALU_DEP_1) | instskip(NEXT) | instid1(VALU_DEP_1)
	v_fmac_f32_e32 v16, 0x33a22168, v22
	v_fmac_f32_e32 v16, 0x3fc90fda, v4
	s_delay_alu instid0(VALU_DEP_1) | instskip(NEXT) | instid1(VALU_DEP_1)
	v_dual_add_f32 v3, v25, v16 :: v_dual_lshrrev_b32 v4, 30, v3
	v_add_nc_u32_e32 v4, v20, v4
	s_and_not1_saveexec_b32 s0, s20
	s_branch .LBB254_424
.LBB254_423:                            ;   in Loop: Header=BB254_233 Depth=1
	s_and_not1_saveexec_b32 s0, s20
.LBB254_424:                            ;   in Loop: Header=BB254_233 Depth=1
	v_mul_f32_e64 v3, 0x3f22f983, |v5|
	s_delay_alu instid0(VALU_DEP_1) | instskip(NEXT) | instid1(VALU_DEP_1)
	v_rndne_f32_e32 v4, v3
	v_fma_f32 v3, 0xbfc90fda, v4, |v5|
	s_delay_alu instid0(VALU_DEP_1) | instskip(NEXT) | instid1(VALU_DEP_1)
	v_fmac_f32_e32 v3, 0xb3a22168, v4
	v_fmac_f32_e32 v3, 0xa7c234c4, v4
	v_cvt_i32_f32_e32 v4, v4
; %bb.425:                              ;   in Loop: Header=BB254_233 Depth=1
	s_or_b32 exec_lo, exec_lo, s0
                                        ; implicit-def: $vgpr16
                                        ; implicit-def: $vgpr12
	s_and_saveexec_b32 s0, s19
	s_delay_alu instid0(SALU_CYCLE_1)
	s_xor_b32 s19, exec_lo, s0
	s_cbranch_execz .LBB254_427
; %bb.426:                              ;   in Loop: Header=BB254_233 Depth=1
	v_and_or_b32 v16, v2, s12, 0x800000
	v_dual_mov_b32 v31, v17 :: v_dual_lshrrev_b32 v12, 23, v2
	v_mov_b32_e32 v33, v17
	s_delay_alu instid0(VALU_DEP_3) | instskip(NEXT) | instid1(VALU_DEP_1)
	v_mul_u64_e32 v[20:21], s[6:7], v[16:17]
	v_dual_mov_b32 v23, v17 :: v_dual_mov_b32 v22, v21
	s_delay_alu instid0(VALU_DEP_1) | instskip(NEXT) | instid1(VALU_DEP_1)
	v_mad_nc_u64_u32 v[22:23], 0x3c439041, v16, v[22:23]
	v_dual_mov_b32 v25, v17 :: v_dual_mov_b32 v24, v23
	s_delay_alu instid0(VALU_DEP_1) | instskip(NEXT) | instid1(VALU_DEP_1)
	v_mad_nc_u64_u32 v[24:25], 0xdb629599, v16, v[24:25]
	;; [unrolled: 3-line block ×4, first 2 shown]
	v_mov_b32_e32 v30, v29
	s_delay_alu instid0(VALU_DEP_1) | instskip(SKIP_1) | instid1(VALU_DEP_1)
	v_mad_nc_u64_u32 v[30:31], 0x4e441529, v16, v[30:31]
	v_add_nc_u32_e32 v12, 0xffffff88, v12
	v_cmp_lt_u32_e32 vcc_lo, 63, v12
	v_cndmask_b32_e64 v21, 0, 0xffffffc0, vcc_lo
	s_delay_alu instid0(VALU_DEP_4) | instskip(NEXT) | instid1(VALU_DEP_2)
	v_dual_mov_b32 v32, v31 :: v_dual_cndmask_b32 v20, v24, v20, vcc_lo
	v_add_nc_u32_e32 v12, v21, v12
	s_delay_alu instid0(VALU_DEP_2) | instskip(NEXT) | instid1(VALU_DEP_2)
	v_mad_nc_u64_u32 v[32:33], 0xa2f9836e, v16, v[32:33]
	v_cmp_lt_u32_e64 s0, 31, v12
	s_delay_alu instid0(VALU_DEP_1) | instskip(NEXT) | instid1(VALU_DEP_3)
	v_cndmask_b32_e64 v21, 0, 0xffffffe0, s0
	v_dual_cndmask_b32 v23, v32, v28, vcc_lo :: v_dual_cndmask_b32 v25, v33, v30, vcc_lo
	s_delay_alu instid0(VALU_DEP_2) | instskip(SKIP_1) | instid1(VALU_DEP_2)
	v_dual_cndmask_b32 v21, v30, v26 :: v_dual_add_nc_u32 v12, v21, v12
	v_cndmask_b32_e32 v27, v28, v24, vcc_lo
	v_cmp_lt_u32_e64 s1, 31, v12
	s_delay_alu instid0(VALU_DEP_1) | instskip(NEXT) | instid1(VALU_DEP_1)
	v_cndmask_b32_e64 v16, 0, 0xffffffe0, s1
	v_dual_add_nc_u32 v12, v16, v12 :: v_dual_cndmask_b32 v16, v26, v22, vcc_lo
	v_dual_cndmask_b32 v22, v23, v21, s0 :: v_dual_cndmask_b32 v23, v25, v23, s0
	s_delay_alu instid0(VALU_DEP_2) | instskip(NEXT) | instid1(VALU_DEP_3)
	v_dual_cndmask_b32 v21, v21, v27, s0 :: v_dual_sub_nc_u32 v25, 32, v12
	v_cndmask_b32_e64 v26, v27, v16, s0
	v_cmp_eq_u32_e32 vcc_lo, 0, v12
	s_delay_alu instid0(VALU_DEP_3) | instskip(SKIP_1) | instid1(VALU_DEP_2)
	v_dual_cndmask_b32 v23, v23, v22, s1 :: v_dual_cndmask_b32 v22, v22, v21, s1
	v_cndmask_b32_e64 v16, v16, v20, s0
	v_alignbit_b32 v27, v23, v22, v25
	s_delay_alu instid0(VALU_DEP_1) | instskip(NEXT) | instid1(VALU_DEP_1)
	v_dual_cndmask_b32 v21, v21, v26, s1 :: v_dual_cndmask_b32 v12, v27, v23, vcc_lo
	v_alignbit_b32 v24, v22, v21, v25
	s_delay_alu instid0(VALU_DEP_1) | instskip(NEXT) | instid1(VALU_DEP_3)
	v_cndmask_b32_e32 v20, v24, v22, vcc_lo
	v_bfe_u32 v22, v12, 29, 1
	s_delay_alu instid0(VALU_DEP_1) | instskip(NEXT) | instid1(VALU_DEP_3)
	v_dual_sub_nc_u32 v24, 0, v22 :: v_dual_cndmask_b32 v16, v26, v16, s1
	v_alignbit_b32 v23, v12, v20, 30
	s_delay_alu instid0(VALU_DEP_2) | instskip(NEXT) | instid1(VALU_DEP_1)
	v_alignbit_b32 v25, v21, v16, v25
	v_dual_cndmask_b32 v21, v25, v21, vcc_lo :: v_dual_bitop2_b32 v23, v23, v24 bitop3:0x14
	s_delay_alu instid0(VALU_DEP_1) | instskip(NEXT) | instid1(VALU_DEP_2)
	v_clz_i32_u32_e32 v25, v23
	v_alignbit_b32 v20, v20, v21, 30
	s_delay_alu instid0(VALU_DEP_2) | instskip(SKIP_1) | instid1(VALU_DEP_2)
	v_min_u32_e32 v25, 32, v25
	v_alignbit_b32 v16, v21, v16, 30
	v_dual_sub_nc_u32 v21, 31, v25 :: v_dual_bitop2_b32 v20, v20, v24 bitop3:0x14
	s_delay_alu instid0(VALU_DEP_2) | instskip(SKIP_1) | instid1(VALU_DEP_3)
	v_xor_b32_e32 v16, v16, v24
	v_dual_lshrrev_b32 v24, 29, v12 :: v_dual_lshlrev_b32 v26, 23, v25
	v_alignbit_b32 v23, v23, v20, v21
	s_delay_alu instid0(VALU_DEP_3) | instskip(NEXT) | instid1(VALU_DEP_3)
	v_alignbit_b32 v16, v20, v16, v21
	v_lshlrev_b32_e32 v20, 31, v24
	s_delay_alu instid0(VALU_DEP_2) | instskip(NEXT) | instid1(VALU_DEP_2)
	v_alignbit_b32 v21, v23, v16, 9
	v_dual_lshrrev_b32 v23, 9, v23 :: v_dual_bitop2_b32 v24, 0.5, v20 bitop3:0x54
	v_or_b32_e32 v20, 0x33000000, v20
	s_delay_alu instid0(VALU_DEP_3) | instskip(NEXT) | instid1(VALU_DEP_3)
	v_clz_i32_u32_e32 v27, v21
	v_sub_nc_u32_e32 v24, v24, v26
	s_delay_alu instid0(VALU_DEP_2) | instskip(NEXT) | instid1(VALU_DEP_1)
	v_min_u32_e32 v26, 32, v27
	v_add_lshl_u32 v25, v26, v25, 23
	s_delay_alu instid0(VALU_DEP_3) | instskip(SKIP_1) | instid1(VALU_DEP_2)
	v_or_b32_e32 v23, v23, v24
	v_not_b32_e32 v24, v26
	v_dual_mul_f32 v27, 0x3fc90fda, v23 :: v_dual_sub_nc_u32 v20, v20, v25
	s_delay_alu instid0(VALU_DEP_2) | instskip(NEXT) | instid1(VALU_DEP_2)
	v_alignbit_b32 v16, v21, v16, v24
	v_fma_f32 v21, 0x3fc90fda, v23, -v27
	s_delay_alu instid0(VALU_DEP_1) | instskip(NEXT) | instid1(VALU_DEP_1)
	v_dual_fmac_f32 v21, 0x33a22168, v23 :: v_dual_lshrrev_b32 v16, 9, v16
	v_or_b32_e32 v16, v20, v16
	s_delay_alu instid0(VALU_DEP_1) | instskip(SKIP_1) | instid1(VALU_DEP_1)
	v_fmac_f32_e32 v21, 0x3fc90fda, v16
	v_lshrrev_b32_e32 v16, 30, v12
	v_dual_add_nc_u32 v16, v22, v16 :: v_dual_add_f32 v12, v27, v21
	s_and_not1_saveexec_b32 s0, s19
	s_cbranch_execnz .LBB254_428
	s_branch .LBB254_429
.LBB254_427:                            ;   in Loop: Header=BB254_233 Depth=1
	s_and_not1_saveexec_b32 s0, s19
.LBB254_428:                            ;   in Loop: Header=BB254_233 Depth=1
	v_mul_f32_e64 v12, 0x3f22f983, |v5|
	s_delay_alu instid0(VALU_DEP_1) | instskip(NEXT) | instid1(VALU_DEP_1)
	v_rndne_f32_e32 v16, v12
	v_fma_f32 v12, 0xbfc90fda, v16, |v5|
	s_delay_alu instid0(VALU_DEP_1) | instskip(NEXT) | instid1(VALU_DEP_1)
	v_fmac_f32_e32 v12, 0xb3a22168, v16
	v_fmac_f32_e32 v12, 0xa7c234c4, v16
	v_cvt_i32_f32_e32 v16, v16
.LBB254_429:                            ;   in Loop: Header=BB254_233 Depth=1
	s_or_b32 exec_lo, exec_lo, s0
	s_delay_alu instid0(VALU_DEP_1) | instskip(NEXT) | instid1(VALU_DEP_2)
	v_dual_mul_f32 v20, v3, v3 :: v_dual_mul_f32 v21, v12, v12
	v_and_b32_e32 v27, 1, v16
	v_dual_lshlrev_b32 v4, 30, v4 :: v_dual_bitop2_b32 v22, 1, v4 bitop3:0x40
	s_delay_alu instid0(VALU_DEP_3) | instskip(NEXT) | instid1(VALU_DEP_2)
	v_dual_fmaak_f32 v25, s13, v21, 0x3c0881c4 :: v_dual_lshlrev_b32 v16, 30, v16
	v_cmp_eq_u32_e32 vcc_lo, 0, v22
	s_delay_alu instid0(VALU_DEP_2) | instskip(NEXT) | instid1(VALU_DEP_3)
	v_and_or_b32 v2, 0x80000000, v16, v2
	v_fmaak_f32 v25, v21, v25, 0xbe2aaa9d
	s_delay_alu instid0(VALU_DEP_1) | instskip(NEXT) | instid1(VALU_DEP_1)
	v_mul_f32_e32 v25, v21, v25
	v_dual_fmaak_f32 v23, s13, v20, 0x3c0881c4 :: v_dual_fmac_f32 v12, v12, v25
	s_delay_alu instid0(VALU_DEP_1) | instskip(NEXT) | instid1(VALU_DEP_1)
	v_fmaak_f32 v23, v20, v23, 0xbe2aaa9d
	v_dual_fmaak_f32 v24, s14, v20, 0xbab64f3b :: v_dual_mul_f32 v23, v20, v23
	v_fmaak_f32 v26, s14, v21, 0xbab64f3b
	s_delay_alu instid0(VALU_DEP_2) | instskip(NEXT) | instid1(VALU_DEP_2)
	v_dual_fmaak_f32 v24, v20, v24, 0x3d2aabf7 :: v_dual_fmac_f32 v3, v3, v23
	v_fmaak_f32 v26, v21, v26, 0x3d2aabf7
	s_delay_alu instid0(VALU_DEP_2) | instskip(NEXT) | instid1(VALU_DEP_2)
	v_fmaak_f32 v24, v20, v24, 0xbf000004
	v_fmaak_f32 v26, v21, v26, 0xbf000004
	s_delay_alu instid0(VALU_DEP_2) | instskip(NEXT) | instid1(VALU_DEP_2)
	v_fma_f32 v20, v20, v24, 1.0
	v_fma_f32 v21, v21, v26, 1.0
	s_delay_alu instid0(VALU_DEP_2) | instskip(SKIP_1) | instid1(VALU_DEP_2)
	v_cndmask_b32_e64 v3, -v3, v20, vcc_lo
	v_cmp_eq_u32_e32 vcc_lo, 0, v27
	v_bitop3_b32 v3, v4, v3, 0x80000000 bitop3:0x6c
	s_delay_alu instid0(VALU_DEP_4) | instskip(SKIP_1) | instid1(VALU_DEP_2)
	v_cndmask_b32_e32 v12, v21, v12, vcc_lo
	v_cmp_class_f32_e64 vcc_lo, v5, 0x1f8
	v_xor3_b32 v2, v2, v12, v13
	s_delay_alu instid0(VALU_DEP_4) | instskip(NEXT) | instid1(VALU_DEP_2)
	v_cndmask_b32_e32 v12, 0x7fc00000, v3, vcc_lo
	v_cndmask_b32_e32 v13, 0x7fc00000, v2, vcc_lo
.LBB254_430:                            ;   in Loop: Header=BB254_233 Depth=1
	s_or_b32 exec_lo, exec_lo, s18
                                        ; implicit-def: $vgpr2_vgpr3_vgpr4_vgpr5
.LBB254_431:                            ;   in Loop: Header=BB254_233 Depth=1
	s_and_not1_saveexec_b32 s0, s17
	s_cbranch_execz .LBB254_433
; %bb.432:                              ;   in Loop: Header=BB254_233 Depth=1
	v_mul_f32_e32 v2, 0xbfb8aa3b, v4
	v_cmp_nlt_f32_e32 vcc_lo, 0x42ce8ed0, v4
	s_delay_alu instid0(VALU_DEP_2) | instskip(SKIP_1) | instid1(VALU_DEP_1)
	v_rndne_f32_e32 v3, v2
	v_fma_f32 v5, 0xbfb8aa3b, v4, -v2
	v_dual_sub_f32 v2, v2, v3 :: v_dual_fmac_f32 v5, 0xb2a5705f, v4
	v_cvt_i32_f32_e32 v3, v3
	s_delay_alu instid0(VALU_DEP_2) | instskip(NEXT) | instid1(VALU_DEP_1)
	v_add_f32_e32 v2, v2, v5
	v_exp_f32_e32 v2, v2
	v_nop
	s_delay_alu instid0(TRANS32_DEP_1) | instskip(NEXT) | instid1(VALU_DEP_1)
	v_ldexp_f32 v2, v2, v3
	v_cndmask_b32_e32 v2, 0, v2, vcc_lo
	v_cmp_ngt_f32_e32 vcc_lo, 0xc2b17218, v4
	s_delay_alu instid0(VALU_DEP_2)
	v_cndmask_b32_e32 v12, 0x7f800000, v2, vcc_lo
.LBB254_433:                            ;   in Loop: Header=BB254_233 Depth=1
	s_or_b32 exec_lo, exec_lo, s0
	v_mov_b64_e32 v[2:3], s[8:9]
	s_mov_b32 s0, exec_lo
	s_delay_alu instid0(VALU_DEP_1) | instskip(NEXT) | instid1(VALU_DEP_1)
	v_pk_add_f32 v[2:3], v[12:13], v[2:3]
	v_cmp_gt_f32_e32 vcc_lo, 0, v3
	v_cndmask_b32_e64 v4, v3, -v3, vcc_lo
	s_delay_alu instid0(VALU_DEP_3) | instskip(SKIP_1) | instid1(VALU_DEP_1)
	v_cmp_gt_f32_e32 vcc_lo, 0, v2
	v_cndmask_b32_e64 v5, v2, -v2, vcc_lo
	v_cmpx_ge_f32_e32 v5, v4
	s_xor_b32 s1, exec_lo, s0
	s_cbranch_execz .LBB254_439
; %bb.434:                              ;   in Loop: Header=BB254_233 Depth=1
	v_cmp_neq_f32_e32 vcc_lo, 0, v2
	v_cmp_neq_f32_e64 s0, 0, v3
	s_or_b32 s0, vcc_lo, s0
	s_delay_alu instid0(SALU_CYCLE_1) | instskip(NEXT) | instid1(SALU_CYCLE_1)
	s_and_saveexec_b32 s17, s0
	s_xor_b32 s0, exec_lo, s17
	s_cbranch_execz .LBB254_436
; %bb.435:                              ;   in Loop: Header=BB254_233 Depth=1
	v_div_scale_f32 v4, null, v2, v2, v3
	v_div_scale_f32 v13, vcc_lo, v3, v2, v3
	v_mov_b64_e32 v[20:21], s[4:5]
	s_delay_alu instid0(VALU_DEP_3) | instskip(SKIP_1) | instid1(TRANS32_DEP_1)
	v_rcp_f32_e32 v5, v4
	v_nop
	v_fma_f32 v12, -v4, v5, 1.0
	s_delay_alu instid0(VALU_DEP_1) | instskip(NEXT) | instid1(VALU_DEP_1)
	v_fmac_f32_e32 v5, v12, v5
	v_mul_f32_e32 v12, v13, v5
	s_delay_alu instid0(VALU_DEP_1) | instskip(NEXT) | instid1(VALU_DEP_1)
	v_fma_f32 v16, -v4, v12, v13
	v_fmac_f32_e32 v12, v16, v5
	s_delay_alu instid0(VALU_DEP_1) | instskip(NEXT) | instid1(VALU_DEP_1)
	v_fma_f32 v4, -v4, v12, v13
	v_div_fmas_f32 v4, v4, v5, v12
	s_delay_alu instid0(VALU_DEP_1) | instskip(NEXT) | instid1(VALU_DEP_1)
	v_div_fixup_f32 v4, v4, v2, v3
	v_fmac_f32_e32 v2, v3, v4
	s_delay_alu instid0(VALU_DEP_1) | instskip(SKIP_1) | instid1(VALU_DEP_2)
	v_div_scale_f32 v3, null, v2, v2, 1.0
	v_div_scale_f32 v16, vcc_lo, 1.0, v2, 1.0
	v_rcp_f32_e32 v5, v3
	v_nop
	s_delay_alu instid0(TRANS32_DEP_1) | instskip(NEXT) | instid1(VALU_DEP_1)
	v_fma_f32 v12, -v3, v5, 1.0
	v_fmac_f32_e32 v5, v12, v5
	s_delay_alu instid0(VALU_DEP_1) | instskip(NEXT) | instid1(VALU_DEP_1)
	v_mul_f32_e32 v22, v16, v5
	v_fma_f32 v12, -v3, v22, v16
	s_delay_alu instid0(VALU_DEP_1) | instskip(SKIP_1) | instid1(VALU_DEP_2)
	v_fmac_f32_e32 v22, v12, v5
	v_mov_b64_e32 v[12:13], s[8:9]
	v_fma_f32 v3, -v3, v22, v16
	s_delay_alu instid0(VALU_DEP_1) | instskip(NEXT) | instid1(VALU_DEP_3)
	v_div_fmas_f32 v3, v3, v5, v22
	v_pk_fma_f32 v[22:23], v[4:5], v[20:21], v[12:13] op_sel_hi:[0,1,1] neg_lo:[1,0,0] neg_hi:[1,0,0]
	v_pk_fma_f32 v[4:5], v[4:5], v[20:21], v[12:13]
	s_delay_alu instid0(VALU_DEP_3) | instskip(NEXT) | instid1(VALU_DEP_3)
	v_div_fixup_f32 v2, v3, v2, 1.0
	v_mov_b32_e32 v5, v23
	s_delay_alu instid0(VALU_DEP_1)
	v_pk_mul_f32 v[12:13], v[4:5], v[2:3] op_sel_hi:[1,0]
                                        ; implicit-def: $vgpr4
                                        ; implicit-def: $vgpr5
.LBB254_436:                            ;   in Loop: Header=BB254_233 Depth=1
	s_and_not1_saveexec_b32 s17, s0
	s_cbranch_execz .LBB254_438
; %bb.437:                              ;   in Loop: Header=BB254_233 Depth=1
	v_div_scale_f32 v2, null, v4, v4, s9
	v_div_scale_f32 v3, null, v5, v5, s8
	v_div_scale_f32 v21, vcc_lo, s9, v4, s9
	s_delay_alu instid0(VALU_DEP_3) | instskip(NEXT) | instid1(VALU_DEP_2)
	v_rcp_f32_e32 v12, v2
	v_rcp_f32_e32 v13, v3
	s_delay_alu instid0(TRANS32_DEP_2) | instskip(NEXT) | instid1(TRANS32_DEP_1)
	v_fma_f32 v16, -v2, v12, 1.0
	v_fma_f32 v20, -v3, v13, 1.0
	s_delay_alu instid0(VALU_DEP_1) | instskip(NEXT) | instid1(VALU_DEP_3)
	v_fmac_f32_e32 v13, v20, v13
	v_fmac_f32_e32 v12, v16, v12
	v_div_scale_f32 v16, s0, s8, v5, s8
	s_delay_alu instid0(VALU_DEP_1) | instskip(NEXT) | instid1(VALU_DEP_1)
	v_dual_mul_f32 v22, v16, v13 :: v_dual_mul_f32 v20, v21, v12
	v_dual_fma_f32 v24, -v3, v22, v16 :: v_dual_fma_f32 v23, -v2, v20, v21
	s_delay_alu instid0(VALU_DEP_1) | instskip(NEXT) | instid1(VALU_DEP_1)
	v_dual_fmac_f32 v22, v24, v13 :: v_dual_fmac_f32 v20, v23, v12
	v_dual_fma_f32 v3, -v3, v22, v16 :: v_dual_fma_f32 v2, -v2, v20, v21
	s_delay_alu instid0(VALU_DEP_1) | instskip(SKIP_1) | instid1(VALU_DEP_2)
	v_div_fmas_f32 v2, v2, v12, v20
	s_mov_b32 vcc_lo, s0
	v_div_fmas_f32 v3, v3, v13, v22
	s_delay_alu instid0(VALU_DEP_2) | instskip(NEXT) | instid1(VALU_DEP_2)
	v_div_fixup_f32 v13, v2, v4, s9
	v_div_fixup_f32 v12, v3, v5, s8
.LBB254_438:                            ;   in Loop: Header=BB254_233 Depth=1
	s_or_b32 exec_lo, exec_lo, s17
                                        ; implicit-def: $vgpr2_vgpr3
.LBB254_439:                            ;   in Loop: Header=BB254_233 Depth=1
	s_and_not1_saveexec_b32 s0, s1
	s_cbranch_execz .LBB254_232
; %bb.440:                              ;   in Loop: Header=BB254_233 Depth=1
	v_div_scale_f32 v4, null, v3, v3, v2
	v_div_scale_f32 v13, vcc_lo, v2, v3, v2
	v_mov_b64_e32 v[20:21], s[8:9]
	s_delay_alu instid0(VALU_DEP_3) | instskip(SKIP_1) | instid1(TRANS32_DEP_1)
	v_rcp_f32_e32 v5, v4
	v_nop
	v_fma_f32 v12, -v4, v5, 1.0
	s_delay_alu instid0(VALU_DEP_1) | instskip(NEXT) | instid1(VALU_DEP_1)
	v_fmac_f32_e32 v5, v12, v5
	v_mul_f32_e32 v12, v13, v5
	s_delay_alu instid0(VALU_DEP_1) | instskip(NEXT) | instid1(VALU_DEP_1)
	v_fma_f32 v16, -v4, v12, v13
	v_fmac_f32_e32 v12, v16, v5
	s_delay_alu instid0(VALU_DEP_1) | instskip(NEXT) | instid1(VALU_DEP_1)
	v_fma_f32 v4, -v4, v12, v13
	v_div_fmas_f32 v4, v4, v5, v12
	s_delay_alu instid0(VALU_DEP_1) | instskip(NEXT) | instid1(VALU_DEP_1)
	v_div_fixup_f32 v4, v4, v3, v2
	v_fmac_f32_e32 v3, v2, v4
	s_delay_alu instid0(VALU_DEP_1) | instskip(SKIP_1) | instid1(VALU_DEP_2)
	v_div_scale_f32 v2, null, v3, v3, 1.0
	v_div_scale_f32 v16, vcc_lo, 1.0, v3, 1.0
	v_rcp_f32_e32 v5, v2
	v_nop
	s_delay_alu instid0(TRANS32_DEP_1) | instskip(NEXT) | instid1(VALU_DEP_1)
	v_fma_f32 v12, -v2, v5, 1.0
	v_fmac_f32_e32 v5, v12, v5
	s_delay_alu instid0(VALU_DEP_1) | instskip(NEXT) | instid1(VALU_DEP_1)
	v_mul_f32_e32 v22, v16, v5
	v_fma_f32 v12, -v2, v22, v16
	s_delay_alu instid0(VALU_DEP_1) | instskip(SKIP_1) | instid1(VALU_DEP_2)
	v_fmac_f32_e32 v22, v12, v5
	v_mov_b64_e32 v[12:13], s[4:5]
	v_fma_f32 v2, -v2, v22, v16
	s_delay_alu instid0(VALU_DEP_1) | instskip(NEXT) | instid1(VALU_DEP_3)
	v_div_fmas_f32 v2, v2, v5, v22
	v_pk_fma_f32 v[22:23], v[4:5], v[20:21], v[12:13] op_sel_hi:[0,1,1] neg_lo:[0,0,1] neg_hi:[0,0,1]
	v_pk_fma_f32 v[4:5], v[4:5], v[20:21], v[12:13]
	s_delay_alu instid0(VALU_DEP_3) | instskip(NEXT) | instid1(VALU_DEP_3)
	v_div_fixup_f32 v2, v2, v3, 1.0
	v_mov_b32_e32 v5, v23
	s_delay_alu instid0(VALU_DEP_1)
	v_pk_mul_f32 v[12:13], v[4:5], v[2:3] op_sel_hi:[1,0]
	s_branch .LBB254_232
.LBB254_441:
	s_endpgm
	.section	.rodata,"a",@progbits
	.p2align	6, 0x0
	.amdhsa_kernel _ZN2at6native12_GLOBAL__N_125multi_tensor_apply_kernelINS1_18TensorListMetadataILi1EEENS1_14UnaryOpFunctorIN3c107complexIfEELi1ELi1ELi0EEEJNS0_7SigmoidIS8_EEEEEvT_T0_DpT1_
		.amdhsa_group_segment_fixed_size 0
		.amdhsa_private_segment_fixed_size 0
		.amdhsa_kernarg_size 3640
		.amdhsa_user_sgpr_count 2
		.amdhsa_user_sgpr_dispatch_ptr 0
		.amdhsa_user_sgpr_queue_ptr 0
		.amdhsa_user_sgpr_kernarg_segment_ptr 1
		.amdhsa_user_sgpr_dispatch_id 0
		.amdhsa_user_sgpr_kernarg_preload_length 0
		.amdhsa_user_sgpr_kernarg_preload_offset 0
		.amdhsa_user_sgpr_private_segment_size 0
		.amdhsa_wavefront_size32 1
		.amdhsa_uses_dynamic_stack 0
		.amdhsa_enable_private_segment 0
		.amdhsa_system_sgpr_workgroup_id_x 1
		.amdhsa_system_sgpr_workgroup_id_y 0
		.amdhsa_system_sgpr_workgroup_id_z 0
		.amdhsa_system_sgpr_workgroup_info 0
		.amdhsa_system_vgpr_workitem_id 0
		.amdhsa_next_free_vgpr 48
		.amdhsa_next_free_sgpr 41
		.amdhsa_named_barrier_count 0
		.amdhsa_reserve_vcc 1
		.amdhsa_float_round_mode_32 0
		.amdhsa_float_round_mode_16_64 0
		.amdhsa_float_denorm_mode_32 3
		.amdhsa_float_denorm_mode_16_64 3
		.amdhsa_fp16_overflow 0
		.amdhsa_memory_ordered 1
		.amdhsa_forward_progress 1
		.amdhsa_inst_pref_size 255
		.amdhsa_round_robin_scheduling 0
		.amdhsa_exception_fp_ieee_invalid_op 0
		.amdhsa_exception_fp_denorm_src 0
		.amdhsa_exception_fp_ieee_div_zero 0
		.amdhsa_exception_fp_ieee_overflow 0
		.amdhsa_exception_fp_ieee_underflow 0
		.amdhsa_exception_fp_ieee_inexact 0
		.amdhsa_exception_int_div_zero 0
	.end_amdhsa_kernel
	.section	.text._ZN2at6native12_GLOBAL__N_125multi_tensor_apply_kernelINS1_18TensorListMetadataILi1EEENS1_14UnaryOpFunctorIN3c107complexIfEELi1ELi1ELi0EEEJNS0_7SigmoidIS8_EEEEEvT_T0_DpT1_,"axG",@progbits,_ZN2at6native12_GLOBAL__N_125multi_tensor_apply_kernelINS1_18TensorListMetadataILi1EEENS1_14UnaryOpFunctorIN3c107complexIfEELi1ELi1ELi0EEEJNS0_7SigmoidIS8_EEEEEvT_T0_DpT1_,comdat
.Lfunc_end254:
	.size	_ZN2at6native12_GLOBAL__N_125multi_tensor_apply_kernelINS1_18TensorListMetadataILi1EEENS1_14UnaryOpFunctorIN3c107complexIfEELi1ELi1ELi0EEEJNS0_7SigmoidIS8_EEEEEvT_T0_DpT1_, .Lfunc_end254-_ZN2at6native12_GLOBAL__N_125multi_tensor_apply_kernelINS1_18TensorListMetadataILi1EEENS1_14UnaryOpFunctorIN3c107complexIfEELi1ELi1ELi0EEEJNS0_7SigmoidIS8_EEEEEvT_T0_DpT1_
                                        ; -- End function
	.set _ZN2at6native12_GLOBAL__N_125multi_tensor_apply_kernelINS1_18TensorListMetadataILi1EEENS1_14UnaryOpFunctorIN3c107complexIfEELi1ELi1ELi0EEEJNS0_7SigmoidIS8_EEEEEvT_T0_DpT1_.num_vgpr, 48
	.set _ZN2at6native12_GLOBAL__N_125multi_tensor_apply_kernelINS1_18TensorListMetadataILi1EEENS1_14UnaryOpFunctorIN3c107complexIfEELi1ELi1ELi0EEEJNS0_7SigmoidIS8_EEEEEvT_T0_DpT1_.num_agpr, 0
	.set _ZN2at6native12_GLOBAL__N_125multi_tensor_apply_kernelINS1_18TensorListMetadataILi1EEENS1_14UnaryOpFunctorIN3c107complexIfEELi1ELi1ELi0EEEJNS0_7SigmoidIS8_EEEEEvT_T0_DpT1_.numbered_sgpr, 41
	.set _ZN2at6native12_GLOBAL__N_125multi_tensor_apply_kernelINS1_18TensorListMetadataILi1EEENS1_14UnaryOpFunctorIN3c107complexIfEELi1ELi1ELi0EEEJNS0_7SigmoidIS8_EEEEEvT_T0_DpT1_.num_named_barrier, 0
	.set _ZN2at6native12_GLOBAL__N_125multi_tensor_apply_kernelINS1_18TensorListMetadataILi1EEENS1_14UnaryOpFunctorIN3c107complexIfEELi1ELi1ELi0EEEJNS0_7SigmoidIS8_EEEEEvT_T0_DpT1_.private_seg_size, 0
	.set _ZN2at6native12_GLOBAL__N_125multi_tensor_apply_kernelINS1_18TensorListMetadataILi1EEENS1_14UnaryOpFunctorIN3c107complexIfEELi1ELi1ELi0EEEJNS0_7SigmoidIS8_EEEEEvT_T0_DpT1_.uses_vcc, 1
	.set _ZN2at6native12_GLOBAL__N_125multi_tensor_apply_kernelINS1_18TensorListMetadataILi1EEENS1_14UnaryOpFunctorIN3c107complexIfEELi1ELi1ELi0EEEJNS0_7SigmoidIS8_EEEEEvT_T0_DpT1_.uses_flat_scratch, 0
	.set _ZN2at6native12_GLOBAL__N_125multi_tensor_apply_kernelINS1_18TensorListMetadataILi1EEENS1_14UnaryOpFunctorIN3c107complexIfEELi1ELi1ELi0EEEJNS0_7SigmoidIS8_EEEEEvT_T0_DpT1_.has_dyn_sized_stack, 0
	.set _ZN2at6native12_GLOBAL__N_125multi_tensor_apply_kernelINS1_18TensorListMetadataILi1EEENS1_14UnaryOpFunctorIN3c107complexIfEELi1ELi1ELi0EEEJNS0_7SigmoidIS8_EEEEEvT_T0_DpT1_.has_recursion, 0
	.set _ZN2at6native12_GLOBAL__N_125multi_tensor_apply_kernelINS1_18TensorListMetadataILi1EEENS1_14UnaryOpFunctorIN3c107complexIfEELi1ELi1ELi0EEEJNS0_7SigmoidIS8_EEEEEvT_T0_DpT1_.has_indirect_call, 0
	.section	.AMDGPU.csdata,"",@progbits
; Kernel info:
; codeLenInByte = 57104
; TotalNumSgprs: 43
; NumVgprs: 48
; ScratchSize: 0
; MemoryBound: 1
; FloatMode: 240
; IeeeMode: 1
; LDSByteSize: 0 bytes/workgroup (compile time only)
; SGPRBlocks: 0
; VGPRBlocks: 2
; NumSGPRsForWavesPerEU: 43
; NumVGPRsForWavesPerEU: 48
; NamedBarCnt: 0
; Occupancy: 16
; WaveLimiterHint : 0
; COMPUTE_PGM_RSRC2:SCRATCH_EN: 0
; COMPUTE_PGM_RSRC2:USER_SGPR: 2
; COMPUTE_PGM_RSRC2:TRAP_HANDLER: 0
; COMPUTE_PGM_RSRC2:TGID_X_EN: 1
; COMPUTE_PGM_RSRC2:TGID_Y_EN: 0
; COMPUTE_PGM_RSRC2:TGID_Z_EN: 0
; COMPUTE_PGM_RSRC2:TIDIG_COMP_CNT: 0
	.section	.text._ZN2at6native12_GLOBAL__N_125multi_tensor_apply_kernelINS1_18TensorListMetadataILi1EEENS1_14UnaryOpFunctorIN3c104HalfELi1ELi1ELi0EEEJNS0_7SigmoidIfEEEEEvT_T0_DpT1_,"axG",@progbits,_ZN2at6native12_GLOBAL__N_125multi_tensor_apply_kernelINS1_18TensorListMetadataILi1EEENS1_14UnaryOpFunctorIN3c104HalfELi1ELi1ELi0EEEJNS0_7SigmoidIfEEEEEvT_T0_DpT1_,comdat
	.globl	_ZN2at6native12_GLOBAL__N_125multi_tensor_apply_kernelINS1_18TensorListMetadataILi1EEENS1_14UnaryOpFunctorIN3c104HalfELi1ELi1ELi0EEEJNS0_7SigmoidIfEEEEEvT_T0_DpT1_ ; -- Begin function _ZN2at6native12_GLOBAL__N_125multi_tensor_apply_kernelINS1_18TensorListMetadataILi1EEENS1_14UnaryOpFunctorIN3c104HalfELi1ELi1ELi0EEEJNS0_7SigmoidIfEEEEEvT_T0_DpT1_
	.p2align	8
	.type	_ZN2at6native12_GLOBAL__N_125multi_tensor_apply_kernelINS1_18TensorListMetadataILi1EEENS1_14UnaryOpFunctorIN3c104HalfELi1ELi1ELi0EEEJNS0_7SigmoidIfEEEEEvT_T0_DpT1_,@function
_ZN2at6native12_GLOBAL__N_125multi_tensor_apply_kernelINS1_18TensorListMetadataILi1EEENS1_14UnaryOpFunctorIN3c104HalfELi1ELi1ELi0EEEJNS0_7SigmoidIfEEEEEvT_T0_DpT1_: ; @_ZN2at6native12_GLOBAL__N_125multi_tensor_apply_kernelINS1_18TensorListMetadataILi1EEENS1_14UnaryOpFunctorIN3c104HalfELi1ELi1ELi0EEEJNS0_7SigmoidIfEEEEEvT_T0_DpT1_
; %bb.0:
	s_bfe_u32 s2, ttmp6, 0x4000c
	s_and_b32 s3, ttmp6, 15
	s_add_co_i32 s2, s2, 1
	s_getreg_b32 s4, hwreg(HW_REG_IB_STS2, 6, 4)
	s_mul_i32 s2, ttmp9, s2
	s_delay_alu instid0(SALU_CYCLE_1)
	s_add_co_i32 s3, s3, s2
	s_cmp_eq_u32 s4, 0
	s_cselect_b32 s2, ttmp9, s3
	s_mov_b32 s3, 0
	s_load_u8 s8, s[0:1], s2 offset:0x6e0
	s_add_nc_u64 s[4:5], s[0:1], s[2:3]
	s_mul_u64 s[6:7], s[2:3], 3
	s_delay_alu instid0(SALU_CYCLE_1)
	s_add_nc_u64 s[4:5], s[4:5], s[6:7]
	s_load_b32 s10, s[4:5], 0x820
	s_wait_kmcnt 0x0
	s_clause 0x2
	s_load_b64 s[6:7], s[0:1], s8 offset:0x0 scale_offset
	s_load_b64 s[12:13], s[0:1], s8 offset:0x370 scale_offset
	s_load_b32 s20, s[0:1], 0xd2c
	s_ashr_i32 s11, s10, 31
	s_wait_kmcnt 0x0
	s_and_b64 s[4:5], s[6:7], 7
	s_and_b32 s2, s12, 3
	s_lshl_b64 s[8:9], s[10:11], 17
	s_or_b64 s[2:3], s[4:5], s[2:3]
	s_lshl_b64 s[4:5], s[10:11], 16
	s_cmp_eq_u64 s[2:3], 0
	s_sub_nc_u64 s[10:11], s[12:13], s[4:5]
	s_cbranch_scc1 .LBB255_21
; %bb.1:
	v_cmp_lt_i64_e64 s2, s[10:11], 1
	s_and_b32 vcc_lo, exec_lo, s2
	s_cbranch_vccnz .LBB255_20
; %bb.2:
	s_load_b32 s2, s[0:1], 0xd3c
	v_min_i64 v[2:3], 0x10000, s[10:11]
	v_min_u64 v[4:5], 0x10000, s[10:11]
	v_dual_mov_b32 v1, 0 :: v_dual_lshlrev_b32 v8, 1, v0
	s_mov_b32 s3, 0
	s_add_nc_u64 s[4:5], s[6:7], s[8:9]
	s_mov_b32 s15, s3
	s_delay_alu instid0(VALU_DEP_1)
	v_mov_b32_e32 v15, v1
	s_mov_b32 s17, s3
	s_mov_b32 s13, s3
	s_mov_b64 s[18:19], 0
	s_wait_kmcnt 0x0
	s_and_b32 s2, s2, 0xffff
	s_delay_alu instid0(SALU_CYCLE_1)
	v_add_nc_u64_e32 v[6:7], s[2:3], v[0:1]
	v_mov_b32_e32 v9, v1
	s_lshl_b32 s14, s2, 1
	s_mul_i32 s16, s2, 3
	v_add_nc_u64_e32 v[12:13], s[14:15], v[0:1]
	v_add_nc_u64_e32 v[10:11], s[16:17], v[0:1]
	s_lshl_b32 s12, s2, 2
	v_lshlrev_b32_e32 v14, 1, v6
	v_add_nc_u64_e32 v[8:9], s[4:5], v[8:9]
	s_lshl_b32 s14, s2, 3
	s_mul_u64 s[16:17], s[2:3], 6
	s_delay_alu instid0(VALU_DEP_2)
	v_add_nc_u64_e32 v[14:15], s[4:5], v[14:15]
	s_branch .LBB255_4
.LBB255_3:                              ;   in Loop: Header=BB255_4 Depth=1
	s_wait_xcnt 0x0
	s_or_b32 exec_lo, exec_lo, s3
	s_add_nc_u64 s[18:19], s[18:19], s[12:13]
	v_add_nc_u64_e32 v[8:9], s[14:15], v[8:9]
	v_cmp_lt_i64_e32 vcc_lo, s[18:19], v[2:3]
	v_add_nc_u64_e32 v[14:15], s[14:15], v[14:15]
	s_cbranch_vccz .LBB255_20
.LBB255_4:                              ; =>This Inner Loop Header: Depth=1
	v_add_nc_u64_e32 v[16:17], s[18:19], v[0:1]
	v_mov_b32_e32 v23, 0
	s_delay_alu instid0(VALU_DEP_2)
	v_cmp_lt_u64_e32 vcc_lo, v[16:17], v[4:5]
	s_and_saveexec_b32 s2, vcc_lo
	s_cbranch_execz .LBB255_6
; %bb.5:                                ;   in Loop: Header=BB255_4 Depth=1
	global_load_u16 v16, v[8:9], off
	s_wait_loadcnt 0x0
	v_cvt_f32_f16_e32 v23, v16
.LBB255_6:                              ;   in Loop: Header=BB255_4 Depth=1
	s_wait_xcnt 0x0
	s_or_b32 exec_lo, exec_lo, s2
	v_add_nc_u64_e32 v[16:17], s[18:19], v[6:7]
	v_dual_mov_b32 v21, 0 :: v_dual_mov_b32 v22, 0
	s_delay_alu instid0(VALU_DEP_2)
	v_cmp_lt_u64_e64 s4, v[16:17], v[4:5]
	s_and_saveexec_b32 s2, s4
	s_cbranch_execz .LBB255_8
; %bb.7:                                ;   in Loop: Header=BB255_4 Depth=1
	global_load_u16 v16, v[14:15], off
	s_wait_loadcnt 0x0
	v_cvt_f32_f16_e32 v22, v16
.LBB255_8:                              ;   in Loop: Header=BB255_4 Depth=1
	s_wait_xcnt 0x0
	s_or_b32 exec_lo, exec_lo, s2
	v_add_nc_u64_e32 v[16:17], s[18:19], v[12:13]
	v_add_nc_u64_e32 v[18:19], s[12:13], v[8:9]
	s_delay_alu instid0(VALU_DEP_2)
	v_cmp_lt_u64_e64 s3, v[16:17], v[4:5]
	s_and_saveexec_b32 s2, s3
	s_cbranch_execz .LBB255_10
; %bb.9:                                ;   in Loop: Header=BB255_4 Depth=1
	global_load_u16 v16, v[18:19], off
	s_wait_loadcnt 0x0
	v_cvt_f32_f16_e32 v21, v16
.LBB255_10:                             ;   in Loop: Header=BB255_4 Depth=1
	s_wait_xcnt 0x0
	s_or_b32 exec_lo, exec_lo, s2
	v_add_nc_u64_e32 v[16:17], s[18:19], v[10:11]
	v_mov_b32_e32 v20, 0
	s_delay_alu instid0(VALU_DEP_2)
	v_cmp_lt_u64_e64 s2, v[16:17], v[4:5]
	v_add_nc_u64_e32 v[16:17], s[16:17], v[8:9]
	s_and_saveexec_b32 s5, s2
	s_cbranch_execnz .LBB255_15
; %bb.11:                               ;   in Loop: Header=BB255_4 Depth=1
	s_or_b32 exec_lo, exec_lo, s5
	s_and_saveexec_b32 s5, vcc_lo
	s_cbranch_execnz .LBB255_16
.LBB255_12:                             ;   in Loop: Header=BB255_4 Depth=1
	s_or_b32 exec_lo, exec_lo, s5
	s_and_saveexec_b32 s5, s4
	s_cbranch_execnz .LBB255_17
.LBB255_13:                             ;   in Loop: Header=BB255_4 Depth=1
	s_or_b32 exec_lo, exec_lo, s5
	s_and_saveexec_b32 s4, s3
	s_cbranch_execnz .LBB255_18
.LBB255_14:                             ;   in Loop: Header=BB255_4 Depth=1
	s_or_b32 exec_lo, exec_lo, s4
	s_and_saveexec_b32 s3, s2
	s_cbranch_execz .LBB255_3
	s_branch .LBB255_19
.LBB255_15:                             ;   in Loop: Header=BB255_4 Depth=1
	global_load_u16 v20, v[16:17], off
	s_wait_loadcnt 0x0
	v_cvt_f32_f16_e32 v20, v20
	s_wait_xcnt 0x0
	s_or_b32 exec_lo, exec_lo, s5
	s_and_saveexec_b32 s5, vcc_lo
	s_cbranch_execz .LBB255_12
.LBB255_16:                             ;   in Loop: Header=BB255_4 Depth=1
	v_mul_f32_e32 v24, 0xbfb8aa3b, v23
	v_cmp_nlt_f32_e32 vcc_lo, 0x42ce8ed0, v23
	s_delay_alu instid0(VALU_DEP_2) | instskip(SKIP_1) | instid1(VALU_DEP_2)
	v_rndne_f32_e32 v25, v24
	v_fma_f32 v26, 0xbfb8aa3b, v23, -v24
	v_sub_f32_e32 v24, v24, v25
	s_delay_alu instid0(VALU_DEP_2) | instskip(SKIP_1) | instid1(VALU_DEP_2)
	v_fmac_f32_e32 v26, 0xb2a5705f, v23
	v_cvt_i32_f32_e32 v25, v25
	v_add_f32_e32 v24, v24, v26
	s_delay_alu instid0(VALU_DEP_1) | instskip(SKIP_1) | instid1(TRANS32_DEP_1)
	v_exp_f32_e32 v24, v24
	v_nop
	v_ldexp_f32 v24, v24, v25
	s_delay_alu instid0(VALU_DEP_1) | instskip(SKIP_1) | instid1(VALU_DEP_2)
	v_cndmask_b32_e32 v24, 0, v24, vcc_lo
	v_cmp_ngt_f32_e32 vcc_lo, 0xc2b17218, v23
	v_cndmask_b32_e32 v23, 0x7f800000, v24, vcc_lo
	s_delay_alu instid0(VALU_DEP_1) | instskip(NEXT) | instid1(VALU_DEP_1)
	v_add_f32_e32 v23, s20, v23
	v_div_scale_f32 v24, null, v23, v23, s20
	s_delay_alu instid0(VALU_DEP_1) | instskip(SKIP_1) | instid1(TRANS32_DEP_1)
	v_rcp_f32_e32 v25, v24
	v_nop
	v_fma_f32 v26, -v24, v25, 1.0
	s_delay_alu instid0(VALU_DEP_1) | instskip(SKIP_1) | instid1(VALU_DEP_1)
	v_fmac_f32_e32 v25, v26, v25
	v_div_scale_f32 v26, vcc_lo, s20, v23, s20
	v_mul_f32_e32 v27, v26, v25
	s_delay_alu instid0(VALU_DEP_1) | instskip(NEXT) | instid1(VALU_DEP_1)
	v_fma_f32 v28, -v24, v27, v26
	v_fmac_f32_e32 v27, v28, v25
	s_delay_alu instid0(VALU_DEP_1) | instskip(NEXT) | instid1(VALU_DEP_1)
	v_fma_f32 v24, -v24, v27, v26
	v_div_fmas_f32 v24, v24, v25, v27
	s_delay_alu instid0(VALU_DEP_1) | instskip(NEXT) | instid1(VALU_DEP_1)
	v_div_fixup_f32 v23, v24, v23, s20
	v_cvt_f16_f32_e32 v23, v23
	global_store_b16 v[8:9], v23, off
	s_wait_xcnt 0x0
	s_or_b32 exec_lo, exec_lo, s5
	s_and_saveexec_b32 s5, s4
	s_cbranch_execz .LBB255_13
.LBB255_17:                             ;   in Loop: Header=BB255_4 Depth=1
	v_mul_f32_e32 v23, 0xbfb8aa3b, v22
	v_cmp_nlt_f32_e32 vcc_lo, 0x42ce8ed0, v22
	s_delay_alu instid0(VALU_DEP_2) | instskip(SKIP_1) | instid1(VALU_DEP_2)
	v_rndne_f32_e32 v24, v23
	v_fma_f32 v25, 0xbfb8aa3b, v22, -v23
	v_sub_f32_e32 v23, v23, v24
	s_delay_alu instid0(VALU_DEP_2) | instskip(SKIP_1) | instid1(VALU_DEP_2)
	v_fmac_f32_e32 v25, 0xb2a5705f, v22
	v_cvt_i32_f32_e32 v24, v24
	v_add_f32_e32 v23, v23, v25
	s_delay_alu instid0(VALU_DEP_1) | instskip(SKIP_1) | instid1(TRANS32_DEP_1)
	v_exp_f32_e32 v23, v23
	v_nop
	v_ldexp_f32 v23, v23, v24
	s_delay_alu instid0(VALU_DEP_1) | instskip(SKIP_1) | instid1(VALU_DEP_2)
	v_cndmask_b32_e32 v23, 0, v23, vcc_lo
	v_cmp_ngt_f32_e32 vcc_lo, 0xc2b17218, v22
	v_cndmask_b32_e32 v22, 0x7f800000, v23, vcc_lo
	s_delay_alu instid0(VALU_DEP_1) | instskip(NEXT) | instid1(VALU_DEP_1)
	v_add_f32_e32 v22, s20, v22
	v_div_scale_f32 v23, null, v22, v22, s20
	s_delay_alu instid0(VALU_DEP_1) | instskip(SKIP_1) | instid1(TRANS32_DEP_1)
	v_rcp_f32_e32 v24, v23
	v_nop
	v_fma_f32 v25, -v23, v24, 1.0
	s_delay_alu instid0(VALU_DEP_1) | instskip(SKIP_1) | instid1(VALU_DEP_1)
	v_fmac_f32_e32 v24, v25, v24
	v_div_scale_f32 v25, vcc_lo, s20, v22, s20
	v_mul_f32_e32 v26, v25, v24
	s_delay_alu instid0(VALU_DEP_1) | instskip(NEXT) | instid1(VALU_DEP_1)
	v_fma_f32 v27, -v23, v26, v25
	v_fmac_f32_e32 v26, v27, v24
	s_delay_alu instid0(VALU_DEP_1) | instskip(NEXT) | instid1(VALU_DEP_1)
	v_fma_f32 v23, -v23, v26, v25
	v_div_fmas_f32 v23, v23, v24, v26
	s_delay_alu instid0(VALU_DEP_1) | instskip(NEXT) | instid1(VALU_DEP_1)
	v_div_fixup_f32 v22, v23, v22, s20
	v_cvt_f16_f32_e32 v22, v22
	global_store_b16 v[14:15], v22, off
	s_wait_xcnt 0x0
	s_or_b32 exec_lo, exec_lo, s5
	s_and_saveexec_b32 s4, s3
	s_cbranch_execz .LBB255_14
.LBB255_18:                             ;   in Loop: Header=BB255_4 Depth=1
	v_mul_f32_e32 v22, 0xbfb8aa3b, v21
	v_cmp_nlt_f32_e32 vcc_lo, 0x42ce8ed0, v21
	s_delay_alu instid0(VALU_DEP_2) | instskip(SKIP_1) | instid1(VALU_DEP_2)
	v_rndne_f32_e32 v23, v22
	v_fma_f32 v24, 0xbfb8aa3b, v21, -v22
	v_sub_f32_e32 v22, v22, v23
	s_delay_alu instid0(VALU_DEP_2) | instskip(SKIP_1) | instid1(VALU_DEP_2)
	v_fmac_f32_e32 v24, 0xb2a5705f, v21
	v_cvt_i32_f32_e32 v23, v23
	v_add_f32_e32 v22, v22, v24
	s_delay_alu instid0(VALU_DEP_1) | instskip(SKIP_1) | instid1(TRANS32_DEP_1)
	v_exp_f32_e32 v22, v22
	v_nop
	v_ldexp_f32 v22, v22, v23
	s_delay_alu instid0(VALU_DEP_1) | instskip(SKIP_1) | instid1(VALU_DEP_2)
	v_cndmask_b32_e32 v22, 0, v22, vcc_lo
	v_cmp_ngt_f32_e32 vcc_lo, 0xc2b17218, v21
	v_cndmask_b32_e32 v21, 0x7f800000, v22, vcc_lo
	s_delay_alu instid0(VALU_DEP_1) | instskip(NEXT) | instid1(VALU_DEP_1)
	v_add_f32_e32 v21, s20, v21
	v_div_scale_f32 v22, null, v21, v21, s20
	s_delay_alu instid0(VALU_DEP_1) | instskip(SKIP_1) | instid1(TRANS32_DEP_1)
	v_rcp_f32_e32 v23, v22
	v_nop
	v_fma_f32 v24, -v22, v23, 1.0
	s_delay_alu instid0(VALU_DEP_1) | instskip(SKIP_1) | instid1(VALU_DEP_1)
	v_fmac_f32_e32 v23, v24, v23
	v_div_scale_f32 v24, vcc_lo, s20, v21, s20
	v_mul_f32_e32 v25, v24, v23
	s_delay_alu instid0(VALU_DEP_1) | instskip(NEXT) | instid1(VALU_DEP_1)
	v_fma_f32 v26, -v22, v25, v24
	v_fmac_f32_e32 v25, v26, v23
	s_delay_alu instid0(VALU_DEP_1) | instskip(NEXT) | instid1(VALU_DEP_1)
	v_fma_f32 v22, -v22, v25, v24
	v_div_fmas_f32 v22, v22, v23, v25
	s_delay_alu instid0(VALU_DEP_1) | instskip(NEXT) | instid1(VALU_DEP_1)
	v_div_fixup_f32 v21, v22, v21, s20
	v_cvt_f16_f32_e32 v21, v21
	global_store_b16 v[18:19], v21, off
	s_wait_xcnt 0x0
	s_or_b32 exec_lo, exec_lo, s4
	s_and_saveexec_b32 s3, s2
	s_cbranch_execz .LBB255_3
.LBB255_19:                             ;   in Loop: Header=BB255_4 Depth=1
	v_mul_f32_e32 v18, 0xbfb8aa3b, v20
	v_cmp_nlt_f32_e32 vcc_lo, 0x42ce8ed0, v20
	s_delay_alu instid0(VALU_DEP_2) | instskip(SKIP_1) | instid1(VALU_DEP_1)
	v_rndne_f32_e32 v19, v18
	v_fma_f32 v21, 0xbfb8aa3b, v20, -v18
	v_dual_sub_f32 v18, v18, v19 :: v_dual_fmac_f32 v21, 0xb2a5705f, v20
	v_cvt_i32_f32_e32 v19, v19
	s_delay_alu instid0(VALU_DEP_2) | instskip(NEXT) | instid1(VALU_DEP_1)
	v_add_f32_e32 v18, v18, v21
	v_exp_f32_e32 v18, v18
	v_nop
	s_delay_alu instid0(TRANS32_DEP_1) | instskip(NEXT) | instid1(VALU_DEP_1)
	v_ldexp_f32 v18, v18, v19
	v_cndmask_b32_e32 v18, 0, v18, vcc_lo
	v_cmp_ngt_f32_e32 vcc_lo, 0xc2b17218, v20
	s_delay_alu instid0(VALU_DEP_2) | instskip(NEXT) | instid1(VALU_DEP_1)
	v_cndmask_b32_e32 v18, 0x7f800000, v18, vcc_lo
	v_add_f32_e32 v18, s20, v18
	s_delay_alu instid0(VALU_DEP_1) | instskip(NEXT) | instid1(VALU_DEP_1)
	v_div_scale_f32 v19, null, v18, v18, s20
	v_rcp_f32_e32 v20, v19
	v_nop
	s_delay_alu instid0(TRANS32_DEP_1) | instskip(NEXT) | instid1(VALU_DEP_1)
	v_fma_f32 v21, -v19, v20, 1.0
	v_fmac_f32_e32 v20, v21, v20
	v_div_scale_f32 v21, vcc_lo, s20, v18, s20
	s_delay_alu instid0(VALU_DEP_1) | instskip(NEXT) | instid1(VALU_DEP_1)
	v_mul_f32_e32 v22, v21, v20
	v_fma_f32 v23, -v19, v22, v21
	s_delay_alu instid0(VALU_DEP_1) | instskip(NEXT) | instid1(VALU_DEP_1)
	v_fmac_f32_e32 v22, v23, v20
	v_fma_f32 v19, -v19, v22, v21
	s_delay_alu instid0(VALU_DEP_1) | instskip(NEXT) | instid1(VALU_DEP_1)
	v_div_fmas_f32 v19, v19, v20, v22
	v_div_fixup_f32 v18, v19, v18, s20
	s_delay_alu instid0(VALU_DEP_1)
	v_cvt_f16_f32_e32 v18, v18
	global_store_b16 v[16:17], v18, off
	s_branch .LBB255_3
.LBB255_20:
	s_cbranch_execz .LBB255_22
	s_branch .LBB255_25
.LBB255_21:
.LBB255_22:
	v_min_i64 v[2:3], 0x10000, s[10:11]
	v_dual_mov_b32 v5, 0 :: v_dual_lshlrev_b32 v4, 2, v0
	s_mov_b32 s2, exec_lo
	s_delay_alu instid0(VALU_DEP_1)
	v_cmpx_lt_i64_e64 v[4:5], v[2:3]
	s_cbranch_execz .LBB255_25
; %bb.23:
	s_load_b32 s2, s[0:1], 0xd3c
	v_dual_mov_b32 v1, v5 :: v_dual_lshlrev_b32 v4, 3, v0
	s_wait_xcnt 0x0
	s_add_nc_u64 s[0:1], s[6:7], s[8:9]
	s_mov_b32 s5, 0
	s_mov_b32 s3, 0x3fb8aa3b
	v_add_nc_u64_e32 v[6:7], s[0:1], v[4:5]
	s_mov_b32 s8, 0x32a5705f
	s_mov_b32 s7, s5
	;; [unrolled: 1-line block ×3, first 2 shown]
	s_delay_alu instid0(VALU_DEP_1) | instskip(SKIP_2) | instid1(SALU_CYCLE_1)
	v_add_nc_u64_e32 v[4:5], 4, v[6:7]
	s_wait_kmcnt 0x0
	s_and_b32 s4, s2, 0xffff
	s_lshl_b32 s6, s4, 3
.LBB255_24:                             ; =>This Inner Loop Header: Depth=1
	global_load_b64 v[6:7], v[4:5], off offset:-4
	v_add_nc_u64_e32 v[0:1], s[4:5], v[0:1]
	s_wait_loadcnt 0x0
	v_cvt_f32_f16_e64 v8, -v6
	v_cvt_f32_f16_e64 v10, -v7
	v_dual_lshrrev_b32 v9, 16, v6 :: v_dual_lshrrev_b32 v11, 16, v7
	s_delay_alu instid0(VALU_DEP_2) | instskip(NEXT) | instid1(VALU_DEP_2)
	v_dual_mul_f32 v12, 0x3fb8aa3b, v8 :: v_dual_mul_f32 v13, 0x3fb8aa3b, v10
	v_cvt_f32_f16_e64 v9, -v9
	s_delay_alu instid0(VALU_DEP_3) | instskip(SKIP_1) | instid1(VALU_DEP_4)
	v_cvt_f32_f16_e64 v11, -v11
	v_cmp_ngt_f32_e32 vcc_lo, 0xc2ce8ed0, v8
	v_rndne_f32_e32 v14, v12
	v_fma_mix_f32 v15, -v6, s3, -v12 op_sel_hi:[1,0,0]
	v_rndne_f32_e32 v17, v13
	v_fma_mix_f32 v18, -v7, s3, -v13 op_sel_hi:[1,0,0]
	v_dual_mul_f32 v16, 0x3fb8aa3b, v9 :: v_dual_mul_f32 v19, 0x3fb8aa3b, v11
	s_delay_alu instid0(VALU_DEP_3) | instskip(SKIP_1) | instid1(VALU_DEP_4)
	v_dual_sub_f32 v12, v12, v14 :: v_dual_sub_f32 v13, v13, v17
	v_fma_mix_f32 v15, -v6, s8, v15 op_sel_hi:[1,0,0]
	v_fma_mix_f32 v18, -v7, s8, v18 op_sel_hi:[1,0,0]
	s_delay_alu instid0(VALU_DEP_4) | instskip(SKIP_2) | instid1(VALU_DEP_4)
	v_rndne_f32_e32 v20, v16
	v_fma_mix_f32 v21, -v6, s3, -v16 op_sel:[1,0,0] op_sel_hi:[1,0,0]
	v_cvt_i32_f32_e32 v14, v14
	v_dual_add_f32 v12, v12, v15 :: v_dual_add_f32 v13, v13, v18
	v_rndne_f32_e32 v22, v19
	v_fma_mix_f32 v23, -v7, s3, -v19 op_sel:[1,0,0] op_sel_hi:[1,0,0]
	v_sub_f32_e32 v15, v16, v20
	s_delay_alu instid0(VALU_DEP_4) | instskip(SKIP_4) | instid1(VALU_DEP_3)
	v_exp_f32_e32 v12, v12
	v_fma_mix_f32 v6, -v6, s8, v21 op_sel:[1,0,0] op_sel_hi:[1,0,0]
	v_exp_f32_e32 v13, v13
	v_sub_f32_e32 v16, v19, v22
	v_fma_mix_f32 v7, -v7, s8, v23 op_sel:[1,0,0] op_sel_hi:[1,0,0]
	v_add_f32_e32 v6, v15, v6
	v_cvt_i32_f32_e32 v15, v17
	v_ldexp_f32 v12, v12, v14
	s_delay_alu instid0(VALU_DEP_4)
	v_add_f32_e32 v7, v16, v7
	v_cvt_i32_f32_e32 v16, v20
	v_exp_f32_e32 v6, v6
	v_ldexp_f32 v13, v13, v15
	v_cndmask_b32_e32 v12, 0, v12, vcc_lo
	v_cmp_ngt_f32_e32 vcc_lo, 0xc2ce8ed0, v10
	v_exp_f32_e32 v7, v7
	v_cvt_i32_f32_e32 v14, v22
	s_delay_alu instid0(TRANS32_DEP_2)
	v_ldexp_f32 v6, v6, v16
	v_cndmask_b32_e32 v13, 0, v13, vcc_lo
	v_cmp_nlt_f32_e32 vcc_lo, 0x42b17218, v8
	s_delay_alu instid0(TRANS32_DEP_1) | instid1(VALU_DEP_4)
	v_ldexp_f32 v7, v7, v14
	v_cndmask_b32_e32 v8, 0x7f800000, v12, vcc_lo
	v_cmp_ngt_f32_e32 vcc_lo, 0xc2ce8ed0, v9
	v_cndmask_b32_e32 v6, 0, v6, vcc_lo
	v_cmp_nlt_f32_e32 vcc_lo, 0x42b17218, v10
	v_cndmask_b32_e32 v10, 0x7f800000, v13, vcc_lo
	v_cmp_ngt_f32_e32 vcc_lo, 0xc2ce8ed0, v11
	v_dual_add_f32 v8, s20, v8 :: v_dual_cndmask_b32 v7, 0, v7
	v_cmp_nlt_f32_e32 vcc_lo, 0x42b17218, v9
	s_delay_alu instid0(VALU_DEP_4) | instskip(NEXT) | instid1(VALU_DEP_3)
	v_add_f32_e32 v9, s20, v10
	v_div_scale_f32 v10, null, v8, v8, s20
	v_cndmask_b32_e32 v6, 0x7f800000, v6, vcc_lo
	v_cmp_nlt_f32_e32 vcc_lo, 0x42b17218, v11
	s_delay_alu instid0(VALU_DEP_4) | instskip(NEXT) | instid1(VALU_DEP_4)
	v_div_scale_f32 v11, null, v9, v9, s20
	v_rcp_f32_e32 v13, v10
	v_div_scale_f32 v18, s0, s20, v9, s20
	s_delay_alu instid0(VALU_DEP_2) | instskip(NEXT) | instid1(TRANS32_DEP_2)
	v_rcp_f32_e32 v14, v11
	v_fma_f32 v20, -v10, v13, 1.0
	s_delay_alu instid0(TRANS32_DEP_1) | instskip(SKIP_2) | instid1(VALU_DEP_3)
	v_fma_f32 v21, -v11, v14, 1.0
	v_cndmask_b32_e32 v7, 0x7f800000, v7, vcc_lo
	v_div_scale_f32 v17, vcc_lo, s20, v8, s20
	v_dual_fmac_f32 v13, v20, v13 :: v_dual_fmac_f32 v14, v21, v14
	s_delay_alu instid0(VALU_DEP_3) | instskip(NEXT) | instid1(VALU_DEP_1)
	v_add_f32_e32 v7, s20, v7
	v_div_scale_f32 v15, null, v7, v7, s20
	v_div_scale_f32 v21, s2, s20, v7, s20
	s_delay_alu instid0(VALU_DEP_2) | instskip(SKIP_1) | instid1(TRANS32_DEP_1)
	v_rcp_f32_e32 v19, v15
	v_nop
	v_fma_f32 v20, -v15, v19, 1.0
	s_delay_alu instid0(VALU_DEP_1) | instskip(NEXT) | instid1(VALU_DEP_1)
	v_fmac_f32_e32 v19, v20, v19
	v_dual_mul_f32 v27, v21, v19 :: v_dual_add_f32 v6, s20, v6
	s_delay_alu instid0(VALU_DEP_1) | instskip(NEXT) | instid1(VALU_DEP_1)
	v_div_scale_f32 v12, null, v6, v6, s20
	v_rcp_f32_e32 v16, v12
	v_nop
	s_delay_alu instid0(TRANS32_DEP_1) | instskip(NEXT) | instid1(VALU_DEP_1)
	v_fma_f32 v22, -v12, v16, 1.0
	v_fmac_f32_e32 v16, v22, v16
	v_div_scale_f32 v23, s1, s20, v6, s20
	v_dual_mul_f32 v22, v17, v13 :: v_dual_mul_f32 v24, v18, v14
	s_delay_alu instid0(VALU_DEP_1) | instskip(NEXT) | instid1(VALU_DEP_2)
	v_dual_mul_f32 v20, v23, v16 :: v_dual_fma_f32 v25, -v10, v22, v17
	v_fma_f32 v26, -v11, v24, v18
	s_delay_alu instid0(VALU_DEP_2) | instskip(NEXT) | instid1(VALU_DEP_2)
	v_dual_fma_f32 v28, -v12, v20, v23 :: v_dual_fmac_f32 v22, v25, v13
	v_dual_fmac_f32 v24, v26, v14 :: v_dual_fma_f32 v25, -v15, v27, v21
	s_delay_alu instid0(VALU_DEP_2) | instskip(NEXT) | instid1(VALU_DEP_2)
	v_dual_fmac_f32 v20, v28, v16 :: v_dual_fma_f32 v10, -v10, v22, v17
	v_dual_fma_f32 v11, -v11, v24, v18 :: v_dual_fmac_f32 v27, v25, v19
	s_delay_alu instid0(VALU_DEP_2) | instskip(NEXT) | instid1(VALU_DEP_3)
	v_fma_f32 v12, -v12, v20, v23
	v_div_fmas_f32 v10, v10, v13, v22
	s_mov_b32 vcc_lo, s1
	s_delay_alu instid0(VALU_DEP_3) | instskip(NEXT) | instid1(VALU_DEP_3)
	v_fma_f32 v13, -v15, v27, v21
	v_div_fmas_f32 v12, v12, v16, v20
	s_mov_b32 vcc_lo, s0
	v_div_fixup_f32 v8, v10, v8, s20
	v_div_fmas_f32 v11, v11, v14, v24
	s_mov_b32 vcc_lo, s2
	v_div_fixup_f32 v10, v12, v6, s20
	v_div_fmas_f32 v13, v13, v19, v27
	s_delay_alu instid0(VALU_DEP_3) | instskip(NEXT) | instid1(VALU_DEP_3)
	v_div_fixup_f32 v9, v11, v9, s20
	v_cvt_pk_f16_f32 v8, v8, v10
	s_delay_alu instid0(VALU_DEP_3) | instskip(SKIP_1) | instid1(VALU_DEP_2)
	v_div_fixup_f32 v11, v13, v7, s20
	v_lshlrev_b64_e32 v[6:7], 2, v[0:1]
	v_cvt_pk_f16_f32 v9, v9, v11
	s_delay_alu instid0(VALU_DEP_2) | instskip(SKIP_4) | instid1(SALU_CYCLE_1)
	v_cmp_ge_i64_e32 vcc_lo, v[6:7], v[2:3]
	global_store_b64 v[4:5], v[8:9], off offset:-4
	s_wait_xcnt 0x0
	v_add_nc_u64_e32 v[4:5], s[6:7], v[4:5]
	s_or_b32 s9, vcc_lo, s9
	s_and_not1_b32 exec_lo, exec_lo, s9
	s_cbranch_execnz .LBB255_24
.LBB255_25:
	s_endpgm
	.section	.rodata,"a",@progbits
	.p2align	6, 0x0
	.amdhsa_kernel _ZN2at6native12_GLOBAL__N_125multi_tensor_apply_kernelINS1_18TensorListMetadataILi1EEENS1_14UnaryOpFunctorIN3c104HalfELi1ELi1ELi0EEEJNS0_7SigmoidIfEEEEEvT_T0_DpT1_
		.amdhsa_group_segment_fixed_size 0
		.amdhsa_private_segment_fixed_size 0
		.amdhsa_kernarg_size 3632
		.amdhsa_user_sgpr_count 2
		.amdhsa_user_sgpr_dispatch_ptr 0
		.amdhsa_user_sgpr_queue_ptr 0
		.amdhsa_user_sgpr_kernarg_segment_ptr 1
		.amdhsa_user_sgpr_dispatch_id 0
		.amdhsa_user_sgpr_kernarg_preload_length 0
		.amdhsa_user_sgpr_kernarg_preload_offset 0
		.amdhsa_user_sgpr_private_segment_size 0
		.amdhsa_wavefront_size32 1
		.amdhsa_uses_dynamic_stack 0
		.amdhsa_enable_private_segment 0
		.amdhsa_system_sgpr_workgroup_id_x 1
		.amdhsa_system_sgpr_workgroup_id_y 0
		.amdhsa_system_sgpr_workgroup_id_z 0
		.amdhsa_system_sgpr_workgroup_info 0
		.amdhsa_system_vgpr_workitem_id 0
		.amdhsa_next_free_vgpr 29
		.amdhsa_next_free_sgpr 21
		.amdhsa_named_barrier_count 0
		.amdhsa_reserve_vcc 1
		.amdhsa_float_round_mode_32 0
		.amdhsa_float_round_mode_16_64 0
		.amdhsa_float_denorm_mode_32 3
		.amdhsa_float_denorm_mode_16_64 3
		.amdhsa_fp16_overflow 0
		.amdhsa_memory_ordered 1
		.amdhsa_forward_progress 1
		.amdhsa_inst_pref_size 21
		.amdhsa_round_robin_scheduling 0
		.amdhsa_exception_fp_ieee_invalid_op 0
		.amdhsa_exception_fp_denorm_src 0
		.amdhsa_exception_fp_ieee_div_zero 0
		.amdhsa_exception_fp_ieee_overflow 0
		.amdhsa_exception_fp_ieee_underflow 0
		.amdhsa_exception_fp_ieee_inexact 0
		.amdhsa_exception_int_div_zero 0
	.end_amdhsa_kernel
	.section	.text._ZN2at6native12_GLOBAL__N_125multi_tensor_apply_kernelINS1_18TensorListMetadataILi1EEENS1_14UnaryOpFunctorIN3c104HalfELi1ELi1ELi0EEEJNS0_7SigmoidIfEEEEEvT_T0_DpT1_,"axG",@progbits,_ZN2at6native12_GLOBAL__N_125multi_tensor_apply_kernelINS1_18TensorListMetadataILi1EEENS1_14UnaryOpFunctorIN3c104HalfELi1ELi1ELi0EEEJNS0_7SigmoidIfEEEEEvT_T0_DpT1_,comdat
.Lfunc_end255:
	.size	_ZN2at6native12_GLOBAL__N_125multi_tensor_apply_kernelINS1_18TensorListMetadataILi1EEENS1_14UnaryOpFunctorIN3c104HalfELi1ELi1ELi0EEEJNS0_7SigmoidIfEEEEEvT_T0_DpT1_, .Lfunc_end255-_ZN2at6native12_GLOBAL__N_125multi_tensor_apply_kernelINS1_18TensorListMetadataILi1EEENS1_14UnaryOpFunctorIN3c104HalfELi1ELi1ELi0EEEJNS0_7SigmoidIfEEEEEvT_T0_DpT1_
                                        ; -- End function
	.set _ZN2at6native12_GLOBAL__N_125multi_tensor_apply_kernelINS1_18TensorListMetadataILi1EEENS1_14UnaryOpFunctorIN3c104HalfELi1ELi1ELi0EEEJNS0_7SigmoidIfEEEEEvT_T0_DpT1_.num_vgpr, 29
	.set _ZN2at6native12_GLOBAL__N_125multi_tensor_apply_kernelINS1_18TensorListMetadataILi1EEENS1_14UnaryOpFunctorIN3c104HalfELi1ELi1ELi0EEEJNS0_7SigmoidIfEEEEEvT_T0_DpT1_.num_agpr, 0
	.set _ZN2at6native12_GLOBAL__N_125multi_tensor_apply_kernelINS1_18TensorListMetadataILi1EEENS1_14UnaryOpFunctorIN3c104HalfELi1ELi1ELi0EEEJNS0_7SigmoidIfEEEEEvT_T0_DpT1_.numbered_sgpr, 21
	.set _ZN2at6native12_GLOBAL__N_125multi_tensor_apply_kernelINS1_18TensorListMetadataILi1EEENS1_14UnaryOpFunctorIN3c104HalfELi1ELi1ELi0EEEJNS0_7SigmoidIfEEEEEvT_T0_DpT1_.num_named_barrier, 0
	.set _ZN2at6native12_GLOBAL__N_125multi_tensor_apply_kernelINS1_18TensorListMetadataILi1EEENS1_14UnaryOpFunctorIN3c104HalfELi1ELi1ELi0EEEJNS0_7SigmoidIfEEEEEvT_T0_DpT1_.private_seg_size, 0
	.set _ZN2at6native12_GLOBAL__N_125multi_tensor_apply_kernelINS1_18TensorListMetadataILi1EEENS1_14UnaryOpFunctorIN3c104HalfELi1ELi1ELi0EEEJNS0_7SigmoidIfEEEEEvT_T0_DpT1_.uses_vcc, 1
	.set _ZN2at6native12_GLOBAL__N_125multi_tensor_apply_kernelINS1_18TensorListMetadataILi1EEENS1_14UnaryOpFunctorIN3c104HalfELi1ELi1ELi0EEEJNS0_7SigmoidIfEEEEEvT_T0_DpT1_.uses_flat_scratch, 0
	.set _ZN2at6native12_GLOBAL__N_125multi_tensor_apply_kernelINS1_18TensorListMetadataILi1EEENS1_14UnaryOpFunctorIN3c104HalfELi1ELi1ELi0EEEJNS0_7SigmoidIfEEEEEvT_T0_DpT1_.has_dyn_sized_stack, 0
	.set _ZN2at6native12_GLOBAL__N_125multi_tensor_apply_kernelINS1_18TensorListMetadataILi1EEENS1_14UnaryOpFunctorIN3c104HalfELi1ELi1ELi0EEEJNS0_7SigmoidIfEEEEEvT_T0_DpT1_.has_recursion, 0
	.set _ZN2at6native12_GLOBAL__N_125multi_tensor_apply_kernelINS1_18TensorListMetadataILi1EEENS1_14UnaryOpFunctorIN3c104HalfELi1ELi1ELi0EEEJNS0_7SigmoidIfEEEEEvT_T0_DpT1_.has_indirect_call, 0
	.section	.AMDGPU.csdata,"",@progbits
; Kernel info:
; codeLenInByte = 2564
; TotalNumSgprs: 23
; NumVgprs: 29
; ScratchSize: 0
; MemoryBound: 0
; FloatMode: 240
; IeeeMode: 1
; LDSByteSize: 0 bytes/workgroup (compile time only)
; SGPRBlocks: 0
; VGPRBlocks: 1
; NumSGPRsForWavesPerEU: 23
; NumVGPRsForWavesPerEU: 29
; NamedBarCnt: 0
; Occupancy: 16
; WaveLimiterHint : 0
; COMPUTE_PGM_RSRC2:SCRATCH_EN: 0
; COMPUTE_PGM_RSRC2:USER_SGPR: 2
; COMPUTE_PGM_RSRC2:TRAP_HANDLER: 0
; COMPUTE_PGM_RSRC2:TGID_X_EN: 1
; COMPUTE_PGM_RSRC2:TGID_Y_EN: 0
; COMPUTE_PGM_RSRC2:TGID_Z_EN: 0
; COMPUTE_PGM_RSRC2:TIDIG_COMP_CNT: 0
	.section	.text._ZN2at6native12_GLOBAL__N_125multi_tensor_apply_kernelINS1_18TensorListMetadataILi1EEENS1_14UnaryOpFunctorIN3c108BFloat16ELi1ELi1ELi0EEEJNS0_7SigmoidIfEEEEEvT_T0_DpT1_,"axG",@progbits,_ZN2at6native12_GLOBAL__N_125multi_tensor_apply_kernelINS1_18TensorListMetadataILi1EEENS1_14UnaryOpFunctorIN3c108BFloat16ELi1ELi1ELi0EEEJNS0_7SigmoidIfEEEEEvT_T0_DpT1_,comdat
	.globl	_ZN2at6native12_GLOBAL__N_125multi_tensor_apply_kernelINS1_18TensorListMetadataILi1EEENS1_14UnaryOpFunctorIN3c108BFloat16ELi1ELi1ELi0EEEJNS0_7SigmoidIfEEEEEvT_T0_DpT1_ ; -- Begin function _ZN2at6native12_GLOBAL__N_125multi_tensor_apply_kernelINS1_18TensorListMetadataILi1EEENS1_14UnaryOpFunctorIN3c108BFloat16ELi1ELi1ELi0EEEJNS0_7SigmoidIfEEEEEvT_T0_DpT1_
	.p2align	8
	.type	_ZN2at6native12_GLOBAL__N_125multi_tensor_apply_kernelINS1_18TensorListMetadataILi1EEENS1_14UnaryOpFunctorIN3c108BFloat16ELi1ELi1ELi0EEEJNS0_7SigmoidIfEEEEEvT_T0_DpT1_,@function
_ZN2at6native12_GLOBAL__N_125multi_tensor_apply_kernelINS1_18TensorListMetadataILi1EEENS1_14UnaryOpFunctorIN3c108BFloat16ELi1ELi1ELi0EEEJNS0_7SigmoidIfEEEEEvT_T0_DpT1_: ; @_ZN2at6native12_GLOBAL__N_125multi_tensor_apply_kernelINS1_18TensorListMetadataILi1EEENS1_14UnaryOpFunctorIN3c108BFloat16ELi1ELi1ELi0EEEJNS0_7SigmoidIfEEEEEvT_T0_DpT1_
; %bb.0:
	s_bfe_u32 s2, ttmp6, 0x4000c
	s_and_b32 s3, ttmp6, 15
	s_add_co_i32 s2, s2, 1
	s_getreg_b32 s4, hwreg(HW_REG_IB_STS2, 6, 4)
	s_mul_i32 s2, ttmp9, s2
	s_delay_alu instid0(SALU_CYCLE_1)
	s_add_co_i32 s3, s3, s2
	s_cmp_eq_u32 s4, 0
	s_cselect_b32 s2, ttmp9, s3
	s_mov_b32 s3, 0
	s_load_u8 s8, s[0:1], s2 offset:0x6e0
	s_add_nc_u64 s[4:5], s[0:1], s[2:3]
	s_mul_u64 s[6:7], s[2:3], 3
	s_delay_alu instid0(SALU_CYCLE_1)
	s_add_nc_u64 s[4:5], s[4:5], s[6:7]
	s_load_b32 s10, s[4:5], 0x820
	s_wait_kmcnt 0x0
	s_clause 0x2
	s_load_b64 s[6:7], s[0:1], s8 offset:0x0 scale_offset
	s_load_b64 s[12:13], s[0:1], s8 offset:0x370 scale_offset
	s_load_b32 s20, s[0:1], 0xd2c
	s_ashr_i32 s11, s10, 31
	s_wait_kmcnt 0x0
	s_and_b64 s[4:5], s[6:7], 7
	s_and_b32 s2, s12, 3
	s_lshl_b64 s[8:9], s[10:11], 17
	s_or_b64 s[2:3], s[4:5], s[2:3]
	s_lshl_b64 s[4:5], s[10:11], 16
	s_cmp_eq_u64 s[2:3], 0
	s_sub_nc_u64 s[10:11], s[12:13], s[4:5]
	s_cbranch_scc1 .LBB256_21
; %bb.1:
	v_cmp_lt_i64_e64 s2, s[10:11], 1
	s_and_b32 vcc_lo, exec_lo, s2
	s_cbranch_vccnz .LBB256_20
; %bb.2:
	s_load_b32 s2, s[0:1], 0xd3c
	v_min_i64 v[2:3], 0x10000, s[10:11]
	v_min_u64 v[4:5], 0x10000, s[10:11]
	v_dual_mov_b32 v1, 0 :: v_dual_lshlrev_b32 v8, 1, v0
	s_mov_b32 s3, 0
	s_add_nc_u64 s[4:5], s[6:7], s[8:9]
	s_mov_b32 s15, s3
	s_delay_alu instid0(VALU_DEP_1)
	v_mov_b32_e32 v15, v1
	s_mov_b32 s17, s3
	s_mov_b32 s13, s3
	s_mov_b64 s[18:19], 0
	s_wait_kmcnt 0x0
	s_and_b32 s2, s2, 0xffff
	s_delay_alu instid0(SALU_CYCLE_1)
	v_add_nc_u64_e32 v[6:7], s[2:3], v[0:1]
	v_mov_b32_e32 v9, v1
	s_lshl_b32 s14, s2, 1
	s_mul_i32 s16, s2, 3
	v_add_nc_u64_e32 v[12:13], s[14:15], v[0:1]
	v_add_nc_u64_e32 v[10:11], s[16:17], v[0:1]
	s_lshl_b32 s12, s2, 2
	v_lshlrev_b32_e32 v14, 1, v6
	v_add_nc_u64_e32 v[8:9], s[4:5], v[8:9]
	s_lshl_b32 s14, s2, 3
	s_mul_u64 s[16:17], s[2:3], 6
	s_delay_alu instid0(VALU_DEP_2)
	v_add_nc_u64_e32 v[14:15], s[4:5], v[14:15]
	s_branch .LBB256_4
.LBB256_3:                              ;   in Loop: Header=BB256_4 Depth=1
	s_wait_xcnt 0x0
	s_or_b32 exec_lo, exec_lo, s3
	s_add_nc_u64 s[18:19], s[18:19], s[12:13]
	v_add_nc_u64_e32 v[8:9], s[14:15], v[8:9]
	v_cmp_lt_i64_e32 vcc_lo, s[18:19], v[2:3]
	v_add_nc_u64_e32 v[14:15], s[14:15], v[14:15]
	s_cbranch_vccz .LBB256_20
.LBB256_4:                              ; =>This Inner Loop Header: Depth=1
	v_add_nc_u64_e32 v[16:17], s[18:19], v[0:1]
	v_mov_b32_e32 v23, 0
	s_delay_alu instid0(VALU_DEP_2)
	v_cmp_lt_u64_e32 vcc_lo, v[16:17], v[4:5]
	s_and_saveexec_b32 s2, vcc_lo
	s_cbranch_execz .LBB256_6
; %bb.5:                                ;   in Loop: Header=BB256_4 Depth=1
	global_load_u16 v16, v[8:9], off
	s_wait_loadcnt 0x0
	v_lshlrev_b32_e32 v23, 16, v16
.LBB256_6:                              ;   in Loop: Header=BB256_4 Depth=1
	s_wait_xcnt 0x0
	s_or_b32 exec_lo, exec_lo, s2
	v_add_nc_u64_e32 v[16:17], s[18:19], v[6:7]
	v_dual_mov_b32 v21, 0 :: v_dual_mov_b32 v22, 0
	s_delay_alu instid0(VALU_DEP_2)
	v_cmp_lt_u64_e64 s4, v[16:17], v[4:5]
	s_and_saveexec_b32 s2, s4
	s_cbranch_execz .LBB256_8
; %bb.7:                                ;   in Loop: Header=BB256_4 Depth=1
	global_load_u16 v16, v[14:15], off
	s_wait_loadcnt 0x0
	v_lshlrev_b32_e32 v22, 16, v16
.LBB256_8:                              ;   in Loop: Header=BB256_4 Depth=1
	s_wait_xcnt 0x0
	s_or_b32 exec_lo, exec_lo, s2
	v_add_nc_u64_e32 v[16:17], s[18:19], v[12:13]
	v_add_nc_u64_e32 v[18:19], s[12:13], v[8:9]
	s_delay_alu instid0(VALU_DEP_2)
	v_cmp_lt_u64_e64 s3, v[16:17], v[4:5]
	s_and_saveexec_b32 s2, s3
	s_cbranch_execz .LBB256_10
; %bb.9:                                ;   in Loop: Header=BB256_4 Depth=1
	global_load_u16 v16, v[18:19], off
	s_wait_loadcnt 0x0
	v_lshlrev_b32_e32 v21, 16, v16
.LBB256_10:                             ;   in Loop: Header=BB256_4 Depth=1
	s_wait_xcnt 0x0
	s_or_b32 exec_lo, exec_lo, s2
	v_add_nc_u64_e32 v[16:17], s[18:19], v[10:11]
	v_mov_b32_e32 v20, 0
	s_delay_alu instid0(VALU_DEP_2)
	v_cmp_lt_u64_e64 s2, v[16:17], v[4:5]
	v_add_nc_u64_e32 v[16:17], s[16:17], v[8:9]
	s_and_saveexec_b32 s5, s2
	s_cbranch_execnz .LBB256_15
; %bb.11:                               ;   in Loop: Header=BB256_4 Depth=1
	s_or_b32 exec_lo, exec_lo, s5
	s_and_saveexec_b32 s5, vcc_lo
	s_cbranch_execnz .LBB256_16
.LBB256_12:                             ;   in Loop: Header=BB256_4 Depth=1
	s_or_b32 exec_lo, exec_lo, s5
	s_and_saveexec_b32 s5, s4
	s_cbranch_execnz .LBB256_17
.LBB256_13:                             ;   in Loop: Header=BB256_4 Depth=1
	s_or_b32 exec_lo, exec_lo, s5
	s_and_saveexec_b32 s4, s3
	s_cbranch_execnz .LBB256_18
.LBB256_14:                             ;   in Loop: Header=BB256_4 Depth=1
	s_or_b32 exec_lo, exec_lo, s4
	s_and_saveexec_b32 s3, s2
	s_cbranch_execz .LBB256_3
	s_branch .LBB256_19
.LBB256_15:                             ;   in Loop: Header=BB256_4 Depth=1
	global_load_u16 v20, v[16:17], off
	s_wait_loadcnt 0x0
	v_lshlrev_b32_e32 v20, 16, v20
	s_wait_xcnt 0x0
	s_or_b32 exec_lo, exec_lo, s5
	s_and_saveexec_b32 s5, vcc_lo
	s_cbranch_execz .LBB256_12
.LBB256_16:                             ;   in Loop: Header=BB256_4 Depth=1
	v_mul_f32_e32 v24, 0xbfb8aa3b, v23
	v_cmp_nlt_f32_e32 vcc_lo, 0x42ce8ed0, v23
	s_delay_alu instid0(VALU_DEP_2) | instskip(SKIP_1) | instid1(VALU_DEP_2)
	v_rndne_f32_e32 v25, v24
	v_fma_f32 v26, 0xbfb8aa3b, v23, -v24
	v_sub_f32_e32 v24, v24, v25
	s_delay_alu instid0(VALU_DEP_2) | instskip(SKIP_1) | instid1(VALU_DEP_2)
	v_fmac_f32_e32 v26, 0xb2a5705f, v23
	v_cvt_i32_f32_e32 v25, v25
	v_add_f32_e32 v24, v24, v26
	s_delay_alu instid0(VALU_DEP_1) | instskip(SKIP_1) | instid1(TRANS32_DEP_1)
	v_exp_f32_e32 v24, v24
	v_nop
	v_ldexp_f32 v24, v24, v25
	s_delay_alu instid0(VALU_DEP_1) | instskip(SKIP_1) | instid1(VALU_DEP_2)
	v_cndmask_b32_e32 v24, 0, v24, vcc_lo
	v_cmp_ngt_f32_e32 vcc_lo, 0xc2b17218, v23
	v_cndmask_b32_e32 v23, 0x7f800000, v24, vcc_lo
	s_delay_alu instid0(VALU_DEP_1) | instskip(NEXT) | instid1(VALU_DEP_1)
	v_add_f32_e32 v23, s20, v23
	v_div_scale_f32 v24, null, v23, v23, s20
	s_delay_alu instid0(VALU_DEP_1) | instskip(SKIP_1) | instid1(TRANS32_DEP_1)
	v_rcp_f32_e32 v25, v24
	v_nop
	v_fma_f32 v26, -v24, v25, 1.0
	s_delay_alu instid0(VALU_DEP_1) | instskip(SKIP_1) | instid1(VALU_DEP_1)
	v_fmac_f32_e32 v25, v26, v25
	v_div_scale_f32 v26, vcc_lo, s20, v23, s20
	v_mul_f32_e32 v27, v26, v25
	s_delay_alu instid0(VALU_DEP_1) | instskip(NEXT) | instid1(VALU_DEP_1)
	v_fma_f32 v28, -v24, v27, v26
	v_fmac_f32_e32 v27, v28, v25
	s_delay_alu instid0(VALU_DEP_1) | instskip(NEXT) | instid1(VALU_DEP_1)
	v_fma_f32 v24, -v24, v27, v26
	v_div_fmas_f32 v24, v24, v25, v27
	s_delay_alu instid0(VALU_DEP_1) | instskip(NEXT) | instid1(VALU_DEP_1)
	v_div_fixup_f32 v23, v24, v23, s20
	v_bfe_u32 v24, v23, 16, 1
	v_cmp_o_f32_e32 vcc_lo, v23, v23
	s_delay_alu instid0(VALU_DEP_2) | instskip(NEXT) | instid1(VALU_DEP_1)
	v_add3_u32 v24, v23, v24, 0x7fff
	v_lshrrev_b32_e32 v24, 16, v24
	s_delay_alu instid0(VALU_DEP_1)
	v_cndmask_b32_e32 v23, 0x7fc0, v24, vcc_lo
	global_store_b16 v[8:9], v23, off
	s_wait_xcnt 0x0
	s_or_b32 exec_lo, exec_lo, s5
	s_and_saveexec_b32 s5, s4
	s_cbranch_execz .LBB256_13
.LBB256_17:                             ;   in Loop: Header=BB256_4 Depth=1
	v_mul_f32_e32 v23, 0xbfb8aa3b, v22
	v_cmp_nlt_f32_e32 vcc_lo, 0x42ce8ed0, v22
	s_delay_alu instid0(VALU_DEP_2) | instskip(SKIP_1) | instid1(VALU_DEP_2)
	v_rndne_f32_e32 v24, v23
	v_fma_f32 v25, 0xbfb8aa3b, v22, -v23
	v_sub_f32_e32 v23, v23, v24
	s_delay_alu instid0(VALU_DEP_2) | instskip(SKIP_1) | instid1(VALU_DEP_2)
	v_fmac_f32_e32 v25, 0xb2a5705f, v22
	v_cvt_i32_f32_e32 v24, v24
	v_add_f32_e32 v23, v23, v25
	s_delay_alu instid0(VALU_DEP_1) | instskip(SKIP_1) | instid1(TRANS32_DEP_1)
	v_exp_f32_e32 v23, v23
	v_nop
	v_ldexp_f32 v23, v23, v24
	s_delay_alu instid0(VALU_DEP_1) | instskip(SKIP_1) | instid1(VALU_DEP_2)
	v_cndmask_b32_e32 v23, 0, v23, vcc_lo
	v_cmp_ngt_f32_e32 vcc_lo, 0xc2b17218, v22
	v_cndmask_b32_e32 v22, 0x7f800000, v23, vcc_lo
	s_delay_alu instid0(VALU_DEP_1) | instskip(NEXT) | instid1(VALU_DEP_1)
	v_add_f32_e32 v22, s20, v22
	v_div_scale_f32 v23, null, v22, v22, s20
	s_delay_alu instid0(VALU_DEP_1) | instskip(SKIP_1) | instid1(TRANS32_DEP_1)
	v_rcp_f32_e32 v24, v23
	v_nop
	v_fma_f32 v25, -v23, v24, 1.0
	s_delay_alu instid0(VALU_DEP_1) | instskip(SKIP_1) | instid1(VALU_DEP_1)
	v_fmac_f32_e32 v24, v25, v24
	v_div_scale_f32 v25, vcc_lo, s20, v22, s20
	v_mul_f32_e32 v26, v25, v24
	s_delay_alu instid0(VALU_DEP_1) | instskip(NEXT) | instid1(VALU_DEP_1)
	v_fma_f32 v27, -v23, v26, v25
	v_fmac_f32_e32 v26, v27, v24
	s_delay_alu instid0(VALU_DEP_1) | instskip(NEXT) | instid1(VALU_DEP_1)
	v_fma_f32 v23, -v23, v26, v25
	v_div_fmas_f32 v23, v23, v24, v26
	s_delay_alu instid0(VALU_DEP_1) | instskip(NEXT) | instid1(VALU_DEP_1)
	v_div_fixup_f32 v22, v23, v22, s20
	v_bfe_u32 v23, v22, 16, 1
	v_cmp_o_f32_e32 vcc_lo, v22, v22
	s_delay_alu instid0(VALU_DEP_2) | instskip(NEXT) | instid1(VALU_DEP_1)
	v_add3_u32 v23, v22, v23, 0x7fff
	v_lshrrev_b32_e32 v23, 16, v23
	s_delay_alu instid0(VALU_DEP_1)
	v_cndmask_b32_e32 v22, 0x7fc0, v23, vcc_lo
	global_store_b16 v[14:15], v22, off
	s_wait_xcnt 0x0
	s_or_b32 exec_lo, exec_lo, s5
	s_and_saveexec_b32 s4, s3
	s_cbranch_execz .LBB256_14
.LBB256_18:                             ;   in Loop: Header=BB256_4 Depth=1
	v_mul_f32_e32 v22, 0xbfb8aa3b, v21
	v_cmp_nlt_f32_e32 vcc_lo, 0x42ce8ed0, v21
	s_delay_alu instid0(VALU_DEP_2) | instskip(SKIP_1) | instid1(VALU_DEP_2)
	v_rndne_f32_e32 v23, v22
	v_fma_f32 v24, 0xbfb8aa3b, v21, -v22
	v_sub_f32_e32 v22, v22, v23
	s_delay_alu instid0(VALU_DEP_2) | instskip(SKIP_1) | instid1(VALU_DEP_2)
	v_fmac_f32_e32 v24, 0xb2a5705f, v21
	v_cvt_i32_f32_e32 v23, v23
	v_add_f32_e32 v22, v22, v24
	s_delay_alu instid0(VALU_DEP_1) | instskip(SKIP_1) | instid1(TRANS32_DEP_1)
	v_exp_f32_e32 v22, v22
	v_nop
	v_ldexp_f32 v22, v22, v23
	s_delay_alu instid0(VALU_DEP_1) | instskip(SKIP_1) | instid1(VALU_DEP_2)
	v_cndmask_b32_e32 v22, 0, v22, vcc_lo
	v_cmp_ngt_f32_e32 vcc_lo, 0xc2b17218, v21
	v_cndmask_b32_e32 v21, 0x7f800000, v22, vcc_lo
	s_delay_alu instid0(VALU_DEP_1) | instskip(NEXT) | instid1(VALU_DEP_1)
	v_add_f32_e32 v21, s20, v21
	v_div_scale_f32 v22, null, v21, v21, s20
	s_delay_alu instid0(VALU_DEP_1) | instskip(SKIP_1) | instid1(TRANS32_DEP_1)
	v_rcp_f32_e32 v23, v22
	v_nop
	v_fma_f32 v24, -v22, v23, 1.0
	s_delay_alu instid0(VALU_DEP_1) | instskip(SKIP_1) | instid1(VALU_DEP_1)
	v_fmac_f32_e32 v23, v24, v23
	v_div_scale_f32 v24, vcc_lo, s20, v21, s20
	v_mul_f32_e32 v25, v24, v23
	s_delay_alu instid0(VALU_DEP_1) | instskip(NEXT) | instid1(VALU_DEP_1)
	v_fma_f32 v26, -v22, v25, v24
	v_fmac_f32_e32 v25, v26, v23
	s_delay_alu instid0(VALU_DEP_1) | instskip(NEXT) | instid1(VALU_DEP_1)
	v_fma_f32 v22, -v22, v25, v24
	v_div_fmas_f32 v22, v22, v23, v25
	s_delay_alu instid0(VALU_DEP_1) | instskip(NEXT) | instid1(VALU_DEP_1)
	v_div_fixup_f32 v21, v22, v21, s20
	v_bfe_u32 v22, v21, 16, 1
	v_cmp_o_f32_e32 vcc_lo, v21, v21
	s_delay_alu instid0(VALU_DEP_2) | instskip(NEXT) | instid1(VALU_DEP_1)
	v_add3_u32 v22, v21, v22, 0x7fff
	v_lshrrev_b32_e32 v22, 16, v22
	s_delay_alu instid0(VALU_DEP_1)
	v_cndmask_b32_e32 v21, 0x7fc0, v22, vcc_lo
	global_store_b16 v[18:19], v21, off
	s_wait_xcnt 0x0
	s_or_b32 exec_lo, exec_lo, s4
	s_and_saveexec_b32 s3, s2
	s_cbranch_execz .LBB256_3
.LBB256_19:                             ;   in Loop: Header=BB256_4 Depth=1
	v_mul_f32_e32 v18, 0xbfb8aa3b, v20
	v_cmp_nlt_f32_e32 vcc_lo, 0x42ce8ed0, v20
	s_delay_alu instid0(VALU_DEP_2) | instskip(SKIP_1) | instid1(VALU_DEP_1)
	v_rndne_f32_e32 v19, v18
	v_fma_f32 v21, 0xbfb8aa3b, v20, -v18
	v_dual_sub_f32 v18, v18, v19 :: v_dual_fmac_f32 v21, 0xb2a5705f, v20
	v_cvt_i32_f32_e32 v19, v19
	s_delay_alu instid0(VALU_DEP_2) | instskip(NEXT) | instid1(VALU_DEP_1)
	v_add_f32_e32 v18, v18, v21
	v_exp_f32_e32 v18, v18
	v_nop
	s_delay_alu instid0(TRANS32_DEP_1) | instskip(NEXT) | instid1(VALU_DEP_1)
	v_ldexp_f32 v18, v18, v19
	v_cndmask_b32_e32 v18, 0, v18, vcc_lo
	v_cmp_ngt_f32_e32 vcc_lo, 0xc2b17218, v20
	s_delay_alu instid0(VALU_DEP_2) | instskip(NEXT) | instid1(VALU_DEP_1)
	v_cndmask_b32_e32 v18, 0x7f800000, v18, vcc_lo
	v_add_f32_e32 v18, s20, v18
	s_delay_alu instid0(VALU_DEP_1) | instskip(NEXT) | instid1(VALU_DEP_1)
	v_div_scale_f32 v19, null, v18, v18, s20
	v_rcp_f32_e32 v20, v19
	v_nop
	s_delay_alu instid0(TRANS32_DEP_1) | instskip(NEXT) | instid1(VALU_DEP_1)
	v_fma_f32 v21, -v19, v20, 1.0
	v_fmac_f32_e32 v20, v21, v20
	v_div_scale_f32 v21, vcc_lo, s20, v18, s20
	s_delay_alu instid0(VALU_DEP_1) | instskip(NEXT) | instid1(VALU_DEP_1)
	v_mul_f32_e32 v22, v21, v20
	v_fma_f32 v23, -v19, v22, v21
	s_delay_alu instid0(VALU_DEP_1) | instskip(NEXT) | instid1(VALU_DEP_1)
	v_fmac_f32_e32 v22, v23, v20
	v_fma_f32 v19, -v19, v22, v21
	s_delay_alu instid0(VALU_DEP_1) | instskip(NEXT) | instid1(VALU_DEP_1)
	v_div_fmas_f32 v19, v19, v20, v22
	v_div_fixup_f32 v18, v19, v18, s20
	s_delay_alu instid0(VALU_DEP_1) | instskip(SKIP_1) | instid1(VALU_DEP_2)
	v_bfe_u32 v19, v18, 16, 1
	v_cmp_o_f32_e32 vcc_lo, v18, v18
	v_add3_u32 v19, v18, v19, 0x7fff
	s_delay_alu instid0(VALU_DEP_1) | instskip(NEXT) | instid1(VALU_DEP_1)
	v_lshrrev_b32_e32 v19, 16, v19
	v_cndmask_b32_e32 v18, 0x7fc0, v19, vcc_lo
	global_store_b16 v[16:17], v18, off
	s_branch .LBB256_3
.LBB256_20:
	s_cbranch_execz .LBB256_22
	s_branch .LBB256_25
.LBB256_21:
.LBB256_22:
	v_min_i64 v[2:3], 0x10000, s[10:11]
	v_dual_mov_b32 v5, 0 :: v_dual_lshlrev_b32 v4, 2, v0
	s_mov_b32 s2, exec_lo
	s_delay_alu instid0(VALU_DEP_1)
	v_cmpx_lt_i64_e64 v[4:5], v[2:3]
	s_cbranch_execz .LBB256_25
; %bb.23:
	s_load_b32 s2, s[0:1], 0xd3c
	v_dual_mov_b32 v1, v5 :: v_dual_lshlrev_b32 v4, 3, v0
	s_wait_xcnt 0x0
	s_add_nc_u64 s[0:1], s[6:7], s[8:9]
	s_mov_b32 s5, 0
	s_mov_b32 s3, 0xbfb8aa3b
	v_add_nc_u64_e32 v[4:5], s[0:1], v[4:5]
	s_mov_b32 s8, 0xb2a5705f
	s_mov_b32 s7, s5
	;; [unrolled: 1-line block ×3, first 2 shown]
	s_wait_kmcnt 0x0
	s_and_b32 s4, s2, 0xffff
	s_delay_alu instid0(SALU_CYCLE_1)
	s_lshl_b32 s6, s4, 3
.LBB256_24:                             ; =>This Inner Loop Header: Depth=1
	global_load_b64 v[6:7], v[4:5], off
	v_add_nc_u64_e32 v[0:1], s[4:5], v[0:1]
	s_wait_loadcnt 0x0
	v_and_b32_e32 v9, 0xffff0000, v6
	v_lshlrev_b32_e32 v8, 16, v6
	v_and_b32_e32 v11, 0xffff0000, v7
	v_alignbit_b32 v10, v7, v6, 16
	s_delay_alu instid0(VALU_DEP_3) | instskip(NEXT) | instid1(VALU_DEP_3)
	v_dual_mul_f32 v13, 0xbfb8aa3b, v9 :: v_dual_mul_f32 v12, 0xbfb8aa3b, v8
	v_mul_f32_e32 v15, 0xbfb8aa3b, v11
	s_delay_alu instid0(VALU_DEP_3) | instskip(SKIP_1) | instid1(VALU_DEP_4)
	v_and_b32_e32 v14, 0xffff0000, v10
	v_cmp_nlt_f32_e32 vcc_lo, 0x42ce8ed0, v8
	v_rndne_f32_e32 v18, v13
	v_rndne_f32_e32 v16, v12
	v_fma_mix_f32_bf16 v17, v6, s3, -v12 op_sel_hi:[1,0,0]
	v_fma_mix_f32_bf16 v19, v6, s3, -v13 op_sel:[1,0,0] op_sel_hi:[1,0,0]
	v_rndne_f32_e32 v21, v15
	v_mul_f32_e32 v20, 0xbfb8aa3b, v14
	v_dual_sub_f32 v12, v12, v16 :: v_dual_sub_f32 v13, v13, v18
	v_fma_mix_f32_bf16 v17, v6, s8, v17 op_sel_hi:[1,0,0]
	v_fma_mix_f32_bf16 v22, v7, s3, -v15 op_sel:[1,0,0] op_sel_hi:[1,0,0]
	v_fma_mix_f32_bf16 v6, v6, s8, v19 op_sel:[1,0,0] op_sel_hi:[1,0,0]
	v_sub_f32_e32 v15, v15, v21
	v_fma_mix_f32_bf16 v19, v10, s3, -v20 op_sel:[1,0,0] op_sel_hi:[1,0,0]
	v_add_f32_e32 v12, v12, v17
	v_fma_mix_f32_bf16 v7, v7, s8, v22 op_sel:[1,0,0] op_sel_hi:[1,0,0]
	v_add_f32_e32 v6, v13, v6
	v_rndne_f32_e32 v23, v20
	v_fma_mix_f32_bf16 v10, v10, s8, v19 op_sel:[1,0,0] op_sel_hi:[1,0,0]
	v_exp_f32_e32 v12, v12
	v_add_f32_e32 v7, v15, v7
	v_cvt_i32_f32_e32 v15, v16
	v_exp_f32_e32 v6, v6
	v_cvt_i32_f32_e32 v16, v21
	v_cvt_i32_f32_e32 v17, v23
	s_delay_alu instid0(TRANS32_DEP_2) | instid1(VALU_DEP_3)
	v_ldexp_f32 v12, v12, v15
	s_delay_alu instid0(VALU_DEP_1) | instskip(NEXT) | instid1(VALU_DEP_1)
	v_dual_sub_f32 v13, v20, v23 :: v_dual_cndmask_b32 v12, 0, v12
	v_add_f32_e32 v10, v13, v10
	v_cvt_i32_f32_e32 v13, v18
	v_exp_f32_e32 v7, v7
	v_cmp_nlt_f32_e32 vcc_lo, 0x42ce8ed0, v9
	s_delay_alu instid0(VALU_DEP_3) | instskip(NEXT) | instid1(VALU_DEP_2)
	v_exp_f32_e32 v10, v10
	v_ldexp_f32 v6, v6, v13
	s_delay_alu instid0(TRANS32_DEP_2) | instskip(NEXT) | instid1(VALU_DEP_2)
	v_ldexp_f32 v7, v7, v16
	v_cndmask_b32_e32 v6, 0, v6, vcc_lo
	v_cmp_nlt_f32_e32 vcc_lo, 0x42ce8ed0, v11
	s_delay_alu instid0(TRANS32_DEP_1) | instskip(NEXT) | instid1(VALU_DEP_4)
	v_ldexp_f32 v10, v10, v17
	v_cndmask_b32_e32 v7, 0, v7, vcc_lo
	v_cmp_ngt_f32_e32 vcc_lo, 0xc2b17218, v8
	v_cndmask_b32_e32 v8, 0x7f800000, v12, vcc_lo
	v_cmp_ngt_f32_e32 vcc_lo, 0xc2b17218, v9
	s_delay_alu instid0(VALU_DEP_2)
	v_add_f32_e32 v8, s20, v8
	v_cndmask_b32_e32 v6, 0x7f800000, v6, vcc_lo
	v_cmp_nlt_f32_e32 vcc_lo, 0x42ce8ed0, v14
	v_cndmask_b32_e32 v9, 0, v10, vcc_lo
	v_cmp_ngt_f32_e32 vcc_lo, 0xc2b17218, v11
	v_div_scale_f32 v10, null, v8, v8, s20
	v_cndmask_b32_e32 v7, 0x7f800000, v7, vcc_lo
	v_cmp_ngt_f32_e32 vcc_lo, 0xc2b17218, v14
	s_delay_alu instid0(VALU_DEP_3) | instskip(SKIP_2) | instid1(TRANS32_DEP_1)
	v_rcp_f32_e32 v13, v10
	v_cndmask_b32_e32 v9, 0x7f800000, v9, vcc_lo
	v_div_scale_f32 v17, vcc_lo, s20, v8, s20
	v_fma_f32 v20, -v10, v13, 1.0
	s_delay_alu instid0(VALU_DEP_3) | instskip(NEXT) | instid1(VALU_DEP_2)
	v_add_f32_e32 v9, s20, v9
	v_fmac_f32_e32 v13, v20, v13
	s_delay_alu instid0(VALU_DEP_2) | instskip(NEXT) | instid1(VALU_DEP_1)
	v_div_scale_f32 v15, null, v9, v9, s20
	v_rcp_f32_e32 v19, v15
	v_nop
	s_delay_alu instid0(TRANS32_DEP_1) | instskip(NEXT) | instid1(VALU_DEP_1)
	v_fma_f32 v20, -v15, v19, 1.0
	v_dual_fmac_f32 v19, v20, v19 :: v_dual_add_f32 v6, s20, v6
	s_delay_alu instid0(VALU_DEP_1) | instskip(NEXT) | instid1(VALU_DEP_1)
	v_div_scale_f32 v11, null, v6, v6, s20
	v_rcp_f32_e32 v14, v11
	v_nop
	s_delay_alu instid0(TRANS32_DEP_1) | instskip(NEXT) | instid1(VALU_DEP_1)
	v_fma_f32 v21, -v11, v14, 1.0
	v_dual_fmac_f32 v14, v21, v14 :: v_dual_add_f32 v7, s20, v7
	v_div_scale_f32 v18, s0, s20, v6, s20
	s_delay_alu instid0(VALU_DEP_2) | instskip(SKIP_1) | instid1(VALU_DEP_3)
	v_div_scale_f32 v12, null, v7, v7, s20
	v_div_scale_f32 v23, s1, s20, v7, s20
	v_mul_f32_e32 v24, v18, v14
	s_delay_alu instid0(VALU_DEP_3) | instskip(SKIP_1) | instid1(VALU_DEP_2)
	v_rcp_f32_e32 v16, v12
	v_div_scale_f32 v21, s2, s20, v9, s20
	v_fma_f32 v26, -v11, v24, v18
	s_delay_alu instid0(TRANS32_DEP_1) | instskip(NEXT) | instid1(VALU_DEP_2)
	v_fma_f32 v22, -v12, v16, 1.0
	v_fmac_f32_e32 v24, v26, v14
	s_delay_alu instid0(VALU_DEP_2) | instskip(NEXT) | instid1(VALU_DEP_2)
	v_dual_fmac_f32 v16, v22, v16 :: v_dual_mul_f32 v22, v17, v13
	v_fma_f32 v11, -v11, v24, v18
	s_delay_alu instid0(VALU_DEP_2) | instskip(NEXT) | instid1(VALU_DEP_1)
	v_dual_mul_f32 v20, v23, v16 :: v_dual_fma_f32 v25, -v10, v22, v17
	v_dual_mul_f32 v27, v21, v19 :: v_dual_fma_f32 v28, -v12, v20, v23
	s_delay_alu instid0(VALU_DEP_1) | instskip(NEXT) | instid1(VALU_DEP_1)
	v_dual_fmac_f32 v22, v25, v13 :: v_dual_fma_f32 v25, -v15, v27, v21
	v_dual_fmac_f32 v20, v28, v16 :: v_dual_fma_f32 v10, -v10, v22, v17
	s_delay_alu instid0(VALU_DEP_2) | instskip(NEXT) | instid1(VALU_DEP_2)
	v_fmac_f32_e32 v27, v25, v19
	v_fma_f32 v12, -v12, v20, v23
	s_delay_alu instid0(VALU_DEP_3) | instskip(NEXT) | instid1(VALU_DEP_3)
	v_div_fmas_f32 v10, v10, v13, v22
	v_fma_f32 v13, -v15, v27, v21
	s_mov_b32 vcc_lo, s0
	v_div_fmas_f32 v11, v11, v14, v24
	s_mov_b32 vcc_lo, s2
	v_div_fixup_f32 v8, v10, v8, s20
	v_div_fmas_f32 v10, v13, v19, v27
	s_mov_b32 vcc_lo, s1
	v_div_fixup_f32 v6, v11, v6, s20
	v_div_fmas_f32 v12, v12, v16, v20
	v_cmp_o_f32_e32 vcc_lo, v8, v8
	v_div_fixup_f32 v9, v10, v9, s20
	v_bfe_u32 v10, v8, 16, 1
	v_bfe_u32 v11, v6, 16, 1
	v_div_fixup_f32 v7, v12, v7, s20
	s_delay_alu instid0(VALU_DEP_4) | instskip(NEXT) | instid1(VALU_DEP_4)
	v_bfe_u32 v12, v9, 16, 1
	v_add3_u32 v10, v8, v10, 0x7fff
	s_delay_alu instid0(VALU_DEP_4) | instskip(NEXT) | instid1(VALU_DEP_4)
	v_add3_u32 v11, v6, v11, 0x7fff
	v_bfe_u32 v13, v7, 16, 1
	s_delay_alu instid0(VALU_DEP_4) | instskip(NEXT) | instid1(VALU_DEP_4)
	v_add3_u32 v12, v9, v12, 0x7fff
	v_lshrrev_b32_e32 v10, 16, v10
	s_delay_alu instid0(VALU_DEP_4) | instskip(NEXT) | instid1(VALU_DEP_4)
	v_and_b32_e32 v11, 0xffff0000, v11
	v_add3_u32 v13, v7, v13, 0x7fff
	s_delay_alu instid0(VALU_DEP_3) | instskip(SKIP_1) | instid1(VALU_DEP_3)
	v_cndmask_b32_e32 v8, 0x7fc0, v10, vcc_lo
	v_cmp_o_f32_e32 vcc_lo, v6, v6
	v_and_b32_e32 v10, 0xffff0000, v13
	v_cndmask_b32_e32 v6, 0x7fc00000, v11, vcc_lo
	v_lshrrev_b32_e32 v12, 16, v12
	v_cmp_o_f32_e32 vcc_lo, v9, v9
	s_delay_alu instid0(VALU_DEP_3) | instskip(NEXT) | instid1(VALU_DEP_3)
	v_or_b32_e32 v8, v8, v6
	v_cndmask_b32_e32 v9, 0x7fc0, v12, vcc_lo
	v_cmp_o_f32_e32 vcc_lo, v7, v7
	v_lshlrev_b64_e32 v[6:7], 2, v[0:1]
	s_delay_alu instid0(VALU_DEP_4) | instskip(SKIP_1) | instid1(VALU_DEP_3)
	v_or3_b32 v8, v8, 0, 0
	v_cndmask_b32_e32 v10, 0x7fc00000, v10, vcc_lo
	v_cmp_ge_i64_e32 vcc_lo, v[6:7], v[2:3]
	s_delay_alu instid0(VALU_DEP_2) | instskip(SKIP_4) | instid1(SALU_CYCLE_1)
	v_or3_b32 v9, 0, v9, v10
	global_store_b64 v[4:5], v[8:9], off
	s_wait_xcnt 0x0
	v_add_nc_u64_e32 v[4:5], s[6:7], v[4:5]
	s_or_b32 s9, vcc_lo, s9
	s_and_not1_b32 exec_lo, exec_lo, s9
	s_cbranch_execnz .LBB256_24
.LBB256_25:
	s_endpgm
	.section	.rodata,"a",@progbits
	.p2align	6, 0x0
	.amdhsa_kernel _ZN2at6native12_GLOBAL__N_125multi_tensor_apply_kernelINS1_18TensorListMetadataILi1EEENS1_14UnaryOpFunctorIN3c108BFloat16ELi1ELi1ELi0EEEJNS0_7SigmoidIfEEEEEvT_T0_DpT1_
		.amdhsa_group_segment_fixed_size 0
		.amdhsa_private_segment_fixed_size 0
		.amdhsa_kernarg_size 3632
		.amdhsa_user_sgpr_count 2
		.amdhsa_user_sgpr_dispatch_ptr 0
		.amdhsa_user_sgpr_queue_ptr 0
		.amdhsa_user_sgpr_kernarg_segment_ptr 1
		.amdhsa_user_sgpr_dispatch_id 0
		.amdhsa_user_sgpr_kernarg_preload_length 0
		.amdhsa_user_sgpr_kernarg_preload_offset 0
		.amdhsa_user_sgpr_private_segment_size 0
		.amdhsa_wavefront_size32 1
		.amdhsa_uses_dynamic_stack 0
		.amdhsa_enable_private_segment 0
		.amdhsa_system_sgpr_workgroup_id_x 1
		.amdhsa_system_sgpr_workgroup_id_y 0
		.amdhsa_system_sgpr_workgroup_id_z 0
		.amdhsa_system_sgpr_workgroup_info 0
		.amdhsa_system_vgpr_workitem_id 0
		.amdhsa_next_free_vgpr 29
		.amdhsa_next_free_sgpr 21
		.amdhsa_named_barrier_count 0
		.amdhsa_reserve_vcc 1
		.amdhsa_float_round_mode_32 0
		.amdhsa_float_round_mode_16_64 0
		.amdhsa_float_denorm_mode_32 3
		.amdhsa_float_denorm_mode_16_64 3
		.amdhsa_fp16_overflow 0
		.amdhsa_memory_ordered 1
		.amdhsa_forward_progress 1
		.amdhsa_inst_pref_size 23
		.amdhsa_round_robin_scheduling 0
		.amdhsa_exception_fp_ieee_invalid_op 0
		.amdhsa_exception_fp_denorm_src 0
		.amdhsa_exception_fp_ieee_div_zero 0
		.amdhsa_exception_fp_ieee_overflow 0
		.amdhsa_exception_fp_ieee_underflow 0
		.amdhsa_exception_fp_ieee_inexact 0
		.amdhsa_exception_int_div_zero 0
	.end_amdhsa_kernel
	.section	.text._ZN2at6native12_GLOBAL__N_125multi_tensor_apply_kernelINS1_18TensorListMetadataILi1EEENS1_14UnaryOpFunctorIN3c108BFloat16ELi1ELi1ELi0EEEJNS0_7SigmoidIfEEEEEvT_T0_DpT1_,"axG",@progbits,_ZN2at6native12_GLOBAL__N_125multi_tensor_apply_kernelINS1_18TensorListMetadataILi1EEENS1_14UnaryOpFunctorIN3c108BFloat16ELi1ELi1ELi0EEEJNS0_7SigmoidIfEEEEEvT_T0_DpT1_,comdat
.Lfunc_end256:
	.size	_ZN2at6native12_GLOBAL__N_125multi_tensor_apply_kernelINS1_18TensorListMetadataILi1EEENS1_14UnaryOpFunctorIN3c108BFloat16ELi1ELi1ELi0EEEJNS0_7SigmoidIfEEEEEvT_T0_DpT1_, .Lfunc_end256-_ZN2at6native12_GLOBAL__N_125multi_tensor_apply_kernelINS1_18TensorListMetadataILi1EEENS1_14UnaryOpFunctorIN3c108BFloat16ELi1ELi1ELi0EEEJNS0_7SigmoidIfEEEEEvT_T0_DpT1_
                                        ; -- End function
	.set _ZN2at6native12_GLOBAL__N_125multi_tensor_apply_kernelINS1_18TensorListMetadataILi1EEENS1_14UnaryOpFunctorIN3c108BFloat16ELi1ELi1ELi0EEEJNS0_7SigmoidIfEEEEEvT_T0_DpT1_.num_vgpr, 29
	.set _ZN2at6native12_GLOBAL__N_125multi_tensor_apply_kernelINS1_18TensorListMetadataILi1EEENS1_14UnaryOpFunctorIN3c108BFloat16ELi1ELi1ELi0EEEJNS0_7SigmoidIfEEEEEvT_T0_DpT1_.num_agpr, 0
	.set _ZN2at6native12_GLOBAL__N_125multi_tensor_apply_kernelINS1_18TensorListMetadataILi1EEENS1_14UnaryOpFunctorIN3c108BFloat16ELi1ELi1ELi0EEEJNS0_7SigmoidIfEEEEEvT_T0_DpT1_.numbered_sgpr, 21
	.set _ZN2at6native12_GLOBAL__N_125multi_tensor_apply_kernelINS1_18TensorListMetadataILi1EEENS1_14UnaryOpFunctorIN3c108BFloat16ELi1ELi1ELi0EEEJNS0_7SigmoidIfEEEEEvT_T0_DpT1_.num_named_barrier, 0
	.set _ZN2at6native12_GLOBAL__N_125multi_tensor_apply_kernelINS1_18TensorListMetadataILi1EEENS1_14UnaryOpFunctorIN3c108BFloat16ELi1ELi1ELi0EEEJNS0_7SigmoidIfEEEEEvT_T0_DpT1_.private_seg_size, 0
	.set _ZN2at6native12_GLOBAL__N_125multi_tensor_apply_kernelINS1_18TensorListMetadataILi1EEENS1_14UnaryOpFunctorIN3c108BFloat16ELi1ELi1ELi0EEEJNS0_7SigmoidIfEEEEEvT_T0_DpT1_.uses_vcc, 1
	.set _ZN2at6native12_GLOBAL__N_125multi_tensor_apply_kernelINS1_18TensorListMetadataILi1EEENS1_14UnaryOpFunctorIN3c108BFloat16ELi1ELi1ELi0EEEJNS0_7SigmoidIfEEEEEvT_T0_DpT1_.uses_flat_scratch, 0
	.set _ZN2at6native12_GLOBAL__N_125multi_tensor_apply_kernelINS1_18TensorListMetadataILi1EEENS1_14UnaryOpFunctorIN3c108BFloat16ELi1ELi1ELi0EEEJNS0_7SigmoidIfEEEEEvT_T0_DpT1_.has_dyn_sized_stack, 0
	.set _ZN2at6native12_GLOBAL__N_125multi_tensor_apply_kernelINS1_18TensorListMetadataILi1EEENS1_14UnaryOpFunctorIN3c108BFloat16ELi1ELi1ELi0EEEJNS0_7SigmoidIfEEEEEvT_T0_DpT1_.has_recursion, 0
	.set _ZN2at6native12_GLOBAL__N_125multi_tensor_apply_kernelINS1_18TensorListMetadataILi1EEENS1_14UnaryOpFunctorIN3c108BFloat16ELi1ELi1ELi0EEEJNS0_7SigmoidIfEEEEEvT_T0_DpT1_.has_indirect_call, 0
	.section	.AMDGPU.csdata,"",@progbits
; Kernel info:
; codeLenInByte = 2888
; TotalNumSgprs: 23
; NumVgprs: 29
; ScratchSize: 0
; MemoryBound: 0
; FloatMode: 240
; IeeeMode: 1
; LDSByteSize: 0 bytes/workgroup (compile time only)
; SGPRBlocks: 0
; VGPRBlocks: 1
; NumSGPRsForWavesPerEU: 23
; NumVGPRsForWavesPerEU: 29
; NamedBarCnt: 0
; Occupancy: 16
; WaveLimiterHint : 0
; COMPUTE_PGM_RSRC2:SCRATCH_EN: 0
; COMPUTE_PGM_RSRC2:USER_SGPR: 2
; COMPUTE_PGM_RSRC2:TRAP_HANDLER: 0
; COMPUTE_PGM_RSRC2:TGID_X_EN: 1
; COMPUTE_PGM_RSRC2:TGID_Y_EN: 0
; COMPUTE_PGM_RSRC2:TGID_Z_EN: 0
; COMPUTE_PGM_RSRC2:TIDIG_COMP_CNT: 0
	.section	.text._ZN2at6native12_GLOBAL__N_125multi_tensor_apply_kernelINS1_18TensorListMetadataILi2EEENS1_14UnaryOpFunctorIdLi2ELi1ELi1EEEJNS0_5RoundIdEEEEEvT_T0_DpT1_,"axG",@progbits,_ZN2at6native12_GLOBAL__N_125multi_tensor_apply_kernelINS1_18TensorListMetadataILi2EEENS1_14UnaryOpFunctorIdLi2ELi1ELi1EEEJNS0_5RoundIdEEEEEvT_T0_DpT1_,comdat
	.globl	_ZN2at6native12_GLOBAL__N_125multi_tensor_apply_kernelINS1_18TensorListMetadataILi2EEENS1_14UnaryOpFunctorIdLi2ELi1ELi1EEEJNS0_5RoundIdEEEEEvT_T0_DpT1_ ; -- Begin function _ZN2at6native12_GLOBAL__N_125multi_tensor_apply_kernelINS1_18TensorListMetadataILi2EEENS1_14UnaryOpFunctorIdLi2ELi1ELi1EEEJNS0_5RoundIdEEEEEvT_T0_DpT1_
	.p2align	8
	.type	_ZN2at6native12_GLOBAL__N_125multi_tensor_apply_kernelINS1_18TensorListMetadataILi2EEENS1_14UnaryOpFunctorIdLi2ELi1ELi1EEEJNS0_5RoundIdEEEEEvT_T0_DpT1_,@function
_ZN2at6native12_GLOBAL__N_125multi_tensor_apply_kernelINS1_18TensorListMetadataILi2EEENS1_14UnaryOpFunctorIdLi2ELi1ELi1EEEJNS0_5RoundIdEEEEEvT_T0_DpT1_: ; @_ZN2at6native12_GLOBAL__N_125multi_tensor_apply_kernelINS1_18TensorListMetadataILi2EEENS1_14UnaryOpFunctorIdLi2ELi1ELi1EEEJNS0_5RoundIdEEEEEvT_T0_DpT1_
; %bb.0:
	s_bfe_u32 s2, ttmp6, 0x4000c
	s_and_b32 s3, ttmp6, 15
	s_add_co_i32 s2, s2, 1
	s_getreg_b32 s4, hwreg(HW_REG_IB_STS2, 6, 4)
	s_mul_i32 s2, ttmp9, s2
	s_mov_b32 s9, 0
	s_add_co_i32 s3, s3, s2
	s_cmp_eq_u32 s4, 0
	s_mov_b32 s15, s9
	s_cselect_b32 s8, ttmp9, s3
	s_load_u8 s11, s[0:1], s8 offset:0x600
	s_add_nc_u64 s[2:3], s[0:1], s[8:9]
	s_mul_u64 s[4:5], s[8:9], 3
	s_delay_alu instid0(SALU_CYCLE_1)
	s_add_nc_u64 s[4:5], s[2:3], s[4:5]
	s_load_b32 s10, s[4:5], 0x740
	s_wait_kmcnt 0x0
	s_clause 0x2
	s_load_b64 s[2:3], s[0:1], s11 offset:0x0 scale_offset
	s_load_b64 s[6:7], s[0:1], s11 offset:0x200 scale_offset
	;; [unrolled: 1-line block ×3, first 2 shown]
	s_wait_xcnt 0x0
	s_ashr_i32 s11, s10, 31
	s_delay_alu instid0(SALU_CYCLE_1)
	s_lshl_b64 s[4:5], s[10:11], 19
	s_wait_kmcnt 0x0
	s_and_b64 s[18:19], s[6:7], 31
	s_add_nc_u64 s[16:17], s[2:3], s[4:5]
	s_and_b32 s14, s12, 3
	s_and_b32 s8, s16, 31
	s_or_b64 s[14:15], s[18:19], s[14:15]
	s_lshl_b64 s[10:11], s[10:11], 16
	s_or_b64 s[14:15], s[14:15], s[8:9]
	s_sub_nc_u64 s[8:9], s[12:13], s[10:11]
	s_cmp_eq_u64 s[14:15], 0
	s_mov_b32 s10, -1
	s_cbranch_scc0 .LBB257_5
; %bb.1:
	v_min_i64 v[2:3], 0x10000, s[8:9]
	v_dual_mov_b32 v5, 0 :: v_dual_lshlrev_b32 v4, 2, v0
	s_mov_b32 s14, exec_lo
	s_delay_alu instid0(VALU_DEP_1)
	v_cmpx_lt_i64_e64 v[4:5], v[2:3]
	s_cbranch_execz .LBB257_4
; %bb.2:
	s_load_b32 s10, s[0:1], 0xc5c
	v_dual_mov_b32 v1, v5 :: v_dual_lshlrev_b32 v4, 5, v0
	s_mov_b32 s11, 0
	s_delay_alu instid0(SALU_CYCLE_1) | instskip(NEXT) | instid1(VALU_DEP_1)
	s_mov_b32 s13, s11
	v_add_nc_u64_e32 v[4:5], s[4:5], v[4:5]
	s_delay_alu instid0(VALU_DEP_2) | instskip(SKIP_3) | instid1(SALU_CYCLE_1)
	v_mov_b64_e32 v[6:7], v[0:1]
	s_mov_b32 s15, s11
	s_wait_kmcnt 0x0
	s_and_b32 s10, s10, 0xffff
	s_lshl_b32 s12, s10, 5
.LBB257_3:                              ; =>This Inner Loop Header: Depth=1
	s_delay_alu instid0(VALU_DEP_2) | instskip(NEXT) | instid1(VALU_DEP_2)
	v_add_nc_u64_e32 v[16:17], s[2:3], v[4:5]
	v_add_nc_u64_e32 v[6:7], s[10:11], v[6:7]
	s_clause 0x1
	global_load_b128 v[8:11], v[16:17], off
	global_load_b128 v[12:15], v[16:17], off offset:16
	s_wait_xcnt 0x0
	v_lshlrev_b64_e32 v[16:17], 2, v[6:7]
	s_delay_alu instid0(VALU_DEP_1)
	v_cmp_ge_i64_e32 vcc_lo, v[16:17], v[2:3]
	v_add_nc_u64_e32 v[16:17], s[6:7], v[4:5]
	v_add_nc_u64_e32 v[4:5], s[12:13], v[4:5]
	s_or_b32 s15, vcc_lo, s15
	s_wait_loadcnt 0x1
	v_rndne_f64_e32 v[8:9], v[8:9]
	v_rndne_f64_e32 v[10:11], v[10:11]
	s_wait_loadcnt 0x0
	v_rndne_f64_e32 v[12:13], v[12:13]
	v_rndne_f64_e32 v[14:15], v[14:15]
	s_clause 0x1
	global_store_b128 v[16:17], v[8:11], off
	global_store_b128 v[16:17], v[12:15], off offset:16
	s_wait_xcnt 0x0
	s_and_not1_b32 exec_lo, exec_lo, s15
	s_cbranch_execnz .LBB257_3
.LBB257_4:
	s_or_b32 exec_lo, exec_lo, s14
	s_mov_b32 s10, 0
.LBB257_5:
	s_delay_alu instid0(SALU_CYCLE_1)
	s_and_not1_b32 vcc_lo, exec_lo, s10
	s_cbranch_vccnz .LBB257_25
; %bb.6:
	v_cmp_lt_i64_e64 s10, s[8:9], 1
	s_and_b32 vcc_lo, exec_lo, s10
	s_cbranch_vccnz .LBB257_25
; %bb.7:
	s_load_b32 s0, s[0:1], 0xc5c
	v_min_i64 v[2:3], 0x10000, s[8:9]
	v_min_u64 v[4:5], 0x10000, s[8:9]
	v_dual_mov_b32 v1, 0 :: v_dual_lshlrev_b32 v10, 3, v0
	s_mov_b32 s9, 0
	s_delay_alu instid0(SALU_CYCLE_1) | instskip(NEXT) | instid1(VALU_DEP_1)
	s_mov_b32 s13, s9
	v_dual_mov_b32 v11, v1 :: v_dual_mov_b32 v27, v1
	s_wait_xcnt 0x0
	s_mov_b32 s1, s9
	s_mov_b32 s11, s9
	s_delay_alu instid0(VALU_DEP_1) | instskip(SKIP_2) | instid1(SALU_CYCLE_1)
	v_add_nc_u64_e32 v[6:7], s[2:3], v[10:11]
	s_wait_kmcnt 0x0
	s_and_b32 s8, s0, 0xffff
	v_add_nc_u64_e32 v[8:9], s[8:9], v[0:1]
	v_mad_nc_u64_u32 v[22:23], s8, 24, v[10:11]
	s_lshl_b32 s12, s8, 4
	s_mul_i32 s10, s8, 3
	v_add_nc_u64_e32 v[18:19], s[12:13], v[10:11]
	s_lshl_b32 s0, s8, 1
	v_add_nc_u64_e32 v[10:11], s[6:7], v[10:11]
	v_lshlrev_b32_e32 v26, 3, v8
	v_add_nc_u64_e32 v[12:13], s[10:11], v[0:1]
	v_add_nc_u64_e32 v[14:15], s[0:1], v[0:1]
	s_mov_b64 s[10:11], 0
	v_add_nc_u64_e32 v[16:17], s[2:3], v[18:19]
	v_add_nc_u64_e32 v[18:19], s[6:7], v[18:19]
	;; [unrolled: 1-line block ×6, first 2 shown]
	s_lshl_b32 s6, s8, 2
	s_mov_b32 s7, s9
	s_lshl_b32 s8, s8, 5
	s_branch .LBB257_9
.LBB257_8:                              ;   in Loop: Header=BB257_9 Depth=1
	s_wait_xcnt 0x0
	s_or_b32 exec_lo, exec_lo, s0
	s_add_nc_u64 s[10:11], s[10:11], s[6:7]
	v_add_nc_u64_e32 v[6:7], s[8:9], v[6:7]
	v_cmp_ge_i64_e32 vcc_lo, s[10:11], v[2:3]
	v_add_nc_u64_e32 v[10:11], s[8:9], v[10:11]
	v_add_nc_u64_e32 v[20:21], s[8:9], v[20:21]
	;; [unrolled: 1-line block ×7, first 2 shown]
	s_cbranch_vccnz .LBB257_25
.LBB257_9:                              ; =>This Inner Loop Header: Depth=1
	v_add_nc_u64_e32 v[30:31], s[10:11], v[0:1]
	v_mov_b64_e32 v[28:29], 0
	s_delay_alu instid0(VALU_DEP_2)
	v_cmp_lt_u64_e32 vcc_lo, v[30:31], v[4:5]
	v_mov_b64_e32 v[30:31], 0
	s_and_saveexec_b32 s0, vcc_lo
	s_cbranch_execz .LBB257_11
; %bb.10:                               ;   in Loop: Header=BB257_9 Depth=1
	v_add_nc_u64_e32 v[30:31], s[4:5], v[6:7]
	global_load_b64 v[30:31], v[30:31], off
	s_wait_loadcnt 0x0
	v_rndne_f64_e32 v[30:31], v[30:31]
.LBB257_11:                             ;   in Loop: Header=BB257_9 Depth=1
	s_or_b32 exec_lo, exec_lo, s0
	v_add_nc_u64_e32 v[32:33], s[10:11], v[8:9]
	s_delay_alu instid0(VALU_DEP_1)
	v_cmp_lt_u64_e64 s0, v[32:33], v[4:5]
	s_and_saveexec_b32 s1, s0
	s_cbranch_execz .LBB257_13
; %bb.12:                               ;   in Loop: Header=BB257_9 Depth=1
	v_add_nc_u64_e32 v[28:29], s[4:5], v[24:25]
	global_load_b64 v[28:29], v[28:29], off
	s_wait_loadcnt 0x0
	v_rndne_f64_e32 v[28:29], v[28:29]
.LBB257_13:                             ;   in Loop: Header=BB257_9 Depth=1
	s_or_b32 exec_lo, exec_lo, s1
	v_add_nc_u64_e32 v[34:35], s[10:11], v[14:15]
	v_mov_b64_e32 v[32:33], 0
	s_delay_alu instid0(VALU_DEP_2)
	v_cmp_lt_u64_e64 s1, v[34:35], v[4:5]
	v_mov_b64_e32 v[34:35], 0
	s_and_saveexec_b32 s2, s1
	s_cbranch_execz .LBB257_15
; %bb.14:                               ;   in Loop: Header=BB257_9 Depth=1
	v_add_nc_u64_e32 v[34:35], s[4:5], v[16:17]
	global_load_b64 v[34:35], v[34:35], off
	s_wait_loadcnt 0x0
	v_rndne_f64_e32 v[34:35], v[34:35]
.LBB257_15:                             ;   in Loop: Header=BB257_9 Depth=1
	s_or_b32 exec_lo, exec_lo, s2
	v_add_nc_u64_e32 v[36:37], s[10:11], v[12:13]
	s_delay_alu instid0(VALU_DEP_1)
	v_cmp_lt_u64_e64 s2, v[36:37], v[4:5]
	s_and_saveexec_b32 s3, s2
	s_cbranch_execnz .LBB257_20
; %bb.16:                               ;   in Loop: Header=BB257_9 Depth=1
	s_or_b32 exec_lo, exec_lo, s3
	s_and_saveexec_b32 s3, vcc_lo
	s_cbranch_execnz .LBB257_21
.LBB257_17:                             ;   in Loop: Header=BB257_9 Depth=1
	s_or_b32 exec_lo, exec_lo, s3
	s_and_saveexec_b32 s3, s0
	s_cbranch_execnz .LBB257_22
.LBB257_18:                             ;   in Loop: Header=BB257_9 Depth=1
	s_or_b32 exec_lo, exec_lo, s3
	s_and_saveexec_b32 s0, s1
	s_cbranch_execnz .LBB257_23
.LBB257_19:                             ;   in Loop: Header=BB257_9 Depth=1
	s_or_b32 exec_lo, exec_lo, s0
	s_and_saveexec_b32 s0, s2
	s_cbranch_execz .LBB257_8
	s_branch .LBB257_24
.LBB257_20:                             ;   in Loop: Header=BB257_9 Depth=1
	v_add_nc_u64_e32 v[32:33], s[4:5], v[20:21]
	global_load_b64 v[32:33], v[32:33], off
	s_wait_loadcnt 0x0
	v_rndne_f64_e32 v[32:33], v[32:33]
	s_or_b32 exec_lo, exec_lo, s3
	s_and_saveexec_b32 s3, vcc_lo
	s_cbranch_execz .LBB257_17
.LBB257_21:                             ;   in Loop: Header=BB257_9 Depth=1
	v_add_nc_u64_e32 v[36:37], s[4:5], v[10:11]
	global_store_b64 v[36:37], v[30:31], off
	s_wait_xcnt 0x0
	s_or_b32 exec_lo, exec_lo, s3
	s_and_saveexec_b32 s3, s0
	s_cbranch_execz .LBB257_18
.LBB257_22:                             ;   in Loop: Header=BB257_9 Depth=1
	v_add_nc_u64_e32 v[30:31], s[4:5], v[26:27]
	global_store_b64 v[30:31], v[28:29], off
	s_wait_xcnt 0x0
	s_or_b32 exec_lo, exec_lo, s3
	s_and_saveexec_b32 s0, s1
	s_cbranch_execz .LBB257_19
.LBB257_23:                             ;   in Loop: Header=BB257_9 Depth=1
	v_add_nc_u64_e32 v[28:29], s[4:5], v[18:19]
	global_store_b64 v[28:29], v[34:35], off
	s_wait_xcnt 0x0
	s_or_b32 exec_lo, exec_lo, s0
	s_and_saveexec_b32 s0, s2
	s_cbranch_execz .LBB257_8
.LBB257_24:                             ;   in Loop: Header=BB257_9 Depth=1
	v_add_nc_u64_e32 v[28:29], s[4:5], v[22:23]
	global_store_b64 v[28:29], v[32:33], off
	s_branch .LBB257_8
.LBB257_25:
	s_endpgm
	.section	.rodata,"a",@progbits
	.p2align	6, 0x0
	.amdhsa_kernel _ZN2at6native12_GLOBAL__N_125multi_tensor_apply_kernelINS1_18TensorListMetadataILi2EEENS1_14UnaryOpFunctorIdLi2ELi1ELi1EEEJNS0_5RoundIdEEEEEvT_T0_DpT1_
		.amdhsa_group_segment_fixed_size 0
		.amdhsa_private_segment_fixed_size 0
		.amdhsa_kernarg_size 3408
		.amdhsa_user_sgpr_count 2
		.amdhsa_user_sgpr_dispatch_ptr 0
		.amdhsa_user_sgpr_queue_ptr 0
		.amdhsa_user_sgpr_kernarg_segment_ptr 1
		.amdhsa_user_sgpr_dispatch_id 0
		.amdhsa_user_sgpr_kernarg_preload_length 0
		.amdhsa_user_sgpr_kernarg_preload_offset 0
		.amdhsa_user_sgpr_private_segment_size 0
		.amdhsa_wavefront_size32 1
		.amdhsa_uses_dynamic_stack 0
		.amdhsa_enable_private_segment 0
		.amdhsa_system_sgpr_workgroup_id_x 1
		.amdhsa_system_sgpr_workgroup_id_y 0
		.amdhsa_system_sgpr_workgroup_id_z 0
		.amdhsa_system_sgpr_workgroup_info 0
		.amdhsa_system_vgpr_workitem_id 0
		.amdhsa_next_free_vgpr 38
		.amdhsa_next_free_sgpr 20
		.amdhsa_named_barrier_count 0
		.amdhsa_reserve_vcc 1
		.amdhsa_float_round_mode_32 0
		.amdhsa_float_round_mode_16_64 0
		.amdhsa_float_denorm_mode_32 3
		.amdhsa_float_denorm_mode_16_64 3
		.amdhsa_fp16_overflow 0
		.amdhsa_memory_ordered 1
		.amdhsa_forward_progress 1
		.amdhsa_inst_pref_size 9
		.amdhsa_round_robin_scheduling 0
		.amdhsa_exception_fp_ieee_invalid_op 0
		.amdhsa_exception_fp_denorm_src 0
		.amdhsa_exception_fp_ieee_div_zero 0
		.amdhsa_exception_fp_ieee_overflow 0
		.amdhsa_exception_fp_ieee_underflow 0
		.amdhsa_exception_fp_ieee_inexact 0
		.amdhsa_exception_int_div_zero 0
	.end_amdhsa_kernel
	.section	.text._ZN2at6native12_GLOBAL__N_125multi_tensor_apply_kernelINS1_18TensorListMetadataILi2EEENS1_14UnaryOpFunctorIdLi2ELi1ELi1EEEJNS0_5RoundIdEEEEEvT_T0_DpT1_,"axG",@progbits,_ZN2at6native12_GLOBAL__N_125multi_tensor_apply_kernelINS1_18TensorListMetadataILi2EEENS1_14UnaryOpFunctorIdLi2ELi1ELi1EEEJNS0_5RoundIdEEEEEvT_T0_DpT1_,comdat
.Lfunc_end257:
	.size	_ZN2at6native12_GLOBAL__N_125multi_tensor_apply_kernelINS1_18TensorListMetadataILi2EEENS1_14UnaryOpFunctorIdLi2ELi1ELi1EEEJNS0_5RoundIdEEEEEvT_T0_DpT1_, .Lfunc_end257-_ZN2at6native12_GLOBAL__N_125multi_tensor_apply_kernelINS1_18TensorListMetadataILi2EEENS1_14UnaryOpFunctorIdLi2ELi1ELi1EEEJNS0_5RoundIdEEEEEvT_T0_DpT1_
                                        ; -- End function
	.set _ZN2at6native12_GLOBAL__N_125multi_tensor_apply_kernelINS1_18TensorListMetadataILi2EEENS1_14UnaryOpFunctorIdLi2ELi1ELi1EEEJNS0_5RoundIdEEEEEvT_T0_DpT1_.num_vgpr, 38
	.set _ZN2at6native12_GLOBAL__N_125multi_tensor_apply_kernelINS1_18TensorListMetadataILi2EEENS1_14UnaryOpFunctorIdLi2ELi1ELi1EEEJNS0_5RoundIdEEEEEvT_T0_DpT1_.num_agpr, 0
	.set _ZN2at6native12_GLOBAL__N_125multi_tensor_apply_kernelINS1_18TensorListMetadataILi2EEENS1_14UnaryOpFunctorIdLi2ELi1ELi1EEEJNS0_5RoundIdEEEEEvT_T0_DpT1_.numbered_sgpr, 20
	.set _ZN2at6native12_GLOBAL__N_125multi_tensor_apply_kernelINS1_18TensorListMetadataILi2EEENS1_14UnaryOpFunctorIdLi2ELi1ELi1EEEJNS0_5RoundIdEEEEEvT_T0_DpT1_.num_named_barrier, 0
	.set _ZN2at6native12_GLOBAL__N_125multi_tensor_apply_kernelINS1_18TensorListMetadataILi2EEENS1_14UnaryOpFunctorIdLi2ELi1ELi1EEEJNS0_5RoundIdEEEEEvT_T0_DpT1_.private_seg_size, 0
	.set _ZN2at6native12_GLOBAL__N_125multi_tensor_apply_kernelINS1_18TensorListMetadataILi2EEENS1_14UnaryOpFunctorIdLi2ELi1ELi1EEEJNS0_5RoundIdEEEEEvT_T0_DpT1_.uses_vcc, 1
	.set _ZN2at6native12_GLOBAL__N_125multi_tensor_apply_kernelINS1_18TensorListMetadataILi2EEENS1_14UnaryOpFunctorIdLi2ELi1ELi1EEEJNS0_5RoundIdEEEEEvT_T0_DpT1_.uses_flat_scratch, 0
	.set _ZN2at6native12_GLOBAL__N_125multi_tensor_apply_kernelINS1_18TensorListMetadataILi2EEENS1_14UnaryOpFunctorIdLi2ELi1ELi1EEEJNS0_5RoundIdEEEEEvT_T0_DpT1_.has_dyn_sized_stack, 0
	.set _ZN2at6native12_GLOBAL__N_125multi_tensor_apply_kernelINS1_18TensorListMetadataILi2EEENS1_14UnaryOpFunctorIdLi2ELi1ELi1EEEJNS0_5RoundIdEEEEEvT_T0_DpT1_.has_recursion, 0
	.set _ZN2at6native12_GLOBAL__N_125multi_tensor_apply_kernelINS1_18TensorListMetadataILi2EEENS1_14UnaryOpFunctorIdLi2ELi1ELi1EEEJNS0_5RoundIdEEEEEvT_T0_DpT1_.has_indirect_call, 0
	.section	.AMDGPU.csdata,"",@progbits
; Kernel info:
; codeLenInByte = 1076
; TotalNumSgprs: 22
; NumVgprs: 38
; ScratchSize: 0
; MemoryBound: 0
; FloatMode: 240
; IeeeMode: 1
; LDSByteSize: 0 bytes/workgroup (compile time only)
; SGPRBlocks: 0
; VGPRBlocks: 2
; NumSGPRsForWavesPerEU: 22
; NumVGPRsForWavesPerEU: 38
; NamedBarCnt: 0
; Occupancy: 16
; WaveLimiterHint : 0
; COMPUTE_PGM_RSRC2:SCRATCH_EN: 0
; COMPUTE_PGM_RSRC2:USER_SGPR: 2
; COMPUTE_PGM_RSRC2:TRAP_HANDLER: 0
; COMPUTE_PGM_RSRC2:TGID_X_EN: 1
; COMPUTE_PGM_RSRC2:TGID_Y_EN: 0
; COMPUTE_PGM_RSRC2:TGID_Z_EN: 0
; COMPUTE_PGM_RSRC2:TIDIG_COMP_CNT: 0
	.section	.text._ZN2at6native12_GLOBAL__N_125multi_tensor_apply_kernelINS1_18TensorListMetadataILi2EEENS1_14UnaryOpFunctorIfLi2ELi1ELi1EEEJNS0_5RoundIfEEEEEvT_T0_DpT1_,"axG",@progbits,_ZN2at6native12_GLOBAL__N_125multi_tensor_apply_kernelINS1_18TensorListMetadataILi2EEENS1_14UnaryOpFunctorIfLi2ELi1ELi1EEEJNS0_5RoundIfEEEEEvT_T0_DpT1_,comdat
	.globl	_ZN2at6native12_GLOBAL__N_125multi_tensor_apply_kernelINS1_18TensorListMetadataILi2EEENS1_14UnaryOpFunctorIfLi2ELi1ELi1EEEJNS0_5RoundIfEEEEEvT_T0_DpT1_ ; -- Begin function _ZN2at6native12_GLOBAL__N_125multi_tensor_apply_kernelINS1_18TensorListMetadataILi2EEENS1_14UnaryOpFunctorIfLi2ELi1ELi1EEEJNS0_5RoundIfEEEEEvT_T0_DpT1_
	.p2align	8
	.type	_ZN2at6native12_GLOBAL__N_125multi_tensor_apply_kernelINS1_18TensorListMetadataILi2EEENS1_14UnaryOpFunctorIfLi2ELi1ELi1EEEJNS0_5RoundIfEEEEEvT_T0_DpT1_,@function
_ZN2at6native12_GLOBAL__N_125multi_tensor_apply_kernelINS1_18TensorListMetadataILi2EEENS1_14UnaryOpFunctorIfLi2ELi1ELi1EEEJNS0_5RoundIfEEEEEvT_T0_DpT1_: ; @_ZN2at6native12_GLOBAL__N_125multi_tensor_apply_kernelINS1_18TensorListMetadataILi2EEENS1_14UnaryOpFunctorIfLi2ELi1ELi1EEEJNS0_5RoundIfEEEEEvT_T0_DpT1_
; %bb.0:
	s_bfe_u32 s2, ttmp6, 0x4000c
	s_and_b32 s3, ttmp6, 15
	s_add_co_i32 s2, s2, 1
	s_getreg_b32 s4, hwreg(HW_REG_IB_STS2, 6, 4)
	s_mul_i32 s2, ttmp9, s2
	s_mov_b32 s9, 0
	s_add_co_i32 s3, s3, s2
	s_cmp_eq_u32 s4, 0
	s_mov_b32 s15, s9
	s_cselect_b32 s8, ttmp9, s3
	s_load_u8 s11, s[0:1], s8 offset:0x600
	s_add_nc_u64 s[2:3], s[0:1], s[8:9]
	s_mul_u64 s[4:5], s[8:9], 3
	s_delay_alu instid0(SALU_CYCLE_1)
	s_add_nc_u64 s[4:5], s[2:3], s[4:5]
	s_load_b32 s10, s[4:5], 0x740
	s_wait_kmcnt 0x0
	s_clause 0x2
	s_load_b64 s[2:3], s[0:1], s11 offset:0x0 scale_offset
	s_load_b64 s[6:7], s[0:1], s11 offset:0x200 scale_offset
	;; [unrolled: 1-line block ×3, first 2 shown]
	s_wait_xcnt 0x0
	s_ashr_i32 s11, s10, 31
	s_delay_alu instid0(SALU_CYCLE_1)
	s_lshl_b64 s[4:5], s[10:11], 18
	s_wait_kmcnt 0x0
	s_and_b64 s[18:19], s[6:7], 15
	s_add_nc_u64 s[16:17], s[2:3], s[4:5]
	s_and_b32 s14, s12, 3
	s_and_b32 s8, s16, 15
	s_or_b64 s[14:15], s[18:19], s[14:15]
	s_lshl_b64 s[10:11], s[10:11], 16
	s_or_b64 s[14:15], s[14:15], s[8:9]
	s_sub_nc_u64 s[8:9], s[12:13], s[10:11]
	s_cmp_eq_u64 s[14:15], 0
	s_mov_b32 s10, -1
	s_cbranch_scc0 .LBB258_5
; %bb.1:
	v_min_i64 v[2:3], 0x10000, s[8:9]
	v_dual_mov_b32 v5, 0 :: v_dual_lshlrev_b32 v4, 2, v0
	s_mov_b32 s14, exec_lo
	s_delay_alu instid0(VALU_DEP_1)
	v_cmpx_lt_i64_e64 v[4:5], v[2:3]
	s_cbranch_execz .LBB258_4
; %bb.2:
	s_load_b32 s10, s[0:1], 0xc5c
	v_dual_mov_b32 v1, v5 :: v_dual_lshlrev_b32 v4, 4, v0
	s_mov_b32 s11, 0
	s_delay_alu instid0(SALU_CYCLE_1) | instskip(NEXT) | instid1(VALU_DEP_1)
	s_mov_b32 s13, s11
	v_add_nc_u64_e32 v[4:5], s[4:5], v[4:5]
	s_delay_alu instid0(VALU_DEP_2) | instskip(SKIP_3) | instid1(SALU_CYCLE_1)
	v_mov_b64_e32 v[6:7], v[0:1]
	s_mov_b32 s15, s11
	s_wait_kmcnt 0x0
	s_and_b32 s10, s10, 0xffff
	s_lshl_b32 s12, s10, 4
.LBB258_3:                              ; =>This Inner Loop Header: Depth=1
	s_delay_alu instid0(VALU_DEP_2) | instskip(NEXT) | instid1(VALU_DEP_2)
	v_add_nc_u64_e32 v[8:9], s[2:3], v[4:5]
	v_add_nc_u64_e32 v[6:7], s[10:11], v[6:7]
	;; [unrolled: 1-line block ×4, first 2 shown]
	global_load_b128 v[8:11], v[8:9], off
	v_lshlrev_b64_e32 v[12:13], 2, v[6:7]
	s_delay_alu instid0(VALU_DEP_1)
	v_cmp_ge_i64_e32 vcc_lo, v[12:13], v[2:3]
	s_or_b32 s15, vcc_lo, s15
	s_wait_loadcnt 0x0
	s_wait_xcnt 0x0
	v_rndne_f32_e32 v8, v8
	v_rndne_f32_e32 v9, v9
	;; [unrolled: 1-line block ×4, first 2 shown]
	global_store_b128 v[14:15], v[8:11], off
	s_wait_xcnt 0x0
	s_and_not1_b32 exec_lo, exec_lo, s15
	s_cbranch_execnz .LBB258_3
.LBB258_4:
	s_or_b32 exec_lo, exec_lo, s14
	s_mov_b32 s10, 0
.LBB258_5:
	s_delay_alu instid0(SALU_CYCLE_1)
	s_and_not1_b32 vcc_lo, exec_lo, s10
	s_cbranch_vccnz .LBB258_25
; %bb.6:
	v_cmp_lt_i64_e64 s10, s[8:9], 1
	s_and_b32 vcc_lo, exec_lo, s10
	s_cbranch_vccnz .LBB258_25
; %bb.7:
	s_load_b32 s0, s[0:1], 0xc5c
	v_min_i64 v[2:3], 0x10000, s[8:9]
	v_min_u64 v[4:5], 0x10000, s[8:9]
	v_dual_mov_b32 v1, 0 :: v_dual_lshlrev_b32 v10, 2, v0
	s_mov_b32 s9, 0
	s_delay_alu instid0(SALU_CYCLE_1) | instskip(NEXT) | instid1(VALU_DEP_1)
	s_mov_b32 s13, s9
	v_dual_mov_b32 v11, v1 :: v_dual_mov_b32 v27, v1
	s_wait_xcnt 0x0
	s_mov_b32 s1, s9
	s_mov_b32 s11, s9
	s_delay_alu instid0(VALU_DEP_1) | instskip(SKIP_2) | instid1(SALU_CYCLE_1)
	v_add_nc_u64_e32 v[6:7], s[2:3], v[10:11]
	s_wait_kmcnt 0x0
	s_and_b32 s8, s0, 0xffff
	v_add_nc_u64_e32 v[8:9], s[8:9], v[0:1]
	v_mad_nc_u64_u32 v[22:23], s8, 12, v[10:11]
	s_lshl_b32 s12, s8, 3
	s_mul_i32 s10, s8, 3
	v_add_nc_u64_e32 v[18:19], s[12:13], v[10:11]
	s_lshl_b32 s0, s8, 1
	v_add_nc_u64_e32 v[10:11], s[6:7], v[10:11]
	v_lshlrev_b32_e32 v26, 2, v8
	v_add_nc_u64_e32 v[12:13], s[10:11], v[0:1]
	v_add_nc_u64_e32 v[14:15], s[0:1], v[0:1]
	s_mov_b64 s[10:11], 0
	v_add_nc_u64_e32 v[16:17], s[2:3], v[18:19]
	v_add_nc_u64_e32 v[18:19], s[6:7], v[18:19]
	;; [unrolled: 1-line block ×6, first 2 shown]
	s_lshl_b32 s6, s8, 2
	s_mov_b32 s7, s9
	s_lshl_b32 s8, s8, 4
	s_branch .LBB258_9
.LBB258_8:                              ;   in Loop: Header=BB258_9 Depth=1
	s_wait_xcnt 0x0
	s_or_b32 exec_lo, exec_lo, s0
	s_add_nc_u64 s[10:11], s[10:11], s[6:7]
	v_add_nc_u64_e32 v[6:7], s[8:9], v[6:7]
	v_cmp_ge_i64_e32 vcc_lo, s[10:11], v[2:3]
	v_add_nc_u64_e32 v[10:11], s[8:9], v[10:11]
	v_add_nc_u64_e32 v[20:21], s[8:9], v[20:21]
	;; [unrolled: 1-line block ×7, first 2 shown]
	s_cbranch_vccnz .LBB258_25
.LBB258_9:                              ; =>This Inner Loop Header: Depth=1
	v_add_nc_u64_e32 v[28:29], s[10:11], v[0:1]
	s_delay_alu instid0(VALU_DEP_1)
	v_cmp_lt_u64_e32 vcc_lo, v[28:29], v[4:5]
	v_mov_b32_e32 v29, 0
	s_and_saveexec_b32 s0, vcc_lo
	s_cbranch_execz .LBB258_11
; %bb.10:                               ;   in Loop: Header=BB258_9 Depth=1
	v_add_nc_u64_e32 v[28:29], s[4:5], v[6:7]
	global_load_b32 v28, v[28:29], off
	s_wait_loadcnt 0x0
	v_rndne_f32_e32 v29, v28
.LBB258_11:                             ;   in Loop: Header=BB258_9 Depth=1
	s_or_b32 exec_lo, exec_lo, s0
	v_add_nc_u64_e32 v[30:31], s[10:11], v[8:9]
	v_mov_b32_e32 v28, 0
	s_delay_alu instid0(VALU_DEP_2)
	v_cmp_lt_u64_e64 s0, v[30:31], v[4:5]
	v_mov_b32_e32 v30, 0
	s_and_saveexec_b32 s1, s0
	s_cbranch_execz .LBB258_13
; %bb.12:                               ;   in Loop: Header=BB258_9 Depth=1
	v_add_nc_u64_e32 v[30:31], s[4:5], v[24:25]
	global_load_b32 v30, v[30:31], off
	s_wait_loadcnt 0x0
	v_rndne_f32_e32 v30, v30
.LBB258_13:                             ;   in Loop: Header=BB258_9 Depth=1
	s_or_b32 exec_lo, exec_lo, s1
	v_add_nc_u64_e32 v[32:33], s[10:11], v[14:15]
	s_delay_alu instid0(VALU_DEP_1)
	v_cmp_lt_u64_e64 s1, v[32:33], v[4:5]
	s_and_saveexec_b32 s2, s1
	s_cbranch_execz .LBB258_15
; %bb.14:                               ;   in Loop: Header=BB258_9 Depth=1
	v_add_nc_u64_e32 v[32:33], s[4:5], v[16:17]
	global_load_b32 v28, v[32:33], off
	s_wait_loadcnt 0x0
	v_rndne_f32_e32 v28, v28
.LBB258_15:                             ;   in Loop: Header=BB258_9 Depth=1
	s_wait_xcnt 0x0
	s_or_b32 exec_lo, exec_lo, s2
	v_add_nc_u64_e32 v[32:33], s[10:11], v[12:13]
	v_mov_b32_e32 v31, 0
	s_delay_alu instid0(VALU_DEP_2)
	v_cmp_lt_u64_e64 s2, v[32:33], v[4:5]
	s_and_saveexec_b32 s3, s2
	s_cbranch_execnz .LBB258_20
; %bb.16:                               ;   in Loop: Header=BB258_9 Depth=1
	s_or_b32 exec_lo, exec_lo, s3
	s_and_saveexec_b32 s3, vcc_lo
	s_cbranch_execnz .LBB258_21
.LBB258_17:                             ;   in Loop: Header=BB258_9 Depth=1
	s_or_b32 exec_lo, exec_lo, s3
	s_and_saveexec_b32 s3, s0
	s_cbranch_execnz .LBB258_22
.LBB258_18:                             ;   in Loop: Header=BB258_9 Depth=1
	s_or_b32 exec_lo, exec_lo, s3
	s_and_saveexec_b32 s0, s1
	s_cbranch_execnz .LBB258_23
.LBB258_19:                             ;   in Loop: Header=BB258_9 Depth=1
	s_or_b32 exec_lo, exec_lo, s0
	s_and_saveexec_b32 s0, s2
	s_cbranch_execz .LBB258_8
	s_branch .LBB258_24
.LBB258_20:                             ;   in Loop: Header=BB258_9 Depth=1
	v_add_nc_u64_e32 v[32:33], s[4:5], v[20:21]
	global_load_b32 v31, v[32:33], off
	s_wait_loadcnt 0x0
	v_rndne_f32_e32 v31, v31
	s_wait_xcnt 0x0
	s_or_b32 exec_lo, exec_lo, s3
	s_and_saveexec_b32 s3, vcc_lo
	s_cbranch_execz .LBB258_17
.LBB258_21:                             ;   in Loop: Header=BB258_9 Depth=1
	v_add_nc_u64_e32 v[32:33], s[4:5], v[10:11]
	global_store_b32 v[32:33], v29, off
	s_wait_xcnt 0x0
	s_or_b32 exec_lo, exec_lo, s3
	s_and_saveexec_b32 s3, s0
	s_cbranch_execz .LBB258_18
.LBB258_22:                             ;   in Loop: Header=BB258_9 Depth=1
	v_add_nc_u64_e32 v[32:33], s[4:5], v[26:27]
	global_store_b32 v[32:33], v30, off
	s_wait_xcnt 0x0
	s_or_b32 exec_lo, exec_lo, s3
	s_and_saveexec_b32 s0, s1
	s_cbranch_execz .LBB258_19
.LBB258_23:                             ;   in Loop: Header=BB258_9 Depth=1
	v_add_nc_u64_e32 v[32:33], s[4:5], v[18:19]
	global_store_b32 v[32:33], v28, off
	s_wait_xcnt 0x0
	s_or_b32 exec_lo, exec_lo, s0
	s_and_saveexec_b32 s0, s2
	s_cbranch_execz .LBB258_8
.LBB258_24:                             ;   in Loop: Header=BB258_9 Depth=1
	v_add_nc_u64_e32 v[28:29], s[4:5], v[22:23]
	global_store_b32 v[28:29], v31, off
	s_branch .LBB258_8
.LBB258_25:
	s_endpgm
	.section	.rodata,"a",@progbits
	.p2align	6, 0x0
	.amdhsa_kernel _ZN2at6native12_GLOBAL__N_125multi_tensor_apply_kernelINS1_18TensorListMetadataILi2EEENS1_14UnaryOpFunctorIfLi2ELi1ELi1EEEJNS0_5RoundIfEEEEEvT_T0_DpT1_
		.amdhsa_group_segment_fixed_size 0
		.amdhsa_private_segment_fixed_size 0
		.amdhsa_kernarg_size 3408
		.amdhsa_user_sgpr_count 2
		.amdhsa_user_sgpr_dispatch_ptr 0
		.amdhsa_user_sgpr_queue_ptr 0
		.amdhsa_user_sgpr_kernarg_segment_ptr 1
		.amdhsa_user_sgpr_dispatch_id 0
		.amdhsa_user_sgpr_kernarg_preload_length 0
		.amdhsa_user_sgpr_kernarg_preload_offset 0
		.amdhsa_user_sgpr_private_segment_size 0
		.amdhsa_wavefront_size32 1
		.amdhsa_uses_dynamic_stack 0
		.amdhsa_enable_private_segment 0
		.amdhsa_system_sgpr_workgroup_id_x 1
		.amdhsa_system_sgpr_workgroup_id_y 0
		.amdhsa_system_sgpr_workgroup_id_z 0
		.amdhsa_system_sgpr_workgroup_info 0
		.amdhsa_system_vgpr_workitem_id 0
		.amdhsa_next_free_vgpr 34
		.amdhsa_next_free_sgpr 20
		.amdhsa_named_barrier_count 0
		.amdhsa_reserve_vcc 1
		.amdhsa_float_round_mode_32 0
		.amdhsa_float_round_mode_16_64 0
		.amdhsa_float_denorm_mode_32 3
		.amdhsa_float_denorm_mode_16_64 3
		.amdhsa_fp16_overflow 0
		.amdhsa_memory_ordered 1
		.amdhsa_forward_progress 1
		.amdhsa_inst_pref_size 9
		.amdhsa_round_robin_scheduling 0
		.amdhsa_exception_fp_ieee_invalid_op 0
		.amdhsa_exception_fp_denorm_src 0
		.amdhsa_exception_fp_ieee_div_zero 0
		.amdhsa_exception_fp_ieee_overflow 0
		.amdhsa_exception_fp_ieee_underflow 0
		.amdhsa_exception_fp_ieee_inexact 0
		.amdhsa_exception_int_div_zero 0
	.end_amdhsa_kernel
	.section	.text._ZN2at6native12_GLOBAL__N_125multi_tensor_apply_kernelINS1_18TensorListMetadataILi2EEENS1_14UnaryOpFunctorIfLi2ELi1ELi1EEEJNS0_5RoundIfEEEEEvT_T0_DpT1_,"axG",@progbits,_ZN2at6native12_GLOBAL__N_125multi_tensor_apply_kernelINS1_18TensorListMetadataILi2EEENS1_14UnaryOpFunctorIfLi2ELi1ELi1EEEJNS0_5RoundIfEEEEEvT_T0_DpT1_,comdat
.Lfunc_end258:
	.size	_ZN2at6native12_GLOBAL__N_125multi_tensor_apply_kernelINS1_18TensorListMetadataILi2EEENS1_14UnaryOpFunctorIfLi2ELi1ELi1EEEJNS0_5RoundIfEEEEEvT_T0_DpT1_, .Lfunc_end258-_ZN2at6native12_GLOBAL__N_125multi_tensor_apply_kernelINS1_18TensorListMetadataILi2EEENS1_14UnaryOpFunctorIfLi2ELi1ELi1EEEJNS0_5RoundIfEEEEEvT_T0_DpT1_
                                        ; -- End function
	.set _ZN2at6native12_GLOBAL__N_125multi_tensor_apply_kernelINS1_18TensorListMetadataILi2EEENS1_14UnaryOpFunctorIfLi2ELi1ELi1EEEJNS0_5RoundIfEEEEEvT_T0_DpT1_.num_vgpr, 34
	.set _ZN2at6native12_GLOBAL__N_125multi_tensor_apply_kernelINS1_18TensorListMetadataILi2EEENS1_14UnaryOpFunctorIfLi2ELi1ELi1EEEJNS0_5RoundIfEEEEEvT_T0_DpT1_.num_agpr, 0
	.set _ZN2at6native12_GLOBAL__N_125multi_tensor_apply_kernelINS1_18TensorListMetadataILi2EEENS1_14UnaryOpFunctorIfLi2ELi1ELi1EEEJNS0_5RoundIfEEEEEvT_T0_DpT1_.numbered_sgpr, 20
	.set _ZN2at6native12_GLOBAL__N_125multi_tensor_apply_kernelINS1_18TensorListMetadataILi2EEENS1_14UnaryOpFunctorIfLi2ELi1ELi1EEEJNS0_5RoundIfEEEEEvT_T0_DpT1_.num_named_barrier, 0
	.set _ZN2at6native12_GLOBAL__N_125multi_tensor_apply_kernelINS1_18TensorListMetadataILi2EEENS1_14UnaryOpFunctorIfLi2ELi1ELi1EEEJNS0_5RoundIfEEEEEvT_T0_DpT1_.private_seg_size, 0
	.set _ZN2at6native12_GLOBAL__N_125multi_tensor_apply_kernelINS1_18TensorListMetadataILi2EEENS1_14UnaryOpFunctorIfLi2ELi1ELi1EEEJNS0_5RoundIfEEEEEvT_T0_DpT1_.uses_vcc, 1
	.set _ZN2at6native12_GLOBAL__N_125multi_tensor_apply_kernelINS1_18TensorListMetadataILi2EEENS1_14UnaryOpFunctorIfLi2ELi1ELi1EEEJNS0_5RoundIfEEEEEvT_T0_DpT1_.uses_flat_scratch, 0
	.set _ZN2at6native12_GLOBAL__N_125multi_tensor_apply_kernelINS1_18TensorListMetadataILi2EEENS1_14UnaryOpFunctorIfLi2ELi1ELi1EEEJNS0_5RoundIfEEEEEvT_T0_DpT1_.has_dyn_sized_stack, 0
	.set _ZN2at6native12_GLOBAL__N_125multi_tensor_apply_kernelINS1_18TensorListMetadataILi2EEENS1_14UnaryOpFunctorIfLi2ELi1ELi1EEEJNS0_5RoundIfEEEEEvT_T0_DpT1_.has_recursion, 0
	.set _ZN2at6native12_GLOBAL__N_125multi_tensor_apply_kernelINS1_18TensorListMetadataILi2EEENS1_14UnaryOpFunctorIfLi2ELi1ELi1EEEJNS0_5RoundIfEEEEEvT_T0_DpT1_.has_indirect_call, 0
	.section	.AMDGPU.csdata,"",@progbits
; Kernel info:
; codeLenInByte = 1048
; TotalNumSgprs: 22
; NumVgprs: 34
; ScratchSize: 0
; MemoryBound: 0
; FloatMode: 240
; IeeeMode: 1
; LDSByteSize: 0 bytes/workgroup (compile time only)
; SGPRBlocks: 0
; VGPRBlocks: 2
; NumSGPRsForWavesPerEU: 22
; NumVGPRsForWavesPerEU: 34
; NamedBarCnt: 0
; Occupancy: 16
; WaveLimiterHint : 0
; COMPUTE_PGM_RSRC2:SCRATCH_EN: 0
; COMPUTE_PGM_RSRC2:USER_SGPR: 2
; COMPUTE_PGM_RSRC2:TRAP_HANDLER: 0
; COMPUTE_PGM_RSRC2:TGID_X_EN: 1
; COMPUTE_PGM_RSRC2:TGID_Y_EN: 0
; COMPUTE_PGM_RSRC2:TGID_Z_EN: 0
; COMPUTE_PGM_RSRC2:TIDIG_COMP_CNT: 0
	.section	.text._ZN2at6native12_GLOBAL__N_125multi_tensor_apply_kernelINS1_18TensorListMetadataILi2EEENS1_14UnaryOpFunctorIN3c104HalfELi2ELi1ELi1EEEJNS0_5RoundIfEEEEEvT_T0_DpT1_,"axG",@progbits,_ZN2at6native12_GLOBAL__N_125multi_tensor_apply_kernelINS1_18TensorListMetadataILi2EEENS1_14UnaryOpFunctorIN3c104HalfELi2ELi1ELi1EEEJNS0_5RoundIfEEEEEvT_T0_DpT1_,comdat
	.globl	_ZN2at6native12_GLOBAL__N_125multi_tensor_apply_kernelINS1_18TensorListMetadataILi2EEENS1_14UnaryOpFunctorIN3c104HalfELi2ELi1ELi1EEEJNS0_5RoundIfEEEEEvT_T0_DpT1_ ; -- Begin function _ZN2at6native12_GLOBAL__N_125multi_tensor_apply_kernelINS1_18TensorListMetadataILi2EEENS1_14UnaryOpFunctorIN3c104HalfELi2ELi1ELi1EEEJNS0_5RoundIfEEEEEvT_T0_DpT1_
	.p2align	8
	.type	_ZN2at6native12_GLOBAL__N_125multi_tensor_apply_kernelINS1_18TensorListMetadataILi2EEENS1_14UnaryOpFunctorIN3c104HalfELi2ELi1ELi1EEEJNS0_5RoundIfEEEEEvT_T0_DpT1_,@function
_ZN2at6native12_GLOBAL__N_125multi_tensor_apply_kernelINS1_18TensorListMetadataILi2EEENS1_14UnaryOpFunctorIN3c104HalfELi2ELi1ELi1EEEJNS0_5RoundIfEEEEEvT_T0_DpT1_: ; @_ZN2at6native12_GLOBAL__N_125multi_tensor_apply_kernelINS1_18TensorListMetadataILi2EEENS1_14UnaryOpFunctorIN3c104HalfELi2ELi1ELi1EEEJNS0_5RoundIfEEEEEvT_T0_DpT1_
; %bb.0:
	s_bfe_u32 s2, ttmp6, 0x4000c
	s_and_b32 s3, ttmp6, 15
	s_add_co_i32 s2, s2, 1
	s_getreg_b32 s4, hwreg(HW_REG_IB_STS2, 6, 4)
	s_mul_i32 s2, ttmp9, s2
	s_mov_b32 s7, 0
	s_add_co_i32 s3, s3, s2
	s_cmp_eq_u32 s4, 0
	s_mov_b32 s15, s7
	s_cselect_b32 s6, ttmp9, s3
	s_load_u8 s11, s[0:1], s6 offset:0x600
	s_add_nc_u64 s[2:3], s[0:1], s[6:7]
	s_mul_u64 s[4:5], s[6:7], 3
	s_delay_alu instid0(SALU_CYCLE_1)
	s_add_nc_u64 s[4:5], s[2:3], s[4:5]
	s_load_b32 s10, s[4:5], 0x740
	s_wait_kmcnt 0x0
	s_clause 0x2
	s_load_b64 s[2:3], s[0:1], s11 offset:0x0 scale_offset
	s_load_b64 s[8:9], s[0:1], s11 offset:0x200 scale_offset
	;; [unrolled: 1-line block ×3, first 2 shown]
	s_wait_xcnt 0x0
	s_ashr_i32 s11, s10, 31
	s_delay_alu instid0(SALU_CYCLE_1)
	s_lshl_b64 s[4:5], s[10:11], 17
	s_wait_kmcnt 0x0
	s_and_b64 s[18:19], s[8:9], 7
	s_add_nc_u64 s[16:17], s[2:3], s[4:5]
	s_and_b32 s14, s12, 3
	s_and_b32 s6, s16, 7
	s_or_b64 s[14:15], s[18:19], s[14:15]
	s_lshl_b64 s[10:11], s[10:11], 16
	s_or_b64 s[14:15], s[14:15], s[6:7]
	s_sub_nc_u64 s[6:7], s[12:13], s[10:11]
	s_cmp_eq_u64 s[14:15], 0
	s_mov_b32 s10, -1
	s_cbranch_scc0 .LBB259_5
; %bb.1:
	v_min_i64 v[2:3], 0x10000, s[6:7]
	v_dual_mov_b32 v5, 0 :: v_dual_lshlrev_b32 v4, 2, v0
	s_mov_b32 s14, exec_lo
	s_delay_alu instid0(VALU_DEP_1)
	v_cmpx_lt_i64_e64 v[4:5], v[2:3]
	s_cbranch_execz .LBB259_4
; %bb.2:
	s_load_b32 s10, s[0:1], 0xc5c
	v_dual_mov_b32 v1, v5 :: v_dual_lshlrev_b32 v4, 3, v0
	s_mov_b32 s11, 0
	s_delay_alu instid0(SALU_CYCLE_1) | instskip(NEXT) | instid1(VALU_DEP_1)
	s_mov_b32 s13, s11
	v_add_nc_u64_e32 v[4:5], s[4:5], v[4:5]
	s_delay_alu instid0(VALU_DEP_2) | instskip(SKIP_3) | instid1(SALU_CYCLE_1)
	v_mov_b64_e32 v[6:7], v[0:1]
	s_mov_b32 s15, s11
	s_wait_kmcnt 0x0
	s_and_b32 s10, s10, 0xffff
	s_lshl_b32 s12, s10, 3
.LBB259_3:                              ; =>This Inner Loop Header: Depth=1
	s_delay_alu instid0(VALU_DEP_2) | instskip(NEXT) | instid1(VALU_DEP_2)
	v_add_nc_u64_e32 v[8:9], s[2:3], v[4:5]
	v_add_nc_u64_e32 v[6:7], s[10:11], v[6:7]
	global_load_b64 v[8:9], v[8:9], off
	v_lshlrev_b64_e32 v[10:11], 2, v[6:7]
	s_delay_alu instid0(VALU_DEP_1)
	v_cmp_ge_i64_e32 vcc_lo, v[10:11], v[2:3]
	s_or_b32 s15, vcc_lo, s15
	s_wait_loadcnt 0x0
	v_dual_lshrrev_b32 v1, 16, v9 :: v_dual_lshrrev_b32 v12, 16, v8
	v_rndne_f16_e32 v13, v8
	v_rndne_f16_e32 v14, v9
	s_wait_xcnt 0x0
	v_add_nc_u64_e32 v[8:9], s[8:9], v[4:5]
	v_rndne_f16_e32 v1, v1
	v_rndne_f16_e32 v12, v12
	v_add_nc_u64_e32 v[4:5], s[12:13], v[4:5]
	s_delay_alu instid0(VALU_DEP_3) | instskip(NEXT) | instid1(VALU_DEP_3)
	v_pack_b32_f16 v11, v14, v1
	v_pack_b32_f16 v10, v13, v12
	global_store_b64 v[8:9], v[10:11], off
	s_wait_xcnt 0x0
	s_and_not1_b32 exec_lo, exec_lo, s15
	s_cbranch_execnz .LBB259_3
.LBB259_4:
	s_or_b32 exec_lo, exec_lo, s14
	s_mov_b32 s10, 0
.LBB259_5:
	s_delay_alu instid0(SALU_CYCLE_1)
	s_and_not1_b32 vcc_lo, exec_lo, s10
	s_cbranch_vccnz .LBB259_25
; %bb.6:
	v_cmp_lt_i64_e64 s10, s[6:7], 1
	s_and_b32 vcc_lo, exec_lo, s10
	s_cbranch_vccnz .LBB259_25
; %bb.7:
	s_load_b32 s0, s[0:1], 0xc5c
	v_min_i64 v[2:3], 0x10000, s[6:7]
	v_min_u64 v[4:5], 0x10000, s[6:7]
	v_dual_mov_b32 v1, 0 :: v_dual_lshlrev_b32 v10, 1, v0
	s_wait_xcnt 0x0
	s_mov_b32 s1, 0
	s_delay_alu instid0(SALU_CYCLE_1) | instskip(NEXT) | instid1(VALU_DEP_1)
	s_mov_b32 s7, s1
	v_dual_mov_b32 v11, v1 :: v_dual_mov_b32 v27, v1
	s_mov_b32 s11, s1
	s_mov_b32 s13, s1
	s_delay_alu instid0(VALU_DEP_1) | instskip(SKIP_2) | instid1(SALU_CYCLE_1)
	v_add_nc_u64_e32 v[6:7], s[2:3], v[10:11]
	s_wait_kmcnt 0x0
	s_and_b32 s0, s0, 0xffff
	v_add_nc_u64_e32 v[8:9], s[0:1], v[0:1]
	v_mad_nc_u64_u32 v[22:23], s0, 6, v[10:11]
	s_lshl_b32 s6, s0, 2
	s_mul_i32 s12, s0, 3
	v_add_nc_u64_e32 v[18:19], s[6:7], v[10:11]
	s_lshl_b32 s10, s0, 1
	v_add_nc_u64_e32 v[10:11], s[8:9], v[10:11]
	v_lshlrev_b32_e32 v26, 1, v8
	v_add_nc_u64_e32 v[12:13], s[12:13], v[0:1]
	v_add_nc_u64_e32 v[14:15], s[10:11], v[0:1]
	s_mov_b64 s[10:11], 0
	v_add_nc_u64_e32 v[16:17], s[2:3], v[18:19]
	v_add_nc_u64_e32 v[18:19], s[8:9], v[18:19]
	;; [unrolled: 1-line block ×6, first 2 shown]
	s_lshl_b32 s8, s0, 3
	s_mov_b32 s9, s1
	s_branch .LBB259_9
.LBB259_8:                              ;   in Loop: Header=BB259_9 Depth=1
	s_wait_xcnt 0x0
	s_or_b32 exec_lo, exec_lo, s0
	s_add_nc_u64 s[10:11], s[10:11], s[6:7]
	v_add_nc_u64_e32 v[6:7], s[8:9], v[6:7]
	v_cmp_ge_i64_e32 vcc_lo, s[10:11], v[2:3]
	v_add_nc_u64_e32 v[10:11], s[8:9], v[10:11]
	v_add_nc_u64_e32 v[20:21], s[8:9], v[20:21]
	;; [unrolled: 1-line block ×7, first 2 shown]
	s_cbranch_vccnz .LBB259_25
.LBB259_9:                              ; =>This Inner Loop Header: Depth=1
	v_add_nc_u64_e32 v[28:29], s[10:11], v[0:1]
	s_delay_alu instid0(VALU_DEP_1)
	v_cmp_lt_u64_e32 vcc_lo, v[28:29], v[4:5]
	v_mov_b32_e32 v29, 0
	s_and_saveexec_b32 s0, vcc_lo
	s_cbranch_execz .LBB259_11
; %bb.10:                               ;   in Loop: Header=BB259_9 Depth=1
	v_add_nc_u64_e32 v[28:29], s[4:5], v[6:7]
	global_load_u16 v28, v[28:29], off
	s_wait_loadcnt 0x0
	v_rndne_f16_e32 v29, v28
.LBB259_11:                             ;   in Loop: Header=BB259_9 Depth=1
	s_or_b32 exec_lo, exec_lo, s0
	v_add_nc_u64_e32 v[30:31], s[10:11], v[8:9]
	v_mov_b32_e32 v28, 0
	s_delay_alu instid0(VALU_DEP_2)
	v_cmp_lt_u64_e64 s0, v[30:31], v[4:5]
	v_mov_b32_e32 v30, 0
	s_and_saveexec_b32 s1, s0
	s_cbranch_execz .LBB259_13
; %bb.12:                               ;   in Loop: Header=BB259_9 Depth=1
	v_add_nc_u64_e32 v[30:31], s[4:5], v[24:25]
	global_load_u16 v30, v[30:31], off
	s_wait_loadcnt 0x0
	v_rndne_f16_e32 v30, v30
.LBB259_13:                             ;   in Loop: Header=BB259_9 Depth=1
	s_or_b32 exec_lo, exec_lo, s1
	v_add_nc_u64_e32 v[32:33], s[10:11], v[14:15]
	s_delay_alu instid0(VALU_DEP_1)
	v_cmp_lt_u64_e64 s1, v[32:33], v[4:5]
	s_and_saveexec_b32 s2, s1
	s_cbranch_execz .LBB259_15
; %bb.14:                               ;   in Loop: Header=BB259_9 Depth=1
	v_add_nc_u64_e32 v[32:33], s[4:5], v[16:17]
	global_load_u16 v28, v[32:33], off
	s_wait_loadcnt 0x0
	v_rndne_f16_e32 v28, v28
.LBB259_15:                             ;   in Loop: Header=BB259_9 Depth=1
	s_wait_xcnt 0x0
	s_or_b32 exec_lo, exec_lo, s2
	v_add_nc_u64_e32 v[32:33], s[10:11], v[12:13]
	v_mov_b32_e32 v31, 0
	s_delay_alu instid0(VALU_DEP_2)
	v_cmp_lt_u64_e64 s2, v[32:33], v[4:5]
	s_and_saveexec_b32 s3, s2
	s_cbranch_execnz .LBB259_20
; %bb.16:                               ;   in Loop: Header=BB259_9 Depth=1
	s_or_b32 exec_lo, exec_lo, s3
	s_and_saveexec_b32 s3, vcc_lo
	s_cbranch_execnz .LBB259_21
.LBB259_17:                             ;   in Loop: Header=BB259_9 Depth=1
	s_or_b32 exec_lo, exec_lo, s3
	s_and_saveexec_b32 s3, s0
	s_cbranch_execnz .LBB259_22
.LBB259_18:                             ;   in Loop: Header=BB259_9 Depth=1
	s_or_b32 exec_lo, exec_lo, s3
	s_and_saveexec_b32 s0, s1
	s_cbranch_execnz .LBB259_23
.LBB259_19:                             ;   in Loop: Header=BB259_9 Depth=1
	s_or_b32 exec_lo, exec_lo, s0
	s_and_saveexec_b32 s0, s2
	s_cbranch_execz .LBB259_8
	s_branch .LBB259_24
.LBB259_20:                             ;   in Loop: Header=BB259_9 Depth=1
	v_add_nc_u64_e32 v[32:33], s[4:5], v[20:21]
	global_load_u16 v31, v[32:33], off
	s_wait_loadcnt 0x0
	v_rndne_f16_e32 v31, v31
	s_wait_xcnt 0x0
	s_or_b32 exec_lo, exec_lo, s3
	s_and_saveexec_b32 s3, vcc_lo
	s_cbranch_execz .LBB259_17
.LBB259_21:                             ;   in Loop: Header=BB259_9 Depth=1
	v_add_nc_u64_e32 v[32:33], s[4:5], v[10:11]
	global_store_b16 v[32:33], v29, off
	s_wait_xcnt 0x0
	s_or_b32 exec_lo, exec_lo, s3
	s_and_saveexec_b32 s3, s0
	s_cbranch_execz .LBB259_18
.LBB259_22:                             ;   in Loop: Header=BB259_9 Depth=1
	v_add_nc_u64_e32 v[32:33], s[4:5], v[26:27]
	global_store_b16 v[32:33], v30, off
	s_wait_xcnt 0x0
	s_or_b32 exec_lo, exec_lo, s3
	s_and_saveexec_b32 s0, s1
	s_cbranch_execz .LBB259_19
.LBB259_23:                             ;   in Loop: Header=BB259_9 Depth=1
	v_add_nc_u64_e32 v[32:33], s[4:5], v[18:19]
	global_store_b16 v[32:33], v28, off
	s_wait_xcnt 0x0
	s_or_b32 exec_lo, exec_lo, s0
	s_and_saveexec_b32 s0, s2
	s_cbranch_execz .LBB259_8
.LBB259_24:                             ;   in Loop: Header=BB259_9 Depth=1
	v_add_nc_u64_e32 v[28:29], s[4:5], v[22:23]
	global_store_b16 v[28:29], v31, off
	s_branch .LBB259_8
.LBB259_25:
	s_endpgm
	.section	.rodata,"a",@progbits
	.p2align	6, 0x0
	.amdhsa_kernel _ZN2at6native12_GLOBAL__N_125multi_tensor_apply_kernelINS1_18TensorListMetadataILi2EEENS1_14UnaryOpFunctorIN3c104HalfELi2ELi1ELi1EEEJNS0_5RoundIfEEEEEvT_T0_DpT1_
		.amdhsa_group_segment_fixed_size 0
		.amdhsa_private_segment_fixed_size 0
		.amdhsa_kernarg_size 3408
		.amdhsa_user_sgpr_count 2
		.amdhsa_user_sgpr_dispatch_ptr 0
		.amdhsa_user_sgpr_queue_ptr 0
		.amdhsa_user_sgpr_kernarg_segment_ptr 1
		.amdhsa_user_sgpr_dispatch_id 0
		.amdhsa_user_sgpr_kernarg_preload_length 0
		.amdhsa_user_sgpr_kernarg_preload_offset 0
		.amdhsa_user_sgpr_private_segment_size 0
		.amdhsa_wavefront_size32 1
		.amdhsa_uses_dynamic_stack 0
		.amdhsa_enable_private_segment 0
		.amdhsa_system_sgpr_workgroup_id_x 1
		.amdhsa_system_sgpr_workgroup_id_y 0
		.amdhsa_system_sgpr_workgroup_id_z 0
		.amdhsa_system_sgpr_workgroup_info 0
		.amdhsa_system_vgpr_workitem_id 0
		.amdhsa_next_free_vgpr 34
		.amdhsa_next_free_sgpr 20
		.amdhsa_named_barrier_count 0
		.amdhsa_reserve_vcc 1
		.amdhsa_float_round_mode_32 0
		.amdhsa_float_round_mode_16_64 0
		.amdhsa_float_denorm_mode_32 3
		.amdhsa_float_denorm_mode_16_64 3
		.amdhsa_fp16_overflow 0
		.amdhsa_memory_ordered 1
		.amdhsa_forward_progress 1
		.amdhsa_inst_pref_size 9
		.amdhsa_round_robin_scheduling 0
		.amdhsa_exception_fp_ieee_invalid_op 0
		.amdhsa_exception_fp_denorm_src 0
		.amdhsa_exception_fp_ieee_div_zero 0
		.amdhsa_exception_fp_ieee_overflow 0
		.amdhsa_exception_fp_ieee_underflow 0
		.amdhsa_exception_fp_ieee_inexact 0
		.amdhsa_exception_int_div_zero 0
	.end_amdhsa_kernel
	.section	.text._ZN2at6native12_GLOBAL__N_125multi_tensor_apply_kernelINS1_18TensorListMetadataILi2EEENS1_14UnaryOpFunctorIN3c104HalfELi2ELi1ELi1EEEJNS0_5RoundIfEEEEEvT_T0_DpT1_,"axG",@progbits,_ZN2at6native12_GLOBAL__N_125multi_tensor_apply_kernelINS1_18TensorListMetadataILi2EEENS1_14UnaryOpFunctorIN3c104HalfELi2ELi1ELi1EEEJNS0_5RoundIfEEEEEvT_T0_DpT1_,comdat
.Lfunc_end259:
	.size	_ZN2at6native12_GLOBAL__N_125multi_tensor_apply_kernelINS1_18TensorListMetadataILi2EEENS1_14UnaryOpFunctorIN3c104HalfELi2ELi1ELi1EEEJNS0_5RoundIfEEEEEvT_T0_DpT1_, .Lfunc_end259-_ZN2at6native12_GLOBAL__N_125multi_tensor_apply_kernelINS1_18TensorListMetadataILi2EEENS1_14UnaryOpFunctorIN3c104HalfELi2ELi1ELi1EEEJNS0_5RoundIfEEEEEvT_T0_DpT1_
                                        ; -- End function
	.set _ZN2at6native12_GLOBAL__N_125multi_tensor_apply_kernelINS1_18TensorListMetadataILi2EEENS1_14UnaryOpFunctorIN3c104HalfELi2ELi1ELi1EEEJNS0_5RoundIfEEEEEvT_T0_DpT1_.num_vgpr, 34
	.set _ZN2at6native12_GLOBAL__N_125multi_tensor_apply_kernelINS1_18TensorListMetadataILi2EEENS1_14UnaryOpFunctorIN3c104HalfELi2ELi1ELi1EEEJNS0_5RoundIfEEEEEvT_T0_DpT1_.num_agpr, 0
	.set _ZN2at6native12_GLOBAL__N_125multi_tensor_apply_kernelINS1_18TensorListMetadataILi2EEENS1_14UnaryOpFunctorIN3c104HalfELi2ELi1ELi1EEEJNS0_5RoundIfEEEEEvT_T0_DpT1_.numbered_sgpr, 20
	.set _ZN2at6native12_GLOBAL__N_125multi_tensor_apply_kernelINS1_18TensorListMetadataILi2EEENS1_14UnaryOpFunctorIN3c104HalfELi2ELi1ELi1EEEJNS0_5RoundIfEEEEEvT_T0_DpT1_.num_named_barrier, 0
	.set _ZN2at6native12_GLOBAL__N_125multi_tensor_apply_kernelINS1_18TensorListMetadataILi2EEENS1_14UnaryOpFunctorIN3c104HalfELi2ELi1ELi1EEEJNS0_5RoundIfEEEEEvT_T0_DpT1_.private_seg_size, 0
	.set _ZN2at6native12_GLOBAL__N_125multi_tensor_apply_kernelINS1_18TensorListMetadataILi2EEENS1_14UnaryOpFunctorIN3c104HalfELi2ELi1ELi1EEEJNS0_5RoundIfEEEEEvT_T0_DpT1_.uses_vcc, 1
	.set _ZN2at6native12_GLOBAL__N_125multi_tensor_apply_kernelINS1_18TensorListMetadataILi2EEENS1_14UnaryOpFunctorIN3c104HalfELi2ELi1ELi1EEEJNS0_5RoundIfEEEEEvT_T0_DpT1_.uses_flat_scratch, 0
	.set _ZN2at6native12_GLOBAL__N_125multi_tensor_apply_kernelINS1_18TensorListMetadataILi2EEENS1_14UnaryOpFunctorIN3c104HalfELi2ELi1ELi1EEEJNS0_5RoundIfEEEEEvT_T0_DpT1_.has_dyn_sized_stack, 0
	.set _ZN2at6native12_GLOBAL__N_125multi_tensor_apply_kernelINS1_18TensorListMetadataILi2EEENS1_14UnaryOpFunctorIN3c104HalfELi2ELi1ELi1EEEJNS0_5RoundIfEEEEEvT_T0_DpT1_.has_recursion, 0
	.set _ZN2at6native12_GLOBAL__N_125multi_tensor_apply_kernelINS1_18TensorListMetadataILi2EEENS1_14UnaryOpFunctorIN3c104HalfELi2ELi1ELi1EEEJNS0_5RoundIfEEEEEvT_T0_DpT1_.has_indirect_call, 0
	.section	.AMDGPU.csdata,"",@progbits
; Kernel info:
; codeLenInByte = 1076
; TotalNumSgprs: 22
; NumVgprs: 34
; ScratchSize: 0
; MemoryBound: 0
; FloatMode: 240
; IeeeMode: 1
; LDSByteSize: 0 bytes/workgroup (compile time only)
; SGPRBlocks: 0
; VGPRBlocks: 2
; NumSGPRsForWavesPerEU: 22
; NumVGPRsForWavesPerEU: 34
; NamedBarCnt: 0
; Occupancy: 16
; WaveLimiterHint : 0
; COMPUTE_PGM_RSRC2:SCRATCH_EN: 0
; COMPUTE_PGM_RSRC2:USER_SGPR: 2
; COMPUTE_PGM_RSRC2:TRAP_HANDLER: 0
; COMPUTE_PGM_RSRC2:TGID_X_EN: 1
; COMPUTE_PGM_RSRC2:TGID_Y_EN: 0
; COMPUTE_PGM_RSRC2:TGID_Z_EN: 0
; COMPUTE_PGM_RSRC2:TIDIG_COMP_CNT: 0
	.section	.text._ZN2at6native12_GLOBAL__N_125multi_tensor_apply_kernelINS1_18TensorListMetadataILi2EEENS1_14UnaryOpFunctorIN3c108BFloat16ELi2ELi1ELi1EEEJNS0_5RoundIfEEEEEvT_T0_DpT1_,"axG",@progbits,_ZN2at6native12_GLOBAL__N_125multi_tensor_apply_kernelINS1_18TensorListMetadataILi2EEENS1_14UnaryOpFunctorIN3c108BFloat16ELi2ELi1ELi1EEEJNS0_5RoundIfEEEEEvT_T0_DpT1_,comdat
	.globl	_ZN2at6native12_GLOBAL__N_125multi_tensor_apply_kernelINS1_18TensorListMetadataILi2EEENS1_14UnaryOpFunctorIN3c108BFloat16ELi2ELi1ELi1EEEJNS0_5RoundIfEEEEEvT_T0_DpT1_ ; -- Begin function _ZN2at6native12_GLOBAL__N_125multi_tensor_apply_kernelINS1_18TensorListMetadataILi2EEENS1_14UnaryOpFunctorIN3c108BFloat16ELi2ELi1ELi1EEEJNS0_5RoundIfEEEEEvT_T0_DpT1_
	.p2align	8
	.type	_ZN2at6native12_GLOBAL__N_125multi_tensor_apply_kernelINS1_18TensorListMetadataILi2EEENS1_14UnaryOpFunctorIN3c108BFloat16ELi2ELi1ELi1EEEJNS0_5RoundIfEEEEEvT_T0_DpT1_,@function
_ZN2at6native12_GLOBAL__N_125multi_tensor_apply_kernelINS1_18TensorListMetadataILi2EEENS1_14UnaryOpFunctorIN3c108BFloat16ELi2ELi1ELi1EEEJNS0_5RoundIfEEEEEvT_T0_DpT1_: ; @_ZN2at6native12_GLOBAL__N_125multi_tensor_apply_kernelINS1_18TensorListMetadataILi2EEENS1_14UnaryOpFunctorIN3c108BFloat16ELi2ELi1ELi1EEEJNS0_5RoundIfEEEEEvT_T0_DpT1_
; %bb.0:
	s_bfe_u32 s2, ttmp6, 0x4000c
	s_and_b32 s3, ttmp6, 15
	s_add_co_i32 s2, s2, 1
	s_getreg_b32 s4, hwreg(HW_REG_IB_STS2, 6, 4)
	s_mul_i32 s2, ttmp9, s2
	s_delay_alu instid0(SALU_CYCLE_1)
	s_add_co_i32 s3, s3, s2
	s_cmp_eq_u32 s4, 0
	s_cselect_b32 s2, ttmp9, s3
	s_mov_b32 s3, 0
	s_load_u8 s11, s[0:1], s2 offset:0x600
	s_add_nc_u64 s[4:5], s[0:1], s[2:3]
	s_mul_u64 s[6:7], s[2:3], 3
	s_mov_b32 s15, s3
	s_add_nc_u64 s[4:5], s[4:5], s[6:7]
	s_load_b32 s10, s[4:5], 0x740
	s_wait_kmcnt 0x0
	s_clause 0x2
	s_load_b64 s[6:7], s[0:1], s11 offset:0x0 scale_offset
	s_load_b64 s[8:9], s[0:1], s11 offset:0x200 scale_offset
	;; [unrolled: 1-line block ×3, first 2 shown]
	s_wait_xcnt 0x0
	s_ashr_i32 s11, s10, 31
	s_delay_alu instid0(SALU_CYCLE_1)
	s_lshl_b64 s[4:5], s[10:11], 17
	s_wait_kmcnt 0x0
	s_and_b64 s[18:19], s[8:9], 7
	s_add_nc_u64 s[16:17], s[6:7], s[4:5]
	s_and_b32 s14, s12, 3
	s_and_b32 s2, s16, 7
	s_or_b64 s[14:15], s[18:19], s[14:15]
	s_lshl_b64 s[10:11], s[10:11], 16
	s_or_b64 s[2:3], s[14:15], s[2:3]
	s_sub_nc_u64 s[10:11], s[12:13], s[10:11]
	s_cmp_eq_u64 s[2:3], 0
	s_mov_b32 s2, -1
	s_cbranch_scc0 .LBB260_5
; %bb.1:
	v_min_i64 v[2:3], 0x10000, s[10:11]
	v_dual_mov_b32 v5, 0 :: v_dual_lshlrev_b32 v4, 2, v0
	s_mov_b32 s3, exec_lo
	s_delay_alu instid0(VALU_DEP_1)
	v_cmpx_lt_i64_e64 v[4:5], v[2:3]
	s_cbranch_execz .LBB260_4
; %bb.2:
	s_load_b32 s2, s[0:1], 0xc5c
	v_dual_mov_b32 v1, v5 :: v_dual_lshlrev_b32 v4, 3, v0
	s_mov_b32 s13, 0
	s_delay_alu instid0(SALU_CYCLE_1) | instskip(NEXT) | instid1(VALU_DEP_1)
	s_mov_b32 s15, s13
	v_add_nc_u64_e32 v[4:5], s[4:5], v[4:5]
	s_delay_alu instid0(VALU_DEP_2) | instskip(SKIP_3) | instid1(SALU_CYCLE_1)
	v_mov_b64_e32 v[6:7], v[0:1]
	s_mov_b32 s16, s13
	s_wait_kmcnt 0x0
	s_and_b32 s12, s2, 0xffff
	s_lshl_b32 s14, s12, 3
.LBB260_3:                              ; =>This Inner Loop Header: Depth=1
	s_delay_alu instid0(VALU_DEP_2) | instskip(NEXT) | instid1(VALU_DEP_2)
	v_add_nc_u64_e32 v[8:9], s[6:7], v[4:5]
	v_add_nc_u64_e32 v[6:7], s[12:13], v[6:7]
	global_load_b64 v[8:9], v[8:9], off
	v_lshlrev_b64_e32 v[10:11], 2, v[6:7]
	s_wait_loadcnt 0x0
	v_lshlrev_b32_e32 v1, 16, v8
	v_alignbit_b32 v12, v9, v8, 16
	s_wait_xcnt 0x0
	v_and_b32_e32 v8, 0xffff0000, v8
	v_and_b32_e32 v9, 0xffff0000, v9
	v_rndne_f32_e32 v1, v1
	v_and_b32_e32 v12, 0xffff0000, v12
	s_delay_alu instid0(VALU_DEP_4) | instskip(NEXT) | instid1(VALU_DEP_4)
	v_rndne_f32_e32 v8, v8
	v_rndne_f32_e32 v9, v9
	s_delay_alu instid0(VALU_DEP_4) | instskip(NEXT) | instid1(VALU_DEP_4)
	v_bfe_u32 v13, v1, 16, 1
	v_rndne_f32_e32 v12, v12
	s_delay_alu instid0(VALU_DEP_4) | instskip(NEXT) | instid1(VALU_DEP_4)
	v_bfe_u32 v14, v8, 16, 1
	v_bfe_u32 v15, v9, 16, 1
	v_cmp_o_f32_e32 vcc_lo, v8, v8
	v_add3_u32 v13, v1, v13, 0x7fff
	v_bfe_u32 v16, v12, 16, 1
	v_add3_u32 v14, v8, v14, 0x7fff
	v_add3_u32 v15, v9, v15, 0x7fff
	v_cmp_o_f32_e64 s2, v1, v1
	v_lshrrev_b32_e32 v13, 16, v13
	v_add3_u32 v16, v12, v16, 0x7fff
	v_and_b32_e32 v14, 0xffff0000, v14
	v_and_b32_e32 v15, 0xffff0000, v15
	s_delay_alu instid0(VALU_DEP_4) | instskip(NEXT) | instid1(VALU_DEP_3)
	v_cndmask_b32_e64 v13, 0x7fc0, v13, s2
	v_dual_cndmask_b32 v8, 0x7fc00000, v14 :: v_dual_lshrrev_b32 v1, 16, v16
	v_cmp_o_f32_e32 vcc_lo, v9, v9
	s_delay_alu instid0(VALU_DEP_4) | instskip(SKIP_1) | instid1(VALU_DEP_4)
	v_cndmask_b32_e32 v14, 0x7fc00000, v15, vcc_lo
	v_cmp_o_f32_e32 vcc_lo, v12, v12
	v_or_b32_e32 v12, v13, v8
	v_add_nc_u64_e32 v[8:9], s[8:9], v[4:5]
	v_add_nc_u64_e32 v[4:5], s[14:15], v[4:5]
	v_cndmask_b32_e32 v1, 0x7fc0, v1, vcc_lo
	v_cmp_ge_i64_e32 vcc_lo, v[10:11], v[2:3]
	v_or3_b32 v10, v12, 0, 0
	s_delay_alu instid0(VALU_DEP_3)
	v_or3_b32 v11, 0, v1, v14
	s_or_b32 s16, vcc_lo, s16
	global_store_b64 v[8:9], v[10:11], off
	s_wait_xcnt 0x0
	s_and_not1_b32 exec_lo, exec_lo, s16
	s_cbranch_execnz .LBB260_3
.LBB260_4:
	s_or_b32 exec_lo, exec_lo, s3
	s_mov_b32 s2, 0
.LBB260_5:
	s_delay_alu instid0(SALU_CYCLE_1)
	s_and_not1_b32 vcc_lo, exec_lo, s2
	s_cbranch_vccnz .LBB260_25
; %bb.6:
	v_cmp_lt_i64_e64 s2, s[10:11], 1
	s_and_b32 vcc_lo, exec_lo, s2
	s_cbranch_vccnz .LBB260_25
; %bb.7:
	s_load_b32 s0, s[0:1], 0xc5c
	v_min_i64 v[2:3], 0x10000, s[10:11]
	v_min_u64 v[4:5], 0x10000, s[10:11]
	v_dual_mov_b32 v1, 0 :: v_dual_lshlrev_b32 v10, 1, v0
	s_wait_xcnt 0x0
	s_mov_b32 s1, 0
	s_delay_alu instid0(SALU_CYCLE_1) | instskip(NEXT) | instid1(VALU_DEP_1)
	s_mov_b32 s11, s1
	v_dual_mov_b32 v11, v1 :: v_dual_mov_b32 v27, v1
	s_mov_b32 s3, s1
	s_mov_b32 s13, s1
	s_delay_alu instid0(VALU_DEP_1) | instskip(SKIP_2) | instid1(SALU_CYCLE_1)
	v_add_nc_u64_e32 v[6:7], s[6:7], v[10:11]
	s_wait_kmcnt 0x0
	s_and_b32 s0, s0, 0xffff
	v_add_nc_u64_e32 v[8:9], s[0:1], v[0:1]
	v_mad_nc_u64_u32 v[22:23], s0, 6, v[10:11]
	s_lshl_b32 s10, s0, 2
	s_mul_i32 s12, s0, 3
	v_add_nc_u64_e32 v[18:19], s[10:11], v[10:11]
	s_lshl_b32 s2, s0, 1
	v_add_nc_u64_e32 v[10:11], s[8:9], v[10:11]
	v_lshlrev_b32_e32 v26, 1, v8
	v_add_nc_u64_e32 v[12:13], s[12:13], v[0:1]
	v_add_nc_u64_e32 v[14:15], s[2:3], v[0:1]
	;; [unrolled: 1-line block ×8, first 2 shown]
	s_lshl_b32 s6, s0, 3
	s_mov_b32 s7, s1
	s_mov_b64 s[8:9], 0
	s_branch .LBB260_9
.LBB260_8:                              ;   in Loop: Header=BB260_9 Depth=1
	s_wait_xcnt 0x0
	s_or_b32 exec_lo, exec_lo, s0
	s_add_nc_u64 s[8:9], s[8:9], s[10:11]
	v_add_nc_u64_e32 v[6:7], s[6:7], v[6:7]
	v_cmp_ge_i64_e32 vcc_lo, s[8:9], v[2:3]
	v_add_nc_u64_e32 v[10:11], s[6:7], v[10:11]
	v_add_nc_u64_e32 v[20:21], s[6:7], v[20:21]
	;; [unrolled: 1-line block ×7, first 2 shown]
	s_cbranch_vccnz .LBB260_25
.LBB260_9:                              ; =>This Inner Loop Header: Depth=1
	v_add_nc_u64_e32 v[28:29], s[8:9], v[0:1]
	s_delay_alu instid0(VALU_DEP_1)
	v_cmp_lt_u64_e32 vcc_lo, v[28:29], v[4:5]
	v_mov_b32_e32 v29, 0
	s_and_saveexec_b32 s0, vcc_lo
	s_cbranch_execz .LBB260_11
; %bb.10:                               ;   in Loop: Header=BB260_9 Depth=1
	v_add_nc_u64_e32 v[28:29], s[4:5], v[6:7]
	global_load_u16 v28, v[28:29], off
	s_wait_loadcnt 0x0
	v_lshlrev_b32_e32 v28, 16, v28
	s_delay_alu instid0(VALU_DEP_1)
	v_rndne_f32_e32 v29, v28
.LBB260_11:                             ;   in Loop: Header=BB260_9 Depth=1
	s_or_b32 exec_lo, exec_lo, s0
	v_add_nc_u64_e32 v[30:31], s[8:9], v[8:9]
	v_mov_b32_e32 v28, 0
	s_delay_alu instid0(VALU_DEP_2)
	v_cmp_lt_u64_e64 s0, v[30:31], v[4:5]
	v_mov_b32_e32 v30, 0
	s_and_saveexec_b32 s1, s0
	s_cbranch_execz .LBB260_13
; %bb.12:                               ;   in Loop: Header=BB260_9 Depth=1
	v_add_nc_u64_e32 v[30:31], s[4:5], v[24:25]
	global_load_u16 v30, v[30:31], off
	s_wait_loadcnt 0x0
	v_lshlrev_b32_e32 v30, 16, v30
	s_delay_alu instid0(VALU_DEP_1)
	v_rndne_f32_e32 v30, v30
.LBB260_13:                             ;   in Loop: Header=BB260_9 Depth=1
	s_or_b32 exec_lo, exec_lo, s1
	v_add_nc_u64_e32 v[32:33], s[8:9], v[14:15]
	s_delay_alu instid0(VALU_DEP_1)
	v_cmp_lt_u64_e64 s1, v[32:33], v[4:5]
	s_and_saveexec_b32 s2, s1
	s_cbranch_execz .LBB260_15
; %bb.14:                               ;   in Loop: Header=BB260_9 Depth=1
	v_add_nc_u64_e32 v[32:33], s[4:5], v[16:17]
	global_load_u16 v28, v[32:33], off
	s_wait_loadcnt 0x0
	v_lshlrev_b32_e32 v28, 16, v28
	s_delay_alu instid0(VALU_DEP_1)
	v_rndne_f32_e32 v28, v28
.LBB260_15:                             ;   in Loop: Header=BB260_9 Depth=1
	s_wait_xcnt 0x0
	s_or_b32 exec_lo, exec_lo, s2
	v_add_nc_u64_e32 v[32:33], s[8:9], v[12:13]
	v_mov_b32_e32 v31, 0
	s_delay_alu instid0(VALU_DEP_2)
	v_cmp_lt_u64_e64 s2, v[32:33], v[4:5]
	s_and_saveexec_b32 s3, s2
	s_cbranch_execnz .LBB260_20
; %bb.16:                               ;   in Loop: Header=BB260_9 Depth=1
	s_or_b32 exec_lo, exec_lo, s3
	s_and_saveexec_b32 s3, vcc_lo
	s_cbranch_execnz .LBB260_21
.LBB260_17:                             ;   in Loop: Header=BB260_9 Depth=1
	s_or_b32 exec_lo, exec_lo, s3
	s_and_saveexec_b32 s3, s0
	s_cbranch_execnz .LBB260_22
.LBB260_18:                             ;   in Loop: Header=BB260_9 Depth=1
	s_or_b32 exec_lo, exec_lo, s3
	s_and_saveexec_b32 s0, s1
	s_cbranch_execnz .LBB260_23
.LBB260_19:                             ;   in Loop: Header=BB260_9 Depth=1
	s_or_b32 exec_lo, exec_lo, s0
	s_and_saveexec_b32 s0, s2
	s_cbranch_execz .LBB260_8
	s_branch .LBB260_24
.LBB260_20:                             ;   in Loop: Header=BB260_9 Depth=1
	v_add_nc_u64_e32 v[32:33], s[4:5], v[20:21]
	global_load_u16 v31, v[32:33], off
	s_wait_loadcnt 0x0
	v_lshlrev_b32_e32 v31, 16, v31
	s_delay_alu instid0(VALU_DEP_1)
	v_rndne_f32_e32 v31, v31
	s_wait_xcnt 0x0
	s_or_b32 exec_lo, exec_lo, s3
	s_and_saveexec_b32 s3, vcc_lo
	s_cbranch_execz .LBB260_17
.LBB260_21:                             ;   in Loop: Header=BB260_9 Depth=1
	v_bfe_u32 v32, v29, 16, 1
	v_cmp_o_f32_e32 vcc_lo, v29, v29
	s_delay_alu instid0(VALU_DEP_2) | instskip(NEXT) | instid1(VALU_DEP_1)
	v_add3_u32 v32, v29, v32, 0x7fff
	v_lshrrev_b32_e32 v34, 16, v32
	v_add_nc_u64_e32 v[32:33], s[4:5], v[10:11]
	s_delay_alu instid0(VALU_DEP_2)
	v_cndmask_b32_e32 v29, 0x7fc0, v34, vcc_lo
	global_store_b16 v[32:33], v29, off
	s_wait_xcnt 0x0
	s_or_b32 exec_lo, exec_lo, s3
	s_and_saveexec_b32 s3, s0
	s_cbranch_execz .LBB260_18
.LBB260_22:                             ;   in Loop: Header=BB260_9 Depth=1
	v_bfe_u32 v29, v30, 16, 1
	v_cmp_o_f32_e32 vcc_lo, v30, v30
	v_add_nc_u64_e32 v[32:33], s[4:5], v[26:27]
	s_delay_alu instid0(VALU_DEP_3) | instskip(NEXT) | instid1(VALU_DEP_1)
	v_add3_u32 v29, v30, v29, 0x7fff
	v_lshrrev_b32_e32 v29, 16, v29
	s_delay_alu instid0(VALU_DEP_1)
	v_cndmask_b32_e32 v29, 0x7fc0, v29, vcc_lo
	global_store_b16 v[32:33], v29, off
	s_wait_xcnt 0x0
	s_or_b32 exec_lo, exec_lo, s3
	s_and_saveexec_b32 s0, s1
	s_cbranch_execz .LBB260_19
.LBB260_23:                             ;   in Loop: Header=BB260_9 Depth=1
	v_bfe_u32 v29, v28, 16, 1
	v_cmp_o_f32_e32 vcc_lo, v28, v28
	v_add_nc_u64_e32 v[32:33], s[4:5], v[18:19]
	s_delay_alu instid0(VALU_DEP_3) | instskip(NEXT) | instid1(VALU_DEP_1)
	v_add3_u32 v29, v28, v29, 0x7fff
	v_lshrrev_b32_e32 v29, 16, v29
	s_delay_alu instid0(VALU_DEP_1)
	v_cndmask_b32_e32 v28, 0x7fc0, v29, vcc_lo
	global_store_b16 v[32:33], v28, off
	s_wait_xcnt 0x0
	s_or_b32 exec_lo, exec_lo, s0
	s_and_saveexec_b32 s0, s2
	s_cbranch_execz .LBB260_8
.LBB260_24:                             ;   in Loop: Header=BB260_9 Depth=1
	v_bfe_u32 v28, v31, 16, 1
	v_cmp_o_f32_e32 vcc_lo, v31, v31
	s_delay_alu instid0(VALU_DEP_2) | instskip(NEXT) | instid1(VALU_DEP_1)
	v_add3_u32 v28, v31, v28, 0x7fff
	v_lshrrev_b32_e32 v30, 16, v28
	v_add_nc_u64_e32 v[28:29], s[4:5], v[22:23]
	s_delay_alu instid0(VALU_DEP_2)
	v_cndmask_b32_e32 v30, 0x7fc0, v30, vcc_lo
	global_store_b16 v[28:29], v30, off
	s_branch .LBB260_8
.LBB260_25:
	s_endpgm
	.section	.rodata,"a",@progbits
	.p2align	6, 0x0
	.amdhsa_kernel _ZN2at6native12_GLOBAL__N_125multi_tensor_apply_kernelINS1_18TensorListMetadataILi2EEENS1_14UnaryOpFunctorIN3c108BFloat16ELi2ELi1ELi1EEEJNS0_5RoundIfEEEEEvT_T0_DpT1_
		.amdhsa_group_segment_fixed_size 0
		.amdhsa_private_segment_fixed_size 0
		.amdhsa_kernarg_size 3408
		.amdhsa_user_sgpr_count 2
		.amdhsa_user_sgpr_dispatch_ptr 0
		.amdhsa_user_sgpr_queue_ptr 0
		.amdhsa_user_sgpr_kernarg_segment_ptr 1
		.amdhsa_user_sgpr_dispatch_id 0
		.amdhsa_user_sgpr_kernarg_preload_length 0
		.amdhsa_user_sgpr_kernarg_preload_offset 0
		.amdhsa_user_sgpr_private_segment_size 0
		.amdhsa_wavefront_size32 1
		.amdhsa_uses_dynamic_stack 0
		.amdhsa_enable_private_segment 0
		.amdhsa_system_sgpr_workgroup_id_x 1
		.amdhsa_system_sgpr_workgroup_id_y 0
		.amdhsa_system_sgpr_workgroup_id_z 0
		.amdhsa_system_sgpr_workgroup_info 0
		.amdhsa_system_vgpr_workitem_id 0
		.amdhsa_next_free_vgpr 35
		.amdhsa_next_free_sgpr 20
		.amdhsa_named_barrier_count 0
		.amdhsa_reserve_vcc 1
		.amdhsa_float_round_mode_32 0
		.amdhsa_float_round_mode_16_64 0
		.amdhsa_float_denorm_mode_32 3
		.amdhsa_float_denorm_mode_16_64 3
		.amdhsa_fp16_overflow 0
		.amdhsa_memory_ordered 1
		.amdhsa_forward_progress 1
		.amdhsa_inst_pref_size 12
		.amdhsa_round_robin_scheduling 0
		.amdhsa_exception_fp_ieee_invalid_op 0
		.amdhsa_exception_fp_denorm_src 0
		.amdhsa_exception_fp_ieee_div_zero 0
		.amdhsa_exception_fp_ieee_overflow 0
		.amdhsa_exception_fp_ieee_underflow 0
		.amdhsa_exception_fp_ieee_inexact 0
		.amdhsa_exception_int_div_zero 0
	.end_amdhsa_kernel
	.section	.text._ZN2at6native12_GLOBAL__N_125multi_tensor_apply_kernelINS1_18TensorListMetadataILi2EEENS1_14UnaryOpFunctorIN3c108BFloat16ELi2ELi1ELi1EEEJNS0_5RoundIfEEEEEvT_T0_DpT1_,"axG",@progbits,_ZN2at6native12_GLOBAL__N_125multi_tensor_apply_kernelINS1_18TensorListMetadataILi2EEENS1_14UnaryOpFunctorIN3c108BFloat16ELi2ELi1ELi1EEEJNS0_5RoundIfEEEEEvT_T0_DpT1_,comdat
.Lfunc_end260:
	.size	_ZN2at6native12_GLOBAL__N_125multi_tensor_apply_kernelINS1_18TensorListMetadataILi2EEENS1_14UnaryOpFunctorIN3c108BFloat16ELi2ELi1ELi1EEEJNS0_5RoundIfEEEEEvT_T0_DpT1_, .Lfunc_end260-_ZN2at6native12_GLOBAL__N_125multi_tensor_apply_kernelINS1_18TensorListMetadataILi2EEENS1_14UnaryOpFunctorIN3c108BFloat16ELi2ELi1ELi1EEEJNS0_5RoundIfEEEEEvT_T0_DpT1_
                                        ; -- End function
	.set _ZN2at6native12_GLOBAL__N_125multi_tensor_apply_kernelINS1_18TensorListMetadataILi2EEENS1_14UnaryOpFunctorIN3c108BFloat16ELi2ELi1ELi1EEEJNS0_5RoundIfEEEEEvT_T0_DpT1_.num_vgpr, 35
	.set _ZN2at6native12_GLOBAL__N_125multi_tensor_apply_kernelINS1_18TensorListMetadataILi2EEENS1_14UnaryOpFunctorIN3c108BFloat16ELi2ELi1ELi1EEEJNS0_5RoundIfEEEEEvT_T0_DpT1_.num_agpr, 0
	.set _ZN2at6native12_GLOBAL__N_125multi_tensor_apply_kernelINS1_18TensorListMetadataILi2EEENS1_14UnaryOpFunctorIN3c108BFloat16ELi2ELi1ELi1EEEJNS0_5RoundIfEEEEEvT_T0_DpT1_.numbered_sgpr, 20
	.set _ZN2at6native12_GLOBAL__N_125multi_tensor_apply_kernelINS1_18TensorListMetadataILi2EEENS1_14UnaryOpFunctorIN3c108BFloat16ELi2ELi1ELi1EEEJNS0_5RoundIfEEEEEvT_T0_DpT1_.num_named_barrier, 0
	.set _ZN2at6native12_GLOBAL__N_125multi_tensor_apply_kernelINS1_18TensorListMetadataILi2EEENS1_14UnaryOpFunctorIN3c108BFloat16ELi2ELi1ELi1EEEJNS0_5RoundIfEEEEEvT_T0_DpT1_.private_seg_size, 0
	.set _ZN2at6native12_GLOBAL__N_125multi_tensor_apply_kernelINS1_18TensorListMetadataILi2EEENS1_14UnaryOpFunctorIN3c108BFloat16ELi2ELi1ELi1EEEJNS0_5RoundIfEEEEEvT_T0_DpT1_.uses_vcc, 1
	.set _ZN2at6native12_GLOBAL__N_125multi_tensor_apply_kernelINS1_18TensorListMetadataILi2EEENS1_14UnaryOpFunctorIN3c108BFloat16ELi2ELi1ELi1EEEJNS0_5RoundIfEEEEEvT_T0_DpT1_.uses_flat_scratch, 0
	.set _ZN2at6native12_GLOBAL__N_125multi_tensor_apply_kernelINS1_18TensorListMetadataILi2EEENS1_14UnaryOpFunctorIN3c108BFloat16ELi2ELi1ELi1EEEJNS0_5RoundIfEEEEEvT_T0_DpT1_.has_dyn_sized_stack, 0
	.set _ZN2at6native12_GLOBAL__N_125multi_tensor_apply_kernelINS1_18TensorListMetadataILi2EEENS1_14UnaryOpFunctorIN3c108BFloat16ELi2ELi1ELi1EEEJNS0_5RoundIfEEEEEvT_T0_DpT1_.has_recursion, 0
	.set _ZN2at6native12_GLOBAL__N_125multi_tensor_apply_kernelINS1_18TensorListMetadataILi2EEENS1_14UnaryOpFunctorIN3c108BFloat16ELi2ELi1ELi1EEEJNS0_5RoundIfEEEEEvT_T0_DpT1_.has_indirect_call, 0
	.section	.AMDGPU.csdata,"",@progbits
; Kernel info:
; codeLenInByte = 1488
; TotalNumSgprs: 22
; NumVgprs: 35
; ScratchSize: 0
; MemoryBound: 0
; FloatMode: 240
; IeeeMode: 1
; LDSByteSize: 0 bytes/workgroup (compile time only)
; SGPRBlocks: 0
; VGPRBlocks: 2
; NumSGPRsForWavesPerEU: 22
; NumVGPRsForWavesPerEU: 35
; NamedBarCnt: 0
; Occupancy: 16
; WaveLimiterHint : 0
; COMPUTE_PGM_RSRC2:SCRATCH_EN: 0
; COMPUTE_PGM_RSRC2:USER_SGPR: 2
; COMPUTE_PGM_RSRC2:TRAP_HANDLER: 0
; COMPUTE_PGM_RSRC2:TGID_X_EN: 1
; COMPUTE_PGM_RSRC2:TGID_Y_EN: 0
; COMPUTE_PGM_RSRC2:TGID_Z_EN: 0
; COMPUTE_PGM_RSRC2:TIDIG_COMP_CNT: 0
	.section	.text._ZN2at6native12_GLOBAL__N_125multi_tensor_apply_kernelINS1_18TensorListMetadataILi1EEENS1_14UnaryOpFunctorIdLi1ELi1ELi0EEEJNS0_5RoundIdEEEEEvT_T0_DpT1_,"axG",@progbits,_ZN2at6native12_GLOBAL__N_125multi_tensor_apply_kernelINS1_18TensorListMetadataILi1EEENS1_14UnaryOpFunctorIdLi1ELi1ELi0EEEJNS0_5RoundIdEEEEEvT_T0_DpT1_,comdat
	.globl	_ZN2at6native12_GLOBAL__N_125multi_tensor_apply_kernelINS1_18TensorListMetadataILi1EEENS1_14UnaryOpFunctorIdLi1ELi1ELi0EEEJNS0_5RoundIdEEEEEvT_T0_DpT1_ ; -- Begin function _ZN2at6native12_GLOBAL__N_125multi_tensor_apply_kernelINS1_18TensorListMetadataILi1EEENS1_14UnaryOpFunctorIdLi1ELi1ELi0EEEJNS0_5RoundIdEEEEEvT_T0_DpT1_
	.p2align	8
	.type	_ZN2at6native12_GLOBAL__N_125multi_tensor_apply_kernelINS1_18TensorListMetadataILi1EEENS1_14UnaryOpFunctorIdLi1ELi1ELi0EEEJNS0_5RoundIdEEEEEvT_T0_DpT1_,@function
_ZN2at6native12_GLOBAL__N_125multi_tensor_apply_kernelINS1_18TensorListMetadataILi1EEENS1_14UnaryOpFunctorIdLi1ELi1ELi0EEEJNS0_5RoundIdEEEEEvT_T0_DpT1_: ; @_ZN2at6native12_GLOBAL__N_125multi_tensor_apply_kernelINS1_18TensorListMetadataILi1EEENS1_14UnaryOpFunctorIdLi1ELi1ELi0EEEJNS0_5RoundIdEEEEEvT_T0_DpT1_
; %bb.0:
	s_bfe_u32 s2, ttmp6, 0x4000c
	s_and_b32 s3, ttmp6, 15
	s_add_co_i32 s2, s2, 1
	s_getreg_b32 s4, hwreg(HW_REG_IB_STS2, 6, 4)
	s_mul_i32 s2, ttmp9, s2
	s_delay_alu instid0(SALU_CYCLE_1)
	s_add_co_i32 s3, s3, s2
	s_cmp_eq_u32 s4, 0
	s_cselect_b32 s2, ttmp9, s3
	s_mov_b32 s3, 0
	s_load_u8 s8, s[0:1], s2 offset:0x6e0
	s_add_nc_u64 s[4:5], s[0:1], s[2:3]
	s_mul_u64 s[6:7], s[2:3], 3
	s_delay_alu instid0(SALU_CYCLE_1)
	s_add_nc_u64 s[4:5], s[4:5], s[6:7]
	s_load_b32 s10, s[4:5], 0x820
	s_wait_kmcnt 0x0
	s_clause 0x1
	s_load_b64 s[6:7], s[0:1], s8 offset:0x0 scale_offset
	s_load_b64 s[12:13], s[0:1], s8 offset:0x370 scale_offset
	s_ashr_i32 s11, s10, 31
	s_wait_kmcnt 0x0
	s_and_b64 s[4:5], s[6:7], 31
	s_and_b32 s2, s12, 3
	s_lshl_b64 s[8:9], s[10:11], 19
	s_or_b64 s[2:3], s[4:5], s[2:3]
	s_lshl_b64 s[4:5], s[10:11], 16
	s_cmp_eq_u64 s[2:3], 0
	s_sub_nc_u64 s[10:11], s[12:13], s[4:5]
	s_cbranch_scc1 .LBB261_21
; %bb.1:
	v_cmp_lt_i64_e64 s2, s[10:11], 1
	s_and_b32 vcc_lo, exec_lo, s2
	s_cbranch_vccnz .LBB261_20
; %bb.2:
	s_load_b32 s4, s[0:1], 0xd3c
	v_min_i64 v[2:3], 0x10000, s[10:11]
	v_min_u64 v[4:5], 0x10000, s[10:11]
	v_dual_mov_b32 v1, 0 :: v_dual_lshlrev_b32 v8, 3, v0
	s_mov_b32 s19, 0
	s_add_nc_u64 s[2:3], s[6:7], s[8:9]
	s_mov_b32 s5, s19
	s_delay_alu instid0(VALU_DEP_1)
	v_mov_b32_e32 v15, v1
	s_mov_b32 s17, s19
	s_mov_b32 s13, s19
	;; [unrolled: 1-line block ×3, first 2 shown]
	s_mov_b64 s[20:21], 0
	s_wait_kmcnt 0x0
	s_and_b32 s18, s4, 0xffff
	s_delay_alu instid0(SALU_CYCLE_1)
	v_add_nc_u64_e32 v[6:7], s[18:19], v[0:1]
	v_mov_b32_e32 v9, v1
	s_lshl_b32 s4, s18, 1
	s_mul_i32 s16, s18, 3
	v_add_nc_u64_e32 v[12:13], s[4:5], v[0:1]
	v_add_nc_u64_e32 v[10:11], s[16:17], v[0:1]
	s_lshl_b32 s12, s18, 2
	v_lshlrev_b32_e32 v14, 3, v6
	v_add_nc_u64_e32 v[8:9], s[2:3], v[8:9]
	s_lshl_b32 s14, s18, 5
	s_mul_u64 s[16:17], s[18:19], 24
	s_lshl_b32 s18, s18, 4
	v_add_nc_u64_e32 v[14:15], s[2:3], v[14:15]
	s_branch .LBB261_4
.LBB261_3:                              ;   in Loop: Header=BB261_4 Depth=1
	s_wait_xcnt 0x0
	s_or_b32 exec_lo, exec_lo, s2
	s_add_nc_u64 s[20:21], s[20:21], s[12:13]
	v_add_nc_u64_e32 v[8:9], s[14:15], v[8:9]
	v_cmp_lt_i64_e32 vcc_lo, s[20:21], v[2:3]
	v_add_nc_u64_e32 v[14:15], s[14:15], v[14:15]
	s_cbranch_vccz .LBB261_20
.LBB261_4:                              ; =>This Inner Loop Header: Depth=1
	v_add_nc_u64_e32 v[18:19], s[20:21], v[0:1]
	v_mov_b64_e32 v[16:17], 0
	s_delay_alu instid0(VALU_DEP_2)
	v_cmp_lt_u64_e32 vcc_lo, v[18:19], v[4:5]
	v_mov_b64_e32 v[18:19], 0
	s_and_saveexec_b32 s2, vcc_lo
	s_cbranch_execz .LBB261_6
; %bb.5:                                ;   in Loop: Header=BB261_4 Depth=1
	global_load_b64 v[18:19], v[8:9], off
	s_wait_loadcnt 0x0
	v_rndne_f64_e32 v[18:19], v[18:19]
.LBB261_6:                              ;   in Loop: Header=BB261_4 Depth=1
	s_wait_xcnt 0x0
	s_or_b32 exec_lo, exec_lo, s2
	v_add_nc_u64_e32 v[20:21], s[20:21], v[6:7]
	s_delay_alu instid0(VALU_DEP_1)
	v_cmp_lt_u64_e64 s2, v[20:21], v[4:5]
	s_and_saveexec_b32 s3, s2
	s_cbranch_execz .LBB261_8
; %bb.7:                                ;   in Loop: Header=BB261_4 Depth=1
	global_load_b64 v[16:17], v[14:15], off
	s_wait_loadcnt 0x0
	v_rndne_f64_e32 v[16:17], v[16:17]
.LBB261_8:                              ;   in Loop: Header=BB261_4 Depth=1
	s_wait_xcnt 0x0
	s_or_b32 exec_lo, exec_lo, s3
	v_add_nc_u64_e32 v[24:25], s[20:21], v[12:13]
	v_mov_b64_e32 v[20:21], 0
	v_add_nc_u64_e32 v[22:23], s[18:19], v[8:9]
	s_delay_alu instid0(VALU_DEP_3)
	v_cmp_lt_u64_e64 s3, v[24:25], v[4:5]
	v_mov_b64_e32 v[24:25], 0
	s_and_saveexec_b32 s4, s3
	s_cbranch_execz .LBB261_10
; %bb.9:                                ;   in Loop: Header=BB261_4 Depth=1
	global_load_b64 v[24:25], v[22:23], off
	s_wait_loadcnt 0x0
	v_rndne_f64_e32 v[24:25], v[24:25]
.LBB261_10:                             ;   in Loop: Header=BB261_4 Depth=1
	s_wait_xcnt 0x0
	s_or_b32 exec_lo, exec_lo, s4
	v_add_nc_u64_e32 v[26:27], s[20:21], v[10:11]
	s_delay_alu instid0(VALU_DEP_1)
	v_cmp_lt_u64_e64 s4, v[26:27], v[4:5]
	v_add_nc_u64_e32 v[26:27], s[16:17], v[8:9]
	s_and_saveexec_b32 s5, s4
	s_cbranch_execnz .LBB261_15
; %bb.11:                               ;   in Loop: Header=BB261_4 Depth=1
	s_or_b32 exec_lo, exec_lo, s5
	s_and_saveexec_b32 s5, vcc_lo
	s_cbranch_execnz .LBB261_16
.LBB261_12:                             ;   in Loop: Header=BB261_4 Depth=1
	s_or_b32 exec_lo, exec_lo, s5
	s_and_saveexec_b32 s5, s2
	s_cbranch_execnz .LBB261_17
.LBB261_13:                             ;   in Loop: Header=BB261_4 Depth=1
	s_or_b32 exec_lo, exec_lo, s5
	s_and_saveexec_b32 s2, s3
	s_cbranch_execnz .LBB261_18
.LBB261_14:                             ;   in Loop: Header=BB261_4 Depth=1
	s_or_b32 exec_lo, exec_lo, s2
	s_and_saveexec_b32 s2, s4
	s_cbranch_execz .LBB261_3
	s_branch .LBB261_19
.LBB261_15:                             ;   in Loop: Header=BB261_4 Depth=1
	global_load_b64 v[20:21], v[26:27], off
	s_wait_loadcnt 0x0
	v_rndne_f64_e32 v[20:21], v[20:21]
	s_wait_xcnt 0x0
	s_or_b32 exec_lo, exec_lo, s5
	s_and_saveexec_b32 s5, vcc_lo
	s_cbranch_execz .LBB261_12
.LBB261_16:                             ;   in Loop: Header=BB261_4 Depth=1
	global_store_b64 v[8:9], v[18:19], off
	s_wait_xcnt 0x0
	s_or_b32 exec_lo, exec_lo, s5
	s_and_saveexec_b32 s5, s2
	s_cbranch_execz .LBB261_13
.LBB261_17:                             ;   in Loop: Header=BB261_4 Depth=1
	global_store_b64 v[14:15], v[16:17], off
	s_wait_xcnt 0x0
	s_or_b32 exec_lo, exec_lo, s5
	s_and_saveexec_b32 s2, s3
	s_cbranch_execz .LBB261_14
.LBB261_18:                             ;   in Loop: Header=BB261_4 Depth=1
	global_store_b64 v[22:23], v[24:25], off
	s_wait_xcnt 0x0
	s_or_b32 exec_lo, exec_lo, s2
	s_and_saveexec_b32 s2, s4
	s_cbranch_execz .LBB261_3
.LBB261_19:                             ;   in Loop: Header=BB261_4 Depth=1
	global_store_b64 v[26:27], v[20:21], off
	s_branch .LBB261_3
.LBB261_20:
	s_cbranch_execz .LBB261_22
	s_branch .LBB261_25
.LBB261_21:
.LBB261_22:
	v_min_i64 v[2:3], 0x10000, s[10:11]
	v_dual_mov_b32 v5, 0 :: v_dual_lshlrev_b32 v4, 2, v0
	s_mov_b32 s2, exec_lo
	s_delay_alu instid0(VALU_DEP_1)
	v_cmpx_lt_i64_e64 v[4:5], v[2:3]
	s_cbranch_execz .LBB261_25
; %bb.23:
	s_load_b32 s2, s[0:1], 0xd3c
	v_dual_mov_b32 v1, v5 :: v_dual_lshlrev_b32 v4, 5, v0
	s_wait_xcnt 0x0
	s_add_nc_u64 s[0:1], s[6:7], s[8:9]
	s_delay_alu instid0(VALU_DEP_1) | instid1(SALU_CYCLE_1)
	v_add_nc_u64_e32 v[6:7], s[0:1], v[4:5]
	s_mov_b32 s1, 0
	s_delay_alu instid0(SALU_CYCLE_1) | instskip(SKIP_1) | instid1(VALU_DEP_1)
	s_mov_b32 s3, s1
	s_mov_b32 s4, s1
	v_add_nc_u64_e32 v[4:5], 16, v[6:7]
	s_wait_kmcnt 0x0
	s_and_b32 s0, s2, 0xffff
	s_delay_alu instid0(SALU_CYCLE_1)
	s_lshl_b32 s2, s0, 5
.LBB261_24:                             ; =>This Inner Loop Header: Depth=1
	s_clause 0x1
	global_load_b128 v[6:9], v[4:5], off offset:-16
	global_load_b128 v[10:13], v[4:5], off
	v_add_nc_u64_e32 v[0:1], s[0:1], v[0:1]
	s_delay_alu instid0(VALU_DEP_1) | instskip(NEXT) | instid1(VALU_DEP_1)
	v_lshlrev_b64_e32 v[14:15], 2, v[0:1]
	v_cmp_ge_i64_e32 vcc_lo, v[14:15], v[2:3]
	s_or_b32 s4, vcc_lo, s4
	s_wait_loadcnt 0x1
	v_rndne_f64_e32 v[6:7], v[6:7]
	v_rndne_f64_e32 v[8:9], v[8:9]
	s_wait_loadcnt 0x0
	v_rndne_f64_e32 v[10:11], v[10:11]
	v_rndne_f64_e32 v[12:13], v[12:13]
	s_clause 0x1
	global_store_b128 v[4:5], v[6:9], off offset:-16
	global_store_b128 v[4:5], v[10:13], off
	s_wait_xcnt 0x0
	v_add_nc_u64_e32 v[4:5], s[2:3], v[4:5]
	s_and_not1_b32 exec_lo, exec_lo, s4
	s_cbranch_execnz .LBB261_24
.LBB261_25:
	s_endpgm
	.section	.rodata,"a",@progbits
	.p2align	6, 0x0
	.amdhsa_kernel _ZN2at6native12_GLOBAL__N_125multi_tensor_apply_kernelINS1_18TensorListMetadataILi1EEENS1_14UnaryOpFunctorIdLi1ELi1ELi0EEEJNS0_5RoundIdEEEEEvT_T0_DpT1_
		.amdhsa_group_segment_fixed_size 0
		.amdhsa_private_segment_fixed_size 0
		.amdhsa_kernarg_size 3632
		.amdhsa_user_sgpr_count 2
		.amdhsa_user_sgpr_dispatch_ptr 0
		.amdhsa_user_sgpr_queue_ptr 0
		.amdhsa_user_sgpr_kernarg_segment_ptr 1
		.amdhsa_user_sgpr_dispatch_id 0
		.amdhsa_user_sgpr_kernarg_preload_length 0
		.amdhsa_user_sgpr_kernarg_preload_offset 0
		.amdhsa_user_sgpr_private_segment_size 0
		.amdhsa_wavefront_size32 1
		.amdhsa_uses_dynamic_stack 0
		.amdhsa_enable_private_segment 0
		.amdhsa_system_sgpr_workgroup_id_x 1
		.amdhsa_system_sgpr_workgroup_id_y 0
		.amdhsa_system_sgpr_workgroup_id_z 0
		.amdhsa_system_sgpr_workgroup_info 0
		.amdhsa_system_vgpr_workitem_id 0
		.amdhsa_next_free_vgpr 28
		.amdhsa_next_free_sgpr 22
		.amdhsa_named_barrier_count 0
		.amdhsa_reserve_vcc 1
		.amdhsa_float_round_mode_32 0
		.amdhsa_float_round_mode_16_64 0
		.amdhsa_float_denorm_mode_32 3
		.amdhsa_float_denorm_mode_16_64 3
		.amdhsa_fp16_overflow 0
		.amdhsa_memory_ordered 1
		.amdhsa_forward_progress 1
		.amdhsa_inst_pref_size 8
		.amdhsa_round_robin_scheduling 0
		.amdhsa_exception_fp_ieee_invalid_op 0
		.amdhsa_exception_fp_denorm_src 0
		.amdhsa_exception_fp_ieee_div_zero 0
		.amdhsa_exception_fp_ieee_overflow 0
		.amdhsa_exception_fp_ieee_underflow 0
		.amdhsa_exception_fp_ieee_inexact 0
		.amdhsa_exception_int_div_zero 0
	.end_amdhsa_kernel
	.section	.text._ZN2at6native12_GLOBAL__N_125multi_tensor_apply_kernelINS1_18TensorListMetadataILi1EEENS1_14UnaryOpFunctorIdLi1ELi1ELi0EEEJNS0_5RoundIdEEEEEvT_T0_DpT1_,"axG",@progbits,_ZN2at6native12_GLOBAL__N_125multi_tensor_apply_kernelINS1_18TensorListMetadataILi1EEENS1_14UnaryOpFunctorIdLi1ELi1ELi0EEEJNS0_5RoundIdEEEEEvT_T0_DpT1_,comdat
.Lfunc_end261:
	.size	_ZN2at6native12_GLOBAL__N_125multi_tensor_apply_kernelINS1_18TensorListMetadataILi1EEENS1_14UnaryOpFunctorIdLi1ELi1ELi0EEEJNS0_5RoundIdEEEEEvT_T0_DpT1_, .Lfunc_end261-_ZN2at6native12_GLOBAL__N_125multi_tensor_apply_kernelINS1_18TensorListMetadataILi1EEENS1_14UnaryOpFunctorIdLi1ELi1ELi0EEEJNS0_5RoundIdEEEEEvT_T0_DpT1_
                                        ; -- End function
	.set _ZN2at6native12_GLOBAL__N_125multi_tensor_apply_kernelINS1_18TensorListMetadataILi1EEENS1_14UnaryOpFunctorIdLi1ELi1ELi0EEEJNS0_5RoundIdEEEEEvT_T0_DpT1_.num_vgpr, 28
	.set _ZN2at6native12_GLOBAL__N_125multi_tensor_apply_kernelINS1_18TensorListMetadataILi1EEENS1_14UnaryOpFunctorIdLi1ELi1ELi0EEEJNS0_5RoundIdEEEEEvT_T0_DpT1_.num_agpr, 0
	.set _ZN2at6native12_GLOBAL__N_125multi_tensor_apply_kernelINS1_18TensorListMetadataILi1EEENS1_14UnaryOpFunctorIdLi1ELi1ELi0EEEJNS0_5RoundIdEEEEEvT_T0_DpT1_.numbered_sgpr, 22
	.set _ZN2at6native12_GLOBAL__N_125multi_tensor_apply_kernelINS1_18TensorListMetadataILi1EEENS1_14UnaryOpFunctorIdLi1ELi1ELi0EEEJNS0_5RoundIdEEEEEvT_T0_DpT1_.num_named_barrier, 0
	.set _ZN2at6native12_GLOBAL__N_125multi_tensor_apply_kernelINS1_18TensorListMetadataILi1EEENS1_14UnaryOpFunctorIdLi1ELi1ELi0EEEJNS0_5RoundIdEEEEEvT_T0_DpT1_.private_seg_size, 0
	.set _ZN2at6native12_GLOBAL__N_125multi_tensor_apply_kernelINS1_18TensorListMetadataILi1EEENS1_14UnaryOpFunctorIdLi1ELi1ELi0EEEJNS0_5RoundIdEEEEEvT_T0_DpT1_.uses_vcc, 1
	.set _ZN2at6native12_GLOBAL__N_125multi_tensor_apply_kernelINS1_18TensorListMetadataILi1EEENS1_14UnaryOpFunctorIdLi1ELi1ELi0EEEJNS0_5RoundIdEEEEEvT_T0_DpT1_.uses_flat_scratch, 0
	.set _ZN2at6native12_GLOBAL__N_125multi_tensor_apply_kernelINS1_18TensorListMetadataILi1EEENS1_14UnaryOpFunctorIdLi1ELi1ELi0EEEJNS0_5RoundIdEEEEEvT_T0_DpT1_.has_dyn_sized_stack, 0
	.set _ZN2at6native12_GLOBAL__N_125multi_tensor_apply_kernelINS1_18TensorListMetadataILi1EEENS1_14UnaryOpFunctorIdLi1ELi1ELi0EEEJNS0_5RoundIdEEEEEvT_T0_DpT1_.has_recursion, 0
	.set _ZN2at6native12_GLOBAL__N_125multi_tensor_apply_kernelINS1_18TensorListMetadataILi1EEENS1_14UnaryOpFunctorIdLi1ELi1ELi0EEEJNS0_5RoundIdEEEEEvT_T0_DpT1_.has_indirect_call, 0
	.section	.AMDGPU.csdata,"",@progbits
; Kernel info:
; codeLenInByte = 960
; TotalNumSgprs: 24
; NumVgprs: 28
; ScratchSize: 0
; MemoryBound: 1
; FloatMode: 240
; IeeeMode: 1
; LDSByteSize: 0 bytes/workgroup (compile time only)
; SGPRBlocks: 0
; VGPRBlocks: 1
; NumSGPRsForWavesPerEU: 24
; NumVGPRsForWavesPerEU: 28
; NamedBarCnt: 0
; Occupancy: 16
; WaveLimiterHint : 0
; COMPUTE_PGM_RSRC2:SCRATCH_EN: 0
; COMPUTE_PGM_RSRC2:USER_SGPR: 2
; COMPUTE_PGM_RSRC2:TRAP_HANDLER: 0
; COMPUTE_PGM_RSRC2:TGID_X_EN: 1
; COMPUTE_PGM_RSRC2:TGID_Y_EN: 0
; COMPUTE_PGM_RSRC2:TGID_Z_EN: 0
; COMPUTE_PGM_RSRC2:TIDIG_COMP_CNT: 0
	.section	.text._ZN2at6native12_GLOBAL__N_125multi_tensor_apply_kernelINS1_18TensorListMetadataILi1EEENS1_14UnaryOpFunctorIfLi1ELi1ELi0EEEJNS0_5RoundIfEEEEEvT_T0_DpT1_,"axG",@progbits,_ZN2at6native12_GLOBAL__N_125multi_tensor_apply_kernelINS1_18TensorListMetadataILi1EEENS1_14UnaryOpFunctorIfLi1ELi1ELi0EEEJNS0_5RoundIfEEEEEvT_T0_DpT1_,comdat
	.globl	_ZN2at6native12_GLOBAL__N_125multi_tensor_apply_kernelINS1_18TensorListMetadataILi1EEENS1_14UnaryOpFunctorIfLi1ELi1ELi0EEEJNS0_5RoundIfEEEEEvT_T0_DpT1_ ; -- Begin function _ZN2at6native12_GLOBAL__N_125multi_tensor_apply_kernelINS1_18TensorListMetadataILi1EEENS1_14UnaryOpFunctorIfLi1ELi1ELi0EEEJNS0_5RoundIfEEEEEvT_T0_DpT1_
	.p2align	8
	.type	_ZN2at6native12_GLOBAL__N_125multi_tensor_apply_kernelINS1_18TensorListMetadataILi1EEENS1_14UnaryOpFunctorIfLi1ELi1ELi0EEEJNS0_5RoundIfEEEEEvT_T0_DpT1_,@function
_ZN2at6native12_GLOBAL__N_125multi_tensor_apply_kernelINS1_18TensorListMetadataILi1EEENS1_14UnaryOpFunctorIfLi1ELi1ELi0EEEJNS0_5RoundIfEEEEEvT_T0_DpT1_: ; @_ZN2at6native12_GLOBAL__N_125multi_tensor_apply_kernelINS1_18TensorListMetadataILi1EEENS1_14UnaryOpFunctorIfLi1ELi1ELi0EEEJNS0_5RoundIfEEEEEvT_T0_DpT1_
; %bb.0:
	s_bfe_u32 s2, ttmp6, 0x4000c
	s_and_b32 s3, ttmp6, 15
	s_add_co_i32 s2, s2, 1
	s_getreg_b32 s4, hwreg(HW_REG_IB_STS2, 6, 4)
	s_mul_i32 s2, ttmp9, s2
	s_delay_alu instid0(SALU_CYCLE_1)
	s_add_co_i32 s3, s3, s2
	s_cmp_eq_u32 s4, 0
	s_cselect_b32 s2, ttmp9, s3
	s_mov_b32 s3, 0
	s_load_u8 s8, s[0:1], s2 offset:0x6e0
	s_add_nc_u64 s[4:5], s[0:1], s[2:3]
	s_mul_u64 s[6:7], s[2:3], 3
	s_delay_alu instid0(SALU_CYCLE_1)
	s_add_nc_u64 s[4:5], s[4:5], s[6:7]
	s_load_b32 s10, s[4:5], 0x820
	s_wait_kmcnt 0x0
	s_clause 0x1
	s_load_b64 s[6:7], s[0:1], s8 offset:0x0 scale_offset
	s_load_b64 s[12:13], s[0:1], s8 offset:0x370 scale_offset
	s_ashr_i32 s11, s10, 31
	s_wait_kmcnt 0x0
	s_and_b64 s[4:5], s[6:7], 15
	s_and_b32 s2, s12, 3
	s_lshl_b64 s[8:9], s[10:11], 18
	s_or_b64 s[2:3], s[4:5], s[2:3]
	s_lshl_b64 s[4:5], s[10:11], 16
	s_cmp_eq_u64 s[2:3], 0
	s_sub_nc_u64 s[10:11], s[12:13], s[4:5]
	s_cbranch_scc1 .LBB262_21
; %bb.1:
	v_cmp_lt_i64_e64 s2, s[10:11], 1
	s_and_b32 vcc_lo, exec_lo, s2
	s_cbranch_vccnz .LBB262_20
; %bb.2:
	s_load_b32 s4, s[0:1], 0xd3c
	v_min_i64 v[2:3], 0x10000, s[10:11]
	v_min_u64 v[4:5], 0x10000, s[10:11]
	v_dual_mov_b32 v1, 0 :: v_dual_lshlrev_b32 v8, 2, v0
	s_mov_b32 s19, 0
	s_add_nc_u64 s[2:3], s[6:7], s[8:9]
	s_mov_b32 s5, s19
	s_delay_alu instid0(VALU_DEP_1)
	v_mov_b32_e32 v15, v1
	s_mov_b32 s17, s19
	s_mov_b32 s13, s19
	;; [unrolled: 1-line block ×3, first 2 shown]
	s_mov_b64 s[20:21], 0
	s_wait_kmcnt 0x0
	s_and_b32 s18, s4, 0xffff
	s_delay_alu instid0(SALU_CYCLE_1)
	v_add_nc_u64_e32 v[6:7], s[18:19], v[0:1]
	v_mov_b32_e32 v9, v1
	s_lshl_b32 s4, s18, 1
	s_mul_i32 s16, s18, 3
	v_add_nc_u64_e32 v[12:13], s[4:5], v[0:1]
	v_add_nc_u64_e32 v[10:11], s[16:17], v[0:1]
	s_lshl_b32 s12, s18, 2
	v_lshlrev_b32_e32 v14, 2, v6
	v_add_nc_u64_e32 v[8:9], s[2:3], v[8:9]
	s_lshl_b32 s14, s18, 4
	s_mul_u64 s[16:17], s[18:19], 12
	s_lshl_b32 s18, s18, 3
	v_add_nc_u64_e32 v[14:15], s[2:3], v[14:15]
	s_branch .LBB262_4
.LBB262_3:                              ;   in Loop: Header=BB262_4 Depth=1
	s_wait_xcnt 0x0
	s_or_b32 exec_lo, exec_lo, s2
	s_add_nc_u64 s[20:21], s[20:21], s[12:13]
	v_add_nc_u64_e32 v[8:9], s[14:15], v[8:9]
	v_cmp_lt_i64_e32 vcc_lo, s[20:21], v[2:3]
	v_add_nc_u64_e32 v[14:15], s[14:15], v[14:15]
	s_cbranch_vccz .LBB262_20
.LBB262_4:                              ; =>This Inner Loop Header: Depth=1
	v_add_nc_u64_e32 v[16:17], s[20:21], v[0:1]
	v_mov_b32_e32 v21, 0
	s_delay_alu instid0(VALU_DEP_2)
	v_cmp_lt_u64_e32 vcc_lo, v[16:17], v[4:5]
	s_and_saveexec_b32 s2, vcc_lo
	s_cbranch_execz .LBB262_6
; %bb.5:                                ;   in Loop: Header=BB262_4 Depth=1
	global_load_b32 v16, v[8:9], off
	s_wait_loadcnt 0x0
	v_rndne_f32_e32 v21, v16
.LBB262_6:                              ;   in Loop: Header=BB262_4 Depth=1
	s_wait_xcnt 0x0
	s_or_b32 exec_lo, exec_lo, s2
	v_add_nc_u64_e32 v[16:17], s[20:21], v[6:7]
	v_dual_mov_b32 v20, 0 :: v_dual_mov_b32 v22, 0
	s_delay_alu instid0(VALU_DEP_2)
	v_cmp_lt_u64_e64 s2, v[16:17], v[4:5]
	s_and_saveexec_b32 s3, s2
	s_cbranch_execz .LBB262_8
; %bb.7:                                ;   in Loop: Header=BB262_4 Depth=1
	global_load_b32 v16, v[14:15], off
	s_wait_loadcnt 0x0
	v_rndne_f32_e32 v22, v16
.LBB262_8:                              ;   in Loop: Header=BB262_4 Depth=1
	s_wait_xcnt 0x0
	s_or_b32 exec_lo, exec_lo, s3
	v_add_nc_u64_e32 v[16:17], s[20:21], v[12:13]
	s_delay_alu instid0(VALU_DEP_1)
	v_cmp_lt_u64_e64 s3, v[16:17], v[4:5]
	v_add_nc_u64_e32 v[16:17], s[18:19], v[8:9]
	s_and_saveexec_b32 s4, s3
	s_cbranch_execz .LBB262_10
; %bb.9:                                ;   in Loop: Header=BB262_4 Depth=1
	global_load_b32 v18, v[16:17], off
	s_wait_loadcnt 0x0
	v_rndne_f32_e32 v20, v18
.LBB262_10:                             ;   in Loop: Header=BB262_4 Depth=1
	s_wait_xcnt 0x0
	s_or_b32 exec_lo, exec_lo, s4
	v_add_nc_u64_e32 v[18:19], s[20:21], v[10:11]
	v_mov_b32_e32 v23, 0
	s_delay_alu instid0(VALU_DEP_2)
	v_cmp_lt_u64_e64 s4, v[18:19], v[4:5]
	v_add_nc_u64_e32 v[18:19], s[16:17], v[8:9]
	s_and_saveexec_b32 s5, s4
	s_cbranch_execnz .LBB262_15
; %bb.11:                               ;   in Loop: Header=BB262_4 Depth=1
	s_or_b32 exec_lo, exec_lo, s5
	s_and_saveexec_b32 s5, vcc_lo
	s_cbranch_execnz .LBB262_16
.LBB262_12:                             ;   in Loop: Header=BB262_4 Depth=1
	s_or_b32 exec_lo, exec_lo, s5
	s_and_saveexec_b32 s5, s2
	s_cbranch_execnz .LBB262_17
.LBB262_13:                             ;   in Loop: Header=BB262_4 Depth=1
	s_or_b32 exec_lo, exec_lo, s5
	s_and_saveexec_b32 s2, s3
	s_cbranch_execnz .LBB262_18
.LBB262_14:                             ;   in Loop: Header=BB262_4 Depth=1
	s_or_b32 exec_lo, exec_lo, s2
	s_and_saveexec_b32 s2, s4
	s_cbranch_execz .LBB262_3
	s_branch .LBB262_19
.LBB262_15:                             ;   in Loop: Header=BB262_4 Depth=1
	global_load_b32 v23, v[18:19], off
	s_wait_loadcnt 0x0
	v_rndne_f32_e32 v23, v23
	s_wait_xcnt 0x0
	s_or_b32 exec_lo, exec_lo, s5
	s_and_saveexec_b32 s5, vcc_lo
	s_cbranch_execz .LBB262_12
.LBB262_16:                             ;   in Loop: Header=BB262_4 Depth=1
	global_store_b32 v[8:9], v21, off
	s_wait_xcnt 0x0
	s_or_b32 exec_lo, exec_lo, s5
	s_and_saveexec_b32 s5, s2
	s_cbranch_execz .LBB262_13
.LBB262_17:                             ;   in Loop: Header=BB262_4 Depth=1
	global_store_b32 v[14:15], v22, off
	s_wait_xcnt 0x0
	s_or_b32 exec_lo, exec_lo, s5
	s_and_saveexec_b32 s2, s3
	s_cbranch_execz .LBB262_14
.LBB262_18:                             ;   in Loop: Header=BB262_4 Depth=1
	global_store_b32 v[16:17], v20, off
	s_wait_xcnt 0x0
	s_or_b32 exec_lo, exec_lo, s2
	s_and_saveexec_b32 s2, s4
	s_cbranch_execz .LBB262_3
.LBB262_19:                             ;   in Loop: Header=BB262_4 Depth=1
	global_store_b32 v[18:19], v23, off
	s_branch .LBB262_3
.LBB262_20:
	s_cbranch_execz .LBB262_22
	s_branch .LBB262_30
.LBB262_21:
.LBB262_22:
	v_min_i64 v[2:3], 0x10000, s[10:11]
	v_dual_mov_b32 v5, 0 :: v_dual_lshlrev_b32 v4, 2, v0
	s_mov_b32 s2, exec_lo
	s_delay_alu instid0(VALU_DEP_1)
	v_cmpx_lt_i64_e64 v[4:5], v[2:3]
	s_cbranch_execz .LBB262_30
; %bb.23:
	v_dual_mov_b32 v7, v5 :: v_dual_add_nc_u32 v6, 4, v4
	s_load_b32 s0, s[0:1], 0xd3c
	s_wait_xcnt 0x0
	s_mov_b32 s1, 0
	v_mov_b32_e32 v1, v5
	s_mov_b32 s3, -1
	v_max_i64 v[6:7], v[2:3], v[6:7]
	v_mov_b32_e32 v9, s1
	s_wait_kmcnt 0x0
	s_and_b32 s0, s0, 0xffff
	s_delay_alu instid0(SALU_CYCLE_1) | instskip(SKIP_1) | instid1(VALU_DEP_2)
	s_cmp_eq_u32 s0, 1
	s_cselect_b32 s2, -1, 0
	v_add_nc_u64_e32 v[6:7], -4, v[6:7]
	s_delay_alu instid0(VALU_DEP_1) | instskip(SKIP_1) | instid1(VALU_DEP_1)
	v_cmp_ne_u64_e32 vcc_lo, v[6:7], v[4:5]
	v_cndmask_b32_e64 v8, 0, 1, vcc_lo
	v_or_b32_e32 v4, v4, v8
	s_delay_alu instid0(VALU_DEP_1) | instskip(NEXT) | instid1(VALU_DEP_1)
	v_sub_nc_u64_e32 v[6:7], v[6:7], v[4:5]
	v_lshrrev_b64 v[6:7], 2, v[6:7]
	s_delay_alu instid0(VALU_DEP_1) | instskip(NEXT) | instid1(VALU_DEP_1)
	v_add_nc_u64_e32 v[6:7], v[6:7], v[8:9]
	v_cmp_ne_u64_e32 vcc_lo, 0, v[6:7]
	s_and_b32 s4, vcc_lo, s2
	s_delay_alu instid0(SALU_CYCLE_1)
	s_and_saveexec_b32 s2, s4
	s_cbranch_execz .LBB262_27
; %bb.24:
	v_dual_mov_b32 v9, 0 :: v_dual_lshlrev_b32 v8, 4, v0
	v_add_nc_u64_e32 v[4:5], 1, v[6:7]
	s_add_nc_u64 s[4:5], s[6:7], s[8:9]
	s_delay_alu instid0(VALU_DEP_2) | instid1(SALU_CYCLE_1)
	v_add_nc_u64_e32 v[8:9], s[4:5], v[8:9]
	s_delay_alu instid0(VALU_DEP_2) | instskip(NEXT) | instid1(VALU_DEP_2)
	v_dual_mov_b32 v7, v5 :: v_dual_bitop2_b32 v6, -2, v4 bitop3:0x40
	v_add_nc_u64_e32 v[8:9], 28, v[8:9]
	s_delay_alu instid0(VALU_DEP_2)
	v_mov_b64_e32 v[10:11], v[6:7]
.LBB262_25:                             ; =>This Inner Loop Header: Depth=1
	s_clause 0x1
	global_load_b128 v[12:15], v[8:9], off offset:-12
	global_load_b128 v[16:19], v[8:9], off offset:-28
	v_add_nc_u64_e32 v[10:11], -2, v[10:11]
	s_delay_alu instid0(VALU_DEP_1)
	v_cmp_eq_u64_e32 vcc_lo, 0, v[10:11]
	s_or_b32 s1, vcc_lo, s1
	s_wait_loadcnt 0x1
	v_rndne_f32_e32 v12, v12
	s_wait_loadcnt 0x0
	v_rndne_f32_e32 v16, v16
	v_rndne_f32_e32 v17, v17
	;; [unrolled: 1-line block ×7, first 2 shown]
	s_clause 0x1
	global_store_b128 v[8:9], v[16:19], off offset:-28
	global_store_b128 v[8:9], v[12:15], off offset:-12
	s_wait_xcnt 0x0
	v_add_nc_u64_e32 v[8:9], 32, v[8:9]
	s_and_not1_b32 exec_lo, exec_lo, s1
	s_cbranch_execnz .LBB262_25
; %bb.26:
	s_or_b32 exec_lo, exec_lo, s1
	v_cmp_ne_u64_e32 vcc_lo, v[4:5], v[6:7]
	v_add_nc_u64_e32 v[0:1], v[6:7], v[0:1]
	s_or_not1_b32 s3, vcc_lo, exec_lo
.LBB262_27:
	s_or_b32 exec_lo, exec_lo, s2
	s_delay_alu instid0(SALU_CYCLE_1)
	s_and_b32 exec_lo, exec_lo, s3
	s_cbranch_execz .LBB262_30
; %bb.28:
	s_add_nc_u64 s[2:3], s[6:7], s[8:9]
	s_mov_b32 s1, 0
	v_lshl_add_u64 v[4:5], v[0:1], 4, s[2:3]
	s_lshl_b32 s2, s0, 4
	s_mov_b32 s3, s1
	s_mov_b32 s4, s1
	s_delay_alu instid0(VALU_DEP_1)
	v_add_nc_u64_e32 v[4:5], 8, v[4:5]
.LBB262_29:                             ; =>This Inner Loop Header: Depth=1
	global_load_b128 v[6:9], v[4:5], off offset:-8
	v_add_nc_u64_e32 v[0:1], s[0:1], v[0:1]
	s_delay_alu instid0(VALU_DEP_1) | instskip(NEXT) | instid1(VALU_DEP_1)
	v_lshlrev_b64_e32 v[10:11], 2, v[0:1]
	v_cmp_ge_i64_e32 vcc_lo, v[10:11], v[2:3]
	s_or_b32 s4, vcc_lo, s4
	s_wait_loadcnt 0x0
	v_rndne_f32_e32 v6, v6
	v_rndne_f32_e32 v7, v7
	;; [unrolled: 1-line block ×4, first 2 shown]
	global_store_b128 v[4:5], v[6:9], off offset:-8
	s_wait_xcnt 0x0
	v_add_nc_u64_e32 v[4:5], s[2:3], v[4:5]
	s_and_not1_b32 exec_lo, exec_lo, s4
	s_cbranch_execnz .LBB262_29
.LBB262_30:
	s_endpgm
	.section	.rodata,"a",@progbits
	.p2align	6, 0x0
	.amdhsa_kernel _ZN2at6native12_GLOBAL__N_125multi_tensor_apply_kernelINS1_18TensorListMetadataILi1EEENS1_14UnaryOpFunctorIfLi1ELi1ELi0EEEJNS0_5RoundIfEEEEEvT_T0_DpT1_
		.amdhsa_group_segment_fixed_size 0
		.amdhsa_private_segment_fixed_size 0
		.amdhsa_kernarg_size 3632
		.amdhsa_user_sgpr_count 2
		.amdhsa_user_sgpr_dispatch_ptr 0
		.amdhsa_user_sgpr_queue_ptr 0
		.amdhsa_user_sgpr_kernarg_segment_ptr 1
		.amdhsa_user_sgpr_dispatch_id 0
		.amdhsa_user_sgpr_kernarg_preload_length 0
		.amdhsa_user_sgpr_kernarg_preload_offset 0
		.amdhsa_user_sgpr_private_segment_size 0
		.amdhsa_wavefront_size32 1
		.amdhsa_uses_dynamic_stack 0
		.amdhsa_enable_private_segment 0
		.amdhsa_system_sgpr_workgroup_id_x 1
		.amdhsa_system_sgpr_workgroup_id_y 0
		.amdhsa_system_sgpr_workgroup_id_z 0
		.amdhsa_system_sgpr_workgroup_info 0
		.amdhsa_system_vgpr_workitem_id 0
		.amdhsa_next_free_vgpr 24
		.amdhsa_next_free_sgpr 22
		.amdhsa_named_barrier_count 0
		.amdhsa_reserve_vcc 1
		.amdhsa_float_round_mode_32 0
		.amdhsa_float_round_mode_16_64 0
		.amdhsa_float_denorm_mode_32 3
		.amdhsa_float_denorm_mode_16_64 3
		.amdhsa_fp16_overflow 0
		.amdhsa_memory_ordered 1
		.amdhsa_forward_progress 1
		.amdhsa_inst_pref_size 10
		.amdhsa_round_robin_scheduling 0
		.amdhsa_exception_fp_ieee_invalid_op 0
		.amdhsa_exception_fp_denorm_src 0
		.amdhsa_exception_fp_ieee_div_zero 0
		.amdhsa_exception_fp_ieee_overflow 0
		.amdhsa_exception_fp_ieee_underflow 0
		.amdhsa_exception_fp_ieee_inexact 0
		.amdhsa_exception_int_div_zero 0
	.end_amdhsa_kernel
	.section	.text._ZN2at6native12_GLOBAL__N_125multi_tensor_apply_kernelINS1_18TensorListMetadataILi1EEENS1_14UnaryOpFunctorIfLi1ELi1ELi0EEEJNS0_5RoundIfEEEEEvT_T0_DpT1_,"axG",@progbits,_ZN2at6native12_GLOBAL__N_125multi_tensor_apply_kernelINS1_18TensorListMetadataILi1EEENS1_14UnaryOpFunctorIfLi1ELi1ELi0EEEJNS0_5RoundIfEEEEEvT_T0_DpT1_,comdat
.Lfunc_end262:
	.size	_ZN2at6native12_GLOBAL__N_125multi_tensor_apply_kernelINS1_18TensorListMetadataILi1EEENS1_14UnaryOpFunctorIfLi1ELi1ELi0EEEJNS0_5RoundIfEEEEEvT_T0_DpT1_, .Lfunc_end262-_ZN2at6native12_GLOBAL__N_125multi_tensor_apply_kernelINS1_18TensorListMetadataILi1EEENS1_14UnaryOpFunctorIfLi1ELi1ELi0EEEJNS0_5RoundIfEEEEEvT_T0_DpT1_
                                        ; -- End function
	.set _ZN2at6native12_GLOBAL__N_125multi_tensor_apply_kernelINS1_18TensorListMetadataILi1EEENS1_14UnaryOpFunctorIfLi1ELi1ELi0EEEJNS0_5RoundIfEEEEEvT_T0_DpT1_.num_vgpr, 24
	.set _ZN2at6native12_GLOBAL__N_125multi_tensor_apply_kernelINS1_18TensorListMetadataILi1EEENS1_14UnaryOpFunctorIfLi1ELi1ELi0EEEJNS0_5RoundIfEEEEEvT_T0_DpT1_.num_agpr, 0
	.set _ZN2at6native12_GLOBAL__N_125multi_tensor_apply_kernelINS1_18TensorListMetadataILi1EEENS1_14UnaryOpFunctorIfLi1ELi1ELi0EEEJNS0_5RoundIfEEEEEvT_T0_DpT1_.numbered_sgpr, 22
	.set _ZN2at6native12_GLOBAL__N_125multi_tensor_apply_kernelINS1_18TensorListMetadataILi1EEENS1_14UnaryOpFunctorIfLi1ELi1ELi0EEEJNS0_5RoundIfEEEEEvT_T0_DpT1_.num_named_barrier, 0
	.set _ZN2at6native12_GLOBAL__N_125multi_tensor_apply_kernelINS1_18TensorListMetadataILi1EEENS1_14UnaryOpFunctorIfLi1ELi1ELi0EEEJNS0_5RoundIfEEEEEvT_T0_DpT1_.private_seg_size, 0
	.set _ZN2at6native12_GLOBAL__N_125multi_tensor_apply_kernelINS1_18TensorListMetadataILi1EEENS1_14UnaryOpFunctorIfLi1ELi1ELi0EEEJNS0_5RoundIfEEEEEvT_T0_DpT1_.uses_vcc, 1
	.set _ZN2at6native12_GLOBAL__N_125multi_tensor_apply_kernelINS1_18TensorListMetadataILi1EEENS1_14UnaryOpFunctorIfLi1ELi1ELi0EEEJNS0_5RoundIfEEEEEvT_T0_DpT1_.uses_flat_scratch, 0
	.set _ZN2at6native12_GLOBAL__N_125multi_tensor_apply_kernelINS1_18TensorListMetadataILi1EEENS1_14UnaryOpFunctorIfLi1ELi1ELi0EEEJNS0_5RoundIfEEEEEvT_T0_DpT1_.has_dyn_sized_stack, 0
	.set _ZN2at6native12_GLOBAL__N_125multi_tensor_apply_kernelINS1_18TensorListMetadataILi1EEENS1_14UnaryOpFunctorIfLi1ELi1ELi0EEEJNS0_5RoundIfEEEEEvT_T0_DpT1_.has_recursion, 0
	.set _ZN2at6native12_GLOBAL__N_125multi_tensor_apply_kernelINS1_18TensorListMetadataILi1EEENS1_14UnaryOpFunctorIfLi1ELi1ELi0EEEJNS0_5RoundIfEEEEEvT_T0_DpT1_.has_indirect_call, 0
	.section	.AMDGPU.csdata,"",@progbits
; Kernel info:
; codeLenInByte = 1240
; TotalNumSgprs: 24
; NumVgprs: 24
; ScratchSize: 0
; MemoryBound: 0
; FloatMode: 240
; IeeeMode: 1
; LDSByteSize: 0 bytes/workgroup (compile time only)
; SGPRBlocks: 0
; VGPRBlocks: 1
; NumSGPRsForWavesPerEU: 24
; NumVGPRsForWavesPerEU: 24
; NamedBarCnt: 0
; Occupancy: 16
; WaveLimiterHint : 0
; COMPUTE_PGM_RSRC2:SCRATCH_EN: 0
; COMPUTE_PGM_RSRC2:USER_SGPR: 2
; COMPUTE_PGM_RSRC2:TRAP_HANDLER: 0
; COMPUTE_PGM_RSRC2:TGID_X_EN: 1
; COMPUTE_PGM_RSRC2:TGID_Y_EN: 0
; COMPUTE_PGM_RSRC2:TGID_Z_EN: 0
; COMPUTE_PGM_RSRC2:TIDIG_COMP_CNT: 0
	.section	.text._ZN2at6native12_GLOBAL__N_125multi_tensor_apply_kernelINS1_18TensorListMetadataILi1EEENS1_14UnaryOpFunctorIN3c104HalfELi1ELi1ELi0EEEJNS0_5RoundIfEEEEEvT_T0_DpT1_,"axG",@progbits,_ZN2at6native12_GLOBAL__N_125multi_tensor_apply_kernelINS1_18TensorListMetadataILi1EEENS1_14UnaryOpFunctorIN3c104HalfELi1ELi1ELi0EEEJNS0_5RoundIfEEEEEvT_T0_DpT1_,comdat
	.globl	_ZN2at6native12_GLOBAL__N_125multi_tensor_apply_kernelINS1_18TensorListMetadataILi1EEENS1_14UnaryOpFunctorIN3c104HalfELi1ELi1ELi0EEEJNS0_5RoundIfEEEEEvT_T0_DpT1_ ; -- Begin function _ZN2at6native12_GLOBAL__N_125multi_tensor_apply_kernelINS1_18TensorListMetadataILi1EEENS1_14UnaryOpFunctorIN3c104HalfELi1ELi1ELi0EEEJNS0_5RoundIfEEEEEvT_T0_DpT1_
	.p2align	8
	.type	_ZN2at6native12_GLOBAL__N_125multi_tensor_apply_kernelINS1_18TensorListMetadataILi1EEENS1_14UnaryOpFunctorIN3c104HalfELi1ELi1ELi0EEEJNS0_5RoundIfEEEEEvT_T0_DpT1_,@function
_ZN2at6native12_GLOBAL__N_125multi_tensor_apply_kernelINS1_18TensorListMetadataILi1EEENS1_14UnaryOpFunctorIN3c104HalfELi1ELi1ELi0EEEJNS0_5RoundIfEEEEEvT_T0_DpT1_: ; @_ZN2at6native12_GLOBAL__N_125multi_tensor_apply_kernelINS1_18TensorListMetadataILi1EEENS1_14UnaryOpFunctorIN3c104HalfELi1ELi1ELi0EEEJNS0_5RoundIfEEEEEvT_T0_DpT1_
; %bb.0:
	s_bfe_u32 s2, ttmp6, 0x4000c
	s_and_b32 s3, ttmp6, 15
	s_add_co_i32 s2, s2, 1
	s_getreg_b32 s4, hwreg(HW_REG_IB_STS2, 6, 4)
	s_mul_i32 s2, ttmp9, s2
	s_delay_alu instid0(SALU_CYCLE_1)
	s_add_co_i32 s3, s3, s2
	s_cmp_eq_u32 s4, 0
	s_cselect_b32 s2, ttmp9, s3
	s_mov_b32 s3, 0
	s_load_u8 s8, s[0:1], s2 offset:0x6e0
	s_add_nc_u64 s[4:5], s[0:1], s[2:3]
	s_mul_u64 s[6:7], s[2:3], 3
	s_delay_alu instid0(SALU_CYCLE_1)
	s_add_nc_u64 s[4:5], s[4:5], s[6:7]
	s_load_b32 s10, s[4:5], 0x820
	s_wait_kmcnt 0x0
	s_clause 0x1
	s_load_b64 s[6:7], s[0:1], s8 offset:0x0 scale_offset
	s_load_b64 s[12:13], s[0:1], s8 offset:0x370 scale_offset
	s_ashr_i32 s11, s10, 31
	s_wait_kmcnt 0x0
	s_and_b64 s[4:5], s[6:7], 7
	s_and_b32 s2, s12, 3
	s_lshl_b64 s[8:9], s[10:11], 17
	s_or_b64 s[2:3], s[4:5], s[2:3]
	s_lshl_b64 s[4:5], s[10:11], 16
	s_cmp_eq_u64 s[2:3], 0
	s_sub_nc_u64 s[10:11], s[12:13], s[4:5]
	s_cbranch_scc1 .LBB263_21
; %bb.1:
	v_cmp_lt_i64_e64 s2, s[10:11], 1
	s_and_b32 vcc_lo, exec_lo, s2
	s_cbranch_vccnz .LBB263_20
; %bb.2:
	s_load_b32 s2, s[0:1], 0xd3c
	v_min_i64 v[2:3], 0x10000, s[10:11]
	v_min_u64 v[4:5], 0x10000, s[10:11]
	v_dual_mov_b32 v1, 0 :: v_dual_lshlrev_b32 v8, 1, v0
	s_mov_b32 s3, 0
	s_add_nc_u64 s[4:5], s[6:7], s[8:9]
	s_mov_b32 s15, s3
	s_delay_alu instid0(VALU_DEP_1)
	v_mov_b32_e32 v15, v1
	s_mov_b32 s17, s3
	s_mov_b32 s13, s3
	s_mov_b64 s[18:19], 0
	s_wait_kmcnt 0x0
	s_and_b32 s2, s2, 0xffff
	s_delay_alu instid0(SALU_CYCLE_1)
	v_add_nc_u64_e32 v[6:7], s[2:3], v[0:1]
	v_mov_b32_e32 v9, v1
	s_lshl_b32 s14, s2, 1
	s_mul_i32 s16, s2, 3
	v_add_nc_u64_e32 v[12:13], s[14:15], v[0:1]
	v_add_nc_u64_e32 v[10:11], s[16:17], v[0:1]
	s_lshl_b32 s12, s2, 2
	v_lshlrev_b32_e32 v14, 1, v6
	v_add_nc_u64_e32 v[8:9], s[4:5], v[8:9]
	s_lshl_b32 s14, s2, 3
	s_mul_u64 s[16:17], s[2:3], 6
	s_delay_alu instid0(VALU_DEP_2)
	v_add_nc_u64_e32 v[14:15], s[4:5], v[14:15]
	s_branch .LBB263_4
.LBB263_3:                              ;   in Loop: Header=BB263_4 Depth=1
	s_wait_xcnt 0x0
	s_or_b32 exec_lo, exec_lo, s2
	s_add_nc_u64 s[18:19], s[18:19], s[12:13]
	v_add_nc_u64_e32 v[8:9], s[14:15], v[8:9]
	v_cmp_lt_i64_e32 vcc_lo, s[18:19], v[2:3]
	v_add_nc_u64_e32 v[14:15], s[14:15], v[14:15]
	s_cbranch_vccz .LBB263_20
.LBB263_4:                              ; =>This Inner Loop Header: Depth=1
	v_add_nc_u64_e32 v[16:17], s[18:19], v[0:1]
	v_mov_b32_e32 v21, 0
	s_delay_alu instid0(VALU_DEP_2)
	v_cmp_lt_u64_e32 vcc_lo, v[16:17], v[4:5]
	s_and_saveexec_b32 s2, vcc_lo
	s_cbranch_execz .LBB263_6
; %bb.5:                                ;   in Loop: Header=BB263_4 Depth=1
	global_load_u16 v16, v[8:9], off
	s_wait_loadcnt 0x0
	v_rndne_f16_e32 v21, v16
.LBB263_6:                              ;   in Loop: Header=BB263_4 Depth=1
	s_wait_xcnt 0x0
	s_or_b32 exec_lo, exec_lo, s2
	v_add_nc_u64_e32 v[16:17], s[18:19], v[6:7]
	v_dual_mov_b32 v20, 0 :: v_dual_mov_b32 v22, 0
	s_delay_alu instid0(VALU_DEP_2)
	v_cmp_lt_u64_e64 s2, v[16:17], v[4:5]
	s_and_saveexec_b32 s3, s2
	s_cbranch_execz .LBB263_8
; %bb.7:                                ;   in Loop: Header=BB263_4 Depth=1
	global_load_u16 v16, v[14:15], off
	s_wait_loadcnt 0x0
	v_rndne_f16_e32 v22, v16
.LBB263_8:                              ;   in Loop: Header=BB263_4 Depth=1
	s_wait_xcnt 0x0
	s_or_b32 exec_lo, exec_lo, s3
	v_add_nc_u64_e32 v[16:17], s[18:19], v[12:13]
	s_delay_alu instid0(VALU_DEP_1)
	v_cmp_lt_u64_e64 s3, v[16:17], v[4:5]
	v_add_nc_u64_e32 v[16:17], s[12:13], v[8:9]
	s_and_saveexec_b32 s4, s3
	s_cbranch_execz .LBB263_10
; %bb.9:                                ;   in Loop: Header=BB263_4 Depth=1
	global_load_u16 v18, v[16:17], off
	s_wait_loadcnt 0x0
	v_rndne_f16_e32 v20, v18
.LBB263_10:                             ;   in Loop: Header=BB263_4 Depth=1
	s_wait_xcnt 0x0
	s_or_b32 exec_lo, exec_lo, s4
	v_add_nc_u64_e32 v[18:19], s[18:19], v[10:11]
	v_mov_b32_e32 v23, 0
	s_delay_alu instid0(VALU_DEP_2)
	v_cmp_lt_u64_e64 s4, v[18:19], v[4:5]
	v_add_nc_u64_e32 v[18:19], s[16:17], v[8:9]
	s_and_saveexec_b32 s5, s4
	s_cbranch_execnz .LBB263_15
; %bb.11:                               ;   in Loop: Header=BB263_4 Depth=1
	s_or_b32 exec_lo, exec_lo, s5
	s_and_saveexec_b32 s5, vcc_lo
	s_cbranch_execnz .LBB263_16
.LBB263_12:                             ;   in Loop: Header=BB263_4 Depth=1
	s_or_b32 exec_lo, exec_lo, s5
	s_and_saveexec_b32 s5, s2
	s_cbranch_execnz .LBB263_17
.LBB263_13:                             ;   in Loop: Header=BB263_4 Depth=1
	s_or_b32 exec_lo, exec_lo, s5
	s_and_saveexec_b32 s2, s3
	s_cbranch_execnz .LBB263_18
.LBB263_14:                             ;   in Loop: Header=BB263_4 Depth=1
	s_or_b32 exec_lo, exec_lo, s2
	s_and_saveexec_b32 s2, s4
	s_cbranch_execz .LBB263_3
	s_branch .LBB263_19
.LBB263_15:                             ;   in Loop: Header=BB263_4 Depth=1
	global_load_u16 v23, v[18:19], off
	s_wait_loadcnt 0x0
	v_rndne_f16_e32 v23, v23
	s_wait_xcnt 0x0
	s_or_b32 exec_lo, exec_lo, s5
	s_and_saveexec_b32 s5, vcc_lo
	s_cbranch_execz .LBB263_12
.LBB263_16:                             ;   in Loop: Header=BB263_4 Depth=1
	global_store_b16 v[8:9], v21, off
	s_wait_xcnt 0x0
	s_or_b32 exec_lo, exec_lo, s5
	s_and_saveexec_b32 s5, s2
	s_cbranch_execz .LBB263_13
.LBB263_17:                             ;   in Loop: Header=BB263_4 Depth=1
	global_store_b16 v[14:15], v22, off
	s_wait_xcnt 0x0
	s_or_b32 exec_lo, exec_lo, s5
	s_and_saveexec_b32 s2, s3
	s_cbranch_execz .LBB263_14
.LBB263_18:                             ;   in Loop: Header=BB263_4 Depth=1
	global_store_b16 v[16:17], v20, off
	s_wait_xcnt 0x0
	s_or_b32 exec_lo, exec_lo, s2
	s_and_saveexec_b32 s2, s4
	s_cbranch_execz .LBB263_3
.LBB263_19:                             ;   in Loop: Header=BB263_4 Depth=1
	global_store_b16 v[18:19], v23, off
	s_branch .LBB263_3
.LBB263_20:
	s_cbranch_execz .LBB263_22
	s_branch .LBB263_25
.LBB263_21:
.LBB263_22:
	v_min_i64 v[2:3], 0x10000, s[10:11]
	v_dual_mov_b32 v5, 0 :: v_dual_lshlrev_b32 v4, 2, v0
	s_mov_b32 s2, exec_lo
	s_delay_alu instid0(VALU_DEP_1)
	v_cmpx_lt_i64_e64 v[4:5], v[2:3]
	s_cbranch_execz .LBB263_25
; %bb.23:
	s_load_b32 s2, s[0:1], 0xd3c
	v_dual_mov_b32 v1, v5 :: v_dual_lshlrev_b32 v4, 3, v0
	s_wait_xcnt 0x0
	s_add_nc_u64 s[0:1], s[6:7], s[8:9]
	s_delay_alu instid0(VALU_DEP_1) | instid1(SALU_CYCLE_1)
	v_add_nc_u64_e32 v[6:7], s[0:1], v[4:5]
	s_mov_b32 s1, 0
	s_delay_alu instid0(SALU_CYCLE_1) | instskip(SKIP_1) | instid1(VALU_DEP_1)
	s_mov_b32 s3, s1
	s_mov_b32 s4, s1
	v_add_nc_u64_e32 v[4:5], 4, v[6:7]
	s_wait_kmcnt 0x0
	s_and_b32 s0, s2, 0xffff
	s_delay_alu instid0(SALU_CYCLE_1)
	s_lshl_b32 s2, s0, 3
.LBB263_24:                             ; =>This Inner Loop Header: Depth=1
	global_load_b64 v[6:7], v[4:5], off offset:-4
	v_add_nc_u64_e32 v[0:1], s[0:1], v[0:1]
	s_wait_loadcnt 0x0
	v_dual_lshrrev_b32 v8, 16, v7 :: v_dual_lshrrev_b32 v9, 16, v6
	v_rndne_f16_e32 v10, v6
	v_rndne_f16_e32 v11, v7
	s_delay_alu instid0(VALU_DEP_4) | instskip(NEXT) | instid1(VALU_DEP_4)
	v_lshlrev_b64_e32 v[6:7], 2, v[0:1]
	v_rndne_f16_e32 v8, v8
	v_rndne_f16_e32 v12, v9
	s_delay_alu instid0(VALU_DEP_2) | instskip(NEXT) | instid1(VALU_DEP_2)
	v_pack_b32_f16 v9, v11, v8
	v_pack_b32_f16 v8, v10, v12
	v_cmp_ge_i64_e32 vcc_lo, v[6:7], v[2:3]
	global_store_b64 v[4:5], v[8:9], off offset:-4
	s_wait_xcnt 0x0
	v_add_nc_u64_e32 v[4:5], s[2:3], v[4:5]
	s_or_b32 s4, vcc_lo, s4
	s_delay_alu instid0(SALU_CYCLE_1)
	s_and_not1_b32 exec_lo, exec_lo, s4
	s_cbranch_execnz .LBB263_24
.LBB263_25:
	s_endpgm
	.section	.rodata,"a",@progbits
	.p2align	6, 0x0
	.amdhsa_kernel _ZN2at6native12_GLOBAL__N_125multi_tensor_apply_kernelINS1_18TensorListMetadataILi1EEENS1_14UnaryOpFunctorIN3c104HalfELi1ELi1ELi0EEEJNS0_5RoundIfEEEEEvT_T0_DpT1_
		.amdhsa_group_segment_fixed_size 0
		.amdhsa_private_segment_fixed_size 0
		.amdhsa_kernarg_size 3632
		.amdhsa_user_sgpr_count 2
		.amdhsa_user_sgpr_dispatch_ptr 0
		.amdhsa_user_sgpr_queue_ptr 0
		.amdhsa_user_sgpr_kernarg_segment_ptr 1
		.amdhsa_user_sgpr_dispatch_id 0
		.amdhsa_user_sgpr_kernarg_preload_length 0
		.amdhsa_user_sgpr_kernarg_preload_offset 0
		.amdhsa_user_sgpr_private_segment_size 0
		.amdhsa_wavefront_size32 1
		.amdhsa_uses_dynamic_stack 0
		.amdhsa_enable_private_segment 0
		.amdhsa_system_sgpr_workgroup_id_x 1
		.amdhsa_system_sgpr_workgroup_id_y 0
		.amdhsa_system_sgpr_workgroup_id_z 0
		.amdhsa_system_sgpr_workgroup_info 0
		.amdhsa_system_vgpr_workitem_id 0
		.amdhsa_next_free_vgpr 24
		.amdhsa_next_free_sgpr 20
		.amdhsa_named_barrier_count 0
		.amdhsa_reserve_vcc 1
		.amdhsa_float_round_mode_32 0
		.amdhsa_float_round_mode_16_64 0
		.amdhsa_float_denorm_mode_32 3
		.amdhsa_float_denorm_mode_16_64 3
		.amdhsa_fp16_overflow 0
		.amdhsa_memory_ordered 1
		.amdhsa_forward_progress 1
		.amdhsa_inst_pref_size 8
		.amdhsa_round_robin_scheduling 0
		.amdhsa_exception_fp_ieee_invalid_op 0
		.amdhsa_exception_fp_denorm_src 0
		.amdhsa_exception_fp_ieee_div_zero 0
		.amdhsa_exception_fp_ieee_overflow 0
		.amdhsa_exception_fp_ieee_underflow 0
		.amdhsa_exception_fp_ieee_inexact 0
		.amdhsa_exception_int_div_zero 0
	.end_amdhsa_kernel
	.section	.text._ZN2at6native12_GLOBAL__N_125multi_tensor_apply_kernelINS1_18TensorListMetadataILi1EEENS1_14UnaryOpFunctorIN3c104HalfELi1ELi1ELi0EEEJNS0_5RoundIfEEEEEvT_T0_DpT1_,"axG",@progbits,_ZN2at6native12_GLOBAL__N_125multi_tensor_apply_kernelINS1_18TensorListMetadataILi1EEENS1_14UnaryOpFunctorIN3c104HalfELi1ELi1ELi0EEEJNS0_5RoundIfEEEEEvT_T0_DpT1_,comdat
.Lfunc_end263:
	.size	_ZN2at6native12_GLOBAL__N_125multi_tensor_apply_kernelINS1_18TensorListMetadataILi1EEENS1_14UnaryOpFunctorIN3c104HalfELi1ELi1ELi0EEEJNS0_5RoundIfEEEEEvT_T0_DpT1_, .Lfunc_end263-_ZN2at6native12_GLOBAL__N_125multi_tensor_apply_kernelINS1_18TensorListMetadataILi1EEENS1_14UnaryOpFunctorIN3c104HalfELi1ELi1ELi0EEEJNS0_5RoundIfEEEEEvT_T0_DpT1_
                                        ; -- End function
	.set _ZN2at6native12_GLOBAL__N_125multi_tensor_apply_kernelINS1_18TensorListMetadataILi1EEENS1_14UnaryOpFunctorIN3c104HalfELi1ELi1ELi0EEEJNS0_5RoundIfEEEEEvT_T0_DpT1_.num_vgpr, 24
	.set _ZN2at6native12_GLOBAL__N_125multi_tensor_apply_kernelINS1_18TensorListMetadataILi1EEENS1_14UnaryOpFunctorIN3c104HalfELi1ELi1ELi0EEEJNS0_5RoundIfEEEEEvT_T0_DpT1_.num_agpr, 0
	.set _ZN2at6native12_GLOBAL__N_125multi_tensor_apply_kernelINS1_18TensorListMetadataILi1EEENS1_14UnaryOpFunctorIN3c104HalfELi1ELi1ELi0EEEJNS0_5RoundIfEEEEEvT_T0_DpT1_.numbered_sgpr, 20
	.set _ZN2at6native12_GLOBAL__N_125multi_tensor_apply_kernelINS1_18TensorListMetadataILi1EEENS1_14UnaryOpFunctorIN3c104HalfELi1ELi1ELi0EEEJNS0_5RoundIfEEEEEvT_T0_DpT1_.num_named_barrier, 0
	.set _ZN2at6native12_GLOBAL__N_125multi_tensor_apply_kernelINS1_18TensorListMetadataILi1EEENS1_14UnaryOpFunctorIN3c104HalfELi1ELi1ELi0EEEJNS0_5RoundIfEEEEEvT_T0_DpT1_.private_seg_size, 0
	.set _ZN2at6native12_GLOBAL__N_125multi_tensor_apply_kernelINS1_18TensorListMetadataILi1EEENS1_14UnaryOpFunctorIN3c104HalfELi1ELi1ELi0EEEJNS0_5RoundIfEEEEEvT_T0_DpT1_.uses_vcc, 1
	.set _ZN2at6native12_GLOBAL__N_125multi_tensor_apply_kernelINS1_18TensorListMetadataILi1EEENS1_14UnaryOpFunctorIN3c104HalfELi1ELi1ELi0EEEJNS0_5RoundIfEEEEEvT_T0_DpT1_.uses_flat_scratch, 0
	.set _ZN2at6native12_GLOBAL__N_125multi_tensor_apply_kernelINS1_18TensorListMetadataILi1EEENS1_14UnaryOpFunctorIN3c104HalfELi1ELi1ELi0EEEJNS0_5RoundIfEEEEEvT_T0_DpT1_.has_dyn_sized_stack, 0
	.set _ZN2at6native12_GLOBAL__N_125multi_tensor_apply_kernelINS1_18TensorListMetadataILi1EEENS1_14UnaryOpFunctorIN3c104HalfELi1ELi1ELi0EEEJNS0_5RoundIfEEEEEvT_T0_DpT1_.has_recursion, 0
	.set _ZN2at6native12_GLOBAL__N_125multi_tensor_apply_kernelINS1_18TensorListMetadataILi1EEENS1_14UnaryOpFunctorIN3c104HalfELi1ELi1ELi0EEEJNS0_5RoundIfEEEEEvT_T0_DpT1_.has_indirect_call, 0
	.section	.AMDGPU.csdata,"",@progbits
; Kernel info:
; codeLenInByte = 960
; TotalNumSgprs: 22
; NumVgprs: 24
; ScratchSize: 0
; MemoryBound: 0
; FloatMode: 240
; IeeeMode: 1
; LDSByteSize: 0 bytes/workgroup (compile time only)
; SGPRBlocks: 0
; VGPRBlocks: 1
; NumSGPRsForWavesPerEU: 22
; NumVGPRsForWavesPerEU: 24
; NamedBarCnt: 0
; Occupancy: 16
; WaveLimiterHint : 0
; COMPUTE_PGM_RSRC2:SCRATCH_EN: 0
; COMPUTE_PGM_RSRC2:USER_SGPR: 2
; COMPUTE_PGM_RSRC2:TRAP_HANDLER: 0
; COMPUTE_PGM_RSRC2:TGID_X_EN: 1
; COMPUTE_PGM_RSRC2:TGID_Y_EN: 0
; COMPUTE_PGM_RSRC2:TGID_Z_EN: 0
; COMPUTE_PGM_RSRC2:TIDIG_COMP_CNT: 0
	.section	.text._ZN2at6native12_GLOBAL__N_125multi_tensor_apply_kernelINS1_18TensorListMetadataILi1EEENS1_14UnaryOpFunctorIN3c108BFloat16ELi1ELi1ELi0EEEJNS0_5RoundIfEEEEEvT_T0_DpT1_,"axG",@progbits,_ZN2at6native12_GLOBAL__N_125multi_tensor_apply_kernelINS1_18TensorListMetadataILi1EEENS1_14UnaryOpFunctorIN3c108BFloat16ELi1ELi1ELi0EEEJNS0_5RoundIfEEEEEvT_T0_DpT1_,comdat
	.globl	_ZN2at6native12_GLOBAL__N_125multi_tensor_apply_kernelINS1_18TensorListMetadataILi1EEENS1_14UnaryOpFunctorIN3c108BFloat16ELi1ELi1ELi0EEEJNS0_5RoundIfEEEEEvT_T0_DpT1_ ; -- Begin function _ZN2at6native12_GLOBAL__N_125multi_tensor_apply_kernelINS1_18TensorListMetadataILi1EEENS1_14UnaryOpFunctorIN3c108BFloat16ELi1ELi1ELi0EEEJNS0_5RoundIfEEEEEvT_T0_DpT1_
	.p2align	8
	.type	_ZN2at6native12_GLOBAL__N_125multi_tensor_apply_kernelINS1_18TensorListMetadataILi1EEENS1_14UnaryOpFunctorIN3c108BFloat16ELi1ELi1ELi0EEEJNS0_5RoundIfEEEEEvT_T0_DpT1_,@function
_ZN2at6native12_GLOBAL__N_125multi_tensor_apply_kernelINS1_18TensorListMetadataILi1EEENS1_14UnaryOpFunctorIN3c108BFloat16ELi1ELi1ELi0EEEJNS0_5RoundIfEEEEEvT_T0_DpT1_: ; @_ZN2at6native12_GLOBAL__N_125multi_tensor_apply_kernelINS1_18TensorListMetadataILi1EEENS1_14UnaryOpFunctorIN3c108BFloat16ELi1ELi1ELi0EEEJNS0_5RoundIfEEEEEvT_T0_DpT1_
; %bb.0:
	s_bfe_u32 s2, ttmp6, 0x4000c
	s_and_b32 s3, ttmp6, 15
	s_add_co_i32 s2, s2, 1
	s_getreg_b32 s4, hwreg(HW_REG_IB_STS2, 6, 4)
	s_mul_i32 s2, ttmp9, s2
	s_delay_alu instid0(SALU_CYCLE_1)
	s_add_co_i32 s3, s3, s2
	s_cmp_eq_u32 s4, 0
	s_cselect_b32 s2, ttmp9, s3
	s_mov_b32 s3, 0
	s_load_u8 s8, s[0:1], s2 offset:0x6e0
	s_add_nc_u64 s[4:5], s[0:1], s[2:3]
	s_mul_u64 s[6:7], s[2:3], 3
	s_delay_alu instid0(SALU_CYCLE_1)
	s_add_nc_u64 s[4:5], s[4:5], s[6:7]
	s_load_b32 s10, s[4:5], 0x820
	s_wait_kmcnt 0x0
	s_clause 0x1
	s_load_b64 s[6:7], s[0:1], s8 offset:0x0 scale_offset
	s_load_b64 s[12:13], s[0:1], s8 offset:0x370 scale_offset
	s_ashr_i32 s11, s10, 31
	s_wait_kmcnt 0x0
	s_and_b64 s[4:5], s[6:7], 7
	s_and_b32 s2, s12, 3
	s_lshl_b64 s[8:9], s[10:11], 17
	s_or_b64 s[2:3], s[4:5], s[2:3]
	s_lshl_b64 s[4:5], s[10:11], 16
	s_cmp_eq_u64 s[2:3], 0
	s_sub_nc_u64 s[10:11], s[12:13], s[4:5]
	s_cbranch_scc1 .LBB264_21
; %bb.1:
	v_cmp_lt_i64_e64 s2, s[10:11], 1
	s_and_b32 vcc_lo, exec_lo, s2
	s_cbranch_vccnz .LBB264_20
; %bb.2:
	s_load_b32 s2, s[0:1], 0xd3c
	v_min_i64 v[2:3], 0x10000, s[10:11]
	v_min_u64 v[4:5], 0x10000, s[10:11]
	v_dual_mov_b32 v1, 0 :: v_dual_lshlrev_b32 v8, 1, v0
	s_mov_b32 s3, 0
	s_add_nc_u64 s[4:5], s[6:7], s[8:9]
	s_mov_b32 s15, s3
	s_delay_alu instid0(VALU_DEP_1)
	v_mov_b32_e32 v15, v1
	s_mov_b32 s17, s3
	s_mov_b32 s13, s3
	s_mov_b64 s[18:19], 0
	s_wait_kmcnt 0x0
	s_and_b32 s2, s2, 0xffff
	s_delay_alu instid0(SALU_CYCLE_1)
	v_add_nc_u64_e32 v[6:7], s[2:3], v[0:1]
	v_mov_b32_e32 v9, v1
	s_lshl_b32 s14, s2, 1
	s_mul_i32 s16, s2, 3
	v_add_nc_u64_e32 v[12:13], s[14:15], v[0:1]
	v_add_nc_u64_e32 v[10:11], s[16:17], v[0:1]
	s_lshl_b32 s12, s2, 2
	v_lshlrev_b32_e32 v14, 1, v6
	v_add_nc_u64_e32 v[8:9], s[4:5], v[8:9]
	s_lshl_b32 s14, s2, 3
	s_mul_u64 s[16:17], s[2:3], 6
	s_delay_alu instid0(VALU_DEP_2)
	v_add_nc_u64_e32 v[14:15], s[4:5], v[14:15]
	s_branch .LBB264_4
.LBB264_3:                              ;   in Loop: Header=BB264_4 Depth=1
	s_wait_xcnt 0x0
	s_or_b32 exec_lo, exec_lo, s2
	s_add_nc_u64 s[18:19], s[18:19], s[12:13]
	v_add_nc_u64_e32 v[8:9], s[14:15], v[8:9]
	v_cmp_lt_i64_e32 vcc_lo, s[18:19], v[2:3]
	v_add_nc_u64_e32 v[14:15], s[14:15], v[14:15]
	s_cbranch_vccz .LBB264_20
.LBB264_4:                              ; =>This Inner Loop Header: Depth=1
	v_add_nc_u64_e32 v[16:17], s[18:19], v[0:1]
	v_mov_b32_e32 v21, 0
	s_delay_alu instid0(VALU_DEP_2)
	v_cmp_lt_u64_e32 vcc_lo, v[16:17], v[4:5]
	s_and_saveexec_b32 s2, vcc_lo
	s_cbranch_execz .LBB264_6
; %bb.5:                                ;   in Loop: Header=BB264_4 Depth=1
	global_load_u16 v16, v[8:9], off
	s_wait_loadcnt 0x0
	v_lshlrev_b32_e32 v16, 16, v16
	s_delay_alu instid0(VALU_DEP_1)
	v_rndne_f32_e32 v21, v16
.LBB264_6:                              ;   in Loop: Header=BB264_4 Depth=1
	s_wait_xcnt 0x0
	s_or_b32 exec_lo, exec_lo, s2
	v_add_nc_u64_e32 v[16:17], s[18:19], v[6:7]
	v_dual_mov_b32 v20, 0 :: v_dual_mov_b32 v22, 0
	s_delay_alu instid0(VALU_DEP_2)
	v_cmp_lt_u64_e64 s2, v[16:17], v[4:5]
	s_and_saveexec_b32 s3, s2
	s_cbranch_execz .LBB264_8
; %bb.7:                                ;   in Loop: Header=BB264_4 Depth=1
	global_load_u16 v16, v[14:15], off
	s_wait_loadcnt 0x0
	v_lshlrev_b32_e32 v16, 16, v16
	s_delay_alu instid0(VALU_DEP_1)
	v_rndne_f32_e32 v22, v16
.LBB264_8:                              ;   in Loop: Header=BB264_4 Depth=1
	s_wait_xcnt 0x0
	s_or_b32 exec_lo, exec_lo, s3
	v_add_nc_u64_e32 v[16:17], s[18:19], v[12:13]
	s_delay_alu instid0(VALU_DEP_1)
	v_cmp_lt_u64_e64 s3, v[16:17], v[4:5]
	v_add_nc_u64_e32 v[16:17], s[12:13], v[8:9]
	s_and_saveexec_b32 s4, s3
	s_cbranch_execz .LBB264_10
; %bb.9:                                ;   in Loop: Header=BB264_4 Depth=1
	global_load_u16 v18, v[16:17], off
	s_wait_loadcnt 0x0
	v_lshlrev_b32_e32 v18, 16, v18
	s_delay_alu instid0(VALU_DEP_1)
	v_rndne_f32_e32 v20, v18
.LBB264_10:                             ;   in Loop: Header=BB264_4 Depth=1
	s_wait_xcnt 0x0
	s_or_b32 exec_lo, exec_lo, s4
	v_add_nc_u64_e32 v[18:19], s[18:19], v[10:11]
	v_mov_b32_e32 v23, 0
	s_delay_alu instid0(VALU_DEP_2)
	v_cmp_lt_u64_e64 s4, v[18:19], v[4:5]
	v_add_nc_u64_e32 v[18:19], s[16:17], v[8:9]
	s_and_saveexec_b32 s5, s4
	s_cbranch_execnz .LBB264_15
; %bb.11:                               ;   in Loop: Header=BB264_4 Depth=1
	s_or_b32 exec_lo, exec_lo, s5
	s_and_saveexec_b32 s5, vcc_lo
	s_cbranch_execnz .LBB264_16
.LBB264_12:                             ;   in Loop: Header=BB264_4 Depth=1
	s_or_b32 exec_lo, exec_lo, s5
	s_and_saveexec_b32 s5, s2
	s_cbranch_execnz .LBB264_17
.LBB264_13:                             ;   in Loop: Header=BB264_4 Depth=1
	s_or_b32 exec_lo, exec_lo, s5
	s_and_saveexec_b32 s2, s3
	s_cbranch_execnz .LBB264_18
.LBB264_14:                             ;   in Loop: Header=BB264_4 Depth=1
	s_or_b32 exec_lo, exec_lo, s2
	s_and_saveexec_b32 s2, s4
	s_cbranch_execz .LBB264_3
	s_branch .LBB264_19
.LBB264_15:                             ;   in Loop: Header=BB264_4 Depth=1
	global_load_u16 v23, v[18:19], off
	s_wait_loadcnt 0x0
	v_lshlrev_b32_e32 v23, 16, v23
	s_delay_alu instid0(VALU_DEP_1)
	v_rndne_f32_e32 v23, v23
	s_wait_xcnt 0x0
	s_or_b32 exec_lo, exec_lo, s5
	s_and_saveexec_b32 s5, vcc_lo
	s_cbranch_execz .LBB264_12
.LBB264_16:                             ;   in Loop: Header=BB264_4 Depth=1
	v_bfe_u32 v24, v21, 16, 1
	v_cmp_o_f32_e32 vcc_lo, v21, v21
	s_delay_alu instid0(VALU_DEP_2) | instskip(NEXT) | instid1(VALU_DEP_1)
	v_add3_u32 v24, v21, v24, 0x7fff
	v_lshrrev_b32_e32 v24, 16, v24
	s_delay_alu instid0(VALU_DEP_1)
	v_cndmask_b32_e32 v21, 0x7fc0, v24, vcc_lo
	global_store_b16 v[8:9], v21, off
	s_wait_xcnt 0x0
	s_or_b32 exec_lo, exec_lo, s5
	s_and_saveexec_b32 s5, s2
	s_cbranch_execz .LBB264_13
.LBB264_17:                             ;   in Loop: Header=BB264_4 Depth=1
	v_bfe_u32 v21, v22, 16, 1
	v_cmp_o_f32_e32 vcc_lo, v22, v22
	s_delay_alu instid0(VALU_DEP_2) | instskip(NEXT) | instid1(VALU_DEP_1)
	v_add3_u32 v21, v22, v21, 0x7fff
	v_lshrrev_b32_e32 v21, 16, v21
	s_delay_alu instid0(VALU_DEP_1)
	v_cndmask_b32_e32 v21, 0x7fc0, v21, vcc_lo
	global_store_b16 v[14:15], v21, off
	s_wait_xcnt 0x0
	s_or_b32 exec_lo, exec_lo, s5
	s_and_saveexec_b32 s2, s3
	s_cbranch_execz .LBB264_14
.LBB264_18:                             ;   in Loop: Header=BB264_4 Depth=1
	v_bfe_u32 v21, v20, 16, 1
	v_cmp_o_f32_e32 vcc_lo, v20, v20
	s_delay_alu instid0(VALU_DEP_2) | instskip(NEXT) | instid1(VALU_DEP_1)
	v_add3_u32 v21, v20, v21, 0x7fff
	v_lshrrev_b32_e32 v21, 16, v21
	s_delay_alu instid0(VALU_DEP_1)
	v_cndmask_b32_e32 v20, 0x7fc0, v21, vcc_lo
	global_store_b16 v[16:17], v20, off
	s_wait_xcnt 0x0
	s_or_b32 exec_lo, exec_lo, s2
	s_and_saveexec_b32 s2, s4
	s_cbranch_execz .LBB264_3
.LBB264_19:                             ;   in Loop: Header=BB264_4 Depth=1
	v_bfe_u32 v16, v23, 16, 1
	v_cmp_o_f32_e32 vcc_lo, v23, v23
	s_delay_alu instid0(VALU_DEP_2) | instskip(NEXT) | instid1(VALU_DEP_1)
	v_add3_u32 v16, v23, v16, 0x7fff
	v_lshrrev_b32_e32 v16, 16, v16
	s_delay_alu instid0(VALU_DEP_1)
	v_cndmask_b32_e32 v16, 0x7fc0, v16, vcc_lo
	global_store_b16 v[18:19], v16, off
	s_branch .LBB264_3
.LBB264_20:
	s_cbranch_execz .LBB264_22
	s_branch .LBB264_25
.LBB264_21:
.LBB264_22:
	v_min_i64 v[2:3], 0x10000, s[10:11]
	v_dual_mov_b32 v5, 0 :: v_dual_lshlrev_b32 v4, 2, v0
	s_mov_b32 s2, exec_lo
	s_delay_alu instid0(VALU_DEP_1)
	v_cmpx_lt_i64_e64 v[4:5], v[2:3]
	s_cbranch_execz .LBB264_25
; %bb.23:
	s_load_b32 s2, s[0:1], 0xd3c
	v_dual_mov_b32 v1, v5 :: v_dual_lshlrev_b32 v4, 3, v0
	s_wait_xcnt 0x0
	s_add_nc_u64 s[0:1], s[6:7], s[8:9]
	s_delay_alu instid0(VALU_DEP_1) | instid1(SALU_CYCLE_1)
	v_add_nc_u64_e32 v[4:5], s[0:1], v[4:5]
	s_mov_b32 s1, 0
	s_delay_alu instid0(SALU_CYCLE_1) | instskip(SKIP_3) | instid1(SALU_CYCLE_1)
	s_mov_b32 s3, s1
	s_mov_b32 s4, s1
	s_wait_kmcnt 0x0
	s_and_b32 s0, s2, 0xffff
	s_lshl_b32 s2, s0, 3
.LBB264_24:                             ; =>This Inner Loop Header: Depth=1
	global_load_b64 v[6:7], v[4:5], off
	v_add_nc_u64_e32 v[0:1], s[0:1], v[0:1]
	s_wait_loadcnt 0x0
	v_and_b32_e32 v9, 0xffff0000, v6
	v_alignbit_b32 v8, v7, v6, 16
	v_lshlrev_b32_e32 v6, 16, v6
	v_and_b32_e32 v7, 0xffff0000, v7
	s_delay_alu instid0(VALU_DEP_4) | instskip(NEXT) | instid1(VALU_DEP_4)
	v_rndne_f32_e32 v9, v9
	v_and_b32_e32 v8, 0xffff0000, v8
	s_delay_alu instid0(VALU_DEP_4) | instskip(NEXT) | instid1(VALU_DEP_4)
	v_rndne_f32_e32 v6, v6
	v_rndne_f32_e32 v7, v7
	s_delay_alu instid0(VALU_DEP_4) | instskip(NEXT) | instid1(VALU_DEP_4)
	v_bfe_u32 v10, v9, 16, 1
	v_rndne_f32_e32 v8, v8
	s_delay_alu instid0(VALU_DEP_4) | instskip(NEXT) | instid1(VALU_DEP_4)
	v_bfe_u32 v11, v6, 16, 1
	v_bfe_u32 v12, v7, 16, 1
	v_cmp_o_f32_e32 vcc_lo, v9, v9
	v_add3_u32 v10, v9, v10, 0x7fff
	v_bfe_u32 v13, v8, 16, 1
	v_add3_u32 v11, v6, v11, 0x7fff
	v_add3_u32 v12, v7, v12, 0x7fff
	s_delay_alu instid0(VALU_DEP_4) | instskip(NEXT) | instid1(VALU_DEP_4)
	v_and_b32_e32 v10, 0xffff0000, v10
	v_add3_u32 v13, v8, v13, 0x7fff
	s_delay_alu instid0(VALU_DEP_4) | instskip(NEXT) | instid1(VALU_DEP_4)
	v_lshrrev_b32_e32 v11, 16, v11
	v_and_b32_e32 v12, 0xffff0000, v12
	s_delay_alu instid0(VALU_DEP_4) | instskip(SKIP_1) | instid1(VALU_DEP_4)
	v_cndmask_b32_e32 v9, 0x7fc00000, v10, vcc_lo
	v_cmp_o_f32_e32 vcc_lo, v6, v6
	v_dual_cndmask_b32 v6, 0x7fc0, v11 :: v_dual_lshrrev_b32 v13, 16, v13
	v_cmp_o_f32_e32 vcc_lo, v7, v7
	s_delay_alu instid0(VALU_DEP_2) | instskip(SKIP_4) | instid1(VALU_DEP_2)
	v_or_b32_e32 v11, v6, v9
	v_cndmask_b32_e32 v10, 0x7fc00000, v12, vcc_lo
	v_cmp_o_f32_e32 vcc_lo, v8, v8
	v_lshlrev_b64_e32 v[6:7], 2, v[0:1]
	v_cndmask_b32_e32 v8, 0x7fc0, v13, vcc_lo
	v_cmp_ge_i64_e32 vcc_lo, v[6:7], v[2:3]
	s_delay_alu instid0(VALU_DEP_2)
	v_or3_b32 v9, 0, v8, v10
	v_or3_b32 v8, v11, 0, 0
	s_or_b32 s4, vcc_lo, s4
	global_store_b64 v[4:5], v[8:9], off
	s_wait_xcnt 0x0
	v_add_nc_u64_e32 v[4:5], s[2:3], v[4:5]
	s_and_not1_b32 exec_lo, exec_lo, s4
	s_cbranch_execnz .LBB264_24
.LBB264_25:
	s_endpgm
	.section	.rodata,"a",@progbits
	.p2align	6, 0x0
	.amdhsa_kernel _ZN2at6native12_GLOBAL__N_125multi_tensor_apply_kernelINS1_18TensorListMetadataILi1EEENS1_14UnaryOpFunctorIN3c108BFloat16ELi1ELi1ELi0EEEJNS0_5RoundIfEEEEEvT_T0_DpT1_
		.amdhsa_group_segment_fixed_size 0
		.amdhsa_private_segment_fixed_size 0
		.amdhsa_kernarg_size 3632
		.amdhsa_user_sgpr_count 2
		.amdhsa_user_sgpr_dispatch_ptr 0
		.amdhsa_user_sgpr_queue_ptr 0
		.amdhsa_user_sgpr_kernarg_segment_ptr 1
		.amdhsa_user_sgpr_dispatch_id 0
		.amdhsa_user_sgpr_kernarg_preload_length 0
		.amdhsa_user_sgpr_kernarg_preload_offset 0
		.amdhsa_user_sgpr_private_segment_size 0
		.amdhsa_wavefront_size32 1
		.amdhsa_uses_dynamic_stack 0
		.amdhsa_enable_private_segment 0
		.amdhsa_system_sgpr_workgroup_id_x 1
		.amdhsa_system_sgpr_workgroup_id_y 0
		.amdhsa_system_sgpr_workgroup_id_z 0
		.amdhsa_system_sgpr_workgroup_info 0
		.amdhsa_system_vgpr_workitem_id 0
		.amdhsa_next_free_vgpr 25
		.amdhsa_next_free_sgpr 20
		.amdhsa_named_barrier_count 0
		.amdhsa_reserve_vcc 1
		.amdhsa_float_round_mode_32 0
		.amdhsa_float_round_mode_16_64 0
		.amdhsa_float_denorm_mode_32 3
		.amdhsa_float_denorm_mode_16_64 3
		.amdhsa_fp16_overflow 0
		.amdhsa_memory_ordered 1
		.amdhsa_forward_progress 1
		.amdhsa_inst_pref_size 11
		.amdhsa_round_robin_scheduling 0
		.amdhsa_exception_fp_ieee_invalid_op 0
		.amdhsa_exception_fp_denorm_src 0
		.amdhsa_exception_fp_ieee_div_zero 0
		.amdhsa_exception_fp_ieee_overflow 0
		.amdhsa_exception_fp_ieee_underflow 0
		.amdhsa_exception_fp_ieee_inexact 0
		.amdhsa_exception_int_div_zero 0
	.end_amdhsa_kernel
	.section	.text._ZN2at6native12_GLOBAL__N_125multi_tensor_apply_kernelINS1_18TensorListMetadataILi1EEENS1_14UnaryOpFunctorIN3c108BFloat16ELi1ELi1ELi0EEEJNS0_5RoundIfEEEEEvT_T0_DpT1_,"axG",@progbits,_ZN2at6native12_GLOBAL__N_125multi_tensor_apply_kernelINS1_18TensorListMetadataILi1EEENS1_14UnaryOpFunctorIN3c108BFloat16ELi1ELi1ELi0EEEJNS0_5RoundIfEEEEEvT_T0_DpT1_,comdat
.Lfunc_end264:
	.size	_ZN2at6native12_GLOBAL__N_125multi_tensor_apply_kernelINS1_18TensorListMetadataILi1EEENS1_14UnaryOpFunctorIN3c108BFloat16ELi1ELi1ELi0EEEJNS0_5RoundIfEEEEEvT_T0_DpT1_, .Lfunc_end264-_ZN2at6native12_GLOBAL__N_125multi_tensor_apply_kernelINS1_18TensorListMetadataILi1EEENS1_14UnaryOpFunctorIN3c108BFloat16ELi1ELi1ELi0EEEJNS0_5RoundIfEEEEEvT_T0_DpT1_
                                        ; -- End function
	.set _ZN2at6native12_GLOBAL__N_125multi_tensor_apply_kernelINS1_18TensorListMetadataILi1EEENS1_14UnaryOpFunctorIN3c108BFloat16ELi1ELi1ELi0EEEJNS0_5RoundIfEEEEEvT_T0_DpT1_.num_vgpr, 25
	.set _ZN2at6native12_GLOBAL__N_125multi_tensor_apply_kernelINS1_18TensorListMetadataILi1EEENS1_14UnaryOpFunctorIN3c108BFloat16ELi1ELi1ELi0EEEJNS0_5RoundIfEEEEEvT_T0_DpT1_.num_agpr, 0
	.set _ZN2at6native12_GLOBAL__N_125multi_tensor_apply_kernelINS1_18TensorListMetadataILi1EEENS1_14UnaryOpFunctorIN3c108BFloat16ELi1ELi1ELi0EEEJNS0_5RoundIfEEEEEvT_T0_DpT1_.numbered_sgpr, 20
	.set _ZN2at6native12_GLOBAL__N_125multi_tensor_apply_kernelINS1_18TensorListMetadataILi1EEENS1_14UnaryOpFunctorIN3c108BFloat16ELi1ELi1ELi0EEEJNS0_5RoundIfEEEEEvT_T0_DpT1_.num_named_barrier, 0
	.set _ZN2at6native12_GLOBAL__N_125multi_tensor_apply_kernelINS1_18TensorListMetadataILi1EEENS1_14UnaryOpFunctorIN3c108BFloat16ELi1ELi1ELi0EEEJNS0_5RoundIfEEEEEvT_T0_DpT1_.private_seg_size, 0
	.set _ZN2at6native12_GLOBAL__N_125multi_tensor_apply_kernelINS1_18TensorListMetadataILi1EEENS1_14UnaryOpFunctorIN3c108BFloat16ELi1ELi1ELi0EEEJNS0_5RoundIfEEEEEvT_T0_DpT1_.uses_vcc, 1
	.set _ZN2at6native12_GLOBAL__N_125multi_tensor_apply_kernelINS1_18TensorListMetadataILi1EEENS1_14UnaryOpFunctorIN3c108BFloat16ELi1ELi1ELi0EEEJNS0_5RoundIfEEEEEvT_T0_DpT1_.uses_flat_scratch, 0
	.set _ZN2at6native12_GLOBAL__N_125multi_tensor_apply_kernelINS1_18TensorListMetadataILi1EEENS1_14UnaryOpFunctorIN3c108BFloat16ELi1ELi1ELi0EEEJNS0_5RoundIfEEEEEvT_T0_DpT1_.has_dyn_sized_stack, 0
	.set _ZN2at6native12_GLOBAL__N_125multi_tensor_apply_kernelINS1_18TensorListMetadataILi1EEENS1_14UnaryOpFunctorIN3c108BFloat16ELi1ELi1ELi0EEEJNS0_5RoundIfEEEEEvT_T0_DpT1_.has_recursion, 0
	.set _ZN2at6native12_GLOBAL__N_125multi_tensor_apply_kernelINS1_18TensorListMetadataILi1EEENS1_14UnaryOpFunctorIN3c108BFloat16ELi1ELi1ELi0EEEJNS0_5RoundIfEEEEEvT_T0_DpT1_.has_indirect_call, 0
	.section	.AMDGPU.csdata,"",@progbits
; Kernel info:
; codeLenInByte = 1364
; TotalNumSgprs: 22
; NumVgprs: 25
; ScratchSize: 0
; MemoryBound: 0
; FloatMode: 240
; IeeeMode: 1
; LDSByteSize: 0 bytes/workgroup (compile time only)
; SGPRBlocks: 0
; VGPRBlocks: 1
; NumSGPRsForWavesPerEU: 22
; NumVGPRsForWavesPerEU: 25
; NamedBarCnt: 0
; Occupancy: 16
; WaveLimiterHint : 0
; COMPUTE_PGM_RSRC2:SCRATCH_EN: 0
; COMPUTE_PGM_RSRC2:USER_SGPR: 2
; COMPUTE_PGM_RSRC2:TRAP_HANDLER: 0
; COMPUTE_PGM_RSRC2:TGID_X_EN: 1
; COMPUTE_PGM_RSRC2:TGID_Y_EN: 0
; COMPUTE_PGM_RSRC2:TGID_Z_EN: 0
; COMPUTE_PGM_RSRC2:TIDIG_COMP_CNT: 0
	.section	.text._ZN2at6native12_GLOBAL__N_125multi_tensor_apply_kernelINS1_18TensorListMetadataILi2EEENS1_14UnaryOpFunctorIdLi2ELi1ELi1EEEJNS0_5TruncIdEEEEEvT_T0_DpT1_,"axG",@progbits,_ZN2at6native12_GLOBAL__N_125multi_tensor_apply_kernelINS1_18TensorListMetadataILi2EEENS1_14UnaryOpFunctorIdLi2ELi1ELi1EEEJNS0_5TruncIdEEEEEvT_T0_DpT1_,comdat
	.globl	_ZN2at6native12_GLOBAL__N_125multi_tensor_apply_kernelINS1_18TensorListMetadataILi2EEENS1_14UnaryOpFunctorIdLi2ELi1ELi1EEEJNS0_5TruncIdEEEEEvT_T0_DpT1_ ; -- Begin function _ZN2at6native12_GLOBAL__N_125multi_tensor_apply_kernelINS1_18TensorListMetadataILi2EEENS1_14UnaryOpFunctorIdLi2ELi1ELi1EEEJNS0_5TruncIdEEEEEvT_T0_DpT1_
	.p2align	8
	.type	_ZN2at6native12_GLOBAL__N_125multi_tensor_apply_kernelINS1_18TensorListMetadataILi2EEENS1_14UnaryOpFunctorIdLi2ELi1ELi1EEEJNS0_5TruncIdEEEEEvT_T0_DpT1_,@function
_ZN2at6native12_GLOBAL__N_125multi_tensor_apply_kernelINS1_18TensorListMetadataILi2EEENS1_14UnaryOpFunctorIdLi2ELi1ELi1EEEJNS0_5TruncIdEEEEEvT_T0_DpT1_: ; @_ZN2at6native12_GLOBAL__N_125multi_tensor_apply_kernelINS1_18TensorListMetadataILi2EEENS1_14UnaryOpFunctorIdLi2ELi1ELi1EEEJNS0_5TruncIdEEEEEvT_T0_DpT1_
; %bb.0:
	s_bfe_u32 s2, ttmp6, 0x4000c
	s_and_b32 s3, ttmp6, 15
	s_add_co_i32 s2, s2, 1
	s_getreg_b32 s4, hwreg(HW_REG_IB_STS2, 6, 4)
	s_mul_i32 s2, ttmp9, s2
	s_mov_b32 s9, 0
	s_add_co_i32 s3, s3, s2
	s_cmp_eq_u32 s4, 0
	s_mov_b32 s15, s9
	s_cselect_b32 s8, ttmp9, s3
	s_load_u8 s11, s[0:1], s8 offset:0x600
	s_add_nc_u64 s[2:3], s[0:1], s[8:9]
	s_mul_u64 s[4:5], s[8:9], 3
	s_delay_alu instid0(SALU_CYCLE_1)
	s_add_nc_u64 s[4:5], s[2:3], s[4:5]
	s_load_b32 s10, s[4:5], 0x740
	s_wait_kmcnt 0x0
	s_clause 0x2
	s_load_b64 s[2:3], s[0:1], s11 offset:0x0 scale_offset
	s_load_b64 s[6:7], s[0:1], s11 offset:0x200 scale_offset
	;; [unrolled: 1-line block ×3, first 2 shown]
	s_wait_xcnt 0x0
	s_ashr_i32 s11, s10, 31
	s_delay_alu instid0(SALU_CYCLE_1)
	s_lshl_b64 s[4:5], s[10:11], 19
	s_wait_kmcnt 0x0
	s_and_b64 s[18:19], s[6:7], 31
	s_add_nc_u64 s[16:17], s[2:3], s[4:5]
	s_and_b32 s14, s12, 3
	s_and_b32 s8, s16, 31
	s_or_b64 s[14:15], s[18:19], s[14:15]
	s_lshl_b64 s[10:11], s[10:11], 16
	s_or_b64 s[14:15], s[14:15], s[8:9]
	s_sub_nc_u64 s[8:9], s[12:13], s[10:11]
	s_cmp_eq_u64 s[14:15], 0
	s_mov_b32 s10, -1
	s_cbranch_scc0 .LBB265_5
; %bb.1:
	v_min_i64 v[2:3], 0x10000, s[8:9]
	v_dual_mov_b32 v5, 0 :: v_dual_lshlrev_b32 v4, 2, v0
	s_mov_b32 s14, exec_lo
	s_delay_alu instid0(VALU_DEP_1)
	v_cmpx_lt_i64_e64 v[4:5], v[2:3]
	s_cbranch_execz .LBB265_4
; %bb.2:
	s_load_b32 s10, s[0:1], 0xc5c
	v_dual_mov_b32 v1, v5 :: v_dual_lshlrev_b32 v4, 5, v0
	s_mov_b32 s11, 0
	s_delay_alu instid0(SALU_CYCLE_1) | instskip(NEXT) | instid1(VALU_DEP_1)
	s_mov_b32 s13, s11
	v_add_nc_u64_e32 v[4:5], s[4:5], v[4:5]
	s_delay_alu instid0(VALU_DEP_2) | instskip(SKIP_3) | instid1(SALU_CYCLE_1)
	v_mov_b64_e32 v[6:7], v[0:1]
	s_mov_b32 s15, s11
	s_wait_kmcnt 0x0
	s_and_b32 s10, s10, 0xffff
	s_lshl_b32 s12, s10, 5
.LBB265_3:                              ; =>This Inner Loop Header: Depth=1
	s_delay_alu instid0(VALU_DEP_2) | instskip(NEXT) | instid1(VALU_DEP_2)
	v_add_nc_u64_e32 v[16:17], s[2:3], v[4:5]
	v_add_nc_u64_e32 v[6:7], s[10:11], v[6:7]
	s_clause 0x1
	global_load_b128 v[8:11], v[16:17], off
	global_load_b128 v[12:15], v[16:17], off offset:16
	s_wait_loadcnt 0x1
	s_wait_xcnt 0x0
	v_trunc_f64_e32 v[16:17], v[8:9]
	v_trunc_f64_e32 v[18:19], v[10:11]
	s_wait_loadcnt 0x0
	v_trunc_f64_e32 v[20:21], v[12:13]
	v_trunc_f64_e32 v[22:23], v[14:15]
	s_delay_alu instid0(VALU_DEP_4) | instskip(NEXT) | instid1(VALU_DEP_4)
	v_add_f64_e64 v[8:9], v[8:9], -v[16:17]
	v_add_f64_e64 v[10:11], v[10:11], -v[18:19]
	s_delay_alu instid0(VALU_DEP_4) | instskip(NEXT) | instid1(VALU_DEP_4)
	v_add_f64_e64 v[12:13], v[12:13], -v[20:21]
	v_add_f64_e64 v[14:15], v[14:15], -v[22:23]
	v_lshlrev_b64_e32 v[16:17], 2, v[6:7]
	s_delay_alu instid0(VALU_DEP_1)
	v_cmp_ge_i64_e32 vcc_lo, v[16:17], v[2:3]
	v_add_nc_u64_e32 v[16:17], s[6:7], v[4:5]
	v_add_nc_u64_e32 v[4:5], s[12:13], v[4:5]
	s_clause 0x1
	global_store_b128 v[16:17], v[8:11], off
	global_store_b128 v[16:17], v[12:15], off offset:16
	s_or_b32 s15, vcc_lo, s15
	s_wait_xcnt 0x0
	s_and_not1_b32 exec_lo, exec_lo, s15
	s_cbranch_execnz .LBB265_3
.LBB265_4:
	s_or_b32 exec_lo, exec_lo, s14
	s_mov_b32 s10, 0
.LBB265_5:
	s_delay_alu instid0(SALU_CYCLE_1)
	s_and_not1_b32 vcc_lo, exec_lo, s10
	s_cbranch_vccnz .LBB265_25
; %bb.6:
	v_cmp_lt_i64_e64 s10, s[8:9], 1
	s_and_b32 vcc_lo, exec_lo, s10
	s_cbranch_vccnz .LBB265_25
; %bb.7:
	s_load_b32 s0, s[0:1], 0xc5c
	v_min_i64 v[2:3], 0x10000, s[8:9]
	v_min_u64 v[4:5], 0x10000, s[8:9]
	v_dual_mov_b32 v1, 0 :: v_dual_lshlrev_b32 v10, 3, v0
	s_mov_b32 s9, 0
	s_delay_alu instid0(SALU_CYCLE_1) | instskip(NEXT) | instid1(VALU_DEP_1)
	s_mov_b32 s13, s9
	v_dual_mov_b32 v11, v1 :: v_dual_mov_b32 v27, v1
	s_wait_xcnt 0x0
	s_mov_b32 s1, s9
	s_mov_b32 s11, s9
	s_delay_alu instid0(VALU_DEP_1) | instskip(SKIP_2) | instid1(SALU_CYCLE_1)
	v_add_nc_u64_e32 v[6:7], s[2:3], v[10:11]
	s_wait_kmcnt 0x0
	s_and_b32 s8, s0, 0xffff
	v_add_nc_u64_e32 v[8:9], s[8:9], v[0:1]
	v_mad_nc_u64_u32 v[22:23], s8, 24, v[10:11]
	s_lshl_b32 s12, s8, 4
	s_mul_i32 s10, s8, 3
	v_add_nc_u64_e32 v[18:19], s[12:13], v[10:11]
	s_lshl_b32 s0, s8, 1
	v_add_nc_u64_e32 v[10:11], s[6:7], v[10:11]
	v_lshlrev_b32_e32 v26, 3, v8
	v_add_nc_u64_e32 v[12:13], s[10:11], v[0:1]
	v_add_nc_u64_e32 v[14:15], s[0:1], v[0:1]
	s_mov_b64 s[10:11], 0
	v_add_nc_u64_e32 v[16:17], s[2:3], v[18:19]
	v_add_nc_u64_e32 v[18:19], s[6:7], v[18:19]
	;; [unrolled: 1-line block ×6, first 2 shown]
	s_lshl_b32 s6, s8, 2
	s_mov_b32 s7, s9
	s_lshl_b32 s8, s8, 5
	s_branch .LBB265_9
.LBB265_8:                              ;   in Loop: Header=BB265_9 Depth=1
	s_wait_xcnt 0x0
	s_or_b32 exec_lo, exec_lo, s0
	s_add_nc_u64 s[10:11], s[10:11], s[6:7]
	v_add_nc_u64_e32 v[6:7], s[8:9], v[6:7]
	v_cmp_ge_i64_e32 vcc_lo, s[10:11], v[2:3]
	v_add_nc_u64_e32 v[10:11], s[8:9], v[10:11]
	v_add_nc_u64_e32 v[20:21], s[8:9], v[20:21]
	;; [unrolled: 1-line block ×7, first 2 shown]
	s_cbranch_vccnz .LBB265_25
.LBB265_9:                              ; =>This Inner Loop Header: Depth=1
	s_wait_loadcnt 0x0
	v_add_nc_u64_e32 v[30:31], s[10:11], v[0:1]
	v_mov_b64_e32 v[28:29], 0
	v_mov_b64_e32 v[32:33], 0
	s_delay_alu instid0(VALU_DEP_3)
	v_cmp_lt_u64_e32 vcc_lo, v[30:31], v[4:5]
	s_and_saveexec_b32 s0, vcc_lo
	s_cbranch_execz .LBB265_11
; %bb.10:                               ;   in Loop: Header=BB265_9 Depth=1
	v_add_nc_u64_e32 v[30:31], s[4:5], v[6:7]
	global_load_b64 v[32:33], v[30:31], off
.LBB265_11:                             ;   in Loop: Header=BB265_9 Depth=1
	s_wait_xcnt 0x0
	s_or_b32 exec_lo, exec_lo, s0
	v_add_nc_u64_e32 v[30:31], s[10:11], v[8:9]
	s_delay_alu instid0(VALU_DEP_1)
	v_cmp_lt_u64_e64 s0, v[30:31], v[4:5]
	s_and_saveexec_b32 s1, s0
	s_cbranch_execz .LBB265_13
; %bb.12:                               ;   in Loop: Header=BB265_9 Depth=1
	v_add_nc_u64_e32 v[28:29], s[4:5], v[24:25]
	global_load_b64 v[28:29], v[28:29], off
.LBB265_13:                             ;   in Loop: Header=BB265_9 Depth=1
	s_wait_xcnt 0x0
	s_or_b32 exec_lo, exec_lo, s1
	v_add_nc_u64_e32 v[34:35], s[10:11], v[14:15]
	v_mov_b64_e32 v[30:31], 0
	s_delay_alu instid0(VALU_DEP_2)
	v_cmp_lt_u64_e64 s1, v[34:35], v[4:5]
	v_mov_b64_e32 v[34:35], 0
	s_and_saveexec_b32 s2, s1
	s_cbranch_execz .LBB265_15
; %bb.14:                               ;   in Loop: Header=BB265_9 Depth=1
	v_add_nc_u64_e32 v[34:35], s[4:5], v[16:17]
	global_load_b64 v[34:35], v[34:35], off
.LBB265_15:                             ;   in Loop: Header=BB265_9 Depth=1
	s_wait_xcnt 0x0
	s_or_b32 exec_lo, exec_lo, s2
	v_add_nc_u64_e32 v[36:37], s[10:11], v[12:13]
	s_delay_alu instid0(VALU_DEP_1)
	v_cmp_lt_u64_e64 s2, v[36:37], v[4:5]
	s_and_saveexec_b32 s3, s2
	s_cbranch_execnz .LBB265_20
; %bb.16:                               ;   in Loop: Header=BB265_9 Depth=1
	s_or_b32 exec_lo, exec_lo, s3
	s_and_saveexec_b32 s3, vcc_lo
	s_cbranch_execnz .LBB265_21
.LBB265_17:                             ;   in Loop: Header=BB265_9 Depth=1
	s_or_b32 exec_lo, exec_lo, s3
	s_and_saveexec_b32 s3, s0
	s_cbranch_execnz .LBB265_22
.LBB265_18:                             ;   in Loop: Header=BB265_9 Depth=1
	s_or_b32 exec_lo, exec_lo, s3
	s_and_saveexec_b32 s0, s1
	s_cbranch_execnz .LBB265_23
.LBB265_19:                             ;   in Loop: Header=BB265_9 Depth=1
	s_or_b32 exec_lo, exec_lo, s0
	s_and_saveexec_b32 s0, s2
	s_cbranch_execz .LBB265_8
	s_branch .LBB265_24
.LBB265_20:                             ;   in Loop: Header=BB265_9 Depth=1
	v_add_nc_u64_e32 v[30:31], s[4:5], v[20:21]
	global_load_b64 v[30:31], v[30:31], off
	s_wait_xcnt 0x0
	s_or_b32 exec_lo, exec_lo, s3
	s_and_saveexec_b32 s3, vcc_lo
	s_cbranch_execz .LBB265_17
.LBB265_21:                             ;   in Loop: Header=BB265_9 Depth=1
	s_wait_loadcnt 0x0
	v_trunc_f64_e32 v[36:37], v[32:33]
	s_delay_alu instid0(VALU_DEP_1)
	v_add_f64_e64 v[32:33], v[32:33], -v[36:37]
	v_add_nc_u64_e32 v[36:37], s[4:5], v[10:11]
	global_store_b64 v[36:37], v[32:33], off
	s_wait_xcnt 0x0
	s_or_b32 exec_lo, exec_lo, s3
	s_and_saveexec_b32 s3, s0
	s_cbranch_execz .LBB265_18
.LBB265_22:                             ;   in Loop: Header=BB265_9 Depth=1
	s_wait_loadcnt 0x0
	v_trunc_f64_e32 v[32:33], v[28:29]
	s_delay_alu instid0(VALU_DEP_1)
	v_add_f64_e64 v[28:29], v[28:29], -v[32:33]
	v_add_nc_u64_e32 v[32:33], s[4:5], v[26:27]
	global_store_b64 v[32:33], v[28:29], off
	s_wait_xcnt 0x0
	s_or_b32 exec_lo, exec_lo, s3
	s_and_saveexec_b32 s0, s1
	s_cbranch_execz .LBB265_19
.LBB265_23:                             ;   in Loop: Header=BB265_9 Depth=1
	s_wait_loadcnt 0x0
	v_trunc_f64_e32 v[28:29], v[34:35]
	v_add_nc_u64_e32 v[32:33], s[4:5], v[18:19]
	s_delay_alu instid0(VALU_DEP_2)
	v_add_f64_e64 v[28:29], v[34:35], -v[28:29]
	global_store_b64 v[32:33], v[28:29], off
	s_wait_xcnt 0x0
	s_or_b32 exec_lo, exec_lo, s0
	s_and_saveexec_b32 s0, s2
	s_cbranch_execz .LBB265_8
.LBB265_24:                             ;   in Loop: Header=BB265_9 Depth=1
	s_wait_loadcnt 0x0
	v_trunc_f64_e32 v[28:29], v[30:31]
	s_delay_alu instid0(VALU_DEP_1)
	v_add_f64_e64 v[28:29], v[30:31], -v[28:29]
	v_add_nc_u64_e32 v[30:31], s[4:5], v[22:23]
	global_store_b64 v[30:31], v[28:29], off
	s_branch .LBB265_8
.LBB265_25:
	s_endpgm
	.section	.rodata,"a",@progbits
	.p2align	6, 0x0
	.amdhsa_kernel _ZN2at6native12_GLOBAL__N_125multi_tensor_apply_kernelINS1_18TensorListMetadataILi2EEENS1_14UnaryOpFunctorIdLi2ELi1ELi1EEEJNS0_5TruncIdEEEEEvT_T0_DpT1_
		.amdhsa_group_segment_fixed_size 0
		.amdhsa_private_segment_fixed_size 0
		.amdhsa_kernarg_size 3408
		.amdhsa_user_sgpr_count 2
		.amdhsa_user_sgpr_dispatch_ptr 0
		.amdhsa_user_sgpr_queue_ptr 0
		.amdhsa_user_sgpr_kernarg_segment_ptr 1
		.amdhsa_user_sgpr_dispatch_id 0
		.amdhsa_user_sgpr_kernarg_preload_length 0
		.amdhsa_user_sgpr_kernarg_preload_offset 0
		.amdhsa_user_sgpr_private_segment_size 0
		.amdhsa_wavefront_size32 1
		.amdhsa_uses_dynamic_stack 0
		.amdhsa_enable_private_segment 0
		.amdhsa_system_sgpr_workgroup_id_x 1
		.amdhsa_system_sgpr_workgroup_id_y 0
		.amdhsa_system_sgpr_workgroup_id_z 0
		.amdhsa_system_sgpr_workgroup_info 0
		.amdhsa_system_vgpr_workitem_id 0
		.amdhsa_next_free_vgpr 38
		.amdhsa_next_free_sgpr 20
		.amdhsa_named_barrier_count 0
		.amdhsa_reserve_vcc 1
		.amdhsa_float_round_mode_32 0
		.amdhsa_float_round_mode_16_64 0
		.amdhsa_float_denorm_mode_32 3
		.amdhsa_float_denorm_mode_16_64 3
		.amdhsa_fp16_overflow 0
		.amdhsa_memory_ordered 1
		.amdhsa_forward_progress 1
		.amdhsa_inst_pref_size 10
		.amdhsa_round_robin_scheduling 0
		.amdhsa_exception_fp_ieee_invalid_op 0
		.amdhsa_exception_fp_denorm_src 0
		.amdhsa_exception_fp_ieee_div_zero 0
		.amdhsa_exception_fp_ieee_overflow 0
		.amdhsa_exception_fp_ieee_underflow 0
		.amdhsa_exception_fp_ieee_inexact 0
		.amdhsa_exception_int_div_zero 0
	.end_amdhsa_kernel
	.section	.text._ZN2at6native12_GLOBAL__N_125multi_tensor_apply_kernelINS1_18TensorListMetadataILi2EEENS1_14UnaryOpFunctorIdLi2ELi1ELi1EEEJNS0_5TruncIdEEEEEvT_T0_DpT1_,"axG",@progbits,_ZN2at6native12_GLOBAL__N_125multi_tensor_apply_kernelINS1_18TensorListMetadataILi2EEENS1_14UnaryOpFunctorIdLi2ELi1ELi1EEEJNS0_5TruncIdEEEEEvT_T0_DpT1_,comdat
.Lfunc_end265:
	.size	_ZN2at6native12_GLOBAL__N_125multi_tensor_apply_kernelINS1_18TensorListMetadataILi2EEENS1_14UnaryOpFunctorIdLi2ELi1ELi1EEEJNS0_5TruncIdEEEEEvT_T0_DpT1_, .Lfunc_end265-_ZN2at6native12_GLOBAL__N_125multi_tensor_apply_kernelINS1_18TensorListMetadataILi2EEENS1_14UnaryOpFunctorIdLi2ELi1ELi1EEEJNS0_5TruncIdEEEEEvT_T0_DpT1_
                                        ; -- End function
	.set _ZN2at6native12_GLOBAL__N_125multi_tensor_apply_kernelINS1_18TensorListMetadataILi2EEENS1_14UnaryOpFunctorIdLi2ELi1ELi1EEEJNS0_5TruncIdEEEEEvT_T0_DpT1_.num_vgpr, 38
	.set _ZN2at6native12_GLOBAL__N_125multi_tensor_apply_kernelINS1_18TensorListMetadataILi2EEENS1_14UnaryOpFunctorIdLi2ELi1ELi1EEEJNS0_5TruncIdEEEEEvT_T0_DpT1_.num_agpr, 0
	.set _ZN2at6native12_GLOBAL__N_125multi_tensor_apply_kernelINS1_18TensorListMetadataILi2EEENS1_14UnaryOpFunctorIdLi2ELi1ELi1EEEJNS0_5TruncIdEEEEEvT_T0_DpT1_.numbered_sgpr, 20
	.set _ZN2at6native12_GLOBAL__N_125multi_tensor_apply_kernelINS1_18TensorListMetadataILi2EEENS1_14UnaryOpFunctorIdLi2ELi1ELi1EEEJNS0_5TruncIdEEEEEvT_T0_DpT1_.num_named_barrier, 0
	.set _ZN2at6native12_GLOBAL__N_125multi_tensor_apply_kernelINS1_18TensorListMetadataILi2EEENS1_14UnaryOpFunctorIdLi2ELi1ELi1EEEJNS0_5TruncIdEEEEEvT_T0_DpT1_.private_seg_size, 0
	.set _ZN2at6native12_GLOBAL__N_125multi_tensor_apply_kernelINS1_18TensorListMetadataILi2EEENS1_14UnaryOpFunctorIdLi2ELi1ELi1EEEJNS0_5TruncIdEEEEEvT_T0_DpT1_.uses_vcc, 1
	.set _ZN2at6native12_GLOBAL__N_125multi_tensor_apply_kernelINS1_18TensorListMetadataILi2EEENS1_14UnaryOpFunctorIdLi2ELi1ELi1EEEJNS0_5TruncIdEEEEEvT_T0_DpT1_.uses_flat_scratch, 0
	.set _ZN2at6native12_GLOBAL__N_125multi_tensor_apply_kernelINS1_18TensorListMetadataILi2EEENS1_14UnaryOpFunctorIdLi2ELi1ELi1EEEJNS0_5TruncIdEEEEEvT_T0_DpT1_.has_dyn_sized_stack, 0
	.set _ZN2at6native12_GLOBAL__N_125multi_tensor_apply_kernelINS1_18TensorListMetadataILi2EEENS1_14UnaryOpFunctorIdLi2ELi1ELi1EEEJNS0_5TruncIdEEEEEvT_T0_DpT1_.has_recursion, 0
	.set _ZN2at6native12_GLOBAL__N_125multi_tensor_apply_kernelINS1_18TensorListMetadataILi2EEENS1_14UnaryOpFunctorIdLi2ELi1ELi1EEEJNS0_5TruncIdEEEEEvT_T0_DpT1_.has_indirect_call, 0
	.section	.AMDGPU.csdata,"",@progbits
; Kernel info:
; codeLenInByte = 1184
; TotalNumSgprs: 22
; NumVgprs: 38
; ScratchSize: 0
; MemoryBound: 0
; FloatMode: 240
; IeeeMode: 1
; LDSByteSize: 0 bytes/workgroup (compile time only)
; SGPRBlocks: 0
; VGPRBlocks: 2
; NumSGPRsForWavesPerEU: 22
; NumVGPRsForWavesPerEU: 38
; NamedBarCnt: 0
; Occupancy: 16
; WaveLimiterHint : 0
; COMPUTE_PGM_RSRC2:SCRATCH_EN: 0
; COMPUTE_PGM_RSRC2:USER_SGPR: 2
; COMPUTE_PGM_RSRC2:TRAP_HANDLER: 0
; COMPUTE_PGM_RSRC2:TGID_X_EN: 1
; COMPUTE_PGM_RSRC2:TGID_Y_EN: 0
; COMPUTE_PGM_RSRC2:TGID_Z_EN: 0
; COMPUTE_PGM_RSRC2:TIDIG_COMP_CNT: 0
	.section	.text._ZN2at6native12_GLOBAL__N_125multi_tensor_apply_kernelINS1_18TensorListMetadataILi2EEENS1_14UnaryOpFunctorIfLi2ELi1ELi1EEEJNS0_5TruncIfEEEEEvT_T0_DpT1_,"axG",@progbits,_ZN2at6native12_GLOBAL__N_125multi_tensor_apply_kernelINS1_18TensorListMetadataILi2EEENS1_14UnaryOpFunctorIfLi2ELi1ELi1EEEJNS0_5TruncIfEEEEEvT_T0_DpT1_,comdat
	.globl	_ZN2at6native12_GLOBAL__N_125multi_tensor_apply_kernelINS1_18TensorListMetadataILi2EEENS1_14UnaryOpFunctorIfLi2ELi1ELi1EEEJNS0_5TruncIfEEEEEvT_T0_DpT1_ ; -- Begin function _ZN2at6native12_GLOBAL__N_125multi_tensor_apply_kernelINS1_18TensorListMetadataILi2EEENS1_14UnaryOpFunctorIfLi2ELi1ELi1EEEJNS0_5TruncIfEEEEEvT_T0_DpT1_
	.p2align	8
	.type	_ZN2at6native12_GLOBAL__N_125multi_tensor_apply_kernelINS1_18TensorListMetadataILi2EEENS1_14UnaryOpFunctorIfLi2ELi1ELi1EEEJNS0_5TruncIfEEEEEvT_T0_DpT1_,@function
_ZN2at6native12_GLOBAL__N_125multi_tensor_apply_kernelINS1_18TensorListMetadataILi2EEENS1_14UnaryOpFunctorIfLi2ELi1ELi1EEEJNS0_5TruncIfEEEEEvT_T0_DpT1_: ; @_ZN2at6native12_GLOBAL__N_125multi_tensor_apply_kernelINS1_18TensorListMetadataILi2EEENS1_14UnaryOpFunctorIfLi2ELi1ELi1EEEJNS0_5TruncIfEEEEEvT_T0_DpT1_
; %bb.0:
	s_bfe_u32 s2, ttmp6, 0x4000c
	s_and_b32 s3, ttmp6, 15
	s_add_co_i32 s2, s2, 1
	s_getreg_b32 s4, hwreg(HW_REG_IB_STS2, 6, 4)
	s_mul_i32 s2, ttmp9, s2
	s_mov_b32 s9, 0
	s_add_co_i32 s3, s3, s2
	s_cmp_eq_u32 s4, 0
	s_mov_b32 s15, s9
	s_cselect_b32 s8, ttmp9, s3
	s_load_u8 s11, s[0:1], s8 offset:0x600
	s_add_nc_u64 s[2:3], s[0:1], s[8:9]
	s_mul_u64 s[4:5], s[8:9], 3
	s_delay_alu instid0(SALU_CYCLE_1)
	s_add_nc_u64 s[4:5], s[2:3], s[4:5]
	s_load_b32 s10, s[4:5], 0x740
	s_wait_kmcnt 0x0
	s_clause 0x2
	s_load_b64 s[2:3], s[0:1], s11 offset:0x0 scale_offset
	s_load_b64 s[6:7], s[0:1], s11 offset:0x200 scale_offset
	;; [unrolled: 1-line block ×3, first 2 shown]
	s_wait_xcnt 0x0
	s_ashr_i32 s11, s10, 31
	s_delay_alu instid0(SALU_CYCLE_1)
	s_lshl_b64 s[4:5], s[10:11], 18
	s_wait_kmcnt 0x0
	s_and_b64 s[18:19], s[6:7], 15
	s_add_nc_u64 s[16:17], s[2:3], s[4:5]
	s_and_b32 s14, s12, 3
	s_and_b32 s8, s16, 15
	s_or_b64 s[14:15], s[18:19], s[14:15]
	s_lshl_b64 s[10:11], s[10:11], 16
	s_or_b64 s[14:15], s[14:15], s[8:9]
	s_sub_nc_u64 s[8:9], s[12:13], s[10:11]
	s_cmp_eq_u64 s[14:15], 0
	s_mov_b32 s10, -1
	s_cbranch_scc0 .LBB266_5
; %bb.1:
	v_min_i64 v[2:3], 0x10000, s[8:9]
	v_dual_mov_b32 v5, 0 :: v_dual_lshlrev_b32 v4, 2, v0
	s_mov_b32 s16, exec_lo
	s_delay_alu instid0(VALU_DEP_1)
	v_cmpx_lt_i64_e64 v[4:5], v[2:3]
	s_cbranch_execz .LBB266_4
; %bb.2:
	s_load_b32 s10, s[0:1], 0xc5c
	v_dual_mov_b32 v1, v5 :: v_dual_lshlrev_b32 v4, 4, v0
	s_mov_b32 s11, 0
	s_add_nc_u64 s[12:13], s[2:3], 8
	s_mov_b32 s15, s11
	s_delay_alu instid0(VALU_DEP_1) | instskip(SKIP_4) | instid1(SALU_CYCLE_1)
	v_add_nc_u64_e32 v[4:5], s[4:5], v[4:5]
	v_mov_b64_e32 v[6:7], v[0:1]
	s_mov_b32 s17, s11
	s_wait_kmcnt 0x0
	s_and_b32 s10, s10, 0xffff
	s_lshl_b32 s14, s10, 4
.LBB266_3:                              ; =>This Inner Loop Header: Depth=1
	s_delay_alu instid0(VALU_DEP_2) | instskip(NEXT) | instid1(VALU_DEP_2)
	v_add_nc_u64_e32 v[8:9], s[12:13], v[4:5]
	v_add_nc_u64_e32 v[6:7], s[10:11], v[6:7]
	global_load_b128 v[8:11], v[8:9], off offset:-8
	v_lshlrev_b64_e32 v[12:13], 2, v[6:7]
	s_delay_alu instid0(VALU_DEP_1)
	v_cmp_ge_i64_e32 vcc_lo, v[12:13], v[2:3]
	v_add_nc_u64_e32 v[12:13], s[6:7], v[4:5]
	v_add_nc_u64_e32 v[4:5], s[14:15], v[4:5]
	s_or_b32 s17, vcc_lo, s17
	s_wait_loadcnt 0x0
	v_trunc_f32_e32 v14, v8
	v_trunc_f32_e32 v15, v9
	;; [unrolled: 1-line block ×4, first 2 shown]
	s_wait_xcnt 0x0
	s_delay_alu instid0(VALU_DEP_3) | instskip(NEXT) | instid1(VALU_DEP_2)
	v_pk_add_f32 v[8:9], v[8:9], v[14:15] neg_lo:[0,1] neg_hi:[0,1]
	v_pk_add_f32 v[10:11], v[10:11], v[16:17] neg_lo:[0,1] neg_hi:[0,1]
	global_store_b128 v[12:13], v[8:11], off
	s_wait_xcnt 0x0
	s_and_not1_b32 exec_lo, exec_lo, s17
	s_cbranch_execnz .LBB266_3
.LBB266_4:
	s_or_b32 exec_lo, exec_lo, s16
	s_mov_b32 s10, 0
.LBB266_5:
	s_delay_alu instid0(SALU_CYCLE_1)
	s_and_not1_b32 vcc_lo, exec_lo, s10
	s_cbranch_vccnz .LBB266_25
; %bb.6:
	v_cmp_lt_i64_e64 s10, s[8:9], 1
	s_and_b32 vcc_lo, exec_lo, s10
	s_cbranch_vccnz .LBB266_25
; %bb.7:
	s_load_b32 s0, s[0:1], 0xc5c
	v_min_i64 v[2:3], 0x10000, s[8:9]
	v_min_u64 v[4:5], 0x10000, s[8:9]
	v_dual_mov_b32 v1, 0 :: v_dual_lshlrev_b32 v10, 2, v0
	s_mov_b32 s9, 0
	s_delay_alu instid0(SALU_CYCLE_1) | instskip(NEXT) | instid1(VALU_DEP_1)
	s_mov_b32 s13, s9
	v_dual_mov_b32 v11, v1 :: v_dual_mov_b32 v27, v1
	s_wait_xcnt 0x0
	s_mov_b32 s1, s9
	s_mov_b32 s11, s9
	s_delay_alu instid0(VALU_DEP_1) | instskip(SKIP_2) | instid1(SALU_CYCLE_1)
	v_add_nc_u64_e32 v[6:7], s[2:3], v[10:11]
	s_wait_kmcnt 0x0
	s_and_b32 s8, s0, 0xffff
	v_add_nc_u64_e32 v[8:9], s[8:9], v[0:1]
	v_mad_nc_u64_u32 v[22:23], s8, 12, v[10:11]
	s_lshl_b32 s12, s8, 3
	s_mul_i32 s10, s8, 3
	v_add_nc_u64_e32 v[18:19], s[12:13], v[10:11]
	s_lshl_b32 s0, s8, 1
	v_add_nc_u64_e32 v[10:11], s[6:7], v[10:11]
	v_lshlrev_b32_e32 v26, 2, v8
	v_add_nc_u64_e32 v[12:13], s[10:11], v[0:1]
	v_add_nc_u64_e32 v[14:15], s[0:1], v[0:1]
	s_mov_b64 s[10:11], 0
	v_add_nc_u64_e32 v[16:17], s[2:3], v[18:19]
	v_add_nc_u64_e32 v[18:19], s[6:7], v[18:19]
	;; [unrolled: 1-line block ×6, first 2 shown]
	s_lshl_b32 s6, s8, 2
	s_mov_b32 s7, s9
	s_lshl_b32 s8, s8, 4
	s_branch .LBB266_9
.LBB266_8:                              ;   in Loop: Header=BB266_9 Depth=1
	s_wait_xcnt 0x0
	s_or_b32 exec_lo, exec_lo, s0
	s_add_nc_u64 s[10:11], s[10:11], s[6:7]
	v_add_nc_u64_e32 v[6:7], s[8:9], v[6:7]
	v_cmp_ge_i64_e32 vcc_lo, s[10:11], v[2:3]
	v_add_nc_u64_e32 v[10:11], s[8:9], v[10:11]
	v_add_nc_u64_e32 v[20:21], s[8:9], v[20:21]
	;; [unrolled: 1-line block ×7, first 2 shown]
	s_cbranch_vccnz .LBB266_25
.LBB266_9:                              ; =>This Inner Loop Header: Depth=1
	s_wait_loadcnt 0x0
	v_add_nc_u64_e32 v[28:29], s[10:11], v[0:1]
	s_delay_alu instid0(VALU_DEP_1)
	v_cmp_lt_u64_e32 vcc_lo, v[28:29], v[4:5]
	v_mov_b32_e32 v29, 0
	s_and_saveexec_b32 s0, vcc_lo
	s_cbranch_execz .LBB266_11
; %bb.10:                               ;   in Loop: Header=BB266_9 Depth=1
	v_add_nc_u64_e32 v[28:29], s[4:5], v[6:7]
	global_load_b32 v29, v[28:29], off
.LBB266_11:                             ;   in Loop: Header=BB266_9 Depth=1
	s_wait_xcnt 0x0
	s_or_b32 exec_lo, exec_lo, s0
	v_add_nc_u64_e32 v[30:31], s[10:11], v[8:9]
	v_mov_b32_e32 v28, 0
	s_delay_alu instid0(VALU_DEP_2)
	v_cmp_lt_u64_e64 s0, v[30:31], v[4:5]
	v_mov_b32_e32 v30, 0
	s_and_saveexec_b32 s1, s0
	s_cbranch_execz .LBB266_13
; %bb.12:                               ;   in Loop: Header=BB266_9 Depth=1
	v_add_nc_u64_e32 v[30:31], s[4:5], v[24:25]
	global_load_b32 v30, v[30:31], off
.LBB266_13:                             ;   in Loop: Header=BB266_9 Depth=1
	s_wait_xcnt 0x0
	s_or_b32 exec_lo, exec_lo, s1
	v_add_nc_u64_e32 v[32:33], s[10:11], v[14:15]
	s_delay_alu instid0(VALU_DEP_1)
	v_cmp_lt_u64_e64 s1, v[32:33], v[4:5]
	s_and_saveexec_b32 s2, s1
	s_cbranch_execz .LBB266_15
; %bb.14:                               ;   in Loop: Header=BB266_9 Depth=1
	v_add_nc_u64_e32 v[32:33], s[4:5], v[16:17]
	global_load_b32 v28, v[32:33], off
.LBB266_15:                             ;   in Loop: Header=BB266_9 Depth=1
	s_wait_xcnt 0x0
	s_or_b32 exec_lo, exec_lo, s2
	v_add_nc_u64_e32 v[32:33], s[10:11], v[12:13]
	v_mov_b32_e32 v31, 0
	s_delay_alu instid0(VALU_DEP_2)
	v_cmp_lt_u64_e64 s2, v[32:33], v[4:5]
	s_and_saveexec_b32 s3, s2
	s_cbranch_execnz .LBB266_20
; %bb.16:                               ;   in Loop: Header=BB266_9 Depth=1
	s_or_b32 exec_lo, exec_lo, s3
	s_and_saveexec_b32 s3, vcc_lo
	s_cbranch_execnz .LBB266_21
.LBB266_17:                             ;   in Loop: Header=BB266_9 Depth=1
	s_or_b32 exec_lo, exec_lo, s3
	s_and_saveexec_b32 s3, s0
	s_cbranch_execnz .LBB266_22
.LBB266_18:                             ;   in Loop: Header=BB266_9 Depth=1
	s_or_b32 exec_lo, exec_lo, s3
	s_and_saveexec_b32 s0, s1
	s_cbranch_execnz .LBB266_23
.LBB266_19:                             ;   in Loop: Header=BB266_9 Depth=1
	s_or_b32 exec_lo, exec_lo, s0
	s_and_saveexec_b32 s0, s2
	s_cbranch_execz .LBB266_8
	s_branch .LBB266_24
.LBB266_20:                             ;   in Loop: Header=BB266_9 Depth=1
	v_add_nc_u64_e32 v[32:33], s[4:5], v[20:21]
	global_load_b32 v31, v[32:33], off
	s_wait_xcnt 0x0
	s_or_b32 exec_lo, exec_lo, s3
	s_and_saveexec_b32 s3, vcc_lo
	s_cbranch_execz .LBB266_17
.LBB266_21:                             ;   in Loop: Header=BB266_9 Depth=1
	s_wait_loadcnt 0x0
	v_trunc_f32_e32 v34, v29
	v_add_nc_u64_e32 v[32:33], s[4:5], v[10:11]
	s_delay_alu instid0(VALU_DEP_2)
	v_sub_f32_e32 v29, v29, v34
	global_store_b32 v[32:33], v29, off
	s_wait_xcnt 0x0
	s_or_b32 exec_lo, exec_lo, s3
	s_and_saveexec_b32 s3, s0
	s_cbranch_execz .LBB266_18
.LBB266_22:                             ;   in Loop: Header=BB266_9 Depth=1
	s_wait_loadcnt 0x0
	v_trunc_f32_e32 v29, v30
	v_add_nc_u64_e32 v[32:33], s[4:5], v[26:27]
	s_delay_alu instid0(VALU_DEP_2)
	v_sub_f32_e32 v29, v30, v29
	global_store_b32 v[32:33], v29, off
	s_wait_xcnt 0x0
	s_or_b32 exec_lo, exec_lo, s3
	s_and_saveexec_b32 s0, s1
	s_cbranch_execz .LBB266_19
.LBB266_23:                             ;   in Loop: Header=BB266_9 Depth=1
	s_wait_loadcnt 0x0
	v_trunc_f32_e32 v29, v28
	v_add_nc_u64_e32 v[32:33], s[4:5], v[18:19]
	s_delay_alu instid0(VALU_DEP_2)
	v_sub_f32_e32 v28, v28, v29
	global_store_b32 v[32:33], v28, off
	s_wait_xcnt 0x0
	s_or_b32 exec_lo, exec_lo, s0
	s_and_saveexec_b32 s0, s2
	s_cbranch_execz .LBB266_8
.LBB266_24:                             ;   in Loop: Header=BB266_9 Depth=1
	s_wait_loadcnt 0x0
	v_trunc_f32_e32 v30, v31
	v_add_nc_u64_e32 v[28:29], s[4:5], v[22:23]
	s_delay_alu instid0(VALU_DEP_2)
	v_sub_f32_e32 v30, v31, v30
	global_store_b32 v[28:29], v30, off
	s_branch .LBB266_8
.LBB266_25:
	s_endpgm
	.section	.rodata,"a",@progbits
	.p2align	6, 0x0
	.amdhsa_kernel _ZN2at6native12_GLOBAL__N_125multi_tensor_apply_kernelINS1_18TensorListMetadataILi2EEENS1_14UnaryOpFunctorIfLi2ELi1ELi1EEEJNS0_5TruncIfEEEEEvT_T0_DpT1_
		.amdhsa_group_segment_fixed_size 0
		.amdhsa_private_segment_fixed_size 0
		.amdhsa_kernarg_size 3408
		.amdhsa_user_sgpr_count 2
		.amdhsa_user_sgpr_dispatch_ptr 0
		.amdhsa_user_sgpr_queue_ptr 0
		.amdhsa_user_sgpr_kernarg_segment_ptr 1
		.amdhsa_user_sgpr_dispatch_id 0
		.amdhsa_user_sgpr_kernarg_preload_length 0
		.amdhsa_user_sgpr_kernarg_preload_offset 0
		.amdhsa_user_sgpr_private_segment_size 0
		.amdhsa_wavefront_size32 1
		.amdhsa_uses_dynamic_stack 0
		.amdhsa_enable_private_segment 0
		.amdhsa_system_sgpr_workgroup_id_x 1
		.amdhsa_system_sgpr_workgroup_id_y 0
		.amdhsa_system_sgpr_workgroup_id_z 0
		.amdhsa_system_sgpr_workgroup_info 0
		.amdhsa_system_vgpr_workitem_id 0
		.amdhsa_next_free_vgpr 35
		.amdhsa_next_free_sgpr 20
		.amdhsa_named_barrier_count 0
		.amdhsa_reserve_vcc 1
		.amdhsa_float_round_mode_32 0
		.amdhsa_float_round_mode_16_64 0
		.amdhsa_float_denorm_mode_32 3
		.amdhsa_float_denorm_mode_16_64 3
		.amdhsa_fp16_overflow 0
		.amdhsa_memory_ordered 1
		.amdhsa_forward_progress 1
		.amdhsa_inst_pref_size 9
		.amdhsa_round_robin_scheduling 0
		.amdhsa_exception_fp_ieee_invalid_op 0
		.amdhsa_exception_fp_denorm_src 0
		.amdhsa_exception_fp_ieee_div_zero 0
		.amdhsa_exception_fp_ieee_overflow 0
		.amdhsa_exception_fp_ieee_underflow 0
		.amdhsa_exception_fp_ieee_inexact 0
		.amdhsa_exception_int_div_zero 0
	.end_amdhsa_kernel
	.section	.text._ZN2at6native12_GLOBAL__N_125multi_tensor_apply_kernelINS1_18TensorListMetadataILi2EEENS1_14UnaryOpFunctorIfLi2ELi1ELi1EEEJNS0_5TruncIfEEEEEvT_T0_DpT1_,"axG",@progbits,_ZN2at6native12_GLOBAL__N_125multi_tensor_apply_kernelINS1_18TensorListMetadataILi2EEENS1_14UnaryOpFunctorIfLi2ELi1ELi1EEEJNS0_5TruncIfEEEEEvT_T0_DpT1_,comdat
.Lfunc_end266:
	.size	_ZN2at6native12_GLOBAL__N_125multi_tensor_apply_kernelINS1_18TensorListMetadataILi2EEENS1_14UnaryOpFunctorIfLi2ELi1ELi1EEEJNS0_5TruncIfEEEEEvT_T0_DpT1_, .Lfunc_end266-_ZN2at6native12_GLOBAL__N_125multi_tensor_apply_kernelINS1_18TensorListMetadataILi2EEENS1_14UnaryOpFunctorIfLi2ELi1ELi1EEEJNS0_5TruncIfEEEEEvT_T0_DpT1_
                                        ; -- End function
	.set _ZN2at6native12_GLOBAL__N_125multi_tensor_apply_kernelINS1_18TensorListMetadataILi2EEENS1_14UnaryOpFunctorIfLi2ELi1ELi1EEEJNS0_5TruncIfEEEEEvT_T0_DpT1_.num_vgpr, 35
	.set _ZN2at6native12_GLOBAL__N_125multi_tensor_apply_kernelINS1_18TensorListMetadataILi2EEENS1_14UnaryOpFunctorIfLi2ELi1ELi1EEEJNS0_5TruncIfEEEEEvT_T0_DpT1_.num_agpr, 0
	.set _ZN2at6native12_GLOBAL__N_125multi_tensor_apply_kernelINS1_18TensorListMetadataILi2EEENS1_14UnaryOpFunctorIfLi2ELi1ELi1EEEJNS0_5TruncIfEEEEEvT_T0_DpT1_.numbered_sgpr, 20
	.set _ZN2at6native12_GLOBAL__N_125multi_tensor_apply_kernelINS1_18TensorListMetadataILi2EEENS1_14UnaryOpFunctorIfLi2ELi1ELi1EEEJNS0_5TruncIfEEEEEvT_T0_DpT1_.num_named_barrier, 0
	.set _ZN2at6native12_GLOBAL__N_125multi_tensor_apply_kernelINS1_18TensorListMetadataILi2EEENS1_14UnaryOpFunctorIfLi2ELi1ELi1EEEJNS0_5TruncIfEEEEEvT_T0_DpT1_.private_seg_size, 0
	.set _ZN2at6native12_GLOBAL__N_125multi_tensor_apply_kernelINS1_18TensorListMetadataILi2EEENS1_14UnaryOpFunctorIfLi2ELi1ELi1EEEJNS0_5TruncIfEEEEEvT_T0_DpT1_.uses_vcc, 1
	.set _ZN2at6native12_GLOBAL__N_125multi_tensor_apply_kernelINS1_18TensorListMetadataILi2EEENS1_14UnaryOpFunctorIfLi2ELi1ELi1EEEJNS0_5TruncIfEEEEEvT_T0_DpT1_.uses_flat_scratch, 0
	.set _ZN2at6native12_GLOBAL__N_125multi_tensor_apply_kernelINS1_18TensorListMetadataILi2EEENS1_14UnaryOpFunctorIfLi2ELi1ELi1EEEJNS0_5TruncIfEEEEEvT_T0_DpT1_.has_dyn_sized_stack, 0
	.set _ZN2at6native12_GLOBAL__N_125multi_tensor_apply_kernelINS1_18TensorListMetadataILi2EEENS1_14UnaryOpFunctorIfLi2ELi1ELi1EEEJNS0_5TruncIfEEEEEvT_T0_DpT1_.has_recursion, 0
	.set _ZN2at6native12_GLOBAL__N_125multi_tensor_apply_kernelINS1_18TensorListMetadataILi2EEENS1_14UnaryOpFunctorIfLi2ELi1ELi1EEEJNS0_5TruncIfEEEEEvT_T0_DpT1_.has_indirect_call, 0
	.section	.AMDGPU.csdata,"",@progbits
; Kernel info:
; codeLenInByte = 1112
; TotalNumSgprs: 22
; NumVgprs: 35
; ScratchSize: 0
; MemoryBound: 0
; FloatMode: 240
; IeeeMode: 1
; LDSByteSize: 0 bytes/workgroup (compile time only)
; SGPRBlocks: 0
; VGPRBlocks: 2
; NumSGPRsForWavesPerEU: 22
; NumVGPRsForWavesPerEU: 35
; NamedBarCnt: 0
; Occupancy: 16
; WaveLimiterHint : 0
; COMPUTE_PGM_RSRC2:SCRATCH_EN: 0
; COMPUTE_PGM_RSRC2:USER_SGPR: 2
; COMPUTE_PGM_RSRC2:TRAP_HANDLER: 0
; COMPUTE_PGM_RSRC2:TGID_X_EN: 1
; COMPUTE_PGM_RSRC2:TGID_Y_EN: 0
; COMPUTE_PGM_RSRC2:TGID_Z_EN: 0
; COMPUTE_PGM_RSRC2:TIDIG_COMP_CNT: 0
	.section	.text._ZN2at6native12_GLOBAL__N_125multi_tensor_apply_kernelINS1_18TensorListMetadataILi2EEENS1_14UnaryOpFunctorIN3c104HalfELi2ELi1ELi1EEEJNS0_5TruncIfEEEEEvT_T0_DpT1_,"axG",@progbits,_ZN2at6native12_GLOBAL__N_125multi_tensor_apply_kernelINS1_18TensorListMetadataILi2EEENS1_14UnaryOpFunctorIN3c104HalfELi2ELi1ELi1EEEJNS0_5TruncIfEEEEEvT_T0_DpT1_,comdat
	.globl	_ZN2at6native12_GLOBAL__N_125multi_tensor_apply_kernelINS1_18TensorListMetadataILi2EEENS1_14UnaryOpFunctorIN3c104HalfELi2ELi1ELi1EEEJNS0_5TruncIfEEEEEvT_T0_DpT1_ ; -- Begin function _ZN2at6native12_GLOBAL__N_125multi_tensor_apply_kernelINS1_18TensorListMetadataILi2EEENS1_14UnaryOpFunctorIN3c104HalfELi2ELi1ELi1EEEJNS0_5TruncIfEEEEEvT_T0_DpT1_
	.p2align	8
	.type	_ZN2at6native12_GLOBAL__N_125multi_tensor_apply_kernelINS1_18TensorListMetadataILi2EEENS1_14UnaryOpFunctorIN3c104HalfELi2ELi1ELi1EEEJNS0_5TruncIfEEEEEvT_T0_DpT1_,@function
_ZN2at6native12_GLOBAL__N_125multi_tensor_apply_kernelINS1_18TensorListMetadataILi2EEENS1_14UnaryOpFunctorIN3c104HalfELi2ELi1ELi1EEEJNS0_5TruncIfEEEEEvT_T0_DpT1_: ; @_ZN2at6native12_GLOBAL__N_125multi_tensor_apply_kernelINS1_18TensorListMetadataILi2EEENS1_14UnaryOpFunctorIN3c104HalfELi2ELi1ELi1EEEJNS0_5TruncIfEEEEEvT_T0_DpT1_
; %bb.0:
	s_bfe_u32 s2, ttmp6, 0x4000c
	s_and_b32 s3, ttmp6, 15
	s_add_co_i32 s2, s2, 1
	s_getreg_b32 s4, hwreg(HW_REG_IB_STS2, 6, 4)
	s_mul_i32 s2, ttmp9, s2
	s_mov_b32 s7, 0
	s_add_co_i32 s3, s3, s2
	s_cmp_eq_u32 s4, 0
	s_mov_b32 s15, s7
	s_cselect_b32 s6, ttmp9, s3
	s_load_u8 s11, s[0:1], s6 offset:0x600
	s_add_nc_u64 s[2:3], s[0:1], s[6:7]
	s_mul_u64 s[4:5], s[6:7], 3
	s_delay_alu instid0(SALU_CYCLE_1)
	s_add_nc_u64 s[4:5], s[2:3], s[4:5]
	s_load_b32 s10, s[4:5], 0x740
	s_wait_kmcnt 0x0
	s_clause 0x2
	s_load_b64 s[2:3], s[0:1], s11 offset:0x0 scale_offset
	s_load_b64 s[8:9], s[0:1], s11 offset:0x200 scale_offset
	;; [unrolled: 1-line block ×3, first 2 shown]
	s_wait_xcnt 0x0
	s_ashr_i32 s11, s10, 31
	s_delay_alu instid0(SALU_CYCLE_1)
	s_lshl_b64 s[4:5], s[10:11], 17
	s_wait_kmcnt 0x0
	s_and_b64 s[18:19], s[8:9], 7
	s_add_nc_u64 s[16:17], s[2:3], s[4:5]
	s_and_b32 s14, s12, 3
	s_and_b32 s6, s16, 7
	s_or_b64 s[14:15], s[18:19], s[14:15]
	s_lshl_b64 s[10:11], s[10:11], 16
	s_or_b64 s[14:15], s[14:15], s[6:7]
	s_sub_nc_u64 s[6:7], s[12:13], s[10:11]
	s_cmp_eq_u64 s[14:15], 0
	s_mov_b32 s10, -1
	s_cbranch_scc0 .LBB267_5
; %bb.1:
	v_min_i64 v[2:3], 0x10000, s[6:7]
	v_dual_mov_b32 v5, 0 :: v_dual_lshlrev_b32 v4, 2, v0
	s_mov_b32 s14, exec_lo
	s_delay_alu instid0(VALU_DEP_1)
	v_cmpx_lt_i64_e64 v[4:5], v[2:3]
	s_cbranch_execz .LBB267_4
; %bb.2:
	s_load_b32 s10, s[0:1], 0xc5c
	v_dual_mov_b32 v1, v5 :: v_dual_lshlrev_b32 v4, 3, v0
	s_mov_b32 s11, 0
	s_delay_alu instid0(SALU_CYCLE_1) | instskip(NEXT) | instid1(VALU_DEP_1)
	s_mov_b32 s13, s11
	v_add_nc_u64_e32 v[4:5], s[4:5], v[4:5]
	s_delay_alu instid0(VALU_DEP_2) | instskip(SKIP_3) | instid1(SALU_CYCLE_1)
	v_mov_b64_e32 v[6:7], v[0:1]
	s_mov_b32 s15, s11
	s_wait_kmcnt 0x0
	s_and_b32 s10, s10, 0xffff
	s_lshl_b32 s12, s10, 3
.LBB267_3:                              ; =>This Inner Loop Header: Depth=1
	s_delay_alu instid0(VALU_DEP_2) | instskip(NEXT) | instid1(VALU_DEP_2)
	v_add_nc_u64_e32 v[8:9], s[2:3], v[4:5]
	v_add_nc_u64_e32 v[6:7], s[10:11], v[6:7]
	global_load_b64 v[8:9], v[8:9], off
	s_wait_loadcnt 0x0
	v_dual_lshrrev_b32 v1, 16, v9 :: v_dual_lshrrev_b32 v10, 16, v8
	v_cvt_f32_f16_e32 v11, v8
	v_cvt_f32_f16_e32 v12, v9
	s_wait_xcnt 0x0
	v_lshlrev_b64_e32 v[8:9], 2, v[6:7]
	v_cvt_f32_f16_e32 v1, v1
	v_cvt_f32_f16_e32 v10, v10
	v_trunc_f32_e32 v13, v11
	v_trunc_f32_e32 v14, v12
	s_delay_alu instid0(VALU_DEP_4) | instskip(NEXT) | instid1(VALU_DEP_4)
	v_trunc_f32_e32 v15, v1
	v_trunc_f32_e32 v16, v10
	s_delay_alu instid0(VALU_DEP_3) | instskip(SKIP_1) | instid1(VALU_DEP_3)
	v_dual_sub_f32 v13, v11, v13 :: v_dual_sub_f32 v11, v12, v14
	v_cmp_ge_i64_e32 vcc_lo, v[8:9], v[2:3]
	v_dual_sub_f32 v1, v1, v15 :: v_dual_sub_f32 v10, v10, v16
	v_add_nc_u64_e32 v[8:9], s[8:9], v[4:5]
	v_add_nc_u64_e32 v[4:5], s[12:13], v[4:5]
	s_delay_alu instid0(VALU_DEP_3) | instskip(NEXT) | instid1(VALU_DEP_4)
	v_cvt_pk_f16_f32 v11, v11, v1
	v_cvt_pk_f16_f32 v10, v13, v10
	s_or_b32 s15, vcc_lo, s15
	global_store_b64 v[8:9], v[10:11], off
	s_wait_xcnt 0x0
	s_and_not1_b32 exec_lo, exec_lo, s15
	s_cbranch_execnz .LBB267_3
.LBB267_4:
	s_or_b32 exec_lo, exec_lo, s14
	s_mov_b32 s10, 0
.LBB267_5:
	s_delay_alu instid0(SALU_CYCLE_1)
	s_and_not1_b32 vcc_lo, exec_lo, s10
	s_cbranch_vccnz .LBB267_25
; %bb.6:
	v_cmp_lt_i64_e64 s10, s[6:7], 1
	s_and_b32 vcc_lo, exec_lo, s10
	s_cbranch_vccnz .LBB267_25
; %bb.7:
	s_load_b32 s0, s[0:1], 0xc5c
	v_min_i64 v[2:3], 0x10000, s[6:7]
	v_min_u64 v[4:5], 0x10000, s[6:7]
	v_dual_mov_b32 v1, 0 :: v_dual_lshlrev_b32 v10, 1, v0
	s_wait_xcnt 0x0
	s_mov_b32 s1, 0
	s_delay_alu instid0(SALU_CYCLE_1) | instskip(NEXT) | instid1(VALU_DEP_1)
	s_mov_b32 s7, s1
	v_dual_mov_b32 v11, v1 :: v_dual_mov_b32 v27, v1
	s_mov_b32 s11, s1
	s_mov_b32 s13, s1
	s_delay_alu instid0(VALU_DEP_1) | instskip(SKIP_2) | instid1(SALU_CYCLE_1)
	v_add_nc_u64_e32 v[6:7], s[2:3], v[10:11]
	s_wait_kmcnt 0x0
	s_and_b32 s0, s0, 0xffff
	v_add_nc_u64_e32 v[8:9], s[0:1], v[0:1]
	v_mad_nc_u64_u32 v[22:23], s0, 6, v[10:11]
	s_lshl_b32 s6, s0, 2
	s_mul_i32 s12, s0, 3
	v_add_nc_u64_e32 v[18:19], s[6:7], v[10:11]
	s_lshl_b32 s10, s0, 1
	v_add_nc_u64_e32 v[10:11], s[8:9], v[10:11]
	v_lshlrev_b32_e32 v26, 1, v8
	v_add_nc_u64_e32 v[12:13], s[12:13], v[0:1]
	v_add_nc_u64_e32 v[14:15], s[10:11], v[0:1]
	s_mov_b64 s[10:11], 0
	v_add_nc_u64_e32 v[16:17], s[2:3], v[18:19]
	v_add_nc_u64_e32 v[18:19], s[8:9], v[18:19]
	;; [unrolled: 1-line block ×6, first 2 shown]
	s_lshl_b32 s8, s0, 3
	s_mov_b32 s9, s1
	s_branch .LBB267_9
.LBB267_8:                              ;   in Loop: Header=BB267_9 Depth=1
	s_wait_xcnt 0x0
	s_or_b32 exec_lo, exec_lo, s0
	s_add_nc_u64 s[10:11], s[10:11], s[6:7]
	v_add_nc_u64_e32 v[6:7], s[8:9], v[6:7]
	v_cmp_ge_i64_e32 vcc_lo, s[10:11], v[2:3]
	v_add_nc_u64_e32 v[10:11], s[8:9], v[10:11]
	v_add_nc_u64_e32 v[20:21], s[8:9], v[20:21]
	;; [unrolled: 1-line block ×7, first 2 shown]
	s_cbranch_vccnz .LBB267_25
.LBB267_9:                              ; =>This Inner Loop Header: Depth=1
	v_add_nc_u64_e32 v[28:29], s[10:11], v[0:1]
	s_delay_alu instid0(VALU_DEP_1)
	v_cmp_lt_u64_e32 vcc_lo, v[28:29], v[4:5]
	v_mov_b32_e32 v29, 0
	s_and_saveexec_b32 s0, vcc_lo
	s_cbranch_execz .LBB267_11
; %bb.10:                               ;   in Loop: Header=BB267_9 Depth=1
	v_add_nc_u64_e32 v[28:29], s[4:5], v[6:7]
	global_load_u16 v28, v[28:29], off
	s_wait_loadcnt 0x0
	v_cvt_f32_f16_e32 v29, v28
.LBB267_11:                             ;   in Loop: Header=BB267_9 Depth=1
	s_or_b32 exec_lo, exec_lo, s0
	v_add_nc_u64_e32 v[30:31], s[10:11], v[8:9]
	v_mov_b32_e32 v28, 0
	s_delay_alu instid0(VALU_DEP_2)
	v_cmp_lt_u64_e64 s0, v[30:31], v[4:5]
	v_mov_b32_e32 v30, 0
	s_and_saveexec_b32 s1, s0
	s_cbranch_execz .LBB267_13
; %bb.12:                               ;   in Loop: Header=BB267_9 Depth=1
	v_add_nc_u64_e32 v[30:31], s[4:5], v[24:25]
	global_load_u16 v30, v[30:31], off
	s_wait_loadcnt 0x0
	v_cvt_f32_f16_e32 v30, v30
.LBB267_13:                             ;   in Loop: Header=BB267_9 Depth=1
	s_or_b32 exec_lo, exec_lo, s1
	v_add_nc_u64_e32 v[32:33], s[10:11], v[14:15]
	s_delay_alu instid0(VALU_DEP_1)
	v_cmp_lt_u64_e64 s1, v[32:33], v[4:5]
	s_and_saveexec_b32 s2, s1
	s_cbranch_execz .LBB267_15
; %bb.14:                               ;   in Loop: Header=BB267_9 Depth=1
	v_add_nc_u64_e32 v[32:33], s[4:5], v[16:17]
	global_load_u16 v28, v[32:33], off
	s_wait_loadcnt 0x0
	v_cvt_f32_f16_e32 v28, v28
.LBB267_15:                             ;   in Loop: Header=BB267_9 Depth=1
	s_wait_xcnt 0x0
	s_or_b32 exec_lo, exec_lo, s2
	v_add_nc_u64_e32 v[32:33], s[10:11], v[12:13]
	v_mov_b32_e32 v31, 0
	s_delay_alu instid0(VALU_DEP_2)
	v_cmp_lt_u64_e64 s2, v[32:33], v[4:5]
	s_and_saveexec_b32 s3, s2
	s_cbranch_execnz .LBB267_20
; %bb.16:                               ;   in Loop: Header=BB267_9 Depth=1
	s_or_b32 exec_lo, exec_lo, s3
	s_and_saveexec_b32 s3, vcc_lo
	s_cbranch_execnz .LBB267_21
.LBB267_17:                             ;   in Loop: Header=BB267_9 Depth=1
	s_or_b32 exec_lo, exec_lo, s3
	s_and_saveexec_b32 s3, s0
	s_cbranch_execnz .LBB267_22
.LBB267_18:                             ;   in Loop: Header=BB267_9 Depth=1
	s_or_b32 exec_lo, exec_lo, s3
	s_and_saveexec_b32 s0, s1
	s_cbranch_execnz .LBB267_23
.LBB267_19:                             ;   in Loop: Header=BB267_9 Depth=1
	s_or_b32 exec_lo, exec_lo, s0
	s_and_saveexec_b32 s0, s2
	s_cbranch_execz .LBB267_8
	s_branch .LBB267_24
.LBB267_20:                             ;   in Loop: Header=BB267_9 Depth=1
	v_add_nc_u64_e32 v[32:33], s[4:5], v[20:21]
	global_load_u16 v31, v[32:33], off
	s_wait_loadcnt 0x0
	v_cvt_f32_f16_e32 v31, v31
	s_wait_xcnt 0x0
	s_or_b32 exec_lo, exec_lo, s3
	s_and_saveexec_b32 s3, vcc_lo
	s_cbranch_execz .LBB267_17
.LBB267_21:                             ;   in Loop: Header=BB267_9 Depth=1
	v_trunc_f32_e32 v32, v29
	s_delay_alu instid0(VALU_DEP_1) | instskip(SKIP_1) | instid1(VALU_DEP_2)
	v_sub_f32_e32 v29, v29, v32
	v_add_nc_u64_e32 v[32:33], s[4:5], v[10:11]
	v_cvt_f16_f32_e32 v29, v29
	global_store_b16 v[32:33], v29, off
	s_wait_xcnt 0x0
	s_or_b32 exec_lo, exec_lo, s3
	s_and_saveexec_b32 s3, s0
	s_cbranch_execz .LBB267_18
.LBB267_22:                             ;   in Loop: Header=BB267_9 Depth=1
	v_trunc_f32_e32 v29, v30
	v_add_nc_u64_e32 v[32:33], s[4:5], v[26:27]
	s_delay_alu instid0(VALU_DEP_2) | instskip(NEXT) | instid1(VALU_DEP_1)
	v_sub_f32_e32 v29, v30, v29
	v_cvt_f16_f32_e32 v29, v29
	global_store_b16 v[32:33], v29, off
	s_wait_xcnt 0x0
	s_or_b32 exec_lo, exec_lo, s3
	s_and_saveexec_b32 s0, s1
	s_cbranch_execz .LBB267_19
.LBB267_23:                             ;   in Loop: Header=BB267_9 Depth=1
	v_trunc_f32_e32 v29, v28
	s_delay_alu instid0(VALU_DEP_1) | instskip(SKIP_1) | instid1(VALU_DEP_2)
	v_sub_f32_e32 v30, v28, v29
	v_add_nc_u64_e32 v[28:29], s[4:5], v[18:19]
	v_cvt_f16_f32_e32 v30, v30
	global_store_b16 v[28:29], v30, off
	s_wait_xcnt 0x0
	s_or_b32 exec_lo, exec_lo, s0
	s_and_saveexec_b32 s0, s2
	s_cbranch_execz .LBB267_8
.LBB267_24:                             ;   in Loop: Header=BB267_9 Depth=1
	v_trunc_f32_e32 v28, v31
	s_delay_alu instid0(VALU_DEP_1) | instskip(SKIP_1) | instid1(VALU_DEP_2)
	v_sub_f32_e32 v30, v31, v28
	v_add_nc_u64_e32 v[28:29], s[4:5], v[22:23]
	v_cvt_f16_f32_e32 v30, v30
	global_store_b16 v[28:29], v30, off
	s_branch .LBB267_8
.LBB267_25:
	s_endpgm
	.section	.rodata,"a",@progbits
	.p2align	6, 0x0
	.amdhsa_kernel _ZN2at6native12_GLOBAL__N_125multi_tensor_apply_kernelINS1_18TensorListMetadataILi2EEENS1_14UnaryOpFunctorIN3c104HalfELi2ELi1ELi1EEEJNS0_5TruncIfEEEEEvT_T0_DpT1_
		.amdhsa_group_segment_fixed_size 0
		.amdhsa_private_segment_fixed_size 0
		.amdhsa_kernarg_size 3408
		.amdhsa_user_sgpr_count 2
		.amdhsa_user_sgpr_dispatch_ptr 0
		.amdhsa_user_sgpr_queue_ptr 0
		.amdhsa_user_sgpr_kernarg_segment_ptr 1
		.amdhsa_user_sgpr_dispatch_id 0
		.amdhsa_user_sgpr_kernarg_preload_length 0
		.amdhsa_user_sgpr_kernarg_preload_offset 0
		.amdhsa_user_sgpr_private_segment_size 0
		.amdhsa_wavefront_size32 1
		.amdhsa_uses_dynamic_stack 0
		.amdhsa_enable_private_segment 0
		.amdhsa_system_sgpr_workgroup_id_x 1
		.amdhsa_system_sgpr_workgroup_id_y 0
		.amdhsa_system_sgpr_workgroup_id_z 0
		.amdhsa_system_sgpr_workgroup_info 0
		.amdhsa_system_vgpr_workitem_id 0
		.amdhsa_next_free_vgpr 34
		.amdhsa_next_free_sgpr 20
		.amdhsa_named_barrier_count 0
		.amdhsa_reserve_vcc 1
		.amdhsa_float_round_mode_32 0
		.amdhsa_float_round_mode_16_64 0
		.amdhsa_float_denorm_mode_32 3
		.amdhsa_float_denorm_mode_16_64 3
		.amdhsa_fp16_overflow 0
		.amdhsa_memory_ordered 1
		.amdhsa_forward_progress 1
		.amdhsa_inst_pref_size 10
		.amdhsa_round_robin_scheduling 0
		.amdhsa_exception_fp_ieee_invalid_op 0
		.amdhsa_exception_fp_denorm_src 0
		.amdhsa_exception_fp_ieee_div_zero 0
		.amdhsa_exception_fp_ieee_overflow 0
		.amdhsa_exception_fp_ieee_underflow 0
		.amdhsa_exception_fp_ieee_inexact 0
		.amdhsa_exception_int_div_zero 0
	.end_amdhsa_kernel
	.section	.text._ZN2at6native12_GLOBAL__N_125multi_tensor_apply_kernelINS1_18TensorListMetadataILi2EEENS1_14UnaryOpFunctorIN3c104HalfELi2ELi1ELi1EEEJNS0_5TruncIfEEEEEvT_T0_DpT1_,"axG",@progbits,_ZN2at6native12_GLOBAL__N_125multi_tensor_apply_kernelINS1_18TensorListMetadataILi2EEENS1_14UnaryOpFunctorIN3c104HalfELi2ELi1ELi1EEEJNS0_5TruncIfEEEEEvT_T0_DpT1_,comdat
.Lfunc_end267:
	.size	_ZN2at6native12_GLOBAL__N_125multi_tensor_apply_kernelINS1_18TensorListMetadataILi2EEENS1_14UnaryOpFunctorIN3c104HalfELi2ELi1ELi1EEEJNS0_5TruncIfEEEEEvT_T0_DpT1_, .Lfunc_end267-_ZN2at6native12_GLOBAL__N_125multi_tensor_apply_kernelINS1_18TensorListMetadataILi2EEENS1_14UnaryOpFunctorIN3c104HalfELi2ELi1ELi1EEEJNS0_5TruncIfEEEEEvT_T0_DpT1_
                                        ; -- End function
	.set _ZN2at6native12_GLOBAL__N_125multi_tensor_apply_kernelINS1_18TensorListMetadataILi2EEENS1_14UnaryOpFunctorIN3c104HalfELi2ELi1ELi1EEEJNS0_5TruncIfEEEEEvT_T0_DpT1_.num_vgpr, 34
	.set _ZN2at6native12_GLOBAL__N_125multi_tensor_apply_kernelINS1_18TensorListMetadataILi2EEENS1_14UnaryOpFunctorIN3c104HalfELi2ELi1ELi1EEEJNS0_5TruncIfEEEEEvT_T0_DpT1_.num_agpr, 0
	.set _ZN2at6native12_GLOBAL__N_125multi_tensor_apply_kernelINS1_18TensorListMetadataILi2EEENS1_14UnaryOpFunctorIN3c104HalfELi2ELi1ELi1EEEJNS0_5TruncIfEEEEEvT_T0_DpT1_.numbered_sgpr, 20
	.set _ZN2at6native12_GLOBAL__N_125multi_tensor_apply_kernelINS1_18TensorListMetadataILi2EEENS1_14UnaryOpFunctorIN3c104HalfELi2ELi1ELi1EEEJNS0_5TruncIfEEEEEvT_T0_DpT1_.num_named_barrier, 0
	.set _ZN2at6native12_GLOBAL__N_125multi_tensor_apply_kernelINS1_18TensorListMetadataILi2EEENS1_14UnaryOpFunctorIN3c104HalfELi2ELi1ELi1EEEJNS0_5TruncIfEEEEEvT_T0_DpT1_.private_seg_size, 0
	.set _ZN2at6native12_GLOBAL__N_125multi_tensor_apply_kernelINS1_18TensorListMetadataILi2EEENS1_14UnaryOpFunctorIN3c104HalfELi2ELi1ELi1EEEJNS0_5TruncIfEEEEEvT_T0_DpT1_.uses_vcc, 1
	.set _ZN2at6native12_GLOBAL__N_125multi_tensor_apply_kernelINS1_18TensorListMetadataILi2EEENS1_14UnaryOpFunctorIN3c104HalfELi2ELi1ELi1EEEJNS0_5TruncIfEEEEEvT_T0_DpT1_.uses_flat_scratch, 0
	.set _ZN2at6native12_GLOBAL__N_125multi_tensor_apply_kernelINS1_18TensorListMetadataILi2EEENS1_14UnaryOpFunctorIN3c104HalfELi2ELi1ELi1EEEJNS0_5TruncIfEEEEEvT_T0_DpT1_.has_dyn_sized_stack, 0
	.set _ZN2at6native12_GLOBAL__N_125multi_tensor_apply_kernelINS1_18TensorListMetadataILi2EEENS1_14UnaryOpFunctorIN3c104HalfELi2ELi1ELi1EEEJNS0_5TruncIfEEEEEvT_T0_DpT1_.has_recursion, 0
	.set _ZN2at6native12_GLOBAL__N_125multi_tensor_apply_kernelINS1_18TensorListMetadataILi2EEENS1_14UnaryOpFunctorIN3c104HalfELi2ELi1ELi1EEEJNS0_5TruncIfEEEEEvT_T0_DpT1_.has_indirect_call, 0
	.section	.AMDGPU.csdata,"",@progbits
; Kernel info:
; codeLenInByte = 1180
; TotalNumSgprs: 22
; NumVgprs: 34
; ScratchSize: 0
; MemoryBound: 0
; FloatMode: 240
; IeeeMode: 1
; LDSByteSize: 0 bytes/workgroup (compile time only)
; SGPRBlocks: 0
; VGPRBlocks: 2
; NumSGPRsForWavesPerEU: 22
; NumVGPRsForWavesPerEU: 34
; NamedBarCnt: 0
; Occupancy: 16
; WaveLimiterHint : 0
; COMPUTE_PGM_RSRC2:SCRATCH_EN: 0
; COMPUTE_PGM_RSRC2:USER_SGPR: 2
; COMPUTE_PGM_RSRC2:TRAP_HANDLER: 0
; COMPUTE_PGM_RSRC2:TGID_X_EN: 1
; COMPUTE_PGM_RSRC2:TGID_Y_EN: 0
; COMPUTE_PGM_RSRC2:TGID_Z_EN: 0
; COMPUTE_PGM_RSRC2:TIDIG_COMP_CNT: 0
	.section	.text._ZN2at6native12_GLOBAL__N_125multi_tensor_apply_kernelINS1_18TensorListMetadataILi2EEENS1_14UnaryOpFunctorIN3c108BFloat16ELi2ELi1ELi1EEEJNS0_5TruncIfEEEEEvT_T0_DpT1_,"axG",@progbits,_ZN2at6native12_GLOBAL__N_125multi_tensor_apply_kernelINS1_18TensorListMetadataILi2EEENS1_14UnaryOpFunctorIN3c108BFloat16ELi2ELi1ELi1EEEJNS0_5TruncIfEEEEEvT_T0_DpT1_,comdat
	.globl	_ZN2at6native12_GLOBAL__N_125multi_tensor_apply_kernelINS1_18TensorListMetadataILi2EEENS1_14UnaryOpFunctorIN3c108BFloat16ELi2ELi1ELi1EEEJNS0_5TruncIfEEEEEvT_T0_DpT1_ ; -- Begin function _ZN2at6native12_GLOBAL__N_125multi_tensor_apply_kernelINS1_18TensorListMetadataILi2EEENS1_14UnaryOpFunctorIN3c108BFloat16ELi2ELi1ELi1EEEJNS0_5TruncIfEEEEEvT_T0_DpT1_
	.p2align	8
	.type	_ZN2at6native12_GLOBAL__N_125multi_tensor_apply_kernelINS1_18TensorListMetadataILi2EEENS1_14UnaryOpFunctorIN3c108BFloat16ELi2ELi1ELi1EEEJNS0_5TruncIfEEEEEvT_T0_DpT1_,@function
_ZN2at6native12_GLOBAL__N_125multi_tensor_apply_kernelINS1_18TensorListMetadataILi2EEENS1_14UnaryOpFunctorIN3c108BFloat16ELi2ELi1ELi1EEEJNS0_5TruncIfEEEEEvT_T0_DpT1_: ; @_ZN2at6native12_GLOBAL__N_125multi_tensor_apply_kernelINS1_18TensorListMetadataILi2EEENS1_14UnaryOpFunctorIN3c108BFloat16ELi2ELi1ELi1EEEJNS0_5TruncIfEEEEEvT_T0_DpT1_
; %bb.0:
	s_bfe_u32 s2, ttmp6, 0x4000c
	s_and_b32 s3, ttmp6, 15
	s_add_co_i32 s2, s2, 1
	s_getreg_b32 s4, hwreg(HW_REG_IB_STS2, 6, 4)
	s_mul_i32 s2, ttmp9, s2
	s_delay_alu instid0(SALU_CYCLE_1)
	s_add_co_i32 s3, s3, s2
	s_cmp_eq_u32 s4, 0
	s_cselect_b32 s2, ttmp9, s3
	s_mov_b32 s3, 0
	s_load_u8 s11, s[0:1], s2 offset:0x600
	s_add_nc_u64 s[4:5], s[0:1], s[2:3]
	s_mul_u64 s[6:7], s[2:3], 3
	s_mov_b32 s15, s3
	s_add_nc_u64 s[4:5], s[4:5], s[6:7]
	s_load_b32 s10, s[4:5], 0x740
	s_wait_kmcnt 0x0
	s_clause 0x2
	s_load_b64 s[6:7], s[0:1], s11 offset:0x0 scale_offset
	s_load_b64 s[8:9], s[0:1], s11 offset:0x200 scale_offset
	s_load_b64 s[12:13], s[0:1], s11 offset:0x400 scale_offset
	s_wait_xcnt 0x0
	s_ashr_i32 s11, s10, 31
	s_delay_alu instid0(SALU_CYCLE_1)
	s_lshl_b64 s[4:5], s[10:11], 17
	s_wait_kmcnt 0x0
	s_and_b64 s[18:19], s[8:9], 7
	s_add_nc_u64 s[16:17], s[6:7], s[4:5]
	s_and_b32 s14, s12, 3
	s_and_b32 s2, s16, 7
	s_or_b64 s[14:15], s[18:19], s[14:15]
	s_lshl_b64 s[10:11], s[10:11], 16
	s_or_b64 s[2:3], s[14:15], s[2:3]
	s_sub_nc_u64 s[10:11], s[12:13], s[10:11]
	s_cmp_eq_u64 s[2:3], 0
	s_mov_b32 s2, -1
	s_cbranch_scc0 .LBB268_5
; %bb.1:
	v_min_i64 v[2:3], 0x10000, s[10:11]
	v_dual_mov_b32 v5, 0 :: v_dual_lshlrev_b32 v4, 2, v0
	s_mov_b32 s3, exec_lo
	s_delay_alu instid0(VALU_DEP_1)
	v_cmpx_lt_i64_e64 v[4:5], v[2:3]
	s_cbranch_execz .LBB268_4
; %bb.2:
	s_load_b32 s2, s[0:1], 0xc5c
	v_dual_mov_b32 v1, v5 :: v_dual_lshlrev_b32 v4, 3, v0
	s_mov_b32 s13, 0
	s_delay_alu instid0(SALU_CYCLE_1) | instskip(NEXT) | instid1(VALU_DEP_1)
	s_mov_b32 s15, s13
	v_add_nc_u64_e32 v[4:5], s[4:5], v[4:5]
	s_delay_alu instid0(VALU_DEP_2) | instskip(SKIP_3) | instid1(SALU_CYCLE_1)
	v_mov_b64_e32 v[6:7], v[0:1]
	s_mov_b32 s16, s13
	s_wait_kmcnt 0x0
	s_and_b32 s12, s2, 0xffff
	s_lshl_b32 s14, s12, 3
.LBB268_3:                              ; =>This Inner Loop Header: Depth=1
	s_delay_alu instid0(VALU_DEP_2) | instskip(NEXT) | instid1(VALU_DEP_2)
	v_add_nc_u64_e32 v[8:9], s[6:7], v[4:5]
	v_add_nc_u64_e32 v[6:7], s[12:13], v[6:7]
	global_load_b64 v[8:9], v[8:9], off
	v_lshlrev_b64_e32 v[10:11], 2, v[6:7]
	s_wait_loadcnt 0x0
	v_lshlrev_b32_e32 v13, 16, v8
	v_and_b32_e32 v12, 0xffff0000, v8
	v_alignbit_b32 v1, v9, v8, 16
	s_wait_xcnt 0x0
	v_and_b32_e32 v8, 0xffff0000, v9
	v_trunc_f32_e32 v15, v13
	v_trunc_f32_e32 v14, v12
	v_and_b32_e32 v9, 0xffff0000, v1
	s_delay_alu instid0(VALU_DEP_4) | instskip(NEXT) | instid1(VALU_DEP_3)
	v_trunc_f32_e32 v16, v8
	v_pk_add_f32 v[12:13], v[12:13], v[14:15] neg_lo:[0,1] neg_hi:[0,1]
	s_delay_alu instid0(VALU_DEP_3) | instskip(NEXT) | instid1(VALU_DEP_2)
	v_trunc_f32_e32 v17, v9
	v_bfe_u32 v1, v13, 16, 1
	s_delay_alu instid0(VALU_DEP_2) | instskip(NEXT) | instid1(VALU_DEP_4)
	v_pk_add_f32 v[8:9], v[8:9], v[16:17] neg_lo:[0,1] neg_hi:[0,1]
	v_bfe_u32 v14, v12, 16, 1
	v_cmp_o_f32_e32 vcc_lo, v12, v12
	v_cmp_o_f32_e64 s2, v13, v13
	v_add3_u32 v1, v13, v1, 0x7fff
	v_bfe_u32 v15, v9, 16, 1
	v_bfe_u32 v16, v8, 16, 1
	v_add3_u32 v14, v12, v14, 0x7fff
	s_delay_alu instid0(VALU_DEP_4) | instskip(NEXT) | instid1(VALU_DEP_4)
	v_lshrrev_b32_e32 v1, 16, v1
	v_add3_u32 v15, v9, v15, 0x7fff
	s_delay_alu instid0(VALU_DEP_4) | instskip(NEXT) | instid1(VALU_DEP_4)
	v_add3_u32 v16, v8, v16, 0x7fff
	v_and_b32_e32 v14, 0xffff0000, v14
	s_delay_alu instid0(VALU_DEP_4) | instskip(SKIP_1) | instid1(VALU_DEP_4)
	v_cndmask_b32_e64 v1, 0x7fc0, v1, s2
	v_cmp_o_f32_e64 s2, v8, v8
	v_and_b32_e32 v13, 0xffff0000, v16
	s_delay_alu instid0(VALU_DEP_4)
	v_cndmask_b32_e32 v14, 0x7fc00000, v14, vcc_lo
	v_lshrrev_b32_e32 v12, 16, v15
	v_cmp_o_f32_e32 vcc_lo, v9, v9
	v_add_nc_u64_e32 v[8:9], s[8:9], v[4:5]
	v_cndmask_b32_e64 v13, 0x7fc00000, v13, s2
	v_or_b32_e32 v1, v1, v14
	v_add_nc_u64_e32 v[4:5], s[14:15], v[4:5]
	v_cndmask_b32_e32 v12, 0x7fc0, v12, vcc_lo
	v_cmp_ge_i64_e32 vcc_lo, v[10:11], v[2:3]
	s_delay_alu instid0(VALU_DEP_4) | instskip(NEXT) | instid1(VALU_DEP_3)
	v_or3_b32 v10, v1, 0, 0
	v_or3_b32 v11, 0, v12, v13
	s_or_b32 s16, vcc_lo, s16
	global_store_b64 v[8:9], v[10:11], off
	s_wait_xcnt 0x0
	s_and_not1_b32 exec_lo, exec_lo, s16
	s_cbranch_execnz .LBB268_3
.LBB268_4:
	s_or_b32 exec_lo, exec_lo, s3
	s_mov_b32 s2, 0
.LBB268_5:
	s_delay_alu instid0(SALU_CYCLE_1)
	s_and_not1_b32 vcc_lo, exec_lo, s2
	s_cbranch_vccnz .LBB268_25
; %bb.6:
	v_cmp_lt_i64_e64 s2, s[10:11], 1
	s_and_b32 vcc_lo, exec_lo, s2
	s_cbranch_vccnz .LBB268_25
; %bb.7:
	s_load_b32 s0, s[0:1], 0xc5c
	v_min_i64 v[2:3], 0x10000, s[10:11]
	v_min_u64 v[4:5], 0x10000, s[10:11]
	v_dual_mov_b32 v1, 0 :: v_dual_lshlrev_b32 v10, 1, v0
	s_wait_xcnt 0x0
	s_mov_b32 s1, 0
	s_delay_alu instid0(SALU_CYCLE_1) | instskip(NEXT) | instid1(VALU_DEP_1)
	s_mov_b32 s11, s1
	v_dual_mov_b32 v11, v1 :: v_dual_mov_b32 v27, v1
	s_mov_b32 s3, s1
	s_mov_b32 s13, s1
	s_delay_alu instid0(VALU_DEP_1) | instskip(SKIP_2) | instid1(SALU_CYCLE_1)
	v_add_nc_u64_e32 v[6:7], s[6:7], v[10:11]
	s_wait_kmcnt 0x0
	s_and_b32 s0, s0, 0xffff
	v_add_nc_u64_e32 v[8:9], s[0:1], v[0:1]
	v_mad_nc_u64_u32 v[22:23], s0, 6, v[10:11]
	s_lshl_b32 s10, s0, 2
	s_mul_i32 s12, s0, 3
	v_add_nc_u64_e32 v[18:19], s[10:11], v[10:11]
	s_lshl_b32 s2, s0, 1
	v_add_nc_u64_e32 v[10:11], s[8:9], v[10:11]
	v_lshlrev_b32_e32 v26, 1, v8
	v_add_nc_u64_e32 v[12:13], s[12:13], v[0:1]
	v_add_nc_u64_e32 v[14:15], s[2:3], v[0:1]
	;; [unrolled: 1-line block ×8, first 2 shown]
	s_lshl_b32 s6, s0, 3
	s_mov_b32 s7, s1
	s_mov_b64 s[8:9], 0
	s_branch .LBB268_9
.LBB268_8:                              ;   in Loop: Header=BB268_9 Depth=1
	s_wait_xcnt 0x0
	s_or_b32 exec_lo, exec_lo, s0
	s_add_nc_u64 s[8:9], s[8:9], s[10:11]
	v_add_nc_u64_e32 v[6:7], s[6:7], v[6:7]
	v_cmp_ge_i64_e32 vcc_lo, s[8:9], v[2:3]
	v_add_nc_u64_e32 v[10:11], s[6:7], v[10:11]
	v_add_nc_u64_e32 v[20:21], s[6:7], v[20:21]
	;; [unrolled: 1-line block ×7, first 2 shown]
	s_cbranch_vccnz .LBB268_25
.LBB268_9:                              ; =>This Inner Loop Header: Depth=1
	v_add_nc_u64_e32 v[28:29], s[8:9], v[0:1]
	v_mov_b32_e32 v31, 0
	s_delay_alu instid0(VALU_DEP_2)
	v_cmp_lt_u64_e64 s2, v[28:29], v[4:5]
	s_and_saveexec_b32 s0, s2
	s_cbranch_execz .LBB268_11
; %bb.10:                               ;   in Loop: Header=BB268_9 Depth=1
	v_add_nc_u64_e32 v[28:29], s[4:5], v[6:7]
	global_load_u16 v28, v[28:29], off
	s_wait_loadcnt 0x0
	v_lshlrev_b32_e32 v31, 16, v28
.LBB268_11:                             ;   in Loop: Header=BB268_9 Depth=1
	s_wait_xcnt 0x0
	s_or_b32 exec_lo, exec_lo, s0
	v_add_nc_u64_e32 v[28:29], s[8:9], v[8:9]
	v_mov_b32_e32 v30, 0
	s_delay_alu instid0(VALU_DEP_2)
	v_cmp_lt_u64_e64 s1, v[28:29], v[4:5]
	v_mov_b32_e32 v28, 0
	s_and_saveexec_b32 s0, s1
	s_cbranch_execz .LBB268_13
; %bb.12:                               ;   in Loop: Header=BB268_9 Depth=1
	v_add_nc_u64_e32 v[32:33], s[4:5], v[24:25]
	global_load_u16 v29, v[32:33], off
	s_wait_loadcnt 0x0
	v_lshlrev_b32_e32 v30, 16, v29
.LBB268_13:                             ;   in Loop: Header=BB268_9 Depth=1
	s_wait_xcnt 0x0
	s_or_b32 exec_lo, exec_lo, s0
	v_add_nc_u64_e32 v[32:33], s[8:9], v[14:15]
	s_delay_alu instid0(VALU_DEP_1)
	v_cmp_lt_u64_e64 s0, v[32:33], v[4:5]
	s_and_saveexec_b32 s3, s0
	s_cbranch_execz .LBB268_15
; %bb.14:                               ;   in Loop: Header=BB268_9 Depth=1
	v_add_nc_u64_e32 v[28:29], s[4:5], v[16:17]
	global_load_u16 v28, v[28:29], off
	s_wait_loadcnt 0x0
	v_lshlrev_b32_e32 v28, 16, v28
.LBB268_15:                             ;   in Loop: Header=BB268_9 Depth=1
	s_or_b32 exec_lo, exec_lo, s3
	v_add_nc_u64_e32 v[32:33], s[8:9], v[12:13]
	v_mov_b32_e32 v29, 0
	s_delay_alu instid0(VALU_DEP_2)
	v_cmp_lt_u64_e32 vcc_lo, v[32:33], v[4:5]
	s_and_saveexec_b32 s3, vcc_lo
	s_cbranch_execnz .LBB268_20
; %bb.16:                               ;   in Loop: Header=BB268_9 Depth=1
	s_or_b32 exec_lo, exec_lo, s3
	s_and_saveexec_b32 s3, s2
	s_cbranch_execnz .LBB268_21
.LBB268_17:                             ;   in Loop: Header=BB268_9 Depth=1
	s_or_b32 exec_lo, exec_lo, s3
	s_and_saveexec_b32 s2, s1
	s_cbranch_execnz .LBB268_22
.LBB268_18:                             ;   in Loop: Header=BB268_9 Depth=1
	s_or_b32 exec_lo, exec_lo, s2
	s_and_saveexec_b32 s1, s0
	s_cbranch_execnz .LBB268_23
.LBB268_19:                             ;   in Loop: Header=BB268_9 Depth=1
	s_or_b32 exec_lo, exec_lo, s1
	s_and_saveexec_b32 s0, vcc_lo
	s_cbranch_execz .LBB268_8
	s_branch .LBB268_24
.LBB268_20:                             ;   in Loop: Header=BB268_9 Depth=1
	v_add_nc_u64_e32 v[32:33], s[4:5], v[20:21]
	global_load_u16 v29, v[32:33], off
	s_wait_loadcnt 0x0
	v_lshlrev_b32_e32 v29, 16, v29
	s_wait_xcnt 0x0
	s_or_b32 exec_lo, exec_lo, s3
	s_and_saveexec_b32 s3, s2
	s_cbranch_execz .LBB268_17
.LBB268_21:                             ;   in Loop: Header=BB268_9 Depth=1
	v_trunc_f32_e32 v32, v31
	s_delay_alu instid0(VALU_DEP_1) | instskip(NEXT) | instid1(VALU_DEP_1)
	v_sub_f32_e32 v31, v31, v32
	v_bfe_u32 v32, v31, 16, 1
	s_delay_alu instid0(VALU_DEP_1) | instskip(NEXT) | instid1(VALU_DEP_1)
	v_add3_u32 v32, v31, v32, 0x7fff
	v_lshrrev_b32_e32 v34, 16, v32
	v_cmp_o_f32_e64 s2, v31, v31
	v_add_nc_u64_e32 v[32:33], s[4:5], v[10:11]
	s_delay_alu instid0(VALU_DEP_2)
	v_cndmask_b32_e64 v31, 0x7fc0, v34, s2
	global_store_b16 v[32:33], v31, off
	s_wait_xcnt 0x0
	s_or_b32 exec_lo, exec_lo, s3
	s_and_saveexec_b32 s2, s1
	s_cbranch_execz .LBB268_18
.LBB268_22:                             ;   in Loop: Header=BB268_9 Depth=1
	v_trunc_f32_e32 v31, v30
	s_delay_alu instid0(VALU_DEP_1) | instskip(NEXT) | instid1(VALU_DEP_1)
	v_sub_f32_e32 v32, v30, v31
	v_bfe_u32 v30, v32, 16, 1
	s_delay_alu instid0(VALU_DEP_1) | instskip(NEXT) | instid1(VALU_DEP_1)
	v_add3_u32 v30, v32, v30, 0x7fff
	v_lshrrev_b32_e32 v33, 16, v30
	v_cmp_o_f32_e64 s1, v32, v32
	v_add_nc_u64_e32 v[30:31], s[4:5], v[26:27]
	s_delay_alu instid0(VALU_DEP_2)
	v_cndmask_b32_e64 v32, 0x7fc0, v33, s1
	global_store_b16 v[30:31], v32, off
	s_wait_xcnt 0x0
	s_or_b32 exec_lo, exec_lo, s2
	s_and_saveexec_b32 s1, s0
	s_cbranch_execz .LBB268_19
.LBB268_23:                             ;   in Loop: Header=BB268_9 Depth=1
	v_trunc_f32_e32 v30, v28
	s_delay_alu instid0(VALU_DEP_1) | instskip(NEXT) | instid1(VALU_DEP_1)
	v_sub_f32_e32 v28, v28, v30
	v_bfe_u32 v30, v28, 16, 1
	s_delay_alu instid0(VALU_DEP_1) | instskip(NEXT) | instid1(VALU_DEP_1)
	v_add3_u32 v30, v28, v30, 0x7fff
	v_lshrrev_b32_e32 v32, 16, v30
	v_cmp_o_f32_e64 s0, v28, v28
	v_add_nc_u64_e32 v[30:31], s[4:5], v[18:19]
	s_delay_alu instid0(VALU_DEP_2)
	v_cndmask_b32_e64 v28, 0x7fc0, v32, s0
	global_store_b16 v[30:31], v28, off
	s_wait_xcnt 0x0
	s_or_b32 exec_lo, exec_lo, s1
	s_and_saveexec_b32 s0, vcc_lo
	s_cbranch_execz .LBB268_8
.LBB268_24:                             ;   in Loop: Header=BB268_9 Depth=1
	v_trunc_f32_e32 v28, v29
	s_delay_alu instid0(VALU_DEP_1) | instskip(NEXT) | instid1(VALU_DEP_1)
	v_sub_f32_e32 v30, v29, v28
	v_bfe_u32 v28, v30, 16, 1
	s_delay_alu instid0(VALU_DEP_1) | instskip(NEXT) | instid1(VALU_DEP_1)
	v_add3_u32 v28, v30, v28, 0x7fff
	v_lshrrev_b32_e32 v31, 16, v28
	v_cmp_o_f32_e32 vcc_lo, v30, v30
	v_add_nc_u64_e32 v[28:29], s[4:5], v[22:23]
	s_delay_alu instid0(VALU_DEP_3)
	v_cndmask_b32_e32 v30, 0x7fc0, v31, vcc_lo
	global_store_b16 v[28:29], v30, off
	s_branch .LBB268_8
.LBB268_25:
	s_endpgm
	.section	.rodata,"a",@progbits
	.p2align	6, 0x0
	.amdhsa_kernel _ZN2at6native12_GLOBAL__N_125multi_tensor_apply_kernelINS1_18TensorListMetadataILi2EEENS1_14UnaryOpFunctorIN3c108BFloat16ELi2ELi1ELi1EEEJNS0_5TruncIfEEEEEvT_T0_DpT1_
		.amdhsa_group_segment_fixed_size 0
		.amdhsa_private_segment_fixed_size 0
		.amdhsa_kernarg_size 3408
		.amdhsa_user_sgpr_count 2
		.amdhsa_user_sgpr_dispatch_ptr 0
		.amdhsa_user_sgpr_queue_ptr 0
		.amdhsa_user_sgpr_kernarg_segment_ptr 1
		.amdhsa_user_sgpr_dispatch_id 0
		.amdhsa_user_sgpr_kernarg_preload_length 0
		.amdhsa_user_sgpr_kernarg_preload_offset 0
		.amdhsa_user_sgpr_private_segment_size 0
		.amdhsa_wavefront_size32 1
		.amdhsa_uses_dynamic_stack 0
		.amdhsa_enable_private_segment 0
		.amdhsa_system_sgpr_workgroup_id_x 1
		.amdhsa_system_sgpr_workgroup_id_y 0
		.amdhsa_system_sgpr_workgroup_id_z 0
		.amdhsa_system_sgpr_workgroup_info 0
		.amdhsa_system_vgpr_workitem_id 0
		.amdhsa_next_free_vgpr 35
		.amdhsa_next_free_sgpr 20
		.amdhsa_named_barrier_count 0
		.amdhsa_reserve_vcc 1
		.amdhsa_float_round_mode_32 0
		.amdhsa_float_round_mode_16_64 0
		.amdhsa_float_denorm_mode_32 3
		.amdhsa_float_denorm_mode_16_64 3
		.amdhsa_fp16_overflow 0
		.amdhsa_memory_ordered 1
		.amdhsa_forward_progress 1
		.amdhsa_inst_pref_size 13
		.amdhsa_round_robin_scheduling 0
		.amdhsa_exception_fp_ieee_invalid_op 0
		.amdhsa_exception_fp_denorm_src 0
		.amdhsa_exception_fp_ieee_div_zero 0
		.amdhsa_exception_fp_ieee_overflow 0
		.amdhsa_exception_fp_ieee_underflow 0
		.amdhsa_exception_fp_ieee_inexact 0
		.amdhsa_exception_int_div_zero 0
	.end_amdhsa_kernel
	.section	.text._ZN2at6native12_GLOBAL__N_125multi_tensor_apply_kernelINS1_18TensorListMetadataILi2EEENS1_14UnaryOpFunctorIN3c108BFloat16ELi2ELi1ELi1EEEJNS0_5TruncIfEEEEEvT_T0_DpT1_,"axG",@progbits,_ZN2at6native12_GLOBAL__N_125multi_tensor_apply_kernelINS1_18TensorListMetadataILi2EEENS1_14UnaryOpFunctorIN3c108BFloat16ELi2ELi1ELi1EEEJNS0_5TruncIfEEEEEvT_T0_DpT1_,comdat
.Lfunc_end268:
	.size	_ZN2at6native12_GLOBAL__N_125multi_tensor_apply_kernelINS1_18TensorListMetadataILi2EEENS1_14UnaryOpFunctorIN3c108BFloat16ELi2ELi1ELi1EEEJNS0_5TruncIfEEEEEvT_T0_DpT1_, .Lfunc_end268-_ZN2at6native12_GLOBAL__N_125multi_tensor_apply_kernelINS1_18TensorListMetadataILi2EEENS1_14UnaryOpFunctorIN3c108BFloat16ELi2ELi1ELi1EEEJNS0_5TruncIfEEEEEvT_T0_DpT1_
                                        ; -- End function
	.set _ZN2at6native12_GLOBAL__N_125multi_tensor_apply_kernelINS1_18TensorListMetadataILi2EEENS1_14UnaryOpFunctorIN3c108BFloat16ELi2ELi1ELi1EEEJNS0_5TruncIfEEEEEvT_T0_DpT1_.num_vgpr, 35
	.set _ZN2at6native12_GLOBAL__N_125multi_tensor_apply_kernelINS1_18TensorListMetadataILi2EEENS1_14UnaryOpFunctorIN3c108BFloat16ELi2ELi1ELi1EEEJNS0_5TruncIfEEEEEvT_T0_DpT1_.num_agpr, 0
	.set _ZN2at6native12_GLOBAL__N_125multi_tensor_apply_kernelINS1_18TensorListMetadataILi2EEENS1_14UnaryOpFunctorIN3c108BFloat16ELi2ELi1ELi1EEEJNS0_5TruncIfEEEEEvT_T0_DpT1_.numbered_sgpr, 20
	.set _ZN2at6native12_GLOBAL__N_125multi_tensor_apply_kernelINS1_18TensorListMetadataILi2EEENS1_14UnaryOpFunctorIN3c108BFloat16ELi2ELi1ELi1EEEJNS0_5TruncIfEEEEEvT_T0_DpT1_.num_named_barrier, 0
	.set _ZN2at6native12_GLOBAL__N_125multi_tensor_apply_kernelINS1_18TensorListMetadataILi2EEENS1_14UnaryOpFunctorIN3c108BFloat16ELi2ELi1ELi1EEEJNS0_5TruncIfEEEEEvT_T0_DpT1_.private_seg_size, 0
	.set _ZN2at6native12_GLOBAL__N_125multi_tensor_apply_kernelINS1_18TensorListMetadataILi2EEENS1_14UnaryOpFunctorIN3c108BFloat16ELi2ELi1ELi1EEEJNS0_5TruncIfEEEEEvT_T0_DpT1_.uses_vcc, 1
	.set _ZN2at6native12_GLOBAL__N_125multi_tensor_apply_kernelINS1_18TensorListMetadataILi2EEENS1_14UnaryOpFunctorIN3c108BFloat16ELi2ELi1ELi1EEEJNS0_5TruncIfEEEEEvT_T0_DpT1_.uses_flat_scratch, 0
	.set _ZN2at6native12_GLOBAL__N_125multi_tensor_apply_kernelINS1_18TensorListMetadataILi2EEENS1_14UnaryOpFunctorIN3c108BFloat16ELi2ELi1ELi1EEEJNS0_5TruncIfEEEEEvT_T0_DpT1_.has_dyn_sized_stack, 0
	.set _ZN2at6native12_GLOBAL__N_125multi_tensor_apply_kernelINS1_18TensorListMetadataILi2EEENS1_14UnaryOpFunctorIN3c108BFloat16ELi2ELi1ELi1EEEJNS0_5TruncIfEEEEEvT_T0_DpT1_.has_recursion, 0
	.set _ZN2at6native12_GLOBAL__N_125multi_tensor_apply_kernelINS1_18TensorListMetadataILi2EEENS1_14UnaryOpFunctorIN3c108BFloat16ELi2ELi1ELi1EEEJNS0_5TruncIfEEEEEvT_T0_DpT1_.has_indirect_call, 0
	.section	.AMDGPU.csdata,"",@progbits
; Kernel info:
; codeLenInByte = 1564
; TotalNumSgprs: 22
; NumVgprs: 35
; ScratchSize: 0
; MemoryBound: 0
; FloatMode: 240
; IeeeMode: 1
; LDSByteSize: 0 bytes/workgroup (compile time only)
; SGPRBlocks: 0
; VGPRBlocks: 2
; NumSGPRsForWavesPerEU: 22
; NumVGPRsForWavesPerEU: 35
; NamedBarCnt: 0
; Occupancy: 16
; WaveLimiterHint : 0
; COMPUTE_PGM_RSRC2:SCRATCH_EN: 0
; COMPUTE_PGM_RSRC2:USER_SGPR: 2
; COMPUTE_PGM_RSRC2:TRAP_HANDLER: 0
; COMPUTE_PGM_RSRC2:TGID_X_EN: 1
; COMPUTE_PGM_RSRC2:TGID_Y_EN: 0
; COMPUTE_PGM_RSRC2:TGID_Z_EN: 0
; COMPUTE_PGM_RSRC2:TIDIG_COMP_CNT: 0
	.section	.text._ZN2at6native12_GLOBAL__N_125multi_tensor_apply_kernelINS1_18TensorListMetadataILi1EEENS1_14UnaryOpFunctorIdLi1ELi1ELi0EEEJNS0_5TruncIdEEEEEvT_T0_DpT1_,"axG",@progbits,_ZN2at6native12_GLOBAL__N_125multi_tensor_apply_kernelINS1_18TensorListMetadataILi1EEENS1_14UnaryOpFunctorIdLi1ELi1ELi0EEEJNS0_5TruncIdEEEEEvT_T0_DpT1_,comdat
	.globl	_ZN2at6native12_GLOBAL__N_125multi_tensor_apply_kernelINS1_18TensorListMetadataILi1EEENS1_14UnaryOpFunctorIdLi1ELi1ELi0EEEJNS0_5TruncIdEEEEEvT_T0_DpT1_ ; -- Begin function _ZN2at6native12_GLOBAL__N_125multi_tensor_apply_kernelINS1_18TensorListMetadataILi1EEENS1_14UnaryOpFunctorIdLi1ELi1ELi0EEEJNS0_5TruncIdEEEEEvT_T0_DpT1_
	.p2align	8
	.type	_ZN2at6native12_GLOBAL__N_125multi_tensor_apply_kernelINS1_18TensorListMetadataILi1EEENS1_14UnaryOpFunctorIdLi1ELi1ELi0EEEJNS0_5TruncIdEEEEEvT_T0_DpT1_,@function
_ZN2at6native12_GLOBAL__N_125multi_tensor_apply_kernelINS1_18TensorListMetadataILi1EEENS1_14UnaryOpFunctorIdLi1ELi1ELi0EEEJNS0_5TruncIdEEEEEvT_T0_DpT1_: ; @_ZN2at6native12_GLOBAL__N_125multi_tensor_apply_kernelINS1_18TensorListMetadataILi1EEENS1_14UnaryOpFunctorIdLi1ELi1ELi0EEEJNS0_5TruncIdEEEEEvT_T0_DpT1_
; %bb.0:
	s_bfe_u32 s2, ttmp6, 0x4000c
	s_and_b32 s3, ttmp6, 15
	s_add_co_i32 s2, s2, 1
	s_getreg_b32 s4, hwreg(HW_REG_IB_STS2, 6, 4)
	s_mul_i32 s2, ttmp9, s2
	s_delay_alu instid0(SALU_CYCLE_1)
	s_add_co_i32 s3, s3, s2
	s_cmp_eq_u32 s4, 0
	s_cselect_b32 s2, ttmp9, s3
	s_mov_b32 s3, 0
	s_load_u8 s8, s[0:1], s2 offset:0x6e0
	s_add_nc_u64 s[4:5], s[0:1], s[2:3]
	s_mul_u64 s[6:7], s[2:3], 3
	s_delay_alu instid0(SALU_CYCLE_1)
	s_add_nc_u64 s[4:5], s[4:5], s[6:7]
	s_load_b32 s10, s[4:5], 0x820
	s_wait_kmcnt 0x0
	s_clause 0x1
	s_load_b64 s[6:7], s[0:1], s8 offset:0x0 scale_offset
	s_load_b64 s[12:13], s[0:1], s8 offset:0x370 scale_offset
	s_ashr_i32 s11, s10, 31
	s_wait_kmcnt 0x0
	s_and_b64 s[4:5], s[6:7], 31
	s_and_b32 s2, s12, 3
	s_lshl_b64 s[8:9], s[10:11], 19
	s_or_b64 s[2:3], s[4:5], s[2:3]
	s_lshl_b64 s[4:5], s[10:11], 16
	s_cmp_eq_u64 s[2:3], 0
	s_sub_nc_u64 s[10:11], s[12:13], s[4:5]
	s_cbranch_scc1 .LBB269_21
; %bb.1:
	v_cmp_lt_i64_e64 s2, s[10:11], 1
	s_and_b32 vcc_lo, exec_lo, s2
	s_cbranch_vccnz .LBB269_20
; %bb.2:
	s_load_b32 s4, s[0:1], 0xd3c
	v_min_i64 v[2:3], 0x10000, s[10:11]
	v_min_u64 v[4:5], 0x10000, s[10:11]
	v_dual_mov_b32 v1, 0 :: v_dual_lshlrev_b32 v8, 3, v0
	s_mov_b32 s19, 0
	s_add_nc_u64 s[2:3], s[6:7], s[8:9]
	s_mov_b32 s5, s19
	s_delay_alu instid0(VALU_DEP_1)
	v_mov_b32_e32 v15, v1
	s_mov_b32 s17, s19
	s_mov_b32 s13, s19
	;; [unrolled: 1-line block ×3, first 2 shown]
	s_mov_b64 s[20:21], 0
	s_wait_kmcnt 0x0
	s_and_b32 s18, s4, 0xffff
	s_delay_alu instid0(SALU_CYCLE_1)
	v_add_nc_u64_e32 v[6:7], s[18:19], v[0:1]
	v_mov_b32_e32 v9, v1
	s_lshl_b32 s4, s18, 1
	s_mul_i32 s16, s18, 3
	v_add_nc_u64_e32 v[12:13], s[4:5], v[0:1]
	v_add_nc_u64_e32 v[10:11], s[16:17], v[0:1]
	s_lshl_b32 s12, s18, 2
	v_lshlrev_b32_e32 v14, 3, v6
	v_add_nc_u64_e32 v[8:9], s[2:3], v[8:9]
	s_lshl_b32 s14, s18, 5
	s_mul_u64 s[16:17], s[18:19], 24
	s_lshl_b32 s18, s18, 4
	v_add_nc_u64_e32 v[14:15], s[2:3], v[14:15]
	s_branch .LBB269_4
.LBB269_3:                              ;   in Loop: Header=BB269_4 Depth=1
	s_wait_xcnt 0x0
	s_or_b32 exec_lo, exec_lo, s2
	s_add_nc_u64 s[20:21], s[20:21], s[12:13]
	v_add_nc_u64_e32 v[8:9], s[14:15], v[8:9]
	v_cmp_lt_i64_e32 vcc_lo, s[20:21], v[2:3]
	v_add_nc_u64_e32 v[14:15], s[14:15], v[14:15]
	s_cbranch_vccz .LBB269_20
.LBB269_4:                              ; =>This Inner Loop Header: Depth=1
	s_wait_loadcnt 0x0
	v_add_nc_u64_e32 v[18:19], s[20:21], v[0:1]
	v_mov_b64_e32 v[16:17], 0
	v_mov_b64_e32 v[20:21], 0
	s_delay_alu instid0(VALU_DEP_3)
	v_cmp_lt_u64_e32 vcc_lo, v[18:19], v[4:5]
	s_and_saveexec_b32 s2, vcc_lo
	s_cbranch_execz .LBB269_6
; %bb.5:                                ;   in Loop: Header=BB269_4 Depth=1
	global_load_b64 v[20:21], v[8:9], off
.LBB269_6:                              ;   in Loop: Header=BB269_4 Depth=1
	s_wait_xcnt 0x0
	s_or_b32 exec_lo, exec_lo, s2
	v_add_nc_u64_e32 v[18:19], s[20:21], v[6:7]
	s_delay_alu instid0(VALU_DEP_1)
	v_cmp_lt_u64_e64 s2, v[18:19], v[4:5]
	s_and_saveexec_b32 s3, s2
	s_cbranch_execz .LBB269_8
; %bb.7:                                ;   in Loop: Header=BB269_4 Depth=1
	global_load_b64 v[16:17], v[14:15], off
.LBB269_8:                              ;   in Loop: Header=BB269_4 Depth=1
	s_wait_xcnt 0x0
	s_or_b32 exec_lo, exec_lo, s3
	v_add_nc_u64_e32 v[24:25], s[20:21], v[12:13]
	v_mov_b64_e32 v[18:19], 0
	v_add_nc_u64_e32 v[22:23], s[18:19], v[8:9]
	s_delay_alu instid0(VALU_DEP_3)
	v_cmp_lt_u64_e64 s3, v[24:25], v[4:5]
	v_mov_b64_e32 v[24:25], 0
	s_and_saveexec_b32 s4, s3
	s_cbranch_execz .LBB269_10
; %bb.9:                                ;   in Loop: Header=BB269_4 Depth=1
	global_load_b64 v[24:25], v[22:23], off
.LBB269_10:                             ;   in Loop: Header=BB269_4 Depth=1
	s_wait_xcnt 0x0
	s_or_b32 exec_lo, exec_lo, s4
	v_add_nc_u64_e32 v[26:27], s[20:21], v[10:11]
	s_delay_alu instid0(VALU_DEP_1)
	v_cmp_lt_u64_e64 s4, v[26:27], v[4:5]
	v_add_nc_u64_e32 v[26:27], s[16:17], v[8:9]
	s_and_saveexec_b32 s5, s4
	s_cbranch_execnz .LBB269_15
; %bb.11:                               ;   in Loop: Header=BB269_4 Depth=1
	s_or_b32 exec_lo, exec_lo, s5
	s_and_saveexec_b32 s5, vcc_lo
	s_cbranch_execnz .LBB269_16
.LBB269_12:                             ;   in Loop: Header=BB269_4 Depth=1
	s_or_b32 exec_lo, exec_lo, s5
	s_and_saveexec_b32 s5, s2
	s_cbranch_execnz .LBB269_17
.LBB269_13:                             ;   in Loop: Header=BB269_4 Depth=1
	s_or_b32 exec_lo, exec_lo, s5
	s_and_saveexec_b32 s2, s3
	s_cbranch_execnz .LBB269_18
.LBB269_14:                             ;   in Loop: Header=BB269_4 Depth=1
	s_or_b32 exec_lo, exec_lo, s2
	s_and_saveexec_b32 s2, s4
	s_cbranch_execz .LBB269_3
	s_branch .LBB269_19
.LBB269_15:                             ;   in Loop: Header=BB269_4 Depth=1
	global_load_b64 v[18:19], v[26:27], off
	s_wait_xcnt 0x0
	s_or_b32 exec_lo, exec_lo, s5
	s_and_saveexec_b32 s5, vcc_lo
	s_cbranch_execz .LBB269_12
.LBB269_16:                             ;   in Loop: Header=BB269_4 Depth=1
	s_wait_loadcnt 0x0
	v_trunc_f64_e32 v[28:29], v[20:21]
	s_delay_alu instid0(VALU_DEP_1)
	v_add_f64_e64 v[20:21], v[20:21], -v[28:29]
	global_store_b64 v[8:9], v[20:21], off
	s_wait_xcnt 0x0
	s_or_b32 exec_lo, exec_lo, s5
	s_and_saveexec_b32 s5, s2
	s_cbranch_execz .LBB269_13
.LBB269_17:                             ;   in Loop: Header=BB269_4 Depth=1
	s_wait_loadcnt 0x0
	v_trunc_f64_e32 v[20:21], v[16:17]
	s_delay_alu instid0(VALU_DEP_1)
	v_add_f64_e64 v[16:17], v[16:17], -v[20:21]
	global_store_b64 v[14:15], v[16:17], off
	s_wait_xcnt 0x0
	s_or_b32 exec_lo, exec_lo, s5
	s_and_saveexec_b32 s2, s3
	s_cbranch_execz .LBB269_14
.LBB269_18:                             ;   in Loop: Header=BB269_4 Depth=1
	s_wait_loadcnt 0x0
	v_trunc_f64_e32 v[16:17], v[24:25]
	s_delay_alu instid0(VALU_DEP_1)
	v_add_f64_e64 v[16:17], v[24:25], -v[16:17]
	global_store_b64 v[22:23], v[16:17], off
	s_wait_xcnt 0x0
	s_or_b32 exec_lo, exec_lo, s2
	s_and_saveexec_b32 s2, s4
	s_cbranch_execz .LBB269_3
.LBB269_19:                             ;   in Loop: Header=BB269_4 Depth=1
	s_wait_loadcnt 0x0
	v_trunc_f64_e32 v[16:17], v[18:19]
	s_delay_alu instid0(VALU_DEP_1)
	v_add_f64_e64 v[16:17], v[18:19], -v[16:17]
	global_store_b64 v[26:27], v[16:17], off
	s_branch .LBB269_3
.LBB269_20:
	s_cbranch_execz .LBB269_22
	s_branch .LBB269_25
.LBB269_21:
.LBB269_22:
	v_min_i64 v[2:3], 0x10000, s[10:11]
	v_dual_mov_b32 v5, 0 :: v_dual_lshlrev_b32 v4, 2, v0
	s_mov_b32 s2, exec_lo
	s_delay_alu instid0(VALU_DEP_1)
	v_cmpx_lt_i64_e64 v[4:5], v[2:3]
	s_cbranch_execz .LBB269_25
; %bb.23:
	s_load_b32 s2, s[0:1], 0xd3c
	v_dual_mov_b32 v1, v5 :: v_dual_lshlrev_b32 v4, 5, v0
	s_wait_xcnt 0x0
	s_add_nc_u64 s[0:1], s[6:7], s[8:9]
	s_delay_alu instid0(VALU_DEP_1) | instid1(SALU_CYCLE_1)
	v_add_nc_u64_e32 v[6:7], s[0:1], v[4:5]
	s_mov_b32 s1, 0
	s_delay_alu instid0(SALU_CYCLE_1) | instskip(SKIP_1) | instid1(VALU_DEP_1)
	s_mov_b32 s3, s1
	s_mov_b32 s4, s1
	v_add_nc_u64_e32 v[4:5], 16, v[6:7]
	s_wait_kmcnt 0x0
	s_and_b32 s0, s2, 0xffff
	s_delay_alu instid0(SALU_CYCLE_1)
	s_lshl_b32 s2, s0, 5
.LBB269_24:                             ; =>This Inner Loop Header: Depth=1
	s_clause 0x1
	global_load_b128 v[6:9], v[4:5], off offset:-16
	global_load_b128 v[10:13], v[4:5], off
	v_add_nc_u64_e32 v[0:1], s[0:1], v[0:1]
	s_wait_loadcnt 0x1
	v_trunc_f64_e32 v[14:15], v[6:7]
	v_trunc_f64_e32 v[16:17], v[8:9]
	s_wait_loadcnt 0x0
	v_trunc_f64_e32 v[18:19], v[10:11]
	v_trunc_f64_e32 v[20:21], v[12:13]
	s_delay_alu instid0(VALU_DEP_4) | instskip(NEXT) | instid1(VALU_DEP_4)
	v_add_f64_e64 v[6:7], v[6:7], -v[14:15]
	v_add_f64_e64 v[8:9], v[8:9], -v[16:17]
	s_delay_alu instid0(VALU_DEP_4) | instskip(NEXT) | instid1(VALU_DEP_4)
	v_add_f64_e64 v[10:11], v[10:11], -v[18:19]
	v_add_f64_e64 v[12:13], v[12:13], -v[20:21]
	v_lshlrev_b64_e32 v[14:15], 2, v[0:1]
	s_clause 0x1
	global_store_b128 v[4:5], v[6:9], off offset:-16
	global_store_b128 v[4:5], v[10:13], off
	v_cmp_ge_i64_e32 vcc_lo, v[14:15], v[2:3]
	s_wait_xcnt 0x0
	v_add_nc_u64_e32 v[4:5], s[2:3], v[4:5]
	s_or_b32 s4, vcc_lo, s4
	s_delay_alu instid0(SALU_CYCLE_1)
	s_and_not1_b32 exec_lo, exec_lo, s4
	s_cbranch_execnz .LBB269_24
.LBB269_25:
	s_endpgm
	.section	.rodata,"a",@progbits
	.p2align	6, 0x0
	.amdhsa_kernel _ZN2at6native12_GLOBAL__N_125multi_tensor_apply_kernelINS1_18TensorListMetadataILi1EEENS1_14UnaryOpFunctorIdLi1ELi1ELi0EEEJNS0_5TruncIdEEEEEvT_T0_DpT1_
		.amdhsa_group_segment_fixed_size 0
		.amdhsa_private_segment_fixed_size 0
		.amdhsa_kernarg_size 3632
		.amdhsa_user_sgpr_count 2
		.amdhsa_user_sgpr_dispatch_ptr 0
		.amdhsa_user_sgpr_queue_ptr 0
		.amdhsa_user_sgpr_kernarg_segment_ptr 1
		.amdhsa_user_sgpr_dispatch_id 0
		.amdhsa_user_sgpr_kernarg_preload_length 0
		.amdhsa_user_sgpr_kernarg_preload_offset 0
		.amdhsa_user_sgpr_private_segment_size 0
		.amdhsa_wavefront_size32 1
		.amdhsa_uses_dynamic_stack 0
		.amdhsa_enable_private_segment 0
		.amdhsa_system_sgpr_workgroup_id_x 1
		.amdhsa_system_sgpr_workgroup_id_y 0
		.amdhsa_system_sgpr_workgroup_id_z 0
		.amdhsa_system_sgpr_workgroup_info 0
		.amdhsa_system_vgpr_workitem_id 0
		.amdhsa_next_free_vgpr 30
		.amdhsa_next_free_sgpr 22
		.amdhsa_named_barrier_count 0
		.amdhsa_reserve_vcc 1
		.amdhsa_float_round_mode_32 0
		.amdhsa_float_round_mode_16_64 0
		.amdhsa_float_denorm_mode_32 3
		.amdhsa_float_denorm_mode_16_64 3
		.amdhsa_fp16_overflow 0
		.amdhsa_memory_ordered 1
		.amdhsa_forward_progress 1
		.amdhsa_inst_pref_size 9
		.amdhsa_round_robin_scheduling 0
		.amdhsa_exception_fp_ieee_invalid_op 0
		.amdhsa_exception_fp_denorm_src 0
		.amdhsa_exception_fp_ieee_div_zero 0
		.amdhsa_exception_fp_ieee_overflow 0
		.amdhsa_exception_fp_ieee_underflow 0
		.amdhsa_exception_fp_ieee_inexact 0
		.amdhsa_exception_int_div_zero 0
	.end_amdhsa_kernel
	.section	.text._ZN2at6native12_GLOBAL__N_125multi_tensor_apply_kernelINS1_18TensorListMetadataILi1EEENS1_14UnaryOpFunctorIdLi1ELi1ELi0EEEJNS0_5TruncIdEEEEEvT_T0_DpT1_,"axG",@progbits,_ZN2at6native12_GLOBAL__N_125multi_tensor_apply_kernelINS1_18TensorListMetadataILi1EEENS1_14UnaryOpFunctorIdLi1ELi1ELi0EEEJNS0_5TruncIdEEEEEvT_T0_DpT1_,comdat
.Lfunc_end269:
	.size	_ZN2at6native12_GLOBAL__N_125multi_tensor_apply_kernelINS1_18TensorListMetadataILi1EEENS1_14UnaryOpFunctorIdLi1ELi1ELi0EEEJNS0_5TruncIdEEEEEvT_T0_DpT1_, .Lfunc_end269-_ZN2at6native12_GLOBAL__N_125multi_tensor_apply_kernelINS1_18TensorListMetadataILi1EEENS1_14UnaryOpFunctorIdLi1ELi1ELi0EEEJNS0_5TruncIdEEEEEvT_T0_DpT1_
                                        ; -- End function
	.set _ZN2at6native12_GLOBAL__N_125multi_tensor_apply_kernelINS1_18TensorListMetadataILi1EEENS1_14UnaryOpFunctorIdLi1ELi1ELi0EEEJNS0_5TruncIdEEEEEvT_T0_DpT1_.num_vgpr, 30
	.set _ZN2at6native12_GLOBAL__N_125multi_tensor_apply_kernelINS1_18TensorListMetadataILi1EEENS1_14UnaryOpFunctorIdLi1ELi1ELi0EEEJNS0_5TruncIdEEEEEvT_T0_DpT1_.num_agpr, 0
	.set _ZN2at6native12_GLOBAL__N_125multi_tensor_apply_kernelINS1_18TensorListMetadataILi1EEENS1_14UnaryOpFunctorIdLi1ELi1ELi0EEEJNS0_5TruncIdEEEEEvT_T0_DpT1_.numbered_sgpr, 22
	.set _ZN2at6native12_GLOBAL__N_125multi_tensor_apply_kernelINS1_18TensorListMetadataILi1EEENS1_14UnaryOpFunctorIdLi1ELi1ELi0EEEJNS0_5TruncIdEEEEEvT_T0_DpT1_.num_named_barrier, 0
	.set _ZN2at6native12_GLOBAL__N_125multi_tensor_apply_kernelINS1_18TensorListMetadataILi1EEENS1_14UnaryOpFunctorIdLi1ELi1ELi0EEEJNS0_5TruncIdEEEEEvT_T0_DpT1_.private_seg_size, 0
	.set _ZN2at6native12_GLOBAL__N_125multi_tensor_apply_kernelINS1_18TensorListMetadataILi1EEENS1_14UnaryOpFunctorIdLi1ELi1ELi0EEEJNS0_5TruncIdEEEEEvT_T0_DpT1_.uses_vcc, 1
	.set _ZN2at6native12_GLOBAL__N_125multi_tensor_apply_kernelINS1_18TensorListMetadataILi1EEENS1_14UnaryOpFunctorIdLi1ELi1ELi0EEEJNS0_5TruncIdEEEEEvT_T0_DpT1_.uses_flat_scratch, 0
	.set _ZN2at6native12_GLOBAL__N_125multi_tensor_apply_kernelINS1_18TensorListMetadataILi1EEENS1_14UnaryOpFunctorIdLi1ELi1ELi0EEEJNS0_5TruncIdEEEEEvT_T0_DpT1_.has_dyn_sized_stack, 0
	.set _ZN2at6native12_GLOBAL__N_125multi_tensor_apply_kernelINS1_18TensorListMetadataILi1EEENS1_14UnaryOpFunctorIdLi1ELi1ELi0EEEJNS0_5TruncIdEEEEEvT_T0_DpT1_.has_recursion, 0
	.set _ZN2at6native12_GLOBAL__N_125multi_tensor_apply_kernelINS1_18TensorListMetadataILi1EEENS1_14UnaryOpFunctorIdLi1ELi1ELi0EEEJNS0_5TruncIdEEEEEvT_T0_DpT1_.has_indirect_call, 0
	.section	.AMDGPU.csdata,"",@progbits
; Kernel info:
; codeLenInByte = 1052
; TotalNumSgprs: 24
; NumVgprs: 30
; ScratchSize: 0
; MemoryBound: 0
; FloatMode: 240
; IeeeMode: 1
; LDSByteSize: 0 bytes/workgroup (compile time only)
; SGPRBlocks: 0
; VGPRBlocks: 1
; NumSGPRsForWavesPerEU: 24
; NumVGPRsForWavesPerEU: 30
; NamedBarCnt: 0
; Occupancy: 16
; WaveLimiterHint : 0
; COMPUTE_PGM_RSRC2:SCRATCH_EN: 0
; COMPUTE_PGM_RSRC2:USER_SGPR: 2
; COMPUTE_PGM_RSRC2:TRAP_HANDLER: 0
; COMPUTE_PGM_RSRC2:TGID_X_EN: 1
; COMPUTE_PGM_RSRC2:TGID_Y_EN: 0
; COMPUTE_PGM_RSRC2:TGID_Z_EN: 0
; COMPUTE_PGM_RSRC2:TIDIG_COMP_CNT: 0
	.section	.text._ZN2at6native12_GLOBAL__N_125multi_tensor_apply_kernelINS1_18TensorListMetadataILi1EEENS1_14UnaryOpFunctorIfLi1ELi1ELi0EEEJNS0_5TruncIfEEEEEvT_T0_DpT1_,"axG",@progbits,_ZN2at6native12_GLOBAL__N_125multi_tensor_apply_kernelINS1_18TensorListMetadataILi1EEENS1_14UnaryOpFunctorIfLi1ELi1ELi0EEEJNS0_5TruncIfEEEEEvT_T0_DpT1_,comdat
	.globl	_ZN2at6native12_GLOBAL__N_125multi_tensor_apply_kernelINS1_18TensorListMetadataILi1EEENS1_14UnaryOpFunctorIfLi1ELi1ELi0EEEJNS0_5TruncIfEEEEEvT_T0_DpT1_ ; -- Begin function _ZN2at6native12_GLOBAL__N_125multi_tensor_apply_kernelINS1_18TensorListMetadataILi1EEENS1_14UnaryOpFunctorIfLi1ELi1ELi0EEEJNS0_5TruncIfEEEEEvT_T0_DpT1_
	.p2align	8
	.type	_ZN2at6native12_GLOBAL__N_125multi_tensor_apply_kernelINS1_18TensorListMetadataILi1EEENS1_14UnaryOpFunctorIfLi1ELi1ELi0EEEJNS0_5TruncIfEEEEEvT_T0_DpT1_,@function
_ZN2at6native12_GLOBAL__N_125multi_tensor_apply_kernelINS1_18TensorListMetadataILi1EEENS1_14UnaryOpFunctorIfLi1ELi1ELi0EEEJNS0_5TruncIfEEEEEvT_T0_DpT1_: ; @_ZN2at6native12_GLOBAL__N_125multi_tensor_apply_kernelINS1_18TensorListMetadataILi1EEENS1_14UnaryOpFunctorIfLi1ELi1ELi0EEEJNS0_5TruncIfEEEEEvT_T0_DpT1_
; %bb.0:
	s_bfe_u32 s2, ttmp6, 0x4000c
	s_and_b32 s3, ttmp6, 15
	s_add_co_i32 s2, s2, 1
	s_getreg_b32 s4, hwreg(HW_REG_IB_STS2, 6, 4)
	s_mul_i32 s2, ttmp9, s2
	s_delay_alu instid0(SALU_CYCLE_1)
	s_add_co_i32 s3, s3, s2
	s_cmp_eq_u32 s4, 0
	s_cselect_b32 s2, ttmp9, s3
	s_mov_b32 s3, 0
	s_load_u8 s8, s[0:1], s2 offset:0x6e0
	s_add_nc_u64 s[4:5], s[0:1], s[2:3]
	s_mul_u64 s[6:7], s[2:3], 3
	s_delay_alu instid0(SALU_CYCLE_1)
	s_add_nc_u64 s[4:5], s[4:5], s[6:7]
	s_load_b32 s10, s[4:5], 0x820
	s_wait_kmcnt 0x0
	s_clause 0x1
	s_load_b64 s[6:7], s[0:1], s8 offset:0x0 scale_offset
	s_load_b64 s[12:13], s[0:1], s8 offset:0x370 scale_offset
	s_ashr_i32 s11, s10, 31
	s_wait_kmcnt 0x0
	s_and_b64 s[4:5], s[6:7], 15
	s_and_b32 s2, s12, 3
	s_lshl_b64 s[8:9], s[10:11], 18
	s_or_b64 s[2:3], s[4:5], s[2:3]
	s_lshl_b64 s[4:5], s[10:11], 16
	s_cmp_eq_u64 s[2:3], 0
	s_sub_nc_u64 s[10:11], s[12:13], s[4:5]
	s_cbranch_scc1 .LBB270_21
; %bb.1:
	v_cmp_lt_i64_e64 s2, s[10:11], 1
	s_and_b32 vcc_lo, exec_lo, s2
	s_cbranch_vccnz .LBB270_20
; %bb.2:
	s_load_b32 s4, s[0:1], 0xd3c
	v_min_i64 v[2:3], 0x10000, s[10:11]
	v_min_u64 v[4:5], 0x10000, s[10:11]
	v_dual_mov_b32 v1, 0 :: v_dual_lshlrev_b32 v8, 2, v0
	s_mov_b32 s19, 0
	s_add_nc_u64 s[2:3], s[6:7], s[8:9]
	s_mov_b32 s5, s19
	s_delay_alu instid0(VALU_DEP_1)
	v_mov_b32_e32 v15, v1
	s_mov_b32 s17, s19
	s_mov_b32 s13, s19
	;; [unrolled: 1-line block ×3, first 2 shown]
	s_mov_b64 s[20:21], 0
	s_wait_kmcnt 0x0
	s_and_b32 s18, s4, 0xffff
	s_delay_alu instid0(SALU_CYCLE_1)
	v_add_nc_u64_e32 v[6:7], s[18:19], v[0:1]
	v_mov_b32_e32 v9, v1
	s_lshl_b32 s4, s18, 1
	s_mul_i32 s16, s18, 3
	v_add_nc_u64_e32 v[12:13], s[4:5], v[0:1]
	v_add_nc_u64_e32 v[10:11], s[16:17], v[0:1]
	s_lshl_b32 s12, s18, 2
	v_lshlrev_b32_e32 v14, 2, v6
	v_add_nc_u64_e32 v[8:9], s[2:3], v[8:9]
	s_lshl_b32 s14, s18, 4
	s_mul_u64 s[16:17], s[18:19], 12
	s_lshl_b32 s18, s18, 3
	v_add_nc_u64_e32 v[14:15], s[2:3], v[14:15]
	s_branch .LBB270_4
.LBB270_3:                              ;   in Loop: Header=BB270_4 Depth=1
	s_wait_xcnt 0x0
	s_or_b32 exec_lo, exec_lo, s2
	s_add_nc_u64 s[20:21], s[20:21], s[12:13]
	v_add_nc_u64_e32 v[8:9], s[14:15], v[8:9]
	v_cmp_lt_i64_e32 vcc_lo, s[20:21], v[2:3]
	v_add_nc_u64_e32 v[14:15], s[14:15], v[14:15]
	s_cbranch_vccz .LBB270_20
.LBB270_4:                              ; =>This Inner Loop Header: Depth=1
	v_add_nc_u64_e32 v[16:17], s[20:21], v[0:1]
	s_wait_loadcnt 0x0
	v_mov_b32_e32 v21, 0
	s_delay_alu instid0(VALU_DEP_2)
	v_cmp_lt_u64_e32 vcc_lo, v[16:17], v[4:5]
	s_and_saveexec_b32 s2, vcc_lo
	s_cbranch_execz .LBB270_6
; %bb.5:                                ;   in Loop: Header=BB270_4 Depth=1
	global_load_b32 v21, v[8:9], off
.LBB270_6:                              ;   in Loop: Header=BB270_4 Depth=1
	s_wait_xcnt 0x0
	s_or_b32 exec_lo, exec_lo, s2
	v_add_nc_u64_e32 v[16:17], s[20:21], v[6:7]
	v_dual_mov_b32 v20, 0 :: v_dual_mov_b32 v22, 0
	s_delay_alu instid0(VALU_DEP_2)
	v_cmp_lt_u64_e64 s2, v[16:17], v[4:5]
	s_and_saveexec_b32 s3, s2
	s_cbranch_execz .LBB270_8
; %bb.7:                                ;   in Loop: Header=BB270_4 Depth=1
	global_load_b32 v22, v[14:15], off
.LBB270_8:                              ;   in Loop: Header=BB270_4 Depth=1
	s_wait_xcnt 0x0
	s_or_b32 exec_lo, exec_lo, s3
	v_add_nc_u64_e32 v[16:17], s[20:21], v[12:13]
	s_delay_alu instid0(VALU_DEP_1)
	v_cmp_lt_u64_e64 s3, v[16:17], v[4:5]
	v_add_nc_u64_e32 v[16:17], s[18:19], v[8:9]
	s_and_saveexec_b32 s4, s3
	s_cbranch_execz .LBB270_10
; %bb.9:                                ;   in Loop: Header=BB270_4 Depth=1
	global_load_b32 v20, v[16:17], off
.LBB270_10:                             ;   in Loop: Header=BB270_4 Depth=1
	s_wait_xcnt 0x0
	s_or_b32 exec_lo, exec_lo, s4
	v_add_nc_u64_e32 v[18:19], s[20:21], v[10:11]
	v_mov_b32_e32 v23, 0
	s_delay_alu instid0(VALU_DEP_2)
	v_cmp_lt_u64_e64 s4, v[18:19], v[4:5]
	v_add_nc_u64_e32 v[18:19], s[16:17], v[8:9]
	s_and_saveexec_b32 s5, s4
	s_cbranch_execnz .LBB270_15
; %bb.11:                               ;   in Loop: Header=BB270_4 Depth=1
	s_or_b32 exec_lo, exec_lo, s5
	s_and_saveexec_b32 s5, vcc_lo
	s_cbranch_execnz .LBB270_16
.LBB270_12:                             ;   in Loop: Header=BB270_4 Depth=1
	s_or_b32 exec_lo, exec_lo, s5
	s_and_saveexec_b32 s5, s2
	s_cbranch_execnz .LBB270_17
.LBB270_13:                             ;   in Loop: Header=BB270_4 Depth=1
	s_or_b32 exec_lo, exec_lo, s5
	s_and_saveexec_b32 s2, s3
	s_cbranch_execnz .LBB270_18
.LBB270_14:                             ;   in Loop: Header=BB270_4 Depth=1
	s_or_b32 exec_lo, exec_lo, s2
	s_and_saveexec_b32 s2, s4
	s_cbranch_execz .LBB270_3
	s_branch .LBB270_19
.LBB270_15:                             ;   in Loop: Header=BB270_4 Depth=1
	global_load_b32 v23, v[18:19], off
	s_wait_xcnt 0x0
	s_or_b32 exec_lo, exec_lo, s5
	s_and_saveexec_b32 s5, vcc_lo
	s_cbranch_execz .LBB270_12
.LBB270_16:                             ;   in Loop: Header=BB270_4 Depth=1
	s_wait_loadcnt 0x0
	v_trunc_f32_e32 v24, v21
	s_delay_alu instid0(VALU_DEP_1)
	v_sub_f32_e32 v21, v21, v24
	global_store_b32 v[8:9], v21, off
	s_wait_xcnt 0x0
	s_or_b32 exec_lo, exec_lo, s5
	s_and_saveexec_b32 s5, s2
	s_cbranch_execz .LBB270_13
.LBB270_17:                             ;   in Loop: Header=BB270_4 Depth=1
	s_wait_loadcnt 0x0
	v_trunc_f32_e32 v21, v22
	s_delay_alu instid0(VALU_DEP_1)
	v_sub_f32_e32 v21, v22, v21
	global_store_b32 v[14:15], v21, off
	s_wait_xcnt 0x0
	s_or_b32 exec_lo, exec_lo, s5
	s_and_saveexec_b32 s2, s3
	s_cbranch_execz .LBB270_14
.LBB270_18:                             ;   in Loop: Header=BB270_4 Depth=1
	s_wait_loadcnt 0x0
	v_trunc_f32_e32 v21, v20
	s_delay_alu instid0(VALU_DEP_1)
	v_sub_f32_e32 v20, v20, v21
	global_store_b32 v[16:17], v20, off
	s_wait_xcnt 0x0
	s_or_b32 exec_lo, exec_lo, s2
	s_and_saveexec_b32 s2, s4
	s_cbranch_execz .LBB270_3
.LBB270_19:                             ;   in Loop: Header=BB270_4 Depth=1
	s_wait_loadcnt 0x0
	v_trunc_f32_e32 v16, v23
	s_delay_alu instid0(VALU_DEP_1)
	v_sub_f32_e32 v16, v23, v16
	global_store_b32 v[18:19], v16, off
	s_branch .LBB270_3
.LBB270_20:
	s_cbranch_execz .LBB270_22
	s_branch .LBB270_30
.LBB270_21:
.LBB270_22:
	v_min_i64 v[2:3], 0x10000, s[10:11]
	v_dual_mov_b32 v5, 0 :: v_dual_lshlrev_b32 v4, 2, v0
	s_mov_b32 s2, exec_lo
	s_delay_alu instid0(VALU_DEP_1)
	v_cmpx_lt_i64_e64 v[4:5], v[2:3]
	s_cbranch_execz .LBB270_30
; %bb.23:
	v_dual_mov_b32 v7, v5 :: v_dual_add_nc_u32 v6, 4, v4
	s_load_b32 s0, s[0:1], 0xd3c
	s_wait_xcnt 0x0
	s_mov_b32 s1, 0
	v_mov_b32_e32 v1, v5
	s_mov_b32 s3, -1
	v_max_i64 v[6:7], v[2:3], v[6:7]
	v_mov_b32_e32 v9, s1
	s_wait_kmcnt 0x0
	s_and_b32 s0, s0, 0xffff
	s_delay_alu instid0(SALU_CYCLE_1) | instskip(SKIP_1) | instid1(VALU_DEP_2)
	s_cmp_eq_u32 s0, 1
	s_cselect_b32 s2, -1, 0
	v_add_nc_u64_e32 v[6:7], -4, v[6:7]
	s_delay_alu instid0(VALU_DEP_1) | instskip(SKIP_1) | instid1(VALU_DEP_1)
	v_cmp_ne_u64_e32 vcc_lo, v[6:7], v[4:5]
	v_cndmask_b32_e64 v8, 0, 1, vcc_lo
	v_or_b32_e32 v4, v4, v8
	s_delay_alu instid0(VALU_DEP_1) | instskip(NEXT) | instid1(VALU_DEP_1)
	v_sub_nc_u64_e32 v[6:7], v[6:7], v[4:5]
	v_lshrrev_b64 v[6:7], 2, v[6:7]
	s_delay_alu instid0(VALU_DEP_1) | instskip(NEXT) | instid1(VALU_DEP_1)
	v_add_nc_u64_e32 v[6:7], v[6:7], v[8:9]
	v_cmp_ne_u64_e32 vcc_lo, 0, v[6:7]
	s_and_b32 s4, vcc_lo, s2
	s_delay_alu instid0(SALU_CYCLE_1)
	s_and_saveexec_b32 s2, s4
	s_cbranch_execz .LBB270_27
; %bb.24:
	v_dual_mov_b32 v9, 0 :: v_dual_lshlrev_b32 v8, 4, v0
	v_add_nc_u64_e32 v[4:5], 1, v[6:7]
	s_add_nc_u64 s[4:5], s[6:7], s[8:9]
	s_delay_alu instid0(VALU_DEP_2) | instid1(SALU_CYCLE_1)
	v_add_nc_u64_e32 v[8:9], s[4:5], v[8:9]
	s_delay_alu instid0(VALU_DEP_2) | instskip(NEXT) | instid1(VALU_DEP_2)
	v_dual_mov_b32 v7, v5 :: v_dual_bitop2_b32 v6, -2, v4 bitop3:0x40
	v_add_nc_u64_e32 v[8:9], 28, v[8:9]
	s_delay_alu instid0(VALU_DEP_2)
	v_mov_b64_e32 v[10:11], v[6:7]
.LBB270_25:                             ; =>This Inner Loop Header: Depth=1
	s_clause 0x1
	global_load_b128 v[12:15], v[8:9], off offset:-28
	global_load_b128 v[16:19], v[8:9], off offset:-12
	v_add_nc_u64_e32 v[10:11], -2, v[10:11]
	s_delay_alu instid0(VALU_DEP_1)
	v_cmp_eq_u64_e32 vcc_lo, 0, v[10:11]
	s_or_b32 s1, vcc_lo, s1
	s_wait_loadcnt 0x0
	v_dual_mov_b32 v20, v12 :: v_dual_mov_b32 v21, v16
	v_dual_mov_b32 v22, v13 :: v_dual_mov_b32 v23, v17
	;; [unrolled: 1-line block ×4, first 2 shown]
	v_trunc_f32_e32 v29, v16
	v_trunc_f32_e32 v28, v12
	;; [unrolled: 1-line block ×8, first 2 shown]
	v_pk_add_f32 v[20:21], v[20:21], v[28:29] neg_lo:[0,1] neg_hi:[0,1]
	v_pk_add_f32 v[12:13], v[22:23], v[16:17] neg_lo:[0,1] neg_hi:[0,1]
	;; [unrolled: 1-line block ×3, first 2 shown]
	s_delay_alu instid0(VALU_DEP_4) | instskip(NEXT) | instid1(VALU_DEP_3)
	v_pk_add_f32 v[14:15], v[26:27], v[18:19] neg_lo:[0,1] neg_hi:[0,1]
	v_dual_mov_b32 v16, v20 :: v_dual_mov_b32 v17, v12
	s_delay_alu instid0(VALU_DEP_3) | instskip(NEXT) | instid1(VALU_DEP_3)
	v_dual_mov_b32 v18, v22 :: v_dual_mov_b32 v12, v21
	v_dual_mov_b32 v19, v14 :: v_dual_mov_b32 v14, v23
	s_clause 0x1
	global_store_b128 v[8:9], v[16:19], off offset:-28
	global_store_b128 v[8:9], v[12:15], off offset:-12
	s_wait_xcnt 0x0
	v_add_nc_u64_e32 v[8:9], 32, v[8:9]
	s_and_not1_b32 exec_lo, exec_lo, s1
	s_cbranch_execnz .LBB270_25
; %bb.26:
	s_or_b32 exec_lo, exec_lo, s1
	v_cmp_ne_u64_e32 vcc_lo, v[4:5], v[6:7]
	v_add_nc_u64_e32 v[0:1], v[6:7], v[0:1]
	s_or_not1_b32 s3, vcc_lo, exec_lo
.LBB270_27:
	s_or_b32 exec_lo, exec_lo, s2
	s_delay_alu instid0(SALU_CYCLE_1)
	s_and_b32 exec_lo, exec_lo, s3
	s_cbranch_execz .LBB270_30
; %bb.28:
	s_add_nc_u64 s[2:3], s[6:7], s[8:9]
	s_mov_b32 s1, 0
	v_lshl_add_u64 v[4:5], v[0:1], 4, s[2:3]
	s_lshl_b32 s2, s0, 4
	s_mov_b32 s3, s1
	s_mov_b32 s4, s1
	s_delay_alu instid0(VALU_DEP_1)
	v_add_nc_u64_e32 v[4:5], 8, v[4:5]
.LBB270_29:                             ; =>This Inner Loop Header: Depth=1
	global_load_b128 v[6:9], v[4:5], off offset:-8
	v_add_nc_u64_e32 v[0:1], s[0:1], v[0:1]
	s_delay_alu instid0(VALU_DEP_1) | instskip(NEXT) | instid1(VALU_DEP_1)
	v_lshlrev_b64_e32 v[14:15], 2, v[0:1]
	v_cmp_ge_i64_e32 vcc_lo, v[14:15], v[2:3]
	s_or_b32 s4, vcc_lo, s4
	s_wait_loadcnt 0x0
	v_trunc_f32_e32 v10, v6
	v_trunc_f32_e32 v11, v7
	;; [unrolled: 1-line block ×4, first 2 shown]
	s_delay_alu instid0(VALU_DEP_3) | instskip(NEXT) | instid1(VALU_DEP_2)
	v_pk_add_f32 v[6:7], v[6:7], v[10:11] neg_lo:[0,1] neg_hi:[0,1]
	v_pk_add_f32 v[8:9], v[8:9], v[12:13] neg_lo:[0,1] neg_hi:[0,1]
	global_store_b128 v[4:5], v[6:9], off offset:-8
	s_wait_xcnt 0x0
	v_add_nc_u64_e32 v[4:5], s[2:3], v[4:5]
	s_and_not1_b32 exec_lo, exec_lo, s4
	s_cbranch_execnz .LBB270_29
.LBB270_30:
	s_endpgm
	.section	.rodata,"a",@progbits
	.p2align	6, 0x0
	.amdhsa_kernel _ZN2at6native12_GLOBAL__N_125multi_tensor_apply_kernelINS1_18TensorListMetadataILi1EEENS1_14UnaryOpFunctorIfLi1ELi1ELi0EEEJNS0_5TruncIfEEEEEvT_T0_DpT1_
		.amdhsa_group_segment_fixed_size 0
		.amdhsa_private_segment_fixed_size 0
		.amdhsa_kernarg_size 3632
		.amdhsa_user_sgpr_count 2
		.amdhsa_user_sgpr_dispatch_ptr 0
		.amdhsa_user_sgpr_queue_ptr 0
		.amdhsa_user_sgpr_kernarg_segment_ptr 1
		.amdhsa_user_sgpr_dispatch_id 0
		.amdhsa_user_sgpr_kernarg_preload_length 0
		.amdhsa_user_sgpr_kernarg_preload_offset 0
		.amdhsa_user_sgpr_private_segment_size 0
		.amdhsa_wavefront_size32 1
		.amdhsa_uses_dynamic_stack 0
		.amdhsa_enable_private_segment 0
		.amdhsa_system_sgpr_workgroup_id_x 1
		.amdhsa_system_sgpr_workgroup_id_y 0
		.amdhsa_system_sgpr_workgroup_id_z 0
		.amdhsa_system_sgpr_workgroup_info 0
		.amdhsa_system_vgpr_workitem_id 0
		.amdhsa_next_free_vgpr 32
		.amdhsa_next_free_sgpr 22
		.amdhsa_named_barrier_count 0
		.amdhsa_reserve_vcc 1
		.amdhsa_float_round_mode_32 0
		.amdhsa_float_round_mode_16_64 0
		.amdhsa_float_denorm_mode_32 3
		.amdhsa_float_denorm_mode_16_64 3
		.amdhsa_fp16_overflow 0
		.amdhsa_memory_ordered 1
		.amdhsa_forward_progress 1
		.amdhsa_inst_pref_size 11
		.amdhsa_round_robin_scheduling 0
		.amdhsa_exception_fp_ieee_invalid_op 0
		.amdhsa_exception_fp_denorm_src 0
		.amdhsa_exception_fp_ieee_div_zero 0
		.amdhsa_exception_fp_ieee_overflow 0
		.amdhsa_exception_fp_ieee_underflow 0
		.amdhsa_exception_fp_ieee_inexact 0
		.amdhsa_exception_int_div_zero 0
	.end_amdhsa_kernel
	.section	.text._ZN2at6native12_GLOBAL__N_125multi_tensor_apply_kernelINS1_18TensorListMetadataILi1EEENS1_14UnaryOpFunctorIfLi1ELi1ELi0EEEJNS0_5TruncIfEEEEEvT_T0_DpT1_,"axG",@progbits,_ZN2at6native12_GLOBAL__N_125multi_tensor_apply_kernelINS1_18TensorListMetadataILi1EEENS1_14UnaryOpFunctorIfLi1ELi1ELi0EEEJNS0_5TruncIfEEEEEvT_T0_DpT1_,comdat
.Lfunc_end270:
	.size	_ZN2at6native12_GLOBAL__N_125multi_tensor_apply_kernelINS1_18TensorListMetadataILi1EEENS1_14UnaryOpFunctorIfLi1ELi1ELi0EEEJNS0_5TruncIfEEEEEvT_T0_DpT1_, .Lfunc_end270-_ZN2at6native12_GLOBAL__N_125multi_tensor_apply_kernelINS1_18TensorListMetadataILi1EEENS1_14UnaryOpFunctorIfLi1ELi1ELi0EEEJNS0_5TruncIfEEEEEvT_T0_DpT1_
                                        ; -- End function
	.set _ZN2at6native12_GLOBAL__N_125multi_tensor_apply_kernelINS1_18TensorListMetadataILi1EEENS1_14UnaryOpFunctorIfLi1ELi1ELi0EEEJNS0_5TruncIfEEEEEvT_T0_DpT1_.num_vgpr, 32
	.set _ZN2at6native12_GLOBAL__N_125multi_tensor_apply_kernelINS1_18TensorListMetadataILi1EEENS1_14UnaryOpFunctorIfLi1ELi1ELi0EEEJNS0_5TruncIfEEEEEvT_T0_DpT1_.num_agpr, 0
	.set _ZN2at6native12_GLOBAL__N_125multi_tensor_apply_kernelINS1_18TensorListMetadataILi1EEENS1_14UnaryOpFunctorIfLi1ELi1ELi0EEEJNS0_5TruncIfEEEEEvT_T0_DpT1_.numbered_sgpr, 22
	.set _ZN2at6native12_GLOBAL__N_125multi_tensor_apply_kernelINS1_18TensorListMetadataILi1EEENS1_14UnaryOpFunctorIfLi1ELi1ELi0EEEJNS0_5TruncIfEEEEEvT_T0_DpT1_.num_named_barrier, 0
	.set _ZN2at6native12_GLOBAL__N_125multi_tensor_apply_kernelINS1_18TensorListMetadataILi1EEENS1_14UnaryOpFunctorIfLi1ELi1ELi0EEEJNS0_5TruncIfEEEEEvT_T0_DpT1_.private_seg_size, 0
	.set _ZN2at6native12_GLOBAL__N_125multi_tensor_apply_kernelINS1_18TensorListMetadataILi1EEENS1_14UnaryOpFunctorIfLi1ELi1ELi0EEEJNS0_5TruncIfEEEEEvT_T0_DpT1_.uses_vcc, 1
	.set _ZN2at6native12_GLOBAL__N_125multi_tensor_apply_kernelINS1_18TensorListMetadataILi1EEENS1_14UnaryOpFunctorIfLi1ELi1ELi0EEEJNS0_5TruncIfEEEEEvT_T0_DpT1_.uses_flat_scratch, 0
	.set _ZN2at6native12_GLOBAL__N_125multi_tensor_apply_kernelINS1_18TensorListMetadataILi1EEENS1_14UnaryOpFunctorIfLi1ELi1ELi0EEEJNS0_5TruncIfEEEEEvT_T0_DpT1_.has_dyn_sized_stack, 0
	.set _ZN2at6native12_GLOBAL__N_125multi_tensor_apply_kernelINS1_18TensorListMetadataILi1EEENS1_14UnaryOpFunctorIfLi1ELi1ELi0EEEJNS0_5TruncIfEEEEEvT_T0_DpT1_.has_recursion, 0
	.set _ZN2at6native12_GLOBAL__N_125multi_tensor_apply_kernelINS1_18TensorListMetadataILi1EEENS1_14UnaryOpFunctorIfLi1ELi1ELi0EEEJNS0_5TruncIfEEEEEvT_T0_DpT1_.has_indirect_call, 0
	.section	.AMDGPU.csdata,"",@progbits
; Kernel info:
; codeLenInByte = 1392
; TotalNumSgprs: 24
; NumVgprs: 32
; ScratchSize: 0
; MemoryBound: 0
; FloatMode: 240
; IeeeMode: 1
; LDSByteSize: 0 bytes/workgroup (compile time only)
; SGPRBlocks: 0
; VGPRBlocks: 1
; NumSGPRsForWavesPerEU: 24
; NumVGPRsForWavesPerEU: 32
; NamedBarCnt: 0
; Occupancy: 16
; WaveLimiterHint : 0
; COMPUTE_PGM_RSRC2:SCRATCH_EN: 0
; COMPUTE_PGM_RSRC2:USER_SGPR: 2
; COMPUTE_PGM_RSRC2:TRAP_HANDLER: 0
; COMPUTE_PGM_RSRC2:TGID_X_EN: 1
; COMPUTE_PGM_RSRC2:TGID_Y_EN: 0
; COMPUTE_PGM_RSRC2:TGID_Z_EN: 0
; COMPUTE_PGM_RSRC2:TIDIG_COMP_CNT: 0
	.section	.text._ZN2at6native12_GLOBAL__N_125multi_tensor_apply_kernelINS1_18TensorListMetadataILi1EEENS1_14UnaryOpFunctorIN3c104HalfELi1ELi1ELi0EEEJNS0_5TruncIfEEEEEvT_T0_DpT1_,"axG",@progbits,_ZN2at6native12_GLOBAL__N_125multi_tensor_apply_kernelINS1_18TensorListMetadataILi1EEENS1_14UnaryOpFunctorIN3c104HalfELi1ELi1ELi0EEEJNS0_5TruncIfEEEEEvT_T0_DpT1_,comdat
	.globl	_ZN2at6native12_GLOBAL__N_125multi_tensor_apply_kernelINS1_18TensorListMetadataILi1EEENS1_14UnaryOpFunctorIN3c104HalfELi1ELi1ELi0EEEJNS0_5TruncIfEEEEEvT_T0_DpT1_ ; -- Begin function _ZN2at6native12_GLOBAL__N_125multi_tensor_apply_kernelINS1_18TensorListMetadataILi1EEENS1_14UnaryOpFunctorIN3c104HalfELi1ELi1ELi0EEEJNS0_5TruncIfEEEEEvT_T0_DpT1_
	.p2align	8
	.type	_ZN2at6native12_GLOBAL__N_125multi_tensor_apply_kernelINS1_18TensorListMetadataILi1EEENS1_14UnaryOpFunctorIN3c104HalfELi1ELi1ELi0EEEJNS0_5TruncIfEEEEEvT_T0_DpT1_,@function
_ZN2at6native12_GLOBAL__N_125multi_tensor_apply_kernelINS1_18TensorListMetadataILi1EEENS1_14UnaryOpFunctorIN3c104HalfELi1ELi1ELi0EEEJNS0_5TruncIfEEEEEvT_T0_DpT1_: ; @_ZN2at6native12_GLOBAL__N_125multi_tensor_apply_kernelINS1_18TensorListMetadataILi1EEENS1_14UnaryOpFunctorIN3c104HalfELi1ELi1ELi0EEEJNS0_5TruncIfEEEEEvT_T0_DpT1_
; %bb.0:
	s_bfe_u32 s2, ttmp6, 0x4000c
	s_and_b32 s3, ttmp6, 15
	s_add_co_i32 s2, s2, 1
	s_getreg_b32 s4, hwreg(HW_REG_IB_STS2, 6, 4)
	s_mul_i32 s2, ttmp9, s2
	s_delay_alu instid0(SALU_CYCLE_1)
	s_add_co_i32 s3, s3, s2
	s_cmp_eq_u32 s4, 0
	s_cselect_b32 s2, ttmp9, s3
	s_mov_b32 s3, 0
	s_load_u8 s8, s[0:1], s2 offset:0x6e0
	s_add_nc_u64 s[4:5], s[0:1], s[2:3]
	s_mul_u64 s[6:7], s[2:3], 3
	s_delay_alu instid0(SALU_CYCLE_1)
	s_add_nc_u64 s[4:5], s[4:5], s[6:7]
	s_load_b32 s10, s[4:5], 0x820
	s_wait_kmcnt 0x0
	s_clause 0x1
	s_load_b64 s[6:7], s[0:1], s8 offset:0x0 scale_offset
	s_load_b64 s[12:13], s[0:1], s8 offset:0x370 scale_offset
	s_ashr_i32 s11, s10, 31
	s_wait_kmcnt 0x0
	s_and_b64 s[4:5], s[6:7], 7
	s_and_b32 s2, s12, 3
	s_lshl_b64 s[8:9], s[10:11], 17
	s_or_b64 s[2:3], s[4:5], s[2:3]
	s_lshl_b64 s[4:5], s[10:11], 16
	s_cmp_eq_u64 s[2:3], 0
	s_sub_nc_u64 s[10:11], s[12:13], s[4:5]
	s_cbranch_scc1 .LBB271_21
; %bb.1:
	v_cmp_lt_i64_e64 s2, s[10:11], 1
	s_and_b32 vcc_lo, exec_lo, s2
	s_cbranch_vccnz .LBB271_20
; %bb.2:
	s_load_b32 s2, s[0:1], 0xd3c
	v_min_i64 v[2:3], 0x10000, s[10:11]
	v_min_u64 v[4:5], 0x10000, s[10:11]
	v_dual_mov_b32 v1, 0 :: v_dual_lshlrev_b32 v8, 1, v0
	s_mov_b32 s3, 0
	s_add_nc_u64 s[4:5], s[6:7], s[8:9]
	s_mov_b32 s15, s3
	s_delay_alu instid0(VALU_DEP_1)
	v_mov_b32_e32 v15, v1
	s_mov_b32 s17, s3
	s_mov_b32 s13, s3
	s_mov_b64 s[18:19], 0
	s_wait_kmcnt 0x0
	s_and_b32 s2, s2, 0xffff
	s_delay_alu instid0(SALU_CYCLE_1)
	v_add_nc_u64_e32 v[6:7], s[2:3], v[0:1]
	v_mov_b32_e32 v9, v1
	s_lshl_b32 s14, s2, 1
	s_mul_i32 s16, s2, 3
	v_add_nc_u64_e32 v[12:13], s[14:15], v[0:1]
	v_add_nc_u64_e32 v[10:11], s[16:17], v[0:1]
	s_lshl_b32 s12, s2, 2
	v_lshlrev_b32_e32 v14, 1, v6
	v_add_nc_u64_e32 v[8:9], s[4:5], v[8:9]
	s_lshl_b32 s14, s2, 3
	s_mul_u64 s[16:17], s[2:3], 6
	s_delay_alu instid0(VALU_DEP_2)
	v_add_nc_u64_e32 v[14:15], s[4:5], v[14:15]
	s_branch .LBB271_4
.LBB271_3:                              ;   in Loop: Header=BB271_4 Depth=1
	s_wait_xcnt 0x0
	s_or_b32 exec_lo, exec_lo, s2
	s_add_nc_u64 s[18:19], s[18:19], s[12:13]
	v_add_nc_u64_e32 v[8:9], s[14:15], v[8:9]
	v_cmp_lt_i64_e32 vcc_lo, s[18:19], v[2:3]
	v_add_nc_u64_e32 v[14:15], s[14:15], v[14:15]
	s_cbranch_vccz .LBB271_20
.LBB271_4:                              ; =>This Inner Loop Header: Depth=1
	v_add_nc_u64_e32 v[16:17], s[18:19], v[0:1]
	v_mov_b32_e32 v21, 0
	s_delay_alu instid0(VALU_DEP_2)
	v_cmp_lt_u64_e32 vcc_lo, v[16:17], v[4:5]
	s_and_saveexec_b32 s2, vcc_lo
	s_cbranch_execz .LBB271_6
; %bb.5:                                ;   in Loop: Header=BB271_4 Depth=1
	global_load_u16 v16, v[8:9], off
	s_wait_loadcnt 0x0
	v_cvt_f32_f16_e32 v21, v16
.LBB271_6:                              ;   in Loop: Header=BB271_4 Depth=1
	s_wait_xcnt 0x0
	s_or_b32 exec_lo, exec_lo, s2
	v_add_nc_u64_e32 v[16:17], s[18:19], v[6:7]
	v_dual_mov_b32 v20, 0 :: v_dual_mov_b32 v22, 0
	s_delay_alu instid0(VALU_DEP_2)
	v_cmp_lt_u64_e64 s2, v[16:17], v[4:5]
	s_and_saveexec_b32 s3, s2
	s_cbranch_execz .LBB271_8
; %bb.7:                                ;   in Loop: Header=BB271_4 Depth=1
	global_load_u16 v16, v[14:15], off
	s_wait_loadcnt 0x0
	v_cvt_f32_f16_e32 v22, v16
.LBB271_8:                              ;   in Loop: Header=BB271_4 Depth=1
	s_wait_xcnt 0x0
	s_or_b32 exec_lo, exec_lo, s3
	v_add_nc_u64_e32 v[16:17], s[18:19], v[12:13]
	s_delay_alu instid0(VALU_DEP_1)
	v_cmp_lt_u64_e64 s3, v[16:17], v[4:5]
	v_add_nc_u64_e32 v[16:17], s[12:13], v[8:9]
	s_and_saveexec_b32 s4, s3
	s_cbranch_execz .LBB271_10
; %bb.9:                                ;   in Loop: Header=BB271_4 Depth=1
	global_load_u16 v18, v[16:17], off
	s_wait_loadcnt 0x0
	v_cvt_f32_f16_e32 v20, v18
.LBB271_10:                             ;   in Loop: Header=BB271_4 Depth=1
	s_wait_xcnt 0x0
	s_or_b32 exec_lo, exec_lo, s4
	v_add_nc_u64_e32 v[18:19], s[18:19], v[10:11]
	v_mov_b32_e32 v23, 0
	s_delay_alu instid0(VALU_DEP_2)
	v_cmp_lt_u64_e64 s4, v[18:19], v[4:5]
	v_add_nc_u64_e32 v[18:19], s[16:17], v[8:9]
	s_and_saveexec_b32 s5, s4
	s_cbranch_execnz .LBB271_15
; %bb.11:                               ;   in Loop: Header=BB271_4 Depth=1
	s_or_b32 exec_lo, exec_lo, s5
	s_and_saveexec_b32 s5, vcc_lo
	s_cbranch_execnz .LBB271_16
.LBB271_12:                             ;   in Loop: Header=BB271_4 Depth=1
	s_or_b32 exec_lo, exec_lo, s5
	s_and_saveexec_b32 s5, s2
	s_cbranch_execnz .LBB271_17
.LBB271_13:                             ;   in Loop: Header=BB271_4 Depth=1
	s_or_b32 exec_lo, exec_lo, s5
	s_and_saveexec_b32 s2, s3
	s_cbranch_execnz .LBB271_18
.LBB271_14:                             ;   in Loop: Header=BB271_4 Depth=1
	s_or_b32 exec_lo, exec_lo, s2
	s_and_saveexec_b32 s2, s4
	s_cbranch_execz .LBB271_3
	s_branch .LBB271_19
.LBB271_15:                             ;   in Loop: Header=BB271_4 Depth=1
	global_load_u16 v23, v[18:19], off
	s_wait_loadcnt 0x0
	v_cvt_f32_f16_e32 v23, v23
	s_wait_xcnt 0x0
	s_or_b32 exec_lo, exec_lo, s5
	s_and_saveexec_b32 s5, vcc_lo
	s_cbranch_execz .LBB271_12
.LBB271_16:                             ;   in Loop: Header=BB271_4 Depth=1
	v_trunc_f32_e32 v24, v21
	s_delay_alu instid0(VALU_DEP_1) | instskip(NEXT) | instid1(VALU_DEP_1)
	v_sub_f32_e32 v21, v21, v24
	v_cvt_f16_f32_e32 v21, v21
	global_store_b16 v[8:9], v21, off
	s_wait_xcnt 0x0
	s_or_b32 exec_lo, exec_lo, s5
	s_and_saveexec_b32 s5, s2
	s_cbranch_execz .LBB271_13
.LBB271_17:                             ;   in Loop: Header=BB271_4 Depth=1
	v_trunc_f32_e32 v21, v22
	s_delay_alu instid0(VALU_DEP_1) | instskip(NEXT) | instid1(VALU_DEP_1)
	v_sub_f32_e32 v21, v22, v21
	v_cvt_f16_f32_e32 v21, v21
	global_store_b16 v[14:15], v21, off
	s_wait_xcnt 0x0
	s_or_b32 exec_lo, exec_lo, s5
	s_and_saveexec_b32 s2, s3
	s_cbranch_execz .LBB271_14
.LBB271_18:                             ;   in Loop: Header=BB271_4 Depth=1
	v_trunc_f32_e32 v21, v20
	s_delay_alu instid0(VALU_DEP_1) | instskip(NEXT) | instid1(VALU_DEP_1)
	v_sub_f32_e32 v20, v20, v21
	v_cvt_f16_f32_e32 v20, v20
	global_store_b16 v[16:17], v20, off
	s_wait_xcnt 0x0
	s_or_b32 exec_lo, exec_lo, s2
	s_and_saveexec_b32 s2, s4
	s_cbranch_execz .LBB271_3
.LBB271_19:                             ;   in Loop: Header=BB271_4 Depth=1
	v_trunc_f32_e32 v16, v23
	s_delay_alu instid0(VALU_DEP_1) | instskip(NEXT) | instid1(VALU_DEP_1)
	v_sub_f32_e32 v16, v23, v16
	v_cvt_f16_f32_e32 v16, v16
	global_store_b16 v[18:19], v16, off
	s_branch .LBB271_3
.LBB271_20:
	s_cbranch_execz .LBB271_22
	s_branch .LBB271_30
.LBB271_21:
.LBB271_22:
	v_min_i64 v[2:3], 0x10000, s[10:11]
	v_dual_mov_b32 v5, 0 :: v_dual_lshlrev_b32 v4, 2, v0
	s_mov_b32 s2, exec_lo
	s_delay_alu instid0(VALU_DEP_1)
	v_cmpx_lt_i64_e64 v[4:5], v[2:3]
	s_cbranch_execz .LBB271_30
; %bb.23:
	v_dual_mov_b32 v7, v5 :: v_dual_add_nc_u32 v6, 4, v4
	s_load_b32 s0, s[0:1], 0xd3c
	s_wait_xcnt 0x0
	s_mov_b32 s1, 0
	v_mov_b32_e32 v1, v5
	s_mov_b32 s3, -1
	v_max_i64 v[6:7], v[2:3], v[6:7]
	v_mov_b32_e32 v9, s1
	s_wait_kmcnt 0x0
	s_and_b32 s0, s0, 0xffff
	s_delay_alu instid0(SALU_CYCLE_1) | instskip(SKIP_1) | instid1(VALU_DEP_2)
	s_cmp_eq_u32 s0, 1
	s_cselect_b32 s2, -1, 0
	v_add_nc_u64_e32 v[6:7], -4, v[6:7]
	s_delay_alu instid0(VALU_DEP_1) | instskip(SKIP_1) | instid1(VALU_DEP_1)
	v_cmp_ne_u64_e32 vcc_lo, v[6:7], v[4:5]
	v_cndmask_b32_e64 v8, 0, 1, vcc_lo
	v_or_b32_e32 v4, v4, v8
	s_delay_alu instid0(VALU_DEP_1) | instskip(NEXT) | instid1(VALU_DEP_1)
	v_sub_nc_u64_e32 v[6:7], v[6:7], v[4:5]
	v_lshrrev_b64 v[6:7], 2, v[6:7]
	s_delay_alu instid0(VALU_DEP_1) | instskip(NEXT) | instid1(VALU_DEP_1)
	v_add_nc_u64_e32 v[6:7], v[6:7], v[8:9]
	v_cmp_ne_u64_e32 vcc_lo, 0, v[6:7]
	s_and_b32 s4, vcc_lo, s2
	s_delay_alu instid0(SALU_CYCLE_1)
	s_and_saveexec_b32 s2, s4
	s_cbranch_execz .LBB271_27
; %bb.24:
	v_dual_mov_b32 v9, 0 :: v_dual_lshlrev_b32 v8, 3, v0
	v_add_nc_u64_e32 v[4:5], 1, v[6:7]
	s_add_nc_u64 s[4:5], s[6:7], s[8:9]
	s_delay_alu instid0(VALU_DEP_2) | instid1(SALU_CYCLE_1)
	v_add_nc_u64_e32 v[8:9], s[4:5], v[8:9]
	s_delay_alu instid0(VALU_DEP_2) | instskip(NEXT) | instid1(VALU_DEP_2)
	v_dual_mov_b32 v7, v5 :: v_dual_bitop2_b32 v6, -2, v4 bitop3:0x40
	v_add_nc_u64_e32 v[8:9], 8, v[8:9]
	s_delay_alu instid0(VALU_DEP_2)
	v_mov_b64_e32 v[10:11], v[6:7]
.LBB271_25:                             ; =>This Inner Loop Header: Depth=1
	global_load_b128 v[12:15], v[8:9], off offset:-8
	v_add_nc_u64_e32 v[10:11], -2, v[10:11]
	s_delay_alu instid0(VALU_DEP_1)
	v_cmp_eq_u64_e32 vcc_lo, 0, v[10:11]
	s_or_b32 s1, vcc_lo, s1
	s_wait_loadcnt 0x0
	v_dual_lshrrev_b32 v18, 16, v12 :: v_dual_lshrrev_b32 v20, 16, v13
	v_dual_lshrrev_b32 v19, 16, v14 :: v_dual_lshrrev_b32 v21, 16, v15
	v_cvt_f32_f16_e32 v17, v14
	v_cvt_f32_f16_e32 v16, v12
	;; [unrolled: 1-line block ×8, first 2 shown]
	v_trunc_f32_e32 v13, v17
	v_trunc_f32_e32 v12, v16
	;; [unrolled: 1-line block ×8, first 2 shown]
	v_pk_add_f32 v[12:13], v[16:17], v[12:13] neg_lo:[0,1] neg_hi:[0,1]
	v_pk_add_f32 v[14:15], v[14:15], v[22:23] neg_lo:[0,1] neg_hi:[0,1]
	s_delay_alu instid0(VALU_DEP_4) | instskip(NEXT) | instid1(VALU_DEP_4)
	v_pk_add_f32 v[16:17], v[20:21], v[26:27] neg_lo:[0,1] neg_hi:[0,1]
	v_pk_add_f32 v[18:19], v[18:19], v[24:25] neg_lo:[0,1] neg_hi:[0,1]
	s_delay_alu instid0(VALU_DEP_4) | instskip(NEXT) | instid1(VALU_DEP_4)
	v_cvt_pk_f16_f32 v12, v12, v13
	v_cvt_pk_f16_f32 v13, v14, v15
	s_delay_alu instid0(VALU_DEP_4) | instskip(NEXT) | instid1(VALU_DEP_4)
	v_cvt_pk_f16_f32 v16, v16, v17
	v_cvt_pk_f16_f32 v17, v18, v19
	s_delay_alu instid0(VALU_DEP_2) | instskip(NEXT) | instid1(VALU_DEP_2)
	v_perm_b32 v15, v16, v13, 0x7060302
	v_perm_b32 v14, v17, v12, 0x7060302
	v_pack_b32_f16 v13, v13, v16
	v_pack_b32_f16 v12, v12, v17
	global_store_b128 v[8:9], v[12:15], off offset:-8
	s_wait_xcnt 0x0
	v_add_nc_u64_e32 v[8:9], 16, v[8:9]
	s_and_not1_b32 exec_lo, exec_lo, s1
	s_cbranch_execnz .LBB271_25
; %bb.26:
	s_or_b32 exec_lo, exec_lo, s1
	v_cmp_ne_u64_e32 vcc_lo, v[4:5], v[6:7]
	v_add_nc_u64_e32 v[0:1], v[6:7], v[0:1]
	s_or_not1_b32 s3, vcc_lo, exec_lo
.LBB271_27:
	s_or_b32 exec_lo, exec_lo, s2
	s_delay_alu instid0(SALU_CYCLE_1)
	s_and_b32 exec_lo, exec_lo, s3
	s_cbranch_execz .LBB271_30
; %bb.28:
	s_add_nc_u64 s[2:3], s[6:7], s[8:9]
	s_mov_b32 s1, 0
	v_lshl_add_u64 v[4:5], v[0:1], 3, s[2:3]
	s_lshl_b32 s2, s0, 3
	s_mov_b32 s3, s1
	s_mov_b32 s4, s1
.LBB271_29:                             ; =>This Inner Loop Header: Depth=1
	global_load_b64 v[6:7], v[4:5], off
	v_add_nc_u64_e32 v[0:1], s[0:1], v[0:1]
	s_wait_loadcnt 0x0
	v_dual_lshrrev_b32 v8, 16, v7 :: v_dual_lshrrev_b32 v9, 16, v6
	v_cvt_f32_f16_e32 v6, v6
	v_cvt_f32_f16_e32 v7, v7
	s_delay_alu instid0(VALU_DEP_3) | instskip(NEXT) | instid1(VALU_DEP_4)
	v_cvt_f32_f16_e32 v8, v8
	v_cvt_f32_f16_e32 v9, v9
	s_delay_alu instid0(VALU_DEP_4) | instskip(NEXT) | instid1(VALU_DEP_4)
	v_trunc_f32_e32 v10, v6
	v_trunc_f32_e32 v11, v7
	s_delay_alu instid0(VALU_DEP_4) | instskip(NEXT) | instid1(VALU_DEP_4)
	v_trunc_f32_e32 v12, v8
	v_trunc_f32_e32 v13, v9
	s_delay_alu instid0(VALU_DEP_3) | instskip(SKIP_1) | instid1(VALU_DEP_3)
	v_dual_sub_f32 v10, v6, v10 :: v_dual_sub_f32 v11, v7, v11
	v_lshlrev_b64_e32 v[6:7], 2, v[0:1]
	v_dual_sub_f32 v8, v8, v12 :: v_dual_sub_f32 v12, v9, v13
	s_delay_alu instid0(VALU_DEP_1) | instskip(NEXT) | instid1(VALU_DEP_2)
	v_cvt_pk_f16_f32 v9, v11, v8
	v_cvt_pk_f16_f32 v8, v10, v12
	s_delay_alu instid0(VALU_DEP_4) | instskip(SKIP_4) | instid1(SALU_CYCLE_1)
	v_cmp_ge_i64_e32 vcc_lo, v[6:7], v[2:3]
	global_store_b64 v[4:5], v[8:9], off
	s_wait_xcnt 0x0
	v_add_nc_u64_e32 v[4:5], s[2:3], v[4:5]
	s_or_b32 s4, vcc_lo, s4
	s_and_not1_b32 exec_lo, exec_lo, s4
	s_cbranch_execnz .LBB271_29
.LBB271_30:
	s_endpgm
	.section	.rodata,"a",@progbits
	.p2align	6, 0x0
	.amdhsa_kernel _ZN2at6native12_GLOBAL__N_125multi_tensor_apply_kernelINS1_18TensorListMetadataILi1EEENS1_14UnaryOpFunctorIN3c104HalfELi1ELi1ELi0EEEJNS0_5TruncIfEEEEEvT_T0_DpT1_
		.amdhsa_group_segment_fixed_size 0
		.amdhsa_private_segment_fixed_size 0
		.amdhsa_kernarg_size 3632
		.amdhsa_user_sgpr_count 2
		.amdhsa_user_sgpr_dispatch_ptr 0
		.amdhsa_user_sgpr_queue_ptr 0
		.amdhsa_user_sgpr_kernarg_segment_ptr 1
		.amdhsa_user_sgpr_dispatch_id 0
		.amdhsa_user_sgpr_kernarg_preload_length 0
		.amdhsa_user_sgpr_kernarg_preload_offset 0
		.amdhsa_user_sgpr_private_segment_size 0
		.amdhsa_wavefront_size32 1
		.amdhsa_uses_dynamic_stack 0
		.amdhsa_enable_private_segment 0
		.amdhsa_system_sgpr_workgroup_id_x 1
		.amdhsa_system_sgpr_workgroup_id_y 0
		.amdhsa_system_sgpr_workgroup_id_z 0
		.amdhsa_system_sgpr_workgroup_info 0
		.amdhsa_system_vgpr_workitem_id 0
		.amdhsa_next_free_vgpr 28
		.amdhsa_next_free_sgpr 20
		.amdhsa_named_barrier_count 0
		.amdhsa_reserve_vcc 1
		.amdhsa_float_round_mode_32 0
		.amdhsa_float_round_mode_16_64 0
		.amdhsa_float_denorm_mode_32 3
		.amdhsa_float_denorm_mode_16_64 3
		.amdhsa_fp16_overflow 0
		.amdhsa_memory_ordered 1
		.amdhsa_forward_progress 1
		.amdhsa_inst_pref_size 12
		.amdhsa_round_robin_scheduling 0
		.amdhsa_exception_fp_ieee_invalid_op 0
		.amdhsa_exception_fp_denorm_src 0
		.amdhsa_exception_fp_ieee_div_zero 0
		.amdhsa_exception_fp_ieee_overflow 0
		.amdhsa_exception_fp_ieee_underflow 0
		.amdhsa_exception_fp_ieee_inexact 0
		.amdhsa_exception_int_div_zero 0
	.end_amdhsa_kernel
	.section	.text._ZN2at6native12_GLOBAL__N_125multi_tensor_apply_kernelINS1_18TensorListMetadataILi1EEENS1_14UnaryOpFunctorIN3c104HalfELi1ELi1ELi0EEEJNS0_5TruncIfEEEEEvT_T0_DpT1_,"axG",@progbits,_ZN2at6native12_GLOBAL__N_125multi_tensor_apply_kernelINS1_18TensorListMetadataILi1EEENS1_14UnaryOpFunctorIN3c104HalfELi1ELi1ELi0EEEJNS0_5TruncIfEEEEEvT_T0_DpT1_,comdat
.Lfunc_end271:
	.size	_ZN2at6native12_GLOBAL__N_125multi_tensor_apply_kernelINS1_18TensorListMetadataILi1EEENS1_14UnaryOpFunctorIN3c104HalfELi1ELi1ELi0EEEJNS0_5TruncIfEEEEEvT_T0_DpT1_, .Lfunc_end271-_ZN2at6native12_GLOBAL__N_125multi_tensor_apply_kernelINS1_18TensorListMetadataILi1EEENS1_14UnaryOpFunctorIN3c104HalfELi1ELi1ELi0EEEJNS0_5TruncIfEEEEEvT_T0_DpT1_
                                        ; -- End function
	.set _ZN2at6native12_GLOBAL__N_125multi_tensor_apply_kernelINS1_18TensorListMetadataILi1EEENS1_14UnaryOpFunctorIN3c104HalfELi1ELi1ELi0EEEJNS0_5TruncIfEEEEEvT_T0_DpT1_.num_vgpr, 28
	.set _ZN2at6native12_GLOBAL__N_125multi_tensor_apply_kernelINS1_18TensorListMetadataILi1EEENS1_14UnaryOpFunctorIN3c104HalfELi1ELi1ELi0EEEJNS0_5TruncIfEEEEEvT_T0_DpT1_.num_agpr, 0
	.set _ZN2at6native12_GLOBAL__N_125multi_tensor_apply_kernelINS1_18TensorListMetadataILi1EEENS1_14UnaryOpFunctorIN3c104HalfELi1ELi1ELi0EEEJNS0_5TruncIfEEEEEvT_T0_DpT1_.numbered_sgpr, 20
	.set _ZN2at6native12_GLOBAL__N_125multi_tensor_apply_kernelINS1_18TensorListMetadataILi1EEENS1_14UnaryOpFunctorIN3c104HalfELi1ELi1ELi0EEEJNS0_5TruncIfEEEEEvT_T0_DpT1_.num_named_barrier, 0
	.set _ZN2at6native12_GLOBAL__N_125multi_tensor_apply_kernelINS1_18TensorListMetadataILi1EEENS1_14UnaryOpFunctorIN3c104HalfELi1ELi1ELi0EEEJNS0_5TruncIfEEEEEvT_T0_DpT1_.private_seg_size, 0
	.set _ZN2at6native12_GLOBAL__N_125multi_tensor_apply_kernelINS1_18TensorListMetadataILi1EEENS1_14UnaryOpFunctorIN3c104HalfELi1ELi1ELi0EEEJNS0_5TruncIfEEEEEvT_T0_DpT1_.uses_vcc, 1
	.set _ZN2at6native12_GLOBAL__N_125multi_tensor_apply_kernelINS1_18TensorListMetadataILi1EEENS1_14UnaryOpFunctorIN3c104HalfELi1ELi1ELi0EEEJNS0_5TruncIfEEEEEvT_T0_DpT1_.uses_flat_scratch, 0
	.set _ZN2at6native12_GLOBAL__N_125multi_tensor_apply_kernelINS1_18TensorListMetadataILi1EEENS1_14UnaryOpFunctorIN3c104HalfELi1ELi1ELi0EEEJNS0_5TruncIfEEEEEvT_T0_DpT1_.has_dyn_sized_stack, 0
	.set _ZN2at6native12_GLOBAL__N_125multi_tensor_apply_kernelINS1_18TensorListMetadataILi1EEENS1_14UnaryOpFunctorIN3c104HalfELi1ELi1ELi0EEEJNS0_5TruncIfEEEEEvT_T0_DpT1_.has_recursion, 0
	.set _ZN2at6native12_GLOBAL__N_125multi_tensor_apply_kernelINS1_18TensorListMetadataILi1EEENS1_14UnaryOpFunctorIN3c104HalfELi1ELi1ELi0EEEJNS0_5TruncIfEEEEEvT_T0_DpT1_.has_indirect_call, 0
	.section	.AMDGPU.csdata,"",@progbits
; Kernel info:
; codeLenInByte = 1516
; TotalNumSgprs: 22
; NumVgprs: 28
; ScratchSize: 0
; MemoryBound: 0
; FloatMode: 240
; IeeeMode: 1
; LDSByteSize: 0 bytes/workgroup (compile time only)
; SGPRBlocks: 0
; VGPRBlocks: 1
; NumSGPRsForWavesPerEU: 22
; NumVGPRsForWavesPerEU: 28
; NamedBarCnt: 0
; Occupancy: 16
; WaveLimiterHint : 0
; COMPUTE_PGM_RSRC2:SCRATCH_EN: 0
; COMPUTE_PGM_RSRC2:USER_SGPR: 2
; COMPUTE_PGM_RSRC2:TRAP_HANDLER: 0
; COMPUTE_PGM_RSRC2:TGID_X_EN: 1
; COMPUTE_PGM_RSRC2:TGID_Y_EN: 0
; COMPUTE_PGM_RSRC2:TGID_Z_EN: 0
; COMPUTE_PGM_RSRC2:TIDIG_COMP_CNT: 0
	.section	.text._ZN2at6native12_GLOBAL__N_125multi_tensor_apply_kernelINS1_18TensorListMetadataILi1EEENS1_14UnaryOpFunctorIN3c108BFloat16ELi1ELi1ELi0EEEJNS0_5TruncIfEEEEEvT_T0_DpT1_,"axG",@progbits,_ZN2at6native12_GLOBAL__N_125multi_tensor_apply_kernelINS1_18TensorListMetadataILi1EEENS1_14UnaryOpFunctorIN3c108BFloat16ELi1ELi1ELi0EEEJNS0_5TruncIfEEEEEvT_T0_DpT1_,comdat
	.globl	_ZN2at6native12_GLOBAL__N_125multi_tensor_apply_kernelINS1_18TensorListMetadataILi1EEENS1_14UnaryOpFunctorIN3c108BFloat16ELi1ELi1ELi0EEEJNS0_5TruncIfEEEEEvT_T0_DpT1_ ; -- Begin function _ZN2at6native12_GLOBAL__N_125multi_tensor_apply_kernelINS1_18TensorListMetadataILi1EEENS1_14UnaryOpFunctorIN3c108BFloat16ELi1ELi1ELi0EEEJNS0_5TruncIfEEEEEvT_T0_DpT1_
	.p2align	8
	.type	_ZN2at6native12_GLOBAL__N_125multi_tensor_apply_kernelINS1_18TensorListMetadataILi1EEENS1_14UnaryOpFunctorIN3c108BFloat16ELi1ELi1ELi0EEEJNS0_5TruncIfEEEEEvT_T0_DpT1_,@function
_ZN2at6native12_GLOBAL__N_125multi_tensor_apply_kernelINS1_18TensorListMetadataILi1EEENS1_14UnaryOpFunctorIN3c108BFloat16ELi1ELi1ELi0EEEJNS0_5TruncIfEEEEEvT_T0_DpT1_: ; @_ZN2at6native12_GLOBAL__N_125multi_tensor_apply_kernelINS1_18TensorListMetadataILi1EEENS1_14UnaryOpFunctorIN3c108BFloat16ELi1ELi1ELi0EEEJNS0_5TruncIfEEEEEvT_T0_DpT1_
; %bb.0:
	s_bfe_u32 s2, ttmp6, 0x4000c
	s_and_b32 s3, ttmp6, 15
	s_add_co_i32 s2, s2, 1
	s_getreg_b32 s4, hwreg(HW_REG_IB_STS2, 6, 4)
	s_mul_i32 s2, ttmp9, s2
	s_delay_alu instid0(SALU_CYCLE_1)
	s_add_co_i32 s3, s3, s2
	s_cmp_eq_u32 s4, 0
	s_cselect_b32 s2, ttmp9, s3
	s_mov_b32 s3, 0
	s_load_u8 s8, s[0:1], s2 offset:0x6e0
	s_add_nc_u64 s[4:5], s[0:1], s[2:3]
	s_mul_u64 s[6:7], s[2:3], 3
	s_delay_alu instid0(SALU_CYCLE_1)
	s_add_nc_u64 s[4:5], s[4:5], s[6:7]
	s_load_b32 s10, s[4:5], 0x820
	s_wait_kmcnt 0x0
	s_clause 0x1
	s_load_b64 s[6:7], s[0:1], s8 offset:0x0 scale_offset
	s_load_b64 s[12:13], s[0:1], s8 offset:0x370 scale_offset
	s_ashr_i32 s11, s10, 31
	s_wait_kmcnt 0x0
	s_and_b64 s[4:5], s[6:7], 7
	s_and_b32 s2, s12, 3
	s_lshl_b64 s[8:9], s[10:11], 17
	s_or_b64 s[2:3], s[4:5], s[2:3]
	s_lshl_b64 s[4:5], s[10:11], 16
	s_cmp_eq_u64 s[2:3], 0
	s_sub_nc_u64 s[10:11], s[12:13], s[4:5]
	s_cbranch_scc1 .LBB272_21
; %bb.1:
	v_cmp_lt_i64_e64 s2, s[10:11], 1
	s_and_b32 vcc_lo, exec_lo, s2
	s_cbranch_vccnz .LBB272_20
; %bb.2:
	s_load_b32 s2, s[0:1], 0xd3c
	v_min_i64 v[2:3], 0x10000, s[10:11]
	v_min_u64 v[4:5], 0x10000, s[10:11]
	v_dual_mov_b32 v1, 0 :: v_dual_lshlrev_b32 v8, 1, v0
	s_mov_b32 s3, 0
	s_add_nc_u64 s[4:5], s[6:7], s[8:9]
	s_mov_b32 s15, s3
	s_delay_alu instid0(VALU_DEP_1)
	v_mov_b32_e32 v15, v1
	s_mov_b32 s17, s3
	s_mov_b32 s13, s3
	s_mov_b64 s[18:19], 0
	s_wait_kmcnt 0x0
	s_and_b32 s2, s2, 0xffff
	s_delay_alu instid0(SALU_CYCLE_1)
	v_add_nc_u64_e32 v[6:7], s[2:3], v[0:1]
	v_mov_b32_e32 v9, v1
	s_lshl_b32 s14, s2, 1
	s_mul_i32 s16, s2, 3
	v_add_nc_u64_e32 v[12:13], s[14:15], v[0:1]
	v_add_nc_u64_e32 v[10:11], s[16:17], v[0:1]
	s_lshl_b32 s12, s2, 2
	v_lshlrev_b32_e32 v14, 1, v6
	v_add_nc_u64_e32 v[8:9], s[4:5], v[8:9]
	s_lshl_b32 s14, s2, 3
	s_mul_u64 s[16:17], s[2:3], 6
	s_delay_alu instid0(VALU_DEP_2)
	v_add_nc_u64_e32 v[14:15], s[4:5], v[14:15]
	s_branch .LBB272_4
.LBB272_3:                              ;   in Loop: Header=BB272_4 Depth=1
	s_wait_xcnt 0x0
	s_or_b32 exec_lo, exec_lo, s2
	s_add_nc_u64 s[18:19], s[18:19], s[12:13]
	v_add_nc_u64_e32 v[8:9], s[14:15], v[8:9]
	v_cmp_lt_i64_e32 vcc_lo, s[18:19], v[2:3]
	v_add_nc_u64_e32 v[14:15], s[14:15], v[14:15]
	s_cbranch_vccz .LBB272_20
.LBB272_4:                              ; =>This Inner Loop Header: Depth=1
	v_add_nc_u64_e32 v[16:17], s[18:19], v[0:1]
	v_mov_b32_e32 v21, 0
	s_delay_alu instid0(VALU_DEP_2)
	v_cmp_lt_u64_e64 s4, v[16:17], v[4:5]
	s_and_saveexec_b32 s2, s4
	s_cbranch_execz .LBB272_6
; %bb.5:                                ;   in Loop: Header=BB272_4 Depth=1
	global_load_u16 v16, v[8:9], off
	s_wait_loadcnt 0x0
	v_lshlrev_b32_e32 v21, 16, v16
.LBB272_6:                              ;   in Loop: Header=BB272_4 Depth=1
	s_wait_xcnt 0x0
	s_or_b32 exec_lo, exec_lo, s2
	v_add_nc_u64_e32 v[16:17], s[18:19], v[6:7]
	v_dual_mov_b32 v20, 0 :: v_dual_mov_b32 v22, 0
	s_delay_alu instid0(VALU_DEP_2)
	v_cmp_lt_u64_e32 vcc_lo, v[16:17], v[4:5]
	s_and_saveexec_b32 s2, vcc_lo
	s_cbranch_execz .LBB272_8
; %bb.7:                                ;   in Loop: Header=BB272_4 Depth=1
	global_load_u16 v16, v[14:15], off
	s_wait_loadcnt 0x0
	v_lshlrev_b32_e32 v22, 16, v16
.LBB272_8:                              ;   in Loop: Header=BB272_4 Depth=1
	s_wait_xcnt 0x0
	s_or_b32 exec_lo, exec_lo, s2
	v_add_nc_u64_e32 v[16:17], s[18:19], v[12:13]
	s_delay_alu instid0(VALU_DEP_1)
	v_cmp_lt_u64_e64 s2, v[16:17], v[4:5]
	v_add_nc_u64_e32 v[16:17], s[12:13], v[8:9]
	s_and_saveexec_b32 s3, s2
	s_cbranch_execz .LBB272_10
; %bb.9:                                ;   in Loop: Header=BB272_4 Depth=1
	global_load_u16 v18, v[16:17], off
	s_wait_loadcnt 0x0
	v_lshlrev_b32_e32 v20, 16, v18
.LBB272_10:                             ;   in Loop: Header=BB272_4 Depth=1
	s_wait_xcnt 0x0
	s_or_b32 exec_lo, exec_lo, s3
	v_add_nc_u64_e32 v[18:19], s[18:19], v[10:11]
	v_mov_b32_e32 v23, 0
	s_delay_alu instid0(VALU_DEP_2)
	v_cmp_lt_u64_e64 s3, v[18:19], v[4:5]
	v_add_nc_u64_e32 v[18:19], s[16:17], v[8:9]
	s_and_saveexec_b32 s5, s3
	s_cbranch_execnz .LBB272_15
; %bb.11:                               ;   in Loop: Header=BB272_4 Depth=1
	s_or_b32 exec_lo, exec_lo, s5
	s_and_saveexec_b32 s5, s4
	s_cbranch_execnz .LBB272_16
.LBB272_12:                             ;   in Loop: Header=BB272_4 Depth=1
	s_or_b32 exec_lo, exec_lo, s5
	s_and_saveexec_b32 s4, vcc_lo
	s_cbranch_execnz .LBB272_17
.LBB272_13:                             ;   in Loop: Header=BB272_4 Depth=1
	s_or_b32 exec_lo, exec_lo, s4
	s_and_saveexec_b32 s4, s2
	s_cbranch_execnz .LBB272_18
.LBB272_14:                             ;   in Loop: Header=BB272_4 Depth=1
	s_or_b32 exec_lo, exec_lo, s4
	s_and_saveexec_b32 s2, s3
	s_cbranch_execz .LBB272_3
	s_branch .LBB272_19
.LBB272_15:                             ;   in Loop: Header=BB272_4 Depth=1
	global_load_u16 v23, v[18:19], off
	s_wait_loadcnt 0x0
	v_lshlrev_b32_e32 v23, 16, v23
	s_wait_xcnt 0x0
	s_or_b32 exec_lo, exec_lo, s5
	s_and_saveexec_b32 s5, s4
	s_cbranch_execz .LBB272_12
.LBB272_16:                             ;   in Loop: Header=BB272_4 Depth=1
	v_trunc_f32_e32 v24, v21
	s_delay_alu instid0(VALU_DEP_1) | instskip(NEXT) | instid1(VALU_DEP_1)
	v_sub_f32_e32 v21, v21, v24
	v_bfe_u32 v24, v21, 16, 1
	s_delay_alu instid0(VALU_DEP_1) | instskip(NEXT) | instid1(VALU_DEP_1)
	v_add3_u32 v24, v21, v24, 0x7fff
	v_lshrrev_b32_e32 v24, 16, v24
	v_cmp_o_f32_e64 s4, v21, v21
	s_delay_alu instid0(VALU_DEP_1)
	v_cndmask_b32_e64 v21, 0x7fc0, v24, s4
	global_store_b16 v[8:9], v21, off
	s_wait_xcnt 0x0
	s_or_b32 exec_lo, exec_lo, s5
	s_and_saveexec_b32 s4, vcc_lo
	s_cbranch_execz .LBB272_13
.LBB272_17:                             ;   in Loop: Header=BB272_4 Depth=1
	v_trunc_f32_e32 v21, v22
	s_delay_alu instid0(VALU_DEP_1) | instskip(NEXT) | instid1(VALU_DEP_1)
	v_sub_f32_e32 v21, v22, v21
	v_bfe_u32 v22, v21, 16, 1
	s_delay_alu instid0(VALU_DEP_1) | instskip(NEXT) | instid1(VALU_DEP_1)
	v_add3_u32 v22, v21, v22, 0x7fff
	v_lshrrev_b32_e32 v22, 16, v22
	v_cmp_o_f32_e32 vcc_lo, v21, v21
	s_delay_alu instid0(VALU_DEP_2)
	v_cndmask_b32_e32 v21, 0x7fc0, v22, vcc_lo
	global_store_b16 v[14:15], v21, off
	s_wait_xcnt 0x0
	s_or_b32 exec_lo, exec_lo, s4
	s_and_saveexec_b32 s4, s2
	s_cbranch_execz .LBB272_14
.LBB272_18:                             ;   in Loop: Header=BB272_4 Depth=1
	v_trunc_f32_e32 v21, v20
	s_delay_alu instid0(VALU_DEP_1) | instskip(NEXT) | instid1(VALU_DEP_1)
	v_sub_f32_e32 v20, v20, v21
	v_bfe_u32 v21, v20, 16, 1
	s_delay_alu instid0(VALU_DEP_1) | instskip(NEXT) | instid1(VALU_DEP_1)
	v_add3_u32 v21, v20, v21, 0x7fff
	v_lshrrev_b32_e32 v21, 16, v21
	v_cmp_o_f32_e32 vcc_lo, v20, v20
	s_delay_alu instid0(VALU_DEP_2)
	v_cndmask_b32_e32 v20, 0x7fc0, v21, vcc_lo
	global_store_b16 v[16:17], v20, off
	s_wait_xcnt 0x0
	s_or_b32 exec_lo, exec_lo, s4
	s_and_saveexec_b32 s2, s3
	s_cbranch_execz .LBB272_3
.LBB272_19:                             ;   in Loop: Header=BB272_4 Depth=1
	v_trunc_f32_e32 v16, v23
	s_delay_alu instid0(VALU_DEP_1) | instskip(NEXT) | instid1(VALU_DEP_1)
	v_sub_f32_e32 v16, v23, v16
	v_bfe_u32 v17, v16, 16, 1
	s_delay_alu instid0(VALU_DEP_1) | instskip(NEXT) | instid1(VALU_DEP_1)
	v_add3_u32 v17, v16, v17, 0x7fff
	v_lshrrev_b32_e32 v17, 16, v17
	v_cmp_o_f32_e32 vcc_lo, v16, v16
	s_delay_alu instid0(VALU_DEP_2)
	v_cndmask_b32_e32 v16, 0x7fc0, v17, vcc_lo
	global_store_b16 v[18:19], v16, off
	s_branch .LBB272_3
.LBB272_20:
	s_cbranch_execz .LBB272_22
	s_branch .LBB272_25
.LBB272_21:
.LBB272_22:
	v_min_i64 v[2:3], 0x10000, s[10:11]
	v_dual_mov_b32 v5, 0 :: v_dual_lshlrev_b32 v4, 2, v0
	s_mov_b32 s2, exec_lo
	s_delay_alu instid0(VALU_DEP_1)
	v_cmpx_lt_i64_e64 v[4:5], v[2:3]
	s_cbranch_execz .LBB272_25
; %bb.23:
	s_load_b32 s2, s[0:1], 0xd3c
	v_dual_mov_b32 v1, v5 :: v_dual_lshlrev_b32 v4, 3, v0
	s_wait_xcnt 0x0
	s_add_nc_u64 s[0:1], s[6:7], s[8:9]
	s_delay_alu instid0(VALU_DEP_1) | instid1(SALU_CYCLE_1)
	v_add_nc_u64_e32 v[4:5], s[0:1], v[4:5]
	s_mov_b32 s1, 0
	s_delay_alu instid0(SALU_CYCLE_1) | instskip(SKIP_3) | instid1(SALU_CYCLE_1)
	s_mov_b32 s3, s1
	s_mov_b32 s4, s1
	s_wait_kmcnt 0x0
	s_and_b32 s0, s2, 0xffff
	s_lshl_b32 s2, s0, 3
.LBB272_24:                             ; =>This Inner Loop Header: Depth=1
	global_load_b64 v[6:7], v[4:5], off
	v_add_nc_u64_e32 v[0:1], s[0:1], v[0:1]
	s_wait_loadcnt 0x0
	v_alignbit_b32 v10, v7, v6, 16
	v_lshlrev_b32_e32 v9, 16, v6
	v_and_b32_e32 v8, 0xffff0000, v6
	v_and_b32_e32 v6, 0xffff0000, v7
	s_delay_alu instid0(VALU_DEP_4) | instskip(NEXT) | instid1(VALU_DEP_4)
	v_and_b32_e32 v7, 0xffff0000, v10
	v_trunc_f32_e32 v11, v9
	s_delay_alu instid0(VALU_DEP_4) | instskip(NEXT) | instid1(VALU_DEP_4)
	v_trunc_f32_e32 v10, v8
	v_trunc_f32_e32 v12, v6
	s_delay_alu instid0(VALU_DEP_4) | instskip(NEXT) | instid1(VALU_DEP_3)
	v_trunc_f32_e32 v13, v7
	v_pk_add_f32 v[8:9], v[8:9], v[10:11] neg_lo:[0,1] neg_hi:[0,1]
	s_delay_alu instid0(VALU_DEP_2) | instskip(NEXT) | instid1(VALU_DEP_2)
	v_pk_add_f32 v[6:7], v[6:7], v[12:13] neg_lo:[0,1] neg_hi:[0,1]
	v_bfe_u32 v10, v8, 16, 1
	s_delay_alu instid0(VALU_DEP_3) | instskip(SKIP_1) | instid1(VALU_DEP_4)
	v_bfe_u32 v11, v9, 16, 1
	v_cmp_o_f32_e32 vcc_lo, v8, v8
	v_bfe_u32 v12, v7, 16, 1
	v_bfe_u32 v13, v6, 16, 1
	v_add3_u32 v10, v8, v10, 0x7fff
	v_add3_u32 v11, v9, v11, 0x7fff
	s_delay_alu instid0(VALU_DEP_4) | instskip(NEXT) | instid1(VALU_DEP_4)
	v_add3_u32 v12, v7, v12, 0x7fff
	v_add3_u32 v13, v6, v13, 0x7fff
	s_delay_alu instid0(VALU_DEP_4) | instskip(NEXT) | instid1(VALU_DEP_4)
	v_and_b32_e32 v10, 0xffff0000, v10
	v_lshrrev_b32_e32 v11, 16, v11
	s_delay_alu instid0(VALU_DEP_3) | instskip(NEXT) | instid1(VALU_DEP_3)
	v_and_b32_e32 v13, 0xffff0000, v13
	v_cndmask_b32_e32 v8, 0x7fc00000, v10, vcc_lo
	v_cmp_o_f32_e32 vcc_lo, v9, v9
	s_delay_alu instid0(VALU_DEP_4) | instskip(SKIP_1) | instid1(VALU_DEP_2)
	v_dual_cndmask_b32 v9, 0x7fc0, v11 :: v_dual_lshrrev_b32 v12, 16, v12
	v_cmp_o_f32_e32 vcc_lo, v6, v6
	v_or_b32_e32 v8, v9, v8
	v_cndmask_b32_e32 v10, 0x7fc00000, v13, vcc_lo
	v_cmp_o_f32_e32 vcc_lo, v7, v7
	v_lshlrev_b64_e32 v[6:7], 2, v[0:1]
	s_delay_alu instid0(VALU_DEP_4) | instskip(SKIP_1) | instid1(VALU_DEP_3)
	v_or3_b32 v8, v8, 0, 0
	v_cndmask_b32_e32 v11, 0x7fc0, v12, vcc_lo
	v_cmp_ge_i64_e32 vcc_lo, v[6:7], v[2:3]
	s_delay_alu instid0(VALU_DEP_2) | instskip(SKIP_4) | instid1(SALU_CYCLE_1)
	v_or3_b32 v9, 0, v11, v10
	global_store_b64 v[4:5], v[8:9], off
	s_wait_xcnt 0x0
	v_add_nc_u64_e32 v[4:5], s[2:3], v[4:5]
	s_or_b32 s4, vcc_lo, s4
	s_and_not1_b32 exec_lo, exec_lo, s4
	s_cbranch_execnz .LBB272_24
.LBB272_25:
	s_endpgm
	.section	.rodata,"a",@progbits
	.p2align	6, 0x0
	.amdhsa_kernel _ZN2at6native12_GLOBAL__N_125multi_tensor_apply_kernelINS1_18TensorListMetadataILi1EEENS1_14UnaryOpFunctorIN3c108BFloat16ELi1ELi1ELi0EEEJNS0_5TruncIfEEEEEvT_T0_DpT1_
		.amdhsa_group_segment_fixed_size 0
		.amdhsa_private_segment_fixed_size 0
		.amdhsa_kernarg_size 3632
		.amdhsa_user_sgpr_count 2
		.amdhsa_user_sgpr_dispatch_ptr 0
		.amdhsa_user_sgpr_queue_ptr 0
		.amdhsa_user_sgpr_kernarg_segment_ptr 1
		.amdhsa_user_sgpr_dispatch_id 0
		.amdhsa_user_sgpr_kernarg_preload_length 0
		.amdhsa_user_sgpr_kernarg_preload_offset 0
		.amdhsa_user_sgpr_private_segment_size 0
		.amdhsa_wavefront_size32 1
		.amdhsa_uses_dynamic_stack 0
		.amdhsa_enable_private_segment 0
		.amdhsa_system_sgpr_workgroup_id_x 1
		.amdhsa_system_sgpr_workgroup_id_y 0
		.amdhsa_system_sgpr_workgroup_id_z 0
		.amdhsa_system_sgpr_workgroup_info 0
		.amdhsa_system_vgpr_workitem_id 0
		.amdhsa_next_free_vgpr 25
		.amdhsa_next_free_sgpr 20
		.amdhsa_named_barrier_count 0
		.amdhsa_reserve_vcc 1
		.amdhsa_float_round_mode_32 0
		.amdhsa_float_round_mode_16_64 0
		.amdhsa_float_denorm_mode_32 3
		.amdhsa_float_denorm_mode_16_64 3
		.amdhsa_fp16_overflow 0
		.amdhsa_memory_ordered 1
		.amdhsa_forward_progress 1
		.amdhsa_inst_pref_size 12
		.amdhsa_round_robin_scheduling 0
		.amdhsa_exception_fp_ieee_invalid_op 0
		.amdhsa_exception_fp_denorm_src 0
		.amdhsa_exception_fp_ieee_div_zero 0
		.amdhsa_exception_fp_ieee_overflow 0
		.amdhsa_exception_fp_ieee_underflow 0
		.amdhsa_exception_fp_ieee_inexact 0
		.amdhsa_exception_int_div_zero 0
	.end_amdhsa_kernel
	.section	.text._ZN2at6native12_GLOBAL__N_125multi_tensor_apply_kernelINS1_18TensorListMetadataILi1EEENS1_14UnaryOpFunctorIN3c108BFloat16ELi1ELi1ELi0EEEJNS0_5TruncIfEEEEEvT_T0_DpT1_,"axG",@progbits,_ZN2at6native12_GLOBAL__N_125multi_tensor_apply_kernelINS1_18TensorListMetadataILi1EEENS1_14UnaryOpFunctorIN3c108BFloat16ELi1ELi1ELi0EEEJNS0_5TruncIfEEEEEvT_T0_DpT1_,comdat
.Lfunc_end272:
	.size	_ZN2at6native12_GLOBAL__N_125multi_tensor_apply_kernelINS1_18TensorListMetadataILi1EEENS1_14UnaryOpFunctorIN3c108BFloat16ELi1ELi1ELi0EEEJNS0_5TruncIfEEEEEvT_T0_DpT1_, .Lfunc_end272-_ZN2at6native12_GLOBAL__N_125multi_tensor_apply_kernelINS1_18TensorListMetadataILi1EEENS1_14UnaryOpFunctorIN3c108BFloat16ELi1ELi1ELi0EEEJNS0_5TruncIfEEEEEvT_T0_DpT1_
                                        ; -- End function
	.set _ZN2at6native12_GLOBAL__N_125multi_tensor_apply_kernelINS1_18TensorListMetadataILi1EEENS1_14UnaryOpFunctorIN3c108BFloat16ELi1ELi1ELi0EEEJNS0_5TruncIfEEEEEvT_T0_DpT1_.num_vgpr, 25
	.set _ZN2at6native12_GLOBAL__N_125multi_tensor_apply_kernelINS1_18TensorListMetadataILi1EEENS1_14UnaryOpFunctorIN3c108BFloat16ELi1ELi1ELi0EEEJNS0_5TruncIfEEEEEvT_T0_DpT1_.num_agpr, 0
	.set _ZN2at6native12_GLOBAL__N_125multi_tensor_apply_kernelINS1_18TensorListMetadataILi1EEENS1_14UnaryOpFunctorIN3c108BFloat16ELi1ELi1ELi0EEEJNS0_5TruncIfEEEEEvT_T0_DpT1_.numbered_sgpr, 20
	.set _ZN2at6native12_GLOBAL__N_125multi_tensor_apply_kernelINS1_18TensorListMetadataILi1EEENS1_14UnaryOpFunctorIN3c108BFloat16ELi1ELi1ELi0EEEJNS0_5TruncIfEEEEEvT_T0_DpT1_.num_named_barrier, 0
	.set _ZN2at6native12_GLOBAL__N_125multi_tensor_apply_kernelINS1_18TensorListMetadataILi1EEENS1_14UnaryOpFunctorIN3c108BFloat16ELi1ELi1ELi0EEEJNS0_5TruncIfEEEEEvT_T0_DpT1_.private_seg_size, 0
	.set _ZN2at6native12_GLOBAL__N_125multi_tensor_apply_kernelINS1_18TensorListMetadataILi1EEENS1_14UnaryOpFunctorIN3c108BFloat16ELi1ELi1ELi0EEEJNS0_5TruncIfEEEEEvT_T0_DpT1_.uses_vcc, 1
	.set _ZN2at6native12_GLOBAL__N_125multi_tensor_apply_kernelINS1_18TensorListMetadataILi1EEENS1_14UnaryOpFunctorIN3c108BFloat16ELi1ELi1ELi0EEEJNS0_5TruncIfEEEEEvT_T0_DpT1_.uses_flat_scratch, 0
	.set _ZN2at6native12_GLOBAL__N_125multi_tensor_apply_kernelINS1_18TensorListMetadataILi1EEENS1_14UnaryOpFunctorIN3c108BFloat16ELi1ELi1ELi0EEEJNS0_5TruncIfEEEEEvT_T0_DpT1_.has_dyn_sized_stack, 0
	.set _ZN2at6native12_GLOBAL__N_125multi_tensor_apply_kernelINS1_18TensorListMetadataILi1EEENS1_14UnaryOpFunctorIN3c108BFloat16ELi1ELi1ELi0EEEJNS0_5TruncIfEEEEEvT_T0_DpT1_.has_recursion, 0
	.set _ZN2at6native12_GLOBAL__N_125multi_tensor_apply_kernelINS1_18TensorListMetadataILi1EEENS1_14UnaryOpFunctorIN3c108BFloat16ELi1ELi1ELi0EEEJNS0_5TruncIfEEEEEvT_T0_DpT1_.has_indirect_call, 0
	.section	.AMDGPU.csdata,"",@progbits
; Kernel info:
; codeLenInByte = 1412
; TotalNumSgprs: 22
; NumVgprs: 25
; ScratchSize: 0
; MemoryBound: 0
; FloatMode: 240
; IeeeMode: 1
; LDSByteSize: 0 bytes/workgroup (compile time only)
; SGPRBlocks: 0
; VGPRBlocks: 1
; NumSGPRsForWavesPerEU: 22
; NumVGPRsForWavesPerEU: 25
; NamedBarCnt: 0
; Occupancy: 16
; WaveLimiterHint : 0
; COMPUTE_PGM_RSRC2:SCRATCH_EN: 0
; COMPUTE_PGM_RSRC2:USER_SGPR: 2
; COMPUTE_PGM_RSRC2:TRAP_HANDLER: 0
; COMPUTE_PGM_RSRC2:TGID_X_EN: 1
; COMPUTE_PGM_RSRC2:TGID_Y_EN: 0
; COMPUTE_PGM_RSRC2:TGID_Z_EN: 0
; COMPUTE_PGM_RSRC2:TIDIG_COMP_CNT: 0
	.section	.text._ZN2at6native12_GLOBAL__N_125multi_tensor_apply_kernelINS1_18TensorListMetadataILi2EEENS1_14UnaryOpFunctorIdLi2ELi1ELi1EEEJNS0_10ReciprocalIdEEEEEvT_T0_DpT1_,"axG",@progbits,_ZN2at6native12_GLOBAL__N_125multi_tensor_apply_kernelINS1_18TensorListMetadataILi2EEENS1_14UnaryOpFunctorIdLi2ELi1ELi1EEEJNS0_10ReciprocalIdEEEEEvT_T0_DpT1_,comdat
	.globl	_ZN2at6native12_GLOBAL__N_125multi_tensor_apply_kernelINS1_18TensorListMetadataILi2EEENS1_14UnaryOpFunctorIdLi2ELi1ELi1EEEJNS0_10ReciprocalIdEEEEEvT_T0_DpT1_ ; -- Begin function _ZN2at6native12_GLOBAL__N_125multi_tensor_apply_kernelINS1_18TensorListMetadataILi2EEENS1_14UnaryOpFunctorIdLi2ELi1ELi1EEEJNS0_10ReciprocalIdEEEEEvT_T0_DpT1_
	.p2align	8
	.type	_ZN2at6native12_GLOBAL__N_125multi_tensor_apply_kernelINS1_18TensorListMetadataILi2EEENS1_14UnaryOpFunctorIdLi2ELi1ELi1EEEJNS0_10ReciprocalIdEEEEEvT_T0_DpT1_,@function
_ZN2at6native12_GLOBAL__N_125multi_tensor_apply_kernelINS1_18TensorListMetadataILi2EEENS1_14UnaryOpFunctorIdLi2ELi1ELi1EEEJNS0_10ReciprocalIdEEEEEvT_T0_DpT1_: ; @_ZN2at6native12_GLOBAL__N_125multi_tensor_apply_kernelINS1_18TensorListMetadataILi2EEENS1_14UnaryOpFunctorIdLi2ELi1ELi1EEEJNS0_10ReciprocalIdEEEEEvT_T0_DpT1_
; %bb.0:
	s_bfe_u32 s2, ttmp6, 0x4000c
	s_and_b32 s3, ttmp6, 15
	s_add_co_i32 s2, s2, 1
	s_getreg_b32 s4, hwreg(HW_REG_IB_STS2, 6, 4)
	s_mul_i32 s2, ttmp9, s2
	s_delay_alu instid0(SALU_CYCLE_1)
	s_add_co_i32 s3, s3, s2
	s_cmp_eq_u32 s4, 0
	s_cselect_b32 s2, ttmp9, s3
	s_mov_b32 s3, 0
	s_load_u8 s8, s[0:1], s2 offset:0x600
	s_add_nc_u64 s[4:5], s[0:1], s[2:3]
	s_mul_u64 s[6:7], s[2:3], 3
	s_delay_alu instid0(SALU_CYCLE_1)
	s_add_nc_u64 s[4:5], s[4:5], s[6:7]
	s_load_b32 s14, s[4:5], 0x740
	s_wait_kmcnt 0x0
	s_clause 0x3
	s_load_b64 s[10:11], s[0:1], s8 offset:0x0 scale_offset
	s_load_b64 s[12:13], s[0:1], s8 offset:0x200 scale_offset
	;; [unrolled: 1-line block ×3, first 2 shown]
	s_load_b64 s[6:7], s[0:1], 0xc50
	s_mov_b32 s5, s3
	s_ashr_i32 s15, s14, 31
	s_wait_xcnt 0x0
	s_lshl_b64 s[8:9], s[14:15], 19
	s_wait_kmcnt 0x0
	s_and_b64 s[20:21], s[12:13], 31
	s_add_nc_u64 s[18:19], s[10:11], s[8:9]
	s_and_b32 s4, s16, 3
	s_and_b32 s2, s18, 31
	s_or_b64 s[4:5], s[20:21], s[4:5]
	s_lshl_b64 s[14:15], s[14:15], 16
	s_or_b64 s[2:3], s[4:5], s[2:3]
	s_sub_nc_u64 s[14:15], s[16:17], s[14:15]
	s_cmp_eq_u64 s[2:3], 0
	s_mov_b32 s2, -1
	s_cbranch_scc0 .LBB273_5
; %bb.1:
	v_min_i64 v[2:3], 0x10000, s[14:15]
	v_dual_mov_b32 v5, 0 :: v_dual_lshlrev_b32 v4, 2, v0
	s_mov_b32 s5, exec_lo
	s_delay_alu instid0(VALU_DEP_1)
	v_cmpx_lt_i64_e64 v[4:5], v[2:3]
	s_cbranch_execz .LBB273_4
; %bb.2:
	s_load_b32 s2, s[0:1], 0xc64
	v_dual_mov_b32 v1, v5 :: v_dual_lshlrev_b32 v4, 5, v0
	s_mov_b32 s17, 0
	s_delay_alu instid0(SALU_CYCLE_1) | instskip(NEXT) | instid1(VALU_DEP_1)
	s_mov_b32 s19, s17
	v_add_nc_u64_e32 v[4:5], s[8:9], v[4:5]
	s_delay_alu instid0(VALU_DEP_2) | instskip(SKIP_3) | instid1(SALU_CYCLE_1)
	v_mov_b64_e32 v[6:7], v[0:1]
	s_mov_b32 s20, s17
	s_wait_kmcnt 0x0
	s_and_b32 s16, s2, 0xffff
	s_lshl_b32 s18, s16, 5
.LBB273_3:                              ; =>This Inner Loop Header: Depth=1
	s_delay_alu instid0(VALU_DEP_2) | instskip(NEXT) | instid1(VALU_DEP_2)
	v_add_nc_u64_e32 v[16:17], s[10:11], v[4:5]
	v_add_nc_u64_e32 v[6:7], s[16:17], v[6:7]
	s_clause 0x1
	global_load_b128 v[8:11], v[16:17], off
	global_load_b128 v[12:15], v[16:17], off offset:16
	s_wait_loadcnt 0x1
	s_wait_xcnt 0x0
	v_div_scale_f64 v[16:17], null, v[8:9], v[8:9], s[6:7]
	v_div_scale_f64 v[18:19], null, v[10:11], v[10:11], s[6:7]
	s_wait_loadcnt 0x0
	v_div_scale_f64 v[20:21], null, v[12:13], v[12:13], s[6:7]
	v_div_scale_f64 v[22:23], null, v[14:15], v[14:15], s[6:7]
	v_div_scale_f64 v[40:41], vcc_lo, s[6:7], v[8:9], s[6:7]
	v_div_scale_f64 v[42:43], s2, s[6:7], v[10:11], s[6:7]
	v_div_scale_f64 v[44:45], s3, s[6:7], v[12:13], s[6:7]
	v_rcp_f64_e32 v[24:25], v[16:17]
	v_rcp_f64_e32 v[26:27], v[18:19]
	;; [unrolled: 1-line block ×3, first 2 shown]
	s_delay_alu instid0(VALU_DEP_4) | instskip(SKIP_1) | instid1(TRANS32_DEP_3)
	v_rcp_f64_e32 v[30:31], v[22:23]
	v_fma_f64 v[32:33], -v[16:17], v[24:25], 1.0
	v_fma_f64 v[34:35], -v[18:19], v[26:27], 1.0
	s_delay_alu instid0(TRANS32_DEP_2) | instskip(NEXT) | instid1(TRANS32_DEP_1)
	v_fma_f64 v[36:37], -v[20:21], v[28:29], 1.0
	v_fma_f64 v[38:39], -v[22:23], v[30:31], 1.0
	s_delay_alu instid0(VALU_DEP_4) | instskip(NEXT) | instid1(VALU_DEP_4)
	v_fmac_f64_e32 v[24:25], v[24:25], v[32:33]
	v_fmac_f64_e32 v[26:27], v[26:27], v[34:35]
	s_delay_alu instid0(VALU_DEP_4) | instskip(NEXT) | instid1(VALU_DEP_4)
	v_fmac_f64_e32 v[28:29], v[28:29], v[36:37]
	v_fmac_f64_e32 v[30:31], v[30:31], v[38:39]
	s_delay_alu instid0(VALU_DEP_4) | instskip(NEXT) | instid1(VALU_DEP_4)
	v_fma_f64 v[32:33], -v[16:17], v[24:25], 1.0
	v_fma_f64 v[34:35], -v[18:19], v[26:27], 1.0
	s_delay_alu instid0(VALU_DEP_4) | instskip(NEXT) | instid1(VALU_DEP_4)
	v_fma_f64 v[36:37], -v[20:21], v[28:29], 1.0
	v_fma_f64 v[38:39], -v[22:23], v[30:31], 1.0
	s_delay_alu instid0(VALU_DEP_4)
	v_fmac_f64_e32 v[24:25], v[24:25], v[32:33]
	v_div_scale_f64 v[32:33], s4, s[6:7], v[14:15], s[6:7]
	v_fmac_f64_e32 v[26:27], v[26:27], v[34:35]
	v_fmac_f64_e32 v[28:29], v[28:29], v[36:37]
	;; [unrolled: 1-line block ×3, first 2 shown]
	v_mul_f64_e32 v[34:35], v[40:41], v[24:25]
	s_delay_alu instid0(VALU_DEP_4) | instskip(NEXT) | instid1(VALU_DEP_4)
	v_mul_f64_e32 v[36:37], v[42:43], v[26:27]
	v_mul_f64_e32 v[38:39], v[44:45], v[28:29]
	s_delay_alu instid0(VALU_DEP_4) | instskip(NEXT) | instid1(VALU_DEP_4)
	v_mul_f64_e32 v[46:47], v[32:33], v[30:31]
	v_fma_f64 v[16:17], -v[16:17], v[34:35], v[40:41]
	s_delay_alu instid0(VALU_DEP_4) | instskip(NEXT) | instid1(VALU_DEP_4)
	v_fma_f64 v[18:19], -v[18:19], v[36:37], v[42:43]
	v_fma_f64 v[20:21], -v[20:21], v[38:39], v[44:45]
	s_delay_alu instid0(VALU_DEP_4) | instskip(NEXT) | instid1(VALU_DEP_4)
	v_fma_f64 v[22:23], -v[22:23], v[46:47], v[32:33]
	v_div_fmas_f64 v[16:17], v[16:17], v[24:25], v[34:35]
	s_mov_b32 vcc_lo, s2
	s_delay_alu instid0(VALU_DEP_4) | instskip(SKIP_1) | instid1(VALU_DEP_4)
	v_div_fmas_f64 v[18:19], v[18:19], v[26:27], v[36:37]
	s_mov_b32 vcc_lo, s3
	v_div_fmas_f64 v[20:21], v[20:21], v[28:29], v[38:39]
	s_mov_b32 vcc_lo, s4
	s_delay_alu instid0(VALU_DEP_4) | instskip(NEXT) | instid1(VALU_DEP_4)
	v_div_fmas_f64 v[22:23], v[22:23], v[30:31], v[46:47]
	v_div_fixup_f64 v[8:9], v[16:17], v[8:9], s[6:7]
	v_lshlrev_b64_e32 v[16:17], 2, v[6:7]
	v_div_fixup_f64 v[10:11], v[18:19], v[10:11], s[6:7]
	v_div_fixup_f64 v[12:13], v[20:21], v[12:13], s[6:7]
	s_delay_alu instid0(VALU_DEP_3)
	v_cmp_ge_i64_e32 vcc_lo, v[16:17], v[2:3]
	v_div_fixup_f64 v[14:15], v[22:23], v[14:15], s[6:7]
	v_add_nc_u64_e32 v[16:17], s[12:13], v[4:5]
	v_add_nc_u64_e32 v[4:5], s[18:19], v[4:5]
	s_clause 0x1
	global_store_b128 v[16:17], v[8:11], off
	global_store_b128 v[16:17], v[12:15], off offset:16
	s_or_b32 s20, vcc_lo, s20
	s_wait_xcnt 0x0
	s_and_not1_b32 exec_lo, exec_lo, s20
	s_cbranch_execnz .LBB273_3
.LBB273_4:
	s_or_b32 exec_lo, exec_lo, s5
	s_mov_b32 s2, 0
.LBB273_5:
	s_delay_alu instid0(SALU_CYCLE_1)
	s_and_not1_b32 vcc_lo, exec_lo, s2
	s_cbranch_vccnz .LBB273_25
; %bb.6:
	v_cmp_lt_i64_e64 s2, s[14:15], 1
	s_and_b32 vcc_lo, exec_lo, s2
	s_cbranch_vccnz .LBB273_25
; %bb.7:
	s_load_b32 s0, s[0:1], 0xc64
	v_min_i64 v[2:3], 0x10000, s[14:15]
	v_min_u64 v[4:5], 0x10000, s[14:15]
	v_dual_mov_b32 v1, 0 :: v_dual_lshlrev_b32 v10, 3, v0
	s_wait_xcnt 0x0
	s_mov_b32 s1, 0
	s_delay_alu instid0(SALU_CYCLE_1) | instskip(NEXT) | instid1(VALU_DEP_1)
	s_mov_b32 s15, s1
	v_dual_mov_b32 v11, v1 :: v_dual_mov_b32 v27, v1
	s_mov_b32 s3, s1
	s_mov_b32 s5, s1
	s_delay_alu instid0(VALU_DEP_1) | instskip(SKIP_2) | instid1(SALU_CYCLE_1)
	v_add_nc_u64_e32 v[6:7], s[10:11], v[10:11]
	s_wait_kmcnt 0x0
	s_and_b32 s0, s0, 0xffff
	v_add_nc_u64_e32 v[8:9], s[0:1], v[0:1]
	v_mad_nc_u64_u32 v[22:23], s0, 24, v[10:11]
	s_lshl_b32 s14, s0, 4
	s_mul_i32 s4, s0, 3
	v_add_nc_u64_e32 v[18:19], s[14:15], v[10:11]
	s_lshl_b32 s2, s0, 1
	v_add_nc_u64_e32 v[10:11], s[12:13], v[10:11]
	v_lshlrev_b32_e32 v26, 3, v8
	v_add_nc_u64_e32 v[12:13], s[4:5], v[0:1]
	v_add_nc_u64_e32 v[14:15], s[2:3], v[0:1]
	s_lshl_b32 s4, s0, 2
	v_add_nc_u64_e32 v[16:17], s[10:11], v[18:19]
	v_add_nc_u64_e32 v[18:19], s[12:13], v[18:19]
	;; [unrolled: 1-line block ×6, first 2 shown]
	s_lshl_b32 s10, s0, 5
	s_mov_b32 s11, s1
	s_mov_b64 s[12:13], 0
	s_branch .LBB273_9
.LBB273_8:                              ;   in Loop: Header=BB273_9 Depth=1
	s_wait_xcnt 0x0
	s_or_b32 exec_lo, exec_lo, s1
	s_add_nc_u64 s[12:13], s[12:13], s[4:5]
	v_add_nc_u64_e32 v[6:7], s[10:11], v[6:7]
	v_cmp_ge_i64_e32 vcc_lo, s[12:13], v[2:3]
	v_add_nc_u64_e32 v[10:11], s[10:11], v[10:11]
	v_add_nc_u64_e32 v[20:21], s[10:11], v[20:21]
	;; [unrolled: 1-line block ×7, first 2 shown]
	s_cbranch_vccnz .LBB273_25
.LBB273_9:                              ; =>This Inner Loop Header: Depth=1
	s_wait_loadcnt 0x0
	v_add_nc_u64_e32 v[28:29], s[12:13], v[0:1]
	v_mov_b64_e32 v[30:31], 0
	v_mov_b64_e32 v[34:35], 0
	s_delay_alu instid0(VALU_DEP_3)
	v_cmp_lt_u64_e32 vcc_lo, v[28:29], v[4:5]
	s_and_saveexec_b32 s0, vcc_lo
	s_cbranch_execz .LBB273_11
; %bb.10:                               ;   in Loop: Header=BB273_9 Depth=1
	v_add_nc_u64_e32 v[28:29], s[8:9], v[6:7]
	global_load_b64 v[34:35], v[28:29], off
.LBB273_11:                             ;   in Loop: Header=BB273_9 Depth=1
	s_wait_xcnt 0x0
	s_or_b32 exec_lo, exec_lo, s0
	v_add_nc_u64_e32 v[28:29], s[12:13], v[8:9]
	s_delay_alu instid0(VALU_DEP_1)
	v_cmp_lt_u64_e64 s2, v[28:29], v[4:5]
	s_and_saveexec_b32 s0, s2
	s_cbranch_execz .LBB273_13
; %bb.12:                               ;   in Loop: Header=BB273_9 Depth=1
	v_add_nc_u64_e32 v[28:29], s[8:9], v[24:25]
	global_load_b64 v[30:31], v[28:29], off
.LBB273_13:                             ;   in Loop: Header=BB273_9 Depth=1
	s_wait_xcnt 0x0
	s_or_b32 exec_lo, exec_lo, s0
	v_add_nc_u64_e32 v[32:33], s[12:13], v[14:15]
	v_mov_b64_e32 v[28:29], 0
	s_delay_alu instid0(VALU_DEP_2)
	v_cmp_lt_u64_e64 s1, v[32:33], v[4:5]
	v_mov_b64_e32 v[32:33], 0
	s_and_saveexec_b32 s0, s1
	s_cbranch_execz .LBB273_15
; %bb.14:                               ;   in Loop: Header=BB273_9 Depth=1
	v_add_nc_u64_e32 v[32:33], s[8:9], v[16:17]
	global_load_b64 v[32:33], v[32:33], off
.LBB273_15:                             ;   in Loop: Header=BB273_9 Depth=1
	s_wait_xcnt 0x0
	s_or_b32 exec_lo, exec_lo, s0
	v_add_nc_u64_e32 v[36:37], s[12:13], v[12:13]
	s_delay_alu instid0(VALU_DEP_1)
	v_cmp_lt_u64_e64 s0, v[36:37], v[4:5]
	s_and_saveexec_b32 s3, s0
	s_cbranch_execnz .LBB273_20
; %bb.16:                               ;   in Loop: Header=BB273_9 Depth=1
	s_or_b32 exec_lo, exec_lo, s3
	s_and_saveexec_b32 s3, vcc_lo
	s_cbranch_execnz .LBB273_21
.LBB273_17:                             ;   in Loop: Header=BB273_9 Depth=1
	s_or_b32 exec_lo, exec_lo, s3
	s_and_saveexec_b32 s3, s2
	s_cbranch_execnz .LBB273_22
.LBB273_18:                             ;   in Loop: Header=BB273_9 Depth=1
	s_or_b32 exec_lo, exec_lo, s3
	s_and_saveexec_b32 s2, s1
	s_cbranch_execnz .LBB273_23
.LBB273_19:                             ;   in Loop: Header=BB273_9 Depth=1
	s_or_b32 exec_lo, exec_lo, s2
	s_and_saveexec_b32 s1, s0
	s_cbranch_execz .LBB273_8
	s_branch .LBB273_24
.LBB273_20:                             ;   in Loop: Header=BB273_9 Depth=1
	v_add_nc_u64_e32 v[28:29], s[8:9], v[20:21]
	global_load_b64 v[28:29], v[28:29], off
	s_wait_xcnt 0x0
	s_or_b32 exec_lo, exec_lo, s3
	s_and_saveexec_b32 s3, vcc_lo
	s_cbranch_execz .LBB273_17
.LBB273_21:                             ;   in Loop: Header=BB273_9 Depth=1
	s_wait_loadcnt 0x0
	v_div_scale_f64 v[36:37], null, v[34:35], v[34:35], s[6:7]
	s_delay_alu instid0(VALU_DEP_1) | instskip(SKIP_1) | instid1(TRANS32_DEP_1)
	v_rcp_f64_e32 v[38:39], v[36:37]
	v_nop
	v_fma_f64 v[40:41], -v[36:37], v[38:39], 1.0
	s_delay_alu instid0(VALU_DEP_1) | instskip(NEXT) | instid1(VALU_DEP_1)
	v_fmac_f64_e32 v[38:39], v[38:39], v[40:41]
	v_fma_f64 v[40:41], -v[36:37], v[38:39], 1.0
	s_delay_alu instid0(VALU_DEP_1) | instskip(SKIP_1) | instid1(VALU_DEP_1)
	v_fmac_f64_e32 v[38:39], v[38:39], v[40:41]
	v_div_scale_f64 v[40:41], vcc_lo, s[6:7], v[34:35], s[6:7]
	v_mul_f64_e32 v[42:43], v[40:41], v[38:39]
	s_delay_alu instid0(VALU_DEP_1) | instskip(NEXT) | instid1(VALU_DEP_1)
	v_fma_f64 v[36:37], -v[36:37], v[42:43], v[40:41]
	v_div_fmas_f64 v[36:37], v[36:37], v[38:39], v[42:43]
	s_delay_alu instid0(VALU_DEP_1)
	v_div_fixup_f64 v[34:35], v[36:37], v[34:35], s[6:7]
	v_add_nc_u64_e32 v[36:37], s[8:9], v[10:11]
	global_store_b64 v[36:37], v[34:35], off
	s_wait_xcnt 0x0
	s_or_b32 exec_lo, exec_lo, s3
	s_and_saveexec_b32 s3, s2
	s_cbranch_execz .LBB273_18
.LBB273_22:                             ;   in Loop: Header=BB273_9 Depth=1
	s_wait_loadcnt 0x0
	v_div_scale_f64 v[34:35], null, v[30:31], v[30:31], s[6:7]
	s_delay_alu instid0(VALU_DEP_1) | instskip(SKIP_1) | instid1(TRANS32_DEP_1)
	v_rcp_f64_e32 v[36:37], v[34:35]
	v_nop
	v_fma_f64 v[38:39], -v[34:35], v[36:37], 1.0
	s_delay_alu instid0(VALU_DEP_1) | instskip(NEXT) | instid1(VALU_DEP_1)
	v_fmac_f64_e32 v[36:37], v[36:37], v[38:39]
	v_fma_f64 v[38:39], -v[34:35], v[36:37], 1.0
	s_delay_alu instid0(VALU_DEP_1) | instskip(SKIP_1) | instid1(VALU_DEP_1)
	v_fmac_f64_e32 v[36:37], v[36:37], v[38:39]
	v_div_scale_f64 v[38:39], vcc_lo, s[6:7], v[30:31], s[6:7]
	v_mul_f64_e32 v[40:41], v[38:39], v[36:37]
	s_delay_alu instid0(VALU_DEP_1) | instskip(NEXT) | instid1(VALU_DEP_1)
	v_fma_f64 v[34:35], -v[34:35], v[40:41], v[38:39]
	v_div_fmas_f64 v[34:35], v[34:35], v[36:37], v[40:41]
	s_delay_alu instid0(VALU_DEP_1)
	v_div_fixup_f64 v[30:31], v[34:35], v[30:31], s[6:7]
	v_add_nc_u64_e32 v[34:35], s[8:9], v[26:27]
	global_store_b64 v[34:35], v[30:31], off
	s_wait_xcnt 0x0
	s_or_b32 exec_lo, exec_lo, s3
	s_and_saveexec_b32 s2, s1
	s_cbranch_execz .LBB273_19
.LBB273_23:                             ;   in Loop: Header=BB273_9 Depth=1
	s_wait_loadcnt 0x0
	v_div_scale_f64 v[30:31], null, v[32:33], v[32:33], s[6:7]
	s_delay_alu instid0(VALU_DEP_1) | instskip(SKIP_1) | instid1(TRANS32_DEP_1)
	v_rcp_f64_e32 v[34:35], v[30:31]
	v_nop
	v_fma_f64 v[36:37], -v[30:31], v[34:35], 1.0
	s_delay_alu instid0(VALU_DEP_1) | instskip(NEXT) | instid1(VALU_DEP_1)
	v_fmac_f64_e32 v[34:35], v[34:35], v[36:37]
	v_fma_f64 v[36:37], -v[30:31], v[34:35], 1.0
	s_delay_alu instid0(VALU_DEP_1) | instskip(SKIP_1) | instid1(VALU_DEP_1)
	v_fmac_f64_e32 v[34:35], v[34:35], v[36:37]
	v_div_scale_f64 v[36:37], vcc_lo, s[6:7], v[32:33], s[6:7]
	v_mul_f64_e32 v[38:39], v[36:37], v[34:35]
	s_delay_alu instid0(VALU_DEP_1) | instskip(NEXT) | instid1(VALU_DEP_1)
	v_fma_f64 v[30:31], -v[30:31], v[38:39], v[36:37]
	v_div_fmas_f64 v[30:31], v[30:31], v[34:35], v[38:39]
	s_delay_alu instid0(VALU_DEP_1)
	v_div_fixup_f64 v[30:31], v[30:31], v[32:33], s[6:7]
	v_add_nc_u64_e32 v[32:33], s[8:9], v[18:19]
	global_store_b64 v[32:33], v[30:31], off
	s_wait_xcnt 0x0
	s_or_b32 exec_lo, exec_lo, s2
	s_and_saveexec_b32 s1, s0
	s_cbranch_execz .LBB273_8
.LBB273_24:                             ;   in Loop: Header=BB273_9 Depth=1
	s_wait_loadcnt 0x0
	v_div_scale_f64 v[30:31], null, v[28:29], v[28:29], s[6:7]
	s_delay_alu instid0(VALU_DEP_1) | instskip(SKIP_1) | instid1(TRANS32_DEP_1)
	v_rcp_f64_e32 v[32:33], v[30:31]
	v_nop
	v_fma_f64 v[34:35], -v[30:31], v[32:33], 1.0
	s_delay_alu instid0(VALU_DEP_1) | instskip(NEXT) | instid1(VALU_DEP_1)
	v_fmac_f64_e32 v[32:33], v[32:33], v[34:35]
	v_fma_f64 v[34:35], -v[30:31], v[32:33], 1.0
	s_delay_alu instid0(VALU_DEP_1) | instskip(SKIP_1) | instid1(VALU_DEP_1)
	v_fmac_f64_e32 v[32:33], v[32:33], v[34:35]
	v_div_scale_f64 v[34:35], vcc_lo, s[6:7], v[28:29], s[6:7]
	v_mul_f64_e32 v[36:37], v[34:35], v[32:33]
	s_delay_alu instid0(VALU_DEP_1) | instskip(NEXT) | instid1(VALU_DEP_1)
	v_fma_f64 v[30:31], -v[30:31], v[36:37], v[34:35]
	v_div_fmas_f64 v[30:31], v[30:31], v[32:33], v[36:37]
	s_delay_alu instid0(VALU_DEP_1)
	v_div_fixup_f64 v[28:29], v[30:31], v[28:29], s[6:7]
	v_add_nc_u64_e32 v[30:31], s[8:9], v[22:23]
	global_store_b64 v[30:31], v[28:29], off
	s_branch .LBB273_8
.LBB273_25:
	s_endpgm
	.section	.rodata,"a",@progbits
	.p2align	6, 0x0
	.amdhsa_kernel _ZN2at6native12_GLOBAL__N_125multi_tensor_apply_kernelINS1_18TensorListMetadataILi2EEENS1_14UnaryOpFunctorIdLi2ELi1ELi1EEEJNS0_10ReciprocalIdEEEEEvT_T0_DpT1_
		.amdhsa_group_segment_fixed_size 0
		.amdhsa_private_segment_fixed_size 0
		.amdhsa_kernarg_size 3416
		.amdhsa_user_sgpr_count 2
		.amdhsa_user_sgpr_dispatch_ptr 0
		.amdhsa_user_sgpr_queue_ptr 0
		.amdhsa_user_sgpr_kernarg_segment_ptr 1
		.amdhsa_user_sgpr_dispatch_id 0
		.amdhsa_user_sgpr_kernarg_preload_length 0
		.amdhsa_user_sgpr_kernarg_preload_offset 0
		.amdhsa_user_sgpr_private_segment_size 0
		.amdhsa_wavefront_size32 1
		.amdhsa_uses_dynamic_stack 0
		.amdhsa_enable_private_segment 0
		.amdhsa_system_sgpr_workgroup_id_x 1
		.amdhsa_system_sgpr_workgroup_id_y 0
		.amdhsa_system_sgpr_workgroup_id_z 0
		.amdhsa_system_sgpr_workgroup_info 0
		.amdhsa_system_vgpr_workitem_id 0
		.amdhsa_next_free_vgpr 48
		.amdhsa_next_free_sgpr 22
		.amdhsa_named_barrier_count 0
		.amdhsa_reserve_vcc 1
		.amdhsa_float_round_mode_32 0
		.amdhsa_float_round_mode_16_64 0
		.amdhsa_float_denorm_mode_32 3
		.amdhsa_float_denorm_mode_16_64 3
		.amdhsa_fp16_overflow 0
		.amdhsa_memory_ordered 1
		.amdhsa_forward_progress 1
		.amdhsa_inst_pref_size 15
		.amdhsa_round_robin_scheduling 0
		.amdhsa_exception_fp_ieee_invalid_op 0
		.amdhsa_exception_fp_denorm_src 0
		.amdhsa_exception_fp_ieee_div_zero 0
		.amdhsa_exception_fp_ieee_overflow 0
		.amdhsa_exception_fp_ieee_underflow 0
		.amdhsa_exception_fp_ieee_inexact 0
		.amdhsa_exception_int_div_zero 0
	.end_amdhsa_kernel
	.section	.text._ZN2at6native12_GLOBAL__N_125multi_tensor_apply_kernelINS1_18TensorListMetadataILi2EEENS1_14UnaryOpFunctorIdLi2ELi1ELi1EEEJNS0_10ReciprocalIdEEEEEvT_T0_DpT1_,"axG",@progbits,_ZN2at6native12_GLOBAL__N_125multi_tensor_apply_kernelINS1_18TensorListMetadataILi2EEENS1_14UnaryOpFunctorIdLi2ELi1ELi1EEEJNS0_10ReciprocalIdEEEEEvT_T0_DpT1_,comdat
.Lfunc_end273:
	.size	_ZN2at6native12_GLOBAL__N_125multi_tensor_apply_kernelINS1_18TensorListMetadataILi2EEENS1_14UnaryOpFunctorIdLi2ELi1ELi1EEEJNS0_10ReciprocalIdEEEEEvT_T0_DpT1_, .Lfunc_end273-_ZN2at6native12_GLOBAL__N_125multi_tensor_apply_kernelINS1_18TensorListMetadataILi2EEENS1_14UnaryOpFunctorIdLi2ELi1ELi1EEEJNS0_10ReciprocalIdEEEEEvT_T0_DpT1_
                                        ; -- End function
	.set _ZN2at6native12_GLOBAL__N_125multi_tensor_apply_kernelINS1_18TensorListMetadataILi2EEENS1_14UnaryOpFunctorIdLi2ELi1ELi1EEEJNS0_10ReciprocalIdEEEEEvT_T0_DpT1_.num_vgpr, 48
	.set _ZN2at6native12_GLOBAL__N_125multi_tensor_apply_kernelINS1_18TensorListMetadataILi2EEENS1_14UnaryOpFunctorIdLi2ELi1ELi1EEEJNS0_10ReciprocalIdEEEEEvT_T0_DpT1_.num_agpr, 0
	.set _ZN2at6native12_GLOBAL__N_125multi_tensor_apply_kernelINS1_18TensorListMetadataILi2EEENS1_14UnaryOpFunctorIdLi2ELi1ELi1EEEJNS0_10ReciprocalIdEEEEEvT_T0_DpT1_.numbered_sgpr, 22
	.set _ZN2at6native12_GLOBAL__N_125multi_tensor_apply_kernelINS1_18TensorListMetadataILi2EEENS1_14UnaryOpFunctorIdLi2ELi1ELi1EEEJNS0_10ReciprocalIdEEEEEvT_T0_DpT1_.num_named_barrier, 0
	.set _ZN2at6native12_GLOBAL__N_125multi_tensor_apply_kernelINS1_18TensorListMetadataILi2EEENS1_14UnaryOpFunctorIdLi2ELi1ELi1EEEJNS0_10ReciprocalIdEEEEEvT_T0_DpT1_.private_seg_size, 0
	.set _ZN2at6native12_GLOBAL__N_125multi_tensor_apply_kernelINS1_18TensorListMetadataILi2EEENS1_14UnaryOpFunctorIdLi2ELi1ELi1EEEJNS0_10ReciprocalIdEEEEEvT_T0_DpT1_.uses_vcc, 1
	.set _ZN2at6native12_GLOBAL__N_125multi_tensor_apply_kernelINS1_18TensorListMetadataILi2EEENS1_14UnaryOpFunctorIdLi2ELi1ELi1EEEJNS0_10ReciprocalIdEEEEEvT_T0_DpT1_.uses_flat_scratch, 0
	.set _ZN2at6native12_GLOBAL__N_125multi_tensor_apply_kernelINS1_18TensorListMetadataILi2EEENS1_14UnaryOpFunctorIdLi2ELi1ELi1EEEJNS0_10ReciprocalIdEEEEEvT_T0_DpT1_.has_dyn_sized_stack, 0
	.set _ZN2at6native12_GLOBAL__N_125multi_tensor_apply_kernelINS1_18TensorListMetadataILi2EEENS1_14UnaryOpFunctorIdLi2ELi1ELi1EEEJNS0_10ReciprocalIdEEEEEvT_T0_DpT1_.has_recursion, 0
	.set _ZN2at6native12_GLOBAL__N_125multi_tensor_apply_kernelINS1_18TensorListMetadataILi2EEENS1_14UnaryOpFunctorIdLi2ELi1ELi1EEEJNS0_10ReciprocalIdEEEEEvT_T0_DpT1_.has_indirect_call, 0
	.section	.AMDGPU.csdata,"",@progbits
; Kernel info:
; codeLenInByte = 1808
; TotalNumSgprs: 24
; NumVgprs: 48
; ScratchSize: 0
; MemoryBound: 0
; FloatMode: 240
; IeeeMode: 1
; LDSByteSize: 0 bytes/workgroup (compile time only)
; SGPRBlocks: 0
; VGPRBlocks: 2
; NumSGPRsForWavesPerEU: 24
; NumVGPRsForWavesPerEU: 48
; NamedBarCnt: 0
; Occupancy: 16
; WaveLimiterHint : 0
; COMPUTE_PGM_RSRC2:SCRATCH_EN: 0
; COMPUTE_PGM_RSRC2:USER_SGPR: 2
; COMPUTE_PGM_RSRC2:TRAP_HANDLER: 0
; COMPUTE_PGM_RSRC2:TGID_X_EN: 1
; COMPUTE_PGM_RSRC2:TGID_Y_EN: 0
; COMPUTE_PGM_RSRC2:TGID_Z_EN: 0
; COMPUTE_PGM_RSRC2:TIDIG_COMP_CNT: 0
	.section	.text._ZN2at6native12_GLOBAL__N_125multi_tensor_apply_kernelINS1_18TensorListMetadataILi2EEENS1_14UnaryOpFunctorIfLi2ELi1ELi1EEEJNS0_10ReciprocalIfEEEEEvT_T0_DpT1_,"axG",@progbits,_ZN2at6native12_GLOBAL__N_125multi_tensor_apply_kernelINS1_18TensorListMetadataILi2EEENS1_14UnaryOpFunctorIfLi2ELi1ELi1EEEJNS0_10ReciprocalIfEEEEEvT_T0_DpT1_,comdat
	.globl	_ZN2at6native12_GLOBAL__N_125multi_tensor_apply_kernelINS1_18TensorListMetadataILi2EEENS1_14UnaryOpFunctorIfLi2ELi1ELi1EEEJNS0_10ReciprocalIfEEEEEvT_T0_DpT1_ ; -- Begin function _ZN2at6native12_GLOBAL__N_125multi_tensor_apply_kernelINS1_18TensorListMetadataILi2EEENS1_14UnaryOpFunctorIfLi2ELi1ELi1EEEJNS0_10ReciprocalIfEEEEEvT_T0_DpT1_
	.p2align	8
	.type	_ZN2at6native12_GLOBAL__N_125multi_tensor_apply_kernelINS1_18TensorListMetadataILi2EEENS1_14UnaryOpFunctorIfLi2ELi1ELi1EEEJNS0_10ReciprocalIfEEEEEvT_T0_DpT1_,@function
_ZN2at6native12_GLOBAL__N_125multi_tensor_apply_kernelINS1_18TensorListMetadataILi2EEENS1_14UnaryOpFunctorIfLi2ELi1ELi1EEEJNS0_10ReciprocalIfEEEEEvT_T0_DpT1_: ; @_ZN2at6native12_GLOBAL__N_125multi_tensor_apply_kernelINS1_18TensorListMetadataILi2EEENS1_14UnaryOpFunctorIfLi2ELi1ELi1EEEJNS0_10ReciprocalIfEEEEEvT_T0_DpT1_
; %bb.0:
	s_bfe_u32 s2, ttmp6, 0x4000c
	s_and_b32 s3, ttmp6, 15
	s_add_co_i32 s2, s2, 1
	s_getreg_b32 s4, hwreg(HW_REG_IB_STS2, 6, 4)
	s_mul_i32 s2, ttmp9, s2
	s_delay_alu instid0(SALU_CYCLE_1)
	s_add_co_i32 s3, s3, s2
	s_cmp_eq_u32 s4, 0
	s_cselect_b32 s2, ttmp9, s3
	s_mov_b32 s3, 0
	s_load_u8 s13, s[0:1], s2 offset:0x600
	s_add_nc_u64 s[4:5], s[0:1], s[2:3]
	s_mul_u64 s[6:7], s[2:3], 3
	s_delay_alu instid0(SALU_CYCLE_1)
	s_add_nc_u64 s[4:5], s[4:5], s[6:7]
	s_load_b32 s12, s[4:5], 0x740
	s_wait_kmcnt 0x0
	s_clause 0x3
	s_load_b64 s[8:9], s[0:1], s13 offset:0x0 scale_offset
	s_load_b64 s[10:11], s[0:1], s13 offset:0x200 scale_offset
	s_load_b64 s[14:15], s[0:1], s13 offset:0x400 scale_offset
	s_load_b32 s20, s[0:1], 0xc4c
	s_mov_b32 s5, s3
	s_wait_xcnt 0x0
	s_ashr_i32 s13, s12, 31
	s_delay_alu instid0(SALU_CYCLE_1)
	s_lshl_b64 s[6:7], s[12:13], 18
	s_wait_kmcnt 0x0
	s_and_b64 s[18:19], s[10:11], 15
	s_add_nc_u64 s[16:17], s[8:9], s[6:7]
	s_and_b32 s4, s14, 3
	s_and_b32 s2, s16, 15
	s_or_b64 s[4:5], s[18:19], s[4:5]
	s_lshl_b64 s[12:13], s[12:13], 16
	s_or_b64 s[2:3], s[4:5], s[2:3]
	s_sub_nc_u64 s[12:13], s[14:15], s[12:13]
	s_cmp_eq_u64 s[2:3], 0
	s_mov_b32 s2, -1
	s_cbranch_scc0 .LBB274_5
; %bb.1:
	v_min_i64 v[2:3], 0x10000, s[12:13]
	v_dual_mov_b32 v5, 0 :: v_dual_lshlrev_b32 v4, 2, v0
	s_mov_b32 s5, exec_lo
	s_delay_alu instid0(VALU_DEP_1)
	v_cmpx_lt_i64_e64 v[4:5], v[2:3]
	s_cbranch_execz .LBB274_4
; %bb.2:
	s_load_b32 s2, s[0:1], 0xc5c
	v_dual_mov_b32 v1, v5 :: v_dual_lshlrev_b32 v4, 4, v0
	s_mov_b32 s15, 0
	s_mov_b32 s21, s20
	s_add_nc_u64 s[16:17], s[8:9], 8
	s_delay_alu instid0(VALU_DEP_1)
	v_add_nc_u64_e32 v[4:5], s[6:7], v[4:5]
	v_mov_b64_e32 v[6:7], v[0:1]
	s_mov_b32 s19, s15
	s_mov_b32 s22, s15
	s_wait_kmcnt 0x0
	s_and_b32 s14, s2, 0xffff
	s_delay_alu instid0(SALU_CYCLE_1)
	s_lshl_b32 s18, s14, 4
.LBB274_3:                              ; =>This Inner Loop Header: Depth=1
	v_add_nc_u64_e32 v[8:9], s[16:17], v[4:5]
	v_add_nc_u64_e32 v[6:7], s[14:15], v[6:7]
	;; [unrolled: 1-line block ×4, first 2 shown]
	global_load_b128 v[8:11], v[8:9], off offset:-8
	v_lshlrev_b64_e32 v[14:15], 2, v[6:7]
	s_wait_loadcnt 0x0
	v_div_scale_f32 v1, null, v9, v9, s21
	v_div_scale_f32 v19, null, v11, v11, s21
	;; [unrolled: 1-line block ×4, first 2 shown]
	s_delay_alu instid0(VALU_DEP_4) | instskip(NEXT) | instid1(VALU_DEP_3)
	v_rcp_f32_e32 v23, v1
	v_rcp_f32_e32 v25, v19
	s_delay_alu instid0(VALU_DEP_2) | instskip(NEXT) | instid1(VALU_DEP_1)
	v_rcp_f32_e32 v26, v21
	v_rcp_f32_e32 v24, v17
	v_div_scale_f32 v16, vcc_lo, s21, v9, s21
	v_div_scale_f32 v20, s3, s21, v11, s21
	v_fma_f32 v27, -v1, v23, 1.0
	s_delay_alu instid0(TRANS32_DEP_3) | instskip(NEXT) | instid1(TRANS32_DEP_2)
	v_fma_f32 v29, -v19, v25, 1.0
	v_fma_f32 v30, -v21, v26, 1.0
	s_delay_alu instid0(TRANS32_DEP_1) | instskip(SKIP_1) | instid1(VALU_DEP_4)
	v_fma_f32 v28, -v17, v24, 1.0
	v_div_scale_f32 v22, s4, s20, v10, s20
	v_dual_fmac_f32 v23, v27, v23 :: v_dual_fmac_f32 v25, v29, v25
	s_delay_alu instid0(VALU_DEP_4) | instskip(SKIP_2) | instid1(VALU_DEP_4)
	v_fmac_f32_e32 v26, v30, v26
	v_div_scale_f32 v18, s2, s20, v8, s20
	v_fmac_f32_e32 v24, v28, v24
	v_mul_f32_e32 v27, v16, v23
	s_delay_alu instid0(VALU_DEP_4) | instskip(NEXT) | instid1(VALU_DEP_1)
	v_dual_mul_f32 v29, v20, v25 :: v_dual_mul_f32 v30, v22, v26
	v_dual_mul_f32 v28, v18, v24 :: v_dual_fma_f32 v33, -v19, v29, v20
	s_delay_alu instid0(VALU_DEP_2) | instskip(NEXT) | instid1(VALU_DEP_4)
	v_fma_f32 v34, -v21, v30, v22
	v_fma_f32 v31, -v1, v27, v16
	s_delay_alu instid0(VALU_DEP_3) | instskip(NEXT) | instid1(VALU_DEP_3)
	v_fma_f32 v32, -v17, v28, v18
	v_dual_fmac_f32 v29, v33, v25 :: v_dual_fmac_f32 v30, v34, v26
	s_delay_alu instid0(VALU_DEP_2) | instskip(NEXT) | instid1(VALU_DEP_1)
	v_dual_fmac_f32 v27, v31, v23 :: v_dual_fmac_f32 v28, v32, v24
	v_fma_f32 v1, -v1, v27, v16
	s_delay_alu instid0(VALU_DEP_2) | instskip(NEXT) | instid1(VALU_DEP_4)
	v_dual_fma_f32 v16, -v17, v28, v18 :: v_dual_fma_f32 v17, -v19, v29, v20
	v_fma_f32 v18, -v21, v30, v22
	s_delay_alu instid0(VALU_DEP_3) | instskip(SKIP_1) | instid1(VALU_DEP_3)
	v_div_fmas_f32 v1, v1, v23, v27
	s_mov_b32 vcc_lo, s2
	v_div_fmas_f32 v16, v16, v24, v28
	s_mov_b32 vcc_lo, s3
	s_wait_xcnt 0x0
	v_div_fixup_f32 v9, v1, v9, s21
	v_div_fmas_f32 v17, v17, v25, v29
	s_mov_b32 vcc_lo, s4
	v_div_fixup_f32 v8, v16, v8, s20
	v_div_fmas_f32 v18, v18, v26, v30
	v_cmp_ge_i64_e32 vcc_lo, v[14:15], v[2:3]
	v_div_fixup_f32 v11, v17, v11, s21
	s_delay_alu instid0(VALU_DEP_3)
	v_div_fixup_f32 v10, v18, v10, s20
	s_or_b32 s22, vcc_lo, s22
	global_store_b128 v[12:13], v[8:11], off
	s_wait_xcnt 0x0
	s_and_not1_b32 exec_lo, exec_lo, s22
	s_cbranch_execnz .LBB274_3
.LBB274_4:
	s_or_b32 exec_lo, exec_lo, s5
	s_mov_b32 s2, 0
.LBB274_5:
	s_delay_alu instid0(SALU_CYCLE_1)
	s_and_not1_b32 vcc_lo, exec_lo, s2
	s_cbranch_vccnz .LBB274_25
; %bb.6:
	v_cmp_lt_i64_e64 s2, s[12:13], 1
	s_and_b32 vcc_lo, exec_lo, s2
	s_cbranch_vccnz .LBB274_25
; %bb.7:
	s_load_b32 s0, s[0:1], 0xc5c
	v_min_i64 v[2:3], 0x10000, s[12:13]
	v_min_u64 v[4:5], 0x10000, s[12:13]
	v_dual_mov_b32 v1, 0 :: v_dual_lshlrev_b32 v10, 2, v0
	s_wait_xcnt 0x0
	s_mov_b32 s1, 0
	s_delay_alu instid0(SALU_CYCLE_1) | instskip(NEXT) | instid1(VALU_DEP_1)
	s_mov_b32 s13, s1
	v_dual_mov_b32 v11, v1 :: v_dual_mov_b32 v27, v1
	s_mov_b32 s3, s1
	s_mov_b32 s5, s1
	s_delay_alu instid0(VALU_DEP_1) | instskip(SKIP_2) | instid1(SALU_CYCLE_1)
	v_add_nc_u64_e32 v[6:7], s[8:9], v[10:11]
	s_wait_kmcnt 0x0
	s_and_b32 s0, s0, 0xffff
	v_add_nc_u64_e32 v[8:9], s[0:1], v[0:1]
	v_mad_nc_u64_u32 v[22:23], s0, 12, v[10:11]
	s_lshl_b32 s12, s0, 3
	s_mul_i32 s4, s0, 3
	v_add_nc_u64_e32 v[18:19], s[12:13], v[10:11]
	s_lshl_b32 s2, s0, 1
	v_add_nc_u64_e32 v[10:11], s[10:11], v[10:11]
	v_lshlrev_b32_e32 v26, 2, v8
	v_add_nc_u64_e32 v[12:13], s[4:5], v[0:1]
	v_add_nc_u64_e32 v[14:15], s[2:3], v[0:1]
	s_lshl_b32 s4, s0, 2
	v_add_nc_u64_e32 v[16:17], s[8:9], v[18:19]
	v_add_nc_u64_e32 v[18:19], s[10:11], v[18:19]
	v_add_nc_u64_e32 v[20:21], s[8:9], v[22:23]
	v_add_nc_u64_e32 v[22:23], s[10:11], v[22:23]
	v_add_nc_u64_e32 v[24:25], s[8:9], v[26:27]
	v_add_nc_u64_e32 v[26:27], s[10:11], v[26:27]
	s_lshl_b32 s8, s0, 4
	s_mov_b32 s9, s1
	s_mov_b64 s[10:11], 0
	s_branch .LBB274_9
.LBB274_8:                              ;   in Loop: Header=BB274_9 Depth=1
	s_wait_xcnt 0x0
	s_or_b32 exec_lo, exec_lo, s1
	s_add_nc_u64 s[10:11], s[10:11], s[4:5]
	v_add_nc_u64_e32 v[6:7], s[8:9], v[6:7]
	v_cmp_ge_i64_e32 vcc_lo, s[10:11], v[2:3]
	v_add_nc_u64_e32 v[10:11], s[8:9], v[10:11]
	v_add_nc_u64_e32 v[20:21], s[8:9], v[20:21]
	;; [unrolled: 1-line block ×7, first 2 shown]
	s_cbranch_vccnz .LBB274_25
.LBB274_9:                              ; =>This Inner Loop Header: Depth=1
	s_wait_loadcnt 0x0
	v_add_nc_u64_e32 v[28:29], s[10:11], v[0:1]
	v_mov_b32_e32 v31, 0
	s_delay_alu instid0(VALU_DEP_2)
	v_cmp_lt_u64_e32 vcc_lo, v[28:29], v[4:5]
	s_and_saveexec_b32 s0, vcc_lo
	s_cbranch_execz .LBB274_11
; %bb.10:                               ;   in Loop: Header=BB274_9 Depth=1
	v_add_nc_u64_e32 v[28:29], s[6:7], v[6:7]
	global_load_b32 v31, v[28:29], off
.LBB274_11:                             ;   in Loop: Header=BB274_9 Depth=1
	s_wait_xcnt 0x0
	s_or_b32 exec_lo, exec_lo, s0
	v_add_nc_u64_e32 v[28:29], s[10:11], v[8:9]
	v_mov_b32_e32 v30, 0
	s_delay_alu instid0(VALU_DEP_2)
	v_cmp_lt_u64_e64 s2, v[28:29], v[4:5]
	v_mov_b32_e32 v28, 0
	s_and_saveexec_b32 s0, s2
	s_cbranch_execz .LBB274_13
; %bb.12:                               ;   in Loop: Header=BB274_9 Depth=1
	v_add_nc_u64_e32 v[32:33], s[6:7], v[24:25]
	global_load_b32 v30, v[32:33], off
.LBB274_13:                             ;   in Loop: Header=BB274_9 Depth=1
	s_wait_xcnt 0x0
	s_or_b32 exec_lo, exec_lo, s0
	v_add_nc_u64_e32 v[32:33], s[10:11], v[14:15]
	s_delay_alu instid0(VALU_DEP_1)
	v_cmp_lt_u64_e64 s1, v[32:33], v[4:5]
	s_and_saveexec_b32 s0, s1
	s_cbranch_execz .LBB274_15
; %bb.14:                               ;   in Loop: Header=BB274_9 Depth=1
	v_add_nc_u64_e32 v[28:29], s[6:7], v[16:17]
	global_load_b32 v28, v[28:29], off
.LBB274_15:                             ;   in Loop: Header=BB274_9 Depth=1
	s_wait_xcnt 0x0
	s_or_b32 exec_lo, exec_lo, s0
	v_add_nc_u64_e32 v[32:33], s[10:11], v[12:13]
	v_mov_b32_e32 v29, 0
	s_delay_alu instid0(VALU_DEP_2)
	v_cmp_lt_u64_e64 s0, v[32:33], v[4:5]
	s_and_saveexec_b32 s3, s0
	s_cbranch_execnz .LBB274_20
; %bb.16:                               ;   in Loop: Header=BB274_9 Depth=1
	s_or_b32 exec_lo, exec_lo, s3
	s_and_saveexec_b32 s3, vcc_lo
	s_cbranch_execnz .LBB274_21
.LBB274_17:                             ;   in Loop: Header=BB274_9 Depth=1
	s_or_b32 exec_lo, exec_lo, s3
	s_and_saveexec_b32 s3, s2
	s_cbranch_execnz .LBB274_22
.LBB274_18:                             ;   in Loop: Header=BB274_9 Depth=1
	s_or_b32 exec_lo, exec_lo, s3
	s_and_saveexec_b32 s2, s1
	s_cbranch_execnz .LBB274_23
.LBB274_19:                             ;   in Loop: Header=BB274_9 Depth=1
	s_or_b32 exec_lo, exec_lo, s2
	s_and_saveexec_b32 s1, s0
	s_cbranch_execz .LBB274_8
	s_branch .LBB274_24
.LBB274_20:                             ;   in Loop: Header=BB274_9 Depth=1
	v_add_nc_u64_e32 v[32:33], s[6:7], v[20:21]
	global_load_b32 v29, v[32:33], off
	s_wait_xcnt 0x0
	s_or_b32 exec_lo, exec_lo, s3
	s_and_saveexec_b32 s3, vcc_lo
	s_cbranch_execz .LBB274_17
.LBB274_21:                             ;   in Loop: Header=BB274_9 Depth=1
	s_wait_loadcnt 0x0
	v_div_scale_f32 v32, null, v31, v31, s20
	s_delay_alu instid0(VALU_DEP_1) | instskip(SKIP_1) | instid1(TRANS32_DEP_1)
	v_rcp_f32_e32 v33, v32
	v_nop
	v_fma_f32 v34, -v32, v33, 1.0
	s_delay_alu instid0(VALU_DEP_1) | instskip(SKIP_1) | instid1(VALU_DEP_1)
	v_fmac_f32_e32 v33, v34, v33
	v_div_scale_f32 v34, vcc_lo, s20, v31, s20
	v_mul_f32_e32 v35, v34, v33
	s_delay_alu instid0(VALU_DEP_1) | instskip(NEXT) | instid1(VALU_DEP_1)
	v_fma_f32 v36, -v32, v35, v34
	v_fmac_f32_e32 v35, v36, v33
	s_delay_alu instid0(VALU_DEP_1) | instskip(NEXT) | instid1(VALU_DEP_1)
	v_fma_f32 v32, -v32, v35, v34
	v_div_fmas_f32 v34, v32, v33, v35
	v_add_nc_u64_e32 v[32:33], s[6:7], v[10:11]
	s_delay_alu instid0(VALU_DEP_2)
	v_div_fixup_f32 v31, v34, v31, s20
	global_store_b32 v[32:33], v31, off
	s_wait_xcnt 0x0
	s_or_b32 exec_lo, exec_lo, s3
	s_and_saveexec_b32 s3, s2
	s_cbranch_execz .LBB274_18
.LBB274_22:                             ;   in Loop: Header=BB274_9 Depth=1
	s_wait_loadcnt 0x0
	v_div_scale_f32 v31, null, v30, v30, s20
	s_delay_alu instid0(VALU_DEP_1) | instskip(SKIP_1) | instid1(TRANS32_DEP_1)
	v_rcp_f32_e32 v32, v31
	v_nop
	v_fma_f32 v33, -v31, v32, 1.0
	s_delay_alu instid0(VALU_DEP_1) | instskip(SKIP_1) | instid1(VALU_DEP_1)
	v_fmac_f32_e32 v32, v33, v32
	v_div_scale_f32 v33, vcc_lo, s20, v30, s20
	v_mul_f32_e32 v34, v33, v32
	s_delay_alu instid0(VALU_DEP_1) | instskip(NEXT) | instid1(VALU_DEP_1)
	v_fma_f32 v35, -v31, v34, v33
	v_fmac_f32_e32 v34, v35, v32
	s_delay_alu instid0(VALU_DEP_1) | instskip(NEXT) | instid1(VALU_DEP_1)
	v_fma_f32 v31, -v31, v34, v33
	v_div_fmas_f32 v31, v31, v32, v34
	v_add_nc_u64_e32 v[32:33], s[6:7], v[26:27]
	s_delay_alu instid0(VALU_DEP_2)
	v_div_fixup_f32 v30, v31, v30, s20
	global_store_b32 v[32:33], v30, off
	s_wait_xcnt 0x0
	s_or_b32 exec_lo, exec_lo, s3
	s_and_saveexec_b32 s2, s1
	s_cbranch_execz .LBB274_19
.LBB274_23:                             ;   in Loop: Header=BB274_9 Depth=1
	s_wait_loadcnt 0x0
	v_div_scale_f32 v30, null, v28, v28, s20
	s_delay_alu instid0(VALU_DEP_1) | instskip(SKIP_1) | instid1(TRANS32_DEP_1)
	v_rcp_f32_e32 v31, v30
	v_nop
	v_fma_f32 v32, -v30, v31, 1.0
	s_delay_alu instid0(VALU_DEP_1) | instskip(SKIP_1) | instid1(VALU_DEP_1)
	v_fmac_f32_e32 v31, v32, v31
	v_div_scale_f32 v32, vcc_lo, s20, v28, s20
	v_mul_f32_e32 v33, v32, v31
	s_delay_alu instid0(VALU_DEP_1) | instskip(NEXT) | instid1(VALU_DEP_1)
	v_fma_f32 v34, -v30, v33, v32
	v_fmac_f32_e32 v33, v34, v31
	s_delay_alu instid0(VALU_DEP_1) | instskip(NEXT) | instid1(VALU_DEP_1)
	v_fma_f32 v30, -v30, v33, v32
	v_div_fmas_f32 v32, v30, v31, v33
	v_add_nc_u64_e32 v[30:31], s[6:7], v[18:19]
	s_delay_alu instid0(VALU_DEP_2)
	v_div_fixup_f32 v28, v32, v28, s20
	global_store_b32 v[30:31], v28, off
	s_wait_xcnt 0x0
	s_or_b32 exec_lo, exec_lo, s2
	s_and_saveexec_b32 s1, s0
	s_cbranch_execz .LBB274_8
.LBB274_24:                             ;   in Loop: Header=BB274_9 Depth=1
	s_wait_loadcnt 0x0
	v_div_scale_f32 v28, null, v29, v29, s20
	s_delay_alu instid0(VALU_DEP_1) | instskip(SKIP_1) | instid1(TRANS32_DEP_1)
	v_rcp_f32_e32 v30, v28
	v_nop
	v_fma_f32 v31, -v28, v30, 1.0
	s_delay_alu instid0(VALU_DEP_1) | instskip(SKIP_1) | instid1(VALU_DEP_1)
	v_fmac_f32_e32 v30, v31, v30
	v_div_scale_f32 v31, vcc_lo, s20, v29, s20
	v_mul_f32_e32 v32, v31, v30
	s_delay_alu instid0(VALU_DEP_1) | instskip(NEXT) | instid1(VALU_DEP_1)
	v_fma_f32 v33, -v28, v32, v31
	v_fmac_f32_e32 v32, v33, v30
	s_delay_alu instid0(VALU_DEP_1) | instskip(NEXT) | instid1(VALU_DEP_1)
	v_fma_f32 v28, -v28, v32, v31
	v_div_fmas_f32 v28, v28, v30, v32
	v_add_nc_u64_e32 v[30:31], s[6:7], v[22:23]
	s_delay_alu instid0(VALU_DEP_2)
	v_div_fixup_f32 v28, v28, v29, s20
	global_store_b32 v[30:31], v28, off
	s_branch .LBB274_8
.LBB274_25:
	s_endpgm
	.section	.rodata,"a",@progbits
	.p2align	6, 0x0
	.amdhsa_kernel _ZN2at6native12_GLOBAL__N_125multi_tensor_apply_kernelINS1_18TensorListMetadataILi2EEENS1_14UnaryOpFunctorIfLi2ELi1ELi1EEEJNS0_10ReciprocalIfEEEEEvT_T0_DpT1_
		.amdhsa_group_segment_fixed_size 0
		.amdhsa_private_segment_fixed_size 0
		.amdhsa_kernarg_size 3408
		.amdhsa_user_sgpr_count 2
		.amdhsa_user_sgpr_dispatch_ptr 0
		.amdhsa_user_sgpr_queue_ptr 0
		.amdhsa_user_sgpr_kernarg_segment_ptr 1
		.amdhsa_user_sgpr_dispatch_id 0
		.amdhsa_user_sgpr_kernarg_preload_length 0
		.amdhsa_user_sgpr_kernarg_preload_offset 0
		.amdhsa_user_sgpr_private_segment_size 0
		.amdhsa_wavefront_size32 1
		.amdhsa_uses_dynamic_stack 0
		.amdhsa_enable_private_segment 0
		.amdhsa_system_sgpr_workgroup_id_x 1
		.amdhsa_system_sgpr_workgroup_id_y 0
		.amdhsa_system_sgpr_workgroup_id_z 0
		.amdhsa_system_sgpr_workgroup_info 0
		.amdhsa_system_vgpr_workitem_id 0
		.amdhsa_next_free_vgpr 37
		.amdhsa_next_free_sgpr 23
		.amdhsa_named_barrier_count 0
		.amdhsa_reserve_vcc 1
		.amdhsa_float_round_mode_32 0
		.amdhsa_float_round_mode_16_64 0
		.amdhsa_float_denorm_mode_32 3
		.amdhsa_float_denorm_mode_16_64 3
		.amdhsa_fp16_overflow 0
		.amdhsa_memory_ordered 1
		.amdhsa_forward_progress 1
		.amdhsa_inst_pref_size 14
		.amdhsa_round_robin_scheduling 0
		.amdhsa_exception_fp_ieee_invalid_op 0
		.amdhsa_exception_fp_denorm_src 0
		.amdhsa_exception_fp_ieee_div_zero 0
		.amdhsa_exception_fp_ieee_overflow 0
		.amdhsa_exception_fp_ieee_underflow 0
		.amdhsa_exception_fp_ieee_inexact 0
		.amdhsa_exception_int_div_zero 0
	.end_amdhsa_kernel
	.section	.text._ZN2at6native12_GLOBAL__N_125multi_tensor_apply_kernelINS1_18TensorListMetadataILi2EEENS1_14UnaryOpFunctorIfLi2ELi1ELi1EEEJNS0_10ReciprocalIfEEEEEvT_T0_DpT1_,"axG",@progbits,_ZN2at6native12_GLOBAL__N_125multi_tensor_apply_kernelINS1_18TensorListMetadataILi2EEENS1_14UnaryOpFunctorIfLi2ELi1ELi1EEEJNS0_10ReciprocalIfEEEEEvT_T0_DpT1_,comdat
.Lfunc_end274:
	.size	_ZN2at6native12_GLOBAL__N_125multi_tensor_apply_kernelINS1_18TensorListMetadataILi2EEENS1_14UnaryOpFunctorIfLi2ELi1ELi1EEEJNS0_10ReciprocalIfEEEEEvT_T0_DpT1_, .Lfunc_end274-_ZN2at6native12_GLOBAL__N_125multi_tensor_apply_kernelINS1_18TensorListMetadataILi2EEENS1_14UnaryOpFunctorIfLi2ELi1ELi1EEEJNS0_10ReciprocalIfEEEEEvT_T0_DpT1_
                                        ; -- End function
	.set _ZN2at6native12_GLOBAL__N_125multi_tensor_apply_kernelINS1_18TensorListMetadataILi2EEENS1_14UnaryOpFunctorIfLi2ELi1ELi1EEEJNS0_10ReciprocalIfEEEEEvT_T0_DpT1_.num_vgpr, 37
	.set _ZN2at6native12_GLOBAL__N_125multi_tensor_apply_kernelINS1_18TensorListMetadataILi2EEENS1_14UnaryOpFunctorIfLi2ELi1ELi1EEEJNS0_10ReciprocalIfEEEEEvT_T0_DpT1_.num_agpr, 0
	.set _ZN2at6native12_GLOBAL__N_125multi_tensor_apply_kernelINS1_18TensorListMetadataILi2EEENS1_14UnaryOpFunctorIfLi2ELi1ELi1EEEJNS0_10ReciprocalIfEEEEEvT_T0_DpT1_.numbered_sgpr, 23
	.set _ZN2at6native12_GLOBAL__N_125multi_tensor_apply_kernelINS1_18TensorListMetadataILi2EEENS1_14UnaryOpFunctorIfLi2ELi1ELi1EEEJNS0_10ReciprocalIfEEEEEvT_T0_DpT1_.num_named_barrier, 0
	.set _ZN2at6native12_GLOBAL__N_125multi_tensor_apply_kernelINS1_18TensorListMetadataILi2EEENS1_14UnaryOpFunctorIfLi2ELi1ELi1EEEJNS0_10ReciprocalIfEEEEEvT_T0_DpT1_.private_seg_size, 0
	.set _ZN2at6native12_GLOBAL__N_125multi_tensor_apply_kernelINS1_18TensorListMetadataILi2EEENS1_14UnaryOpFunctorIfLi2ELi1ELi1EEEJNS0_10ReciprocalIfEEEEEvT_T0_DpT1_.uses_vcc, 1
	.set _ZN2at6native12_GLOBAL__N_125multi_tensor_apply_kernelINS1_18TensorListMetadataILi2EEENS1_14UnaryOpFunctorIfLi2ELi1ELi1EEEJNS0_10ReciprocalIfEEEEEvT_T0_DpT1_.uses_flat_scratch, 0
	.set _ZN2at6native12_GLOBAL__N_125multi_tensor_apply_kernelINS1_18TensorListMetadataILi2EEENS1_14UnaryOpFunctorIfLi2ELi1ELi1EEEJNS0_10ReciprocalIfEEEEEvT_T0_DpT1_.has_dyn_sized_stack, 0
	.set _ZN2at6native12_GLOBAL__N_125multi_tensor_apply_kernelINS1_18TensorListMetadataILi2EEENS1_14UnaryOpFunctorIfLi2ELi1ELi1EEEJNS0_10ReciprocalIfEEEEEvT_T0_DpT1_.has_recursion, 0
	.set _ZN2at6native12_GLOBAL__N_125multi_tensor_apply_kernelINS1_18TensorListMetadataILi2EEENS1_14UnaryOpFunctorIfLi2ELi1ELi1EEEJNS0_10ReciprocalIfEEEEEvT_T0_DpT1_.has_indirect_call, 0
	.section	.AMDGPU.csdata,"",@progbits
; Kernel info:
; codeLenInByte = 1772
; TotalNumSgprs: 25
; NumVgprs: 37
; ScratchSize: 0
; MemoryBound: 0
; FloatMode: 240
; IeeeMode: 1
; LDSByteSize: 0 bytes/workgroup (compile time only)
; SGPRBlocks: 0
; VGPRBlocks: 2
; NumSGPRsForWavesPerEU: 25
; NumVGPRsForWavesPerEU: 37
; NamedBarCnt: 0
; Occupancy: 16
; WaveLimiterHint : 0
; COMPUTE_PGM_RSRC2:SCRATCH_EN: 0
; COMPUTE_PGM_RSRC2:USER_SGPR: 2
; COMPUTE_PGM_RSRC2:TRAP_HANDLER: 0
; COMPUTE_PGM_RSRC2:TGID_X_EN: 1
; COMPUTE_PGM_RSRC2:TGID_Y_EN: 0
; COMPUTE_PGM_RSRC2:TGID_Z_EN: 0
; COMPUTE_PGM_RSRC2:TIDIG_COMP_CNT: 0
	.section	.text._ZN2at6native12_GLOBAL__N_125multi_tensor_apply_kernelINS1_18TensorListMetadataILi2EEENS1_14UnaryOpFunctorIN3c107complexIdEELi2ELi1ELi1EEEJNS0_10ReciprocalIS8_EEEEEvT_T0_DpT1_,"axG",@progbits,_ZN2at6native12_GLOBAL__N_125multi_tensor_apply_kernelINS1_18TensorListMetadataILi2EEENS1_14UnaryOpFunctorIN3c107complexIdEELi2ELi1ELi1EEEJNS0_10ReciprocalIS8_EEEEEvT_T0_DpT1_,comdat
	.globl	_ZN2at6native12_GLOBAL__N_125multi_tensor_apply_kernelINS1_18TensorListMetadataILi2EEENS1_14UnaryOpFunctorIN3c107complexIdEELi2ELi1ELi1EEEJNS0_10ReciprocalIS8_EEEEEvT_T0_DpT1_ ; -- Begin function _ZN2at6native12_GLOBAL__N_125multi_tensor_apply_kernelINS1_18TensorListMetadataILi2EEENS1_14UnaryOpFunctorIN3c107complexIdEELi2ELi1ELi1EEEJNS0_10ReciprocalIS8_EEEEEvT_T0_DpT1_
	.p2align	8
	.type	_ZN2at6native12_GLOBAL__N_125multi_tensor_apply_kernelINS1_18TensorListMetadataILi2EEENS1_14UnaryOpFunctorIN3c107complexIdEELi2ELi1ELi1EEEJNS0_10ReciprocalIS8_EEEEEvT_T0_DpT1_,@function
_ZN2at6native12_GLOBAL__N_125multi_tensor_apply_kernelINS1_18TensorListMetadataILi2EEENS1_14UnaryOpFunctorIN3c107complexIdEELi2ELi1ELi1EEEJNS0_10ReciprocalIS8_EEEEEvT_T0_DpT1_: ; @_ZN2at6native12_GLOBAL__N_125multi_tensor_apply_kernelINS1_18TensorListMetadataILi2EEENS1_14UnaryOpFunctorIN3c107complexIdEELi2ELi1ELi1EEEJNS0_10ReciprocalIS8_EEEEEvT_T0_DpT1_
; %bb.0:
	s_bfe_u32 s2, ttmp6, 0x4000c
	s_and_b32 s3, ttmp6, 15
	s_add_co_i32 s2, s2, 1
	s_getreg_b32 s4, hwreg(HW_REG_IB_STS2, 6, 4)
	s_mul_i32 s2, ttmp9, s2
	s_delay_alu instid0(SALU_CYCLE_1) | instskip(SKIP_3) | instid1(SALU_CYCLE_1)
	s_add_co_i32 s2, s3, s2
	s_cmp_eq_u32 s4, 0
	s_mov_b32 s3, 0
	s_cselect_b32 s2, ttmp9, s2
	s_add_nc_u64 s[4:5], s[0:1], s[2:3]
	s_mul_u64 s[6:7], s[2:3], 3
	s_delay_alu instid0(SALU_CYCLE_1)
	s_add_nc_u64 s[4:5], s[4:5], s[6:7]
	s_clause 0x1
	s_load_b32 s14, s[4:5], 0x740
	s_load_u8 s6, s[0:1], s2 offset:0x600
	s_wait_kmcnt 0x0
	s_clause 0x3
	s_load_b64 s[4:5], s[0:1], s6 offset:0x0 scale_offset
	s_load_b64 s[12:13], s[0:1], s6 offset:0x200 scale_offset
	;; [unrolled: 1-line block ×3, first 2 shown]
	s_load_b128 s[8:11], s[0:1], 0xc50
	s_ashr_i32 s15, s14, 31
	s_delay_alu instid0(SALU_CYCLE_1)
	s_lshl_b64 s[18:19], s[14:15], 20
	s_lshl_b64 s[14:15], s[14:15], 16
	s_wait_kmcnt 0x0
	s_add_nc_u64 s[6:7], s[4:5], s[18:19]
	s_add_nc_u64 s[12:13], s[12:13], s[18:19]
	s_and_b32 s4, s16, 3
	s_and_b64 s[18:19], s[12:13], 63
	s_mov_b32 s5, s3
	s_and_b32 s2, s6, 63
	s_or_b64 s[4:5], s[18:19], s[4:5]
	s_delay_alu instid0(SALU_CYCLE_1)
	s_or_b64 s[2:3], s[4:5], s[2:3]
	s_sub_nc_u64 s[4:5], s[16:17], s[14:15]
	s_cmp_eq_u64 s[2:3], 0
	s_mov_b32 s2, -1
	s_cbranch_scc0 .LBB275_37
; %bb.1:
	v_min_i64 v[22:23], 0x10000, s[4:5]
	v_dual_mov_b32 v25, 0 :: v_dual_lshlrev_b32 v24, 2, v0
	s_mov_b32 s3, exec_lo
	s_delay_alu instid0(VALU_DEP_1)
	v_cmpx_lt_i64_e64 v[24:25], v[22:23]
	s_cbranch_execz .LBB275_36
; %bb.2:
	s_load_b32 s2, s[0:1], 0xc6c
	v_dual_mov_b32 v1, v25 :: v_dual_lshlrev_b32 v24, 6, v0
	s_mov_b32 s15, 0
	s_mov_b64 s[16:17], s[6:7]
	s_mov_b32 s19, s15
	s_delay_alu instid0(VALU_DEP_1) | instskip(SKIP_4) | instid1(SALU_CYCLE_1)
	v_mov_b64_e32 v[26:27], v[0:1]
	s_mov_b32 s22, s15
	s_mov_b64 s[20:21], s[12:13]
	s_wait_kmcnt 0x0
	s_and_b32 s14, s2, 0xffff
	s_lshl_b32 s18, s14, 6
	s_branch .LBB275_4
.LBB275_3:                              ;   in Loop: Header=BB275_4 Depth=1
	s_or_b32 exec_lo, exec_lo, s2
	v_add_nc_u64_e32 v[26:27], s[14:15], v[26:27]
	v_add_nc_u64_e32 v[4:5], s[20:21], v[24:25]
	s_add_nc_u64 s[20:21], s[20:21], s[18:19]
	s_add_nc_u64 s[16:17], s[16:17], s[18:19]
	s_clause 0x1
	global_store_b128 v[4:5], v[6:9], off
	global_store_b128 v[4:5], v[14:17], off offset:16
	v_lshlrev_b64_e32 v[2:3], 2, v[26:27]
	s_clause 0x1
	global_store_b128 v[4:5], v[18:21], off offset:32
	global_store_b128 v[4:5], v[10:13], off offset:48
	v_cmp_ge_i64_e32 vcc_lo, v[2:3], v[22:23]
	s_or_b32 s22, vcc_lo, s22
	s_wait_xcnt 0x0
	s_and_not1_b32 exec_lo, exec_lo, s22
	s_cbranch_execz .LBB275_36
.LBB275_4:                              ; =>This Inner Loop Header: Depth=1
	v_add_nc_u64_e32 v[6:7], s[16:17], v[24:25]
	s_mov_b32 s2, exec_lo
	s_clause 0x3
	global_load_b128 v[14:17], v[6:7], off
	global_load_b128 v[18:21], v[6:7], off offset:16
	global_load_b128 v[2:5], v[6:7], off offset:48
	;; [unrolled: 1-line block ×3, first 2 shown]
	s_wait_loadcnt 0x3
	v_cmp_gt_f64_e32 vcc_lo, 0, v[14:15]
	v_xor_b32_e32 v1, 0x80000000, v15
	v_mov_b32_e32 v28, v14
	s_wait_xcnt 0x0
	v_xor_b32_e32 v6, 0x80000000, v17
	s_delay_alu instid0(VALU_DEP_3) | instskip(SKIP_1) | instid1(VALU_DEP_3)
	v_dual_mov_b32 v30, v16 :: v_dual_cndmask_b32 v29, v15, v1
	v_cmp_gt_f64_e32 vcc_lo, 0, v[16:17]
	v_cndmask_b32_e32 v31, v17, v6, vcc_lo
                                        ; implicit-def: $vgpr8_vgpr9
	s_delay_alu instid0(VALU_DEP_1)
	v_cmpx_ge_f64_e32 v[28:29], v[30:31]
	s_xor_b32 s23, exec_lo, s2
	s_cbranch_execz .LBB275_10
; %bb.5:                                ;   in Loop: Header=BB275_4 Depth=1
	v_cmp_neq_f64_e32 vcc_lo, 0, v[14:15]
	v_cmp_neq_f64_e64 s2, 0, v[16:17]
                                        ; implicit-def: $vgpr8_vgpr9
	s_or_b32 s2, vcc_lo, s2
	s_delay_alu instid0(SALU_CYCLE_1) | instskip(NEXT) | instid1(SALU_CYCLE_1)
	s_and_saveexec_b32 s24, s2
	s_xor_b32 s2, exec_lo, s24
	s_cbranch_execz .LBB275_7
; %bb.6:                                ;   in Loop: Header=BB275_4 Depth=1
	v_div_scale_f64 v[6:7], null, v[14:15], v[14:15], v[16:17]
	v_div_scale_f64 v[30:31], vcc_lo, v[16:17], v[14:15], v[16:17]
	s_delay_alu instid0(VALU_DEP_2) | instskip(SKIP_1) | instid1(TRANS32_DEP_1)
	v_rcp_f64_e32 v[8:9], v[6:7]
	v_nop
	v_fma_f64 v[28:29], -v[6:7], v[8:9], 1.0
	s_delay_alu instid0(VALU_DEP_1) | instskip(NEXT) | instid1(VALU_DEP_1)
	v_fmac_f64_e32 v[8:9], v[8:9], v[28:29]
	v_fma_f64 v[28:29], -v[6:7], v[8:9], 1.0
	s_delay_alu instid0(VALU_DEP_1) | instskip(NEXT) | instid1(VALU_DEP_1)
	v_fmac_f64_e32 v[8:9], v[8:9], v[28:29]
	v_mul_f64_e32 v[28:29], v[30:31], v[8:9]
	s_delay_alu instid0(VALU_DEP_1) | instskip(NEXT) | instid1(VALU_DEP_1)
	v_fma_f64 v[6:7], -v[6:7], v[28:29], v[30:31]
	v_div_fmas_f64 v[6:7], v[6:7], v[8:9], v[28:29]
	s_delay_alu instid0(VALU_DEP_1) | instskip(NEXT) | instid1(VALU_DEP_1)
	v_div_fixup_f64 v[6:7], v[6:7], v[14:15], v[16:17]
	v_fmac_f64_e32 v[14:15], v[16:17], v[6:7]
	s_delay_alu instid0(VALU_DEP_1) | instskip(SKIP_1) | instid1(VALU_DEP_2)
	v_div_scale_f64 v[8:9], null, v[14:15], v[14:15], 1.0
	v_div_scale_f64 v[30:31], vcc_lo, 1.0, v[14:15], 1.0
	v_rcp_f64_e32 v[16:17], v[8:9]
	v_nop
	s_delay_alu instid0(TRANS32_DEP_1) | instskip(NEXT) | instid1(VALU_DEP_1)
	v_fma_f64 v[28:29], -v[8:9], v[16:17], 1.0
	v_fmac_f64_e32 v[16:17], v[16:17], v[28:29]
	s_delay_alu instid0(VALU_DEP_1) | instskip(NEXT) | instid1(VALU_DEP_1)
	v_fma_f64 v[28:29], -v[8:9], v[16:17], 1.0
	v_fmac_f64_e32 v[16:17], v[16:17], v[28:29]
	s_delay_alu instid0(VALU_DEP_1) | instskip(NEXT) | instid1(VALU_DEP_1)
	v_mul_f64_e32 v[28:29], v[30:31], v[16:17]
	v_fma_f64 v[8:9], -v[8:9], v[28:29], v[30:31]
                                        ; implicit-def: $vgpr30_vgpr31
	s_delay_alu instid0(VALU_DEP_1) | instskip(SKIP_1) | instid1(VALU_DEP_2)
	v_div_fmas_f64 v[8:9], v[8:9], v[16:17], v[28:29]
	v_fma_f64 v[16:17], s[10:11], v[6:7], s[8:9]
                                        ; implicit-def: $vgpr28_vgpr29
	v_div_fixup_f64 v[8:9], v[8:9], v[14:15], 1.0
	v_fma_f64 v[14:15], -s[8:9], v[6:7], s[10:11]
	s_delay_alu instid0(VALU_DEP_2) | instskip(NEXT) | instid1(VALU_DEP_2)
	v_mul_f64_e32 v[6:7], v[16:17], v[8:9]
	v_mul_f64_e32 v[8:9], v[14:15], v[8:9]
.LBB275_7:                              ;   in Loop: Header=BB275_4 Depth=1
	s_and_not1_saveexec_b32 s24, s2
	s_cbranch_execz .LBB275_9
; %bb.8:                                ;   in Loop: Header=BB275_4 Depth=1
	v_div_scale_f64 v[6:7], null, v[28:29], v[28:29], s[8:9]
	v_div_scale_f64 v[8:9], null, v[30:31], v[30:31], s[10:11]
	v_div_scale_f64 v[36:37], vcc_lo, s[8:9], v[28:29], s[8:9]
	s_delay_alu instid0(VALU_DEP_3) | instskip(NEXT) | instid1(VALU_DEP_2)
	v_rcp_f64_e32 v[14:15], v[6:7]
	v_rcp_f64_e32 v[16:17], v[8:9]
	s_delay_alu instid0(TRANS32_DEP_2) | instskip(NEXT) | instid1(TRANS32_DEP_1)
	v_fma_f64 v[32:33], -v[6:7], v[14:15], 1.0
	v_fma_f64 v[34:35], -v[8:9], v[16:17], 1.0
	s_delay_alu instid0(VALU_DEP_2) | instskip(NEXT) | instid1(VALU_DEP_2)
	v_fmac_f64_e32 v[14:15], v[14:15], v[32:33]
	v_fmac_f64_e32 v[16:17], v[16:17], v[34:35]
	s_delay_alu instid0(VALU_DEP_2) | instskip(NEXT) | instid1(VALU_DEP_2)
	v_fma_f64 v[32:33], -v[6:7], v[14:15], 1.0
	v_fma_f64 v[34:35], -v[8:9], v[16:17], 1.0
	s_delay_alu instid0(VALU_DEP_2) | instskip(SKIP_1) | instid1(VALU_DEP_3)
	v_fmac_f64_e32 v[14:15], v[14:15], v[32:33]
	v_div_scale_f64 v[32:33], s2, s[10:11], v[30:31], s[10:11]
	v_fmac_f64_e32 v[16:17], v[16:17], v[34:35]
	s_delay_alu instid0(VALU_DEP_3) | instskip(NEXT) | instid1(VALU_DEP_2)
	v_mul_f64_e32 v[34:35], v[36:37], v[14:15]
	v_mul_f64_e32 v[38:39], v[32:33], v[16:17]
	s_delay_alu instid0(VALU_DEP_2) | instskip(NEXT) | instid1(VALU_DEP_2)
	v_fma_f64 v[6:7], -v[6:7], v[34:35], v[36:37]
	v_fma_f64 v[8:9], -v[8:9], v[38:39], v[32:33]
	s_delay_alu instid0(VALU_DEP_2) | instskip(SKIP_1) | instid1(VALU_DEP_2)
	v_div_fmas_f64 v[6:7], v[6:7], v[14:15], v[34:35]
	s_mov_b32 vcc_lo, s2
	v_div_fmas_f64 v[8:9], v[8:9], v[16:17], v[38:39]
	s_delay_alu instid0(VALU_DEP_2) | instskip(NEXT) | instid1(VALU_DEP_2)
	v_div_fixup_f64 v[6:7], v[6:7], v[28:29], s[8:9]
	v_div_fixup_f64 v[8:9], v[8:9], v[30:31], s[10:11]
.LBB275_9:                              ;   in Loop: Header=BB275_4 Depth=1
	s_or_b32 exec_lo, exec_lo, s24
                                        ; implicit-def: $vgpr16_vgpr17
.LBB275_10:                             ;   in Loop: Header=BB275_4 Depth=1
	s_and_not1_saveexec_b32 s2, s23
	s_cbranch_execz .LBB275_12
; %bb.11:                               ;   in Loop: Header=BB275_4 Depth=1
	v_div_scale_f64 v[6:7], null, v[16:17], v[16:17], v[14:15]
	v_div_scale_f64 v[30:31], vcc_lo, v[14:15], v[16:17], v[14:15]
	s_delay_alu instid0(VALU_DEP_2) | instskip(SKIP_1) | instid1(TRANS32_DEP_1)
	v_rcp_f64_e32 v[8:9], v[6:7]
	v_nop
	v_fma_f64 v[28:29], -v[6:7], v[8:9], 1.0
	s_delay_alu instid0(VALU_DEP_1) | instskip(NEXT) | instid1(VALU_DEP_1)
	v_fmac_f64_e32 v[8:9], v[8:9], v[28:29]
	v_fma_f64 v[28:29], -v[6:7], v[8:9], 1.0
	s_delay_alu instid0(VALU_DEP_1) | instskip(NEXT) | instid1(VALU_DEP_1)
	v_fmac_f64_e32 v[8:9], v[8:9], v[28:29]
	v_mul_f64_e32 v[28:29], v[30:31], v[8:9]
	s_delay_alu instid0(VALU_DEP_1) | instskip(NEXT) | instid1(VALU_DEP_1)
	v_fma_f64 v[6:7], -v[6:7], v[28:29], v[30:31]
	v_div_fmas_f64 v[6:7], v[6:7], v[8:9], v[28:29]
	s_delay_alu instid0(VALU_DEP_1) | instskip(NEXT) | instid1(VALU_DEP_1)
	v_div_fixup_f64 v[6:7], v[6:7], v[16:17], v[14:15]
	v_fmac_f64_e32 v[16:17], v[14:15], v[6:7]
	s_delay_alu instid0(VALU_DEP_1) | instskip(SKIP_1) | instid1(VALU_DEP_2)
	v_div_scale_f64 v[8:9], null, v[16:17], v[16:17], 1.0
	v_div_scale_f64 v[30:31], vcc_lo, 1.0, v[16:17], 1.0
	v_rcp_f64_e32 v[14:15], v[8:9]
	v_nop
	s_delay_alu instid0(TRANS32_DEP_1) | instskip(NEXT) | instid1(VALU_DEP_1)
	v_fma_f64 v[28:29], -v[8:9], v[14:15], 1.0
	v_fmac_f64_e32 v[14:15], v[14:15], v[28:29]
	s_delay_alu instid0(VALU_DEP_1) | instskip(NEXT) | instid1(VALU_DEP_1)
	v_fma_f64 v[28:29], -v[8:9], v[14:15], 1.0
	v_fmac_f64_e32 v[14:15], v[14:15], v[28:29]
	s_delay_alu instid0(VALU_DEP_1) | instskip(NEXT) | instid1(VALU_DEP_1)
	v_mul_f64_e32 v[28:29], v[30:31], v[14:15]
	v_fma_f64 v[8:9], -v[8:9], v[28:29], v[30:31]
	s_delay_alu instid0(VALU_DEP_1) | instskip(SKIP_1) | instid1(VALU_DEP_2)
	v_div_fmas_f64 v[8:9], v[8:9], v[14:15], v[28:29]
	v_fma_f64 v[14:15], s[8:9], v[6:7], s[10:11]
	v_div_fixup_f64 v[8:9], v[8:9], v[16:17], 1.0
	v_fma_f64 v[16:17], s[10:11], v[6:7], -s[8:9]
	s_delay_alu instid0(VALU_DEP_2) | instskip(NEXT) | instid1(VALU_DEP_2)
	v_mul_f64_e32 v[6:7], v[14:15], v[8:9]
	v_mul_f64_e32 v[8:9], v[16:17], v[8:9]
.LBB275_12:                             ;   in Loop: Header=BB275_4 Depth=1
	s_or_b32 exec_lo, exec_lo, s2
	s_wait_loadcnt 0x2
	v_cmp_gt_f64_e32 vcc_lo, 0, v[18:19]
	v_xor_b32_e32 v1, 0x80000000, v19
	v_mov_b32_e32 v28, v18
	v_xor_b32_e32 v14, 0x80000000, v21
	s_mov_b32 s2, exec_lo
	s_delay_alu instid0(VALU_DEP_3) | instskip(SKIP_1) | instid1(VALU_DEP_3)
	v_dual_mov_b32 v30, v20 :: v_dual_cndmask_b32 v29, v19, v1
	v_cmp_gt_f64_e32 vcc_lo, 0, v[20:21]
	v_cndmask_b32_e32 v31, v21, v14, vcc_lo
                                        ; implicit-def: $vgpr16_vgpr17
	s_delay_alu instid0(VALU_DEP_1)
	v_cmpx_ge_f64_e32 v[28:29], v[30:31]
	s_xor_b32 s23, exec_lo, s2
	s_cbranch_execz .LBB275_18
; %bb.13:                               ;   in Loop: Header=BB275_4 Depth=1
	v_cmp_neq_f64_e32 vcc_lo, 0, v[18:19]
	v_cmp_neq_f64_e64 s2, 0, v[20:21]
                                        ; implicit-def: $vgpr16_vgpr17
	s_or_b32 s2, vcc_lo, s2
	s_delay_alu instid0(SALU_CYCLE_1) | instskip(NEXT) | instid1(SALU_CYCLE_1)
	s_and_saveexec_b32 s24, s2
	s_xor_b32 s2, exec_lo, s24
	s_cbranch_execz .LBB275_15
; %bb.14:                               ;   in Loop: Header=BB275_4 Depth=1
	v_div_scale_f64 v[14:15], null, v[18:19], v[18:19], v[20:21]
	v_div_scale_f64 v[30:31], vcc_lo, v[20:21], v[18:19], v[20:21]
	s_delay_alu instid0(VALU_DEP_2) | instskip(SKIP_1) | instid1(TRANS32_DEP_1)
	v_rcp_f64_e32 v[16:17], v[14:15]
	v_nop
	v_fma_f64 v[28:29], -v[14:15], v[16:17], 1.0
	s_delay_alu instid0(VALU_DEP_1) | instskip(NEXT) | instid1(VALU_DEP_1)
	v_fmac_f64_e32 v[16:17], v[16:17], v[28:29]
	v_fma_f64 v[28:29], -v[14:15], v[16:17], 1.0
	s_delay_alu instid0(VALU_DEP_1) | instskip(NEXT) | instid1(VALU_DEP_1)
	v_fmac_f64_e32 v[16:17], v[16:17], v[28:29]
	v_mul_f64_e32 v[28:29], v[30:31], v[16:17]
	s_delay_alu instid0(VALU_DEP_1) | instskip(NEXT) | instid1(VALU_DEP_1)
	v_fma_f64 v[14:15], -v[14:15], v[28:29], v[30:31]
	v_div_fmas_f64 v[14:15], v[14:15], v[16:17], v[28:29]
	s_delay_alu instid0(VALU_DEP_1) | instskip(NEXT) | instid1(VALU_DEP_1)
	v_div_fixup_f64 v[14:15], v[14:15], v[18:19], v[20:21]
	v_fmac_f64_e32 v[18:19], v[20:21], v[14:15]
	s_delay_alu instid0(VALU_DEP_1) | instskip(SKIP_1) | instid1(VALU_DEP_2)
	v_div_scale_f64 v[16:17], null, v[18:19], v[18:19], 1.0
	v_div_scale_f64 v[30:31], vcc_lo, 1.0, v[18:19], 1.0
	v_rcp_f64_e32 v[20:21], v[16:17]
	v_nop
	s_delay_alu instid0(TRANS32_DEP_1) | instskip(NEXT) | instid1(VALU_DEP_1)
	v_fma_f64 v[28:29], -v[16:17], v[20:21], 1.0
	v_fmac_f64_e32 v[20:21], v[20:21], v[28:29]
	s_delay_alu instid0(VALU_DEP_1) | instskip(NEXT) | instid1(VALU_DEP_1)
	v_fma_f64 v[28:29], -v[16:17], v[20:21], 1.0
	v_fmac_f64_e32 v[20:21], v[20:21], v[28:29]
	s_delay_alu instid0(VALU_DEP_1) | instskip(NEXT) | instid1(VALU_DEP_1)
	v_mul_f64_e32 v[28:29], v[30:31], v[20:21]
	v_fma_f64 v[16:17], -v[16:17], v[28:29], v[30:31]
                                        ; implicit-def: $vgpr30_vgpr31
	s_delay_alu instid0(VALU_DEP_1) | instskip(SKIP_1) | instid1(VALU_DEP_2)
	v_div_fmas_f64 v[16:17], v[16:17], v[20:21], v[28:29]
	v_fma_f64 v[20:21], s[10:11], v[14:15], s[8:9]
                                        ; implicit-def: $vgpr28_vgpr29
	v_div_fixup_f64 v[16:17], v[16:17], v[18:19], 1.0
	v_fma_f64 v[18:19], -s[8:9], v[14:15], s[10:11]
	s_delay_alu instid0(VALU_DEP_2) | instskip(NEXT) | instid1(VALU_DEP_2)
	v_mul_f64_e32 v[14:15], v[20:21], v[16:17]
	v_mul_f64_e32 v[16:17], v[18:19], v[16:17]
.LBB275_15:                             ;   in Loop: Header=BB275_4 Depth=1
	s_and_not1_saveexec_b32 s24, s2
	s_cbranch_execz .LBB275_17
; %bb.16:                               ;   in Loop: Header=BB275_4 Depth=1
	v_div_scale_f64 v[14:15], null, v[28:29], v[28:29], s[8:9]
	v_div_scale_f64 v[16:17], null, v[30:31], v[30:31], s[10:11]
	v_div_scale_f64 v[36:37], vcc_lo, s[8:9], v[28:29], s[8:9]
	s_delay_alu instid0(VALU_DEP_3) | instskip(NEXT) | instid1(VALU_DEP_2)
	v_rcp_f64_e32 v[18:19], v[14:15]
	v_rcp_f64_e32 v[20:21], v[16:17]
	s_delay_alu instid0(TRANS32_DEP_2) | instskip(NEXT) | instid1(TRANS32_DEP_1)
	v_fma_f64 v[32:33], -v[14:15], v[18:19], 1.0
	v_fma_f64 v[34:35], -v[16:17], v[20:21], 1.0
	s_delay_alu instid0(VALU_DEP_2) | instskip(NEXT) | instid1(VALU_DEP_2)
	v_fmac_f64_e32 v[18:19], v[18:19], v[32:33]
	v_fmac_f64_e32 v[20:21], v[20:21], v[34:35]
	s_delay_alu instid0(VALU_DEP_2) | instskip(NEXT) | instid1(VALU_DEP_2)
	v_fma_f64 v[32:33], -v[14:15], v[18:19], 1.0
	v_fma_f64 v[34:35], -v[16:17], v[20:21], 1.0
	s_delay_alu instid0(VALU_DEP_2) | instskip(SKIP_1) | instid1(VALU_DEP_3)
	v_fmac_f64_e32 v[18:19], v[18:19], v[32:33]
	v_div_scale_f64 v[32:33], s2, s[10:11], v[30:31], s[10:11]
	v_fmac_f64_e32 v[20:21], v[20:21], v[34:35]
	s_delay_alu instid0(VALU_DEP_3) | instskip(NEXT) | instid1(VALU_DEP_2)
	v_mul_f64_e32 v[34:35], v[36:37], v[18:19]
	v_mul_f64_e32 v[38:39], v[32:33], v[20:21]
	s_delay_alu instid0(VALU_DEP_2) | instskip(NEXT) | instid1(VALU_DEP_2)
	v_fma_f64 v[14:15], -v[14:15], v[34:35], v[36:37]
	v_fma_f64 v[16:17], -v[16:17], v[38:39], v[32:33]
	s_delay_alu instid0(VALU_DEP_2) | instskip(SKIP_1) | instid1(VALU_DEP_2)
	v_div_fmas_f64 v[14:15], v[14:15], v[18:19], v[34:35]
	s_mov_b32 vcc_lo, s2
	v_div_fmas_f64 v[16:17], v[16:17], v[20:21], v[38:39]
	s_delay_alu instid0(VALU_DEP_2) | instskip(NEXT) | instid1(VALU_DEP_2)
	v_div_fixup_f64 v[14:15], v[14:15], v[28:29], s[8:9]
	v_div_fixup_f64 v[16:17], v[16:17], v[30:31], s[10:11]
.LBB275_17:                             ;   in Loop: Header=BB275_4 Depth=1
	s_or_b32 exec_lo, exec_lo, s24
                                        ; implicit-def: $vgpr20_vgpr21
.LBB275_18:                             ;   in Loop: Header=BB275_4 Depth=1
	s_and_not1_saveexec_b32 s2, s23
	s_cbranch_execz .LBB275_20
; %bb.19:                               ;   in Loop: Header=BB275_4 Depth=1
	v_div_scale_f64 v[14:15], null, v[20:21], v[20:21], v[18:19]
	v_div_scale_f64 v[30:31], vcc_lo, v[18:19], v[20:21], v[18:19]
	s_delay_alu instid0(VALU_DEP_2) | instskip(SKIP_1) | instid1(TRANS32_DEP_1)
	v_rcp_f64_e32 v[16:17], v[14:15]
	v_nop
	v_fma_f64 v[28:29], -v[14:15], v[16:17], 1.0
	s_delay_alu instid0(VALU_DEP_1) | instskip(NEXT) | instid1(VALU_DEP_1)
	v_fmac_f64_e32 v[16:17], v[16:17], v[28:29]
	v_fma_f64 v[28:29], -v[14:15], v[16:17], 1.0
	s_delay_alu instid0(VALU_DEP_1) | instskip(NEXT) | instid1(VALU_DEP_1)
	v_fmac_f64_e32 v[16:17], v[16:17], v[28:29]
	v_mul_f64_e32 v[28:29], v[30:31], v[16:17]
	s_delay_alu instid0(VALU_DEP_1) | instskip(NEXT) | instid1(VALU_DEP_1)
	v_fma_f64 v[14:15], -v[14:15], v[28:29], v[30:31]
	v_div_fmas_f64 v[14:15], v[14:15], v[16:17], v[28:29]
	s_delay_alu instid0(VALU_DEP_1) | instskip(NEXT) | instid1(VALU_DEP_1)
	v_div_fixup_f64 v[14:15], v[14:15], v[20:21], v[18:19]
	v_fmac_f64_e32 v[20:21], v[18:19], v[14:15]
	s_delay_alu instid0(VALU_DEP_1) | instskip(SKIP_1) | instid1(VALU_DEP_2)
	v_div_scale_f64 v[16:17], null, v[20:21], v[20:21], 1.0
	v_div_scale_f64 v[30:31], vcc_lo, 1.0, v[20:21], 1.0
	v_rcp_f64_e32 v[18:19], v[16:17]
	v_nop
	s_delay_alu instid0(TRANS32_DEP_1) | instskip(NEXT) | instid1(VALU_DEP_1)
	v_fma_f64 v[28:29], -v[16:17], v[18:19], 1.0
	v_fmac_f64_e32 v[18:19], v[18:19], v[28:29]
	s_delay_alu instid0(VALU_DEP_1) | instskip(NEXT) | instid1(VALU_DEP_1)
	v_fma_f64 v[28:29], -v[16:17], v[18:19], 1.0
	v_fmac_f64_e32 v[18:19], v[18:19], v[28:29]
	s_delay_alu instid0(VALU_DEP_1) | instskip(NEXT) | instid1(VALU_DEP_1)
	v_mul_f64_e32 v[28:29], v[30:31], v[18:19]
	v_fma_f64 v[16:17], -v[16:17], v[28:29], v[30:31]
	s_delay_alu instid0(VALU_DEP_1) | instskip(SKIP_1) | instid1(VALU_DEP_2)
	v_div_fmas_f64 v[16:17], v[16:17], v[18:19], v[28:29]
	v_fma_f64 v[18:19], s[8:9], v[14:15], s[10:11]
	v_div_fixup_f64 v[16:17], v[16:17], v[20:21], 1.0
	v_fma_f64 v[20:21], s[10:11], v[14:15], -s[8:9]
	s_delay_alu instid0(VALU_DEP_2) | instskip(NEXT) | instid1(VALU_DEP_2)
	v_mul_f64_e32 v[14:15], v[18:19], v[16:17]
	v_mul_f64_e32 v[16:17], v[20:21], v[16:17]
.LBB275_20:                             ;   in Loop: Header=BB275_4 Depth=1
	s_or_b32 exec_lo, exec_lo, s2
	s_wait_loadcnt 0x0
	v_cmp_gt_f64_e32 vcc_lo, 0, v[10:11]
	v_xor_b32_e32 v1, 0x80000000, v11
	v_mov_b32_e32 v28, v10
	v_xor_b32_e32 v18, 0x80000000, v13
	s_mov_b32 s2, exec_lo
	s_delay_alu instid0(VALU_DEP_3) | instskip(SKIP_1) | instid1(VALU_DEP_3)
	v_dual_mov_b32 v30, v12 :: v_dual_cndmask_b32 v29, v11, v1
	v_cmp_gt_f64_e32 vcc_lo, 0, v[12:13]
	v_cndmask_b32_e32 v31, v13, v18, vcc_lo
                                        ; implicit-def: $vgpr20_vgpr21
	s_delay_alu instid0(VALU_DEP_1)
	v_cmpx_ge_f64_e32 v[28:29], v[30:31]
	s_xor_b32 s23, exec_lo, s2
	s_cbranch_execz .LBB275_26
; %bb.21:                               ;   in Loop: Header=BB275_4 Depth=1
	v_cmp_neq_f64_e32 vcc_lo, 0, v[10:11]
	v_cmp_neq_f64_e64 s2, 0, v[12:13]
                                        ; implicit-def: $vgpr20_vgpr21
	s_or_b32 s2, vcc_lo, s2
	s_delay_alu instid0(SALU_CYCLE_1) | instskip(NEXT) | instid1(SALU_CYCLE_1)
	s_and_saveexec_b32 s24, s2
	s_xor_b32 s2, exec_lo, s24
	s_cbranch_execz .LBB275_23
; %bb.22:                               ;   in Loop: Header=BB275_4 Depth=1
	v_div_scale_f64 v[18:19], null, v[10:11], v[10:11], v[12:13]
	v_div_scale_f64 v[30:31], vcc_lo, v[12:13], v[10:11], v[12:13]
	s_delay_alu instid0(VALU_DEP_2) | instskip(SKIP_1) | instid1(TRANS32_DEP_1)
	v_rcp_f64_e32 v[20:21], v[18:19]
	v_nop
	v_fma_f64 v[28:29], -v[18:19], v[20:21], 1.0
	s_delay_alu instid0(VALU_DEP_1) | instskip(NEXT) | instid1(VALU_DEP_1)
	v_fmac_f64_e32 v[20:21], v[20:21], v[28:29]
	v_fma_f64 v[28:29], -v[18:19], v[20:21], 1.0
	s_delay_alu instid0(VALU_DEP_1) | instskip(NEXT) | instid1(VALU_DEP_1)
	v_fmac_f64_e32 v[20:21], v[20:21], v[28:29]
	v_mul_f64_e32 v[28:29], v[30:31], v[20:21]
	s_delay_alu instid0(VALU_DEP_1) | instskip(NEXT) | instid1(VALU_DEP_1)
	v_fma_f64 v[18:19], -v[18:19], v[28:29], v[30:31]
	v_div_fmas_f64 v[18:19], v[18:19], v[20:21], v[28:29]
	s_delay_alu instid0(VALU_DEP_1) | instskip(NEXT) | instid1(VALU_DEP_1)
	v_div_fixup_f64 v[18:19], v[18:19], v[10:11], v[12:13]
	v_fmac_f64_e32 v[10:11], v[12:13], v[18:19]
	s_delay_alu instid0(VALU_DEP_1) | instskip(SKIP_1) | instid1(VALU_DEP_2)
	v_div_scale_f64 v[12:13], null, v[10:11], v[10:11], 1.0
	v_div_scale_f64 v[30:31], vcc_lo, 1.0, v[10:11], 1.0
	v_rcp_f64_e32 v[20:21], v[12:13]
	v_nop
	s_delay_alu instid0(TRANS32_DEP_1) | instskip(NEXT) | instid1(VALU_DEP_1)
	v_fma_f64 v[28:29], -v[12:13], v[20:21], 1.0
	v_fmac_f64_e32 v[20:21], v[20:21], v[28:29]
	s_delay_alu instid0(VALU_DEP_1) | instskip(NEXT) | instid1(VALU_DEP_1)
	v_fma_f64 v[28:29], -v[12:13], v[20:21], 1.0
	v_fmac_f64_e32 v[20:21], v[20:21], v[28:29]
	s_delay_alu instid0(VALU_DEP_1) | instskip(NEXT) | instid1(VALU_DEP_1)
	v_mul_f64_e32 v[28:29], v[30:31], v[20:21]
	v_fma_f64 v[12:13], -v[12:13], v[28:29], v[30:31]
                                        ; implicit-def: $vgpr30_vgpr31
	s_delay_alu instid0(VALU_DEP_1) | instskip(SKIP_1) | instid1(VALU_DEP_2)
	v_div_fmas_f64 v[12:13], v[12:13], v[20:21], v[28:29]
	v_fma_f64 v[20:21], s[10:11], v[18:19], s[8:9]
                                        ; implicit-def: $vgpr28_vgpr29
	v_div_fixup_f64 v[10:11], v[12:13], v[10:11], 1.0
	v_fma_f64 v[12:13], -s[8:9], v[18:19], s[10:11]
	s_delay_alu instid0(VALU_DEP_2) | instskip(NEXT) | instid1(VALU_DEP_2)
	v_mul_f64_e32 v[18:19], v[20:21], v[10:11]
	v_mul_f64_e32 v[20:21], v[12:13], v[10:11]
.LBB275_23:                             ;   in Loop: Header=BB275_4 Depth=1
	s_and_not1_saveexec_b32 s24, s2
	s_cbranch_execz .LBB275_25
; %bb.24:                               ;   in Loop: Header=BB275_4 Depth=1
	v_div_scale_f64 v[10:11], null, v[28:29], v[28:29], s[8:9]
	v_div_scale_f64 v[12:13], null, v[30:31], v[30:31], s[10:11]
	v_div_scale_f64 v[36:37], vcc_lo, s[8:9], v[28:29], s[8:9]
	s_delay_alu instid0(VALU_DEP_3) | instskip(NEXT) | instid1(VALU_DEP_2)
	v_rcp_f64_e32 v[18:19], v[10:11]
	v_rcp_f64_e32 v[20:21], v[12:13]
	s_delay_alu instid0(TRANS32_DEP_2) | instskip(NEXT) | instid1(TRANS32_DEP_1)
	v_fma_f64 v[32:33], -v[10:11], v[18:19], 1.0
	v_fma_f64 v[34:35], -v[12:13], v[20:21], 1.0
	s_delay_alu instid0(VALU_DEP_2) | instskip(NEXT) | instid1(VALU_DEP_2)
	v_fmac_f64_e32 v[18:19], v[18:19], v[32:33]
	v_fmac_f64_e32 v[20:21], v[20:21], v[34:35]
	s_delay_alu instid0(VALU_DEP_2) | instskip(NEXT) | instid1(VALU_DEP_2)
	v_fma_f64 v[32:33], -v[10:11], v[18:19], 1.0
	v_fma_f64 v[34:35], -v[12:13], v[20:21], 1.0
	s_delay_alu instid0(VALU_DEP_2) | instskip(SKIP_1) | instid1(VALU_DEP_3)
	v_fmac_f64_e32 v[18:19], v[18:19], v[32:33]
	v_div_scale_f64 v[32:33], s2, s[10:11], v[30:31], s[10:11]
	v_fmac_f64_e32 v[20:21], v[20:21], v[34:35]
	s_delay_alu instid0(VALU_DEP_3) | instskip(NEXT) | instid1(VALU_DEP_2)
	v_mul_f64_e32 v[34:35], v[36:37], v[18:19]
	v_mul_f64_e32 v[38:39], v[32:33], v[20:21]
	s_delay_alu instid0(VALU_DEP_2) | instskip(NEXT) | instid1(VALU_DEP_2)
	v_fma_f64 v[10:11], -v[10:11], v[34:35], v[36:37]
	v_fma_f64 v[12:13], -v[12:13], v[38:39], v[32:33]
	s_delay_alu instid0(VALU_DEP_2) | instskip(SKIP_1) | instid1(VALU_DEP_2)
	v_div_fmas_f64 v[10:11], v[10:11], v[18:19], v[34:35]
	s_mov_b32 vcc_lo, s2
	v_div_fmas_f64 v[12:13], v[12:13], v[20:21], v[38:39]
	s_delay_alu instid0(VALU_DEP_2) | instskip(NEXT) | instid1(VALU_DEP_2)
	v_div_fixup_f64 v[18:19], v[10:11], v[28:29], s[8:9]
	v_div_fixup_f64 v[20:21], v[12:13], v[30:31], s[10:11]
.LBB275_25:                             ;   in Loop: Header=BB275_4 Depth=1
	s_or_b32 exec_lo, exec_lo, s24
                                        ; implicit-def: $vgpr12_vgpr13
.LBB275_26:                             ;   in Loop: Header=BB275_4 Depth=1
	s_and_not1_saveexec_b32 s2, s23
	s_cbranch_execz .LBB275_28
; %bb.27:                               ;   in Loop: Header=BB275_4 Depth=1
	v_div_scale_f64 v[18:19], null, v[12:13], v[12:13], v[10:11]
	v_div_scale_f64 v[30:31], vcc_lo, v[10:11], v[12:13], v[10:11]
	s_delay_alu instid0(VALU_DEP_2) | instskip(SKIP_1) | instid1(TRANS32_DEP_1)
	v_rcp_f64_e32 v[20:21], v[18:19]
	v_nop
	v_fma_f64 v[28:29], -v[18:19], v[20:21], 1.0
	s_delay_alu instid0(VALU_DEP_1) | instskip(NEXT) | instid1(VALU_DEP_1)
	v_fmac_f64_e32 v[20:21], v[20:21], v[28:29]
	v_fma_f64 v[28:29], -v[18:19], v[20:21], 1.0
	s_delay_alu instid0(VALU_DEP_1) | instskip(NEXT) | instid1(VALU_DEP_1)
	v_fmac_f64_e32 v[20:21], v[20:21], v[28:29]
	v_mul_f64_e32 v[28:29], v[30:31], v[20:21]
	s_delay_alu instid0(VALU_DEP_1) | instskip(NEXT) | instid1(VALU_DEP_1)
	v_fma_f64 v[18:19], -v[18:19], v[28:29], v[30:31]
	v_div_fmas_f64 v[18:19], v[18:19], v[20:21], v[28:29]
	s_delay_alu instid0(VALU_DEP_1) | instskip(NEXT) | instid1(VALU_DEP_1)
	v_div_fixup_f64 v[18:19], v[18:19], v[12:13], v[10:11]
	v_fmac_f64_e32 v[12:13], v[10:11], v[18:19]
	s_delay_alu instid0(VALU_DEP_1) | instskip(SKIP_1) | instid1(VALU_DEP_2)
	v_div_scale_f64 v[10:11], null, v[12:13], v[12:13], 1.0
	v_div_scale_f64 v[30:31], vcc_lo, 1.0, v[12:13], 1.0
	v_rcp_f64_e32 v[20:21], v[10:11]
	v_nop
	s_delay_alu instid0(TRANS32_DEP_1) | instskip(NEXT) | instid1(VALU_DEP_1)
	v_fma_f64 v[28:29], -v[10:11], v[20:21], 1.0
	v_fmac_f64_e32 v[20:21], v[20:21], v[28:29]
	s_delay_alu instid0(VALU_DEP_1) | instskip(NEXT) | instid1(VALU_DEP_1)
	v_fma_f64 v[28:29], -v[10:11], v[20:21], 1.0
	v_fmac_f64_e32 v[20:21], v[20:21], v[28:29]
	s_delay_alu instid0(VALU_DEP_1) | instskip(NEXT) | instid1(VALU_DEP_1)
	v_mul_f64_e32 v[28:29], v[30:31], v[20:21]
	v_fma_f64 v[10:11], -v[10:11], v[28:29], v[30:31]
	s_delay_alu instid0(VALU_DEP_1) | instskip(SKIP_1) | instid1(VALU_DEP_2)
	v_div_fmas_f64 v[10:11], v[10:11], v[20:21], v[28:29]
	v_fma_f64 v[20:21], s[8:9], v[18:19], s[10:11]
	v_div_fixup_f64 v[10:11], v[10:11], v[12:13], 1.0
	v_fma_f64 v[12:13], s[10:11], v[18:19], -s[8:9]
	s_delay_alu instid0(VALU_DEP_2) | instskip(NEXT) | instid1(VALU_DEP_2)
	v_mul_f64_e32 v[18:19], v[20:21], v[10:11]
	v_mul_f64_e32 v[20:21], v[12:13], v[10:11]
.LBB275_28:                             ;   in Loop: Header=BB275_4 Depth=1
	s_or_b32 exec_lo, exec_lo, s2
	v_cmp_gt_f64_e32 vcc_lo, 0, v[2:3]
	v_xor_b32_e32 v1, 0x80000000, v3
	v_mov_b32_e32 v28, v2
	v_xor_b32_e32 v10, 0x80000000, v5
	s_mov_b32 s2, exec_lo
	s_delay_alu instid0(VALU_DEP_3) | instskip(SKIP_1) | instid1(VALU_DEP_3)
	v_dual_mov_b32 v30, v4 :: v_dual_cndmask_b32 v29, v3, v1
	v_cmp_gt_f64_e32 vcc_lo, 0, v[4:5]
	v_cndmask_b32_e32 v31, v5, v10, vcc_lo
                                        ; implicit-def: $vgpr12_vgpr13
	s_delay_alu instid0(VALU_DEP_1)
	v_cmpx_ge_f64_e32 v[28:29], v[30:31]
	s_xor_b32 s23, exec_lo, s2
	s_cbranch_execz .LBB275_34
; %bb.29:                               ;   in Loop: Header=BB275_4 Depth=1
	v_cmp_neq_f64_e32 vcc_lo, 0, v[2:3]
	v_cmp_neq_f64_e64 s2, 0, v[4:5]
                                        ; implicit-def: $vgpr12_vgpr13
	s_or_b32 s2, vcc_lo, s2
	s_delay_alu instid0(SALU_CYCLE_1) | instskip(NEXT) | instid1(SALU_CYCLE_1)
	s_and_saveexec_b32 s24, s2
	s_xor_b32 s2, exec_lo, s24
	s_cbranch_execz .LBB275_31
; %bb.30:                               ;   in Loop: Header=BB275_4 Depth=1
	v_div_scale_f64 v[10:11], null, v[2:3], v[2:3], v[4:5]
	v_div_scale_f64 v[30:31], vcc_lo, v[4:5], v[2:3], v[4:5]
	s_delay_alu instid0(VALU_DEP_2) | instskip(SKIP_1) | instid1(TRANS32_DEP_1)
	v_rcp_f64_e32 v[12:13], v[10:11]
	v_nop
	v_fma_f64 v[28:29], -v[10:11], v[12:13], 1.0
	s_delay_alu instid0(VALU_DEP_1) | instskip(NEXT) | instid1(VALU_DEP_1)
	v_fmac_f64_e32 v[12:13], v[12:13], v[28:29]
	v_fma_f64 v[28:29], -v[10:11], v[12:13], 1.0
	s_delay_alu instid0(VALU_DEP_1) | instskip(NEXT) | instid1(VALU_DEP_1)
	v_fmac_f64_e32 v[12:13], v[12:13], v[28:29]
	v_mul_f64_e32 v[28:29], v[30:31], v[12:13]
	s_delay_alu instid0(VALU_DEP_1) | instskip(NEXT) | instid1(VALU_DEP_1)
	v_fma_f64 v[10:11], -v[10:11], v[28:29], v[30:31]
	v_div_fmas_f64 v[10:11], v[10:11], v[12:13], v[28:29]
	s_delay_alu instid0(VALU_DEP_1) | instskip(NEXT) | instid1(VALU_DEP_1)
	v_div_fixup_f64 v[10:11], v[10:11], v[2:3], v[4:5]
	v_fmac_f64_e32 v[2:3], v[4:5], v[10:11]
	s_delay_alu instid0(VALU_DEP_1) | instskip(SKIP_1) | instid1(VALU_DEP_2)
	v_div_scale_f64 v[4:5], null, v[2:3], v[2:3], 1.0
	v_div_scale_f64 v[30:31], vcc_lo, 1.0, v[2:3], 1.0
	v_rcp_f64_e32 v[12:13], v[4:5]
	v_nop
	s_delay_alu instid0(TRANS32_DEP_1) | instskip(NEXT) | instid1(VALU_DEP_1)
	v_fma_f64 v[28:29], -v[4:5], v[12:13], 1.0
	v_fmac_f64_e32 v[12:13], v[12:13], v[28:29]
	s_delay_alu instid0(VALU_DEP_1) | instskip(NEXT) | instid1(VALU_DEP_1)
	v_fma_f64 v[28:29], -v[4:5], v[12:13], 1.0
	v_fmac_f64_e32 v[12:13], v[12:13], v[28:29]
	s_delay_alu instid0(VALU_DEP_1) | instskip(NEXT) | instid1(VALU_DEP_1)
	v_mul_f64_e32 v[28:29], v[30:31], v[12:13]
	v_fma_f64 v[4:5], -v[4:5], v[28:29], v[30:31]
                                        ; implicit-def: $vgpr30_vgpr31
	s_delay_alu instid0(VALU_DEP_1) | instskip(SKIP_1) | instid1(VALU_DEP_2)
	v_div_fmas_f64 v[4:5], v[4:5], v[12:13], v[28:29]
	v_fma_f64 v[12:13], s[10:11], v[10:11], s[8:9]
                                        ; implicit-def: $vgpr28_vgpr29
	v_div_fixup_f64 v[2:3], v[4:5], v[2:3], 1.0
	v_fma_f64 v[4:5], -s[8:9], v[10:11], s[10:11]
	s_delay_alu instid0(VALU_DEP_2) | instskip(NEXT) | instid1(VALU_DEP_2)
	v_mul_f64_e32 v[10:11], v[12:13], v[2:3]
	v_mul_f64_e32 v[12:13], v[4:5], v[2:3]
.LBB275_31:                             ;   in Loop: Header=BB275_4 Depth=1
	s_and_not1_saveexec_b32 s24, s2
	s_cbranch_execz .LBB275_33
; %bb.32:                               ;   in Loop: Header=BB275_4 Depth=1
	v_div_scale_f64 v[2:3], null, v[28:29], v[28:29], s[8:9]
	v_div_scale_f64 v[4:5], null, v[30:31], v[30:31], s[10:11]
	v_div_scale_f64 v[36:37], vcc_lo, s[8:9], v[28:29], s[8:9]
	s_delay_alu instid0(VALU_DEP_3) | instskip(NEXT) | instid1(VALU_DEP_2)
	v_rcp_f64_e32 v[10:11], v[2:3]
	v_rcp_f64_e32 v[12:13], v[4:5]
	s_delay_alu instid0(TRANS32_DEP_2) | instskip(NEXT) | instid1(TRANS32_DEP_1)
	v_fma_f64 v[32:33], -v[2:3], v[10:11], 1.0
	v_fma_f64 v[34:35], -v[4:5], v[12:13], 1.0
	s_delay_alu instid0(VALU_DEP_2) | instskip(NEXT) | instid1(VALU_DEP_2)
	v_fmac_f64_e32 v[10:11], v[10:11], v[32:33]
	v_fmac_f64_e32 v[12:13], v[12:13], v[34:35]
	s_delay_alu instid0(VALU_DEP_2) | instskip(NEXT) | instid1(VALU_DEP_2)
	v_fma_f64 v[32:33], -v[2:3], v[10:11], 1.0
	v_fma_f64 v[34:35], -v[4:5], v[12:13], 1.0
	s_delay_alu instid0(VALU_DEP_2) | instskip(SKIP_1) | instid1(VALU_DEP_3)
	v_fmac_f64_e32 v[10:11], v[10:11], v[32:33]
	v_div_scale_f64 v[32:33], s2, s[10:11], v[30:31], s[10:11]
	v_fmac_f64_e32 v[12:13], v[12:13], v[34:35]
	s_delay_alu instid0(VALU_DEP_3) | instskip(NEXT) | instid1(VALU_DEP_2)
	v_mul_f64_e32 v[34:35], v[36:37], v[10:11]
	v_mul_f64_e32 v[38:39], v[32:33], v[12:13]
	s_delay_alu instid0(VALU_DEP_2) | instskip(NEXT) | instid1(VALU_DEP_2)
	v_fma_f64 v[2:3], -v[2:3], v[34:35], v[36:37]
	v_fma_f64 v[4:5], -v[4:5], v[38:39], v[32:33]
	s_delay_alu instid0(VALU_DEP_2) | instskip(SKIP_1) | instid1(VALU_DEP_2)
	v_div_fmas_f64 v[2:3], v[2:3], v[10:11], v[34:35]
	s_mov_b32 vcc_lo, s2
	v_div_fmas_f64 v[4:5], v[4:5], v[12:13], v[38:39]
	s_delay_alu instid0(VALU_DEP_2) | instskip(NEXT) | instid1(VALU_DEP_2)
	v_div_fixup_f64 v[10:11], v[2:3], v[28:29], s[8:9]
	v_div_fixup_f64 v[12:13], v[4:5], v[30:31], s[10:11]
.LBB275_33:                             ;   in Loop: Header=BB275_4 Depth=1
	s_or_b32 exec_lo, exec_lo, s24
                                        ; implicit-def: $vgpr4_vgpr5
.LBB275_34:                             ;   in Loop: Header=BB275_4 Depth=1
	s_and_not1_saveexec_b32 s2, s23
	s_cbranch_execz .LBB275_3
; %bb.35:                               ;   in Loop: Header=BB275_4 Depth=1
	v_div_scale_f64 v[10:11], null, v[4:5], v[4:5], v[2:3]
	v_div_scale_f64 v[30:31], vcc_lo, v[2:3], v[4:5], v[2:3]
	s_delay_alu instid0(VALU_DEP_2) | instskip(SKIP_1) | instid1(TRANS32_DEP_1)
	v_rcp_f64_e32 v[12:13], v[10:11]
	v_nop
	v_fma_f64 v[28:29], -v[10:11], v[12:13], 1.0
	s_delay_alu instid0(VALU_DEP_1) | instskip(NEXT) | instid1(VALU_DEP_1)
	v_fmac_f64_e32 v[12:13], v[12:13], v[28:29]
	v_fma_f64 v[28:29], -v[10:11], v[12:13], 1.0
	s_delay_alu instid0(VALU_DEP_1) | instskip(NEXT) | instid1(VALU_DEP_1)
	v_fmac_f64_e32 v[12:13], v[12:13], v[28:29]
	v_mul_f64_e32 v[28:29], v[30:31], v[12:13]
	s_delay_alu instid0(VALU_DEP_1) | instskip(NEXT) | instid1(VALU_DEP_1)
	v_fma_f64 v[10:11], -v[10:11], v[28:29], v[30:31]
	v_div_fmas_f64 v[10:11], v[10:11], v[12:13], v[28:29]
	s_delay_alu instid0(VALU_DEP_1) | instskip(NEXT) | instid1(VALU_DEP_1)
	v_div_fixup_f64 v[10:11], v[10:11], v[4:5], v[2:3]
	v_fmac_f64_e32 v[4:5], v[2:3], v[10:11]
	s_delay_alu instid0(VALU_DEP_1) | instskip(SKIP_1) | instid1(VALU_DEP_2)
	v_div_scale_f64 v[2:3], null, v[4:5], v[4:5], 1.0
	v_div_scale_f64 v[30:31], vcc_lo, 1.0, v[4:5], 1.0
	v_rcp_f64_e32 v[12:13], v[2:3]
	v_nop
	s_delay_alu instid0(TRANS32_DEP_1) | instskip(NEXT) | instid1(VALU_DEP_1)
	v_fma_f64 v[28:29], -v[2:3], v[12:13], 1.0
	v_fmac_f64_e32 v[12:13], v[12:13], v[28:29]
	s_delay_alu instid0(VALU_DEP_1) | instskip(NEXT) | instid1(VALU_DEP_1)
	v_fma_f64 v[28:29], -v[2:3], v[12:13], 1.0
	v_fmac_f64_e32 v[12:13], v[12:13], v[28:29]
	s_delay_alu instid0(VALU_DEP_1) | instskip(NEXT) | instid1(VALU_DEP_1)
	v_mul_f64_e32 v[28:29], v[30:31], v[12:13]
	v_fma_f64 v[2:3], -v[2:3], v[28:29], v[30:31]
	s_delay_alu instid0(VALU_DEP_1) | instskip(SKIP_1) | instid1(VALU_DEP_2)
	v_div_fmas_f64 v[2:3], v[2:3], v[12:13], v[28:29]
	v_fma_f64 v[12:13], s[8:9], v[10:11], s[10:11]
	v_div_fixup_f64 v[2:3], v[2:3], v[4:5], 1.0
	v_fma_f64 v[4:5], s[10:11], v[10:11], -s[8:9]
	s_delay_alu instid0(VALU_DEP_2) | instskip(NEXT) | instid1(VALU_DEP_2)
	v_mul_f64_e32 v[10:11], v[12:13], v[2:3]
	v_mul_f64_e32 v[12:13], v[4:5], v[2:3]
	s_branch .LBB275_3
.LBB275_36:
	s_or_b32 exec_lo, exec_lo, s3
	s_mov_b32 s2, 0
.LBB275_37:
	s_delay_alu instid0(SALU_CYCLE_1)
	s_and_not1_b32 vcc_lo, exec_lo, s2
	s_cbranch_vccnz .LBB275_89
; %bb.38:
	v_cmp_lt_i64_e64 s2, s[4:5], 1
	s_and_b32 vcc_lo, exec_lo, s2
	s_cbranch_vccnz .LBB275_89
; %bb.39:
	v_min_i64 v[22:23], 0x10000, s[4:5]
	v_min_u64 v[24:25], 0x10000, s[4:5]
	s_load_b32 s0, s[0:1], 0xc6c
	v_mov_b32_e32 v1, 0
	s_mov_b32 s15, 0
	s_mov_b64 s[22:23], 0
	s_mov_b32 s17, s15
	s_mov_b32 s19, s15
	;; [unrolled: 1-line block ×3, first 2 shown]
	s_wait_kmcnt 0x0
	s_and_b32 s14, s0, 0xffff
	s_delay_alu instid0(SALU_CYCLE_1)
	s_lshl_b32 s16, s14, 1
	s_mul_i32 s18, s14, 3
	s_lshl_b32 s20, s14, 2
	s_branch .LBB275_41
.LBB275_40:                             ;   in Loop: Header=BB275_41 Depth=1
	s_wait_xcnt 0x0
	s_or_b32 exec_lo, exec_lo, s0
	s_add_nc_u64 s[22:23], s[22:23], s[20:21]
	s_delay_alu instid0(SALU_CYCLE_1)
	v_cmp_ge_i64_e32 vcc_lo, s[22:23], v[22:23]
	s_cbranch_vccnz .LBB275_89
.LBB275_41:                             ; =>This Inner Loop Header: Depth=1
	v_add_nc_u64_e32 v[26:27], s[22:23], v[0:1]
	v_mov_b64_e32 v[20:21], 0
	v_mov_b64_e32 v[16:17], 0
	;; [unrolled: 1-line block ×3, first 2 shown]
	s_delay_alu instid0(VALU_DEP_4)
	v_cmp_lt_u64_e64 s0, v[26:27], v[24:25]
	s_and_saveexec_b32 s1, s0
	s_cbranch_execz .LBB275_43
; %bb.42:                               ;   in Loop: Header=BB275_41 Depth=1
	v_lshl_add_u64 v[2:3], v[26:27], 4, s[6:7]
	global_load_b128 v[14:17], v[2:3], off
.LBB275_43:                             ;   in Loop: Header=BB275_41 Depth=1
	s_wait_xcnt 0x0
	s_or_b32 exec_lo, exec_lo, s1
	v_add_nc_u64_e32 v[28:29], s[14:15], v[26:27]
	v_mov_b64_e32 v[18:19], 0
	s_delay_alu instid0(VALU_DEP_2)
	v_cmp_lt_u64_e64 s1, v[28:29], v[24:25]
	s_and_saveexec_b32 s2, s1
	s_cbranch_execz .LBB275_45
; %bb.44:                               ;   in Loop: Header=BB275_41 Depth=1
	v_lshl_add_u64 v[2:3], v[28:29], 4, s[6:7]
	global_load_b128 v[18:21], v[2:3], off
.LBB275_45:                             ;   in Loop: Header=BB275_41 Depth=1
	s_wait_xcnt 0x0
	s_or_b32 exec_lo, exec_lo, s2
	v_add_nc_u64_e32 v[30:31], s[16:17], v[26:27]
	v_mov_b64_e32 v[4:5], 0
	v_mov_b64_e32 v[12:13], 0
	;; [unrolled: 1-line block ×3, first 2 shown]
	s_delay_alu instid0(VALU_DEP_4)
	v_cmp_lt_u64_e64 s2, v[30:31], v[24:25]
	s_and_saveexec_b32 s3, s2
	s_cbranch_execz .LBB275_47
; %bb.46:                               ;   in Loop: Header=BB275_41 Depth=1
	v_lshl_add_u64 v[2:3], v[30:31], 4, s[6:7]
	global_load_b128 v[10:13], v[2:3], off
.LBB275_47:                             ;   in Loop: Header=BB275_41 Depth=1
	s_wait_xcnt 0x0
	s_or_b32 exec_lo, exec_lo, s3
	v_add_nc_u64_e32 v[32:33], s[18:19], v[26:27]
	v_mov_b64_e32 v[2:3], 0
	s_delay_alu instid0(VALU_DEP_2)
	v_cmp_lt_u64_e64 s3, v[32:33], v[24:25]
	s_and_saveexec_b32 s4, s3
	s_cbranch_execz .LBB275_49
; %bb.48:                               ;   in Loop: Header=BB275_41 Depth=1
	v_lshl_add_u64 v[2:3], v[32:33], 4, s[6:7]
	global_load_b128 v[2:5], v[2:3], off
.LBB275_49:                             ;   in Loop: Header=BB275_41 Depth=1
	s_wait_xcnt 0x0
	s_or_b32 exec_lo, exec_lo, s4
	s_wait_loadcnt 0x0
	v_cmp_gt_f64_e32 vcc_lo, 0, v[14:15]
	v_xor_b32_e32 v6, 0x80000000, v15
	v_mov_b32_e32 v34, v14
	v_xor_b32_e32 v7, 0x80000000, v17
	s_mov_b32 s4, exec_lo
	s_delay_alu instid0(VALU_DEP_3) | instskip(SKIP_1) | instid1(VALU_DEP_3)
	v_dual_mov_b32 v36, v16 :: v_dual_cndmask_b32 v35, v15, v6
	v_cmp_gt_f64_e32 vcc_lo, 0, v[16:17]
	v_cndmask_b32_e32 v37, v17, v7, vcc_lo
                                        ; implicit-def: $vgpr8_vgpr9
	s_delay_alu instid0(VALU_DEP_1)
	v_cmpx_ge_f64_e32 v[34:35], v[36:37]
	s_xor_b32 s5, exec_lo, s4
	s_cbranch_execz .LBB275_55
; %bb.50:                               ;   in Loop: Header=BB275_41 Depth=1
	v_cmp_neq_f64_e32 vcc_lo, 0, v[14:15]
	v_cmp_neq_f64_e64 s4, 0, v[16:17]
                                        ; implicit-def: $vgpr8_vgpr9
	s_or_b32 s4, s4, vcc_lo
	s_delay_alu instid0(SALU_CYCLE_1) | instskip(NEXT) | instid1(SALU_CYCLE_1)
	s_and_saveexec_b32 s24, s4
	s_xor_b32 s4, exec_lo, s24
	s_cbranch_execz .LBB275_52
; %bb.51:                               ;   in Loop: Header=BB275_41 Depth=1
	v_div_scale_f64 v[6:7], null, v[14:15], v[14:15], v[16:17]
	v_div_scale_f64 v[36:37], vcc_lo, v[16:17], v[14:15], v[16:17]
	s_delay_alu instid0(VALU_DEP_2) | instskip(SKIP_1) | instid1(TRANS32_DEP_1)
	v_rcp_f64_e32 v[8:9], v[6:7]
	v_nop
	v_fma_f64 v[34:35], -v[6:7], v[8:9], 1.0
	s_delay_alu instid0(VALU_DEP_1) | instskip(NEXT) | instid1(VALU_DEP_1)
	v_fmac_f64_e32 v[8:9], v[8:9], v[34:35]
	v_fma_f64 v[34:35], -v[6:7], v[8:9], 1.0
	s_delay_alu instid0(VALU_DEP_1) | instskip(NEXT) | instid1(VALU_DEP_1)
	v_fmac_f64_e32 v[8:9], v[8:9], v[34:35]
	v_mul_f64_e32 v[34:35], v[36:37], v[8:9]
	s_delay_alu instid0(VALU_DEP_1) | instskip(NEXT) | instid1(VALU_DEP_1)
	v_fma_f64 v[6:7], -v[6:7], v[34:35], v[36:37]
	v_div_fmas_f64 v[6:7], v[6:7], v[8:9], v[34:35]
	s_delay_alu instid0(VALU_DEP_1) | instskip(NEXT) | instid1(VALU_DEP_1)
	v_div_fixup_f64 v[6:7], v[6:7], v[14:15], v[16:17]
	v_fmac_f64_e32 v[14:15], v[16:17], v[6:7]
	s_delay_alu instid0(VALU_DEP_1) | instskip(SKIP_1) | instid1(VALU_DEP_2)
	v_div_scale_f64 v[8:9], null, v[14:15], v[14:15], 1.0
	v_div_scale_f64 v[36:37], vcc_lo, 1.0, v[14:15], 1.0
	v_rcp_f64_e32 v[16:17], v[8:9]
	v_nop
	s_delay_alu instid0(TRANS32_DEP_1) | instskip(NEXT) | instid1(VALU_DEP_1)
	v_fma_f64 v[34:35], -v[8:9], v[16:17], 1.0
	v_fmac_f64_e32 v[16:17], v[16:17], v[34:35]
	s_delay_alu instid0(VALU_DEP_1) | instskip(NEXT) | instid1(VALU_DEP_1)
	v_fma_f64 v[34:35], -v[8:9], v[16:17], 1.0
	v_fmac_f64_e32 v[16:17], v[16:17], v[34:35]
	s_delay_alu instid0(VALU_DEP_1) | instskip(NEXT) | instid1(VALU_DEP_1)
	v_mul_f64_e32 v[34:35], v[36:37], v[16:17]
	v_fma_f64 v[8:9], -v[8:9], v[34:35], v[36:37]
                                        ; implicit-def: $vgpr36_vgpr37
	s_delay_alu instid0(VALU_DEP_1) | instskip(SKIP_1) | instid1(VALU_DEP_2)
	v_div_fmas_f64 v[8:9], v[8:9], v[16:17], v[34:35]
	v_fma_f64 v[16:17], s[10:11], v[6:7], s[8:9]
                                        ; implicit-def: $vgpr34_vgpr35
	v_div_fixup_f64 v[8:9], v[8:9], v[14:15], 1.0
	v_fma_f64 v[14:15], -s[8:9], v[6:7], s[10:11]
	s_delay_alu instid0(VALU_DEP_2) | instskip(NEXT) | instid1(VALU_DEP_2)
	v_mul_f64_e32 v[6:7], v[16:17], v[8:9]
	v_mul_f64_e32 v[8:9], v[14:15], v[8:9]
.LBB275_52:                             ;   in Loop: Header=BB275_41 Depth=1
	s_and_not1_saveexec_b32 s24, s4
	s_cbranch_execz .LBB275_54
; %bb.53:                               ;   in Loop: Header=BB275_41 Depth=1
	v_div_scale_f64 v[6:7], null, v[34:35], v[34:35], s[8:9]
	v_div_scale_f64 v[8:9], null, v[36:37], v[36:37], s[10:11]
	v_div_scale_f64 v[42:43], vcc_lo, s[8:9], v[34:35], s[8:9]
	s_delay_alu instid0(VALU_DEP_3) | instskip(NEXT) | instid1(VALU_DEP_2)
	v_rcp_f64_e32 v[14:15], v[6:7]
	v_rcp_f64_e32 v[16:17], v[8:9]
	s_delay_alu instid0(TRANS32_DEP_2) | instskip(NEXT) | instid1(TRANS32_DEP_1)
	v_fma_f64 v[38:39], -v[6:7], v[14:15], 1.0
	v_fma_f64 v[40:41], -v[8:9], v[16:17], 1.0
	s_delay_alu instid0(VALU_DEP_2) | instskip(NEXT) | instid1(VALU_DEP_2)
	v_fmac_f64_e32 v[14:15], v[14:15], v[38:39]
	v_fmac_f64_e32 v[16:17], v[16:17], v[40:41]
	s_delay_alu instid0(VALU_DEP_2) | instskip(NEXT) | instid1(VALU_DEP_2)
	v_fma_f64 v[38:39], -v[6:7], v[14:15], 1.0
	v_fma_f64 v[40:41], -v[8:9], v[16:17], 1.0
	s_delay_alu instid0(VALU_DEP_2) | instskip(SKIP_1) | instid1(VALU_DEP_3)
	v_fmac_f64_e32 v[14:15], v[14:15], v[38:39]
	v_div_scale_f64 v[38:39], s4, s[10:11], v[36:37], s[10:11]
	v_fmac_f64_e32 v[16:17], v[16:17], v[40:41]
	s_delay_alu instid0(VALU_DEP_3) | instskip(NEXT) | instid1(VALU_DEP_2)
	v_mul_f64_e32 v[40:41], v[42:43], v[14:15]
	v_mul_f64_e32 v[44:45], v[38:39], v[16:17]
	s_delay_alu instid0(VALU_DEP_2) | instskip(NEXT) | instid1(VALU_DEP_2)
	v_fma_f64 v[6:7], -v[6:7], v[40:41], v[42:43]
	v_fma_f64 v[8:9], -v[8:9], v[44:45], v[38:39]
	s_delay_alu instid0(VALU_DEP_2) | instskip(SKIP_1) | instid1(VALU_DEP_2)
	v_div_fmas_f64 v[6:7], v[6:7], v[14:15], v[40:41]
	s_mov_b32 vcc_lo, s4
	v_div_fmas_f64 v[8:9], v[8:9], v[16:17], v[44:45]
	s_delay_alu instid0(VALU_DEP_2) | instskip(NEXT) | instid1(VALU_DEP_2)
	v_div_fixup_f64 v[6:7], v[6:7], v[34:35], s[8:9]
	v_div_fixup_f64 v[8:9], v[8:9], v[36:37], s[10:11]
.LBB275_54:                             ;   in Loop: Header=BB275_41 Depth=1
	s_or_b32 exec_lo, exec_lo, s24
                                        ; implicit-def: $vgpr16_vgpr17
.LBB275_55:                             ;   in Loop: Header=BB275_41 Depth=1
	s_and_not1_saveexec_b32 s4, s5
	s_cbranch_execz .LBB275_57
; %bb.56:                               ;   in Loop: Header=BB275_41 Depth=1
	v_div_scale_f64 v[6:7], null, v[16:17], v[16:17], v[14:15]
	v_div_scale_f64 v[36:37], vcc_lo, v[14:15], v[16:17], v[14:15]
	s_delay_alu instid0(VALU_DEP_2) | instskip(SKIP_1) | instid1(TRANS32_DEP_1)
	v_rcp_f64_e32 v[8:9], v[6:7]
	v_nop
	v_fma_f64 v[34:35], -v[6:7], v[8:9], 1.0
	s_delay_alu instid0(VALU_DEP_1) | instskip(NEXT) | instid1(VALU_DEP_1)
	v_fmac_f64_e32 v[8:9], v[8:9], v[34:35]
	v_fma_f64 v[34:35], -v[6:7], v[8:9], 1.0
	s_delay_alu instid0(VALU_DEP_1) | instskip(NEXT) | instid1(VALU_DEP_1)
	v_fmac_f64_e32 v[8:9], v[8:9], v[34:35]
	v_mul_f64_e32 v[34:35], v[36:37], v[8:9]
	s_delay_alu instid0(VALU_DEP_1) | instskip(NEXT) | instid1(VALU_DEP_1)
	v_fma_f64 v[6:7], -v[6:7], v[34:35], v[36:37]
	v_div_fmas_f64 v[6:7], v[6:7], v[8:9], v[34:35]
	s_delay_alu instid0(VALU_DEP_1) | instskip(NEXT) | instid1(VALU_DEP_1)
	v_div_fixup_f64 v[6:7], v[6:7], v[16:17], v[14:15]
	v_fmac_f64_e32 v[16:17], v[14:15], v[6:7]
	s_delay_alu instid0(VALU_DEP_1) | instskip(SKIP_1) | instid1(VALU_DEP_2)
	v_div_scale_f64 v[8:9], null, v[16:17], v[16:17], 1.0
	v_div_scale_f64 v[36:37], vcc_lo, 1.0, v[16:17], 1.0
	v_rcp_f64_e32 v[14:15], v[8:9]
	v_nop
	s_delay_alu instid0(TRANS32_DEP_1) | instskip(NEXT) | instid1(VALU_DEP_1)
	v_fma_f64 v[34:35], -v[8:9], v[14:15], 1.0
	v_fmac_f64_e32 v[14:15], v[14:15], v[34:35]
	s_delay_alu instid0(VALU_DEP_1) | instskip(NEXT) | instid1(VALU_DEP_1)
	v_fma_f64 v[34:35], -v[8:9], v[14:15], 1.0
	v_fmac_f64_e32 v[14:15], v[14:15], v[34:35]
	s_delay_alu instid0(VALU_DEP_1) | instskip(NEXT) | instid1(VALU_DEP_1)
	v_mul_f64_e32 v[34:35], v[36:37], v[14:15]
	v_fma_f64 v[8:9], -v[8:9], v[34:35], v[36:37]
	s_delay_alu instid0(VALU_DEP_1) | instskip(SKIP_1) | instid1(VALU_DEP_2)
	v_div_fmas_f64 v[8:9], v[8:9], v[14:15], v[34:35]
	v_fma_f64 v[14:15], s[8:9], v[6:7], s[10:11]
	v_div_fixup_f64 v[8:9], v[8:9], v[16:17], 1.0
	v_fma_f64 v[16:17], s[10:11], v[6:7], -s[8:9]
	s_delay_alu instid0(VALU_DEP_2) | instskip(NEXT) | instid1(VALU_DEP_2)
	v_mul_f64_e32 v[6:7], v[14:15], v[8:9]
	v_mul_f64_e32 v[8:9], v[16:17], v[8:9]
.LBB275_57:                             ;   in Loop: Header=BB275_41 Depth=1
	s_or_b32 exec_lo, exec_lo, s4
	v_cmp_gt_f64_e32 vcc_lo, 0, v[18:19]
	v_xor_b32_e32 v14, 0x80000000, v19
	v_mov_b32_e32 v34, v18
	v_xor_b32_e32 v15, 0x80000000, v21
	s_mov_b32 s4, exec_lo
	s_delay_alu instid0(VALU_DEP_3) | instskip(SKIP_1) | instid1(VALU_DEP_3)
	v_dual_mov_b32 v36, v20 :: v_dual_cndmask_b32 v35, v19, v14
	v_cmp_gt_f64_e32 vcc_lo, 0, v[20:21]
	v_cndmask_b32_e32 v37, v21, v15, vcc_lo
                                        ; implicit-def: $vgpr16_vgpr17
	s_delay_alu instid0(VALU_DEP_1)
	v_cmpx_ge_f64_e32 v[34:35], v[36:37]
	s_xor_b32 s5, exec_lo, s4
	s_cbranch_execz .LBB275_63
; %bb.58:                               ;   in Loop: Header=BB275_41 Depth=1
	v_cmp_neq_f64_e32 vcc_lo, 0, v[18:19]
	v_cmp_neq_f64_e64 s4, 0, v[20:21]
                                        ; implicit-def: $vgpr16_vgpr17
	s_or_b32 s4, s4, vcc_lo
	s_delay_alu instid0(SALU_CYCLE_1) | instskip(NEXT) | instid1(SALU_CYCLE_1)
	s_and_saveexec_b32 s24, s4
	s_xor_b32 s4, exec_lo, s24
	s_cbranch_execz .LBB275_60
; %bb.59:                               ;   in Loop: Header=BB275_41 Depth=1
	v_div_scale_f64 v[14:15], null, v[18:19], v[18:19], v[20:21]
	v_div_scale_f64 v[36:37], vcc_lo, v[20:21], v[18:19], v[20:21]
	s_delay_alu instid0(VALU_DEP_2) | instskip(SKIP_1) | instid1(TRANS32_DEP_1)
	v_rcp_f64_e32 v[16:17], v[14:15]
	v_nop
	v_fma_f64 v[34:35], -v[14:15], v[16:17], 1.0
	s_delay_alu instid0(VALU_DEP_1) | instskip(NEXT) | instid1(VALU_DEP_1)
	v_fmac_f64_e32 v[16:17], v[16:17], v[34:35]
	v_fma_f64 v[34:35], -v[14:15], v[16:17], 1.0
	s_delay_alu instid0(VALU_DEP_1) | instskip(NEXT) | instid1(VALU_DEP_1)
	v_fmac_f64_e32 v[16:17], v[16:17], v[34:35]
	v_mul_f64_e32 v[34:35], v[36:37], v[16:17]
	s_delay_alu instid0(VALU_DEP_1) | instskip(NEXT) | instid1(VALU_DEP_1)
	v_fma_f64 v[14:15], -v[14:15], v[34:35], v[36:37]
	v_div_fmas_f64 v[14:15], v[14:15], v[16:17], v[34:35]
	s_delay_alu instid0(VALU_DEP_1) | instskip(NEXT) | instid1(VALU_DEP_1)
	v_div_fixup_f64 v[14:15], v[14:15], v[18:19], v[20:21]
	v_fmac_f64_e32 v[18:19], v[20:21], v[14:15]
	s_delay_alu instid0(VALU_DEP_1) | instskip(SKIP_1) | instid1(VALU_DEP_2)
	v_div_scale_f64 v[16:17], null, v[18:19], v[18:19], 1.0
	v_div_scale_f64 v[36:37], vcc_lo, 1.0, v[18:19], 1.0
	v_rcp_f64_e32 v[20:21], v[16:17]
	v_nop
	s_delay_alu instid0(TRANS32_DEP_1) | instskip(NEXT) | instid1(VALU_DEP_1)
	v_fma_f64 v[34:35], -v[16:17], v[20:21], 1.0
	v_fmac_f64_e32 v[20:21], v[20:21], v[34:35]
	s_delay_alu instid0(VALU_DEP_1) | instskip(NEXT) | instid1(VALU_DEP_1)
	v_fma_f64 v[34:35], -v[16:17], v[20:21], 1.0
	v_fmac_f64_e32 v[20:21], v[20:21], v[34:35]
	s_delay_alu instid0(VALU_DEP_1) | instskip(NEXT) | instid1(VALU_DEP_1)
	v_mul_f64_e32 v[34:35], v[36:37], v[20:21]
	v_fma_f64 v[16:17], -v[16:17], v[34:35], v[36:37]
                                        ; implicit-def: $vgpr36_vgpr37
	s_delay_alu instid0(VALU_DEP_1) | instskip(SKIP_1) | instid1(VALU_DEP_2)
	v_div_fmas_f64 v[16:17], v[16:17], v[20:21], v[34:35]
	v_fma_f64 v[20:21], s[10:11], v[14:15], s[8:9]
                                        ; implicit-def: $vgpr34_vgpr35
	v_div_fixup_f64 v[16:17], v[16:17], v[18:19], 1.0
	v_fma_f64 v[18:19], -s[8:9], v[14:15], s[10:11]
	s_delay_alu instid0(VALU_DEP_2) | instskip(NEXT) | instid1(VALU_DEP_2)
	v_mul_f64_e32 v[14:15], v[20:21], v[16:17]
	v_mul_f64_e32 v[16:17], v[18:19], v[16:17]
.LBB275_60:                             ;   in Loop: Header=BB275_41 Depth=1
	s_and_not1_saveexec_b32 s24, s4
	s_cbranch_execz .LBB275_62
; %bb.61:                               ;   in Loop: Header=BB275_41 Depth=1
	v_div_scale_f64 v[14:15], null, v[34:35], v[34:35], s[8:9]
	v_div_scale_f64 v[16:17], null, v[36:37], v[36:37], s[10:11]
	v_div_scale_f64 v[42:43], vcc_lo, s[8:9], v[34:35], s[8:9]
	s_delay_alu instid0(VALU_DEP_3) | instskip(NEXT) | instid1(VALU_DEP_2)
	v_rcp_f64_e32 v[18:19], v[14:15]
	v_rcp_f64_e32 v[20:21], v[16:17]
	s_delay_alu instid0(TRANS32_DEP_2) | instskip(NEXT) | instid1(TRANS32_DEP_1)
	v_fma_f64 v[38:39], -v[14:15], v[18:19], 1.0
	v_fma_f64 v[40:41], -v[16:17], v[20:21], 1.0
	s_delay_alu instid0(VALU_DEP_2) | instskip(NEXT) | instid1(VALU_DEP_2)
	v_fmac_f64_e32 v[18:19], v[18:19], v[38:39]
	v_fmac_f64_e32 v[20:21], v[20:21], v[40:41]
	s_delay_alu instid0(VALU_DEP_2) | instskip(NEXT) | instid1(VALU_DEP_2)
	v_fma_f64 v[38:39], -v[14:15], v[18:19], 1.0
	v_fma_f64 v[40:41], -v[16:17], v[20:21], 1.0
	s_delay_alu instid0(VALU_DEP_2) | instskip(SKIP_1) | instid1(VALU_DEP_3)
	v_fmac_f64_e32 v[18:19], v[18:19], v[38:39]
	v_div_scale_f64 v[38:39], s4, s[10:11], v[36:37], s[10:11]
	v_fmac_f64_e32 v[20:21], v[20:21], v[40:41]
	s_delay_alu instid0(VALU_DEP_3) | instskip(NEXT) | instid1(VALU_DEP_2)
	v_mul_f64_e32 v[40:41], v[42:43], v[18:19]
	v_mul_f64_e32 v[44:45], v[38:39], v[20:21]
	s_delay_alu instid0(VALU_DEP_2) | instskip(NEXT) | instid1(VALU_DEP_2)
	v_fma_f64 v[14:15], -v[14:15], v[40:41], v[42:43]
	v_fma_f64 v[16:17], -v[16:17], v[44:45], v[38:39]
	s_delay_alu instid0(VALU_DEP_2) | instskip(SKIP_1) | instid1(VALU_DEP_2)
	v_div_fmas_f64 v[14:15], v[14:15], v[18:19], v[40:41]
	s_mov_b32 vcc_lo, s4
	v_div_fmas_f64 v[16:17], v[16:17], v[20:21], v[44:45]
	s_delay_alu instid0(VALU_DEP_2) | instskip(NEXT) | instid1(VALU_DEP_2)
	v_div_fixup_f64 v[14:15], v[14:15], v[34:35], s[8:9]
	v_div_fixup_f64 v[16:17], v[16:17], v[36:37], s[10:11]
.LBB275_62:                             ;   in Loop: Header=BB275_41 Depth=1
	s_or_b32 exec_lo, exec_lo, s24
                                        ; implicit-def: $vgpr20_vgpr21
.LBB275_63:                             ;   in Loop: Header=BB275_41 Depth=1
	s_and_not1_saveexec_b32 s4, s5
	s_cbranch_execz .LBB275_65
; %bb.64:                               ;   in Loop: Header=BB275_41 Depth=1
	v_div_scale_f64 v[14:15], null, v[20:21], v[20:21], v[18:19]
	v_div_scale_f64 v[36:37], vcc_lo, v[18:19], v[20:21], v[18:19]
	s_delay_alu instid0(VALU_DEP_2) | instskip(SKIP_1) | instid1(TRANS32_DEP_1)
	v_rcp_f64_e32 v[16:17], v[14:15]
	v_nop
	v_fma_f64 v[34:35], -v[14:15], v[16:17], 1.0
	s_delay_alu instid0(VALU_DEP_1) | instskip(NEXT) | instid1(VALU_DEP_1)
	v_fmac_f64_e32 v[16:17], v[16:17], v[34:35]
	v_fma_f64 v[34:35], -v[14:15], v[16:17], 1.0
	s_delay_alu instid0(VALU_DEP_1) | instskip(NEXT) | instid1(VALU_DEP_1)
	v_fmac_f64_e32 v[16:17], v[16:17], v[34:35]
	v_mul_f64_e32 v[34:35], v[36:37], v[16:17]
	s_delay_alu instid0(VALU_DEP_1) | instskip(NEXT) | instid1(VALU_DEP_1)
	v_fma_f64 v[14:15], -v[14:15], v[34:35], v[36:37]
	v_div_fmas_f64 v[14:15], v[14:15], v[16:17], v[34:35]
	s_delay_alu instid0(VALU_DEP_1) | instskip(NEXT) | instid1(VALU_DEP_1)
	v_div_fixup_f64 v[14:15], v[14:15], v[20:21], v[18:19]
	v_fmac_f64_e32 v[20:21], v[18:19], v[14:15]
	s_delay_alu instid0(VALU_DEP_1) | instskip(SKIP_1) | instid1(VALU_DEP_2)
	v_div_scale_f64 v[16:17], null, v[20:21], v[20:21], 1.0
	v_div_scale_f64 v[36:37], vcc_lo, 1.0, v[20:21], 1.0
	v_rcp_f64_e32 v[18:19], v[16:17]
	v_nop
	s_delay_alu instid0(TRANS32_DEP_1) | instskip(NEXT) | instid1(VALU_DEP_1)
	v_fma_f64 v[34:35], -v[16:17], v[18:19], 1.0
	v_fmac_f64_e32 v[18:19], v[18:19], v[34:35]
	s_delay_alu instid0(VALU_DEP_1) | instskip(NEXT) | instid1(VALU_DEP_1)
	v_fma_f64 v[34:35], -v[16:17], v[18:19], 1.0
	v_fmac_f64_e32 v[18:19], v[18:19], v[34:35]
	s_delay_alu instid0(VALU_DEP_1) | instskip(NEXT) | instid1(VALU_DEP_1)
	v_mul_f64_e32 v[34:35], v[36:37], v[18:19]
	v_fma_f64 v[16:17], -v[16:17], v[34:35], v[36:37]
	s_delay_alu instid0(VALU_DEP_1) | instskip(SKIP_1) | instid1(VALU_DEP_2)
	v_div_fmas_f64 v[16:17], v[16:17], v[18:19], v[34:35]
	v_fma_f64 v[18:19], s[8:9], v[14:15], s[10:11]
	v_div_fixup_f64 v[16:17], v[16:17], v[20:21], 1.0
	v_fma_f64 v[20:21], s[10:11], v[14:15], -s[8:9]
	s_delay_alu instid0(VALU_DEP_2) | instskip(NEXT) | instid1(VALU_DEP_2)
	v_mul_f64_e32 v[14:15], v[18:19], v[16:17]
	v_mul_f64_e32 v[16:17], v[20:21], v[16:17]
.LBB275_65:                             ;   in Loop: Header=BB275_41 Depth=1
	s_or_b32 exec_lo, exec_lo, s4
	v_cmp_gt_f64_e32 vcc_lo, 0, v[10:11]
	v_xor_b32_e32 v18, 0x80000000, v11
	v_mov_b32_e32 v34, v10
	v_xor_b32_e32 v19, 0x80000000, v13
	s_mov_b32 s4, exec_lo
	s_delay_alu instid0(VALU_DEP_3) | instskip(SKIP_1) | instid1(VALU_DEP_3)
	v_dual_mov_b32 v36, v12 :: v_dual_cndmask_b32 v35, v11, v18
	v_cmp_gt_f64_e32 vcc_lo, 0, v[12:13]
	v_cndmask_b32_e32 v37, v13, v19, vcc_lo
                                        ; implicit-def: $vgpr20_vgpr21
	s_delay_alu instid0(VALU_DEP_1)
	v_cmpx_ge_f64_e32 v[34:35], v[36:37]
	s_xor_b32 s5, exec_lo, s4
	s_cbranch_execz .LBB275_71
; %bb.66:                               ;   in Loop: Header=BB275_41 Depth=1
	v_cmp_neq_f64_e32 vcc_lo, 0, v[10:11]
	v_cmp_neq_f64_e64 s4, 0, v[12:13]
                                        ; implicit-def: $vgpr20_vgpr21
	s_or_b32 s4, s4, vcc_lo
	s_delay_alu instid0(SALU_CYCLE_1) | instskip(NEXT) | instid1(SALU_CYCLE_1)
	s_and_saveexec_b32 s24, s4
	s_xor_b32 s4, exec_lo, s24
	s_cbranch_execz .LBB275_68
; %bb.67:                               ;   in Loop: Header=BB275_41 Depth=1
	v_div_scale_f64 v[18:19], null, v[10:11], v[10:11], v[12:13]
	v_div_scale_f64 v[36:37], vcc_lo, v[12:13], v[10:11], v[12:13]
	s_delay_alu instid0(VALU_DEP_2) | instskip(SKIP_1) | instid1(TRANS32_DEP_1)
	v_rcp_f64_e32 v[20:21], v[18:19]
	v_nop
	v_fma_f64 v[34:35], -v[18:19], v[20:21], 1.0
	s_delay_alu instid0(VALU_DEP_1) | instskip(NEXT) | instid1(VALU_DEP_1)
	v_fmac_f64_e32 v[20:21], v[20:21], v[34:35]
	v_fma_f64 v[34:35], -v[18:19], v[20:21], 1.0
	s_delay_alu instid0(VALU_DEP_1) | instskip(NEXT) | instid1(VALU_DEP_1)
	v_fmac_f64_e32 v[20:21], v[20:21], v[34:35]
	v_mul_f64_e32 v[34:35], v[36:37], v[20:21]
	s_delay_alu instid0(VALU_DEP_1) | instskip(NEXT) | instid1(VALU_DEP_1)
	v_fma_f64 v[18:19], -v[18:19], v[34:35], v[36:37]
	v_div_fmas_f64 v[18:19], v[18:19], v[20:21], v[34:35]
	s_delay_alu instid0(VALU_DEP_1) | instskip(NEXT) | instid1(VALU_DEP_1)
	v_div_fixup_f64 v[18:19], v[18:19], v[10:11], v[12:13]
	v_fmac_f64_e32 v[10:11], v[12:13], v[18:19]
	s_delay_alu instid0(VALU_DEP_1) | instskip(SKIP_1) | instid1(VALU_DEP_2)
	v_div_scale_f64 v[12:13], null, v[10:11], v[10:11], 1.0
	v_div_scale_f64 v[36:37], vcc_lo, 1.0, v[10:11], 1.0
	v_rcp_f64_e32 v[20:21], v[12:13]
	v_nop
	s_delay_alu instid0(TRANS32_DEP_1) | instskip(NEXT) | instid1(VALU_DEP_1)
	v_fma_f64 v[34:35], -v[12:13], v[20:21], 1.0
	v_fmac_f64_e32 v[20:21], v[20:21], v[34:35]
	s_delay_alu instid0(VALU_DEP_1) | instskip(NEXT) | instid1(VALU_DEP_1)
	v_fma_f64 v[34:35], -v[12:13], v[20:21], 1.0
	v_fmac_f64_e32 v[20:21], v[20:21], v[34:35]
	s_delay_alu instid0(VALU_DEP_1) | instskip(NEXT) | instid1(VALU_DEP_1)
	v_mul_f64_e32 v[34:35], v[36:37], v[20:21]
	v_fma_f64 v[12:13], -v[12:13], v[34:35], v[36:37]
                                        ; implicit-def: $vgpr36_vgpr37
	s_delay_alu instid0(VALU_DEP_1) | instskip(SKIP_1) | instid1(VALU_DEP_2)
	v_div_fmas_f64 v[12:13], v[12:13], v[20:21], v[34:35]
	v_fma_f64 v[20:21], s[10:11], v[18:19], s[8:9]
                                        ; implicit-def: $vgpr34_vgpr35
	v_div_fixup_f64 v[10:11], v[12:13], v[10:11], 1.0
	v_fma_f64 v[12:13], -s[8:9], v[18:19], s[10:11]
	s_delay_alu instid0(VALU_DEP_2) | instskip(NEXT) | instid1(VALU_DEP_2)
	v_mul_f64_e32 v[18:19], v[20:21], v[10:11]
	v_mul_f64_e32 v[20:21], v[12:13], v[10:11]
.LBB275_68:                             ;   in Loop: Header=BB275_41 Depth=1
	s_and_not1_saveexec_b32 s24, s4
	s_cbranch_execz .LBB275_70
; %bb.69:                               ;   in Loop: Header=BB275_41 Depth=1
	v_div_scale_f64 v[10:11], null, v[34:35], v[34:35], s[8:9]
	v_div_scale_f64 v[12:13], null, v[36:37], v[36:37], s[10:11]
	v_div_scale_f64 v[42:43], vcc_lo, s[8:9], v[34:35], s[8:9]
	s_delay_alu instid0(VALU_DEP_3) | instskip(NEXT) | instid1(VALU_DEP_2)
	v_rcp_f64_e32 v[18:19], v[10:11]
	v_rcp_f64_e32 v[20:21], v[12:13]
	s_delay_alu instid0(TRANS32_DEP_2) | instskip(NEXT) | instid1(TRANS32_DEP_1)
	v_fma_f64 v[38:39], -v[10:11], v[18:19], 1.0
	v_fma_f64 v[40:41], -v[12:13], v[20:21], 1.0
	s_delay_alu instid0(VALU_DEP_2) | instskip(NEXT) | instid1(VALU_DEP_2)
	v_fmac_f64_e32 v[18:19], v[18:19], v[38:39]
	v_fmac_f64_e32 v[20:21], v[20:21], v[40:41]
	s_delay_alu instid0(VALU_DEP_2) | instskip(NEXT) | instid1(VALU_DEP_2)
	v_fma_f64 v[38:39], -v[10:11], v[18:19], 1.0
	v_fma_f64 v[40:41], -v[12:13], v[20:21], 1.0
	s_delay_alu instid0(VALU_DEP_2) | instskip(SKIP_1) | instid1(VALU_DEP_3)
	v_fmac_f64_e32 v[18:19], v[18:19], v[38:39]
	v_div_scale_f64 v[38:39], s4, s[10:11], v[36:37], s[10:11]
	v_fmac_f64_e32 v[20:21], v[20:21], v[40:41]
	s_delay_alu instid0(VALU_DEP_3) | instskip(NEXT) | instid1(VALU_DEP_2)
	v_mul_f64_e32 v[40:41], v[42:43], v[18:19]
	v_mul_f64_e32 v[44:45], v[38:39], v[20:21]
	s_delay_alu instid0(VALU_DEP_2) | instskip(NEXT) | instid1(VALU_DEP_2)
	v_fma_f64 v[10:11], -v[10:11], v[40:41], v[42:43]
	v_fma_f64 v[12:13], -v[12:13], v[44:45], v[38:39]
	s_delay_alu instid0(VALU_DEP_2) | instskip(SKIP_1) | instid1(VALU_DEP_2)
	v_div_fmas_f64 v[10:11], v[10:11], v[18:19], v[40:41]
	s_mov_b32 vcc_lo, s4
	v_div_fmas_f64 v[12:13], v[12:13], v[20:21], v[44:45]
	s_delay_alu instid0(VALU_DEP_2) | instskip(NEXT) | instid1(VALU_DEP_2)
	v_div_fixup_f64 v[18:19], v[10:11], v[34:35], s[8:9]
	v_div_fixup_f64 v[20:21], v[12:13], v[36:37], s[10:11]
.LBB275_70:                             ;   in Loop: Header=BB275_41 Depth=1
	s_or_b32 exec_lo, exec_lo, s24
                                        ; implicit-def: $vgpr12_vgpr13
.LBB275_71:                             ;   in Loop: Header=BB275_41 Depth=1
	s_and_not1_saveexec_b32 s4, s5
	s_cbranch_execz .LBB275_73
; %bb.72:                               ;   in Loop: Header=BB275_41 Depth=1
	v_div_scale_f64 v[18:19], null, v[12:13], v[12:13], v[10:11]
	v_div_scale_f64 v[36:37], vcc_lo, v[10:11], v[12:13], v[10:11]
	s_delay_alu instid0(VALU_DEP_2) | instskip(SKIP_1) | instid1(TRANS32_DEP_1)
	v_rcp_f64_e32 v[20:21], v[18:19]
	v_nop
	v_fma_f64 v[34:35], -v[18:19], v[20:21], 1.0
	s_delay_alu instid0(VALU_DEP_1) | instskip(NEXT) | instid1(VALU_DEP_1)
	v_fmac_f64_e32 v[20:21], v[20:21], v[34:35]
	v_fma_f64 v[34:35], -v[18:19], v[20:21], 1.0
	s_delay_alu instid0(VALU_DEP_1) | instskip(NEXT) | instid1(VALU_DEP_1)
	v_fmac_f64_e32 v[20:21], v[20:21], v[34:35]
	v_mul_f64_e32 v[34:35], v[36:37], v[20:21]
	s_delay_alu instid0(VALU_DEP_1) | instskip(NEXT) | instid1(VALU_DEP_1)
	v_fma_f64 v[18:19], -v[18:19], v[34:35], v[36:37]
	v_div_fmas_f64 v[18:19], v[18:19], v[20:21], v[34:35]
	s_delay_alu instid0(VALU_DEP_1) | instskip(NEXT) | instid1(VALU_DEP_1)
	v_div_fixup_f64 v[18:19], v[18:19], v[12:13], v[10:11]
	v_fmac_f64_e32 v[12:13], v[10:11], v[18:19]
	s_delay_alu instid0(VALU_DEP_1) | instskip(SKIP_1) | instid1(VALU_DEP_2)
	v_div_scale_f64 v[10:11], null, v[12:13], v[12:13], 1.0
	v_div_scale_f64 v[36:37], vcc_lo, 1.0, v[12:13], 1.0
	v_rcp_f64_e32 v[20:21], v[10:11]
	v_nop
	s_delay_alu instid0(TRANS32_DEP_1) | instskip(NEXT) | instid1(VALU_DEP_1)
	v_fma_f64 v[34:35], -v[10:11], v[20:21], 1.0
	v_fmac_f64_e32 v[20:21], v[20:21], v[34:35]
	s_delay_alu instid0(VALU_DEP_1) | instskip(NEXT) | instid1(VALU_DEP_1)
	v_fma_f64 v[34:35], -v[10:11], v[20:21], 1.0
	v_fmac_f64_e32 v[20:21], v[20:21], v[34:35]
	s_delay_alu instid0(VALU_DEP_1) | instskip(NEXT) | instid1(VALU_DEP_1)
	v_mul_f64_e32 v[34:35], v[36:37], v[20:21]
	v_fma_f64 v[10:11], -v[10:11], v[34:35], v[36:37]
	s_delay_alu instid0(VALU_DEP_1) | instskip(SKIP_1) | instid1(VALU_DEP_2)
	v_div_fmas_f64 v[10:11], v[10:11], v[20:21], v[34:35]
	v_fma_f64 v[20:21], s[8:9], v[18:19], s[10:11]
	v_div_fixup_f64 v[10:11], v[10:11], v[12:13], 1.0
	v_fma_f64 v[12:13], s[10:11], v[18:19], -s[8:9]
	s_delay_alu instid0(VALU_DEP_2) | instskip(NEXT) | instid1(VALU_DEP_2)
	v_mul_f64_e32 v[18:19], v[20:21], v[10:11]
	v_mul_f64_e32 v[20:21], v[12:13], v[10:11]
.LBB275_73:                             ;   in Loop: Header=BB275_41 Depth=1
	s_or_b32 exec_lo, exec_lo, s4
	v_cmp_gt_f64_e32 vcc_lo, 0, v[2:3]
	v_xor_b32_e32 v10, 0x80000000, v3
	v_mov_b32_e32 v34, v2
	v_xor_b32_e32 v11, 0x80000000, v5
	s_mov_b32 s4, exec_lo
	s_delay_alu instid0(VALU_DEP_3) | instskip(SKIP_1) | instid1(VALU_DEP_3)
	v_dual_mov_b32 v36, v4 :: v_dual_cndmask_b32 v35, v3, v10
	v_cmp_gt_f64_e32 vcc_lo, 0, v[4:5]
	v_cndmask_b32_e32 v37, v5, v11, vcc_lo
                                        ; implicit-def: $vgpr12_vgpr13
	s_delay_alu instid0(VALU_DEP_1)
	v_cmpx_ge_f64_e32 v[34:35], v[36:37]
	s_xor_b32 s5, exec_lo, s4
	s_cbranch_execnz .LBB275_79
; %bb.74:                               ;   in Loop: Header=BB275_41 Depth=1
	s_and_not1_saveexec_b32 s4, s5
	s_cbranch_execnz .LBB275_84
.LBB275_75:                             ;   in Loop: Header=BB275_41 Depth=1
	s_or_b32 exec_lo, exec_lo, s4
	s_and_saveexec_b32 s4, s0
	s_delay_alu instid0(SALU_CYCLE_1)
	s_xor_b32 s0, exec_lo, s4
	s_cbranch_execnz .LBB275_85
.LBB275_76:                             ;   in Loop: Header=BB275_41 Depth=1
	s_or_b32 exec_lo, exec_lo, s0
	s_and_saveexec_b32 s0, s1
	s_cbranch_execnz .LBB275_86
.LBB275_77:                             ;   in Loop: Header=BB275_41 Depth=1
	s_or_b32 exec_lo, exec_lo, s0
	s_and_saveexec_b32 s0, s2
	s_cbranch_execnz .LBB275_87
.LBB275_78:                             ;   in Loop: Header=BB275_41 Depth=1
	s_or_b32 exec_lo, exec_lo, s0
	s_and_saveexec_b32 s0, s3
	s_cbranch_execz .LBB275_40
	s_branch .LBB275_88
.LBB275_79:                             ;   in Loop: Header=BB275_41 Depth=1
	v_cmp_neq_f64_e32 vcc_lo, 0, v[2:3]
	v_cmp_neq_f64_e64 s4, 0, v[4:5]
                                        ; implicit-def: $vgpr12_vgpr13
	s_or_b32 s4, s4, vcc_lo
	s_delay_alu instid0(SALU_CYCLE_1) | instskip(NEXT) | instid1(SALU_CYCLE_1)
	s_and_saveexec_b32 s24, s4
	s_xor_b32 s4, exec_lo, s24
	s_cbranch_execz .LBB275_81
; %bb.80:                               ;   in Loop: Header=BB275_41 Depth=1
	v_div_scale_f64 v[10:11], null, v[2:3], v[2:3], v[4:5]
	v_div_scale_f64 v[36:37], vcc_lo, v[4:5], v[2:3], v[4:5]
	s_delay_alu instid0(VALU_DEP_2) | instskip(SKIP_1) | instid1(TRANS32_DEP_1)
	v_rcp_f64_e32 v[12:13], v[10:11]
	v_nop
	v_fma_f64 v[34:35], -v[10:11], v[12:13], 1.0
	s_delay_alu instid0(VALU_DEP_1) | instskip(NEXT) | instid1(VALU_DEP_1)
	v_fmac_f64_e32 v[12:13], v[12:13], v[34:35]
	v_fma_f64 v[34:35], -v[10:11], v[12:13], 1.0
	s_delay_alu instid0(VALU_DEP_1) | instskip(NEXT) | instid1(VALU_DEP_1)
	v_fmac_f64_e32 v[12:13], v[12:13], v[34:35]
	v_mul_f64_e32 v[34:35], v[36:37], v[12:13]
	s_delay_alu instid0(VALU_DEP_1) | instskip(NEXT) | instid1(VALU_DEP_1)
	v_fma_f64 v[10:11], -v[10:11], v[34:35], v[36:37]
	v_div_fmas_f64 v[10:11], v[10:11], v[12:13], v[34:35]
	s_delay_alu instid0(VALU_DEP_1) | instskip(NEXT) | instid1(VALU_DEP_1)
	v_div_fixup_f64 v[10:11], v[10:11], v[2:3], v[4:5]
	v_fmac_f64_e32 v[2:3], v[4:5], v[10:11]
	s_delay_alu instid0(VALU_DEP_1) | instskip(SKIP_1) | instid1(VALU_DEP_2)
	v_div_scale_f64 v[4:5], null, v[2:3], v[2:3], 1.0
	v_div_scale_f64 v[36:37], vcc_lo, 1.0, v[2:3], 1.0
	v_rcp_f64_e32 v[12:13], v[4:5]
	v_nop
	s_delay_alu instid0(TRANS32_DEP_1) | instskip(NEXT) | instid1(VALU_DEP_1)
	v_fma_f64 v[34:35], -v[4:5], v[12:13], 1.0
	v_fmac_f64_e32 v[12:13], v[12:13], v[34:35]
	s_delay_alu instid0(VALU_DEP_1) | instskip(NEXT) | instid1(VALU_DEP_1)
	v_fma_f64 v[34:35], -v[4:5], v[12:13], 1.0
	v_fmac_f64_e32 v[12:13], v[12:13], v[34:35]
	s_delay_alu instid0(VALU_DEP_1) | instskip(NEXT) | instid1(VALU_DEP_1)
	v_mul_f64_e32 v[34:35], v[36:37], v[12:13]
	v_fma_f64 v[4:5], -v[4:5], v[34:35], v[36:37]
                                        ; implicit-def: $vgpr36_vgpr37
	s_delay_alu instid0(VALU_DEP_1) | instskip(SKIP_1) | instid1(VALU_DEP_2)
	v_div_fmas_f64 v[4:5], v[4:5], v[12:13], v[34:35]
	v_fma_f64 v[12:13], s[10:11], v[10:11], s[8:9]
                                        ; implicit-def: $vgpr34_vgpr35
	v_div_fixup_f64 v[2:3], v[4:5], v[2:3], 1.0
	v_fma_f64 v[4:5], -s[8:9], v[10:11], s[10:11]
	s_delay_alu instid0(VALU_DEP_2) | instskip(NEXT) | instid1(VALU_DEP_2)
	v_mul_f64_e32 v[10:11], v[12:13], v[2:3]
	v_mul_f64_e32 v[12:13], v[4:5], v[2:3]
.LBB275_81:                             ;   in Loop: Header=BB275_41 Depth=1
	s_and_not1_saveexec_b32 s24, s4
	s_cbranch_execz .LBB275_83
; %bb.82:                               ;   in Loop: Header=BB275_41 Depth=1
	v_div_scale_f64 v[2:3], null, v[34:35], v[34:35], s[8:9]
	v_div_scale_f64 v[4:5], null, v[36:37], v[36:37], s[10:11]
	v_div_scale_f64 v[42:43], vcc_lo, s[8:9], v[34:35], s[8:9]
	s_delay_alu instid0(VALU_DEP_3) | instskip(NEXT) | instid1(VALU_DEP_2)
	v_rcp_f64_e32 v[10:11], v[2:3]
	v_rcp_f64_e32 v[12:13], v[4:5]
	s_delay_alu instid0(TRANS32_DEP_2) | instskip(NEXT) | instid1(TRANS32_DEP_1)
	v_fma_f64 v[38:39], -v[2:3], v[10:11], 1.0
	v_fma_f64 v[40:41], -v[4:5], v[12:13], 1.0
	s_delay_alu instid0(VALU_DEP_2) | instskip(NEXT) | instid1(VALU_DEP_2)
	v_fmac_f64_e32 v[10:11], v[10:11], v[38:39]
	v_fmac_f64_e32 v[12:13], v[12:13], v[40:41]
	s_delay_alu instid0(VALU_DEP_2) | instskip(NEXT) | instid1(VALU_DEP_2)
	v_fma_f64 v[38:39], -v[2:3], v[10:11], 1.0
	v_fma_f64 v[40:41], -v[4:5], v[12:13], 1.0
	s_delay_alu instid0(VALU_DEP_2) | instskip(SKIP_1) | instid1(VALU_DEP_3)
	v_fmac_f64_e32 v[10:11], v[10:11], v[38:39]
	v_div_scale_f64 v[38:39], s4, s[10:11], v[36:37], s[10:11]
	v_fmac_f64_e32 v[12:13], v[12:13], v[40:41]
	s_delay_alu instid0(VALU_DEP_3) | instskip(NEXT) | instid1(VALU_DEP_2)
	v_mul_f64_e32 v[40:41], v[42:43], v[10:11]
	v_mul_f64_e32 v[44:45], v[38:39], v[12:13]
	s_delay_alu instid0(VALU_DEP_2) | instskip(NEXT) | instid1(VALU_DEP_2)
	v_fma_f64 v[2:3], -v[2:3], v[40:41], v[42:43]
	v_fma_f64 v[4:5], -v[4:5], v[44:45], v[38:39]
	s_delay_alu instid0(VALU_DEP_2) | instskip(SKIP_1) | instid1(VALU_DEP_2)
	v_div_fmas_f64 v[2:3], v[2:3], v[10:11], v[40:41]
	s_mov_b32 vcc_lo, s4
	v_div_fmas_f64 v[4:5], v[4:5], v[12:13], v[44:45]
	s_delay_alu instid0(VALU_DEP_2) | instskip(NEXT) | instid1(VALU_DEP_2)
	v_div_fixup_f64 v[10:11], v[2:3], v[34:35], s[8:9]
	v_div_fixup_f64 v[12:13], v[4:5], v[36:37], s[10:11]
.LBB275_83:                             ;   in Loop: Header=BB275_41 Depth=1
	s_or_b32 exec_lo, exec_lo, s24
                                        ; implicit-def: $vgpr4_vgpr5
	s_and_not1_saveexec_b32 s4, s5
	s_cbranch_execz .LBB275_75
.LBB275_84:                             ;   in Loop: Header=BB275_41 Depth=1
	v_div_scale_f64 v[10:11], null, v[4:5], v[4:5], v[2:3]
	v_div_scale_f64 v[36:37], vcc_lo, v[2:3], v[4:5], v[2:3]
	s_delay_alu instid0(VALU_DEP_2) | instskip(SKIP_1) | instid1(TRANS32_DEP_1)
	v_rcp_f64_e32 v[12:13], v[10:11]
	v_nop
	v_fma_f64 v[34:35], -v[10:11], v[12:13], 1.0
	s_delay_alu instid0(VALU_DEP_1) | instskip(NEXT) | instid1(VALU_DEP_1)
	v_fmac_f64_e32 v[12:13], v[12:13], v[34:35]
	v_fma_f64 v[34:35], -v[10:11], v[12:13], 1.0
	s_delay_alu instid0(VALU_DEP_1) | instskip(NEXT) | instid1(VALU_DEP_1)
	v_fmac_f64_e32 v[12:13], v[12:13], v[34:35]
	v_mul_f64_e32 v[34:35], v[36:37], v[12:13]
	s_delay_alu instid0(VALU_DEP_1) | instskip(NEXT) | instid1(VALU_DEP_1)
	v_fma_f64 v[10:11], -v[10:11], v[34:35], v[36:37]
	v_div_fmas_f64 v[10:11], v[10:11], v[12:13], v[34:35]
	s_delay_alu instid0(VALU_DEP_1) | instskip(NEXT) | instid1(VALU_DEP_1)
	v_div_fixup_f64 v[10:11], v[10:11], v[4:5], v[2:3]
	v_fmac_f64_e32 v[4:5], v[2:3], v[10:11]
	s_delay_alu instid0(VALU_DEP_1) | instskip(SKIP_1) | instid1(VALU_DEP_2)
	v_div_scale_f64 v[2:3], null, v[4:5], v[4:5], 1.0
	v_div_scale_f64 v[36:37], vcc_lo, 1.0, v[4:5], 1.0
	v_rcp_f64_e32 v[12:13], v[2:3]
	v_nop
	s_delay_alu instid0(TRANS32_DEP_1) | instskip(NEXT) | instid1(VALU_DEP_1)
	v_fma_f64 v[34:35], -v[2:3], v[12:13], 1.0
	v_fmac_f64_e32 v[12:13], v[12:13], v[34:35]
	s_delay_alu instid0(VALU_DEP_1) | instskip(NEXT) | instid1(VALU_DEP_1)
	v_fma_f64 v[34:35], -v[2:3], v[12:13], 1.0
	v_fmac_f64_e32 v[12:13], v[12:13], v[34:35]
	s_delay_alu instid0(VALU_DEP_1) | instskip(NEXT) | instid1(VALU_DEP_1)
	v_mul_f64_e32 v[34:35], v[36:37], v[12:13]
	v_fma_f64 v[2:3], -v[2:3], v[34:35], v[36:37]
	s_delay_alu instid0(VALU_DEP_1) | instskip(SKIP_1) | instid1(VALU_DEP_2)
	v_div_fmas_f64 v[2:3], v[2:3], v[12:13], v[34:35]
	v_fma_f64 v[12:13], s[8:9], v[10:11], s[10:11]
	v_div_fixup_f64 v[2:3], v[2:3], v[4:5], 1.0
	v_fma_f64 v[4:5], s[10:11], v[10:11], -s[8:9]
	s_delay_alu instid0(VALU_DEP_2) | instskip(NEXT) | instid1(VALU_DEP_2)
	v_mul_f64_e32 v[10:11], v[12:13], v[2:3]
	v_mul_f64_e32 v[12:13], v[4:5], v[2:3]
	s_or_b32 exec_lo, exec_lo, s4
	s_and_saveexec_b32 s4, s0
	s_delay_alu instid0(SALU_CYCLE_1)
	s_xor_b32 s0, exec_lo, s4
	s_cbranch_execz .LBB275_76
.LBB275_85:                             ;   in Loop: Header=BB275_41 Depth=1
	v_lshl_add_u64 v[2:3], v[26:27], 4, s[12:13]
	global_store_b128 v[2:3], v[6:9], off
	s_wait_xcnt 0x0
	s_or_b32 exec_lo, exec_lo, s0
	s_and_saveexec_b32 s0, s1
	s_cbranch_execz .LBB275_77
.LBB275_86:                             ;   in Loop: Header=BB275_41 Depth=1
	v_lshl_add_u64 v[2:3], v[28:29], 4, s[12:13]
	global_store_b128 v[2:3], v[14:17], off
	s_wait_xcnt 0x0
	s_or_b32 exec_lo, exec_lo, s0
	s_and_saveexec_b32 s0, s2
	s_cbranch_execz .LBB275_78
.LBB275_87:                             ;   in Loop: Header=BB275_41 Depth=1
	v_lshl_add_u64 v[2:3], v[30:31], 4, s[12:13]
	global_store_b128 v[2:3], v[18:21], off
	s_wait_xcnt 0x0
	s_or_b32 exec_lo, exec_lo, s0
	s_and_saveexec_b32 s0, s3
	s_cbranch_execz .LBB275_40
.LBB275_88:                             ;   in Loop: Header=BB275_41 Depth=1
	v_lshl_add_u64 v[2:3], v[32:33], 4, s[12:13]
	global_store_b128 v[2:3], v[10:13], off
	s_branch .LBB275_40
.LBB275_89:
	s_endpgm
	.section	.rodata,"a",@progbits
	.p2align	6, 0x0
	.amdhsa_kernel _ZN2at6native12_GLOBAL__N_125multi_tensor_apply_kernelINS1_18TensorListMetadataILi2EEENS1_14UnaryOpFunctorIN3c107complexIdEELi2ELi1ELi1EEEJNS0_10ReciprocalIS8_EEEEEvT_T0_DpT1_
		.amdhsa_group_segment_fixed_size 0
		.amdhsa_private_segment_fixed_size 0
		.amdhsa_kernarg_size 3424
		.amdhsa_user_sgpr_count 2
		.amdhsa_user_sgpr_dispatch_ptr 0
		.amdhsa_user_sgpr_queue_ptr 0
		.amdhsa_user_sgpr_kernarg_segment_ptr 1
		.amdhsa_user_sgpr_dispatch_id 0
		.amdhsa_user_sgpr_kernarg_preload_length 0
		.amdhsa_user_sgpr_kernarg_preload_offset 0
		.amdhsa_user_sgpr_private_segment_size 0
		.amdhsa_wavefront_size32 1
		.amdhsa_uses_dynamic_stack 0
		.amdhsa_enable_private_segment 0
		.amdhsa_system_sgpr_workgroup_id_x 1
		.amdhsa_system_sgpr_workgroup_id_y 0
		.amdhsa_system_sgpr_workgroup_id_z 0
		.amdhsa_system_sgpr_workgroup_info 0
		.amdhsa_system_vgpr_workitem_id 0
		.amdhsa_next_free_vgpr 46
		.amdhsa_next_free_sgpr 25
		.amdhsa_named_barrier_count 0
		.amdhsa_reserve_vcc 1
		.amdhsa_float_round_mode_32 0
		.amdhsa_float_round_mode_16_64 0
		.amdhsa_float_denorm_mode_32 3
		.amdhsa_float_denorm_mode_16_64 3
		.amdhsa_fp16_overflow 0
		.amdhsa_memory_ordered 1
		.amdhsa_forward_progress 1
		.amdhsa_inst_pref_size 56
		.amdhsa_round_robin_scheduling 0
		.amdhsa_exception_fp_ieee_invalid_op 0
		.amdhsa_exception_fp_denorm_src 0
		.amdhsa_exception_fp_ieee_div_zero 0
		.amdhsa_exception_fp_ieee_overflow 0
		.amdhsa_exception_fp_ieee_underflow 0
		.amdhsa_exception_fp_ieee_inexact 0
		.amdhsa_exception_int_div_zero 0
	.end_amdhsa_kernel
	.section	.text._ZN2at6native12_GLOBAL__N_125multi_tensor_apply_kernelINS1_18TensorListMetadataILi2EEENS1_14UnaryOpFunctorIN3c107complexIdEELi2ELi1ELi1EEEJNS0_10ReciprocalIS8_EEEEEvT_T0_DpT1_,"axG",@progbits,_ZN2at6native12_GLOBAL__N_125multi_tensor_apply_kernelINS1_18TensorListMetadataILi2EEENS1_14UnaryOpFunctorIN3c107complexIdEELi2ELi1ELi1EEEJNS0_10ReciprocalIS8_EEEEEvT_T0_DpT1_,comdat
.Lfunc_end275:
	.size	_ZN2at6native12_GLOBAL__N_125multi_tensor_apply_kernelINS1_18TensorListMetadataILi2EEENS1_14UnaryOpFunctorIN3c107complexIdEELi2ELi1ELi1EEEJNS0_10ReciprocalIS8_EEEEEvT_T0_DpT1_, .Lfunc_end275-_ZN2at6native12_GLOBAL__N_125multi_tensor_apply_kernelINS1_18TensorListMetadataILi2EEENS1_14UnaryOpFunctorIN3c107complexIdEELi2ELi1ELi1EEEJNS0_10ReciprocalIS8_EEEEEvT_T0_DpT1_
                                        ; -- End function
	.set _ZN2at6native12_GLOBAL__N_125multi_tensor_apply_kernelINS1_18TensorListMetadataILi2EEENS1_14UnaryOpFunctorIN3c107complexIdEELi2ELi1ELi1EEEJNS0_10ReciprocalIS8_EEEEEvT_T0_DpT1_.num_vgpr, 46
	.set _ZN2at6native12_GLOBAL__N_125multi_tensor_apply_kernelINS1_18TensorListMetadataILi2EEENS1_14UnaryOpFunctorIN3c107complexIdEELi2ELi1ELi1EEEJNS0_10ReciprocalIS8_EEEEEvT_T0_DpT1_.num_agpr, 0
	.set _ZN2at6native12_GLOBAL__N_125multi_tensor_apply_kernelINS1_18TensorListMetadataILi2EEENS1_14UnaryOpFunctorIN3c107complexIdEELi2ELi1ELi1EEEJNS0_10ReciprocalIS8_EEEEEvT_T0_DpT1_.numbered_sgpr, 25
	.set _ZN2at6native12_GLOBAL__N_125multi_tensor_apply_kernelINS1_18TensorListMetadataILi2EEENS1_14UnaryOpFunctorIN3c107complexIdEELi2ELi1ELi1EEEJNS0_10ReciprocalIS8_EEEEEvT_T0_DpT1_.num_named_barrier, 0
	.set _ZN2at6native12_GLOBAL__N_125multi_tensor_apply_kernelINS1_18TensorListMetadataILi2EEENS1_14UnaryOpFunctorIN3c107complexIdEELi2ELi1ELi1EEEJNS0_10ReciprocalIS8_EEEEEvT_T0_DpT1_.private_seg_size, 0
	.set _ZN2at6native12_GLOBAL__N_125multi_tensor_apply_kernelINS1_18TensorListMetadataILi2EEENS1_14UnaryOpFunctorIN3c107complexIdEELi2ELi1ELi1EEEJNS0_10ReciprocalIS8_EEEEEvT_T0_DpT1_.uses_vcc, 1
	.set _ZN2at6native12_GLOBAL__N_125multi_tensor_apply_kernelINS1_18TensorListMetadataILi2EEENS1_14UnaryOpFunctorIN3c107complexIdEELi2ELi1ELi1EEEJNS0_10ReciprocalIS8_EEEEEvT_T0_DpT1_.uses_flat_scratch, 0
	.set _ZN2at6native12_GLOBAL__N_125multi_tensor_apply_kernelINS1_18TensorListMetadataILi2EEENS1_14UnaryOpFunctorIN3c107complexIdEELi2ELi1ELi1EEEJNS0_10ReciprocalIS8_EEEEEvT_T0_DpT1_.has_dyn_sized_stack, 0
	.set _ZN2at6native12_GLOBAL__N_125multi_tensor_apply_kernelINS1_18TensorListMetadataILi2EEENS1_14UnaryOpFunctorIN3c107complexIdEELi2ELi1ELi1EEEJNS0_10ReciprocalIS8_EEEEEvT_T0_DpT1_.has_recursion, 0
	.set _ZN2at6native12_GLOBAL__N_125multi_tensor_apply_kernelINS1_18TensorListMetadataILi2EEENS1_14UnaryOpFunctorIN3c107complexIdEELi2ELi1ELi1EEEJNS0_10ReciprocalIS8_EEEEEvT_T0_DpT1_.has_indirect_call, 0
	.section	.AMDGPU.csdata,"",@progbits
; Kernel info:
; codeLenInByte = 7096
; TotalNumSgprs: 27
; NumVgprs: 46
; ScratchSize: 0
; MemoryBound: 1
; FloatMode: 240
; IeeeMode: 1
; LDSByteSize: 0 bytes/workgroup (compile time only)
; SGPRBlocks: 0
; VGPRBlocks: 2
; NumSGPRsForWavesPerEU: 27
; NumVGPRsForWavesPerEU: 46
; NamedBarCnt: 0
; Occupancy: 16
; WaveLimiterHint : 0
; COMPUTE_PGM_RSRC2:SCRATCH_EN: 0
; COMPUTE_PGM_RSRC2:USER_SGPR: 2
; COMPUTE_PGM_RSRC2:TRAP_HANDLER: 0
; COMPUTE_PGM_RSRC2:TGID_X_EN: 1
; COMPUTE_PGM_RSRC2:TGID_Y_EN: 0
; COMPUTE_PGM_RSRC2:TGID_Z_EN: 0
; COMPUTE_PGM_RSRC2:TIDIG_COMP_CNT: 0
	.section	.text._ZN2at6native12_GLOBAL__N_125multi_tensor_apply_kernelINS1_18TensorListMetadataILi2EEENS1_14UnaryOpFunctorIN3c107complexIfEELi2ELi1ELi1EEEJNS0_10ReciprocalIS8_EEEEEvT_T0_DpT1_,"axG",@progbits,_ZN2at6native12_GLOBAL__N_125multi_tensor_apply_kernelINS1_18TensorListMetadataILi2EEENS1_14UnaryOpFunctorIN3c107complexIfEELi2ELi1ELi1EEEJNS0_10ReciprocalIS8_EEEEEvT_T0_DpT1_,comdat
	.globl	_ZN2at6native12_GLOBAL__N_125multi_tensor_apply_kernelINS1_18TensorListMetadataILi2EEENS1_14UnaryOpFunctorIN3c107complexIfEELi2ELi1ELi1EEEJNS0_10ReciprocalIS8_EEEEEvT_T0_DpT1_ ; -- Begin function _ZN2at6native12_GLOBAL__N_125multi_tensor_apply_kernelINS1_18TensorListMetadataILi2EEENS1_14UnaryOpFunctorIN3c107complexIfEELi2ELi1ELi1EEEJNS0_10ReciprocalIS8_EEEEEvT_T0_DpT1_
	.p2align	8
	.type	_ZN2at6native12_GLOBAL__N_125multi_tensor_apply_kernelINS1_18TensorListMetadataILi2EEENS1_14UnaryOpFunctorIN3c107complexIfEELi2ELi1ELi1EEEJNS0_10ReciprocalIS8_EEEEEvT_T0_DpT1_,@function
_ZN2at6native12_GLOBAL__N_125multi_tensor_apply_kernelINS1_18TensorListMetadataILi2EEENS1_14UnaryOpFunctorIN3c107complexIfEELi2ELi1ELi1EEEJNS0_10ReciprocalIS8_EEEEEvT_T0_DpT1_: ; @_ZN2at6native12_GLOBAL__N_125multi_tensor_apply_kernelINS1_18TensorListMetadataILi2EEENS1_14UnaryOpFunctorIN3c107complexIfEELi2ELi1ELi1EEEJNS0_10ReciprocalIS8_EEEEEvT_T0_DpT1_
; %bb.0:
	s_bfe_u32 s2, ttmp6, 0x4000c
	s_and_b32 s3, ttmp6, 15
	s_add_co_i32 s2, s2, 1
	s_getreg_b32 s4, hwreg(HW_REG_IB_STS2, 6, 4)
	s_mul_i32 s2, ttmp9, s2
	s_delay_alu instid0(SALU_CYCLE_1)
	s_add_co_i32 s3, s3, s2
	s_cmp_eq_u32 s4, 0
	s_cselect_b32 s2, ttmp9, s3
	s_mov_b32 s3, 0
	s_load_u8 s11, s[0:1], s2 offset:0x600
	s_add_nc_u64 s[4:5], s[0:1], s[2:3]
	s_mul_u64 s[6:7], s[2:3], 3
	s_mov_b32 s17, s3
	s_add_nc_u64 s[8:9], s[4:5], s[6:7]
	s_load_b32 s10, s[8:9], 0x740
	s_wait_kmcnt 0x0
	s_clause 0x3
	s_load_b64 s[4:5], s[0:1], s11 offset:0x0 scale_offset
	s_load_b64 s[12:13], s[0:1], s11 offset:0x200 scale_offset
	;; [unrolled: 1-line block ×3, first 2 shown]
	s_load_b64 s[6:7], s[0:1], 0xc50
	s_wait_xcnt 0x0
	s_ashr_i32 s11, s10, 31
	s_delay_alu instid0(SALU_CYCLE_1)
	s_lshl_b64 s[8:9], s[10:11], 19
	s_wait_kmcnt 0x0
	s_and_b64 s[20:21], s[12:13], 31
	s_add_nc_u64 s[18:19], s[4:5], s[8:9]
	s_and_b32 s16, s14, 3
	s_and_b32 s2, s18, 31
	s_or_b64 s[16:17], s[20:21], s[16:17]
	s_lshl_b64 s[10:11], s[10:11], 16
	s_or_b64 s[2:3], s[16:17], s[2:3]
	s_sub_nc_u64 s[10:11], s[14:15], s[10:11]
	s_cmp_eq_u64 s[2:3], 0
	s_mov_b32 s2, -1
	s_cbranch_scc0 .LBB276_37
; %bb.1:
	v_min_i64 v[14:15], 0x10000, s[10:11]
	v_dual_mov_b32 v3, 0 :: v_dual_lshlrev_b32 v2, 2, v0
	s_mov_b32 s3, exec_lo
	s_delay_alu instid0(VALU_DEP_1)
	v_cmpx_lt_i64_e64 v[2:3], v[14:15]
	s_cbranch_execz .LBB276_36
; %bb.2:
	s_load_b32 s2, s[0:1], 0xc64
	v_dual_mov_b32 v1, v3 :: v_dual_lshlrev_b32 v2, 5, v0
	s_mov_b32 s15, 0
	s_mov_b32 s16, s7
	s_mov_b32 s17, s6
	s_delay_alu instid0(VALU_DEP_1)
	v_add_nc_u64_e32 v[16:17], s[8:9], v[2:3]
	v_mov_b64_e32 v[18:19], v[0:1]
	s_mov_b32 s19, s15
	s_mov_b32 s20, s15
	s_wait_kmcnt 0x0
	s_and_b32 s14, s2, 0xffff
	s_delay_alu instid0(SALU_CYCLE_1)
	s_lshl_b32 s18, s14, 5
	s_branch .LBB276_4
.LBB276_3:                              ;   in Loop: Header=BB276_4 Depth=1
	s_or_b32 exec_lo, exec_lo, s2
	v_add_nc_u64_e32 v[18:19], s[14:15], v[18:19]
	s_delay_alu instid0(VALU_DEP_1) | instskip(NEXT) | instid1(VALU_DEP_1)
	v_lshlrev_b64_e32 v[2:3], 2, v[18:19]
	v_cmp_ge_i64_e32 vcc_lo, v[2:3], v[14:15]
	v_add_nc_u64_e32 v[2:3], s[12:13], v[16:17]
	v_add_nc_u64_e32 v[16:17], s[18:19], v[16:17]
	s_clause 0x1
	global_store_b128 v[2:3], v[6:9], off
	global_store_b128 v[2:3], v[10:13], off offset:16
	s_or_b32 s20, vcc_lo, s20
	s_wait_xcnt 0x0
	s_and_not1_b32 exec_lo, exec_lo, s20
	s_cbranch_execz .LBB276_36
.LBB276_4:                              ; =>This Inner Loop Header: Depth=1
	v_add_nc_u64_e32 v[6:7], s[4:5], v[16:17]
	s_mov_b32 s2, exec_lo
	s_clause 0x1
	global_load_b128 v[10:13], v[6:7], off
	global_load_b128 v[2:5], v[6:7], off offset:16
                                        ; implicit-def: $vgpr6_vgpr7
	s_wait_loadcnt 0x1
	v_cmp_gt_f32_e32 vcc_lo, 0, v11
	v_cndmask_b32_e64 v1, v11, -v11, vcc_lo
	v_cmp_gt_f32_e32 vcc_lo, 0, v10
	v_cndmask_b32_e64 v8, v10, -v10, vcc_lo
	s_wait_xcnt 0x0
	s_delay_alu instid0(VALU_DEP_1)
	v_cmpx_ge_f32_e32 v8, v1
	s_xor_b32 s21, exec_lo, s2
	s_cbranch_execz .LBB276_10
; %bb.5:                                ;   in Loop: Header=BB276_4 Depth=1
	v_cmp_neq_f32_e32 vcc_lo, 0, v10
	v_cmp_neq_f32_e64 s2, 0, v11
                                        ; implicit-def: $vgpr6_vgpr7
	s_or_b32 s2, vcc_lo, s2
	s_delay_alu instid0(SALU_CYCLE_1) | instskip(NEXT) | instid1(SALU_CYCLE_1)
	s_and_saveexec_b32 s22, s2
	s_xor_b32 s2, exec_lo, s22
	s_cbranch_execz .LBB276_7
; %bb.6:                                ;   in Loop: Header=BB276_4 Depth=1
	v_div_scale_f32 v1, null, v10, v10, v11
	v_div_scale_f32 v8, vcc_lo, v11, v10, v11
	s_delay_alu instid0(VALU_DEP_2) | instskip(SKIP_1) | instid1(TRANS32_DEP_1)
	v_rcp_f32_e32 v6, v1
	v_nop
	v_fma_f32 v7, -v1, v6, 1.0
	s_delay_alu instid0(VALU_DEP_1) | instskip(NEXT) | instid1(VALU_DEP_1)
	v_fmac_f32_e32 v6, v7, v6
	v_mul_f32_e32 v7, v8, v6
	s_delay_alu instid0(VALU_DEP_1) | instskip(NEXT) | instid1(VALU_DEP_1)
	v_fma_f32 v9, -v1, v7, v8
	v_fmac_f32_e32 v7, v9, v6
	s_delay_alu instid0(VALU_DEP_1) | instskip(NEXT) | instid1(VALU_DEP_1)
	v_fma_f32 v1, -v1, v7, v8
	v_div_fmas_f32 v1, v1, v6, v7
	s_delay_alu instid0(VALU_DEP_1) | instskip(NEXT) | instid1(VALU_DEP_1)
	v_div_fixup_f32 v6, v1, v10, v11
	v_fma_f32 v1, v11, v6, v10
	s_delay_alu instid0(VALU_DEP_1) | instskip(SKIP_1) | instid1(VALU_DEP_2)
	v_div_scale_f32 v7, null, v1, v1, 1.0
	v_div_scale_f32 v20, vcc_lo, 1.0, v1, 1.0
	v_rcp_f32_e32 v22, v7
	v_nop
	s_delay_alu instid0(TRANS32_DEP_1) | instskip(NEXT) | instid1(VALU_DEP_1)
	v_fma_f32 v8, -v7, v22, 1.0
	v_fmac_f32_e32 v22, v8, v22
	s_delay_alu instid0(VALU_DEP_1) | instskip(NEXT) | instid1(VALU_DEP_1)
	v_mul_f32_e32 v23, v20, v22
	v_fma_f32 v8, -v7, v23, v20
	s_delay_alu instid0(VALU_DEP_1) | instskip(SKIP_1) | instid1(VALU_DEP_2)
	v_fmac_f32_e32 v23, v8, v22
	v_mov_b64_e32 v[8:9], s[6:7]
	v_fma_f32 v7, -v7, v23, v20
	v_mov_b64_e32 v[20:21], s[16:17]
	s_delay_alu instid0(VALU_DEP_2) | instskip(NEXT) | instid1(VALU_DEP_2)
	v_div_fmas_f32 v24, v7, v22, v23
	v_pk_fma_f32 v[22:23], v[6:7], v[20:21], v[8:9] op_sel_hi:[0,1,1] neg_lo:[1,0,0] neg_hi:[1,0,0]
	v_pk_fma_f32 v[6:7], v[6:7], v[20:21], v[8:9]
	s_delay_alu instid0(VALU_DEP_3) | instskip(NEXT) | instid1(VALU_DEP_3)
	v_div_fixup_f32 v8, v24, v1, 1.0
                                        ; implicit-def: $vgpr1
	v_mov_b32_e32 v7, v23
	s_delay_alu instid0(VALU_DEP_1)
	v_pk_mul_f32 v[6:7], v[6:7], v[8:9] op_sel_hi:[1,0]
                                        ; implicit-def: $vgpr8
.LBB276_7:                              ;   in Loop: Header=BB276_4 Depth=1
	s_and_not1_saveexec_b32 s22, s2
	s_cbranch_execz .LBB276_9
; %bb.8:                                ;   in Loop: Header=BB276_4 Depth=1
	v_div_scale_f32 v6, null, v1, v1, s7
	v_div_scale_f32 v7, null, v8, v8, s6
	v_div_scale_f32 v23, vcc_lo, s7, v1, s7
	s_delay_alu instid0(VALU_DEP_3) | instskip(NEXT) | instid1(VALU_DEP_2)
	v_rcp_f32_e32 v9, v6
	v_rcp_f32_e32 v20, v7
	s_delay_alu instid0(TRANS32_DEP_2) | instskip(NEXT) | instid1(TRANS32_DEP_1)
	v_fma_f32 v21, -v6, v9, 1.0
	v_fma_f32 v22, -v7, v20, 1.0
	s_delay_alu instid0(VALU_DEP_1) | instskip(SKIP_1) | instid1(VALU_DEP_1)
	v_dual_fmac_f32 v9, v21, v9 :: v_dual_fmac_f32 v20, v22, v20
	v_div_scale_f32 v21, s2, s6, v8, s6
	v_dual_mul_f32 v22, v23, v9 :: v_dual_mul_f32 v24, v21, v20
	s_delay_alu instid0(VALU_DEP_1) | instskip(NEXT) | instid1(VALU_DEP_1)
	v_dual_fma_f32 v25, -v6, v22, v23 :: v_dual_fma_f32 v26, -v7, v24, v21
	v_dual_fmac_f32 v22, v25, v9 :: v_dual_fmac_f32 v24, v26, v20
	s_delay_alu instid0(VALU_DEP_1) | instskip(NEXT) | instid1(VALU_DEP_1)
	v_dual_fma_f32 v6, -v6, v22, v23 :: v_dual_fma_f32 v7, -v7, v24, v21
	v_div_fmas_f32 v6, v6, v9, v22
	s_mov_b32 vcc_lo, s2
	s_delay_alu instid0(VALU_DEP_2) | instskip(NEXT) | instid1(VALU_DEP_2)
	v_div_fmas_f32 v9, v7, v20, v24
	v_div_fixup_f32 v7, v6, v1, s7
	s_delay_alu instid0(VALU_DEP_2)
	v_div_fixup_f32 v6, v9, v8, s6
.LBB276_9:                              ;   in Loop: Header=BB276_4 Depth=1
	s_or_b32 exec_lo, exec_lo, s22
.LBB276_10:                             ;   in Loop: Header=BB276_4 Depth=1
	s_and_not1_saveexec_b32 s2, s21
	s_cbranch_execz .LBB276_12
; %bb.11:                               ;   in Loop: Header=BB276_4 Depth=1
	v_div_scale_f32 v1, null, v11, v11, v10
	v_div_scale_f32 v8, vcc_lo, v10, v11, v10
	s_delay_alu instid0(VALU_DEP_2) | instskip(SKIP_1) | instid1(TRANS32_DEP_1)
	v_rcp_f32_e32 v6, v1
	v_nop
	v_fma_f32 v7, -v1, v6, 1.0
	s_delay_alu instid0(VALU_DEP_1) | instskip(NEXT) | instid1(VALU_DEP_1)
	v_fmac_f32_e32 v6, v7, v6
	v_mul_f32_e32 v7, v8, v6
	s_delay_alu instid0(VALU_DEP_1) | instskip(NEXT) | instid1(VALU_DEP_1)
	v_fma_f32 v9, -v1, v7, v8
	v_fmac_f32_e32 v7, v9, v6
	s_delay_alu instid0(VALU_DEP_1) | instskip(NEXT) | instid1(VALU_DEP_1)
	v_fma_f32 v1, -v1, v7, v8
	v_div_fmas_f32 v1, v1, v6, v7
	s_delay_alu instid0(VALU_DEP_1) | instskip(NEXT) | instid1(VALU_DEP_1)
	v_div_fixup_f32 v6, v1, v11, v10
	v_fma_f32 v1, v10, v6, v11
	s_delay_alu instid0(VALU_DEP_1) | instskip(SKIP_1) | instid1(VALU_DEP_2)
	v_div_scale_f32 v7, null, v1, v1, 1.0
	v_div_scale_f32 v10, vcc_lo, 1.0, v1, 1.0
	v_rcp_f32_e32 v20, v7
	v_nop
	s_delay_alu instid0(TRANS32_DEP_1) | instskip(NEXT) | instid1(VALU_DEP_1)
	v_fma_f32 v8, -v7, v20, 1.0
	v_fmac_f32_e32 v20, v8, v20
	s_delay_alu instid0(VALU_DEP_1) | instskip(NEXT) | instid1(VALU_DEP_1)
	v_mul_f32_e32 v21, v10, v20
	v_fma_f32 v8, -v7, v21, v10
	s_delay_alu instid0(VALU_DEP_1) | instskip(SKIP_1) | instid1(VALU_DEP_2)
	v_fmac_f32_e32 v21, v8, v20
	v_mov_b64_e32 v[8:9], s[16:17]
	v_fma_f32 v7, -v7, v21, v10
	v_mov_b64_e32 v[10:11], s[6:7]
	s_delay_alu instid0(VALU_DEP_2) | instskip(NEXT) | instid1(VALU_DEP_2)
	v_div_fmas_f32 v22, v7, v20, v21
	v_pk_fma_f32 v[20:21], v[6:7], v[10:11], v[8:9] op_sel_hi:[0,1,1] neg_lo:[0,0,1] neg_hi:[0,0,1]
	v_pk_fma_f32 v[6:7], v[6:7], v[10:11], v[8:9]
	s_delay_alu instid0(VALU_DEP_3) | instskip(NEXT) | instid1(VALU_DEP_3)
	v_div_fixup_f32 v8, v22, v1, 1.0
	v_mov_b32_e32 v7, v21
	s_delay_alu instid0(VALU_DEP_1)
	v_pk_mul_f32 v[6:7], v[6:7], v[8:9] op_sel_hi:[1,0]
.LBB276_12:                             ;   in Loop: Header=BB276_4 Depth=1
	s_or_b32 exec_lo, exec_lo, s2
	v_cmp_gt_f32_e32 vcc_lo, 0, v13
	s_mov_b32 s2, exec_lo
	v_cndmask_b32_e64 v1, v13, -v13, vcc_lo
	v_cmp_gt_f32_e32 vcc_lo, 0, v12
	v_cndmask_b32_e64 v10, v12, -v12, vcc_lo
	s_delay_alu instid0(VALU_DEP_1)
	v_cmpx_ge_f32_e32 v10, v1
	s_xor_b32 s21, exec_lo, s2
	s_cbranch_execz .LBB276_18
; %bb.13:                               ;   in Loop: Header=BB276_4 Depth=1
	v_cmp_neq_f32_e32 vcc_lo, 0, v12
	v_cmp_neq_f32_e64 s2, 0, v13
	s_or_b32 s2, vcc_lo, s2
	s_delay_alu instid0(SALU_CYCLE_1) | instskip(NEXT) | instid1(SALU_CYCLE_1)
	s_and_saveexec_b32 s22, s2
	s_xor_b32 s2, exec_lo, s22
	s_cbranch_execz .LBB276_15
; %bb.14:                               ;   in Loop: Header=BB276_4 Depth=1
	v_div_scale_f32 v1, null, v12, v12, v13
	v_div_scale_f32 v10, vcc_lo, v13, v12, v13
	v_mov_b64_e32 v[20:21], s[16:17]
	s_delay_alu instid0(VALU_DEP_3) | instskip(SKIP_1) | instid1(TRANS32_DEP_1)
	v_rcp_f32_e32 v8, v1
	v_nop
	v_fma_f32 v9, -v1, v8, 1.0
	s_delay_alu instid0(VALU_DEP_1) | instskip(NEXT) | instid1(VALU_DEP_1)
	v_fmac_f32_e32 v8, v9, v8
	v_mul_f32_e32 v9, v10, v8
	s_delay_alu instid0(VALU_DEP_1) | instskip(NEXT) | instid1(VALU_DEP_1)
	v_fma_f32 v11, -v1, v9, v10
	v_fmac_f32_e32 v9, v11, v8
	s_delay_alu instid0(VALU_DEP_1) | instskip(NEXT) | instid1(VALU_DEP_1)
	v_fma_f32 v1, -v1, v9, v10
	v_div_fmas_f32 v1, v1, v8, v9
	s_delay_alu instid0(VALU_DEP_1) | instskip(NEXT) | instid1(VALU_DEP_1)
	v_div_fixup_f32 v8, v1, v12, v13
	v_fmac_f32_e32 v12, v13, v8
	s_delay_alu instid0(VALU_DEP_1) | instskip(SKIP_1) | instid1(VALU_DEP_2)
	v_div_scale_f32 v1, null, v12, v12, 1.0
	v_div_scale_f32 v13, vcc_lo, 1.0, v12, 1.0
	v_rcp_f32_e32 v9, v1
	v_nop
	s_delay_alu instid0(TRANS32_DEP_1) | instskip(NEXT) | instid1(VALU_DEP_1)
	v_fma_f32 v10, -v1, v9, 1.0
	v_fmac_f32_e32 v9, v10, v9
	s_delay_alu instid0(VALU_DEP_1) | instskip(NEXT) | instid1(VALU_DEP_1)
	v_mul_f32_e32 v22, v13, v9
	v_fma_f32 v10, -v1, v22, v13
	s_delay_alu instid0(VALU_DEP_1) | instskip(SKIP_1) | instid1(VALU_DEP_2)
	v_fmac_f32_e32 v22, v10, v9
	v_mov_b64_e32 v[10:11], s[6:7]
	v_fma_f32 v1, -v1, v22, v13
	s_delay_alu instid0(VALU_DEP_1) | instskip(NEXT) | instid1(VALU_DEP_3)
	v_div_fmas_f32 v1, v1, v9, v22
	v_pk_fma_f32 v[22:23], v[8:9], v[20:21], v[10:11] op_sel_hi:[0,1,1] neg_lo:[1,0,0] neg_hi:[1,0,0]
	v_pk_fma_f32 v[8:9], v[8:9], v[20:21], v[10:11]
	s_delay_alu instid0(VALU_DEP_3) | instskip(NEXT) | instid1(VALU_DEP_3)
	v_div_fixup_f32 v10, v1, v12, 1.0
	v_mov_b32_e32 v9, v23
                                        ; implicit-def: $vgpr1
	s_delay_alu instid0(VALU_DEP_1)
	v_pk_mul_f32 v[8:9], v[8:9], v[10:11] op_sel_hi:[1,0]
                                        ; implicit-def: $vgpr10
.LBB276_15:                             ;   in Loop: Header=BB276_4 Depth=1
	s_and_not1_saveexec_b32 s22, s2
	s_cbranch_execz .LBB276_17
; %bb.16:                               ;   in Loop: Header=BB276_4 Depth=1
	v_div_scale_f32 v8, null, v1, v1, s7
	v_div_scale_f32 v9, null, v10, v10, s6
	v_div_scale_f32 v21, vcc_lo, s7, v1, s7
	s_delay_alu instid0(VALU_DEP_3) | instskip(NEXT) | instid1(VALU_DEP_2)
	v_rcp_f32_e32 v11, v8
	v_rcp_f32_e32 v12, v9
	s_delay_alu instid0(TRANS32_DEP_2) | instskip(NEXT) | instid1(TRANS32_DEP_1)
	v_fma_f32 v13, -v8, v11, 1.0
	v_fma_f32 v20, -v9, v12, 1.0
	s_delay_alu instid0(VALU_DEP_1) | instskip(SKIP_1) | instid1(VALU_DEP_1)
	v_dual_fmac_f32 v11, v13, v11 :: v_dual_fmac_f32 v12, v20, v12
	v_div_scale_f32 v13, s2, s6, v10, s6
	v_mul_f32_e32 v22, v13, v12
	s_delay_alu instid0(VALU_DEP_1) | instskip(NEXT) | instid1(VALU_DEP_1)
	v_fma_f32 v24, -v9, v22, v13
	v_dual_mul_f32 v20, v21, v11 :: v_dual_fmac_f32 v22, v24, v12
	s_delay_alu instid0(VALU_DEP_1) | instskip(NEXT) | instid1(VALU_DEP_1)
	v_fma_f32 v23, -v8, v20, v21
	v_dual_fma_f32 v9, -v9, v22, v13 :: v_dual_fmac_f32 v20, v23, v11
	s_delay_alu instid0(VALU_DEP_1) | instskip(NEXT) | instid1(VALU_DEP_1)
	v_fma_f32 v8, -v8, v20, v21
	v_div_fmas_f32 v8, v8, v11, v20
	s_mov_b32 vcc_lo, s2
	s_delay_alu instid0(VALU_DEP_3) | instskip(NEXT) | instid1(VALU_DEP_2)
	v_div_fmas_f32 v11, v9, v12, v22
	v_div_fixup_f32 v9, v8, v1, s7
	s_delay_alu instid0(VALU_DEP_2)
	v_div_fixup_f32 v8, v11, v10, s6
.LBB276_17:                             ;   in Loop: Header=BB276_4 Depth=1
	s_or_b32 exec_lo, exec_lo, s22
                                        ; implicit-def: $vgpr10_vgpr11_vgpr12_vgpr13
.LBB276_18:                             ;   in Loop: Header=BB276_4 Depth=1
	s_and_not1_saveexec_b32 s2, s21
	s_cbranch_execz .LBB276_20
; %bb.19:                               ;   in Loop: Header=BB276_4 Depth=1
	v_div_scale_f32 v1, null, v13, v13, v12
	v_div_scale_f32 v10, vcc_lo, v12, v13, v12
	v_mov_b64_e32 v[20:21], s[6:7]
	s_delay_alu instid0(VALU_DEP_3) | instskip(SKIP_1) | instid1(TRANS32_DEP_1)
	v_rcp_f32_e32 v8, v1
	v_nop
	v_fma_f32 v9, -v1, v8, 1.0
	s_delay_alu instid0(VALU_DEP_1) | instskip(NEXT) | instid1(VALU_DEP_1)
	v_fmac_f32_e32 v8, v9, v8
	v_mul_f32_e32 v9, v10, v8
	s_delay_alu instid0(VALU_DEP_1) | instskip(NEXT) | instid1(VALU_DEP_1)
	v_fma_f32 v11, -v1, v9, v10
	v_fmac_f32_e32 v9, v11, v8
	s_delay_alu instid0(VALU_DEP_1) | instskip(NEXT) | instid1(VALU_DEP_1)
	v_fma_f32 v1, -v1, v9, v10
	v_div_fmas_f32 v1, v1, v8, v9
	s_delay_alu instid0(VALU_DEP_1) | instskip(NEXT) | instid1(VALU_DEP_1)
	v_div_fixup_f32 v8, v1, v13, v12
	v_fmac_f32_e32 v13, v12, v8
	s_delay_alu instid0(VALU_DEP_1) | instskip(SKIP_1) | instid1(VALU_DEP_2)
	v_div_scale_f32 v1, null, v13, v13, 1.0
	v_div_scale_f32 v12, vcc_lo, 1.0, v13, 1.0
	v_rcp_f32_e32 v9, v1
	v_nop
	s_delay_alu instid0(TRANS32_DEP_1) | instskip(NEXT) | instid1(VALU_DEP_1)
	v_fma_f32 v10, -v1, v9, 1.0
	v_fmac_f32_e32 v9, v10, v9
	s_delay_alu instid0(VALU_DEP_1) | instskip(NEXT) | instid1(VALU_DEP_1)
	v_mul_f32_e32 v22, v12, v9
	v_fma_f32 v10, -v1, v22, v12
	s_delay_alu instid0(VALU_DEP_1) | instskip(SKIP_1) | instid1(VALU_DEP_2)
	v_fmac_f32_e32 v22, v10, v9
	v_mov_b64_e32 v[10:11], s[16:17]
	v_fma_f32 v1, -v1, v22, v12
	s_delay_alu instid0(VALU_DEP_1) | instskip(NEXT) | instid1(VALU_DEP_3)
	v_div_fmas_f32 v1, v1, v9, v22
	v_pk_fma_f32 v[22:23], v[8:9], v[20:21], v[10:11] op_sel_hi:[0,1,1] neg_lo:[0,0,1] neg_hi:[0,0,1]
	v_pk_fma_f32 v[8:9], v[8:9], v[20:21], v[10:11]
	s_delay_alu instid0(VALU_DEP_3) | instskip(NEXT) | instid1(VALU_DEP_3)
	v_div_fixup_f32 v10, v1, v13, 1.0
	v_mov_b32_e32 v9, v23
	s_delay_alu instid0(VALU_DEP_1)
	v_pk_mul_f32 v[8:9], v[8:9], v[10:11] op_sel_hi:[1,0]
.LBB276_20:                             ;   in Loop: Header=BB276_4 Depth=1
	s_or_b32 exec_lo, exec_lo, s2
	s_wait_loadcnt 0x0
	v_cmp_gt_f32_e32 vcc_lo, 0, v3
                                        ; implicit-def: $vgpr10_vgpr11
	s_mov_b32 s2, exec_lo
	v_cndmask_b32_e64 v1, v3, -v3, vcc_lo
	v_cmp_gt_f32_e32 vcc_lo, 0, v2
	v_cndmask_b32_e64 v12, v2, -v2, vcc_lo
	s_delay_alu instid0(VALU_DEP_1)
	v_cmpx_ge_f32_e32 v12, v1
	s_xor_b32 s21, exec_lo, s2
	s_cbranch_execz .LBB276_26
; %bb.21:                               ;   in Loop: Header=BB276_4 Depth=1
	v_cmp_neq_f32_e32 vcc_lo, 0, v2
	v_cmp_neq_f32_e64 s2, 0, v3
                                        ; implicit-def: $vgpr10_vgpr11
	s_or_b32 s2, vcc_lo, s2
	s_delay_alu instid0(SALU_CYCLE_1) | instskip(NEXT) | instid1(SALU_CYCLE_1)
	s_and_saveexec_b32 s22, s2
	s_xor_b32 s2, exec_lo, s22
	s_cbranch_execz .LBB276_23
; %bb.22:                               ;   in Loop: Header=BB276_4 Depth=1
	v_div_scale_f32 v1, null, v2, v2, v3
	v_div_scale_f32 v12, vcc_lo, v3, v2, v3
	s_delay_alu instid0(VALU_DEP_2) | instskip(SKIP_1) | instid1(TRANS32_DEP_1)
	v_rcp_f32_e32 v10, v1
	v_nop
	v_fma_f32 v11, -v1, v10, 1.0
	s_delay_alu instid0(VALU_DEP_1) | instskip(NEXT) | instid1(VALU_DEP_1)
	v_fmac_f32_e32 v10, v11, v10
	v_mul_f32_e32 v11, v12, v10
	s_delay_alu instid0(VALU_DEP_1) | instskip(NEXT) | instid1(VALU_DEP_1)
	v_fma_f32 v13, -v1, v11, v12
	v_fmac_f32_e32 v11, v13, v10
	s_delay_alu instid0(VALU_DEP_1) | instskip(NEXT) | instid1(VALU_DEP_1)
	v_fma_f32 v1, -v1, v11, v12
	v_div_fmas_f32 v1, v1, v10, v11
	s_delay_alu instid0(VALU_DEP_1) | instskip(NEXT) | instid1(VALU_DEP_1)
	v_div_fixup_f32 v10, v1, v2, v3
	v_fma_f32 v1, v3, v10, v2
	s_delay_alu instid0(VALU_DEP_1) | instskip(SKIP_1) | instid1(VALU_DEP_2)
	v_div_scale_f32 v11, null, v1, v1, 1.0
	v_div_scale_f32 v20, vcc_lo, 1.0, v1, 1.0
	v_rcp_f32_e32 v22, v11
	v_nop
	s_delay_alu instid0(TRANS32_DEP_1) | instskip(NEXT) | instid1(VALU_DEP_1)
	v_fma_f32 v12, -v11, v22, 1.0
	v_fmac_f32_e32 v22, v12, v22
	s_delay_alu instid0(VALU_DEP_1) | instskip(NEXT) | instid1(VALU_DEP_1)
	v_mul_f32_e32 v23, v20, v22
	v_fma_f32 v12, -v11, v23, v20
	s_delay_alu instid0(VALU_DEP_1) | instskip(SKIP_1) | instid1(VALU_DEP_2)
	v_fmac_f32_e32 v23, v12, v22
	v_mov_b64_e32 v[12:13], s[6:7]
	v_fma_f32 v11, -v11, v23, v20
	v_mov_b64_e32 v[20:21], s[16:17]
	s_delay_alu instid0(VALU_DEP_2) | instskip(NEXT) | instid1(VALU_DEP_2)
	v_div_fmas_f32 v24, v11, v22, v23
	v_pk_fma_f32 v[22:23], v[10:11], v[20:21], v[12:13] op_sel_hi:[0,1,1] neg_lo:[1,0,0] neg_hi:[1,0,0]
	v_pk_fma_f32 v[10:11], v[10:11], v[20:21], v[12:13]
	s_delay_alu instid0(VALU_DEP_3) | instskip(NEXT) | instid1(VALU_DEP_3)
	v_div_fixup_f32 v12, v24, v1, 1.0
                                        ; implicit-def: $vgpr1
	v_mov_b32_e32 v11, v23
	s_delay_alu instid0(VALU_DEP_1)
	v_pk_mul_f32 v[10:11], v[10:11], v[12:13] op_sel_hi:[1,0]
                                        ; implicit-def: $vgpr12
.LBB276_23:                             ;   in Loop: Header=BB276_4 Depth=1
	s_and_not1_saveexec_b32 s22, s2
	s_cbranch_execz .LBB276_25
; %bb.24:                               ;   in Loop: Header=BB276_4 Depth=1
	v_div_scale_f32 v10, null, v1, v1, s7
	v_div_scale_f32 v11, null, v12, v12, s6
	v_div_scale_f32 v23, vcc_lo, s7, v1, s7
	s_delay_alu instid0(VALU_DEP_3) | instskip(NEXT) | instid1(VALU_DEP_2)
	v_rcp_f32_e32 v13, v10
	v_rcp_f32_e32 v20, v11
	s_delay_alu instid0(TRANS32_DEP_2) | instskip(NEXT) | instid1(TRANS32_DEP_1)
	v_fma_f32 v21, -v10, v13, 1.0
	v_fma_f32 v22, -v11, v20, 1.0
	s_delay_alu instid0(VALU_DEP_1) | instskip(SKIP_1) | instid1(VALU_DEP_1)
	v_dual_fmac_f32 v13, v21, v13 :: v_dual_fmac_f32 v20, v22, v20
	v_div_scale_f32 v21, s2, s6, v12, s6
	v_dual_mul_f32 v22, v23, v13 :: v_dual_mul_f32 v24, v21, v20
	s_delay_alu instid0(VALU_DEP_1) | instskip(NEXT) | instid1(VALU_DEP_1)
	v_dual_fma_f32 v25, -v10, v22, v23 :: v_dual_fma_f32 v26, -v11, v24, v21
	v_dual_fmac_f32 v22, v25, v13 :: v_dual_fmac_f32 v24, v26, v20
	s_delay_alu instid0(VALU_DEP_1) | instskip(NEXT) | instid1(VALU_DEP_1)
	v_dual_fma_f32 v10, -v10, v22, v23 :: v_dual_fma_f32 v11, -v11, v24, v21
	v_div_fmas_f32 v10, v10, v13, v22
	s_mov_b32 vcc_lo, s2
	s_delay_alu instid0(VALU_DEP_2) | instskip(NEXT) | instid1(VALU_DEP_2)
	v_div_fmas_f32 v13, v11, v20, v24
	v_div_fixup_f32 v11, v10, v1, s7
	s_delay_alu instid0(VALU_DEP_2)
	v_div_fixup_f32 v10, v13, v12, s6
.LBB276_25:                             ;   in Loop: Header=BB276_4 Depth=1
	s_or_b32 exec_lo, exec_lo, s22
.LBB276_26:                             ;   in Loop: Header=BB276_4 Depth=1
	s_and_not1_saveexec_b32 s2, s21
	s_cbranch_execz .LBB276_28
; %bb.27:                               ;   in Loop: Header=BB276_4 Depth=1
	v_div_scale_f32 v1, null, v3, v3, v2
	v_div_scale_f32 v12, vcc_lo, v2, v3, v2
	s_delay_alu instid0(VALU_DEP_2) | instskip(SKIP_1) | instid1(TRANS32_DEP_1)
	v_rcp_f32_e32 v10, v1
	v_nop
	v_fma_f32 v11, -v1, v10, 1.0
	s_delay_alu instid0(VALU_DEP_1) | instskip(NEXT) | instid1(VALU_DEP_1)
	v_fmac_f32_e32 v10, v11, v10
	v_mul_f32_e32 v11, v12, v10
	s_delay_alu instid0(VALU_DEP_1) | instskip(NEXT) | instid1(VALU_DEP_1)
	v_fma_f32 v13, -v1, v11, v12
	v_fmac_f32_e32 v11, v13, v10
	s_delay_alu instid0(VALU_DEP_1) | instskip(NEXT) | instid1(VALU_DEP_1)
	v_fma_f32 v1, -v1, v11, v12
	v_div_fmas_f32 v1, v1, v10, v11
	s_delay_alu instid0(VALU_DEP_1) | instskip(NEXT) | instid1(VALU_DEP_1)
	v_div_fixup_f32 v10, v1, v3, v2
	v_fma_f32 v1, v2, v10, v3
	s_delay_alu instid0(VALU_DEP_1) | instskip(SKIP_1) | instid1(VALU_DEP_2)
	v_div_scale_f32 v11, null, v1, v1, 1.0
	v_div_scale_f32 v12, vcc_lo, 1.0, v1, 1.0
	v_rcp_f32_e32 v20, v11
	v_nop
	s_delay_alu instid0(TRANS32_DEP_1) | instskip(NEXT) | instid1(VALU_DEP_1)
	v_fma_f32 v2, -v11, v20, 1.0
	v_fmac_f32_e32 v20, v2, v20
	s_delay_alu instid0(VALU_DEP_1) | instskip(NEXT) | instid1(VALU_DEP_1)
	v_mul_f32_e32 v21, v12, v20
	v_fma_f32 v2, -v11, v21, v12
	s_delay_alu instid0(VALU_DEP_1) | instskip(SKIP_1) | instid1(VALU_DEP_2)
	v_fmac_f32_e32 v21, v2, v20
	v_mov_b64_e32 v[2:3], s[16:17]
	v_fma_f32 v11, -v11, v21, v12
	v_mov_b64_e32 v[12:13], s[6:7]
	s_delay_alu instid0(VALU_DEP_2) | instskip(NEXT) | instid1(VALU_DEP_1)
	v_div_fmas_f32 v11, v11, v20, v21
	v_pk_fma_f32 v[20:21], v[10:11], v[12:13], v[2:3] op_sel_hi:[0,1,1] neg_lo:[0,0,1] neg_hi:[0,0,1]
	v_pk_fma_f32 v[2:3], v[10:11], v[12:13], v[2:3]
	v_div_fixup_f32 v10, v11, v1, 1.0
	s_delay_alu instid0(VALU_DEP_3) | instskip(NEXT) | instid1(VALU_DEP_1)
	v_mov_b32_e32 v3, v21
	v_pk_mul_f32 v[10:11], v[2:3], v[10:11] op_sel_hi:[1,0]
.LBB276_28:                             ;   in Loop: Header=BB276_4 Depth=1
	s_or_b32 exec_lo, exec_lo, s2
	v_cmp_gt_f32_e32 vcc_lo, 0, v5
	s_mov_b32 s2, exec_lo
	v_cndmask_b32_e64 v1, v5, -v5, vcc_lo
	v_cmp_gt_f32_e32 vcc_lo, 0, v4
	v_cndmask_b32_e64 v2, v4, -v4, vcc_lo
	s_delay_alu instid0(VALU_DEP_1)
	v_cmpx_ge_f32_e32 v2, v1
	s_xor_b32 s21, exec_lo, s2
	s_cbranch_execz .LBB276_34
; %bb.29:                               ;   in Loop: Header=BB276_4 Depth=1
	v_cmp_neq_f32_e32 vcc_lo, 0, v4
	v_cmp_neq_f32_e64 s2, 0, v5
	s_or_b32 s2, vcc_lo, s2
	s_delay_alu instid0(SALU_CYCLE_1) | instskip(NEXT) | instid1(SALU_CYCLE_1)
	s_and_saveexec_b32 s22, s2
	s_xor_b32 s2, exec_lo, s22
	s_cbranch_execz .LBB276_31
; %bb.30:                               ;   in Loop: Header=BB276_4 Depth=1
	v_div_scale_f32 v1, null, v4, v4, v5
	v_div_scale_f32 v12, vcc_lo, v5, v4, v5
	s_delay_alu instid0(VALU_DEP_2) | instskip(SKIP_1) | instid1(TRANS32_DEP_1)
	v_rcp_f32_e32 v2, v1
	v_nop
	v_fma_f32 v3, -v1, v2, 1.0
	s_delay_alu instid0(VALU_DEP_1) | instskip(NEXT) | instid1(VALU_DEP_1)
	v_fmac_f32_e32 v2, v3, v2
	v_mul_f32_e32 v3, v12, v2
	s_delay_alu instid0(VALU_DEP_1) | instskip(NEXT) | instid1(VALU_DEP_1)
	v_fma_f32 v13, -v1, v3, v12
	v_fmac_f32_e32 v3, v13, v2
	s_delay_alu instid0(VALU_DEP_1) | instskip(NEXT) | instid1(VALU_DEP_1)
	v_fma_f32 v1, -v1, v3, v12
	v_div_fmas_f32 v1, v1, v2, v3
	s_delay_alu instid0(VALU_DEP_1) | instskip(NEXT) | instid1(VALU_DEP_1)
	v_div_fixup_f32 v2, v1, v4, v5
	v_fmac_f32_e32 v4, v5, v2
	s_delay_alu instid0(VALU_DEP_1) | instskip(SKIP_1) | instid1(VALU_DEP_2)
	v_div_scale_f32 v1, null, v4, v4, 1.0
	v_div_scale_f32 v20, vcc_lo, 1.0, v4, 1.0
	v_rcp_f32_e32 v3, v1
	v_nop
	s_delay_alu instid0(TRANS32_DEP_1) | instskip(NEXT) | instid1(VALU_DEP_1)
	v_fma_f32 v5, -v1, v3, 1.0
	v_fmac_f32_e32 v3, v5, v3
	s_delay_alu instid0(VALU_DEP_1) | instskip(NEXT) | instid1(VALU_DEP_1)
	v_mul_f32_e32 v5, v20, v3
	v_fma_f32 v12, -v1, v5, v20
	s_delay_alu instid0(VALU_DEP_1) | instskip(SKIP_1) | instid1(VALU_DEP_2)
	v_fmac_f32_e32 v5, v12, v3
	v_mov_b64_e32 v[12:13], s[6:7]
	v_fma_f32 v1, -v1, v5, v20
	v_mov_b64_e32 v[20:21], s[16:17]
	s_delay_alu instid0(VALU_DEP_2) | instskip(NEXT) | instid1(VALU_DEP_2)
	v_div_fmas_f32 v1, v1, v3, v5
	v_pk_fma_f32 v[22:23], v[2:3], v[20:21], v[12:13] op_sel_hi:[0,1,1] neg_lo:[1,0,0] neg_hi:[1,0,0]
	v_pk_fma_f32 v[2:3], v[2:3], v[20:21], v[12:13]
	s_delay_alu instid0(VALU_DEP_3) | instskip(NEXT) | instid1(VALU_DEP_3)
	v_div_fixup_f32 v4, v1, v4, 1.0
                                        ; implicit-def: $vgpr1
	v_mov_b32_e32 v3, v23
	s_delay_alu instid0(VALU_DEP_1)
	v_pk_mul_f32 v[12:13], v[2:3], v[4:5] op_sel_hi:[1,0]
                                        ; implicit-def: $vgpr2
.LBB276_31:                             ;   in Loop: Header=BB276_4 Depth=1
	s_and_not1_saveexec_b32 s22, s2
	s_cbranch_execz .LBB276_33
; %bb.32:                               ;   in Loop: Header=BB276_4 Depth=1
	v_div_scale_f32 v3, null, v1, v1, s7
	v_div_scale_f32 v4, null, v2, v2, s6
	v_div_scale_f32 v21, vcc_lo, s7, v1, s7
	s_delay_alu instid0(VALU_DEP_3) | instskip(NEXT) | instid1(VALU_DEP_2)
	v_rcp_f32_e32 v5, v3
	v_rcp_f32_e32 v12, v4
	s_delay_alu instid0(TRANS32_DEP_2) | instskip(NEXT) | instid1(TRANS32_DEP_1)
	v_fma_f32 v13, -v3, v5, 1.0
	v_fma_f32 v20, -v4, v12, 1.0
	s_delay_alu instid0(VALU_DEP_1) | instskip(SKIP_1) | instid1(VALU_DEP_1)
	v_dual_fmac_f32 v5, v13, v5 :: v_dual_fmac_f32 v12, v20, v12
	v_div_scale_f32 v13, s2, s6, v2, s6
	v_mul_f32_e32 v22, v13, v12
	s_delay_alu instid0(VALU_DEP_1) | instskip(NEXT) | instid1(VALU_DEP_1)
	v_dual_mul_f32 v20, v21, v5 :: v_dual_fma_f32 v24, -v4, v22, v13
	v_fma_f32 v23, -v3, v20, v21
	s_delay_alu instid0(VALU_DEP_1) | instskip(NEXT) | instid1(VALU_DEP_1)
	v_dual_fmac_f32 v20, v23, v5 :: v_dual_fmac_f32 v22, v24, v12
	v_fma_f32 v3, -v3, v20, v21
	s_delay_alu instid0(VALU_DEP_2) | instskip(NEXT) | instid1(VALU_DEP_2)
	v_fma_f32 v4, -v4, v22, v13
	v_div_fmas_f32 v3, v3, v5, v20
	s_mov_b32 vcc_lo, s2
	s_delay_alu instid0(VALU_DEP_2) | instskip(NEXT) | instid1(VALU_DEP_2)
	v_div_fmas_f32 v4, v4, v12, v22
	v_div_fixup_f32 v13, v3, v1, s7
	s_delay_alu instid0(VALU_DEP_2)
	v_div_fixup_f32 v12, v4, v2, s6
.LBB276_33:                             ;   in Loop: Header=BB276_4 Depth=1
	s_or_b32 exec_lo, exec_lo, s22
                                        ; implicit-def: $vgpr2_vgpr3_vgpr4_vgpr5
.LBB276_34:                             ;   in Loop: Header=BB276_4 Depth=1
	s_and_not1_saveexec_b32 s2, s21
	s_cbranch_execz .LBB276_3
; %bb.35:                               ;   in Loop: Header=BB276_4 Depth=1
	v_div_scale_f32 v1, null, v5, v5, v4
	v_div_scale_f32 v12, vcc_lo, v4, v5, v4
	s_delay_alu instid0(VALU_DEP_2) | instskip(SKIP_1) | instid1(TRANS32_DEP_1)
	v_rcp_f32_e32 v2, v1
	v_nop
	v_fma_f32 v3, -v1, v2, 1.0
	s_delay_alu instid0(VALU_DEP_1) | instskip(NEXT) | instid1(VALU_DEP_1)
	v_fmac_f32_e32 v2, v3, v2
	v_mul_f32_e32 v3, v12, v2
	s_delay_alu instid0(VALU_DEP_1) | instskip(NEXT) | instid1(VALU_DEP_1)
	v_fma_f32 v13, -v1, v3, v12
	v_fmac_f32_e32 v3, v13, v2
	s_delay_alu instid0(VALU_DEP_1) | instskip(NEXT) | instid1(VALU_DEP_1)
	v_fma_f32 v1, -v1, v3, v12
	v_div_fmas_f32 v1, v1, v2, v3
	s_delay_alu instid0(VALU_DEP_1) | instskip(NEXT) | instid1(VALU_DEP_1)
	v_div_fixup_f32 v2, v1, v5, v4
	v_fmac_f32_e32 v5, v4, v2
	s_delay_alu instid0(VALU_DEP_1) | instskip(SKIP_1) | instid1(VALU_DEP_2)
	v_div_scale_f32 v1, null, v5, v5, 1.0
	v_div_scale_f32 v20, vcc_lo, 1.0, v5, 1.0
	v_rcp_f32_e32 v3, v1
	v_nop
	s_delay_alu instid0(TRANS32_DEP_1) | instskip(NEXT) | instid1(VALU_DEP_1)
	v_fma_f32 v4, -v1, v3, 1.0
	v_fmac_f32_e32 v3, v4, v3
	s_delay_alu instid0(VALU_DEP_1) | instskip(NEXT) | instid1(VALU_DEP_1)
	v_mul_f32_e32 v4, v20, v3
	v_fma_f32 v12, -v1, v4, v20
	s_delay_alu instid0(VALU_DEP_1) | instskip(SKIP_1) | instid1(VALU_DEP_2)
	v_fmac_f32_e32 v4, v12, v3
	v_mov_b64_e32 v[12:13], s[16:17]
	v_fma_f32 v1, -v1, v4, v20
	v_mov_b64_e32 v[20:21], s[6:7]
	s_delay_alu instid0(VALU_DEP_2) | instskip(NEXT) | instid1(VALU_DEP_2)
	v_div_fmas_f32 v1, v1, v3, v4
	v_pk_fma_f32 v[22:23], v[2:3], v[20:21], v[12:13] op_sel_hi:[0,1,1] neg_lo:[0,0,1] neg_hi:[0,0,1]
	v_pk_fma_f32 v[2:3], v[2:3], v[20:21], v[12:13]
	s_delay_alu instid0(VALU_DEP_3) | instskip(NEXT) | instid1(VALU_DEP_3)
	v_div_fixup_f32 v4, v1, v5, 1.0
	v_mov_b32_e32 v3, v23
	s_delay_alu instid0(VALU_DEP_1)
	v_pk_mul_f32 v[12:13], v[2:3], v[4:5] op_sel_hi:[1,0]
	s_branch .LBB276_3
.LBB276_36:
	s_or_b32 exec_lo, exec_lo, s3
	s_mov_b32 s2, 0
.LBB276_37:
	s_delay_alu instid0(SALU_CYCLE_1)
	s_and_not1_b32 vcc_lo, exec_lo, s2
	s_cbranch_vccnz .LBB276_89
; %bb.38:
	v_cmp_lt_i64_e64 s2, s[10:11], 1
	s_and_b32 vcc_lo, exec_lo, s2
	s_cbranch_vccnz .LBB276_89
; %bb.39:
	s_load_b32 s0, s[0:1], 0xc64
	v_min_i64 v[2:3], 0x10000, s[10:11]
	v_min_u64 v[4:5], 0x10000, s[10:11]
	v_dual_mov_b32 v1, 0 :: v_dual_lshlrev_b32 v12, 3, v0
	s_mov_b32 s15, 0
	s_delay_alu instid0(SALU_CYCLE_1) | instskip(NEXT) | instid1(VALU_DEP_1)
	s_mov_b32 s17, s15
	v_dual_mov_b32 v13, v1 :: v_dual_mov_b32 v27, v1
	s_wait_xcnt 0x0
	s_mov_b32 s1, s15
	s_mov_b32 s3, s15
	s_mov_b32 s11, s15
	v_add_nc_u64_e32 v[6:7], s[4:5], v[12:13]
	v_add_nc_u64_e32 v[8:9], s[12:13], v[12:13]
	s_wait_kmcnt 0x0
	s_and_b32 s14, s0, 0xffff
	s_delay_alu instid0(SALU_CYCLE_1)
	v_add_nc_u64_e32 v[10:11], s[14:15], v[0:1]
	v_mad_nc_u64_u32 v[22:23], s14, 24, v[12:13]
	s_lshl_b32 s16, s14, 4
	s_lshl_b32 s0, s14, 1
	v_add_nc_u64_e32 v[18:19], s[16:17], v[12:13]
	s_mul_i32 s2, s14, 3
	v_add_nc_u64_e32 v[14:15], s[0:1], v[0:1]
	v_lshlrev_b32_e32 v26, 3, v10
	v_add_nc_u64_e32 v[12:13], s[2:3], v[0:1]
	s_lshl_b32 s10, s14, 2
	s_lshl_b32 s14, s14, 5
	v_add_nc_u64_e32 v[16:17], s[4:5], v[18:19]
	v_add_nc_u64_e32 v[18:19], s[12:13], v[18:19]
	;; [unrolled: 1-line block ×6, first 2 shown]
	s_mov_b32 s12, s7
	s_mov_b32 s13, s6
	s_mov_b64 s[16:17], 0
	s_branch .LBB276_41
.LBB276_40:                             ;   in Loop: Header=BB276_41 Depth=1
	s_wait_xcnt 0x0
	s_or_b32 exec_lo, exec_lo, s0
	s_add_nc_u64 s[16:17], s[16:17], s[10:11]
	v_add_nc_u64_e32 v[6:7], s[14:15], v[6:7]
	v_cmp_ge_i64_e32 vcc_lo, s[16:17], v[2:3]
	v_add_nc_u64_e32 v[8:9], s[14:15], v[8:9]
	v_add_nc_u64_e32 v[20:21], s[14:15], v[20:21]
	;; [unrolled: 1-line block ×7, first 2 shown]
	s_cbranch_vccnz .LBB276_89
.LBB276_41:                             ; =>This Inner Loop Header: Depth=1
	v_add_nc_u64_e32 v[28:29], s[16:17], v[0:1]
	v_dual_mov_b32 v34, 0 :: v_dual_mov_b32 v35, 0
	s_delay_alu instid0(VALU_DEP_2)
	v_cmp_lt_u64_e64 s0, v[28:29], v[4:5]
	s_and_saveexec_b32 s1, s0
	s_cbranch_execz .LBB276_43
; %bb.42:                               ;   in Loop: Header=BB276_41 Depth=1
	v_add_nc_u64_e32 v[28:29], s[8:9], v[6:7]
	global_load_b64 v[34:35], v[28:29], off
.LBB276_43:                             ;   in Loop: Header=BB276_41 Depth=1
	s_wait_xcnt 0x0
	s_or_b32 exec_lo, exec_lo, s1
	v_add_nc_u64_e32 v[28:29], s[16:17], v[10:11]
	v_dual_mov_b32 v32, 0 :: v_dual_mov_b32 v36, 0
	v_mov_b32_e32 v37, 0
	s_delay_alu instid0(VALU_DEP_3)
	v_cmp_lt_u64_e64 s1, v[28:29], v[4:5]
	s_and_saveexec_b32 s2, s1
	s_cbranch_execz .LBB276_45
; %bb.44:                               ;   in Loop: Header=BB276_41 Depth=1
	v_add_nc_u64_e32 v[28:29], s[8:9], v[24:25]
	global_load_b64 v[36:37], v[28:29], off
.LBB276_45:                             ;   in Loop: Header=BB276_41 Depth=1
	s_wait_xcnt 0x0
	s_or_b32 exec_lo, exec_lo, s2
	v_add_nc_u64_e32 v[28:29], s[16:17], v[14:15]
	v_mov_b32_e32 v33, 0
	s_delay_alu instid0(VALU_DEP_2)
	v_cmp_lt_u64_e64 s2, v[28:29], v[4:5]
	s_and_saveexec_b32 s3, s2
	s_cbranch_execz .LBB276_47
; %bb.46:                               ;   in Loop: Header=BB276_41 Depth=1
	v_add_nc_u64_e32 v[28:29], s[8:9], v[16:17]
	global_load_b64 v[32:33], v[28:29], off
.LBB276_47:                             ;   in Loop: Header=BB276_41 Depth=1
	s_wait_xcnt 0x0
	s_or_b32 exec_lo, exec_lo, s3
	v_add_nc_u64_e32 v[28:29], s[16:17], v[12:13]
	s_delay_alu instid0(VALU_DEP_1)
	v_cmp_lt_u64_e64 s3, v[28:29], v[4:5]
	v_dual_mov_b32 v28, 0 :: v_dual_mov_b32 v29, 0
	s_and_saveexec_b32 s4, s3
	s_cbranch_execz .LBB276_49
; %bb.48:                               ;   in Loop: Header=BB276_41 Depth=1
	v_add_nc_u64_e32 v[28:29], s[8:9], v[20:21]
	global_load_b64 v[28:29], v[28:29], off
.LBB276_49:                             ;   in Loop: Header=BB276_41 Depth=1
	s_wait_xcnt 0x0
	s_or_b32 exec_lo, exec_lo, s4
	s_wait_loadcnt 0x0
	v_cmp_gt_f32_e32 vcc_lo, 0, v35
                                        ; implicit-def: $vgpr30_vgpr31
	s_mov_b32 s4, exec_lo
	v_cndmask_b32_e64 v38, v35, -v35, vcc_lo
	v_cmp_gt_f32_e32 vcc_lo, 0, v34
	v_cndmask_b32_e64 v39, v34, -v34, vcc_lo
	s_delay_alu instid0(VALU_DEP_1)
	v_cmpx_ge_f32_e32 v39, v38
	s_xor_b32 s5, exec_lo, s4
	s_cbranch_execz .LBB276_55
; %bb.50:                               ;   in Loop: Header=BB276_41 Depth=1
	v_cmp_neq_f32_e32 vcc_lo, 0, v34
	v_cmp_neq_f32_e64 s4, 0, v35
                                        ; implicit-def: $vgpr30_vgpr31
	s_or_b32 s4, s4, vcc_lo
	s_delay_alu instid0(SALU_CYCLE_1) | instskip(NEXT) | instid1(SALU_CYCLE_1)
	s_and_saveexec_b32 s18, s4
	s_xor_b32 s4, exec_lo, s18
	s_cbranch_execz .LBB276_52
; %bb.51:                               ;   in Loop: Header=BB276_41 Depth=1
	v_div_scale_f32 v30, null, v34, v34, v35
	v_div_scale_f32 v39, vcc_lo, v35, v34, v35
	s_delay_alu instid0(VALU_DEP_2) | instskip(SKIP_1) | instid1(TRANS32_DEP_1)
	v_rcp_f32_e32 v31, v30
	v_nop
	v_fma_f32 v38, -v30, v31, 1.0
	s_delay_alu instid0(VALU_DEP_1) | instskip(NEXT) | instid1(VALU_DEP_1)
	v_fmac_f32_e32 v31, v38, v31
	v_mul_f32_e32 v38, v39, v31
	s_delay_alu instid0(VALU_DEP_1) | instskip(NEXT) | instid1(VALU_DEP_1)
	v_fma_f32 v40, -v30, v38, v39
	v_fmac_f32_e32 v38, v40, v31
	s_delay_alu instid0(VALU_DEP_1) | instskip(NEXT) | instid1(VALU_DEP_1)
	v_fma_f32 v30, -v30, v38, v39
	v_div_fmas_f32 v30, v30, v31, v38
	s_delay_alu instid0(VALU_DEP_1) | instskip(NEXT) | instid1(VALU_DEP_1)
	v_div_fixup_f32 v30, v30, v34, v35
	v_fmac_f32_e32 v34, v35, v30
	s_delay_alu instid0(VALU_DEP_1) | instskip(SKIP_1) | instid1(VALU_DEP_2)
	v_div_scale_f32 v31, null, v34, v34, 1.0
	v_div_scale_f32 v40, vcc_lo, 1.0, v34, 1.0
	v_rcp_f32_e32 v35, v31
	v_nop
	s_delay_alu instid0(TRANS32_DEP_1) | instskip(NEXT) | instid1(VALU_DEP_1)
	v_fma_f32 v38, -v31, v35, 1.0
	v_fmac_f32_e32 v35, v38, v35
	s_delay_alu instid0(VALU_DEP_1) | instskip(NEXT) | instid1(VALU_DEP_1)
	v_mul_f32_e32 v42, v40, v35
	v_fma_f32 v38, -v31, v42, v40
	s_delay_alu instid0(VALU_DEP_1) | instskip(SKIP_1) | instid1(VALU_DEP_2)
	v_fmac_f32_e32 v42, v38, v35
	v_mov_b64_e32 v[38:39], s[6:7]
	v_fma_f32 v31, -v31, v42, v40
	v_mov_b64_e32 v[40:41], s[12:13]
	s_delay_alu instid0(VALU_DEP_2) | instskip(NEXT) | instid1(VALU_DEP_2)
	v_div_fmas_f32 v35, v31, v35, v42
	v_pk_fma_f32 v[42:43], v[30:31], v[40:41], v[38:39] op_sel_hi:[0,1,1] neg_lo:[1,0,0] neg_hi:[1,0,0]
	v_pk_fma_f32 v[30:31], v[30:31], v[40:41], v[38:39]
	s_delay_alu instid0(VALU_DEP_3) | instskip(NEXT) | instid1(VALU_DEP_3)
	v_div_fixup_f32 v34, v35, v34, 1.0
                                        ; implicit-def: $vgpr38
                                        ; implicit-def: $vgpr39
	v_mov_b32_e32 v31, v43
	s_delay_alu instid0(VALU_DEP_1)
	v_pk_mul_f32 v[30:31], v[30:31], v[34:35] op_sel_hi:[1,0]
.LBB276_52:                             ;   in Loop: Header=BB276_41 Depth=1
	s_and_not1_saveexec_b32 s18, s4
	s_cbranch_execz .LBB276_54
; %bb.53:                               ;   in Loop: Header=BB276_41 Depth=1
	v_div_scale_f32 v30, null, v38, v38, s7
	v_div_scale_f32 v31, null, v39, v39, s6
	v_div_scale_f32 v42, vcc_lo, s7, v38, s7
	s_delay_alu instid0(VALU_DEP_3) | instskip(NEXT) | instid1(VALU_DEP_2)
	v_rcp_f32_e32 v34, v30
	v_rcp_f32_e32 v35, v31
	s_delay_alu instid0(TRANS32_DEP_2) | instskip(NEXT) | instid1(TRANS32_DEP_1)
	v_fma_f32 v40, -v30, v34, 1.0
	v_fma_f32 v41, -v31, v35, 1.0
	s_delay_alu instid0(VALU_DEP_1) | instskip(SKIP_1) | instid1(VALU_DEP_1)
	v_dual_fmac_f32 v34, v40, v34 :: v_dual_fmac_f32 v35, v41, v35
	v_div_scale_f32 v40, s4, s6, v39, s6
	v_dual_mul_f32 v41, v42, v34 :: v_dual_mul_f32 v43, v40, v35
	s_delay_alu instid0(VALU_DEP_1) | instskip(NEXT) | instid1(VALU_DEP_1)
	v_dual_fma_f32 v44, -v30, v41, v42 :: v_dual_fma_f32 v45, -v31, v43, v40
	v_dual_fmac_f32 v41, v44, v34 :: v_dual_fmac_f32 v43, v45, v35
	s_delay_alu instid0(VALU_DEP_1) | instskip(NEXT) | instid1(VALU_DEP_1)
	v_dual_fma_f32 v30, -v30, v41, v42 :: v_dual_fma_f32 v31, -v31, v43, v40
	v_div_fmas_f32 v30, v30, v34, v41
	s_mov_b32 vcc_lo, s4
	s_delay_alu instid0(VALU_DEP_2) | instskip(NEXT) | instid1(VALU_DEP_2)
	v_div_fmas_f32 v34, v31, v35, v43
	v_div_fixup_f32 v31, v30, v38, s7
	s_delay_alu instid0(VALU_DEP_2)
	v_div_fixup_f32 v30, v34, v39, s6
.LBB276_54:                             ;   in Loop: Header=BB276_41 Depth=1
	s_or_b32 exec_lo, exec_lo, s18
                                        ; implicit-def: $vgpr35
.LBB276_55:                             ;   in Loop: Header=BB276_41 Depth=1
	s_and_not1_saveexec_b32 s4, s5
	s_cbranch_execz .LBB276_57
; %bb.56:                               ;   in Loop: Header=BB276_41 Depth=1
	v_div_scale_f32 v30, null, v35, v35, v34
	v_div_scale_f32 v39, vcc_lo, v34, v35, v34
	s_delay_alu instid0(VALU_DEP_2) | instskip(SKIP_1) | instid1(TRANS32_DEP_1)
	v_rcp_f32_e32 v31, v30
	v_nop
	v_fma_f32 v38, -v30, v31, 1.0
	s_delay_alu instid0(VALU_DEP_1) | instskip(NEXT) | instid1(VALU_DEP_1)
	v_fmac_f32_e32 v31, v38, v31
	v_mul_f32_e32 v38, v39, v31
	s_delay_alu instid0(VALU_DEP_1) | instskip(NEXT) | instid1(VALU_DEP_1)
	v_fma_f32 v40, -v30, v38, v39
	v_fmac_f32_e32 v38, v40, v31
	s_delay_alu instid0(VALU_DEP_1) | instskip(NEXT) | instid1(VALU_DEP_1)
	v_fma_f32 v30, -v30, v38, v39
	v_div_fmas_f32 v30, v30, v31, v38
	s_delay_alu instid0(VALU_DEP_1) | instskip(NEXT) | instid1(VALU_DEP_1)
	v_div_fixup_f32 v30, v30, v35, v34
	v_fmac_f32_e32 v35, v34, v30
	s_delay_alu instid0(VALU_DEP_1) | instskip(SKIP_1) | instid1(VALU_DEP_2)
	v_div_scale_f32 v31, null, v35, v35, 1.0
	v_div_scale_f32 v40, vcc_lo, 1.0, v35, 1.0
	v_rcp_f32_e32 v34, v31
	v_nop
	s_delay_alu instid0(TRANS32_DEP_1) | instskip(NEXT) | instid1(VALU_DEP_1)
	v_fma_f32 v38, -v31, v34, 1.0
	v_fmac_f32_e32 v34, v38, v34
	s_delay_alu instid0(VALU_DEP_1) | instskip(NEXT) | instid1(VALU_DEP_1)
	v_mul_f32_e32 v42, v40, v34
	v_fma_f32 v38, -v31, v42, v40
	s_delay_alu instid0(VALU_DEP_1) | instskip(SKIP_1) | instid1(VALU_DEP_2)
	v_fmac_f32_e32 v42, v38, v34
	v_mov_b64_e32 v[38:39], s[12:13]
	v_fma_f32 v31, -v31, v42, v40
	v_mov_b64_e32 v[40:41], s[6:7]
	s_delay_alu instid0(VALU_DEP_2) | instskip(NEXT) | instid1(VALU_DEP_2)
	v_div_fmas_f32 v34, v31, v34, v42
	v_pk_fma_f32 v[42:43], v[30:31], v[40:41], v[38:39] op_sel_hi:[0,1,1] neg_lo:[0,0,1] neg_hi:[0,0,1]
	v_pk_fma_f32 v[30:31], v[30:31], v[40:41], v[38:39]
	s_delay_alu instid0(VALU_DEP_3) | instskip(NEXT) | instid1(VALU_DEP_3)
	v_div_fixup_f32 v34, v34, v35, 1.0
	v_mov_b32_e32 v31, v43
	s_delay_alu instid0(VALU_DEP_1)
	v_pk_mul_f32 v[30:31], v[30:31], v[34:35] op_sel_hi:[1,0]
.LBB276_57:                             ;   in Loop: Header=BB276_41 Depth=1
	s_or_b32 exec_lo, exec_lo, s4
	v_cmp_gt_f32_e32 vcc_lo, 0, v37
                                        ; implicit-def: $vgpr34_vgpr35
	s_mov_b32 s4, exec_lo
	v_cndmask_b32_e64 v38, v37, -v37, vcc_lo
	v_cmp_gt_f32_e32 vcc_lo, 0, v36
	v_cndmask_b32_e64 v39, v36, -v36, vcc_lo
	s_delay_alu instid0(VALU_DEP_1)
	v_cmpx_ge_f32_e32 v39, v38
	s_xor_b32 s5, exec_lo, s4
	s_cbranch_execz .LBB276_63
; %bb.58:                               ;   in Loop: Header=BB276_41 Depth=1
	v_cmp_neq_f32_e32 vcc_lo, 0, v36
	v_cmp_neq_f32_e64 s4, 0, v37
                                        ; implicit-def: $vgpr34_vgpr35
	s_or_b32 s4, s4, vcc_lo
	s_delay_alu instid0(SALU_CYCLE_1) | instskip(NEXT) | instid1(SALU_CYCLE_1)
	s_and_saveexec_b32 s18, s4
	s_xor_b32 s4, exec_lo, s18
	s_cbranch_execz .LBB276_60
; %bb.59:                               ;   in Loop: Header=BB276_41 Depth=1
	v_div_scale_f32 v34, null, v36, v36, v37
	v_div_scale_f32 v39, vcc_lo, v37, v36, v37
	s_delay_alu instid0(VALU_DEP_2) | instskip(SKIP_1) | instid1(TRANS32_DEP_1)
	v_rcp_f32_e32 v35, v34
	v_nop
	v_fma_f32 v38, -v34, v35, 1.0
	s_delay_alu instid0(VALU_DEP_1) | instskip(NEXT) | instid1(VALU_DEP_1)
	v_fmac_f32_e32 v35, v38, v35
	v_mul_f32_e32 v38, v39, v35
	s_delay_alu instid0(VALU_DEP_1) | instskip(NEXT) | instid1(VALU_DEP_1)
	v_fma_f32 v40, -v34, v38, v39
	v_fmac_f32_e32 v38, v40, v35
	s_delay_alu instid0(VALU_DEP_1) | instskip(NEXT) | instid1(VALU_DEP_1)
	v_fma_f32 v34, -v34, v38, v39
	v_div_fmas_f32 v34, v34, v35, v38
	s_delay_alu instid0(VALU_DEP_1) | instskip(NEXT) | instid1(VALU_DEP_1)
	v_div_fixup_f32 v34, v34, v36, v37
	v_fmac_f32_e32 v36, v37, v34
	s_delay_alu instid0(VALU_DEP_1) | instskip(SKIP_1) | instid1(VALU_DEP_2)
	v_div_scale_f32 v35, null, v36, v36, 1.0
	v_div_scale_f32 v40, vcc_lo, 1.0, v36, 1.0
	v_rcp_f32_e32 v37, v35
	v_nop
	s_delay_alu instid0(TRANS32_DEP_1) | instskip(NEXT) | instid1(VALU_DEP_1)
	v_fma_f32 v38, -v35, v37, 1.0
	v_fmac_f32_e32 v37, v38, v37
	s_delay_alu instid0(VALU_DEP_1) | instskip(NEXT) | instid1(VALU_DEP_1)
	v_mul_f32_e32 v42, v40, v37
	v_fma_f32 v38, -v35, v42, v40
	s_delay_alu instid0(VALU_DEP_1) | instskip(SKIP_1) | instid1(VALU_DEP_2)
	v_fmac_f32_e32 v42, v38, v37
	v_mov_b64_e32 v[38:39], s[6:7]
	v_fma_f32 v35, -v35, v42, v40
	v_mov_b64_e32 v[40:41], s[12:13]
	s_delay_alu instid0(VALU_DEP_2) | instskip(NEXT) | instid1(VALU_DEP_2)
	v_div_fmas_f32 v37, v35, v37, v42
	v_pk_fma_f32 v[42:43], v[34:35], v[40:41], v[38:39] op_sel_hi:[0,1,1] neg_lo:[1,0,0] neg_hi:[1,0,0]
	v_pk_fma_f32 v[34:35], v[34:35], v[40:41], v[38:39]
	s_delay_alu instid0(VALU_DEP_3) | instskip(NEXT) | instid1(VALU_DEP_3)
	v_div_fixup_f32 v36, v37, v36, 1.0
                                        ; implicit-def: $vgpr38
                                        ; implicit-def: $vgpr39
	v_mov_b32_e32 v35, v43
	s_delay_alu instid0(VALU_DEP_1)
	v_pk_mul_f32 v[34:35], v[34:35], v[36:37] op_sel_hi:[1,0]
.LBB276_60:                             ;   in Loop: Header=BB276_41 Depth=1
	s_and_not1_saveexec_b32 s18, s4
	s_cbranch_execz .LBB276_62
; %bb.61:                               ;   in Loop: Header=BB276_41 Depth=1
	v_div_scale_f32 v34, null, v38, v38, s7
	v_div_scale_f32 v35, null, v39, v39, s6
	v_div_scale_f32 v42, vcc_lo, s7, v38, s7
	s_delay_alu instid0(VALU_DEP_3) | instskip(NEXT) | instid1(VALU_DEP_2)
	v_rcp_f32_e32 v36, v34
	v_rcp_f32_e32 v37, v35
	s_delay_alu instid0(TRANS32_DEP_2) | instskip(NEXT) | instid1(TRANS32_DEP_1)
	v_fma_f32 v40, -v34, v36, 1.0
	v_fma_f32 v41, -v35, v37, 1.0
	s_delay_alu instid0(VALU_DEP_1) | instskip(SKIP_1) | instid1(VALU_DEP_1)
	v_dual_fmac_f32 v36, v40, v36 :: v_dual_fmac_f32 v37, v41, v37
	v_div_scale_f32 v40, s4, s6, v39, s6
	v_dual_mul_f32 v41, v42, v36 :: v_dual_mul_f32 v43, v40, v37
	s_delay_alu instid0(VALU_DEP_1) | instskip(NEXT) | instid1(VALU_DEP_1)
	v_dual_fma_f32 v44, -v34, v41, v42 :: v_dual_fma_f32 v45, -v35, v43, v40
	v_dual_fmac_f32 v41, v44, v36 :: v_dual_fmac_f32 v43, v45, v37
	s_delay_alu instid0(VALU_DEP_1) | instskip(NEXT) | instid1(VALU_DEP_1)
	v_dual_fma_f32 v34, -v34, v41, v42 :: v_dual_fma_f32 v35, -v35, v43, v40
	v_div_fmas_f32 v34, v34, v36, v41
	s_mov_b32 vcc_lo, s4
	s_delay_alu instid0(VALU_DEP_2) | instskip(NEXT) | instid1(VALU_DEP_2)
	v_div_fmas_f32 v36, v35, v37, v43
	v_div_fixup_f32 v35, v34, v38, s7
	s_delay_alu instid0(VALU_DEP_2)
	v_div_fixup_f32 v34, v36, v39, s6
.LBB276_62:                             ;   in Loop: Header=BB276_41 Depth=1
	s_or_b32 exec_lo, exec_lo, s18
                                        ; implicit-def: $vgpr37
.LBB276_63:                             ;   in Loop: Header=BB276_41 Depth=1
	s_and_not1_saveexec_b32 s4, s5
	s_cbranch_execz .LBB276_65
; %bb.64:                               ;   in Loop: Header=BB276_41 Depth=1
	v_div_scale_f32 v34, null, v37, v37, v36
	v_div_scale_f32 v39, vcc_lo, v36, v37, v36
	s_delay_alu instid0(VALU_DEP_2) | instskip(SKIP_1) | instid1(TRANS32_DEP_1)
	v_rcp_f32_e32 v35, v34
	v_nop
	v_fma_f32 v38, -v34, v35, 1.0
	s_delay_alu instid0(VALU_DEP_1) | instskip(NEXT) | instid1(VALU_DEP_1)
	v_fmac_f32_e32 v35, v38, v35
	v_mul_f32_e32 v38, v39, v35
	s_delay_alu instid0(VALU_DEP_1) | instskip(NEXT) | instid1(VALU_DEP_1)
	v_fma_f32 v40, -v34, v38, v39
	v_fmac_f32_e32 v38, v40, v35
	s_delay_alu instid0(VALU_DEP_1) | instskip(NEXT) | instid1(VALU_DEP_1)
	v_fma_f32 v34, -v34, v38, v39
	v_div_fmas_f32 v34, v34, v35, v38
	s_delay_alu instid0(VALU_DEP_1) | instskip(NEXT) | instid1(VALU_DEP_1)
	v_div_fixup_f32 v34, v34, v37, v36
	v_fmac_f32_e32 v37, v36, v34
	s_delay_alu instid0(VALU_DEP_1) | instskip(SKIP_1) | instid1(VALU_DEP_2)
	v_div_scale_f32 v35, null, v37, v37, 1.0
	v_div_scale_f32 v40, vcc_lo, 1.0, v37, 1.0
	v_rcp_f32_e32 v36, v35
	v_nop
	s_delay_alu instid0(TRANS32_DEP_1) | instskip(NEXT) | instid1(VALU_DEP_1)
	v_fma_f32 v38, -v35, v36, 1.0
	v_fmac_f32_e32 v36, v38, v36
	s_delay_alu instid0(VALU_DEP_1) | instskip(NEXT) | instid1(VALU_DEP_1)
	v_mul_f32_e32 v42, v40, v36
	v_fma_f32 v38, -v35, v42, v40
	s_delay_alu instid0(VALU_DEP_1) | instskip(SKIP_1) | instid1(VALU_DEP_2)
	v_fmac_f32_e32 v42, v38, v36
	v_mov_b64_e32 v[38:39], s[12:13]
	v_fma_f32 v35, -v35, v42, v40
	v_mov_b64_e32 v[40:41], s[6:7]
	s_delay_alu instid0(VALU_DEP_2) | instskip(NEXT) | instid1(VALU_DEP_2)
	v_div_fmas_f32 v36, v35, v36, v42
	v_pk_fma_f32 v[42:43], v[34:35], v[40:41], v[38:39] op_sel_hi:[0,1,1] neg_lo:[0,0,1] neg_hi:[0,0,1]
	v_pk_fma_f32 v[34:35], v[34:35], v[40:41], v[38:39]
	s_delay_alu instid0(VALU_DEP_3) | instskip(NEXT) | instid1(VALU_DEP_3)
	v_div_fixup_f32 v36, v36, v37, 1.0
	v_mov_b32_e32 v35, v43
	s_delay_alu instid0(VALU_DEP_1)
	v_pk_mul_f32 v[34:35], v[34:35], v[36:37] op_sel_hi:[1,0]
.LBB276_65:                             ;   in Loop: Header=BB276_41 Depth=1
	s_or_b32 exec_lo, exec_lo, s4
	v_cmp_gt_f32_e32 vcc_lo, 0, v33
                                        ; implicit-def: $vgpr36_vgpr37
	s_mov_b32 s4, exec_lo
	v_cndmask_b32_e64 v38, v33, -v33, vcc_lo
	v_cmp_gt_f32_e32 vcc_lo, 0, v32
	v_cndmask_b32_e64 v39, v32, -v32, vcc_lo
	s_delay_alu instid0(VALU_DEP_1)
	v_cmpx_ge_f32_e32 v39, v38
	s_xor_b32 s5, exec_lo, s4
	s_cbranch_execz .LBB276_71
; %bb.66:                               ;   in Loop: Header=BB276_41 Depth=1
	v_cmp_neq_f32_e32 vcc_lo, 0, v32
	v_cmp_neq_f32_e64 s4, 0, v33
                                        ; implicit-def: $vgpr36_vgpr37
	s_or_b32 s4, s4, vcc_lo
	s_delay_alu instid0(SALU_CYCLE_1) | instskip(NEXT) | instid1(SALU_CYCLE_1)
	s_and_saveexec_b32 s18, s4
	s_xor_b32 s4, exec_lo, s18
	s_cbranch_execz .LBB276_68
; %bb.67:                               ;   in Loop: Header=BB276_41 Depth=1
	v_div_scale_f32 v36, null, v32, v32, v33
	v_div_scale_f32 v39, vcc_lo, v33, v32, v33
	s_delay_alu instid0(VALU_DEP_2) | instskip(SKIP_1) | instid1(TRANS32_DEP_1)
	v_rcp_f32_e32 v37, v36
	v_nop
	v_fma_f32 v38, -v36, v37, 1.0
	s_delay_alu instid0(VALU_DEP_1) | instskip(NEXT) | instid1(VALU_DEP_1)
	v_fmac_f32_e32 v37, v38, v37
	v_mul_f32_e32 v38, v39, v37
	s_delay_alu instid0(VALU_DEP_1) | instskip(NEXT) | instid1(VALU_DEP_1)
	v_fma_f32 v40, -v36, v38, v39
	v_fmac_f32_e32 v38, v40, v37
	s_delay_alu instid0(VALU_DEP_1) | instskip(NEXT) | instid1(VALU_DEP_1)
	v_fma_f32 v36, -v36, v38, v39
	v_div_fmas_f32 v36, v36, v37, v38
	s_delay_alu instid0(VALU_DEP_1) | instskip(NEXT) | instid1(VALU_DEP_1)
	v_div_fixup_f32 v36, v36, v32, v33
	v_fmac_f32_e32 v32, v33, v36
	s_delay_alu instid0(VALU_DEP_1) | instskip(SKIP_1) | instid1(VALU_DEP_2)
	v_div_scale_f32 v33, null, v32, v32, 1.0
	v_div_scale_f32 v40, vcc_lo, 1.0, v32, 1.0
	v_rcp_f32_e32 v37, v33
	v_nop
	s_delay_alu instid0(TRANS32_DEP_1) | instskip(NEXT) | instid1(VALU_DEP_1)
	v_fma_f32 v38, -v33, v37, 1.0
	v_fmac_f32_e32 v37, v38, v37
	s_delay_alu instid0(VALU_DEP_1) | instskip(NEXT) | instid1(VALU_DEP_1)
	v_mul_f32_e32 v42, v40, v37
	v_fma_f32 v38, -v33, v42, v40
	s_delay_alu instid0(VALU_DEP_1) | instskip(SKIP_1) | instid1(VALU_DEP_2)
	v_fmac_f32_e32 v42, v38, v37
	v_mov_b64_e32 v[38:39], s[6:7]
	v_fma_f32 v33, -v33, v42, v40
	v_mov_b64_e32 v[40:41], s[12:13]
	s_delay_alu instid0(VALU_DEP_2) | instskip(NEXT) | instid1(VALU_DEP_2)
	v_div_fmas_f32 v33, v33, v37, v42
	v_pk_fma_f32 v[42:43], v[36:37], v[40:41], v[38:39] op_sel_hi:[0,1,1] neg_lo:[1,0,0] neg_hi:[1,0,0]
	v_pk_fma_f32 v[36:37], v[36:37], v[40:41], v[38:39]
	s_delay_alu instid0(VALU_DEP_3) | instskip(NEXT) | instid1(VALU_DEP_3)
	v_div_fixup_f32 v32, v33, v32, 1.0
                                        ; implicit-def: $vgpr38
                                        ; implicit-def: $vgpr39
	v_mov_b32_e32 v37, v43
	s_delay_alu instid0(VALU_DEP_1)
	v_pk_mul_f32 v[36:37], v[36:37], v[32:33] op_sel_hi:[1,0]
.LBB276_68:                             ;   in Loop: Header=BB276_41 Depth=1
	s_and_not1_saveexec_b32 s18, s4
	s_cbranch_execz .LBB276_70
; %bb.69:                               ;   in Loop: Header=BB276_41 Depth=1
	v_div_scale_f32 v32, null, v38, v38, s7
	v_div_scale_f32 v33, null, v39, v39, s6
	v_div_scale_f32 v42, vcc_lo, s7, v38, s7
	s_delay_alu instid0(VALU_DEP_3) | instskip(NEXT) | instid1(VALU_DEP_2)
	v_rcp_f32_e32 v36, v32
	v_rcp_f32_e32 v37, v33
	s_delay_alu instid0(TRANS32_DEP_2) | instskip(NEXT) | instid1(TRANS32_DEP_1)
	v_fma_f32 v40, -v32, v36, 1.0
	v_fma_f32 v41, -v33, v37, 1.0
	s_delay_alu instid0(VALU_DEP_1) | instskip(SKIP_1) | instid1(VALU_DEP_1)
	v_dual_fmac_f32 v36, v40, v36 :: v_dual_fmac_f32 v37, v41, v37
	v_div_scale_f32 v40, s4, s6, v39, s6
	v_dual_mul_f32 v41, v42, v36 :: v_dual_mul_f32 v43, v40, v37
	s_delay_alu instid0(VALU_DEP_1) | instskip(NEXT) | instid1(VALU_DEP_1)
	v_dual_fma_f32 v44, -v32, v41, v42 :: v_dual_fma_f32 v45, -v33, v43, v40
	v_dual_fmac_f32 v41, v44, v36 :: v_dual_fmac_f32 v43, v45, v37
	s_delay_alu instid0(VALU_DEP_1) | instskip(NEXT) | instid1(VALU_DEP_1)
	v_dual_fma_f32 v32, -v32, v41, v42 :: v_dual_fma_f32 v33, -v33, v43, v40
	v_div_fmas_f32 v32, v32, v36, v41
	s_mov_b32 vcc_lo, s4
	s_delay_alu instid0(VALU_DEP_2) | instskip(NEXT) | instid1(VALU_DEP_2)
	v_div_fmas_f32 v33, v33, v37, v43
	v_div_fixup_f32 v37, v32, v38, s7
	s_delay_alu instid0(VALU_DEP_2)
	v_div_fixup_f32 v36, v33, v39, s6
.LBB276_70:                             ;   in Loop: Header=BB276_41 Depth=1
	s_or_b32 exec_lo, exec_lo, s18
                                        ; implicit-def: $vgpr33
.LBB276_71:                             ;   in Loop: Header=BB276_41 Depth=1
	s_and_not1_saveexec_b32 s4, s5
	s_cbranch_execz .LBB276_73
; %bb.72:                               ;   in Loop: Header=BB276_41 Depth=1
	v_div_scale_f32 v36, null, v33, v33, v32
	v_div_scale_f32 v39, vcc_lo, v32, v33, v32
	s_delay_alu instid0(VALU_DEP_2) | instskip(SKIP_1) | instid1(TRANS32_DEP_1)
	v_rcp_f32_e32 v37, v36
	v_nop
	v_fma_f32 v38, -v36, v37, 1.0
	s_delay_alu instid0(VALU_DEP_1) | instskip(NEXT) | instid1(VALU_DEP_1)
	v_fmac_f32_e32 v37, v38, v37
	v_mul_f32_e32 v38, v39, v37
	s_delay_alu instid0(VALU_DEP_1) | instskip(NEXT) | instid1(VALU_DEP_1)
	v_fma_f32 v40, -v36, v38, v39
	v_fmac_f32_e32 v38, v40, v37
	s_delay_alu instid0(VALU_DEP_1) | instskip(NEXT) | instid1(VALU_DEP_1)
	v_fma_f32 v36, -v36, v38, v39
	v_div_fmas_f32 v36, v36, v37, v38
	s_delay_alu instid0(VALU_DEP_1) | instskip(NEXT) | instid1(VALU_DEP_1)
	v_div_fixup_f32 v36, v36, v33, v32
	v_fmac_f32_e32 v33, v32, v36
	s_delay_alu instid0(VALU_DEP_1) | instskip(SKIP_1) | instid1(VALU_DEP_2)
	v_div_scale_f32 v32, null, v33, v33, 1.0
	v_div_scale_f32 v40, vcc_lo, 1.0, v33, 1.0
	v_rcp_f32_e32 v37, v32
	v_nop
	s_delay_alu instid0(TRANS32_DEP_1) | instskip(NEXT) | instid1(VALU_DEP_1)
	v_fma_f32 v38, -v32, v37, 1.0
	v_fmac_f32_e32 v37, v38, v37
	s_delay_alu instid0(VALU_DEP_1) | instskip(NEXT) | instid1(VALU_DEP_1)
	v_mul_f32_e32 v42, v40, v37
	v_fma_f32 v38, -v32, v42, v40
	s_delay_alu instid0(VALU_DEP_1) | instskip(SKIP_1) | instid1(VALU_DEP_2)
	v_fmac_f32_e32 v42, v38, v37
	v_mov_b64_e32 v[38:39], s[12:13]
	v_fma_f32 v32, -v32, v42, v40
	v_mov_b64_e32 v[40:41], s[6:7]
	s_delay_alu instid0(VALU_DEP_2) | instskip(NEXT) | instid1(VALU_DEP_2)
	v_div_fmas_f32 v32, v32, v37, v42
	v_pk_fma_f32 v[42:43], v[36:37], v[40:41], v[38:39] op_sel_hi:[0,1,1] neg_lo:[0,0,1] neg_hi:[0,0,1]
	v_pk_fma_f32 v[36:37], v[36:37], v[40:41], v[38:39]
	s_delay_alu instid0(VALU_DEP_3) | instskip(NEXT) | instid1(VALU_DEP_3)
	v_div_fixup_f32 v32, v32, v33, 1.0
	v_mov_b32_e32 v37, v43
	s_delay_alu instid0(VALU_DEP_1)
	v_pk_mul_f32 v[36:37], v[36:37], v[32:33] op_sel_hi:[1,0]
.LBB276_73:                             ;   in Loop: Header=BB276_41 Depth=1
	s_or_b32 exec_lo, exec_lo, s4
	v_cmp_gt_f32_e32 vcc_lo, 0, v29
                                        ; implicit-def: $vgpr32_vgpr33
	s_mov_b32 s4, exec_lo
	v_cndmask_b32_e64 v38, v29, -v29, vcc_lo
	v_cmp_gt_f32_e32 vcc_lo, 0, v28
	v_cndmask_b32_e64 v39, v28, -v28, vcc_lo
	s_delay_alu instid0(VALU_DEP_1)
	v_cmpx_ge_f32_e32 v39, v38
	s_xor_b32 s5, exec_lo, s4
	s_cbranch_execnz .LBB276_79
; %bb.74:                               ;   in Loop: Header=BB276_41 Depth=1
	s_and_not1_saveexec_b32 s4, s5
	s_cbranch_execnz .LBB276_84
.LBB276_75:                             ;   in Loop: Header=BB276_41 Depth=1
	s_or_b32 exec_lo, exec_lo, s4
	s_and_saveexec_b32 s4, s0
	s_delay_alu instid0(SALU_CYCLE_1)
	s_xor_b32 s0, exec_lo, s4
	s_cbranch_execnz .LBB276_85
.LBB276_76:                             ;   in Loop: Header=BB276_41 Depth=1
	s_or_b32 exec_lo, exec_lo, s0
	s_and_saveexec_b32 s0, s1
	s_cbranch_execnz .LBB276_86
.LBB276_77:                             ;   in Loop: Header=BB276_41 Depth=1
	s_or_b32 exec_lo, exec_lo, s0
	s_and_saveexec_b32 s0, s2
	s_cbranch_execnz .LBB276_87
.LBB276_78:                             ;   in Loop: Header=BB276_41 Depth=1
	s_or_b32 exec_lo, exec_lo, s0
	s_and_saveexec_b32 s0, s3
	s_cbranch_execz .LBB276_40
	s_branch .LBB276_88
.LBB276_79:                             ;   in Loop: Header=BB276_41 Depth=1
	v_cmp_neq_f32_e32 vcc_lo, 0, v28
	v_cmp_neq_f32_e64 s4, 0, v29
                                        ; implicit-def: $vgpr32_vgpr33
	s_or_b32 s4, s4, vcc_lo
	s_delay_alu instid0(SALU_CYCLE_1) | instskip(NEXT) | instid1(SALU_CYCLE_1)
	s_and_saveexec_b32 s18, s4
	s_xor_b32 s4, exec_lo, s18
	s_cbranch_execz .LBB276_81
; %bb.80:                               ;   in Loop: Header=BB276_41 Depth=1
	v_div_scale_f32 v32, null, v28, v28, v29
	v_div_scale_f32 v39, vcc_lo, v29, v28, v29
	s_delay_alu instid0(VALU_DEP_2) | instskip(SKIP_1) | instid1(TRANS32_DEP_1)
	v_rcp_f32_e32 v33, v32
	v_nop
	v_fma_f32 v38, -v32, v33, 1.0
	s_delay_alu instid0(VALU_DEP_1) | instskip(NEXT) | instid1(VALU_DEP_1)
	v_fmac_f32_e32 v33, v38, v33
	v_mul_f32_e32 v38, v39, v33
	s_delay_alu instid0(VALU_DEP_1) | instskip(NEXT) | instid1(VALU_DEP_1)
	v_fma_f32 v40, -v32, v38, v39
	v_fmac_f32_e32 v38, v40, v33
	s_delay_alu instid0(VALU_DEP_1) | instskip(NEXT) | instid1(VALU_DEP_1)
	v_fma_f32 v32, -v32, v38, v39
	v_div_fmas_f32 v32, v32, v33, v38
	s_delay_alu instid0(VALU_DEP_1) | instskip(NEXT) | instid1(VALU_DEP_1)
	v_div_fixup_f32 v32, v32, v28, v29
	v_fmac_f32_e32 v28, v29, v32
	s_delay_alu instid0(VALU_DEP_1) | instskip(SKIP_1) | instid1(VALU_DEP_2)
	v_div_scale_f32 v29, null, v28, v28, 1.0
	v_div_scale_f32 v40, vcc_lo, 1.0, v28, 1.0
	v_rcp_f32_e32 v33, v29
	v_nop
	s_delay_alu instid0(TRANS32_DEP_1) | instskip(NEXT) | instid1(VALU_DEP_1)
	v_fma_f32 v38, -v29, v33, 1.0
	v_fmac_f32_e32 v33, v38, v33
	s_delay_alu instid0(VALU_DEP_1) | instskip(NEXT) | instid1(VALU_DEP_1)
	v_mul_f32_e32 v42, v40, v33
	v_fma_f32 v38, -v29, v42, v40
	s_delay_alu instid0(VALU_DEP_1) | instskip(SKIP_1) | instid1(VALU_DEP_2)
	v_fmac_f32_e32 v42, v38, v33
	v_mov_b64_e32 v[38:39], s[6:7]
	v_fma_f32 v29, -v29, v42, v40
	v_mov_b64_e32 v[40:41], s[12:13]
	s_delay_alu instid0(VALU_DEP_2) | instskip(NEXT) | instid1(VALU_DEP_2)
	v_div_fmas_f32 v29, v29, v33, v42
	v_pk_fma_f32 v[42:43], v[32:33], v[40:41], v[38:39] op_sel_hi:[0,1,1] neg_lo:[1,0,0] neg_hi:[1,0,0]
	v_pk_fma_f32 v[32:33], v[32:33], v[40:41], v[38:39]
	s_delay_alu instid0(VALU_DEP_3) | instskip(NEXT) | instid1(VALU_DEP_3)
	v_div_fixup_f32 v28, v29, v28, 1.0
                                        ; implicit-def: $vgpr38
                                        ; implicit-def: $vgpr39
	v_mov_b32_e32 v33, v43
	s_delay_alu instid0(VALU_DEP_1)
	v_pk_mul_f32 v[32:33], v[32:33], v[28:29] op_sel_hi:[1,0]
.LBB276_81:                             ;   in Loop: Header=BB276_41 Depth=1
	s_and_not1_saveexec_b32 s18, s4
	s_cbranch_execz .LBB276_83
; %bb.82:                               ;   in Loop: Header=BB276_41 Depth=1
	v_div_scale_f32 v28, null, v38, v38, s7
	v_div_scale_f32 v29, null, v39, v39, s6
	v_div_scale_f32 v42, vcc_lo, s7, v38, s7
	s_delay_alu instid0(VALU_DEP_3) | instskip(NEXT) | instid1(VALU_DEP_2)
	v_rcp_f32_e32 v32, v28
	v_rcp_f32_e32 v33, v29
	s_delay_alu instid0(TRANS32_DEP_2) | instskip(NEXT) | instid1(TRANS32_DEP_1)
	v_fma_f32 v40, -v28, v32, 1.0
	v_fma_f32 v41, -v29, v33, 1.0
	s_delay_alu instid0(VALU_DEP_1) | instskip(SKIP_1) | instid1(VALU_DEP_1)
	v_dual_fmac_f32 v32, v40, v32 :: v_dual_fmac_f32 v33, v41, v33
	v_div_scale_f32 v40, s4, s6, v39, s6
	v_dual_mul_f32 v41, v42, v32 :: v_dual_mul_f32 v43, v40, v33
	s_delay_alu instid0(VALU_DEP_1) | instskip(NEXT) | instid1(VALU_DEP_1)
	v_dual_fma_f32 v44, -v28, v41, v42 :: v_dual_fma_f32 v45, -v29, v43, v40
	v_dual_fmac_f32 v41, v44, v32 :: v_dual_fmac_f32 v43, v45, v33
	s_delay_alu instid0(VALU_DEP_1) | instskip(NEXT) | instid1(VALU_DEP_1)
	v_dual_fma_f32 v28, -v28, v41, v42 :: v_dual_fma_f32 v29, -v29, v43, v40
	v_div_fmas_f32 v28, v28, v32, v41
	s_mov_b32 vcc_lo, s4
	s_delay_alu instid0(VALU_DEP_2) | instskip(NEXT) | instid1(VALU_DEP_2)
	v_div_fmas_f32 v29, v29, v33, v43
	v_div_fixup_f32 v33, v28, v38, s7
	s_delay_alu instid0(VALU_DEP_2)
	v_div_fixup_f32 v32, v29, v39, s6
.LBB276_83:                             ;   in Loop: Header=BB276_41 Depth=1
	s_or_b32 exec_lo, exec_lo, s18
                                        ; implicit-def: $vgpr29
	s_and_not1_saveexec_b32 s4, s5
	s_cbranch_execz .LBB276_75
.LBB276_84:                             ;   in Loop: Header=BB276_41 Depth=1
	v_div_scale_f32 v32, null, v29, v29, v28
	v_div_scale_f32 v39, vcc_lo, v28, v29, v28
	s_delay_alu instid0(VALU_DEP_2) | instskip(SKIP_1) | instid1(TRANS32_DEP_1)
	v_rcp_f32_e32 v33, v32
	v_nop
	v_fma_f32 v38, -v32, v33, 1.0
	s_delay_alu instid0(VALU_DEP_1) | instskip(NEXT) | instid1(VALU_DEP_1)
	v_fmac_f32_e32 v33, v38, v33
	v_mul_f32_e32 v38, v39, v33
	s_delay_alu instid0(VALU_DEP_1) | instskip(NEXT) | instid1(VALU_DEP_1)
	v_fma_f32 v40, -v32, v38, v39
	v_fmac_f32_e32 v38, v40, v33
	s_delay_alu instid0(VALU_DEP_1) | instskip(NEXT) | instid1(VALU_DEP_1)
	v_fma_f32 v32, -v32, v38, v39
	v_div_fmas_f32 v32, v32, v33, v38
	s_delay_alu instid0(VALU_DEP_1) | instskip(NEXT) | instid1(VALU_DEP_1)
	v_div_fixup_f32 v32, v32, v29, v28
	v_fmac_f32_e32 v29, v28, v32
	s_delay_alu instid0(VALU_DEP_1) | instskip(SKIP_1) | instid1(VALU_DEP_2)
	v_div_scale_f32 v28, null, v29, v29, 1.0
	v_div_scale_f32 v40, vcc_lo, 1.0, v29, 1.0
	v_rcp_f32_e32 v33, v28
	v_nop
	s_delay_alu instid0(TRANS32_DEP_1) | instskip(NEXT) | instid1(VALU_DEP_1)
	v_fma_f32 v38, -v28, v33, 1.0
	v_fmac_f32_e32 v33, v38, v33
	s_delay_alu instid0(VALU_DEP_1) | instskip(NEXT) | instid1(VALU_DEP_1)
	v_mul_f32_e32 v42, v40, v33
	v_fma_f32 v38, -v28, v42, v40
	s_delay_alu instid0(VALU_DEP_1) | instskip(SKIP_1) | instid1(VALU_DEP_2)
	v_fmac_f32_e32 v42, v38, v33
	v_mov_b64_e32 v[38:39], s[12:13]
	v_fma_f32 v28, -v28, v42, v40
	v_mov_b64_e32 v[40:41], s[6:7]
	s_delay_alu instid0(VALU_DEP_2) | instskip(NEXT) | instid1(VALU_DEP_2)
	v_div_fmas_f32 v28, v28, v33, v42
	v_pk_fma_f32 v[42:43], v[32:33], v[40:41], v[38:39] op_sel_hi:[0,1,1] neg_lo:[0,0,1] neg_hi:[0,0,1]
	v_pk_fma_f32 v[32:33], v[32:33], v[40:41], v[38:39]
	s_delay_alu instid0(VALU_DEP_3) | instskip(NEXT) | instid1(VALU_DEP_3)
	v_div_fixup_f32 v28, v28, v29, 1.0
	v_mov_b32_e32 v33, v43
	s_delay_alu instid0(VALU_DEP_1) | instskip(SKIP_2) | instid1(SALU_CYCLE_1)
	v_pk_mul_f32 v[32:33], v[32:33], v[28:29] op_sel_hi:[1,0]
	s_or_b32 exec_lo, exec_lo, s4
	s_and_saveexec_b32 s4, s0
	s_xor_b32 s0, exec_lo, s4
	s_cbranch_execz .LBB276_76
.LBB276_85:                             ;   in Loop: Header=BB276_41 Depth=1
	v_add_nc_u64_e32 v[28:29], s[8:9], v[8:9]
	global_store_b64 v[28:29], v[30:31], off
	s_wait_xcnt 0x0
	s_or_b32 exec_lo, exec_lo, s0
	s_and_saveexec_b32 s0, s1
	s_cbranch_execz .LBB276_77
.LBB276_86:                             ;   in Loop: Header=BB276_41 Depth=1
	v_add_nc_u64_e32 v[28:29], s[8:9], v[26:27]
	global_store_b64 v[28:29], v[34:35], off
	s_wait_xcnt 0x0
	s_or_b32 exec_lo, exec_lo, s0
	s_and_saveexec_b32 s0, s2
	s_cbranch_execz .LBB276_78
.LBB276_87:                             ;   in Loop: Header=BB276_41 Depth=1
	v_add_nc_u64_e32 v[28:29], s[8:9], v[18:19]
	global_store_b64 v[28:29], v[36:37], off
	s_wait_xcnt 0x0
	s_or_b32 exec_lo, exec_lo, s0
	s_and_saveexec_b32 s0, s3
	s_cbranch_execz .LBB276_40
.LBB276_88:                             ;   in Loop: Header=BB276_41 Depth=1
	v_add_nc_u64_e32 v[28:29], s[8:9], v[22:23]
	global_store_b64 v[28:29], v[32:33], off
	s_branch .LBB276_40
.LBB276_89:
	s_endpgm
	.section	.rodata,"a",@progbits
	.p2align	6, 0x0
	.amdhsa_kernel _ZN2at6native12_GLOBAL__N_125multi_tensor_apply_kernelINS1_18TensorListMetadataILi2EEENS1_14UnaryOpFunctorIN3c107complexIfEELi2ELi1ELi1EEEJNS0_10ReciprocalIS8_EEEEEvT_T0_DpT1_
		.amdhsa_group_segment_fixed_size 0
		.amdhsa_private_segment_fixed_size 0
		.amdhsa_kernarg_size 3416
		.amdhsa_user_sgpr_count 2
		.amdhsa_user_sgpr_dispatch_ptr 0
		.amdhsa_user_sgpr_queue_ptr 0
		.amdhsa_user_sgpr_kernarg_segment_ptr 1
		.amdhsa_user_sgpr_dispatch_id 0
		.amdhsa_user_sgpr_kernarg_preload_length 0
		.amdhsa_user_sgpr_kernarg_preload_offset 0
		.amdhsa_user_sgpr_private_segment_size 0
		.amdhsa_wavefront_size32 1
		.amdhsa_uses_dynamic_stack 0
		.amdhsa_enable_private_segment 0
		.amdhsa_system_sgpr_workgroup_id_x 1
		.amdhsa_system_sgpr_workgroup_id_y 0
		.amdhsa_system_sgpr_workgroup_id_z 0
		.amdhsa_system_sgpr_workgroup_info 0
		.amdhsa_system_vgpr_workitem_id 0
		.amdhsa_next_free_vgpr 46
		.amdhsa_next_free_sgpr 23
		.amdhsa_named_barrier_count 0
		.amdhsa_reserve_vcc 1
		.amdhsa_float_round_mode_32 0
		.amdhsa_float_round_mode_16_64 0
		.amdhsa_float_denorm_mode_32 3
		.amdhsa_float_denorm_mode_16_64 3
		.amdhsa_fp16_overflow 0
		.amdhsa_memory_ordered 1
		.amdhsa_forward_progress 1
		.amdhsa_inst_pref_size 57
		.amdhsa_round_robin_scheduling 0
		.amdhsa_exception_fp_ieee_invalid_op 0
		.amdhsa_exception_fp_denorm_src 0
		.amdhsa_exception_fp_ieee_div_zero 0
		.amdhsa_exception_fp_ieee_overflow 0
		.amdhsa_exception_fp_ieee_underflow 0
		.amdhsa_exception_fp_ieee_inexact 0
		.amdhsa_exception_int_div_zero 0
	.end_amdhsa_kernel
	.section	.text._ZN2at6native12_GLOBAL__N_125multi_tensor_apply_kernelINS1_18TensorListMetadataILi2EEENS1_14UnaryOpFunctorIN3c107complexIfEELi2ELi1ELi1EEEJNS0_10ReciprocalIS8_EEEEEvT_T0_DpT1_,"axG",@progbits,_ZN2at6native12_GLOBAL__N_125multi_tensor_apply_kernelINS1_18TensorListMetadataILi2EEENS1_14UnaryOpFunctorIN3c107complexIfEELi2ELi1ELi1EEEJNS0_10ReciprocalIS8_EEEEEvT_T0_DpT1_,comdat
.Lfunc_end276:
	.size	_ZN2at6native12_GLOBAL__N_125multi_tensor_apply_kernelINS1_18TensorListMetadataILi2EEENS1_14UnaryOpFunctorIN3c107complexIfEELi2ELi1ELi1EEEJNS0_10ReciprocalIS8_EEEEEvT_T0_DpT1_, .Lfunc_end276-_ZN2at6native12_GLOBAL__N_125multi_tensor_apply_kernelINS1_18TensorListMetadataILi2EEENS1_14UnaryOpFunctorIN3c107complexIfEELi2ELi1ELi1EEEJNS0_10ReciprocalIS8_EEEEEvT_T0_DpT1_
                                        ; -- End function
	.set _ZN2at6native12_GLOBAL__N_125multi_tensor_apply_kernelINS1_18TensorListMetadataILi2EEENS1_14UnaryOpFunctorIN3c107complexIfEELi2ELi1ELi1EEEJNS0_10ReciprocalIS8_EEEEEvT_T0_DpT1_.num_vgpr, 46
	.set _ZN2at6native12_GLOBAL__N_125multi_tensor_apply_kernelINS1_18TensorListMetadataILi2EEENS1_14UnaryOpFunctorIN3c107complexIfEELi2ELi1ELi1EEEJNS0_10ReciprocalIS8_EEEEEvT_T0_DpT1_.num_agpr, 0
	.set _ZN2at6native12_GLOBAL__N_125multi_tensor_apply_kernelINS1_18TensorListMetadataILi2EEENS1_14UnaryOpFunctorIN3c107complexIfEELi2ELi1ELi1EEEJNS0_10ReciprocalIS8_EEEEEvT_T0_DpT1_.numbered_sgpr, 23
	.set _ZN2at6native12_GLOBAL__N_125multi_tensor_apply_kernelINS1_18TensorListMetadataILi2EEENS1_14UnaryOpFunctorIN3c107complexIfEELi2ELi1ELi1EEEJNS0_10ReciprocalIS8_EEEEEvT_T0_DpT1_.num_named_barrier, 0
	.set _ZN2at6native12_GLOBAL__N_125multi_tensor_apply_kernelINS1_18TensorListMetadataILi2EEENS1_14UnaryOpFunctorIN3c107complexIfEELi2ELi1ELi1EEEJNS0_10ReciprocalIS8_EEEEEvT_T0_DpT1_.private_seg_size, 0
	.set _ZN2at6native12_GLOBAL__N_125multi_tensor_apply_kernelINS1_18TensorListMetadataILi2EEENS1_14UnaryOpFunctorIN3c107complexIfEELi2ELi1ELi1EEEJNS0_10ReciprocalIS8_EEEEEvT_T0_DpT1_.uses_vcc, 1
	.set _ZN2at6native12_GLOBAL__N_125multi_tensor_apply_kernelINS1_18TensorListMetadataILi2EEENS1_14UnaryOpFunctorIN3c107complexIfEELi2ELi1ELi1EEEJNS0_10ReciprocalIS8_EEEEEvT_T0_DpT1_.uses_flat_scratch, 0
	.set _ZN2at6native12_GLOBAL__N_125multi_tensor_apply_kernelINS1_18TensorListMetadataILi2EEENS1_14UnaryOpFunctorIN3c107complexIfEELi2ELi1ELi1EEEJNS0_10ReciprocalIS8_EEEEEvT_T0_DpT1_.has_dyn_sized_stack, 0
	.set _ZN2at6native12_GLOBAL__N_125multi_tensor_apply_kernelINS1_18TensorListMetadataILi2EEENS1_14UnaryOpFunctorIN3c107complexIfEELi2ELi1ELi1EEEJNS0_10ReciprocalIS8_EEEEEvT_T0_DpT1_.has_recursion, 0
	.set _ZN2at6native12_GLOBAL__N_125multi_tensor_apply_kernelINS1_18TensorListMetadataILi2EEENS1_14UnaryOpFunctorIN3c107complexIfEELi2ELi1ELi1EEEJNS0_10ReciprocalIS8_EEEEEvT_T0_DpT1_.has_indirect_call, 0
	.section	.AMDGPU.csdata,"",@progbits
; Kernel info:
; codeLenInByte = 7196
; TotalNumSgprs: 25
; NumVgprs: 46
; ScratchSize: 0
; MemoryBound: 0
; FloatMode: 240
; IeeeMode: 1
; LDSByteSize: 0 bytes/workgroup (compile time only)
; SGPRBlocks: 0
; VGPRBlocks: 2
; NumSGPRsForWavesPerEU: 25
; NumVGPRsForWavesPerEU: 46
; NamedBarCnt: 0
; Occupancy: 16
; WaveLimiterHint : 0
; COMPUTE_PGM_RSRC2:SCRATCH_EN: 0
; COMPUTE_PGM_RSRC2:USER_SGPR: 2
; COMPUTE_PGM_RSRC2:TRAP_HANDLER: 0
; COMPUTE_PGM_RSRC2:TGID_X_EN: 1
; COMPUTE_PGM_RSRC2:TGID_Y_EN: 0
; COMPUTE_PGM_RSRC2:TGID_Z_EN: 0
; COMPUTE_PGM_RSRC2:TIDIG_COMP_CNT: 0
	.section	.text._ZN2at6native12_GLOBAL__N_125multi_tensor_apply_kernelINS1_18TensorListMetadataILi2EEENS1_14UnaryOpFunctorIN3c104HalfELi2ELi1ELi1EEEJNS0_10ReciprocalIfEEEEEvT_T0_DpT1_,"axG",@progbits,_ZN2at6native12_GLOBAL__N_125multi_tensor_apply_kernelINS1_18TensorListMetadataILi2EEENS1_14UnaryOpFunctorIN3c104HalfELi2ELi1ELi1EEEJNS0_10ReciprocalIfEEEEEvT_T0_DpT1_,comdat
	.globl	_ZN2at6native12_GLOBAL__N_125multi_tensor_apply_kernelINS1_18TensorListMetadataILi2EEENS1_14UnaryOpFunctorIN3c104HalfELi2ELi1ELi1EEEJNS0_10ReciprocalIfEEEEEvT_T0_DpT1_ ; -- Begin function _ZN2at6native12_GLOBAL__N_125multi_tensor_apply_kernelINS1_18TensorListMetadataILi2EEENS1_14UnaryOpFunctorIN3c104HalfELi2ELi1ELi1EEEJNS0_10ReciprocalIfEEEEEvT_T0_DpT1_
	.p2align	8
	.type	_ZN2at6native12_GLOBAL__N_125multi_tensor_apply_kernelINS1_18TensorListMetadataILi2EEENS1_14UnaryOpFunctorIN3c104HalfELi2ELi1ELi1EEEJNS0_10ReciprocalIfEEEEEvT_T0_DpT1_,@function
_ZN2at6native12_GLOBAL__N_125multi_tensor_apply_kernelINS1_18TensorListMetadataILi2EEENS1_14UnaryOpFunctorIN3c104HalfELi2ELi1ELi1EEEJNS0_10ReciprocalIfEEEEEvT_T0_DpT1_: ; @_ZN2at6native12_GLOBAL__N_125multi_tensor_apply_kernelINS1_18TensorListMetadataILi2EEENS1_14UnaryOpFunctorIN3c104HalfELi2ELi1ELi1EEEJNS0_10ReciprocalIfEEEEEvT_T0_DpT1_
; %bb.0:
	s_bfe_u32 s2, ttmp6, 0x4000c
	s_and_b32 s3, ttmp6, 15
	s_add_co_i32 s2, s2, 1
	s_getreg_b32 s4, hwreg(HW_REG_IB_STS2, 6, 4)
	s_mul_i32 s2, ttmp9, s2
	s_delay_alu instid0(SALU_CYCLE_1)
	s_add_co_i32 s3, s3, s2
	s_cmp_eq_u32 s4, 0
	s_cselect_b32 s2, ttmp9, s3
	s_mov_b32 s3, 0
	s_load_u8 s13, s[0:1], s2 offset:0x600
	s_add_nc_u64 s[4:5], s[0:1], s[2:3]
	s_mul_u64 s[6:7], s[2:3], 3
	s_delay_alu instid0(SALU_CYCLE_1)
	s_add_nc_u64 s[4:5], s[4:5], s[6:7]
	s_load_b32 s12, s[4:5], 0x740
	s_wait_kmcnt 0x0
	s_clause 0x3
	s_load_b64 s[8:9], s[0:1], s13 offset:0x0 scale_offset
	s_load_b64 s[10:11], s[0:1], s13 offset:0x200 scale_offset
	;; [unrolled: 1-line block ×3, first 2 shown]
	s_load_b32 s18, s[0:1], 0xc4c
	s_mov_b32 s5, s3
	s_wait_xcnt 0x0
	s_ashr_i32 s13, s12, 31
	s_delay_alu instid0(SALU_CYCLE_1)
	s_lshl_b64 s[6:7], s[12:13], 17
	s_wait_kmcnt 0x0
	s_and_b64 s[20:21], s[10:11], 7
	s_add_nc_u64 s[16:17], s[8:9], s[6:7]
	s_and_b32 s4, s14, 3
	s_and_b32 s2, s16, 7
	s_or_b64 s[4:5], s[20:21], s[4:5]
	s_lshl_b64 s[12:13], s[12:13], 16
	s_or_b64 s[2:3], s[4:5], s[2:3]
	s_sub_nc_u64 s[12:13], s[14:15], s[12:13]
	s_cmp_eq_u64 s[2:3], 0
	s_mov_b32 s2, -1
	s_cbranch_scc0 .LBB277_5
; %bb.1:
	v_min_i64 v[2:3], 0x10000, s[12:13]
	v_dual_mov_b32 v5, 0 :: v_dual_lshlrev_b32 v4, 2, v0
	s_mov_b32 s5, exec_lo
	s_delay_alu instid0(VALU_DEP_1)
	v_cmpx_lt_i64_e64 v[4:5], v[2:3]
	s_cbranch_execz .LBB277_4
; %bb.2:
	s_load_b32 s2, s[0:1], 0xc5c
	v_dual_mov_b32 v1, v5 :: v_dual_lshlrev_b32 v4, 3, v0
	s_mov_b32 s15, 0
	s_delay_alu instid0(SALU_CYCLE_1) | instskip(NEXT) | instid1(VALU_DEP_1)
	s_mov_b32 s17, s15
	v_add_nc_u64_e32 v[4:5], s[6:7], v[4:5]
	s_delay_alu instid0(VALU_DEP_2) | instskip(SKIP_3) | instid1(SALU_CYCLE_1)
	v_mov_b64_e32 v[6:7], v[0:1]
	s_mov_b32 s19, s15
	s_wait_kmcnt 0x0
	s_and_b32 s14, s2, 0xffff
	s_lshl_b32 s16, s14, 3
.LBB277_3:                              ; =>This Inner Loop Header: Depth=1
	s_delay_alu instid0(VALU_DEP_2) | instskip(NEXT) | instid1(VALU_DEP_2)
	v_add_nc_u64_e32 v[8:9], s[8:9], v[4:5]
	v_add_nc_u64_e32 v[6:7], s[14:15], v[6:7]
	global_load_b64 v[8:9], v[8:9], off
	v_lshlrev_b64_e32 v[10:11], 2, v[6:7]
	s_wait_loadcnt 0x0
	v_cvt_f32_f16_e32 v1, v8
	s_wait_xcnt 0x0
	v_dual_lshrrev_b32 v8, 16, v8 :: v_dual_lshrrev_b32 v12, 16, v9
	v_cvt_f32_f16_e32 v9, v9
	s_delay_alu instid0(VALU_DEP_3) | instskip(NEXT) | instid1(VALU_DEP_3)
	v_div_scale_f32 v13, null, v1, v1, s18
	v_cvt_f32_f16_e32 v8, v8
	s_delay_alu instid0(VALU_DEP_3) | instskip(SKIP_1) | instid1(VALU_DEP_4)
	v_div_scale_f32 v15, null, v9, v9, s18
	v_cvt_f32_f16_e32 v12, v12
	v_rcp_f32_e32 v17, v13
	s_delay_alu instid0(VALU_DEP_3) | instskip(NEXT) | instid1(VALU_DEP_3)
	v_div_scale_f32 v18, null, v8, v8, s18
	v_rcp_f32_e32 v20, v15
	s_delay_alu instid0(VALU_DEP_2) | instskip(NEXT) | instid1(VALU_DEP_2)
	v_div_scale_f32 v21, null, v12, v12, s18
	v_rcp_f32_e32 v23, v18
	s_delay_alu instid0(TRANS32_DEP_3) | instskip(SKIP_1) | instid1(VALU_DEP_3)
	v_fma_f32 v25, -v13, v17, 1.0
	v_div_scale_f32 v14, vcc_lo, s18, v1, s18
	v_rcp_f32_e32 v24, v21
	s_delay_alu instid0(TRANS32_DEP_3) | instskip(NEXT) | instid1(VALU_DEP_3)
	v_fma_f32 v26, -v15, v20, 1.0
	v_fmac_f32_e32 v17, v25, v17
	s_delay_alu instid0(TRANS32_DEP_2)
	v_fma_f32 v27, -v18, v23, 1.0
	v_div_scale_f32 v16, s2, s18, v9, s18
	v_div_scale_f32 v19, s3, s18, v8, s18
	v_fmac_f32_e32 v20, v26, v20
	v_fma_f32 v25, -v21, v24, 1.0
	v_dual_fmac_f32 v23, v27, v23 :: v_dual_mul_f32 v26, v14, v17
	v_div_scale_f32 v22, s4, s18, v12, s18
	s_delay_alu instid0(VALU_DEP_4) | instskip(NEXT) | instid1(VALU_DEP_3)
	v_mul_f32_e32 v27, v16, v20
	v_dual_fmac_f32 v24, v25, v24 :: v_dual_mul_f32 v25, v19, v23
	s_delay_alu instid0(VALU_DEP_2) | instskip(NEXT) | instid1(VALU_DEP_2)
	v_dual_fma_f32 v28, -v13, v26, v14 :: v_dual_fma_f32 v29, -v15, v27, v16
	v_fma_f32 v31, -v18, v25, v19
	s_delay_alu instid0(VALU_DEP_2) | instskip(NEXT) | instid1(VALU_DEP_2)
	v_dual_mul_f32 v30, v22, v24 :: v_dual_fmac_f32 v26, v28, v17
	v_dual_fmac_f32 v27, v29, v20 :: v_dual_fmac_f32 v25, v31, v23
	s_delay_alu instid0(VALU_DEP_2) | instskip(NEXT) | instid1(VALU_DEP_2)
	v_fma_f32 v28, -v21, v30, v22
	v_dual_fma_f32 v13, -v13, v26, v14 :: v_dual_fma_f32 v14, -v15, v27, v16
	s_delay_alu instid0(VALU_DEP_2) | instskip(NEXT) | instid1(VALU_DEP_2)
	v_dual_fma_f32 v15, -v18, v25, v19 :: v_dual_fmac_f32 v30, v28, v24
	v_div_fmas_f32 v13, v13, v17, v26
	s_mov_b32 vcc_lo, s3
	s_delay_alu instid0(VALU_DEP_2) | instskip(NEXT) | instid1(VALU_DEP_3)
	v_div_fmas_f32 v15, v15, v23, v25
	v_fma_f32 v16, -v21, v30, v22
	s_mov_b32 vcc_lo, s2
	v_div_fixup_f32 v1, v13, v1, s18
	v_div_fmas_f32 v14, v14, v20, v27
	s_mov_b32 vcc_lo, s4
	v_div_fixup_f32 v13, v15, v8, s18
	v_div_fmas_f32 v16, v16, v24, v30
	v_cmp_ge_i64_e32 vcc_lo, v[10:11], v[2:3]
	v_div_fixup_f32 v14, v14, v9, s18
	v_add_nc_u64_e32 v[8:9], s[10:11], v[4:5]
	v_add_nc_u64_e32 v[4:5], s[16:17], v[4:5]
	v_div_fixup_f32 v12, v16, v12, s18
	v_cvt_pk_f16_f32 v10, v1, v13
	s_or_b32 s19, vcc_lo, s19
	s_delay_alu instid0(VALU_DEP_2)
	v_cvt_pk_f16_f32 v11, v14, v12
	global_store_b64 v[8:9], v[10:11], off
	s_wait_xcnt 0x0
	s_and_not1_b32 exec_lo, exec_lo, s19
	s_cbranch_execnz .LBB277_3
.LBB277_4:
	s_or_b32 exec_lo, exec_lo, s5
	s_mov_b32 s2, 0
.LBB277_5:
	s_delay_alu instid0(SALU_CYCLE_1)
	s_and_not1_b32 vcc_lo, exec_lo, s2
	s_cbranch_vccnz .LBB277_25
; %bb.6:
	v_cmp_lt_i64_e64 s2, s[12:13], 1
	s_and_b32 vcc_lo, exec_lo, s2
	s_cbranch_vccnz .LBB277_25
; %bb.7:
	s_load_b32 s0, s[0:1], 0xc5c
	v_min_i64 v[2:3], 0x10000, s[12:13]
	v_min_u64 v[4:5], 0x10000, s[12:13]
	v_dual_mov_b32 v1, 0 :: v_dual_lshlrev_b32 v10, 1, v0
	s_wait_xcnt 0x0
	s_mov_b32 s1, 0
	s_delay_alu instid0(SALU_CYCLE_1) | instskip(NEXT) | instid1(VALU_DEP_1)
	s_mov_b32 s5, s1
	v_dual_mov_b32 v11, v1 :: v_dual_mov_b32 v27, v1
	s_mov_b32 s3, s1
	s_mov_b32 s13, s1
	s_delay_alu instid0(VALU_DEP_1) | instskip(SKIP_2) | instid1(SALU_CYCLE_1)
	v_add_nc_u64_e32 v[6:7], s[8:9], v[10:11]
	s_wait_kmcnt 0x0
	s_and_b32 s0, s0, 0xffff
	v_add_nc_u64_e32 v[8:9], s[0:1], v[0:1]
	v_mad_nc_u64_u32 v[22:23], s0, 6, v[10:11]
	s_lshl_b32 s4, s0, 2
	s_mul_i32 s12, s0, 3
	v_add_nc_u64_e32 v[18:19], s[4:5], v[10:11]
	s_lshl_b32 s2, s0, 1
	v_add_nc_u64_e32 v[10:11], s[10:11], v[10:11]
	v_lshlrev_b32_e32 v26, 1, v8
	v_add_nc_u64_e32 v[12:13], s[12:13], v[0:1]
	v_add_nc_u64_e32 v[14:15], s[2:3], v[0:1]
	;; [unrolled: 1-line block ×8, first 2 shown]
	s_lshl_b32 s8, s0, 3
	s_mov_b32 s9, s1
	s_mov_b64 s[10:11], 0
	s_branch .LBB277_9
.LBB277_8:                              ;   in Loop: Header=BB277_9 Depth=1
	s_wait_xcnt 0x0
	s_or_b32 exec_lo, exec_lo, s1
	s_add_nc_u64 s[10:11], s[10:11], s[4:5]
	v_add_nc_u64_e32 v[6:7], s[8:9], v[6:7]
	v_cmp_ge_i64_e32 vcc_lo, s[10:11], v[2:3]
	v_add_nc_u64_e32 v[10:11], s[8:9], v[10:11]
	v_add_nc_u64_e32 v[20:21], s[8:9], v[20:21]
	;; [unrolled: 1-line block ×7, first 2 shown]
	s_cbranch_vccnz .LBB277_25
.LBB277_9:                              ; =>This Inner Loop Header: Depth=1
	v_add_nc_u64_e32 v[28:29], s[10:11], v[0:1]
	v_mov_b32_e32 v31, 0
	s_delay_alu instid0(VALU_DEP_2)
	v_cmp_lt_u64_e32 vcc_lo, v[28:29], v[4:5]
	s_and_saveexec_b32 s0, vcc_lo
	s_cbranch_execz .LBB277_11
; %bb.10:                               ;   in Loop: Header=BB277_9 Depth=1
	v_add_nc_u64_e32 v[28:29], s[6:7], v[6:7]
	global_load_u16 v28, v[28:29], off
	s_wait_loadcnt 0x0
	v_cvt_f32_f16_e32 v31, v28
.LBB277_11:                             ;   in Loop: Header=BB277_9 Depth=1
	s_wait_xcnt 0x0
	s_or_b32 exec_lo, exec_lo, s0
	v_add_nc_u64_e32 v[28:29], s[10:11], v[8:9]
	v_mov_b32_e32 v30, 0
	s_delay_alu instid0(VALU_DEP_2)
	v_cmp_lt_u64_e64 s2, v[28:29], v[4:5]
	v_mov_b32_e32 v28, 0
	s_and_saveexec_b32 s0, s2
	s_cbranch_execz .LBB277_13
; %bb.12:                               ;   in Loop: Header=BB277_9 Depth=1
	v_add_nc_u64_e32 v[32:33], s[6:7], v[24:25]
	global_load_u16 v29, v[32:33], off
	s_wait_loadcnt 0x0
	v_cvt_f32_f16_e32 v30, v29
.LBB277_13:                             ;   in Loop: Header=BB277_9 Depth=1
	s_wait_xcnt 0x0
	s_or_b32 exec_lo, exec_lo, s0
	v_add_nc_u64_e32 v[32:33], s[10:11], v[14:15]
	s_delay_alu instid0(VALU_DEP_1)
	v_cmp_lt_u64_e64 s1, v[32:33], v[4:5]
	s_and_saveexec_b32 s0, s1
	s_cbranch_execz .LBB277_15
; %bb.14:                               ;   in Loop: Header=BB277_9 Depth=1
	v_add_nc_u64_e32 v[28:29], s[6:7], v[16:17]
	global_load_u16 v28, v[28:29], off
	s_wait_loadcnt 0x0
	v_cvt_f32_f16_e32 v28, v28
.LBB277_15:                             ;   in Loop: Header=BB277_9 Depth=1
	s_or_b32 exec_lo, exec_lo, s0
	v_add_nc_u64_e32 v[32:33], s[10:11], v[12:13]
	v_mov_b32_e32 v29, 0
	s_delay_alu instid0(VALU_DEP_2)
	v_cmp_lt_u64_e64 s0, v[32:33], v[4:5]
	s_and_saveexec_b32 s3, s0
	s_cbranch_execnz .LBB277_20
; %bb.16:                               ;   in Loop: Header=BB277_9 Depth=1
	s_or_b32 exec_lo, exec_lo, s3
	s_and_saveexec_b32 s3, vcc_lo
	s_cbranch_execnz .LBB277_21
.LBB277_17:                             ;   in Loop: Header=BB277_9 Depth=1
	s_or_b32 exec_lo, exec_lo, s3
	s_and_saveexec_b32 s3, s2
	s_cbranch_execnz .LBB277_22
.LBB277_18:                             ;   in Loop: Header=BB277_9 Depth=1
	s_or_b32 exec_lo, exec_lo, s3
	s_and_saveexec_b32 s2, s1
	s_cbranch_execnz .LBB277_23
.LBB277_19:                             ;   in Loop: Header=BB277_9 Depth=1
	s_or_b32 exec_lo, exec_lo, s2
	s_and_saveexec_b32 s1, s0
	s_cbranch_execz .LBB277_8
	s_branch .LBB277_24
.LBB277_20:                             ;   in Loop: Header=BB277_9 Depth=1
	v_add_nc_u64_e32 v[32:33], s[6:7], v[20:21]
	global_load_u16 v29, v[32:33], off
	s_wait_loadcnt 0x0
	v_cvt_f32_f16_e32 v29, v29
	s_wait_xcnt 0x0
	s_or_b32 exec_lo, exec_lo, s3
	s_and_saveexec_b32 s3, vcc_lo
	s_cbranch_execz .LBB277_17
.LBB277_21:                             ;   in Loop: Header=BB277_9 Depth=1
	v_div_scale_f32 v32, null, v31, v31, s18
	s_delay_alu instid0(VALU_DEP_1) | instskip(SKIP_1) | instid1(TRANS32_DEP_1)
	v_rcp_f32_e32 v33, v32
	v_nop
	v_fma_f32 v34, -v32, v33, 1.0
	s_delay_alu instid0(VALU_DEP_1) | instskip(SKIP_1) | instid1(VALU_DEP_1)
	v_fmac_f32_e32 v33, v34, v33
	v_div_scale_f32 v34, vcc_lo, s18, v31, s18
	v_mul_f32_e32 v35, v34, v33
	s_delay_alu instid0(VALU_DEP_1) | instskip(NEXT) | instid1(VALU_DEP_1)
	v_fma_f32 v36, -v32, v35, v34
	v_fmac_f32_e32 v35, v36, v33
	s_delay_alu instid0(VALU_DEP_1) | instskip(NEXT) | instid1(VALU_DEP_1)
	v_fma_f32 v32, -v32, v35, v34
	v_div_fmas_f32 v32, v32, v33, v35
	s_delay_alu instid0(VALU_DEP_1) | instskip(SKIP_1) | instid1(VALU_DEP_2)
	v_div_fixup_f32 v31, v32, v31, s18
	v_add_nc_u64_e32 v[32:33], s[6:7], v[10:11]
	v_cvt_f16_f32_e32 v31, v31
	global_store_b16 v[32:33], v31, off
	s_wait_xcnt 0x0
	s_or_b32 exec_lo, exec_lo, s3
	s_and_saveexec_b32 s3, s2
	s_cbranch_execz .LBB277_18
.LBB277_22:                             ;   in Loop: Header=BB277_9 Depth=1
	v_div_scale_f32 v31, null, v30, v30, s18
	s_delay_alu instid0(VALU_DEP_1) | instskip(SKIP_1) | instid1(TRANS32_DEP_1)
	v_rcp_f32_e32 v32, v31
	v_nop
	v_fma_f32 v33, -v31, v32, 1.0
	s_delay_alu instid0(VALU_DEP_1) | instskip(SKIP_1) | instid1(VALU_DEP_1)
	v_fmac_f32_e32 v32, v33, v32
	v_div_scale_f32 v33, vcc_lo, s18, v30, s18
	v_mul_f32_e32 v34, v33, v32
	s_delay_alu instid0(VALU_DEP_1) | instskip(NEXT) | instid1(VALU_DEP_1)
	v_fma_f32 v35, -v31, v34, v33
	v_fmac_f32_e32 v34, v35, v32
	s_delay_alu instid0(VALU_DEP_1) | instskip(NEXT) | instid1(VALU_DEP_1)
	v_fma_f32 v31, -v31, v34, v33
	v_div_fmas_f32 v31, v31, v32, v34
	s_delay_alu instid0(VALU_DEP_1) | instskip(SKIP_1) | instid1(VALU_DEP_2)
	v_div_fixup_f32 v32, v31, v30, s18
	v_add_nc_u64_e32 v[30:31], s[6:7], v[26:27]
	v_cvt_f16_f32_e32 v32, v32
	global_store_b16 v[30:31], v32, off
	s_wait_xcnt 0x0
	s_or_b32 exec_lo, exec_lo, s3
	s_and_saveexec_b32 s2, s1
	s_cbranch_execz .LBB277_19
.LBB277_23:                             ;   in Loop: Header=BB277_9 Depth=1
	v_div_scale_f32 v30, null, v28, v28, s18
	s_delay_alu instid0(VALU_DEP_1) | instskip(SKIP_1) | instid1(TRANS32_DEP_1)
	v_rcp_f32_e32 v31, v30
	v_nop
	v_fma_f32 v32, -v30, v31, 1.0
	s_delay_alu instid0(VALU_DEP_1) | instskip(SKIP_1) | instid1(VALU_DEP_1)
	v_fmac_f32_e32 v31, v32, v31
	v_div_scale_f32 v32, vcc_lo, s18, v28, s18
	v_mul_f32_e32 v33, v32, v31
	s_delay_alu instid0(VALU_DEP_1) | instskip(NEXT) | instid1(VALU_DEP_1)
	v_fma_f32 v34, -v30, v33, v32
	v_fmac_f32_e32 v33, v34, v31
	s_delay_alu instid0(VALU_DEP_1) | instskip(NEXT) | instid1(VALU_DEP_1)
	v_fma_f32 v30, -v30, v33, v32
	v_div_fmas_f32 v30, v30, v31, v33
	s_delay_alu instid0(VALU_DEP_1) | instskip(SKIP_1) | instid1(VALU_DEP_2)
	v_div_fixup_f32 v28, v30, v28, s18
	v_add_nc_u64_e32 v[30:31], s[6:7], v[18:19]
	v_cvt_f16_f32_e32 v28, v28
	global_store_b16 v[30:31], v28, off
	s_wait_xcnt 0x0
	s_or_b32 exec_lo, exec_lo, s2
	s_and_saveexec_b32 s1, s0
	s_cbranch_execz .LBB277_8
.LBB277_24:                             ;   in Loop: Header=BB277_9 Depth=1
	v_div_scale_f32 v28, null, v29, v29, s18
	s_delay_alu instid0(VALU_DEP_1) | instskip(SKIP_1) | instid1(TRANS32_DEP_1)
	v_rcp_f32_e32 v30, v28
	v_nop
	v_fma_f32 v31, -v28, v30, 1.0
	s_delay_alu instid0(VALU_DEP_1) | instskip(SKIP_1) | instid1(VALU_DEP_1)
	v_fmac_f32_e32 v30, v31, v30
	v_div_scale_f32 v31, vcc_lo, s18, v29, s18
	v_mul_f32_e32 v32, v31, v30
	s_delay_alu instid0(VALU_DEP_1) | instskip(NEXT) | instid1(VALU_DEP_1)
	v_fma_f32 v33, -v28, v32, v31
	v_fmac_f32_e32 v32, v33, v30
	s_delay_alu instid0(VALU_DEP_1) | instskip(NEXT) | instid1(VALU_DEP_1)
	v_fma_f32 v28, -v28, v32, v31
	v_div_fmas_f32 v28, v28, v30, v32
	s_delay_alu instid0(VALU_DEP_1) | instskip(SKIP_1) | instid1(VALU_DEP_2)
	v_div_fixup_f32 v30, v28, v29, s18
	v_add_nc_u64_e32 v[28:29], s[6:7], v[22:23]
	v_cvt_f16_f32_e32 v30, v30
	global_store_b16 v[28:29], v30, off
	s_branch .LBB277_8
.LBB277_25:
	s_endpgm
	.section	.rodata,"a",@progbits
	.p2align	6, 0x0
	.amdhsa_kernel _ZN2at6native12_GLOBAL__N_125multi_tensor_apply_kernelINS1_18TensorListMetadataILi2EEENS1_14UnaryOpFunctorIN3c104HalfELi2ELi1ELi1EEEJNS0_10ReciprocalIfEEEEEvT_T0_DpT1_
		.amdhsa_group_segment_fixed_size 0
		.amdhsa_private_segment_fixed_size 0
		.amdhsa_kernarg_size 3408
		.amdhsa_user_sgpr_count 2
		.amdhsa_user_sgpr_dispatch_ptr 0
		.amdhsa_user_sgpr_queue_ptr 0
		.amdhsa_user_sgpr_kernarg_segment_ptr 1
		.amdhsa_user_sgpr_dispatch_id 0
		.amdhsa_user_sgpr_kernarg_preload_length 0
		.amdhsa_user_sgpr_kernarg_preload_offset 0
		.amdhsa_user_sgpr_private_segment_size 0
		.amdhsa_wavefront_size32 1
		.amdhsa_uses_dynamic_stack 0
		.amdhsa_enable_private_segment 0
		.amdhsa_system_sgpr_workgroup_id_x 1
		.amdhsa_system_sgpr_workgroup_id_y 0
		.amdhsa_system_sgpr_workgroup_id_z 0
		.amdhsa_system_sgpr_workgroup_info 0
		.amdhsa_system_vgpr_workitem_id 0
		.amdhsa_next_free_vgpr 37
		.amdhsa_next_free_sgpr 22
		.amdhsa_named_barrier_count 0
		.amdhsa_reserve_vcc 1
		.amdhsa_float_round_mode_32 0
		.amdhsa_float_round_mode_16_64 0
		.amdhsa_float_denorm_mode_32 3
		.amdhsa_float_denorm_mode_16_64 3
		.amdhsa_fp16_overflow 0
		.amdhsa_memory_ordered 1
		.amdhsa_forward_progress 1
		.amdhsa_inst_pref_size 15
		.amdhsa_round_robin_scheduling 0
		.amdhsa_exception_fp_ieee_invalid_op 0
		.amdhsa_exception_fp_denorm_src 0
		.amdhsa_exception_fp_ieee_div_zero 0
		.amdhsa_exception_fp_ieee_overflow 0
		.amdhsa_exception_fp_ieee_underflow 0
		.amdhsa_exception_fp_ieee_inexact 0
		.amdhsa_exception_int_div_zero 0
	.end_amdhsa_kernel
	.section	.text._ZN2at6native12_GLOBAL__N_125multi_tensor_apply_kernelINS1_18TensorListMetadataILi2EEENS1_14UnaryOpFunctorIN3c104HalfELi2ELi1ELi1EEEJNS0_10ReciprocalIfEEEEEvT_T0_DpT1_,"axG",@progbits,_ZN2at6native12_GLOBAL__N_125multi_tensor_apply_kernelINS1_18TensorListMetadataILi2EEENS1_14UnaryOpFunctorIN3c104HalfELi2ELi1ELi1EEEJNS0_10ReciprocalIfEEEEEvT_T0_DpT1_,comdat
.Lfunc_end277:
	.size	_ZN2at6native12_GLOBAL__N_125multi_tensor_apply_kernelINS1_18TensorListMetadataILi2EEENS1_14UnaryOpFunctorIN3c104HalfELi2ELi1ELi1EEEJNS0_10ReciprocalIfEEEEEvT_T0_DpT1_, .Lfunc_end277-_ZN2at6native12_GLOBAL__N_125multi_tensor_apply_kernelINS1_18TensorListMetadataILi2EEENS1_14UnaryOpFunctorIN3c104HalfELi2ELi1ELi1EEEJNS0_10ReciprocalIfEEEEEvT_T0_DpT1_
                                        ; -- End function
	.set _ZN2at6native12_GLOBAL__N_125multi_tensor_apply_kernelINS1_18TensorListMetadataILi2EEENS1_14UnaryOpFunctorIN3c104HalfELi2ELi1ELi1EEEJNS0_10ReciprocalIfEEEEEvT_T0_DpT1_.num_vgpr, 37
	.set _ZN2at6native12_GLOBAL__N_125multi_tensor_apply_kernelINS1_18TensorListMetadataILi2EEENS1_14UnaryOpFunctorIN3c104HalfELi2ELi1ELi1EEEJNS0_10ReciprocalIfEEEEEvT_T0_DpT1_.num_agpr, 0
	.set _ZN2at6native12_GLOBAL__N_125multi_tensor_apply_kernelINS1_18TensorListMetadataILi2EEENS1_14UnaryOpFunctorIN3c104HalfELi2ELi1ELi1EEEJNS0_10ReciprocalIfEEEEEvT_T0_DpT1_.numbered_sgpr, 22
	.set _ZN2at6native12_GLOBAL__N_125multi_tensor_apply_kernelINS1_18TensorListMetadataILi2EEENS1_14UnaryOpFunctorIN3c104HalfELi2ELi1ELi1EEEJNS0_10ReciprocalIfEEEEEvT_T0_DpT1_.num_named_barrier, 0
	.set _ZN2at6native12_GLOBAL__N_125multi_tensor_apply_kernelINS1_18TensorListMetadataILi2EEENS1_14UnaryOpFunctorIN3c104HalfELi2ELi1ELi1EEEJNS0_10ReciprocalIfEEEEEvT_T0_DpT1_.private_seg_size, 0
	.set _ZN2at6native12_GLOBAL__N_125multi_tensor_apply_kernelINS1_18TensorListMetadataILi2EEENS1_14UnaryOpFunctorIN3c104HalfELi2ELi1ELi1EEEJNS0_10ReciprocalIfEEEEEvT_T0_DpT1_.uses_vcc, 1
	.set _ZN2at6native12_GLOBAL__N_125multi_tensor_apply_kernelINS1_18TensorListMetadataILi2EEENS1_14UnaryOpFunctorIN3c104HalfELi2ELi1ELi1EEEJNS0_10ReciprocalIfEEEEEvT_T0_DpT1_.uses_flat_scratch, 0
	.set _ZN2at6native12_GLOBAL__N_125multi_tensor_apply_kernelINS1_18TensorListMetadataILi2EEENS1_14UnaryOpFunctorIN3c104HalfELi2ELi1ELi1EEEJNS0_10ReciprocalIfEEEEEvT_T0_DpT1_.has_dyn_sized_stack, 0
	.set _ZN2at6native12_GLOBAL__N_125multi_tensor_apply_kernelINS1_18TensorListMetadataILi2EEENS1_14UnaryOpFunctorIN3c104HalfELi2ELi1ELi1EEEJNS0_10ReciprocalIfEEEEEvT_T0_DpT1_.has_recursion, 0
	.set _ZN2at6native12_GLOBAL__N_125multi_tensor_apply_kernelINS1_18TensorListMetadataILi2EEENS1_14UnaryOpFunctorIN3c104HalfELi2ELi1ELi1EEEJNS0_10ReciprocalIfEEEEEvT_T0_DpT1_.has_indirect_call, 0
	.section	.AMDGPU.csdata,"",@progbits
; Kernel info:
; codeLenInByte = 1840
; TotalNumSgprs: 24
; NumVgprs: 37
; ScratchSize: 0
; MemoryBound: 0
; FloatMode: 240
; IeeeMode: 1
; LDSByteSize: 0 bytes/workgroup (compile time only)
; SGPRBlocks: 0
; VGPRBlocks: 2
; NumSGPRsForWavesPerEU: 24
; NumVGPRsForWavesPerEU: 37
; NamedBarCnt: 0
; Occupancy: 16
; WaveLimiterHint : 0
; COMPUTE_PGM_RSRC2:SCRATCH_EN: 0
; COMPUTE_PGM_RSRC2:USER_SGPR: 2
; COMPUTE_PGM_RSRC2:TRAP_HANDLER: 0
; COMPUTE_PGM_RSRC2:TGID_X_EN: 1
; COMPUTE_PGM_RSRC2:TGID_Y_EN: 0
; COMPUTE_PGM_RSRC2:TGID_Z_EN: 0
; COMPUTE_PGM_RSRC2:TIDIG_COMP_CNT: 0
	.section	.text._ZN2at6native12_GLOBAL__N_125multi_tensor_apply_kernelINS1_18TensorListMetadataILi2EEENS1_14UnaryOpFunctorIN3c108BFloat16ELi2ELi1ELi1EEEJNS0_10ReciprocalIfEEEEEvT_T0_DpT1_,"axG",@progbits,_ZN2at6native12_GLOBAL__N_125multi_tensor_apply_kernelINS1_18TensorListMetadataILi2EEENS1_14UnaryOpFunctorIN3c108BFloat16ELi2ELi1ELi1EEEJNS0_10ReciprocalIfEEEEEvT_T0_DpT1_,comdat
	.globl	_ZN2at6native12_GLOBAL__N_125multi_tensor_apply_kernelINS1_18TensorListMetadataILi2EEENS1_14UnaryOpFunctorIN3c108BFloat16ELi2ELi1ELi1EEEJNS0_10ReciprocalIfEEEEEvT_T0_DpT1_ ; -- Begin function _ZN2at6native12_GLOBAL__N_125multi_tensor_apply_kernelINS1_18TensorListMetadataILi2EEENS1_14UnaryOpFunctorIN3c108BFloat16ELi2ELi1ELi1EEEJNS0_10ReciprocalIfEEEEEvT_T0_DpT1_
	.p2align	8
	.type	_ZN2at6native12_GLOBAL__N_125multi_tensor_apply_kernelINS1_18TensorListMetadataILi2EEENS1_14UnaryOpFunctorIN3c108BFloat16ELi2ELi1ELi1EEEJNS0_10ReciprocalIfEEEEEvT_T0_DpT1_,@function
_ZN2at6native12_GLOBAL__N_125multi_tensor_apply_kernelINS1_18TensorListMetadataILi2EEENS1_14UnaryOpFunctorIN3c108BFloat16ELi2ELi1ELi1EEEJNS0_10ReciprocalIfEEEEEvT_T0_DpT1_: ; @_ZN2at6native12_GLOBAL__N_125multi_tensor_apply_kernelINS1_18TensorListMetadataILi2EEENS1_14UnaryOpFunctorIN3c108BFloat16ELi2ELi1ELi1EEEJNS0_10ReciprocalIfEEEEEvT_T0_DpT1_
; %bb.0:
	s_bfe_u32 s2, ttmp6, 0x4000c
	s_and_b32 s3, ttmp6, 15
	s_add_co_i32 s2, s2, 1
	s_getreg_b32 s4, hwreg(HW_REG_IB_STS2, 6, 4)
	s_mul_i32 s2, ttmp9, s2
	s_delay_alu instid0(SALU_CYCLE_1)
	s_add_co_i32 s3, s3, s2
	s_cmp_eq_u32 s4, 0
	s_cselect_b32 s2, ttmp9, s3
	s_mov_b32 s3, 0
	s_load_u8 s13, s[0:1], s2 offset:0x600
	s_add_nc_u64 s[4:5], s[0:1], s[2:3]
	s_mul_u64 s[6:7], s[2:3], 3
	s_delay_alu instid0(SALU_CYCLE_1)
	s_add_nc_u64 s[4:5], s[4:5], s[6:7]
	s_load_b32 s12, s[4:5], 0x740
	s_wait_kmcnt 0x0
	s_clause 0x3
	s_load_b64 s[8:9], s[0:1], s13 offset:0x0 scale_offset
	s_load_b64 s[10:11], s[0:1], s13 offset:0x200 scale_offset
	;; [unrolled: 1-line block ×3, first 2 shown]
	s_load_b32 s18, s[0:1], 0xc4c
	s_mov_b32 s5, s3
	s_wait_xcnt 0x0
	s_ashr_i32 s13, s12, 31
	s_delay_alu instid0(SALU_CYCLE_1)
	s_lshl_b64 s[6:7], s[12:13], 17
	s_wait_kmcnt 0x0
	s_and_b64 s[20:21], s[10:11], 7
	s_add_nc_u64 s[16:17], s[8:9], s[6:7]
	s_and_b32 s4, s14, 3
	s_and_b32 s2, s16, 7
	s_or_b64 s[4:5], s[20:21], s[4:5]
	s_lshl_b64 s[12:13], s[12:13], 16
	s_or_b64 s[2:3], s[4:5], s[2:3]
	s_sub_nc_u64 s[12:13], s[14:15], s[12:13]
	s_cmp_eq_u64 s[2:3], 0
	s_mov_b32 s2, -1
	s_cbranch_scc0 .LBB278_5
; %bb.1:
	v_min_i64 v[2:3], 0x10000, s[12:13]
	v_dual_mov_b32 v5, 0 :: v_dual_lshlrev_b32 v4, 2, v0
	s_mov_b32 s5, exec_lo
	s_delay_alu instid0(VALU_DEP_1)
	v_cmpx_lt_i64_e64 v[4:5], v[2:3]
	s_cbranch_execz .LBB278_4
; %bb.2:
	s_load_b32 s2, s[0:1], 0xc5c
	v_dual_mov_b32 v1, v5 :: v_dual_lshlrev_b32 v4, 3, v0
	s_mov_b32 s15, 0
	s_delay_alu instid0(SALU_CYCLE_1) | instskip(NEXT) | instid1(VALU_DEP_1)
	s_mov_b32 s17, s15
	v_add_nc_u64_e32 v[4:5], s[6:7], v[4:5]
	s_delay_alu instid0(VALU_DEP_2) | instskip(SKIP_3) | instid1(SALU_CYCLE_1)
	v_mov_b64_e32 v[6:7], v[0:1]
	s_mov_b32 s19, s15
	s_wait_kmcnt 0x0
	s_and_b32 s14, s2, 0xffff
	s_lshl_b32 s16, s14, 3
.LBB278_3:                              ; =>This Inner Loop Header: Depth=1
	s_delay_alu instid0(VALU_DEP_2) | instskip(NEXT) | instid1(VALU_DEP_2)
	v_add_nc_u64_e32 v[8:9], s[8:9], v[4:5]
	v_add_nc_u64_e32 v[6:7], s[14:15], v[6:7]
	global_load_b64 v[8:9], v[8:9], off
	v_lshlrev_b64_e32 v[10:11], 2, v[6:7]
	s_wait_loadcnt 0x0
	v_lshlrev_b32_e32 v1, 16, v8
	v_and_b32_e32 v12, 0xffff0000, v8
	s_wait_xcnt 0x0
	v_alignbit_b32 v8, v9, v8, 16
	v_and_b32_e32 v9, 0xffff0000, v9
	v_div_scale_f32 v13, null, v1, v1, s18
	v_div_scale_f32 v15, null, v12, v12, s18
	s_delay_alu instid0(VALU_DEP_4) | instskip(NEXT) | instid1(VALU_DEP_3)
	v_and_b32_e32 v8, 0xffff0000, v8
	v_rcp_f32_e32 v19, v13
	v_div_scale_f32 v17, null, v9, v9, s18
	s_delay_alu instid0(VALU_DEP_3) | instskip(NEXT) | instid1(VALU_DEP_2)
	v_rcp_f32_e32 v20, v15
	v_div_scale_f32 v21, null, v8, v8, s18
	s_delay_alu instid0(VALU_DEP_2) | instskip(NEXT) | instid1(TRANS32_DEP_3)
	v_rcp_f32_e32 v22, v17
	v_fma_f32 v25, -v13, v19, 1.0
	v_div_scale_f32 v16, s2, s18, v12, s18
	s_delay_alu instid0(TRANS32_DEP_2) | instskip(SKIP_1) | instid1(VALU_DEP_3)
	v_fma_f32 v26, -v15, v20, 1.0
	v_rcp_f32_e32 v24, v21
	v_fmac_f32_e32 v19, v25, v19
	v_div_scale_f32 v14, vcc_lo, s18, v1, s18
	v_fma_f32 v27, -v17, v22, 1.0
	v_fmac_f32_e32 v20, v26, v20
	v_div_scale_f32 v18, s3, s18, v9, s18
	s_delay_alu instid0(VALU_DEP_4) | instskip(SKIP_1) | instid1(VALU_DEP_4)
	v_mul_f32_e32 v26, v14, v19
	v_fma_f32 v25, -v21, v24, 1.0
	v_dual_fmac_f32 v22, v27, v22 :: v_dual_mul_f32 v27, v16, v20
	v_div_scale_f32 v23, s4, s18, v8, s18
	s_delay_alu instid0(VALU_DEP_4) | instskip(NEXT) | instid1(VALU_DEP_3)
	v_fma_f32 v28, -v13, v26, v14
	v_dual_fmac_f32 v24, v25, v24 :: v_dual_mul_f32 v25, v18, v22
	s_delay_alu instid0(VALU_DEP_4) | instskip(NEXT) | instid1(VALU_DEP_2)
	v_fma_f32 v29, -v15, v27, v16
	v_dual_fmac_f32 v26, v28, v19 :: v_dual_mul_f32 v30, v23, v24
	s_delay_alu instid0(VALU_DEP_3) | instskip(NEXT) | instid1(VALU_DEP_3)
	v_fma_f32 v31, -v17, v25, v18
	v_fmac_f32_e32 v27, v29, v20
	s_delay_alu instid0(VALU_DEP_3) | instskip(NEXT) | instid1(VALU_DEP_2)
	v_fma_f32 v13, -v13, v26, v14
	v_dual_fma_f32 v28, -v21, v30, v23 :: v_dual_fma_f32 v14, -v15, v27, v16
	s_delay_alu instid0(VALU_DEP_4) | instskip(NEXT) | instid1(VALU_DEP_3)
	v_fmac_f32_e32 v25, v31, v22
	v_div_fmas_f32 v13, v13, v19, v26
	s_mov_b32 vcc_lo, s2
	s_delay_alu instid0(VALU_DEP_3) | instskip(SKIP_3) | instid1(VALU_DEP_3)
	v_fmac_f32_e32 v30, v28, v24
	v_div_fmas_f32 v14, v14, v20, v27
	s_mov_b32 vcc_lo, s4
	v_div_fixup_f32 v1, v13, v1, s18
	v_fma_f32 v16, -v21, v30, v23
	s_delay_alu instid0(VALU_DEP_3) | instskip(NEXT) | instid1(VALU_DEP_3)
	v_div_fixup_f32 v12, v14, v12, s18
	v_bfe_u32 v14, v1, 16, 1
	s_delay_alu instid0(VALU_DEP_3) | instskip(SKIP_1) | instid1(VALU_DEP_3)
	v_div_fmas_f32 v13, v16, v24, v30
	s_mov_b32 vcc_lo, s3
	v_cmp_o_f32_e64 s2, v12, v12
	s_delay_alu instid0(VALU_DEP_3) | instskip(SKIP_3) | instid1(VALU_DEP_4)
	v_add3_u32 v14, v1, v14, 0x7fff
	v_fma_f32 v15, -v17, v25, v18
	v_div_fixup_f32 v8, v13, v8, s18
	v_bfe_u32 v13, v12, 16, 1
	v_lshrrev_b32_e32 v14, 16, v14
	s_delay_alu instid0(VALU_DEP_4) | instskip(SKIP_1) | instid1(VALU_DEP_4)
	v_div_fmas_f32 v15, v15, v22, v25
	v_cmp_o_f32_e32 vcc_lo, v1, v1
	v_add3_u32 v13, v12, v13, 0x7fff
	s_delay_alu instid0(VALU_DEP_3) | instskip(SKIP_1) | instid1(VALU_DEP_3)
	v_div_fixup_f32 v9, v15, v9, s18
	v_bfe_u32 v15, v8, 16, 1
	v_and_b32_e32 v13, 0xffff0000, v13
	v_cndmask_b32_e32 v14, 0x7fc0, v14, vcc_lo
	v_cmp_o_f32_e32 vcc_lo, v8, v8
	v_bfe_u32 v16, v9, 16, 1
	v_add3_u32 v15, v8, v15, 0x7fff
	v_cndmask_b32_e64 v13, 0x7fc00000, v13, s2
	v_cmp_o_f32_e64 s2, v9, v9
	s_delay_alu instid0(VALU_DEP_4) | instskip(NEXT) | instid1(VALU_DEP_3)
	v_add3_u32 v1, v9, v16, 0x7fff
	v_dual_lshrrev_b32 v12, 16, v15 :: v_dual_bitop2_b32 v13, v14, v13 bitop3:0x54
	v_add_nc_u64_e32 v[8:9], s[10:11], v[4:5]
	v_add_nc_u64_e32 v[4:5], s[16:17], v[4:5]
	s_delay_alu instid0(VALU_DEP_4) | instskip(NEXT) | instid1(VALU_DEP_4)
	v_and_b32_e32 v1, 0xffff0000, v1
	v_cndmask_b32_e32 v12, 0x7fc0, v12, vcc_lo
	v_cmp_ge_i64_e32 vcc_lo, v[10:11], v[2:3]
	v_or3_b32 v10, v13, 0, 0
	s_delay_alu instid0(VALU_DEP_4) | instskip(SKIP_1) | instid1(VALU_DEP_1)
	v_cndmask_b32_e64 v1, 0x7fc00000, v1, s2
	s_or_b32 s19, vcc_lo, s19
	v_or3_b32 v11, 0, v12, v1
	global_store_b64 v[8:9], v[10:11], off
	s_wait_xcnt 0x0
	s_and_not1_b32 exec_lo, exec_lo, s19
	s_cbranch_execnz .LBB278_3
.LBB278_4:
	s_or_b32 exec_lo, exec_lo, s5
	s_mov_b32 s2, 0
.LBB278_5:
	s_delay_alu instid0(SALU_CYCLE_1)
	s_and_not1_b32 vcc_lo, exec_lo, s2
	s_cbranch_vccnz .LBB278_25
; %bb.6:
	v_cmp_lt_i64_e64 s2, s[12:13], 1
	s_and_b32 vcc_lo, exec_lo, s2
	s_cbranch_vccnz .LBB278_25
; %bb.7:
	s_load_b32 s0, s[0:1], 0xc5c
	v_min_i64 v[2:3], 0x10000, s[12:13]
	v_min_u64 v[4:5], 0x10000, s[12:13]
	v_dual_mov_b32 v1, 0 :: v_dual_lshlrev_b32 v10, 1, v0
	s_wait_xcnt 0x0
	s_mov_b32 s1, 0
	s_delay_alu instid0(SALU_CYCLE_1) | instskip(NEXT) | instid1(VALU_DEP_1)
	s_mov_b32 s5, s1
	v_dual_mov_b32 v11, v1 :: v_dual_mov_b32 v27, v1
	s_mov_b32 s3, s1
	s_mov_b32 s13, s1
	s_delay_alu instid0(VALU_DEP_1) | instskip(SKIP_2) | instid1(SALU_CYCLE_1)
	v_add_nc_u64_e32 v[6:7], s[8:9], v[10:11]
	s_wait_kmcnt 0x0
	s_and_b32 s0, s0, 0xffff
	v_add_nc_u64_e32 v[8:9], s[0:1], v[0:1]
	v_mad_nc_u64_u32 v[22:23], s0, 6, v[10:11]
	s_lshl_b32 s4, s0, 2
	s_mul_i32 s12, s0, 3
	v_add_nc_u64_e32 v[18:19], s[4:5], v[10:11]
	s_lshl_b32 s2, s0, 1
	v_add_nc_u64_e32 v[10:11], s[10:11], v[10:11]
	v_lshlrev_b32_e32 v26, 1, v8
	v_add_nc_u64_e32 v[12:13], s[12:13], v[0:1]
	v_add_nc_u64_e32 v[14:15], s[2:3], v[0:1]
	;; [unrolled: 1-line block ×8, first 2 shown]
	s_lshl_b32 s8, s0, 3
	s_mov_b32 s9, s1
	s_mov_b64 s[10:11], 0
	s_branch .LBB278_9
.LBB278_8:                              ;   in Loop: Header=BB278_9 Depth=1
	s_wait_xcnt 0x0
	s_or_b32 exec_lo, exec_lo, s1
	s_add_nc_u64 s[10:11], s[10:11], s[4:5]
	v_add_nc_u64_e32 v[6:7], s[8:9], v[6:7]
	v_cmp_ge_i64_e32 vcc_lo, s[10:11], v[2:3]
	v_add_nc_u64_e32 v[10:11], s[8:9], v[10:11]
	v_add_nc_u64_e32 v[20:21], s[8:9], v[20:21]
	;; [unrolled: 1-line block ×7, first 2 shown]
	s_cbranch_vccnz .LBB278_25
.LBB278_9:                              ; =>This Inner Loop Header: Depth=1
	v_add_nc_u64_e32 v[28:29], s[10:11], v[0:1]
	v_mov_b32_e32 v31, 0
	s_delay_alu instid0(VALU_DEP_2)
	v_cmp_lt_u64_e32 vcc_lo, v[28:29], v[4:5]
	s_and_saveexec_b32 s0, vcc_lo
	s_cbranch_execz .LBB278_11
; %bb.10:                               ;   in Loop: Header=BB278_9 Depth=1
	v_add_nc_u64_e32 v[28:29], s[6:7], v[6:7]
	global_load_u16 v28, v[28:29], off
	s_wait_loadcnt 0x0
	v_lshlrev_b32_e32 v31, 16, v28
.LBB278_11:                             ;   in Loop: Header=BB278_9 Depth=1
	s_wait_xcnt 0x0
	s_or_b32 exec_lo, exec_lo, s0
	v_add_nc_u64_e32 v[28:29], s[10:11], v[8:9]
	v_mov_b32_e32 v30, 0
	s_delay_alu instid0(VALU_DEP_2)
	v_cmp_lt_u64_e64 s2, v[28:29], v[4:5]
	v_mov_b32_e32 v28, 0
	s_and_saveexec_b32 s0, s2
	s_cbranch_execz .LBB278_13
; %bb.12:                               ;   in Loop: Header=BB278_9 Depth=1
	v_add_nc_u64_e32 v[32:33], s[6:7], v[24:25]
	global_load_u16 v29, v[32:33], off
	s_wait_loadcnt 0x0
	v_lshlrev_b32_e32 v30, 16, v29
.LBB278_13:                             ;   in Loop: Header=BB278_9 Depth=1
	s_wait_xcnt 0x0
	s_or_b32 exec_lo, exec_lo, s0
	v_add_nc_u64_e32 v[32:33], s[10:11], v[14:15]
	s_delay_alu instid0(VALU_DEP_1)
	v_cmp_lt_u64_e64 s1, v[32:33], v[4:5]
	s_and_saveexec_b32 s0, s1
	s_cbranch_execz .LBB278_15
; %bb.14:                               ;   in Loop: Header=BB278_9 Depth=1
	v_add_nc_u64_e32 v[28:29], s[6:7], v[16:17]
	global_load_u16 v28, v[28:29], off
	s_wait_loadcnt 0x0
	v_lshlrev_b32_e32 v28, 16, v28
.LBB278_15:                             ;   in Loop: Header=BB278_9 Depth=1
	s_or_b32 exec_lo, exec_lo, s0
	v_add_nc_u64_e32 v[32:33], s[10:11], v[12:13]
	v_mov_b32_e32 v29, 0
	s_delay_alu instid0(VALU_DEP_2)
	v_cmp_lt_u64_e64 s0, v[32:33], v[4:5]
	s_and_saveexec_b32 s3, s0
	s_cbranch_execnz .LBB278_20
; %bb.16:                               ;   in Loop: Header=BB278_9 Depth=1
	s_or_b32 exec_lo, exec_lo, s3
	s_and_saveexec_b32 s3, vcc_lo
	s_cbranch_execnz .LBB278_21
.LBB278_17:                             ;   in Loop: Header=BB278_9 Depth=1
	s_or_b32 exec_lo, exec_lo, s3
	s_and_saveexec_b32 s3, s2
	s_cbranch_execnz .LBB278_22
.LBB278_18:                             ;   in Loop: Header=BB278_9 Depth=1
	s_or_b32 exec_lo, exec_lo, s3
	s_and_saveexec_b32 s2, s1
	s_cbranch_execnz .LBB278_23
.LBB278_19:                             ;   in Loop: Header=BB278_9 Depth=1
	s_or_b32 exec_lo, exec_lo, s2
	s_and_saveexec_b32 s1, s0
	s_cbranch_execz .LBB278_8
	s_branch .LBB278_24
.LBB278_20:                             ;   in Loop: Header=BB278_9 Depth=1
	v_add_nc_u64_e32 v[32:33], s[6:7], v[20:21]
	global_load_u16 v29, v[32:33], off
	s_wait_loadcnt 0x0
	v_lshlrev_b32_e32 v29, 16, v29
	s_wait_xcnt 0x0
	s_or_b32 exec_lo, exec_lo, s3
	s_and_saveexec_b32 s3, vcc_lo
	s_cbranch_execz .LBB278_17
.LBB278_21:                             ;   in Loop: Header=BB278_9 Depth=1
	v_div_scale_f32 v32, null, v31, v31, s18
	s_delay_alu instid0(VALU_DEP_1) | instskip(SKIP_1) | instid1(TRANS32_DEP_1)
	v_rcp_f32_e32 v33, v32
	v_nop
	v_fma_f32 v34, -v32, v33, 1.0
	s_delay_alu instid0(VALU_DEP_1) | instskip(SKIP_1) | instid1(VALU_DEP_1)
	v_fmac_f32_e32 v33, v34, v33
	v_div_scale_f32 v34, vcc_lo, s18, v31, s18
	v_mul_f32_e32 v35, v34, v33
	s_delay_alu instid0(VALU_DEP_1) | instskip(NEXT) | instid1(VALU_DEP_1)
	v_fma_f32 v36, -v32, v35, v34
	v_fmac_f32_e32 v35, v36, v33
	s_delay_alu instid0(VALU_DEP_1) | instskip(NEXT) | instid1(VALU_DEP_1)
	v_fma_f32 v32, -v32, v35, v34
	v_div_fmas_f32 v32, v32, v33, v35
	s_delay_alu instid0(VALU_DEP_1) | instskip(NEXT) | instid1(VALU_DEP_1)
	v_div_fixup_f32 v31, v32, v31, s18
	v_bfe_u32 v32, v31, 16, 1
	v_cmp_o_f32_e32 vcc_lo, v31, v31
	s_delay_alu instid0(VALU_DEP_2) | instskip(NEXT) | instid1(VALU_DEP_1)
	v_add3_u32 v32, v31, v32, 0x7fff
	v_lshrrev_b32_e32 v34, 16, v32
	v_add_nc_u64_e32 v[32:33], s[6:7], v[10:11]
	s_delay_alu instid0(VALU_DEP_2)
	v_cndmask_b32_e32 v31, 0x7fc0, v34, vcc_lo
	global_store_b16 v[32:33], v31, off
	s_wait_xcnt 0x0
	s_or_b32 exec_lo, exec_lo, s3
	s_and_saveexec_b32 s3, s2
	s_cbranch_execz .LBB278_18
.LBB278_22:                             ;   in Loop: Header=BB278_9 Depth=1
	v_div_scale_f32 v31, null, v30, v30, s18
	s_delay_alu instid0(VALU_DEP_1) | instskip(SKIP_1) | instid1(TRANS32_DEP_1)
	v_rcp_f32_e32 v32, v31
	v_nop
	v_fma_f32 v33, -v31, v32, 1.0
	s_delay_alu instid0(VALU_DEP_1) | instskip(SKIP_1) | instid1(VALU_DEP_1)
	v_fmac_f32_e32 v32, v33, v32
	v_div_scale_f32 v33, vcc_lo, s18, v30, s18
	v_mul_f32_e32 v34, v33, v32
	s_delay_alu instid0(VALU_DEP_1) | instskip(NEXT) | instid1(VALU_DEP_1)
	v_fma_f32 v35, -v31, v34, v33
	v_fmac_f32_e32 v34, v35, v32
	s_delay_alu instid0(VALU_DEP_1) | instskip(NEXT) | instid1(VALU_DEP_1)
	v_fma_f32 v31, -v31, v34, v33
	v_div_fmas_f32 v31, v31, v32, v34
	s_delay_alu instid0(VALU_DEP_1) | instskip(NEXT) | instid1(VALU_DEP_1)
	v_div_fixup_f32 v32, v31, v30, s18
	v_bfe_u32 v30, v32, 16, 1
	v_cmp_o_f32_e32 vcc_lo, v32, v32
	s_delay_alu instid0(VALU_DEP_2) | instskip(NEXT) | instid1(VALU_DEP_1)
	v_add3_u32 v30, v32, v30, 0x7fff
	v_lshrrev_b32_e32 v33, 16, v30
	v_add_nc_u64_e32 v[30:31], s[6:7], v[26:27]
	s_delay_alu instid0(VALU_DEP_2)
	v_cndmask_b32_e32 v32, 0x7fc0, v33, vcc_lo
	global_store_b16 v[30:31], v32, off
	s_wait_xcnt 0x0
	s_or_b32 exec_lo, exec_lo, s3
	s_and_saveexec_b32 s2, s1
	s_cbranch_execz .LBB278_19
.LBB278_23:                             ;   in Loop: Header=BB278_9 Depth=1
	v_div_scale_f32 v30, null, v28, v28, s18
	s_delay_alu instid0(VALU_DEP_1) | instskip(SKIP_1) | instid1(TRANS32_DEP_1)
	v_rcp_f32_e32 v31, v30
	v_nop
	v_fma_f32 v32, -v30, v31, 1.0
	s_delay_alu instid0(VALU_DEP_1) | instskip(SKIP_1) | instid1(VALU_DEP_1)
	v_fmac_f32_e32 v31, v32, v31
	v_div_scale_f32 v32, vcc_lo, s18, v28, s18
	v_mul_f32_e32 v33, v32, v31
	s_delay_alu instid0(VALU_DEP_1) | instskip(NEXT) | instid1(VALU_DEP_1)
	v_fma_f32 v34, -v30, v33, v32
	v_fmac_f32_e32 v33, v34, v31
	s_delay_alu instid0(VALU_DEP_1) | instskip(NEXT) | instid1(VALU_DEP_1)
	v_fma_f32 v30, -v30, v33, v32
	v_div_fmas_f32 v30, v30, v31, v33
	s_delay_alu instid0(VALU_DEP_1) | instskip(NEXT) | instid1(VALU_DEP_1)
	v_div_fixup_f32 v28, v30, v28, s18
	v_bfe_u32 v30, v28, 16, 1
	v_cmp_o_f32_e32 vcc_lo, v28, v28
	s_delay_alu instid0(VALU_DEP_2) | instskip(NEXT) | instid1(VALU_DEP_1)
	v_add3_u32 v30, v28, v30, 0x7fff
	v_lshrrev_b32_e32 v32, 16, v30
	v_add_nc_u64_e32 v[30:31], s[6:7], v[18:19]
	s_delay_alu instid0(VALU_DEP_2)
	v_cndmask_b32_e32 v28, 0x7fc0, v32, vcc_lo
	global_store_b16 v[30:31], v28, off
	s_wait_xcnt 0x0
	s_or_b32 exec_lo, exec_lo, s2
	s_and_saveexec_b32 s1, s0
	s_cbranch_execz .LBB278_8
.LBB278_24:                             ;   in Loop: Header=BB278_9 Depth=1
	v_div_scale_f32 v28, null, v29, v29, s18
	s_delay_alu instid0(VALU_DEP_1) | instskip(SKIP_1) | instid1(TRANS32_DEP_1)
	v_rcp_f32_e32 v30, v28
	v_nop
	v_fma_f32 v31, -v28, v30, 1.0
	s_delay_alu instid0(VALU_DEP_1) | instskip(SKIP_1) | instid1(VALU_DEP_1)
	v_fmac_f32_e32 v30, v31, v30
	v_div_scale_f32 v31, vcc_lo, s18, v29, s18
	v_mul_f32_e32 v32, v31, v30
	s_delay_alu instid0(VALU_DEP_1) | instskip(NEXT) | instid1(VALU_DEP_1)
	v_fma_f32 v33, -v28, v32, v31
	v_fmac_f32_e32 v32, v33, v30
	s_delay_alu instid0(VALU_DEP_1) | instskip(NEXT) | instid1(VALU_DEP_1)
	v_fma_f32 v28, -v28, v32, v31
	v_div_fmas_f32 v28, v28, v30, v32
	s_delay_alu instid0(VALU_DEP_1) | instskip(NEXT) | instid1(VALU_DEP_1)
	v_div_fixup_f32 v30, v28, v29, s18
	v_bfe_u32 v28, v30, 16, 1
	v_cmp_o_f32_e32 vcc_lo, v30, v30
	s_delay_alu instid0(VALU_DEP_2) | instskip(NEXT) | instid1(VALU_DEP_1)
	v_add3_u32 v28, v30, v28, 0x7fff
	v_lshrrev_b32_e32 v31, 16, v28
	v_add_nc_u64_e32 v[28:29], s[6:7], v[22:23]
	s_delay_alu instid0(VALU_DEP_2)
	v_cndmask_b32_e32 v30, 0x7fc0, v31, vcc_lo
	global_store_b16 v[28:29], v30, off
	s_branch .LBB278_8
.LBB278_25:
	s_endpgm
	.section	.rodata,"a",@progbits
	.p2align	6, 0x0
	.amdhsa_kernel _ZN2at6native12_GLOBAL__N_125multi_tensor_apply_kernelINS1_18TensorListMetadataILi2EEENS1_14UnaryOpFunctorIN3c108BFloat16ELi2ELi1ELi1EEEJNS0_10ReciprocalIfEEEEEvT_T0_DpT1_
		.amdhsa_group_segment_fixed_size 0
		.amdhsa_private_segment_fixed_size 0
		.amdhsa_kernarg_size 3408
		.amdhsa_user_sgpr_count 2
		.amdhsa_user_sgpr_dispatch_ptr 0
		.amdhsa_user_sgpr_queue_ptr 0
		.amdhsa_user_sgpr_kernarg_segment_ptr 1
		.amdhsa_user_sgpr_dispatch_id 0
		.amdhsa_user_sgpr_kernarg_preload_length 0
		.amdhsa_user_sgpr_kernarg_preload_offset 0
		.amdhsa_user_sgpr_private_segment_size 0
		.amdhsa_wavefront_size32 1
		.amdhsa_uses_dynamic_stack 0
		.amdhsa_enable_private_segment 0
		.amdhsa_system_sgpr_workgroup_id_x 1
		.amdhsa_system_sgpr_workgroup_id_y 0
		.amdhsa_system_sgpr_workgroup_id_z 0
		.amdhsa_system_sgpr_workgroup_info 0
		.amdhsa_system_vgpr_workitem_id 0
		.amdhsa_next_free_vgpr 37
		.amdhsa_next_free_sgpr 22
		.amdhsa_named_barrier_count 0
		.amdhsa_reserve_vcc 1
		.amdhsa_float_round_mode_32 0
		.amdhsa_float_round_mode_16_64 0
		.amdhsa_float_denorm_mode_32 3
		.amdhsa_float_denorm_mode_16_64 3
		.amdhsa_fp16_overflow 0
		.amdhsa_memory_ordered 1
		.amdhsa_forward_progress 1
		.amdhsa_inst_pref_size 18
		.amdhsa_round_robin_scheduling 0
		.amdhsa_exception_fp_ieee_invalid_op 0
		.amdhsa_exception_fp_denorm_src 0
		.amdhsa_exception_fp_ieee_div_zero 0
		.amdhsa_exception_fp_ieee_overflow 0
		.amdhsa_exception_fp_ieee_underflow 0
		.amdhsa_exception_fp_ieee_inexact 0
		.amdhsa_exception_int_div_zero 0
	.end_amdhsa_kernel
	.section	.text._ZN2at6native12_GLOBAL__N_125multi_tensor_apply_kernelINS1_18TensorListMetadataILi2EEENS1_14UnaryOpFunctorIN3c108BFloat16ELi2ELi1ELi1EEEJNS0_10ReciprocalIfEEEEEvT_T0_DpT1_,"axG",@progbits,_ZN2at6native12_GLOBAL__N_125multi_tensor_apply_kernelINS1_18TensorListMetadataILi2EEENS1_14UnaryOpFunctorIN3c108BFloat16ELi2ELi1ELi1EEEJNS0_10ReciprocalIfEEEEEvT_T0_DpT1_,comdat
.Lfunc_end278:
	.size	_ZN2at6native12_GLOBAL__N_125multi_tensor_apply_kernelINS1_18TensorListMetadataILi2EEENS1_14UnaryOpFunctorIN3c108BFloat16ELi2ELi1ELi1EEEJNS0_10ReciprocalIfEEEEEvT_T0_DpT1_, .Lfunc_end278-_ZN2at6native12_GLOBAL__N_125multi_tensor_apply_kernelINS1_18TensorListMetadataILi2EEENS1_14UnaryOpFunctorIN3c108BFloat16ELi2ELi1ELi1EEEJNS0_10ReciprocalIfEEEEEvT_T0_DpT1_
                                        ; -- End function
	.set _ZN2at6native12_GLOBAL__N_125multi_tensor_apply_kernelINS1_18TensorListMetadataILi2EEENS1_14UnaryOpFunctorIN3c108BFloat16ELi2ELi1ELi1EEEJNS0_10ReciprocalIfEEEEEvT_T0_DpT1_.num_vgpr, 37
	.set _ZN2at6native12_GLOBAL__N_125multi_tensor_apply_kernelINS1_18TensorListMetadataILi2EEENS1_14UnaryOpFunctorIN3c108BFloat16ELi2ELi1ELi1EEEJNS0_10ReciprocalIfEEEEEvT_T0_DpT1_.num_agpr, 0
	.set _ZN2at6native12_GLOBAL__N_125multi_tensor_apply_kernelINS1_18TensorListMetadataILi2EEENS1_14UnaryOpFunctorIN3c108BFloat16ELi2ELi1ELi1EEEJNS0_10ReciprocalIfEEEEEvT_T0_DpT1_.numbered_sgpr, 22
	.set _ZN2at6native12_GLOBAL__N_125multi_tensor_apply_kernelINS1_18TensorListMetadataILi2EEENS1_14UnaryOpFunctorIN3c108BFloat16ELi2ELi1ELi1EEEJNS0_10ReciprocalIfEEEEEvT_T0_DpT1_.num_named_barrier, 0
	.set _ZN2at6native12_GLOBAL__N_125multi_tensor_apply_kernelINS1_18TensorListMetadataILi2EEENS1_14UnaryOpFunctorIN3c108BFloat16ELi2ELi1ELi1EEEJNS0_10ReciprocalIfEEEEEvT_T0_DpT1_.private_seg_size, 0
	.set _ZN2at6native12_GLOBAL__N_125multi_tensor_apply_kernelINS1_18TensorListMetadataILi2EEENS1_14UnaryOpFunctorIN3c108BFloat16ELi2ELi1ELi1EEEJNS0_10ReciprocalIfEEEEEvT_T0_DpT1_.uses_vcc, 1
	.set _ZN2at6native12_GLOBAL__N_125multi_tensor_apply_kernelINS1_18TensorListMetadataILi2EEENS1_14UnaryOpFunctorIN3c108BFloat16ELi2ELi1ELi1EEEJNS0_10ReciprocalIfEEEEEvT_T0_DpT1_.uses_flat_scratch, 0
	.set _ZN2at6native12_GLOBAL__N_125multi_tensor_apply_kernelINS1_18TensorListMetadataILi2EEENS1_14UnaryOpFunctorIN3c108BFloat16ELi2ELi1ELi1EEEJNS0_10ReciprocalIfEEEEEvT_T0_DpT1_.has_dyn_sized_stack, 0
	.set _ZN2at6native12_GLOBAL__N_125multi_tensor_apply_kernelINS1_18TensorListMetadataILi2EEENS1_14UnaryOpFunctorIN3c108BFloat16ELi2ELi1ELi1EEEJNS0_10ReciprocalIfEEEEEvT_T0_DpT1_.has_recursion, 0
	.set _ZN2at6native12_GLOBAL__N_125multi_tensor_apply_kernelINS1_18TensorListMetadataILi2EEENS1_14UnaryOpFunctorIN3c108BFloat16ELi2ELi1ELi1EEEJNS0_10ReciprocalIfEEEEEvT_T0_DpT1_.has_indirect_call, 0
	.section	.AMDGPU.csdata,"",@progbits
; Kernel info:
; codeLenInByte = 2204
; TotalNumSgprs: 24
; NumVgprs: 37
; ScratchSize: 0
; MemoryBound: 0
; FloatMode: 240
; IeeeMode: 1
; LDSByteSize: 0 bytes/workgroup (compile time only)
; SGPRBlocks: 0
; VGPRBlocks: 2
; NumSGPRsForWavesPerEU: 24
; NumVGPRsForWavesPerEU: 37
; NamedBarCnt: 0
; Occupancy: 16
; WaveLimiterHint : 0
; COMPUTE_PGM_RSRC2:SCRATCH_EN: 0
; COMPUTE_PGM_RSRC2:USER_SGPR: 2
; COMPUTE_PGM_RSRC2:TRAP_HANDLER: 0
; COMPUTE_PGM_RSRC2:TGID_X_EN: 1
; COMPUTE_PGM_RSRC2:TGID_Y_EN: 0
; COMPUTE_PGM_RSRC2:TGID_Z_EN: 0
; COMPUTE_PGM_RSRC2:TIDIG_COMP_CNT: 0
	.section	.text._ZN2at6native12_GLOBAL__N_125multi_tensor_apply_kernelINS1_18TensorListMetadataILi1EEENS1_14UnaryOpFunctorIdLi1ELi1ELi0EEEJNS0_10ReciprocalIdEEEEEvT_T0_DpT1_,"axG",@progbits,_ZN2at6native12_GLOBAL__N_125multi_tensor_apply_kernelINS1_18TensorListMetadataILi1EEENS1_14UnaryOpFunctorIdLi1ELi1ELi0EEEJNS0_10ReciprocalIdEEEEEvT_T0_DpT1_,comdat
	.globl	_ZN2at6native12_GLOBAL__N_125multi_tensor_apply_kernelINS1_18TensorListMetadataILi1EEENS1_14UnaryOpFunctorIdLi1ELi1ELi0EEEJNS0_10ReciprocalIdEEEEEvT_T0_DpT1_ ; -- Begin function _ZN2at6native12_GLOBAL__N_125multi_tensor_apply_kernelINS1_18TensorListMetadataILi1EEENS1_14UnaryOpFunctorIdLi1ELi1ELi0EEEJNS0_10ReciprocalIdEEEEEvT_T0_DpT1_
	.p2align	8
	.type	_ZN2at6native12_GLOBAL__N_125multi_tensor_apply_kernelINS1_18TensorListMetadataILi1EEENS1_14UnaryOpFunctorIdLi1ELi1ELi0EEEJNS0_10ReciprocalIdEEEEEvT_T0_DpT1_,@function
_ZN2at6native12_GLOBAL__N_125multi_tensor_apply_kernelINS1_18TensorListMetadataILi1EEENS1_14UnaryOpFunctorIdLi1ELi1ELi0EEEJNS0_10ReciprocalIdEEEEEvT_T0_DpT1_: ; @_ZN2at6native12_GLOBAL__N_125multi_tensor_apply_kernelINS1_18TensorListMetadataILi1EEENS1_14UnaryOpFunctorIdLi1ELi1ELi0EEEJNS0_10ReciprocalIdEEEEEvT_T0_DpT1_
; %bb.0:
	s_bfe_u32 s2, ttmp6, 0x4000c
	s_and_b32 s3, ttmp6, 15
	s_add_co_i32 s2, s2, 1
	s_getreg_b32 s4, hwreg(HW_REG_IB_STS2, 6, 4)
	s_mul_i32 s2, ttmp9, s2
	s_delay_alu instid0(SALU_CYCLE_1)
	s_add_co_i32 s3, s3, s2
	s_cmp_eq_u32 s4, 0
	s_cselect_b32 s2, ttmp9, s3
	s_mov_b32 s3, 0
	s_load_u8 s10, s[0:1], s2 offset:0x6e0
	s_add_nc_u64 s[4:5], s[0:1], s[2:3]
	s_mul_u64 s[6:7], s[2:3], 3
	s_delay_alu instid0(SALU_CYCLE_1)
	s_add_nc_u64 s[4:5], s[4:5], s[6:7]
	s_load_b32 s12, s[4:5], 0x820
	s_wait_kmcnt 0x0
	s_clause 0x2
	s_load_b64 s[8:9], s[0:1], s10 offset:0x0 scale_offset
	s_load_b64 s[14:15], s[0:1], s10 offset:0x370 scale_offset
	s_load_b64 s[6:7], s[0:1], 0xd30
	s_ashr_i32 s13, s12, 31
	s_wait_kmcnt 0x0
	s_and_b64 s[4:5], s[8:9], 31
	s_and_b32 s2, s14, 3
	s_lshl_b64 s[10:11], s[12:13], 19
	s_or_b64 s[2:3], s[4:5], s[2:3]
	s_lshl_b64 s[4:5], s[12:13], 16
	s_cmp_eq_u64 s[2:3], 0
	s_sub_nc_u64 s[12:13], s[14:15], s[4:5]
	s_cbranch_scc1 .LBB279_21
; %bb.1:
	v_cmp_lt_i64_e64 s2, s[12:13], 1
	s_and_b32 vcc_lo, exec_lo, s2
	s_cbranch_vccnz .LBB279_20
; %bb.2:
	s_load_b32 s4, s[0:1], 0xd44
	v_min_i64 v[2:3], 0x10000, s[12:13]
	v_min_u64 v[4:5], 0x10000, s[12:13]
	v_dual_mov_b32 v1, 0 :: v_dual_lshlrev_b32 v8, 3, v0
	s_mov_b32 s21, 0
	s_add_nc_u64 s[2:3], s[8:9], s[10:11]
	s_mov_b32 s5, s21
	s_delay_alu instid0(VALU_DEP_1)
	v_mov_b32_e32 v15, v1
	s_mov_b32 s19, s21
	s_mov_b32 s15, s21
	;; [unrolled: 1-line block ×3, first 2 shown]
	s_mov_b64 s[22:23], 0
	s_wait_kmcnt 0x0
	s_and_b32 s20, s4, 0xffff
	s_delay_alu instid0(SALU_CYCLE_1)
	v_add_nc_u64_e32 v[6:7], s[20:21], v[0:1]
	v_mov_b32_e32 v9, v1
	s_lshl_b32 s4, s20, 1
	s_mul_i32 s18, s20, 3
	v_add_nc_u64_e32 v[12:13], s[4:5], v[0:1]
	v_add_nc_u64_e32 v[10:11], s[18:19], v[0:1]
	s_lshl_b32 s14, s20, 2
	v_lshlrev_b32_e32 v14, 3, v6
	v_add_nc_u64_e32 v[8:9], s[2:3], v[8:9]
	s_lshl_b32 s16, s20, 5
	s_mul_u64 s[18:19], s[20:21], 24
	s_lshl_b32 s20, s20, 4
	v_add_nc_u64_e32 v[14:15], s[2:3], v[14:15]
	s_branch .LBB279_4
.LBB279_3:                              ;   in Loop: Header=BB279_4 Depth=1
	s_wait_xcnt 0x0
	s_or_b32 exec_lo, exec_lo, s3
	s_add_nc_u64 s[22:23], s[22:23], s[14:15]
	v_add_nc_u64_e32 v[8:9], s[16:17], v[8:9]
	v_cmp_lt_i64_e32 vcc_lo, s[22:23], v[2:3]
	v_add_nc_u64_e32 v[14:15], s[16:17], v[14:15]
	s_cbranch_vccz .LBB279_20
.LBB279_4:                              ; =>This Inner Loop Header: Depth=1
	s_wait_loadcnt 0x0
	v_add_nc_u64_e32 v[16:17], s[22:23], v[0:1]
	v_mov_b64_e32 v[20:21], 0
	v_mov_b64_e32 v[26:27], 0
	s_delay_alu instid0(VALU_DEP_3)
	v_cmp_lt_u64_e32 vcc_lo, v[16:17], v[4:5]
	s_and_saveexec_b32 s2, vcc_lo
	s_cbranch_execz .LBB279_6
; %bb.5:                                ;   in Loop: Header=BB279_4 Depth=1
	global_load_b64 v[26:27], v[8:9], off
.LBB279_6:                              ;   in Loop: Header=BB279_4 Depth=1
	s_wait_xcnt 0x0
	s_or_b32 exec_lo, exec_lo, s2
	v_add_nc_u64_e32 v[16:17], s[22:23], v[6:7]
	s_delay_alu instid0(VALU_DEP_1)
	v_cmp_lt_u64_e64 s4, v[16:17], v[4:5]
	s_and_saveexec_b32 s2, s4
	s_cbranch_execz .LBB279_8
; %bb.7:                                ;   in Loop: Header=BB279_4 Depth=1
	global_load_b64 v[20:21], v[14:15], off
.LBB279_8:                              ;   in Loop: Header=BB279_4 Depth=1
	s_wait_xcnt 0x0
	s_or_b32 exec_lo, exec_lo, s2
	v_add_nc_u64_e32 v[18:19], s[22:23], v[12:13]
	v_mov_b64_e32 v[16:17], 0
	v_add_nc_u64_e32 v[22:23], s[20:21], v[8:9]
	v_mov_b64_e32 v[24:25], 0
	s_delay_alu instid0(VALU_DEP_4)
	v_cmp_lt_u64_e64 s3, v[18:19], v[4:5]
	s_and_saveexec_b32 s2, s3
	s_cbranch_execz .LBB279_10
; %bb.9:                                ;   in Loop: Header=BB279_4 Depth=1
	global_load_b64 v[24:25], v[22:23], off
.LBB279_10:                             ;   in Loop: Header=BB279_4 Depth=1
	s_wait_xcnt 0x0
	s_or_b32 exec_lo, exec_lo, s2
	v_add_nc_u64_e32 v[18:19], s[22:23], v[10:11]
	s_delay_alu instid0(VALU_DEP_1)
	v_cmp_lt_u64_e64 s2, v[18:19], v[4:5]
	v_add_nc_u64_e32 v[18:19], s[18:19], v[8:9]
	s_and_saveexec_b32 s5, s2
	s_cbranch_execnz .LBB279_15
; %bb.11:                               ;   in Loop: Header=BB279_4 Depth=1
	s_or_b32 exec_lo, exec_lo, s5
	s_and_saveexec_b32 s5, vcc_lo
	s_cbranch_execnz .LBB279_16
.LBB279_12:                             ;   in Loop: Header=BB279_4 Depth=1
	s_or_b32 exec_lo, exec_lo, s5
	s_and_saveexec_b32 s5, s4
	s_cbranch_execnz .LBB279_17
.LBB279_13:                             ;   in Loop: Header=BB279_4 Depth=1
	s_or_b32 exec_lo, exec_lo, s5
	s_and_saveexec_b32 s4, s3
	s_cbranch_execnz .LBB279_18
.LBB279_14:                             ;   in Loop: Header=BB279_4 Depth=1
	s_or_b32 exec_lo, exec_lo, s4
	s_and_saveexec_b32 s3, s2
	s_cbranch_execz .LBB279_3
	s_branch .LBB279_19
.LBB279_15:                             ;   in Loop: Header=BB279_4 Depth=1
	global_load_b64 v[16:17], v[18:19], off
	s_wait_xcnt 0x0
	s_or_b32 exec_lo, exec_lo, s5
	s_and_saveexec_b32 s5, vcc_lo
	s_cbranch_execz .LBB279_12
.LBB279_16:                             ;   in Loop: Header=BB279_4 Depth=1
	s_wait_loadcnt 0x0
	v_div_scale_f64 v[28:29], null, v[26:27], v[26:27], s[6:7]
	s_delay_alu instid0(VALU_DEP_1) | instskip(SKIP_1) | instid1(TRANS32_DEP_1)
	v_rcp_f64_e32 v[30:31], v[28:29]
	v_nop
	v_fma_f64 v[32:33], -v[28:29], v[30:31], 1.0
	s_delay_alu instid0(VALU_DEP_1) | instskip(NEXT) | instid1(VALU_DEP_1)
	v_fmac_f64_e32 v[30:31], v[30:31], v[32:33]
	v_fma_f64 v[32:33], -v[28:29], v[30:31], 1.0
	s_delay_alu instid0(VALU_DEP_1) | instskip(SKIP_1) | instid1(VALU_DEP_1)
	v_fmac_f64_e32 v[30:31], v[30:31], v[32:33]
	v_div_scale_f64 v[32:33], vcc_lo, s[6:7], v[26:27], s[6:7]
	v_mul_f64_e32 v[34:35], v[32:33], v[30:31]
	s_delay_alu instid0(VALU_DEP_1) | instskip(NEXT) | instid1(VALU_DEP_1)
	v_fma_f64 v[28:29], -v[28:29], v[34:35], v[32:33]
	v_div_fmas_f64 v[28:29], v[28:29], v[30:31], v[34:35]
	s_delay_alu instid0(VALU_DEP_1)
	v_div_fixup_f64 v[26:27], v[28:29], v[26:27], s[6:7]
	global_store_b64 v[8:9], v[26:27], off
	s_wait_xcnt 0x0
	s_or_b32 exec_lo, exec_lo, s5
	s_and_saveexec_b32 s5, s4
	s_cbranch_execz .LBB279_13
.LBB279_17:                             ;   in Loop: Header=BB279_4 Depth=1
	s_wait_loadcnt 0x0
	v_div_scale_f64 v[26:27], null, v[20:21], v[20:21], s[6:7]
	s_delay_alu instid0(VALU_DEP_1) | instskip(SKIP_1) | instid1(TRANS32_DEP_1)
	v_rcp_f64_e32 v[28:29], v[26:27]
	v_nop
	v_fma_f64 v[30:31], -v[26:27], v[28:29], 1.0
	s_delay_alu instid0(VALU_DEP_1) | instskip(NEXT) | instid1(VALU_DEP_1)
	v_fmac_f64_e32 v[28:29], v[28:29], v[30:31]
	v_fma_f64 v[30:31], -v[26:27], v[28:29], 1.0
	s_delay_alu instid0(VALU_DEP_1) | instskip(SKIP_1) | instid1(VALU_DEP_1)
	v_fmac_f64_e32 v[28:29], v[28:29], v[30:31]
	v_div_scale_f64 v[30:31], vcc_lo, s[6:7], v[20:21], s[6:7]
	v_mul_f64_e32 v[32:33], v[30:31], v[28:29]
	s_delay_alu instid0(VALU_DEP_1) | instskip(NEXT) | instid1(VALU_DEP_1)
	v_fma_f64 v[26:27], -v[26:27], v[32:33], v[30:31]
	v_div_fmas_f64 v[26:27], v[26:27], v[28:29], v[32:33]
	s_delay_alu instid0(VALU_DEP_1)
	v_div_fixup_f64 v[20:21], v[26:27], v[20:21], s[6:7]
	global_store_b64 v[14:15], v[20:21], off
	s_wait_xcnt 0x0
	s_or_b32 exec_lo, exec_lo, s5
	s_and_saveexec_b32 s4, s3
	s_cbranch_execz .LBB279_14
.LBB279_18:                             ;   in Loop: Header=BB279_4 Depth=1
	s_wait_loadcnt 0x0
	v_div_scale_f64 v[20:21], null, v[24:25], v[24:25], s[6:7]
	s_delay_alu instid0(VALU_DEP_1) | instskip(SKIP_1) | instid1(TRANS32_DEP_1)
	v_rcp_f64_e32 v[26:27], v[20:21]
	v_nop
	v_fma_f64 v[28:29], -v[20:21], v[26:27], 1.0
	s_delay_alu instid0(VALU_DEP_1) | instskip(NEXT) | instid1(VALU_DEP_1)
	v_fmac_f64_e32 v[26:27], v[26:27], v[28:29]
	v_fma_f64 v[28:29], -v[20:21], v[26:27], 1.0
	s_delay_alu instid0(VALU_DEP_1) | instskip(SKIP_1) | instid1(VALU_DEP_1)
	v_fmac_f64_e32 v[26:27], v[26:27], v[28:29]
	v_div_scale_f64 v[28:29], vcc_lo, s[6:7], v[24:25], s[6:7]
	v_mul_f64_e32 v[30:31], v[28:29], v[26:27]
	s_delay_alu instid0(VALU_DEP_1) | instskip(NEXT) | instid1(VALU_DEP_1)
	v_fma_f64 v[20:21], -v[20:21], v[30:31], v[28:29]
	v_div_fmas_f64 v[20:21], v[20:21], v[26:27], v[30:31]
	s_delay_alu instid0(VALU_DEP_1)
	v_div_fixup_f64 v[20:21], v[20:21], v[24:25], s[6:7]
	global_store_b64 v[22:23], v[20:21], off
	s_wait_xcnt 0x0
	s_or_b32 exec_lo, exec_lo, s4
	s_and_saveexec_b32 s3, s2
	s_cbranch_execz .LBB279_3
.LBB279_19:                             ;   in Loop: Header=BB279_4 Depth=1
	s_wait_loadcnt 0x0
	v_div_scale_f64 v[20:21], null, v[16:17], v[16:17], s[6:7]
	s_delay_alu instid0(VALU_DEP_1) | instskip(SKIP_1) | instid1(TRANS32_DEP_1)
	v_rcp_f64_e32 v[22:23], v[20:21]
	v_nop
	v_fma_f64 v[24:25], -v[20:21], v[22:23], 1.0
	s_delay_alu instid0(VALU_DEP_1) | instskip(NEXT) | instid1(VALU_DEP_1)
	v_fmac_f64_e32 v[22:23], v[22:23], v[24:25]
	v_fma_f64 v[24:25], -v[20:21], v[22:23], 1.0
	s_delay_alu instid0(VALU_DEP_1) | instskip(SKIP_1) | instid1(VALU_DEP_1)
	v_fmac_f64_e32 v[22:23], v[22:23], v[24:25]
	v_div_scale_f64 v[24:25], vcc_lo, s[6:7], v[16:17], s[6:7]
	v_mul_f64_e32 v[26:27], v[24:25], v[22:23]
	s_delay_alu instid0(VALU_DEP_1) | instskip(NEXT) | instid1(VALU_DEP_1)
	v_fma_f64 v[20:21], -v[20:21], v[26:27], v[24:25]
	v_div_fmas_f64 v[20:21], v[20:21], v[22:23], v[26:27]
	s_delay_alu instid0(VALU_DEP_1)
	v_div_fixup_f64 v[16:17], v[20:21], v[16:17], s[6:7]
	global_store_b64 v[18:19], v[16:17], off
	s_branch .LBB279_3
.LBB279_20:
	s_cbranch_execz .LBB279_22
	s_branch .LBB279_25
.LBB279_21:
.LBB279_22:
	v_min_i64 v[2:3], 0x10000, s[12:13]
	v_dual_mov_b32 v5, 0 :: v_dual_lshlrev_b32 v4, 2, v0
	s_mov_b32 s2, exec_lo
	s_delay_alu instid0(VALU_DEP_1)
	v_cmpx_lt_i64_e64 v[4:5], v[2:3]
	s_cbranch_execz .LBB279_25
; %bb.23:
	s_load_b32 s2, s[0:1], 0xd44
	v_dual_mov_b32 v1, v5 :: v_dual_lshlrev_b32 v4, 5, v0
	s_wait_xcnt 0x0
	s_add_nc_u64 s[0:1], s[8:9], s[10:11]
	s_mov_b32 s5, 0
	s_delay_alu instid0(VALU_DEP_1) | instskip(SKIP_2) | instid1(VALU_DEP_1)
	v_add_nc_u64_e32 v[6:7], s[0:1], v[4:5]
	s_mov_b32 s9, s5
	s_mov_b32 s3, s5
	v_add_nc_u64_e32 v[4:5], 16, v[6:7]
	s_wait_kmcnt 0x0
	s_and_b32 s4, s2, 0xffff
	s_delay_alu instid0(SALU_CYCLE_1)
	s_lshl_b32 s8, s4, 5
.LBB279_24:                             ; =>This Inner Loop Header: Depth=1
	s_clause 0x1
	global_load_b128 v[6:9], v[4:5], off offset:-16
	global_load_b128 v[10:13], v[4:5], off
	v_add_nc_u64_e32 v[0:1], s[4:5], v[0:1]
	s_wait_loadcnt 0x1
	v_div_scale_f64 v[14:15], null, v[6:7], v[6:7], s[6:7]
	v_div_scale_f64 v[16:17], null, v[8:9], v[8:9], s[6:7]
	s_wait_loadcnt 0x0
	v_div_scale_f64 v[18:19], null, v[10:11], v[10:11], s[6:7]
	v_div_scale_f64 v[20:21], null, v[12:13], v[12:13], s[6:7]
	v_div_scale_f64 v[38:39], vcc_lo, s[6:7], v[6:7], s[6:7]
	v_rcp_f64_e32 v[22:23], v[14:15]
	s_delay_alu instid0(VALU_DEP_4) | instskip(NEXT) | instid1(VALU_DEP_3)
	v_rcp_f64_e32 v[24:25], v[16:17]
	v_rcp_f64_e32 v[26:27], v[18:19]
	s_delay_alu instid0(VALU_DEP_2) | instskip(SKIP_1) | instid1(TRANS32_DEP_3)
	v_rcp_f64_e32 v[28:29], v[20:21]
	v_fma_f64 v[30:31], -v[14:15], v[22:23], 1.0
	v_fma_f64 v[32:33], -v[16:17], v[24:25], 1.0
	s_delay_alu instid0(TRANS32_DEP_2) | instskip(NEXT) | instid1(TRANS32_DEP_1)
	v_fma_f64 v[34:35], -v[18:19], v[26:27], 1.0
	v_fma_f64 v[36:37], -v[20:21], v[28:29], 1.0
	s_delay_alu instid0(VALU_DEP_4) | instskip(NEXT) | instid1(VALU_DEP_4)
	v_fmac_f64_e32 v[22:23], v[22:23], v[30:31]
	v_fmac_f64_e32 v[24:25], v[24:25], v[32:33]
	s_delay_alu instid0(VALU_DEP_4) | instskip(NEXT) | instid1(VALU_DEP_4)
	v_fmac_f64_e32 v[26:27], v[26:27], v[34:35]
	v_fmac_f64_e32 v[28:29], v[28:29], v[36:37]
	s_delay_alu instid0(VALU_DEP_4) | instskip(NEXT) | instid1(VALU_DEP_4)
	v_fma_f64 v[30:31], -v[14:15], v[22:23], 1.0
	v_fma_f64 v[32:33], -v[16:17], v[24:25], 1.0
	s_delay_alu instid0(VALU_DEP_4) | instskip(NEXT) | instid1(VALU_DEP_4)
	v_fma_f64 v[34:35], -v[18:19], v[26:27], 1.0
	v_fma_f64 v[36:37], -v[20:21], v[28:29], 1.0
	s_delay_alu instid0(VALU_DEP_4)
	v_fmac_f64_e32 v[22:23], v[22:23], v[30:31]
	v_div_scale_f64 v[30:31], s0, s[6:7], v[8:9], s[6:7]
	v_fmac_f64_e32 v[24:25], v[24:25], v[32:33]
	v_div_scale_f64 v[32:33], s1, s[6:7], v[10:11], s[6:7]
	;; [unrolled: 2-line block ×3, first 2 shown]
	v_fmac_f64_e32 v[28:29], v[28:29], v[36:37]
	v_mul_f64_e32 v[36:37], v[38:39], v[22:23]
	v_mul_f64_e32 v[40:41], v[30:31], v[24:25]
	;; [unrolled: 1-line block ×3, first 2 shown]
	s_delay_alu instid0(VALU_DEP_4) | instskip(NEXT) | instid1(VALU_DEP_4)
	v_mul_f64_e32 v[44:45], v[34:35], v[28:29]
	v_fma_f64 v[14:15], -v[14:15], v[36:37], v[38:39]
	s_delay_alu instid0(VALU_DEP_4) | instskip(NEXT) | instid1(VALU_DEP_4)
	v_fma_f64 v[16:17], -v[16:17], v[40:41], v[30:31]
	v_fma_f64 v[18:19], -v[18:19], v[42:43], v[32:33]
	s_delay_alu instid0(VALU_DEP_4) | instskip(NEXT) | instid1(VALU_DEP_4)
	v_fma_f64 v[20:21], -v[20:21], v[44:45], v[34:35]
	v_div_fmas_f64 v[14:15], v[14:15], v[22:23], v[36:37]
	s_mov_b32 vcc_lo, s0
	s_delay_alu instid0(VALU_DEP_4) | instskip(SKIP_1) | instid1(VALU_DEP_4)
	v_div_fmas_f64 v[16:17], v[16:17], v[24:25], v[40:41]
	s_mov_b32 vcc_lo, s1
	v_div_fmas_f64 v[18:19], v[18:19], v[26:27], v[42:43]
	s_mov_b32 vcc_lo, s2
	s_delay_alu instid0(VALU_DEP_4) | instskip(NEXT) | instid1(VALU_DEP_4)
	v_div_fmas_f64 v[20:21], v[20:21], v[28:29], v[44:45]
	v_div_fixup_f64 v[6:7], v[14:15], v[6:7], s[6:7]
	v_lshlrev_b64_e32 v[14:15], 2, v[0:1]
	v_div_fixup_f64 v[8:9], v[16:17], v[8:9], s[6:7]
	v_div_fixup_f64 v[10:11], v[18:19], v[10:11], s[6:7]
	s_delay_alu instid0(VALU_DEP_3)
	v_cmp_ge_i64_e32 vcc_lo, v[14:15], v[2:3]
	v_div_fixup_f64 v[12:13], v[20:21], v[12:13], s[6:7]
	s_clause 0x1
	global_store_b128 v[4:5], v[6:9], off offset:-16
	global_store_b128 v[4:5], v[10:13], off
	s_wait_xcnt 0x0
	v_add_nc_u64_e32 v[4:5], s[8:9], v[4:5]
	s_or_b32 s3, vcc_lo, s3
	s_delay_alu instid0(SALU_CYCLE_1)
	s_and_not1_b32 exec_lo, exec_lo, s3
	s_cbranch_execnz .LBB279_24
.LBB279_25:
	s_endpgm
	.section	.rodata,"a",@progbits
	.p2align	6, 0x0
	.amdhsa_kernel _ZN2at6native12_GLOBAL__N_125multi_tensor_apply_kernelINS1_18TensorListMetadataILi1EEENS1_14UnaryOpFunctorIdLi1ELi1ELi0EEEJNS0_10ReciprocalIdEEEEEvT_T0_DpT1_
		.amdhsa_group_segment_fixed_size 0
		.amdhsa_private_segment_fixed_size 0
		.amdhsa_kernarg_size 3640
		.amdhsa_user_sgpr_count 2
		.amdhsa_user_sgpr_dispatch_ptr 0
		.amdhsa_user_sgpr_queue_ptr 0
		.amdhsa_user_sgpr_kernarg_segment_ptr 1
		.amdhsa_user_sgpr_dispatch_id 0
		.amdhsa_user_sgpr_kernarg_preload_length 0
		.amdhsa_user_sgpr_kernarg_preload_offset 0
		.amdhsa_user_sgpr_private_segment_size 0
		.amdhsa_wavefront_size32 1
		.amdhsa_uses_dynamic_stack 0
		.amdhsa_enable_private_segment 0
		.amdhsa_system_sgpr_workgroup_id_x 1
		.amdhsa_system_sgpr_workgroup_id_y 0
		.amdhsa_system_sgpr_workgroup_id_z 0
		.amdhsa_system_sgpr_workgroup_info 0
		.amdhsa_system_vgpr_workitem_id 0
		.amdhsa_next_free_vgpr 46
		.amdhsa_next_free_sgpr 24
		.amdhsa_named_barrier_count 0
		.amdhsa_reserve_vcc 1
		.amdhsa_float_round_mode_32 0
		.amdhsa_float_round_mode_16_64 0
		.amdhsa_float_denorm_mode_32 3
		.amdhsa_float_denorm_mode_16_64 3
		.amdhsa_fp16_overflow 0
		.amdhsa_memory_ordered 1
		.amdhsa_forward_progress 1
		.amdhsa_inst_pref_size 14
		.amdhsa_round_robin_scheduling 0
		.amdhsa_exception_fp_ieee_invalid_op 0
		.amdhsa_exception_fp_denorm_src 0
		.amdhsa_exception_fp_ieee_div_zero 0
		.amdhsa_exception_fp_ieee_overflow 0
		.amdhsa_exception_fp_ieee_underflow 0
		.amdhsa_exception_fp_ieee_inexact 0
		.amdhsa_exception_int_div_zero 0
	.end_amdhsa_kernel
	.section	.text._ZN2at6native12_GLOBAL__N_125multi_tensor_apply_kernelINS1_18TensorListMetadataILi1EEENS1_14UnaryOpFunctorIdLi1ELi1ELi0EEEJNS0_10ReciprocalIdEEEEEvT_T0_DpT1_,"axG",@progbits,_ZN2at6native12_GLOBAL__N_125multi_tensor_apply_kernelINS1_18TensorListMetadataILi1EEENS1_14UnaryOpFunctorIdLi1ELi1ELi0EEEJNS0_10ReciprocalIdEEEEEvT_T0_DpT1_,comdat
.Lfunc_end279:
	.size	_ZN2at6native12_GLOBAL__N_125multi_tensor_apply_kernelINS1_18TensorListMetadataILi1EEENS1_14UnaryOpFunctorIdLi1ELi1ELi0EEEJNS0_10ReciprocalIdEEEEEvT_T0_DpT1_, .Lfunc_end279-_ZN2at6native12_GLOBAL__N_125multi_tensor_apply_kernelINS1_18TensorListMetadataILi1EEENS1_14UnaryOpFunctorIdLi1ELi1ELi0EEEJNS0_10ReciprocalIdEEEEEvT_T0_DpT1_
                                        ; -- End function
	.set _ZN2at6native12_GLOBAL__N_125multi_tensor_apply_kernelINS1_18TensorListMetadataILi1EEENS1_14UnaryOpFunctorIdLi1ELi1ELi0EEEJNS0_10ReciprocalIdEEEEEvT_T0_DpT1_.num_vgpr, 46
	.set _ZN2at6native12_GLOBAL__N_125multi_tensor_apply_kernelINS1_18TensorListMetadataILi1EEENS1_14UnaryOpFunctorIdLi1ELi1ELi0EEEJNS0_10ReciprocalIdEEEEEvT_T0_DpT1_.num_agpr, 0
	.set _ZN2at6native12_GLOBAL__N_125multi_tensor_apply_kernelINS1_18TensorListMetadataILi1EEENS1_14UnaryOpFunctorIdLi1ELi1ELi0EEEJNS0_10ReciprocalIdEEEEEvT_T0_DpT1_.numbered_sgpr, 24
	.set _ZN2at6native12_GLOBAL__N_125multi_tensor_apply_kernelINS1_18TensorListMetadataILi1EEENS1_14UnaryOpFunctorIdLi1ELi1ELi0EEEJNS0_10ReciprocalIdEEEEEvT_T0_DpT1_.num_named_barrier, 0
	.set _ZN2at6native12_GLOBAL__N_125multi_tensor_apply_kernelINS1_18TensorListMetadataILi1EEENS1_14UnaryOpFunctorIdLi1ELi1ELi0EEEJNS0_10ReciprocalIdEEEEEvT_T0_DpT1_.private_seg_size, 0
	.set _ZN2at6native12_GLOBAL__N_125multi_tensor_apply_kernelINS1_18TensorListMetadataILi1EEENS1_14UnaryOpFunctorIdLi1ELi1ELi0EEEJNS0_10ReciprocalIdEEEEEvT_T0_DpT1_.uses_vcc, 1
	.set _ZN2at6native12_GLOBAL__N_125multi_tensor_apply_kernelINS1_18TensorListMetadataILi1EEENS1_14UnaryOpFunctorIdLi1ELi1ELi0EEEJNS0_10ReciprocalIdEEEEEvT_T0_DpT1_.uses_flat_scratch, 0
	.set _ZN2at6native12_GLOBAL__N_125multi_tensor_apply_kernelINS1_18TensorListMetadataILi1EEENS1_14UnaryOpFunctorIdLi1ELi1ELi0EEEJNS0_10ReciprocalIdEEEEEvT_T0_DpT1_.has_dyn_sized_stack, 0
	.set _ZN2at6native12_GLOBAL__N_125multi_tensor_apply_kernelINS1_18TensorListMetadataILi1EEENS1_14UnaryOpFunctorIdLi1ELi1ELi0EEEJNS0_10ReciprocalIdEEEEEvT_T0_DpT1_.has_recursion, 0
	.set _ZN2at6native12_GLOBAL__N_125multi_tensor_apply_kernelINS1_18TensorListMetadataILi1EEENS1_14UnaryOpFunctorIdLi1ELi1ELi0EEEJNS0_10ReciprocalIdEEEEEvT_T0_DpT1_.has_indirect_call, 0
	.section	.AMDGPU.csdata,"",@progbits
; Kernel info:
; codeLenInByte = 1676
; TotalNumSgprs: 26
; NumVgprs: 46
; ScratchSize: 0
; MemoryBound: 0
; FloatMode: 240
; IeeeMode: 1
; LDSByteSize: 0 bytes/workgroup (compile time only)
; SGPRBlocks: 0
; VGPRBlocks: 2
; NumSGPRsForWavesPerEU: 26
; NumVGPRsForWavesPerEU: 46
; NamedBarCnt: 0
; Occupancy: 16
; WaveLimiterHint : 0
; COMPUTE_PGM_RSRC2:SCRATCH_EN: 0
; COMPUTE_PGM_RSRC2:USER_SGPR: 2
; COMPUTE_PGM_RSRC2:TRAP_HANDLER: 0
; COMPUTE_PGM_RSRC2:TGID_X_EN: 1
; COMPUTE_PGM_RSRC2:TGID_Y_EN: 0
; COMPUTE_PGM_RSRC2:TGID_Z_EN: 0
; COMPUTE_PGM_RSRC2:TIDIG_COMP_CNT: 0
	.section	.text._ZN2at6native12_GLOBAL__N_125multi_tensor_apply_kernelINS1_18TensorListMetadataILi1EEENS1_14UnaryOpFunctorIfLi1ELi1ELi0EEEJNS0_10ReciprocalIfEEEEEvT_T0_DpT1_,"axG",@progbits,_ZN2at6native12_GLOBAL__N_125multi_tensor_apply_kernelINS1_18TensorListMetadataILi1EEENS1_14UnaryOpFunctorIfLi1ELi1ELi0EEEJNS0_10ReciprocalIfEEEEEvT_T0_DpT1_,comdat
	.globl	_ZN2at6native12_GLOBAL__N_125multi_tensor_apply_kernelINS1_18TensorListMetadataILi1EEENS1_14UnaryOpFunctorIfLi1ELi1ELi0EEEJNS0_10ReciprocalIfEEEEEvT_T0_DpT1_ ; -- Begin function _ZN2at6native12_GLOBAL__N_125multi_tensor_apply_kernelINS1_18TensorListMetadataILi1EEENS1_14UnaryOpFunctorIfLi1ELi1ELi0EEEJNS0_10ReciprocalIfEEEEEvT_T0_DpT1_
	.p2align	8
	.type	_ZN2at6native12_GLOBAL__N_125multi_tensor_apply_kernelINS1_18TensorListMetadataILi1EEENS1_14UnaryOpFunctorIfLi1ELi1ELi0EEEJNS0_10ReciprocalIfEEEEEvT_T0_DpT1_,@function
_ZN2at6native12_GLOBAL__N_125multi_tensor_apply_kernelINS1_18TensorListMetadataILi1EEENS1_14UnaryOpFunctorIfLi1ELi1ELi0EEEJNS0_10ReciprocalIfEEEEEvT_T0_DpT1_: ; @_ZN2at6native12_GLOBAL__N_125multi_tensor_apply_kernelINS1_18TensorListMetadataILi1EEENS1_14UnaryOpFunctorIfLi1ELi1ELi0EEEJNS0_10ReciprocalIfEEEEEvT_T0_DpT1_
; %bb.0:
	s_bfe_u32 s2, ttmp6, 0x4000c
	s_and_b32 s3, ttmp6, 15
	s_add_co_i32 s2, s2, 1
	s_getreg_b32 s4, hwreg(HW_REG_IB_STS2, 6, 4)
	s_mul_i32 s2, ttmp9, s2
	s_delay_alu instid0(SALU_CYCLE_1)
	s_add_co_i32 s3, s3, s2
	s_cmp_eq_u32 s4, 0
	s_cselect_b32 s2, ttmp9, s3
	s_mov_b32 s3, 0
	s_load_u8 s9, s[0:1], s2 offset:0x6e0
	s_add_nc_u64 s[4:5], s[0:1], s[2:3]
	s_mul_u64 s[6:7], s[2:3], 3
	s_delay_alu instid0(SALU_CYCLE_1)
	s_add_nc_u64 s[4:5], s[4:5], s[6:7]
	s_load_b32 s6, s[4:5], 0x820
	s_wait_kmcnt 0x0
	s_clause 0x2
	s_load_b64 s[10:11], s[0:1], s9 offset:0x0 scale_offset
	s_load_b64 s[14:15], s[0:1], s9 offset:0x370 scale_offset
	s_load_b32 s8, s[0:1], 0xd2c
	s_ashr_i32 s7, s6, 31
	s_wait_kmcnt 0x0
	s_and_b64 s[4:5], s[10:11], 15
	s_and_b32 s2, s14, 3
	s_lshl_b64 s[12:13], s[6:7], 18
	s_or_b64 s[2:3], s[4:5], s[2:3]
	s_lshl_b64 s[4:5], s[6:7], 16
	s_cmp_eq_u64 s[2:3], 0
	s_sub_nc_u64 s[6:7], s[14:15], s[4:5]
	s_cbranch_scc1 .LBB280_21
; %bb.1:
	v_cmp_lt_i64_e64 s2, s[6:7], 1
	s_and_b32 vcc_lo, exec_lo, s2
	s_cbranch_vccnz .LBB280_20
; %bb.2:
	s_load_b32 s4, s[0:1], 0xd3c
	v_min_i64 v[2:3], 0x10000, s[6:7]
	v_min_u64 v[4:5], 0x10000, s[6:7]
	v_dual_mov_b32 v1, 0 :: v_dual_lshlrev_b32 v8, 2, v0
	s_mov_b32 s21, 0
	s_add_nc_u64 s[2:3], s[10:11], s[12:13]
	s_mov_b32 s5, s21
	s_delay_alu instid0(VALU_DEP_1)
	v_mov_b32_e32 v15, v1
	s_mov_b32 s19, s21
	s_mov_b32 s15, s21
	;; [unrolled: 1-line block ×3, first 2 shown]
	s_mov_b64 s[22:23], 0
	s_wait_kmcnt 0x0
	s_and_b32 s20, s4, 0xffff
	s_delay_alu instid0(SALU_CYCLE_1)
	v_add_nc_u64_e32 v[6:7], s[20:21], v[0:1]
	v_mov_b32_e32 v9, v1
	s_lshl_b32 s4, s20, 1
	s_mul_i32 s18, s20, 3
	v_add_nc_u64_e32 v[12:13], s[4:5], v[0:1]
	v_add_nc_u64_e32 v[10:11], s[18:19], v[0:1]
	s_lshl_b32 s14, s20, 2
	v_lshlrev_b32_e32 v14, 2, v6
	v_add_nc_u64_e32 v[8:9], s[2:3], v[8:9]
	s_lshl_b32 s16, s20, 4
	s_mul_u64 s[18:19], s[20:21], 12
	s_lshl_b32 s20, s20, 3
	v_add_nc_u64_e32 v[14:15], s[2:3], v[14:15]
	s_branch .LBB280_4
.LBB280_3:                              ;   in Loop: Header=BB280_4 Depth=1
	s_wait_xcnt 0x0
	s_or_b32 exec_lo, exec_lo, s3
	s_add_nc_u64 s[22:23], s[22:23], s[14:15]
	v_add_nc_u64_e32 v[8:9], s[16:17], v[8:9]
	v_cmp_lt_i64_e32 vcc_lo, s[22:23], v[2:3]
	v_add_nc_u64_e32 v[14:15], s[16:17], v[14:15]
	s_cbranch_vccz .LBB280_20
.LBB280_4:                              ; =>This Inner Loop Header: Depth=1
	v_add_nc_u64_e32 v[16:17], s[22:23], v[0:1]
	s_wait_loadcnt 0x0
	v_mov_b32_e32 v23, 0
	s_delay_alu instid0(VALU_DEP_2)
	v_cmp_lt_u64_e32 vcc_lo, v[16:17], v[4:5]
	s_and_saveexec_b32 s2, vcc_lo
	s_cbranch_execz .LBB280_6
; %bb.5:                                ;   in Loop: Header=BB280_4 Depth=1
	global_load_b32 v23, v[8:9], off
.LBB280_6:                              ;   in Loop: Header=BB280_4 Depth=1
	s_wait_xcnt 0x0
	s_or_b32 exec_lo, exec_lo, s2
	v_add_nc_u64_e32 v[16:17], s[22:23], v[6:7]
	v_dual_mov_b32 v20, 0 :: v_dual_mov_b32 v22, 0
	s_delay_alu instid0(VALU_DEP_2)
	v_cmp_lt_u64_e64 s4, v[16:17], v[4:5]
	s_and_saveexec_b32 s2, s4
	s_cbranch_execz .LBB280_8
; %bb.7:                                ;   in Loop: Header=BB280_4 Depth=1
	global_load_b32 v22, v[14:15], off
.LBB280_8:                              ;   in Loop: Header=BB280_4 Depth=1
	s_wait_xcnt 0x0
	s_or_b32 exec_lo, exec_lo, s2
	v_add_nc_u64_e32 v[16:17], s[22:23], v[12:13]
	v_add_nc_u64_e32 v[18:19], s[20:21], v[8:9]
	s_delay_alu instid0(VALU_DEP_2)
	v_cmp_lt_u64_e64 s3, v[16:17], v[4:5]
	s_and_saveexec_b32 s2, s3
	s_cbranch_execz .LBB280_10
; %bb.9:                                ;   in Loop: Header=BB280_4 Depth=1
	global_load_b32 v20, v[18:19], off
.LBB280_10:                             ;   in Loop: Header=BB280_4 Depth=1
	s_wait_xcnt 0x0
	s_or_b32 exec_lo, exec_lo, s2
	v_add_nc_u64_e32 v[16:17], s[22:23], v[10:11]
	v_mov_b32_e32 v21, 0
	s_delay_alu instid0(VALU_DEP_2)
	v_cmp_lt_u64_e64 s2, v[16:17], v[4:5]
	v_add_nc_u64_e32 v[16:17], s[18:19], v[8:9]
	s_and_saveexec_b32 s5, s2
	s_cbranch_execnz .LBB280_15
; %bb.11:                               ;   in Loop: Header=BB280_4 Depth=1
	s_or_b32 exec_lo, exec_lo, s5
	s_and_saveexec_b32 s5, vcc_lo
	s_cbranch_execnz .LBB280_16
.LBB280_12:                             ;   in Loop: Header=BB280_4 Depth=1
	s_or_b32 exec_lo, exec_lo, s5
	s_and_saveexec_b32 s5, s4
	s_cbranch_execnz .LBB280_17
.LBB280_13:                             ;   in Loop: Header=BB280_4 Depth=1
	s_or_b32 exec_lo, exec_lo, s5
	s_and_saveexec_b32 s4, s3
	s_cbranch_execnz .LBB280_18
.LBB280_14:                             ;   in Loop: Header=BB280_4 Depth=1
	s_or_b32 exec_lo, exec_lo, s4
	s_and_saveexec_b32 s3, s2
	s_cbranch_execz .LBB280_3
	s_branch .LBB280_19
.LBB280_15:                             ;   in Loop: Header=BB280_4 Depth=1
	global_load_b32 v21, v[16:17], off
	s_wait_xcnt 0x0
	s_or_b32 exec_lo, exec_lo, s5
	s_and_saveexec_b32 s5, vcc_lo
	s_cbranch_execz .LBB280_12
.LBB280_16:                             ;   in Loop: Header=BB280_4 Depth=1
	s_wait_loadcnt 0x0
	v_div_scale_f32 v24, null, v23, v23, s8
	s_delay_alu instid0(VALU_DEP_1) | instskip(SKIP_1) | instid1(TRANS32_DEP_1)
	v_rcp_f32_e32 v25, v24
	v_nop
	v_fma_f32 v26, -v24, v25, 1.0
	s_delay_alu instid0(VALU_DEP_1) | instskip(SKIP_1) | instid1(VALU_DEP_1)
	v_fmac_f32_e32 v25, v26, v25
	v_div_scale_f32 v26, vcc_lo, s8, v23, s8
	v_mul_f32_e32 v27, v26, v25
	s_delay_alu instid0(VALU_DEP_1) | instskip(NEXT) | instid1(VALU_DEP_1)
	v_fma_f32 v28, -v24, v27, v26
	v_fmac_f32_e32 v27, v28, v25
	s_delay_alu instid0(VALU_DEP_1) | instskip(NEXT) | instid1(VALU_DEP_1)
	v_fma_f32 v24, -v24, v27, v26
	v_div_fmas_f32 v24, v24, v25, v27
	s_delay_alu instid0(VALU_DEP_1)
	v_div_fixup_f32 v23, v24, v23, s8
	global_store_b32 v[8:9], v23, off
	s_wait_xcnt 0x0
	s_or_b32 exec_lo, exec_lo, s5
	s_and_saveexec_b32 s5, s4
	s_cbranch_execz .LBB280_13
.LBB280_17:                             ;   in Loop: Header=BB280_4 Depth=1
	s_wait_loadcnt 0x0
	v_div_scale_f32 v23, null, v22, v22, s8
	s_delay_alu instid0(VALU_DEP_1) | instskip(SKIP_1) | instid1(TRANS32_DEP_1)
	v_rcp_f32_e32 v24, v23
	v_nop
	v_fma_f32 v25, -v23, v24, 1.0
	s_delay_alu instid0(VALU_DEP_1) | instskip(SKIP_1) | instid1(VALU_DEP_1)
	v_fmac_f32_e32 v24, v25, v24
	v_div_scale_f32 v25, vcc_lo, s8, v22, s8
	v_mul_f32_e32 v26, v25, v24
	s_delay_alu instid0(VALU_DEP_1) | instskip(NEXT) | instid1(VALU_DEP_1)
	v_fma_f32 v27, -v23, v26, v25
	v_fmac_f32_e32 v26, v27, v24
	s_delay_alu instid0(VALU_DEP_1) | instskip(NEXT) | instid1(VALU_DEP_1)
	v_fma_f32 v23, -v23, v26, v25
	v_div_fmas_f32 v23, v23, v24, v26
	s_delay_alu instid0(VALU_DEP_1)
	v_div_fixup_f32 v22, v23, v22, s8
	global_store_b32 v[14:15], v22, off
	s_wait_xcnt 0x0
	s_or_b32 exec_lo, exec_lo, s5
	s_and_saveexec_b32 s4, s3
	s_cbranch_execz .LBB280_14
.LBB280_18:                             ;   in Loop: Header=BB280_4 Depth=1
	s_wait_loadcnt 0x0
	v_div_scale_f32 v22, null, v20, v20, s8
	s_delay_alu instid0(VALU_DEP_1) | instskip(SKIP_1) | instid1(TRANS32_DEP_1)
	v_rcp_f32_e32 v23, v22
	v_nop
	v_fma_f32 v24, -v22, v23, 1.0
	s_delay_alu instid0(VALU_DEP_1) | instskip(SKIP_1) | instid1(VALU_DEP_1)
	v_fmac_f32_e32 v23, v24, v23
	v_div_scale_f32 v24, vcc_lo, s8, v20, s8
	v_mul_f32_e32 v25, v24, v23
	s_delay_alu instid0(VALU_DEP_1) | instskip(NEXT) | instid1(VALU_DEP_1)
	v_fma_f32 v26, -v22, v25, v24
	v_fmac_f32_e32 v25, v26, v23
	s_delay_alu instid0(VALU_DEP_1) | instskip(NEXT) | instid1(VALU_DEP_1)
	v_fma_f32 v22, -v22, v25, v24
	v_div_fmas_f32 v22, v22, v23, v25
	s_delay_alu instid0(VALU_DEP_1)
	v_div_fixup_f32 v20, v22, v20, s8
	global_store_b32 v[18:19], v20, off
	s_wait_xcnt 0x0
	s_or_b32 exec_lo, exec_lo, s4
	s_and_saveexec_b32 s3, s2
	s_cbranch_execz .LBB280_3
.LBB280_19:                             ;   in Loop: Header=BB280_4 Depth=1
	s_wait_loadcnt 0x0
	v_div_scale_f32 v18, null, v21, v21, s8
	s_delay_alu instid0(VALU_DEP_1) | instskip(SKIP_1) | instid1(TRANS32_DEP_1)
	v_rcp_f32_e32 v19, v18
	v_nop
	v_fma_f32 v20, -v18, v19, 1.0
	s_delay_alu instid0(VALU_DEP_1) | instskip(SKIP_1) | instid1(VALU_DEP_1)
	v_fmac_f32_e32 v19, v20, v19
	v_div_scale_f32 v20, vcc_lo, s8, v21, s8
	v_mul_f32_e32 v22, v20, v19
	s_delay_alu instid0(VALU_DEP_1) | instskip(NEXT) | instid1(VALU_DEP_1)
	v_fma_f32 v23, -v18, v22, v20
	v_fmac_f32_e32 v22, v23, v19
	s_delay_alu instid0(VALU_DEP_1) | instskip(NEXT) | instid1(VALU_DEP_1)
	v_fma_f32 v18, -v18, v22, v20
	v_div_fmas_f32 v18, v18, v19, v22
	s_delay_alu instid0(VALU_DEP_1)
	v_div_fixup_f32 v18, v18, v21, s8
	global_store_b32 v[16:17], v18, off
	s_branch .LBB280_3
.LBB280_20:
	s_cbranch_execz .LBB280_22
	s_branch .LBB280_32
.LBB280_21:
.LBB280_22:
	v_min_i64 v[2:3], 0x10000, s[6:7]
	v_dual_mov_b32 v5, 0 :: v_dual_lshlrev_b32 v4, 2, v0
	s_mov_b32 s2, exec_lo
	s_delay_alu instid0(VALU_DEP_1)
	v_cmpx_lt_i64_e64 v[4:5], v[2:3]
	s_cbranch_execz .LBB280_32
; %bb.23:
	v_dual_mov_b32 v7, v5 :: v_dual_add_nc_u32 v6, 4, v4
	s_mov_b32 s7, 0
	s_load_b32 s0, s[0:1], 0xd3c
	v_dual_mov_b32 v1, v5 :: v_dual_mov_b32 v9, s7
	s_delay_alu instid0(VALU_DEP_2) | instskip(SKIP_2) | instid1(SALU_CYCLE_1)
	v_max_i64 v[6:7], v[2:3], v[6:7]
	s_wait_kmcnt 0x0
	s_and_b32 s14, s0, 0xffff
	s_cmp_lg_u32 s14, 1
	s_cselect_b32 s0, -1, 0
	s_delay_alu instid0(VALU_DEP_1) | instskip(NEXT) | instid1(VALU_DEP_1)
	v_add_nc_u64_e32 v[6:7], -4, v[6:7]
	v_cmp_ne_u64_e32 vcc_lo, v[6:7], v[4:5]
	v_cndmask_b32_e64 v8, 0, 1, vcc_lo
	s_delay_alu instid0(VALU_DEP_1) | instskip(NEXT) | instid1(VALU_DEP_1)
	v_or_b32_e32 v4, v4, v8
	v_sub_nc_u64_e32 v[6:7], v[6:7], v[4:5]
	s_delay_alu instid0(VALU_DEP_1) | instskip(NEXT) | instid1(VALU_DEP_1)
	v_lshrrev_b64 v[6:7], 2, v[6:7]
	v_add_nc_u64_e32 v[6:7], v[6:7], v[8:9]
	s_delay_alu instid0(VALU_DEP_1) | instskip(SKIP_1) | instid1(SALU_CYCLE_1)
	v_cmp_eq_u64_e32 vcc_lo, 0, v[6:7]
	s_or_b32 s0, vcc_lo, s0
	s_and_saveexec_b32 s1, s0
	s_delay_alu instid0(SALU_CYCLE_1)
	s_xor_b32 s0, exec_lo, s1
	s_cbranch_execnz .LBB280_26
; %bb.24:
	s_or_saveexec_b32 s9, s0
	s_delay_alu instid0(SALU_CYCLE_1)
	v_mov_b64_e32 v[4:5], s[8:9]
	s_xor_b32 exec_lo, exec_lo, s9
	s_cbranch_execnz .LBB280_27
.LBB280_25:
	s_or_b32 exec_lo, exec_lo, s9
	s_delay_alu instid0(SALU_CYCLE_1)
	s_and_b32 exec_lo, exec_lo, s7
	s_cbranch_execnz .LBB280_30
	s_branch .LBB280_32
.LBB280_26:
	s_mov_b32 s7, exec_lo
                                        ; implicit-def: $vgpr6_vgpr7
	s_or_saveexec_b32 s9, s0
	s_delay_alu instid0(SALU_CYCLE_1)
	v_mov_b64_e32 v[4:5], s[8:9]
	s_xor_b32 exec_lo, exec_lo, s9
	s_cbranch_execz .LBB280_25
.LBB280_27:
	v_dual_mov_b32 v9, 0 :: v_dual_lshlrev_b32 v8, 4, v0
	v_add_nc_u64_e32 v[4:5], 1, v[6:7]
	s_add_nc_u64 s[0:1], s[10:11], s[12:13]
	s_mov_b32 s16, s8
	s_mov_b32 s15, 0
	v_add_nc_u64_e32 v[8:9], s[0:1], v[8:9]
	s_delay_alu instid0(VALU_DEP_2) | instskip(NEXT) | instid1(VALU_DEP_2)
	v_dual_mov_b32 v7, v5 :: v_dual_bitop2_b32 v6, -2, v4 bitop3:0x40
	v_add_nc_u64_e32 v[8:9], 28, v[8:9]
	s_delay_alu instid0(VALU_DEP_2)
	v_mov_b64_e32 v[10:11], v[6:7]
.LBB280_28:                             ; =>This Inner Loop Header: Depth=1
	s_clause 0x1
	global_load_b128 v[12:15], v[8:9], off offset:-12
	global_load_b128 v[16:19], v[8:9], off offset:-28
	v_add_nc_u64_e32 v[10:11], -2, v[10:11]
	s_wait_loadcnt 0x1
	v_div_scale_f32 v20, null, v12, v12, s16
	s_wait_loadcnt 0x0
	v_div_scale_f32 v22, null, v16, v16, s8
	v_div_scale_f32 v24, null, v13, v13, s16
	s_delay_alu instid0(VALU_DEP_3) | instskip(SKIP_1) | instid1(VALU_DEP_3)
	v_rcp_f32_e32 v36, v20
	v_div_scale_f32 v26, null, v17, v17, s8
	v_rcp_f32_e32 v37, v22
	v_div_scale_f32 v28, null, v14, v14, s16
	;; [unrolled: 2-line block ×4, first 2 shown]
	v_fma_f32 v44, -v20, v36, 1.0
	v_rcp_f32_e32 v40, v28
	v_div_scale_f32 v34, null, v19, v19, s8
	v_fma_f32 v45, -v22, v37, 1.0
	v_rcp_f32_e32 v41, v30
	v_fma_f32 v46, -v24, v38, 1.0
	v_div_scale_f32 v21, vcc_lo, s16, v12, s16
	v_rcp_f32_e32 v42, v32
	v_dual_fmac_f32 v36, v44, v36 :: v_dual_fmac_f32 v37, v45, v37
	v_fma_f32 v47, -v26, v39, 1.0
	v_div_scale_f32 v23, s0, s8, v16, s8
	v_rcp_f32_e32 v43, v34
	v_fma_f32 v48, -v28, v40, 1.0
	v_div_scale_f32 v25, s1, s16, v13, s16
	v_dual_fmac_f32 v38, v46, v38 :: v_dual_fmac_f32 v39, v47, v39
	v_fma_f32 v49, -v30, v41, 1.0
	v_dual_mul_f32 v44, v21, v36 :: v_dual_mul_f32 v45, v23, v37
	v_div_scale_f32 v27, s2, s8, v17, s8
	v_fma_f32 v50, -v32, v42, 1.0
	v_div_scale_f32 v29, s3, s16, v14, s16
	v_dual_fmac_f32 v40, v48, v40 :: v_dual_fmac_f32 v41, v49, v41
	v_fma_f32 v51, -v34, v43, 1.0
	v_dual_mul_f32 v46, v25, v38 :: v_dual_mul_f32 v47, v27, v39
	v_div_scale_f32 v31, s4, s8, v18, s8
	v_dual_fma_f32 v52, -v20, v44, v21 :: v_dual_fma_f32 v53, -v22, v45, v23
	v_div_scale_f32 v33, s5, s16, v15, s16
	v_dual_fmac_f32 v42, v50, v42 :: v_dual_fmac_f32 v43, v51, v43
	s_delay_alu instid0(VALU_DEP_4) | instskip(SKIP_3) | instid1(VALU_DEP_3)
	v_dual_mul_f32 v48, v29, v40 :: v_dual_mul_f32 v49, v31, v41
	v_div_scale_f32 v35, s6, s8, v19, s8
	v_dual_fma_f32 v54, -v24, v46, v25 :: v_dual_fma_f32 v55, -v26, v47, v27
	v_dual_fmac_f32 v44, v52, v36 :: v_dual_fmac_f32 v45, v53, v37
	v_dual_mul_f32 v50, v33, v42 :: v_dual_mul_f32 v51, v35, v43
	v_dual_fma_f32 v56, -v28, v48, v29 :: v_dual_fma_f32 v57, -v30, v49, v31
	s_delay_alu instid0(VALU_DEP_4) | instskip(NEXT) | instid1(VALU_DEP_4)
	v_dual_fmac_f32 v46, v54, v38 :: v_dual_fmac_f32 v47, v55, v39
	v_dual_fma_f32 v20, -v20, v44, v21 :: v_dual_fma_f32 v21, -v22, v45, v23
	s_delay_alu instid0(VALU_DEP_4) | instskip(NEXT) | instid1(VALU_DEP_4)
	v_dual_fma_f32 v58, -v32, v50, v33 :: v_dual_fma_f32 v59, -v34, v51, v35
	v_dual_fmac_f32 v48, v56, v40 :: v_dual_fmac_f32 v49, v57, v41
	s_delay_alu instid0(VALU_DEP_4) | instskip(NEXT) | instid1(VALU_DEP_4)
	v_dual_fma_f32 v22, -v24, v46, v25 :: v_dual_fma_f32 v23, -v26, v47, v27
	v_div_fmas_f32 v20, v20, v36, v44
	s_mov_b32 vcc_lo, s0
	v_dual_fmac_f32 v50, v58, v42 :: v_dual_fmac_f32 v51, v59, v43
	v_div_fmas_f32 v21, v21, v37, v45
	s_mov_b32 vcc_lo, s1
	v_dual_fma_f32 v24, -v28, v48, v29 :: v_dual_fma_f32 v25, -v30, v49, v31
	v_div_fmas_f32 v22, v22, v38, v46
	s_mov_b32 vcc_lo, s2
	v_div_fixup_f32 v12, v20, v12, s16
	v_div_fmas_f32 v20, v23, v39, v47
	s_mov_b32 vcc_lo, s3
	v_dual_fma_f32 v26, -v32, v50, v33 :: v_dual_fma_f32 v27, -v34, v51, v35
	v_div_fixup_f32 v16, v21, v16, s8
	v_div_fmas_f32 v21, v24, v40, v48
	s_mov_b32 vcc_lo, s4
	v_div_fixup_f32 v17, v20, v17, s8
	v_div_fmas_f32 v23, v25, v41, v49
	s_mov_b32 vcc_lo, s5
	;; [unrolled: 3-line block ×3, first 2 shown]
	v_div_fixup_f32 v18, v23, v18, s8
	v_div_fmas_f32 v25, v27, v43, v51
	v_div_fixup_f32 v14, v21, v14, s16
	v_div_fixup_f32 v15, v24, v15, s16
	v_cmp_eq_u64_e32 vcc_lo, 0, v[10:11]
	s_delay_alu instid0(VALU_DEP_4)
	v_div_fixup_f32 v19, v25, v19, s8
	s_clause 0x1
	global_store_b128 v[8:9], v[16:19], off offset:-28
	global_store_b128 v[8:9], v[12:15], off offset:-12
	s_wait_xcnt 0x0
	v_add_nc_u64_e32 v[8:9], 32, v[8:9]
	s_or_b32 s15, vcc_lo, s15
	s_delay_alu instid0(SALU_CYCLE_1)
	s_and_not1_b32 exec_lo, exec_lo, s15
	s_cbranch_execnz .LBB280_28
; %bb.29:
	s_or_b32 exec_lo, exec_lo, s15
	v_cmp_ne_u64_e32 vcc_lo, v[4:5], v[6:7]
	v_add_nc_u64_e32 v[0:1], v[6:7], v[0:1]
	v_mov_b64_e32 v[4:5], s[8:9]
	s_and_not1_b32 s0, s7, exec_lo
	s_and_b32 s1, vcc_lo, exec_lo
	s_delay_alu instid0(SALU_CYCLE_1) | instskip(SKIP_1) | instid1(SALU_CYCLE_1)
	s_or_b32 s7, s0, s1
	s_or_b32 exec_lo, exec_lo, s9
	s_and_b32 exec_lo, exec_lo, s7
	s_cbranch_execz .LBB280_32
.LBB280_30:
	s_add_nc_u64 s[0:1], s[10:11], s[12:13]
	v_mov_b32_e32 v5, s8
	v_lshl_add_u64 v[6:7], v[0:1], 4, s[0:1]
	s_mov_b32 s15, 0
	s_lshl_b32 s4, s14, 4
	s_mov_b32 s5, s15
	s_mov_b32 s3, s15
	v_add_nc_u64_e32 v[6:7], 8, v[6:7]
.LBB280_31:                             ; =>This Inner Loop Header: Depth=1
	global_load_b128 v[8:11], v[6:7], off offset:-8
	v_add_nc_u64_e32 v[0:1], s[14:15], v[0:1]
	s_wait_loadcnt 0x0
	v_div_scale_f32 v12, null, v9, v9, v5
	v_div_scale_f32 v13, null, v8, v8, v4
	;; [unrolled: 1-line block ×3, first 2 shown]
	s_delay_alu instid0(VALU_DEP_3) | instskip(SKIP_1) | instid1(VALU_DEP_3)
	v_rcp_f32_e32 v17, v12
	v_div_scale_f32 v15, null, v10, v10, v4
	v_rcp_f32_e32 v18, v13
	s_delay_alu instid0(VALU_DEP_2) | instskip(SKIP_1) | instid1(VALU_DEP_2)
	v_rcp_f32_e32 v19, v14
	v_div_scale_f32 v16, vcc_lo, v5, v9, v5
	v_rcp_f32_e32 v20, v15
	v_fma_f32 v23, -v12, v17, 1.0
	v_div_scale_f32 v21, s0, v4, v8, v4
	s_delay_alu instid0(TRANS32_DEP_3) | instskip(NEXT) | instid1(TRANS32_DEP_2)
	v_fma_f32 v24, -v13, v18, 1.0
	v_fma_f32 v25, -v14, v19, 1.0
	s_delay_alu instid0(VALU_DEP_4) | instskip(NEXT) | instid1(TRANS32_DEP_1)
	v_fmac_f32_e32 v17, v23, v17
	v_fma_f32 v26, -v15, v20, 1.0
	v_div_scale_f32 v22, s1, v5, v11, v5
	s_delay_alu instid0(VALU_DEP_4) | instskip(NEXT) | instid1(VALU_DEP_3)
	v_dual_fmac_f32 v18, v24, v18 :: v_dual_fmac_f32 v19, v25, v19
	v_dual_fmac_f32 v20, v26, v20 :: v_dual_mul_f32 v23, v16, v17
	v_div_scale_f32 v27, s2, v4, v10, v4
	s_delay_alu instid0(VALU_DEP_3) | instskip(NEXT) | instid1(VALU_DEP_2)
	v_dual_mul_f32 v24, v21, v18 :: v_dual_mul_f32 v25, v22, v19
	v_dual_fma_f32 v28, -v12, v23, v16 :: v_dual_mul_f32 v26, v27, v20
	s_delay_alu instid0(VALU_DEP_2) | instskip(NEXT) | instid1(VALU_DEP_2)
	v_dual_fma_f32 v29, -v13, v24, v21 :: v_dual_fma_f32 v30, -v14, v25, v22
	v_fmac_f32_e32 v23, v28, v17
	s_delay_alu instid0(VALU_DEP_3) | instskip(NEXT) | instid1(VALU_DEP_3)
	v_fma_f32 v31, -v15, v26, v27
	v_dual_fmac_f32 v24, v29, v18 :: v_dual_fmac_f32 v25, v30, v19
	s_delay_alu instid0(VALU_DEP_2) | instskip(NEXT) | instid1(VALU_DEP_2)
	v_dual_fma_f32 v12, -v12, v23, v16 :: v_dual_fmac_f32 v26, v31, v20
	v_dual_fma_f32 v13, -v13, v24, v21 :: v_dual_fma_f32 v14, -v14, v25, v22
	s_delay_alu instid0(VALU_DEP_2) | instskip(SKIP_1) | instid1(VALU_DEP_3)
	v_div_fmas_f32 v16, v12, v17, v23
	s_mov_b32 vcc_lo, s0
	v_fma_f32 v15, -v15, v26, v27
	s_delay_alu instid0(VALU_DEP_3)
	v_div_fmas_f32 v17, v13, v18, v24
	s_mov_b32 vcc_lo, s1
	v_lshlrev_b64_e32 v[12:13], 2, v[0:1]
	v_div_fmas_f32 v14, v14, v19, v25
	s_mov_b32 vcc_lo, s2
	v_div_fixup_f32 v9, v16, v9, v5
	v_div_fmas_f32 v15, v15, v20, v26
	v_div_fixup_f32 v8, v17, v8, v4
	v_div_fixup_f32 v11, v14, v11, v5
	v_cmp_ge_i64_e32 vcc_lo, v[12:13], v[2:3]
	s_delay_alu instid0(VALU_DEP_4) | instskip(SKIP_4) | instid1(SALU_CYCLE_1)
	v_div_fixup_f32 v10, v15, v10, v4
	global_store_b128 v[6:7], v[8:11], off offset:-8
	s_wait_xcnt 0x0
	v_add_nc_u64_e32 v[6:7], s[4:5], v[6:7]
	s_or_b32 s3, vcc_lo, s3
	s_and_not1_b32 exec_lo, exec_lo, s3
	s_cbranch_execnz .LBB280_31
.LBB280_32:
	s_endpgm
	.section	.rodata,"a",@progbits
	.p2align	6, 0x0
	.amdhsa_kernel _ZN2at6native12_GLOBAL__N_125multi_tensor_apply_kernelINS1_18TensorListMetadataILi1EEENS1_14UnaryOpFunctorIfLi1ELi1ELi0EEEJNS0_10ReciprocalIfEEEEEvT_T0_DpT1_
		.amdhsa_group_segment_fixed_size 0
		.amdhsa_private_segment_fixed_size 0
		.amdhsa_kernarg_size 3632
		.amdhsa_user_sgpr_count 2
		.amdhsa_user_sgpr_dispatch_ptr 0
		.amdhsa_user_sgpr_queue_ptr 0
		.amdhsa_user_sgpr_kernarg_segment_ptr 1
		.amdhsa_user_sgpr_dispatch_id 0
		.amdhsa_user_sgpr_kernarg_preload_length 0
		.amdhsa_user_sgpr_kernarg_preload_offset 0
		.amdhsa_user_sgpr_private_segment_size 0
		.amdhsa_wavefront_size32 1
		.amdhsa_uses_dynamic_stack 0
		.amdhsa_enable_private_segment 0
		.amdhsa_system_sgpr_workgroup_id_x 1
		.amdhsa_system_sgpr_workgroup_id_y 0
		.amdhsa_system_sgpr_workgroup_id_z 0
		.amdhsa_system_sgpr_workgroup_info 0
		.amdhsa_system_vgpr_workitem_id 0
		.amdhsa_next_free_vgpr 60
		.amdhsa_next_free_sgpr 24
		.amdhsa_named_barrier_count 0
		.amdhsa_reserve_vcc 1
		.amdhsa_float_round_mode_32 0
		.amdhsa_float_round_mode_16_64 0
		.amdhsa_float_denorm_mode_32 3
		.amdhsa_float_denorm_mode_16_64 3
		.amdhsa_fp16_overflow 0
		.amdhsa_memory_ordered 1
		.amdhsa_forward_progress 1
		.amdhsa_inst_pref_size 21
		.amdhsa_round_robin_scheduling 0
		.amdhsa_exception_fp_ieee_invalid_op 0
		.amdhsa_exception_fp_denorm_src 0
		.amdhsa_exception_fp_ieee_div_zero 0
		.amdhsa_exception_fp_ieee_overflow 0
		.amdhsa_exception_fp_ieee_underflow 0
		.amdhsa_exception_fp_ieee_inexact 0
		.amdhsa_exception_int_div_zero 0
	.end_amdhsa_kernel
	.section	.text._ZN2at6native12_GLOBAL__N_125multi_tensor_apply_kernelINS1_18TensorListMetadataILi1EEENS1_14UnaryOpFunctorIfLi1ELi1ELi0EEEJNS0_10ReciprocalIfEEEEEvT_T0_DpT1_,"axG",@progbits,_ZN2at6native12_GLOBAL__N_125multi_tensor_apply_kernelINS1_18TensorListMetadataILi1EEENS1_14UnaryOpFunctorIfLi1ELi1ELi0EEEJNS0_10ReciprocalIfEEEEEvT_T0_DpT1_,comdat
.Lfunc_end280:
	.size	_ZN2at6native12_GLOBAL__N_125multi_tensor_apply_kernelINS1_18TensorListMetadataILi1EEENS1_14UnaryOpFunctorIfLi1ELi1ELi0EEEJNS0_10ReciprocalIfEEEEEvT_T0_DpT1_, .Lfunc_end280-_ZN2at6native12_GLOBAL__N_125multi_tensor_apply_kernelINS1_18TensorListMetadataILi1EEENS1_14UnaryOpFunctorIfLi1ELi1ELi0EEEJNS0_10ReciprocalIfEEEEEvT_T0_DpT1_
                                        ; -- End function
	.set _ZN2at6native12_GLOBAL__N_125multi_tensor_apply_kernelINS1_18TensorListMetadataILi1EEENS1_14UnaryOpFunctorIfLi1ELi1ELi0EEEJNS0_10ReciprocalIfEEEEEvT_T0_DpT1_.num_vgpr, 60
	.set _ZN2at6native12_GLOBAL__N_125multi_tensor_apply_kernelINS1_18TensorListMetadataILi1EEENS1_14UnaryOpFunctorIfLi1ELi1ELi0EEEJNS0_10ReciprocalIfEEEEEvT_T0_DpT1_.num_agpr, 0
	.set _ZN2at6native12_GLOBAL__N_125multi_tensor_apply_kernelINS1_18TensorListMetadataILi1EEENS1_14UnaryOpFunctorIfLi1ELi1ELi0EEEJNS0_10ReciprocalIfEEEEEvT_T0_DpT1_.numbered_sgpr, 24
	.set _ZN2at6native12_GLOBAL__N_125multi_tensor_apply_kernelINS1_18TensorListMetadataILi1EEENS1_14UnaryOpFunctorIfLi1ELi1ELi0EEEJNS0_10ReciprocalIfEEEEEvT_T0_DpT1_.num_named_barrier, 0
	.set _ZN2at6native12_GLOBAL__N_125multi_tensor_apply_kernelINS1_18TensorListMetadataILi1EEENS1_14UnaryOpFunctorIfLi1ELi1ELi0EEEJNS0_10ReciprocalIfEEEEEvT_T0_DpT1_.private_seg_size, 0
	.set _ZN2at6native12_GLOBAL__N_125multi_tensor_apply_kernelINS1_18TensorListMetadataILi1EEENS1_14UnaryOpFunctorIfLi1ELi1ELi0EEEJNS0_10ReciprocalIfEEEEEvT_T0_DpT1_.uses_vcc, 1
	.set _ZN2at6native12_GLOBAL__N_125multi_tensor_apply_kernelINS1_18TensorListMetadataILi1EEENS1_14UnaryOpFunctorIfLi1ELi1ELi0EEEJNS0_10ReciprocalIfEEEEEvT_T0_DpT1_.uses_flat_scratch, 0
	.set _ZN2at6native12_GLOBAL__N_125multi_tensor_apply_kernelINS1_18TensorListMetadataILi1EEENS1_14UnaryOpFunctorIfLi1ELi1ELi0EEEJNS0_10ReciprocalIfEEEEEvT_T0_DpT1_.has_dyn_sized_stack, 0
	.set _ZN2at6native12_GLOBAL__N_125multi_tensor_apply_kernelINS1_18TensorListMetadataILi1EEENS1_14UnaryOpFunctorIfLi1ELi1ELi0EEEJNS0_10ReciprocalIfEEEEEvT_T0_DpT1_.has_recursion, 0
	.set _ZN2at6native12_GLOBAL__N_125multi_tensor_apply_kernelINS1_18TensorListMetadataILi1EEENS1_14UnaryOpFunctorIfLi1ELi1ELi0EEEJNS0_10ReciprocalIfEEEEEvT_T0_DpT1_.has_indirect_call, 0
	.section	.AMDGPU.csdata,"",@progbits
; Kernel info:
; codeLenInByte = 2588
; TotalNumSgprs: 26
; NumVgprs: 60
; ScratchSize: 0
; MemoryBound: 0
; FloatMode: 240
; IeeeMode: 1
; LDSByteSize: 0 bytes/workgroup (compile time only)
; SGPRBlocks: 0
; VGPRBlocks: 3
; NumSGPRsForWavesPerEU: 26
; NumVGPRsForWavesPerEU: 60
; NamedBarCnt: 0
; Occupancy: 16
; WaveLimiterHint : 0
; COMPUTE_PGM_RSRC2:SCRATCH_EN: 0
; COMPUTE_PGM_RSRC2:USER_SGPR: 2
; COMPUTE_PGM_RSRC2:TRAP_HANDLER: 0
; COMPUTE_PGM_RSRC2:TGID_X_EN: 1
; COMPUTE_PGM_RSRC2:TGID_Y_EN: 0
; COMPUTE_PGM_RSRC2:TGID_Z_EN: 0
; COMPUTE_PGM_RSRC2:TIDIG_COMP_CNT: 0
	.section	.text._ZN2at6native12_GLOBAL__N_125multi_tensor_apply_kernelINS1_18TensorListMetadataILi1EEENS1_14UnaryOpFunctorIN3c107complexIdEELi1ELi1ELi0EEEJNS0_10ReciprocalIS8_EEEEEvT_T0_DpT1_,"axG",@progbits,_ZN2at6native12_GLOBAL__N_125multi_tensor_apply_kernelINS1_18TensorListMetadataILi1EEENS1_14UnaryOpFunctorIN3c107complexIdEELi1ELi1ELi0EEEJNS0_10ReciprocalIS8_EEEEEvT_T0_DpT1_,comdat
	.globl	_ZN2at6native12_GLOBAL__N_125multi_tensor_apply_kernelINS1_18TensorListMetadataILi1EEENS1_14UnaryOpFunctorIN3c107complexIdEELi1ELi1ELi0EEEJNS0_10ReciprocalIS8_EEEEEvT_T0_DpT1_ ; -- Begin function _ZN2at6native12_GLOBAL__N_125multi_tensor_apply_kernelINS1_18TensorListMetadataILi1EEENS1_14UnaryOpFunctorIN3c107complexIdEELi1ELi1ELi0EEEJNS0_10ReciprocalIS8_EEEEEvT_T0_DpT1_
	.p2align	8
	.type	_ZN2at6native12_GLOBAL__N_125multi_tensor_apply_kernelINS1_18TensorListMetadataILi1EEENS1_14UnaryOpFunctorIN3c107complexIdEELi1ELi1ELi0EEEJNS0_10ReciprocalIS8_EEEEEvT_T0_DpT1_,@function
_ZN2at6native12_GLOBAL__N_125multi_tensor_apply_kernelINS1_18TensorListMetadataILi1EEENS1_14UnaryOpFunctorIN3c107complexIdEELi1ELi1ELi0EEEJNS0_10ReciprocalIS8_EEEEEvT_T0_DpT1_: ; @_ZN2at6native12_GLOBAL__N_125multi_tensor_apply_kernelINS1_18TensorListMetadataILi1EEENS1_14UnaryOpFunctorIN3c107complexIdEELi1ELi1ELi0EEEJNS0_10ReciprocalIS8_EEEEEvT_T0_DpT1_
; %bb.0:
	s_bfe_u32 s2, ttmp6, 0x4000c
	s_and_b32 s3, ttmp6, 15
	s_add_co_i32 s2, s2, 1
	s_getreg_b32 s4, hwreg(HW_REG_IB_STS2, 6, 4)
	s_mul_i32 s2, ttmp9, s2
	s_delay_alu instid0(SALU_CYCLE_1) | instskip(SKIP_3) | instid1(SALU_CYCLE_1)
	s_add_co_i32 s2, s3, s2
	s_cmp_eq_u32 s4, 0
	s_mov_b32 s3, 0
	s_cselect_b32 s2, ttmp9, s2
	s_add_nc_u64 s[4:5], s[0:1], s[2:3]
	s_mul_u64 s[6:7], s[2:3], 3
	s_delay_alu instid0(SALU_CYCLE_1)
	s_add_nc_u64 s[4:5], s[4:5], s[6:7]
	s_clause 0x1
	s_load_b32 s6, s[4:5], 0x820
	s_load_u8 s7, s[0:1], s2 offset:0x6e0
	s_wait_kmcnt 0x0
	s_clause 0x2
	s_load_b64 s[12:13], s[0:1], s7 offset:0x0 scale_offset
	s_load_b64 s[4:5], s[0:1], s7 offset:0x370 scale_offset
	s_load_b128 s[8:11], s[0:1], 0xd30
	s_wait_xcnt 0x0
	s_ashr_i32 s7, s6, 31
	s_delay_alu instid0(SALU_CYCLE_1)
	s_lshl_b64 s[14:15], s[6:7], 20
	s_lshl_b64 s[6:7], s[6:7], 16
	s_wait_kmcnt 0x0
	s_add_nc_u64 s[18:19], s[12:13], s[14:15]
	s_and_b32 s2, s4, 3
	s_and_b64 s[16:17], s[18:19], 63
	s_delay_alu instid0(SALU_CYCLE_1)
	s_or_b64 s[2:3], s[16:17], s[2:3]
	s_sub_nc_u64 s[16:17], s[4:5], s[6:7]
	s_cmp_eq_u64 s[2:3], 0
	s_cbranch_scc1 .LBB281_53
; %bb.1:
	v_cmp_lt_i64_e64 s2, s[16:17], 1
	s_and_b32 vcc_lo, exec_lo, s2
	s_cbranch_vccnz .LBB281_52
; %bb.2:
	s_load_b32 s2, s[0:1], 0xd4c
	v_min_i64 v[22:23], 0x10000, s[16:17]
	v_min_u64 v[24:25], 0x10000, s[16:17]
	v_dual_mov_b32 v1, 0 :: v_dual_lshlrev_b32 v26, 4, v0
	s_mov_b32 s3, 0
	s_mov_b64 s[24:25], 0
	s_mov_b32 s5, s3
	s_delay_alu instid0(VALU_DEP_1)
	v_dual_mov_b32 v27, v1 :: v_dual_mov_b32 v35, v1
	s_mov_b32 s7, s3
	s_mov_b32 s21, s3
	s_mov_b32 s23, s3
	s_wait_kmcnt 0x0
	s_and_b32 s2, s2, 0xffff
	s_delay_alu instid0(SALU_CYCLE_1)
	v_mad_nc_u64_u32 v[28:29], s2, 48, v[26:27]
	s_lshl_b32 s4, s2, 1
	s_mul_i32 s6, s2, 3
	s_lshl_b32 s20, s2, 2
	s_lshl_b32 s22, s2, 6
	v_add_nc_u64_e32 v[30:31], s[2:3], v[0:1]
	s_lshl_b32 s2, s2, 5
	v_add_nc_u64_e32 v[36:37], s[6:7], v[0:1]
	v_add_nc_u64_e32 v[32:33], s[2:3], v[26:27]
	;; [unrolled: 1-line block ×3, first 2 shown]
	s_delay_alu instid0(VALU_DEP_4) | instskip(NEXT) | instid1(VALU_DEP_3)
	v_dual_lshlrev_b32 v34, 4, v30 :: v_dual_bitop2_b32 v28, 8, v28 bitop3:0x54
	v_or_b32_e32 v32, 8, v32
	s_branch .LBB281_4
.LBB281_3:                              ;   in Loop: Header=BB281_4 Depth=1
	s_wait_xcnt 0x0
	s_or_b32 exec_lo, exec_lo, s2
	s_add_nc_u64 s[24:25], s[24:25], s[20:21]
	s_add_nc_u64 s[18:19], s[18:19], s[22:23]
	v_cmp_ge_i64_e32 vcc_lo, s[24:25], v[22:23]
	s_cbranch_vccnz .LBB281_52
.LBB281_4:                              ; =>This Inner Loop Header: Depth=1
	v_add_nc_u64_e32 v[2:3], s[24:25], v[0:1]
	v_mov_b64_e32 v[20:21], 0
	v_add_nc_u64_e32 v[40:41], s[18:19], v[26:27]
	v_mov_b64_e32 v[16:17], 0
	v_mov_b64_e32 v[14:15], 0
	v_cmp_lt_u64_e64 s2, v[2:3], v[24:25]
	s_and_saveexec_b32 s3, s2
	s_cbranch_execz .LBB281_6
; %bb.5:                                ;   in Loop: Header=BB281_4 Depth=1
	global_load_b128 v[14:17], v[40:41], off
.LBB281_6:                              ;   in Loop: Header=BB281_4 Depth=1
	s_wait_xcnt 0x0
	s_or_b32 exec_lo, exec_lo, s3
	v_add_nc_u64_e32 v[2:3], s[24:25], v[30:31]
	v_add_nc_u64_e32 v[42:43], s[18:19], v[34:35]
	v_mov_b64_e32 v[18:19], 0
	s_delay_alu instid0(VALU_DEP_3)
	v_cmp_lt_u64_e64 s3, v[2:3], v[24:25]
	s_and_saveexec_b32 s4, s3
	s_cbranch_execz .LBB281_8
; %bb.7:                                ;   in Loop: Header=BB281_4 Depth=1
	global_load_b128 v[18:21], v[42:43], off
.LBB281_8:                              ;   in Loop: Header=BB281_4 Depth=1
	s_wait_xcnt 0x0
	s_or_b32 exec_lo, exec_lo, s4
	v_add_nc_u64_e32 v[2:3], s[24:25], v[38:39]
	v_mov_b64_e32 v[4:5], 0
	v_add_nc_u64_e32 v[44:45], s[18:19], v[32:33]
	v_mov_b64_e32 v[12:13], 0
	v_mov_b64_e32 v[10:11], 0
	v_cmp_lt_u64_e64 s4, v[2:3], v[24:25]
	s_and_saveexec_b32 s5, s4
	s_cbranch_execz .LBB281_10
; %bb.9:                                ;   in Loop: Header=BB281_4 Depth=1
	global_load_b128 v[10:13], v[44:45], off offset:-8
.LBB281_10:                             ;   in Loop: Header=BB281_4 Depth=1
	s_wait_xcnt 0x0
	s_or_b32 exec_lo, exec_lo, s5
	v_add_nc_u64_e32 v[2:3], s[24:25], v[36:37]
	v_add_nc_u64_e32 v[46:47], s[18:19], v[28:29]
	s_delay_alu instid0(VALU_DEP_2)
	v_cmp_lt_u64_e64 s5, v[2:3], v[24:25]
	v_mov_b64_e32 v[2:3], 0
	s_and_saveexec_b32 s6, s5
	s_cbranch_execz .LBB281_12
; %bb.11:                               ;   in Loop: Header=BB281_4 Depth=1
	global_load_b128 v[2:5], v[46:47], off offset:-8
.LBB281_12:                             ;   in Loop: Header=BB281_4 Depth=1
	s_wait_xcnt 0x0
	s_or_b32 exec_lo, exec_lo, s6
	s_wait_loadcnt 0x0
	v_cmp_gt_f64_e32 vcc_lo, 0, v[14:15]
	v_xor_b32_e32 v6, 0x80000000, v15
	v_mov_b32_e32 v48, v14
	v_xor_b32_e32 v7, 0x80000000, v17
	s_mov_b32 s6, exec_lo
	s_delay_alu instid0(VALU_DEP_3) | instskip(SKIP_1) | instid1(VALU_DEP_3)
	v_dual_mov_b32 v50, v16 :: v_dual_cndmask_b32 v49, v15, v6
	v_cmp_gt_f64_e32 vcc_lo, 0, v[16:17]
	v_cndmask_b32_e32 v51, v17, v7, vcc_lo
                                        ; implicit-def: $vgpr8_vgpr9
	s_delay_alu instid0(VALU_DEP_1)
	v_cmpx_ge_f64_e32 v[48:49], v[50:51]
	s_xor_b32 s7, exec_lo, s6
	s_cbranch_execz .LBB281_18
; %bb.13:                               ;   in Loop: Header=BB281_4 Depth=1
	v_cmp_neq_f64_e32 vcc_lo, 0, v[14:15]
	v_cmp_neq_f64_e64 s6, 0, v[16:17]
                                        ; implicit-def: $vgpr8_vgpr9
	s_or_b32 s6, s6, vcc_lo
	s_delay_alu instid0(SALU_CYCLE_1) | instskip(NEXT) | instid1(SALU_CYCLE_1)
	s_and_saveexec_b32 s26, s6
	s_xor_b32 s6, exec_lo, s26
	s_cbranch_execz .LBB281_15
; %bb.14:                               ;   in Loop: Header=BB281_4 Depth=1
	v_div_scale_f64 v[6:7], null, v[14:15], v[14:15], v[16:17]
	v_div_scale_f64 v[50:51], vcc_lo, v[16:17], v[14:15], v[16:17]
	s_delay_alu instid0(VALU_DEP_2) | instskip(SKIP_1) | instid1(TRANS32_DEP_1)
	v_rcp_f64_e32 v[8:9], v[6:7]
	v_nop
	v_fma_f64 v[48:49], -v[6:7], v[8:9], 1.0
	s_delay_alu instid0(VALU_DEP_1) | instskip(NEXT) | instid1(VALU_DEP_1)
	v_fmac_f64_e32 v[8:9], v[8:9], v[48:49]
	v_fma_f64 v[48:49], -v[6:7], v[8:9], 1.0
	s_delay_alu instid0(VALU_DEP_1) | instskip(NEXT) | instid1(VALU_DEP_1)
	v_fmac_f64_e32 v[8:9], v[8:9], v[48:49]
	v_mul_f64_e32 v[48:49], v[50:51], v[8:9]
	s_delay_alu instid0(VALU_DEP_1) | instskip(NEXT) | instid1(VALU_DEP_1)
	v_fma_f64 v[6:7], -v[6:7], v[48:49], v[50:51]
	v_div_fmas_f64 v[6:7], v[6:7], v[8:9], v[48:49]
	s_delay_alu instid0(VALU_DEP_1) | instskip(NEXT) | instid1(VALU_DEP_1)
	v_div_fixup_f64 v[6:7], v[6:7], v[14:15], v[16:17]
	v_fmac_f64_e32 v[14:15], v[16:17], v[6:7]
	s_delay_alu instid0(VALU_DEP_1) | instskip(SKIP_1) | instid1(VALU_DEP_2)
	v_div_scale_f64 v[8:9], null, v[14:15], v[14:15], 1.0
	v_div_scale_f64 v[50:51], vcc_lo, 1.0, v[14:15], 1.0
	v_rcp_f64_e32 v[16:17], v[8:9]
	v_nop
	s_delay_alu instid0(TRANS32_DEP_1) | instskip(NEXT) | instid1(VALU_DEP_1)
	v_fma_f64 v[48:49], -v[8:9], v[16:17], 1.0
	v_fmac_f64_e32 v[16:17], v[16:17], v[48:49]
	s_delay_alu instid0(VALU_DEP_1) | instskip(NEXT) | instid1(VALU_DEP_1)
	v_fma_f64 v[48:49], -v[8:9], v[16:17], 1.0
	v_fmac_f64_e32 v[16:17], v[16:17], v[48:49]
	s_delay_alu instid0(VALU_DEP_1) | instskip(NEXT) | instid1(VALU_DEP_1)
	v_mul_f64_e32 v[48:49], v[50:51], v[16:17]
	v_fma_f64 v[8:9], -v[8:9], v[48:49], v[50:51]
                                        ; implicit-def: $vgpr50_vgpr51
	s_delay_alu instid0(VALU_DEP_1) | instskip(SKIP_1) | instid1(VALU_DEP_2)
	v_div_fmas_f64 v[8:9], v[8:9], v[16:17], v[48:49]
	v_fma_f64 v[16:17], s[10:11], v[6:7], s[8:9]
                                        ; implicit-def: $vgpr48_vgpr49
	v_div_fixup_f64 v[8:9], v[8:9], v[14:15], 1.0
	v_fma_f64 v[14:15], -s[8:9], v[6:7], s[10:11]
	s_delay_alu instid0(VALU_DEP_2) | instskip(NEXT) | instid1(VALU_DEP_2)
	v_mul_f64_e32 v[6:7], v[16:17], v[8:9]
	v_mul_f64_e32 v[8:9], v[14:15], v[8:9]
.LBB281_15:                             ;   in Loop: Header=BB281_4 Depth=1
	s_and_not1_saveexec_b32 s26, s6
	s_cbranch_execz .LBB281_17
; %bb.16:                               ;   in Loop: Header=BB281_4 Depth=1
	v_div_scale_f64 v[6:7], null, v[48:49], v[48:49], s[8:9]
	v_div_scale_f64 v[8:9], null, v[50:51], v[50:51], s[10:11]
	v_div_scale_f64 v[56:57], vcc_lo, s[8:9], v[48:49], s[8:9]
	s_delay_alu instid0(VALU_DEP_3) | instskip(NEXT) | instid1(VALU_DEP_2)
	v_rcp_f64_e32 v[14:15], v[6:7]
	v_rcp_f64_e32 v[16:17], v[8:9]
	s_delay_alu instid0(TRANS32_DEP_2) | instskip(NEXT) | instid1(TRANS32_DEP_1)
	v_fma_f64 v[52:53], -v[6:7], v[14:15], 1.0
	v_fma_f64 v[54:55], -v[8:9], v[16:17], 1.0
	s_delay_alu instid0(VALU_DEP_2) | instskip(NEXT) | instid1(VALU_DEP_2)
	v_fmac_f64_e32 v[14:15], v[14:15], v[52:53]
	v_fmac_f64_e32 v[16:17], v[16:17], v[54:55]
	s_delay_alu instid0(VALU_DEP_2) | instskip(NEXT) | instid1(VALU_DEP_2)
	v_fma_f64 v[52:53], -v[6:7], v[14:15], 1.0
	v_fma_f64 v[54:55], -v[8:9], v[16:17], 1.0
	s_delay_alu instid0(VALU_DEP_2) | instskip(SKIP_1) | instid1(VALU_DEP_3)
	v_fmac_f64_e32 v[14:15], v[14:15], v[52:53]
	v_div_scale_f64 v[52:53], s6, s[10:11], v[50:51], s[10:11]
	v_fmac_f64_e32 v[16:17], v[16:17], v[54:55]
	s_delay_alu instid0(VALU_DEP_3) | instskip(NEXT) | instid1(VALU_DEP_2)
	v_mul_f64_e32 v[54:55], v[56:57], v[14:15]
	v_mul_f64_e32 v[58:59], v[52:53], v[16:17]
	s_delay_alu instid0(VALU_DEP_2) | instskip(NEXT) | instid1(VALU_DEP_2)
	v_fma_f64 v[6:7], -v[6:7], v[54:55], v[56:57]
	v_fma_f64 v[8:9], -v[8:9], v[58:59], v[52:53]
	s_delay_alu instid0(VALU_DEP_2) | instskip(SKIP_1) | instid1(VALU_DEP_2)
	v_div_fmas_f64 v[6:7], v[6:7], v[14:15], v[54:55]
	s_mov_b32 vcc_lo, s6
	v_div_fmas_f64 v[8:9], v[8:9], v[16:17], v[58:59]
	s_delay_alu instid0(VALU_DEP_2) | instskip(NEXT) | instid1(VALU_DEP_2)
	v_div_fixup_f64 v[6:7], v[6:7], v[48:49], s[8:9]
	v_div_fixup_f64 v[8:9], v[8:9], v[50:51], s[10:11]
.LBB281_17:                             ;   in Loop: Header=BB281_4 Depth=1
	s_or_b32 exec_lo, exec_lo, s26
                                        ; implicit-def: $vgpr16_vgpr17
.LBB281_18:                             ;   in Loop: Header=BB281_4 Depth=1
	s_and_not1_saveexec_b32 s6, s7
	s_cbranch_execz .LBB281_20
; %bb.19:                               ;   in Loop: Header=BB281_4 Depth=1
	v_div_scale_f64 v[6:7], null, v[16:17], v[16:17], v[14:15]
	v_div_scale_f64 v[50:51], vcc_lo, v[14:15], v[16:17], v[14:15]
	s_delay_alu instid0(VALU_DEP_2) | instskip(SKIP_1) | instid1(TRANS32_DEP_1)
	v_rcp_f64_e32 v[8:9], v[6:7]
	v_nop
	v_fma_f64 v[48:49], -v[6:7], v[8:9], 1.0
	s_delay_alu instid0(VALU_DEP_1) | instskip(NEXT) | instid1(VALU_DEP_1)
	v_fmac_f64_e32 v[8:9], v[8:9], v[48:49]
	v_fma_f64 v[48:49], -v[6:7], v[8:9], 1.0
	s_delay_alu instid0(VALU_DEP_1) | instskip(NEXT) | instid1(VALU_DEP_1)
	v_fmac_f64_e32 v[8:9], v[8:9], v[48:49]
	v_mul_f64_e32 v[48:49], v[50:51], v[8:9]
	s_delay_alu instid0(VALU_DEP_1) | instskip(NEXT) | instid1(VALU_DEP_1)
	v_fma_f64 v[6:7], -v[6:7], v[48:49], v[50:51]
	v_div_fmas_f64 v[6:7], v[6:7], v[8:9], v[48:49]
	s_delay_alu instid0(VALU_DEP_1) | instskip(NEXT) | instid1(VALU_DEP_1)
	v_div_fixup_f64 v[6:7], v[6:7], v[16:17], v[14:15]
	v_fmac_f64_e32 v[16:17], v[14:15], v[6:7]
	s_delay_alu instid0(VALU_DEP_1) | instskip(SKIP_1) | instid1(VALU_DEP_2)
	v_div_scale_f64 v[8:9], null, v[16:17], v[16:17], 1.0
	v_div_scale_f64 v[50:51], vcc_lo, 1.0, v[16:17], 1.0
	v_rcp_f64_e32 v[14:15], v[8:9]
	v_nop
	s_delay_alu instid0(TRANS32_DEP_1) | instskip(NEXT) | instid1(VALU_DEP_1)
	v_fma_f64 v[48:49], -v[8:9], v[14:15], 1.0
	v_fmac_f64_e32 v[14:15], v[14:15], v[48:49]
	s_delay_alu instid0(VALU_DEP_1) | instskip(NEXT) | instid1(VALU_DEP_1)
	v_fma_f64 v[48:49], -v[8:9], v[14:15], 1.0
	v_fmac_f64_e32 v[14:15], v[14:15], v[48:49]
	s_delay_alu instid0(VALU_DEP_1) | instskip(NEXT) | instid1(VALU_DEP_1)
	v_mul_f64_e32 v[48:49], v[50:51], v[14:15]
	v_fma_f64 v[8:9], -v[8:9], v[48:49], v[50:51]
	s_delay_alu instid0(VALU_DEP_1) | instskip(SKIP_1) | instid1(VALU_DEP_2)
	v_div_fmas_f64 v[8:9], v[8:9], v[14:15], v[48:49]
	v_fma_f64 v[14:15], s[8:9], v[6:7], s[10:11]
	v_div_fixup_f64 v[8:9], v[8:9], v[16:17], 1.0
	v_fma_f64 v[16:17], s[10:11], v[6:7], -s[8:9]
	s_delay_alu instid0(VALU_DEP_2) | instskip(NEXT) | instid1(VALU_DEP_2)
	v_mul_f64_e32 v[6:7], v[14:15], v[8:9]
	v_mul_f64_e32 v[8:9], v[16:17], v[8:9]
.LBB281_20:                             ;   in Loop: Header=BB281_4 Depth=1
	s_or_b32 exec_lo, exec_lo, s6
	v_cmp_gt_f64_e32 vcc_lo, 0, v[18:19]
	v_xor_b32_e32 v14, 0x80000000, v19
	v_mov_b32_e32 v48, v18
	v_xor_b32_e32 v15, 0x80000000, v21
	s_mov_b32 s6, exec_lo
	s_delay_alu instid0(VALU_DEP_3) | instskip(SKIP_1) | instid1(VALU_DEP_3)
	v_dual_mov_b32 v50, v20 :: v_dual_cndmask_b32 v49, v19, v14
	v_cmp_gt_f64_e32 vcc_lo, 0, v[20:21]
	v_cndmask_b32_e32 v51, v21, v15, vcc_lo
                                        ; implicit-def: $vgpr16_vgpr17
	s_delay_alu instid0(VALU_DEP_1)
	v_cmpx_ge_f64_e32 v[48:49], v[50:51]
	s_xor_b32 s7, exec_lo, s6
	s_cbranch_execz .LBB281_26
; %bb.21:                               ;   in Loop: Header=BB281_4 Depth=1
	v_cmp_neq_f64_e32 vcc_lo, 0, v[18:19]
	v_cmp_neq_f64_e64 s6, 0, v[20:21]
                                        ; implicit-def: $vgpr16_vgpr17
	s_or_b32 s6, s6, vcc_lo
	s_delay_alu instid0(SALU_CYCLE_1) | instskip(NEXT) | instid1(SALU_CYCLE_1)
	s_and_saveexec_b32 s26, s6
	s_xor_b32 s6, exec_lo, s26
	s_cbranch_execz .LBB281_23
; %bb.22:                               ;   in Loop: Header=BB281_4 Depth=1
	v_div_scale_f64 v[14:15], null, v[18:19], v[18:19], v[20:21]
	v_div_scale_f64 v[50:51], vcc_lo, v[20:21], v[18:19], v[20:21]
	s_delay_alu instid0(VALU_DEP_2) | instskip(SKIP_1) | instid1(TRANS32_DEP_1)
	v_rcp_f64_e32 v[16:17], v[14:15]
	v_nop
	v_fma_f64 v[48:49], -v[14:15], v[16:17], 1.0
	s_delay_alu instid0(VALU_DEP_1) | instskip(NEXT) | instid1(VALU_DEP_1)
	v_fmac_f64_e32 v[16:17], v[16:17], v[48:49]
	v_fma_f64 v[48:49], -v[14:15], v[16:17], 1.0
	s_delay_alu instid0(VALU_DEP_1) | instskip(NEXT) | instid1(VALU_DEP_1)
	v_fmac_f64_e32 v[16:17], v[16:17], v[48:49]
	v_mul_f64_e32 v[48:49], v[50:51], v[16:17]
	s_delay_alu instid0(VALU_DEP_1) | instskip(NEXT) | instid1(VALU_DEP_1)
	v_fma_f64 v[14:15], -v[14:15], v[48:49], v[50:51]
	v_div_fmas_f64 v[14:15], v[14:15], v[16:17], v[48:49]
	s_delay_alu instid0(VALU_DEP_1) | instskip(NEXT) | instid1(VALU_DEP_1)
	v_div_fixup_f64 v[14:15], v[14:15], v[18:19], v[20:21]
	v_fmac_f64_e32 v[18:19], v[20:21], v[14:15]
	s_delay_alu instid0(VALU_DEP_1) | instskip(SKIP_1) | instid1(VALU_DEP_2)
	v_div_scale_f64 v[16:17], null, v[18:19], v[18:19], 1.0
	v_div_scale_f64 v[50:51], vcc_lo, 1.0, v[18:19], 1.0
	v_rcp_f64_e32 v[20:21], v[16:17]
	v_nop
	s_delay_alu instid0(TRANS32_DEP_1) | instskip(NEXT) | instid1(VALU_DEP_1)
	v_fma_f64 v[48:49], -v[16:17], v[20:21], 1.0
	v_fmac_f64_e32 v[20:21], v[20:21], v[48:49]
	s_delay_alu instid0(VALU_DEP_1) | instskip(NEXT) | instid1(VALU_DEP_1)
	v_fma_f64 v[48:49], -v[16:17], v[20:21], 1.0
	v_fmac_f64_e32 v[20:21], v[20:21], v[48:49]
	s_delay_alu instid0(VALU_DEP_1) | instskip(NEXT) | instid1(VALU_DEP_1)
	v_mul_f64_e32 v[48:49], v[50:51], v[20:21]
	v_fma_f64 v[16:17], -v[16:17], v[48:49], v[50:51]
                                        ; implicit-def: $vgpr50_vgpr51
	s_delay_alu instid0(VALU_DEP_1) | instskip(SKIP_1) | instid1(VALU_DEP_2)
	v_div_fmas_f64 v[16:17], v[16:17], v[20:21], v[48:49]
	v_fma_f64 v[20:21], s[10:11], v[14:15], s[8:9]
                                        ; implicit-def: $vgpr48_vgpr49
	v_div_fixup_f64 v[16:17], v[16:17], v[18:19], 1.0
	v_fma_f64 v[18:19], -s[8:9], v[14:15], s[10:11]
	s_delay_alu instid0(VALU_DEP_2) | instskip(NEXT) | instid1(VALU_DEP_2)
	v_mul_f64_e32 v[14:15], v[20:21], v[16:17]
	v_mul_f64_e32 v[16:17], v[18:19], v[16:17]
.LBB281_23:                             ;   in Loop: Header=BB281_4 Depth=1
	s_and_not1_saveexec_b32 s26, s6
	s_cbranch_execz .LBB281_25
; %bb.24:                               ;   in Loop: Header=BB281_4 Depth=1
	v_div_scale_f64 v[14:15], null, v[48:49], v[48:49], s[8:9]
	v_div_scale_f64 v[16:17], null, v[50:51], v[50:51], s[10:11]
	v_div_scale_f64 v[56:57], vcc_lo, s[8:9], v[48:49], s[8:9]
	s_delay_alu instid0(VALU_DEP_3) | instskip(NEXT) | instid1(VALU_DEP_2)
	v_rcp_f64_e32 v[18:19], v[14:15]
	v_rcp_f64_e32 v[20:21], v[16:17]
	s_delay_alu instid0(TRANS32_DEP_2) | instskip(NEXT) | instid1(TRANS32_DEP_1)
	v_fma_f64 v[52:53], -v[14:15], v[18:19], 1.0
	v_fma_f64 v[54:55], -v[16:17], v[20:21], 1.0
	s_delay_alu instid0(VALU_DEP_2) | instskip(NEXT) | instid1(VALU_DEP_2)
	v_fmac_f64_e32 v[18:19], v[18:19], v[52:53]
	v_fmac_f64_e32 v[20:21], v[20:21], v[54:55]
	s_delay_alu instid0(VALU_DEP_2) | instskip(NEXT) | instid1(VALU_DEP_2)
	v_fma_f64 v[52:53], -v[14:15], v[18:19], 1.0
	v_fma_f64 v[54:55], -v[16:17], v[20:21], 1.0
	s_delay_alu instid0(VALU_DEP_2) | instskip(SKIP_1) | instid1(VALU_DEP_3)
	v_fmac_f64_e32 v[18:19], v[18:19], v[52:53]
	v_div_scale_f64 v[52:53], s6, s[10:11], v[50:51], s[10:11]
	v_fmac_f64_e32 v[20:21], v[20:21], v[54:55]
	s_delay_alu instid0(VALU_DEP_3) | instskip(NEXT) | instid1(VALU_DEP_2)
	v_mul_f64_e32 v[54:55], v[56:57], v[18:19]
	v_mul_f64_e32 v[58:59], v[52:53], v[20:21]
	s_delay_alu instid0(VALU_DEP_2) | instskip(NEXT) | instid1(VALU_DEP_2)
	v_fma_f64 v[14:15], -v[14:15], v[54:55], v[56:57]
	v_fma_f64 v[16:17], -v[16:17], v[58:59], v[52:53]
	s_delay_alu instid0(VALU_DEP_2) | instskip(SKIP_1) | instid1(VALU_DEP_2)
	v_div_fmas_f64 v[14:15], v[14:15], v[18:19], v[54:55]
	s_mov_b32 vcc_lo, s6
	v_div_fmas_f64 v[16:17], v[16:17], v[20:21], v[58:59]
	s_delay_alu instid0(VALU_DEP_2) | instskip(NEXT) | instid1(VALU_DEP_2)
	v_div_fixup_f64 v[14:15], v[14:15], v[48:49], s[8:9]
	v_div_fixup_f64 v[16:17], v[16:17], v[50:51], s[10:11]
.LBB281_25:                             ;   in Loop: Header=BB281_4 Depth=1
	s_or_b32 exec_lo, exec_lo, s26
                                        ; implicit-def: $vgpr20_vgpr21
.LBB281_26:                             ;   in Loop: Header=BB281_4 Depth=1
	s_and_not1_saveexec_b32 s6, s7
	s_cbranch_execz .LBB281_28
; %bb.27:                               ;   in Loop: Header=BB281_4 Depth=1
	v_div_scale_f64 v[14:15], null, v[20:21], v[20:21], v[18:19]
	v_div_scale_f64 v[50:51], vcc_lo, v[18:19], v[20:21], v[18:19]
	s_delay_alu instid0(VALU_DEP_2) | instskip(SKIP_1) | instid1(TRANS32_DEP_1)
	v_rcp_f64_e32 v[16:17], v[14:15]
	v_nop
	v_fma_f64 v[48:49], -v[14:15], v[16:17], 1.0
	s_delay_alu instid0(VALU_DEP_1) | instskip(NEXT) | instid1(VALU_DEP_1)
	v_fmac_f64_e32 v[16:17], v[16:17], v[48:49]
	v_fma_f64 v[48:49], -v[14:15], v[16:17], 1.0
	s_delay_alu instid0(VALU_DEP_1) | instskip(NEXT) | instid1(VALU_DEP_1)
	v_fmac_f64_e32 v[16:17], v[16:17], v[48:49]
	v_mul_f64_e32 v[48:49], v[50:51], v[16:17]
	s_delay_alu instid0(VALU_DEP_1) | instskip(NEXT) | instid1(VALU_DEP_1)
	v_fma_f64 v[14:15], -v[14:15], v[48:49], v[50:51]
	v_div_fmas_f64 v[14:15], v[14:15], v[16:17], v[48:49]
	s_delay_alu instid0(VALU_DEP_1) | instskip(NEXT) | instid1(VALU_DEP_1)
	v_div_fixup_f64 v[14:15], v[14:15], v[20:21], v[18:19]
	v_fmac_f64_e32 v[20:21], v[18:19], v[14:15]
	s_delay_alu instid0(VALU_DEP_1) | instskip(SKIP_1) | instid1(VALU_DEP_2)
	v_div_scale_f64 v[16:17], null, v[20:21], v[20:21], 1.0
	v_div_scale_f64 v[50:51], vcc_lo, 1.0, v[20:21], 1.0
	v_rcp_f64_e32 v[18:19], v[16:17]
	v_nop
	s_delay_alu instid0(TRANS32_DEP_1) | instskip(NEXT) | instid1(VALU_DEP_1)
	v_fma_f64 v[48:49], -v[16:17], v[18:19], 1.0
	v_fmac_f64_e32 v[18:19], v[18:19], v[48:49]
	s_delay_alu instid0(VALU_DEP_1) | instskip(NEXT) | instid1(VALU_DEP_1)
	v_fma_f64 v[48:49], -v[16:17], v[18:19], 1.0
	v_fmac_f64_e32 v[18:19], v[18:19], v[48:49]
	s_delay_alu instid0(VALU_DEP_1) | instskip(NEXT) | instid1(VALU_DEP_1)
	v_mul_f64_e32 v[48:49], v[50:51], v[18:19]
	v_fma_f64 v[16:17], -v[16:17], v[48:49], v[50:51]
	s_delay_alu instid0(VALU_DEP_1) | instskip(SKIP_1) | instid1(VALU_DEP_2)
	v_div_fmas_f64 v[16:17], v[16:17], v[18:19], v[48:49]
	v_fma_f64 v[18:19], s[8:9], v[14:15], s[10:11]
	v_div_fixup_f64 v[16:17], v[16:17], v[20:21], 1.0
	v_fma_f64 v[20:21], s[10:11], v[14:15], -s[8:9]
	s_delay_alu instid0(VALU_DEP_2) | instskip(NEXT) | instid1(VALU_DEP_2)
	v_mul_f64_e32 v[14:15], v[18:19], v[16:17]
	v_mul_f64_e32 v[16:17], v[20:21], v[16:17]
.LBB281_28:                             ;   in Loop: Header=BB281_4 Depth=1
	s_or_b32 exec_lo, exec_lo, s6
	v_cmp_gt_f64_e32 vcc_lo, 0, v[10:11]
	v_xor_b32_e32 v18, 0x80000000, v11
	v_mov_b32_e32 v48, v10
	v_xor_b32_e32 v19, 0x80000000, v13
	s_mov_b32 s6, exec_lo
	s_delay_alu instid0(VALU_DEP_3) | instskip(SKIP_1) | instid1(VALU_DEP_3)
	v_dual_mov_b32 v50, v12 :: v_dual_cndmask_b32 v49, v11, v18
	v_cmp_gt_f64_e32 vcc_lo, 0, v[12:13]
	v_cndmask_b32_e32 v51, v13, v19, vcc_lo
                                        ; implicit-def: $vgpr20_vgpr21
	s_delay_alu instid0(VALU_DEP_1)
	v_cmpx_ge_f64_e32 v[48:49], v[50:51]
	s_xor_b32 s7, exec_lo, s6
	s_cbranch_execz .LBB281_34
; %bb.29:                               ;   in Loop: Header=BB281_4 Depth=1
	v_cmp_neq_f64_e32 vcc_lo, 0, v[10:11]
	v_cmp_neq_f64_e64 s6, 0, v[12:13]
                                        ; implicit-def: $vgpr20_vgpr21
	s_or_b32 s6, s6, vcc_lo
	s_delay_alu instid0(SALU_CYCLE_1) | instskip(NEXT) | instid1(SALU_CYCLE_1)
	s_and_saveexec_b32 s26, s6
	s_xor_b32 s6, exec_lo, s26
	s_cbranch_execz .LBB281_31
; %bb.30:                               ;   in Loop: Header=BB281_4 Depth=1
	v_div_scale_f64 v[18:19], null, v[10:11], v[10:11], v[12:13]
	v_div_scale_f64 v[50:51], vcc_lo, v[12:13], v[10:11], v[12:13]
	s_delay_alu instid0(VALU_DEP_2) | instskip(SKIP_1) | instid1(TRANS32_DEP_1)
	v_rcp_f64_e32 v[20:21], v[18:19]
	v_nop
	v_fma_f64 v[48:49], -v[18:19], v[20:21], 1.0
	s_delay_alu instid0(VALU_DEP_1) | instskip(NEXT) | instid1(VALU_DEP_1)
	v_fmac_f64_e32 v[20:21], v[20:21], v[48:49]
	v_fma_f64 v[48:49], -v[18:19], v[20:21], 1.0
	s_delay_alu instid0(VALU_DEP_1) | instskip(NEXT) | instid1(VALU_DEP_1)
	v_fmac_f64_e32 v[20:21], v[20:21], v[48:49]
	v_mul_f64_e32 v[48:49], v[50:51], v[20:21]
	s_delay_alu instid0(VALU_DEP_1) | instskip(NEXT) | instid1(VALU_DEP_1)
	v_fma_f64 v[18:19], -v[18:19], v[48:49], v[50:51]
	v_div_fmas_f64 v[18:19], v[18:19], v[20:21], v[48:49]
	s_delay_alu instid0(VALU_DEP_1) | instskip(NEXT) | instid1(VALU_DEP_1)
	v_div_fixup_f64 v[18:19], v[18:19], v[10:11], v[12:13]
	v_fmac_f64_e32 v[10:11], v[12:13], v[18:19]
	s_delay_alu instid0(VALU_DEP_1) | instskip(SKIP_1) | instid1(VALU_DEP_2)
	v_div_scale_f64 v[12:13], null, v[10:11], v[10:11], 1.0
	v_div_scale_f64 v[50:51], vcc_lo, 1.0, v[10:11], 1.0
	v_rcp_f64_e32 v[20:21], v[12:13]
	v_nop
	s_delay_alu instid0(TRANS32_DEP_1) | instskip(NEXT) | instid1(VALU_DEP_1)
	v_fma_f64 v[48:49], -v[12:13], v[20:21], 1.0
	v_fmac_f64_e32 v[20:21], v[20:21], v[48:49]
	s_delay_alu instid0(VALU_DEP_1) | instskip(NEXT) | instid1(VALU_DEP_1)
	v_fma_f64 v[48:49], -v[12:13], v[20:21], 1.0
	v_fmac_f64_e32 v[20:21], v[20:21], v[48:49]
	s_delay_alu instid0(VALU_DEP_1) | instskip(NEXT) | instid1(VALU_DEP_1)
	v_mul_f64_e32 v[48:49], v[50:51], v[20:21]
	v_fma_f64 v[12:13], -v[12:13], v[48:49], v[50:51]
                                        ; implicit-def: $vgpr50_vgpr51
	s_delay_alu instid0(VALU_DEP_1) | instskip(SKIP_1) | instid1(VALU_DEP_2)
	v_div_fmas_f64 v[12:13], v[12:13], v[20:21], v[48:49]
	v_fma_f64 v[20:21], s[10:11], v[18:19], s[8:9]
                                        ; implicit-def: $vgpr48_vgpr49
	v_div_fixup_f64 v[10:11], v[12:13], v[10:11], 1.0
	v_fma_f64 v[12:13], -s[8:9], v[18:19], s[10:11]
	s_delay_alu instid0(VALU_DEP_2) | instskip(NEXT) | instid1(VALU_DEP_2)
	v_mul_f64_e32 v[18:19], v[20:21], v[10:11]
	v_mul_f64_e32 v[20:21], v[12:13], v[10:11]
.LBB281_31:                             ;   in Loop: Header=BB281_4 Depth=1
	s_and_not1_saveexec_b32 s26, s6
	s_cbranch_execz .LBB281_33
; %bb.32:                               ;   in Loop: Header=BB281_4 Depth=1
	v_div_scale_f64 v[10:11], null, v[48:49], v[48:49], s[8:9]
	v_div_scale_f64 v[12:13], null, v[50:51], v[50:51], s[10:11]
	v_div_scale_f64 v[56:57], vcc_lo, s[8:9], v[48:49], s[8:9]
	s_delay_alu instid0(VALU_DEP_3) | instskip(NEXT) | instid1(VALU_DEP_2)
	v_rcp_f64_e32 v[18:19], v[10:11]
	v_rcp_f64_e32 v[20:21], v[12:13]
	s_delay_alu instid0(TRANS32_DEP_2) | instskip(NEXT) | instid1(TRANS32_DEP_1)
	v_fma_f64 v[52:53], -v[10:11], v[18:19], 1.0
	v_fma_f64 v[54:55], -v[12:13], v[20:21], 1.0
	s_delay_alu instid0(VALU_DEP_2) | instskip(NEXT) | instid1(VALU_DEP_2)
	v_fmac_f64_e32 v[18:19], v[18:19], v[52:53]
	v_fmac_f64_e32 v[20:21], v[20:21], v[54:55]
	s_delay_alu instid0(VALU_DEP_2) | instskip(NEXT) | instid1(VALU_DEP_2)
	v_fma_f64 v[52:53], -v[10:11], v[18:19], 1.0
	v_fma_f64 v[54:55], -v[12:13], v[20:21], 1.0
	s_delay_alu instid0(VALU_DEP_2) | instskip(SKIP_1) | instid1(VALU_DEP_3)
	v_fmac_f64_e32 v[18:19], v[18:19], v[52:53]
	v_div_scale_f64 v[52:53], s6, s[10:11], v[50:51], s[10:11]
	v_fmac_f64_e32 v[20:21], v[20:21], v[54:55]
	s_delay_alu instid0(VALU_DEP_3) | instskip(NEXT) | instid1(VALU_DEP_2)
	v_mul_f64_e32 v[54:55], v[56:57], v[18:19]
	v_mul_f64_e32 v[58:59], v[52:53], v[20:21]
	s_delay_alu instid0(VALU_DEP_2) | instskip(NEXT) | instid1(VALU_DEP_2)
	v_fma_f64 v[10:11], -v[10:11], v[54:55], v[56:57]
	v_fma_f64 v[12:13], -v[12:13], v[58:59], v[52:53]
	s_delay_alu instid0(VALU_DEP_2) | instskip(SKIP_1) | instid1(VALU_DEP_2)
	v_div_fmas_f64 v[10:11], v[10:11], v[18:19], v[54:55]
	s_mov_b32 vcc_lo, s6
	v_div_fmas_f64 v[12:13], v[12:13], v[20:21], v[58:59]
	s_delay_alu instid0(VALU_DEP_2) | instskip(NEXT) | instid1(VALU_DEP_2)
	v_div_fixup_f64 v[18:19], v[10:11], v[48:49], s[8:9]
	v_div_fixup_f64 v[20:21], v[12:13], v[50:51], s[10:11]
.LBB281_33:                             ;   in Loop: Header=BB281_4 Depth=1
	s_or_b32 exec_lo, exec_lo, s26
                                        ; implicit-def: $vgpr12_vgpr13
.LBB281_34:                             ;   in Loop: Header=BB281_4 Depth=1
	s_and_not1_saveexec_b32 s6, s7
	s_cbranch_execz .LBB281_36
; %bb.35:                               ;   in Loop: Header=BB281_4 Depth=1
	v_div_scale_f64 v[18:19], null, v[12:13], v[12:13], v[10:11]
	v_div_scale_f64 v[50:51], vcc_lo, v[10:11], v[12:13], v[10:11]
	s_delay_alu instid0(VALU_DEP_2) | instskip(SKIP_1) | instid1(TRANS32_DEP_1)
	v_rcp_f64_e32 v[20:21], v[18:19]
	v_nop
	v_fma_f64 v[48:49], -v[18:19], v[20:21], 1.0
	s_delay_alu instid0(VALU_DEP_1) | instskip(NEXT) | instid1(VALU_DEP_1)
	v_fmac_f64_e32 v[20:21], v[20:21], v[48:49]
	v_fma_f64 v[48:49], -v[18:19], v[20:21], 1.0
	s_delay_alu instid0(VALU_DEP_1) | instskip(NEXT) | instid1(VALU_DEP_1)
	v_fmac_f64_e32 v[20:21], v[20:21], v[48:49]
	v_mul_f64_e32 v[48:49], v[50:51], v[20:21]
	s_delay_alu instid0(VALU_DEP_1) | instskip(NEXT) | instid1(VALU_DEP_1)
	v_fma_f64 v[18:19], -v[18:19], v[48:49], v[50:51]
	v_div_fmas_f64 v[18:19], v[18:19], v[20:21], v[48:49]
	s_delay_alu instid0(VALU_DEP_1) | instskip(NEXT) | instid1(VALU_DEP_1)
	v_div_fixup_f64 v[18:19], v[18:19], v[12:13], v[10:11]
	v_fmac_f64_e32 v[12:13], v[10:11], v[18:19]
	s_delay_alu instid0(VALU_DEP_1) | instskip(SKIP_1) | instid1(VALU_DEP_2)
	v_div_scale_f64 v[10:11], null, v[12:13], v[12:13], 1.0
	v_div_scale_f64 v[50:51], vcc_lo, 1.0, v[12:13], 1.0
	v_rcp_f64_e32 v[20:21], v[10:11]
	v_nop
	s_delay_alu instid0(TRANS32_DEP_1) | instskip(NEXT) | instid1(VALU_DEP_1)
	v_fma_f64 v[48:49], -v[10:11], v[20:21], 1.0
	v_fmac_f64_e32 v[20:21], v[20:21], v[48:49]
	s_delay_alu instid0(VALU_DEP_1) | instskip(NEXT) | instid1(VALU_DEP_1)
	v_fma_f64 v[48:49], -v[10:11], v[20:21], 1.0
	v_fmac_f64_e32 v[20:21], v[20:21], v[48:49]
	s_delay_alu instid0(VALU_DEP_1) | instskip(NEXT) | instid1(VALU_DEP_1)
	v_mul_f64_e32 v[48:49], v[50:51], v[20:21]
	v_fma_f64 v[10:11], -v[10:11], v[48:49], v[50:51]
	s_delay_alu instid0(VALU_DEP_1) | instskip(SKIP_1) | instid1(VALU_DEP_2)
	v_div_fmas_f64 v[10:11], v[10:11], v[20:21], v[48:49]
	v_fma_f64 v[20:21], s[8:9], v[18:19], s[10:11]
	v_div_fixup_f64 v[10:11], v[10:11], v[12:13], 1.0
	v_fma_f64 v[12:13], s[10:11], v[18:19], -s[8:9]
	s_delay_alu instid0(VALU_DEP_2) | instskip(NEXT) | instid1(VALU_DEP_2)
	v_mul_f64_e32 v[18:19], v[20:21], v[10:11]
	v_mul_f64_e32 v[20:21], v[12:13], v[10:11]
.LBB281_36:                             ;   in Loop: Header=BB281_4 Depth=1
	s_or_b32 exec_lo, exec_lo, s6
	v_cmp_gt_f64_e32 vcc_lo, 0, v[2:3]
	v_xor_b32_e32 v10, 0x80000000, v3
	v_mov_b32_e32 v48, v2
	v_xor_b32_e32 v11, 0x80000000, v5
	s_mov_b32 s6, exec_lo
	s_delay_alu instid0(VALU_DEP_3) | instskip(SKIP_1) | instid1(VALU_DEP_3)
	v_dual_mov_b32 v50, v4 :: v_dual_cndmask_b32 v49, v3, v10
	v_cmp_gt_f64_e32 vcc_lo, 0, v[4:5]
	v_cndmask_b32_e32 v51, v5, v11, vcc_lo
                                        ; implicit-def: $vgpr12_vgpr13
	s_delay_alu instid0(VALU_DEP_1)
	v_cmpx_ge_f64_e32 v[48:49], v[50:51]
	s_xor_b32 s7, exec_lo, s6
	s_cbranch_execnz .LBB281_42
; %bb.37:                               ;   in Loop: Header=BB281_4 Depth=1
	s_and_not1_saveexec_b32 s6, s7
	s_cbranch_execnz .LBB281_47
.LBB281_38:                             ;   in Loop: Header=BB281_4 Depth=1
	s_or_b32 exec_lo, exec_lo, s6
	s_and_saveexec_b32 s6, s2
	s_delay_alu instid0(SALU_CYCLE_1)
	s_xor_b32 s2, exec_lo, s6
	s_cbranch_execnz .LBB281_48
.LBB281_39:                             ;   in Loop: Header=BB281_4 Depth=1
	s_or_b32 exec_lo, exec_lo, s2
	s_and_saveexec_b32 s2, s3
	s_cbranch_execnz .LBB281_49
.LBB281_40:                             ;   in Loop: Header=BB281_4 Depth=1
	s_or_b32 exec_lo, exec_lo, s2
	s_and_saveexec_b32 s2, s4
	s_cbranch_execnz .LBB281_50
.LBB281_41:                             ;   in Loop: Header=BB281_4 Depth=1
	s_or_b32 exec_lo, exec_lo, s2
	s_and_saveexec_b32 s2, s5
	s_cbranch_execz .LBB281_3
	s_branch .LBB281_51
.LBB281_42:                             ;   in Loop: Header=BB281_4 Depth=1
	v_cmp_neq_f64_e32 vcc_lo, 0, v[2:3]
	v_cmp_neq_f64_e64 s6, 0, v[4:5]
                                        ; implicit-def: $vgpr12_vgpr13
	s_or_b32 s6, s6, vcc_lo
	s_delay_alu instid0(SALU_CYCLE_1) | instskip(NEXT) | instid1(SALU_CYCLE_1)
	s_and_saveexec_b32 s26, s6
	s_xor_b32 s6, exec_lo, s26
	s_cbranch_execz .LBB281_44
; %bb.43:                               ;   in Loop: Header=BB281_4 Depth=1
	v_div_scale_f64 v[10:11], null, v[2:3], v[2:3], v[4:5]
	v_div_scale_f64 v[50:51], vcc_lo, v[4:5], v[2:3], v[4:5]
	s_delay_alu instid0(VALU_DEP_2) | instskip(SKIP_1) | instid1(TRANS32_DEP_1)
	v_rcp_f64_e32 v[12:13], v[10:11]
	v_nop
	v_fma_f64 v[48:49], -v[10:11], v[12:13], 1.0
	s_delay_alu instid0(VALU_DEP_1) | instskip(NEXT) | instid1(VALU_DEP_1)
	v_fmac_f64_e32 v[12:13], v[12:13], v[48:49]
	v_fma_f64 v[48:49], -v[10:11], v[12:13], 1.0
	s_delay_alu instid0(VALU_DEP_1) | instskip(NEXT) | instid1(VALU_DEP_1)
	v_fmac_f64_e32 v[12:13], v[12:13], v[48:49]
	v_mul_f64_e32 v[48:49], v[50:51], v[12:13]
	s_delay_alu instid0(VALU_DEP_1) | instskip(NEXT) | instid1(VALU_DEP_1)
	v_fma_f64 v[10:11], -v[10:11], v[48:49], v[50:51]
	v_div_fmas_f64 v[10:11], v[10:11], v[12:13], v[48:49]
	s_delay_alu instid0(VALU_DEP_1) | instskip(NEXT) | instid1(VALU_DEP_1)
	v_div_fixup_f64 v[10:11], v[10:11], v[2:3], v[4:5]
	v_fmac_f64_e32 v[2:3], v[4:5], v[10:11]
	s_delay_alu instid0(VALU_DEP_1) | instskip(SKIP_1) | instid1(VALU_DEP_2)
	v_div_scale_f64 v[4:5], null, v[2:3], v[2:3], 1.0
	v_div_scale_f64 v[50:51], vcc_lo, 1.0, v[2:3], 1.0
	v_rcp_f64_e32 v[12:13], v[4:5]
	v_nop
	s_delay_alu instid0(TRANS32_DEP_1) | instskip(NEXT) | instid1(VALU_DEP_1)
	v_fma_f64 v[48:49], -v[4:5], v[12:13], 1.0
	v_fmac_f64_e32 v[12:13], v[12:13], v[48:49]
	s_delay_alu instid0(VALU_DEP_1) | instskip(NEXT) | instid1(VALU_DEP_1)
	v_fma_f64 v[48:49], -v[4:5], v[12:13], 1.0
	v_fmac_f64_e32 v[12:13], v[12:13], v[48:49]
	s_delay_alu instid0(VALU_DEP_1) | instskip(NEXT) | instid1(VALU_DEP_1)
	v_mul_f64_e32 v[48:49], v[50:51], v[12:13]
	v_fma_f64 v[4:5], -v[4:5], v[48:49], v[50:51]
                                        ; implicit-def: $vgpr50_vgpr51
	s_delay_alu instid0(VALU_DEP_1) | instskip(SKIP_1) | instid1(VALU_DEP_2)
	v_div_fmas_f64 v[4:5], v[4:5], v[12:13], v[48:49]
	v_fma_f64 v[12:13], s[10:11], v[10:11], s[8:9]
                                        ; implicit-def: $vgpr48_vgpr49
	v_div_fixup_f64 v[2:3], v[4:5], v[2:3], 1.0
	v_fma_f64 v[4:5], -s[8:9], v[10:11], s[10:11]
	s_delay_alu instid0(VALU_DEP_2) | instskip(NEXT) | instid1(VALU_DEP_2)
	v_mul_f64_e32 v[10:11], v[12:13], v[2:3]
	v_mul_f64_e32 v[12:13], v[4:5], v[2:3]
.LBB281_44:                             ;   in Loop: Header=BB281_4 Depth=1
	s_and_not1_saveexec_b32 s26, s6
	s_cbranch_execz .LBB281_46
; %bb.45:                               ;   in Loop: Header=BB281_4 Depth=1
	v_div_scale_f64 v[2:3], null, v[48:49], v[48:49], s[8:9]
	v_div_scale_f64 v[4:5], null, v[50:51], v[50:51], s[10:11]
	v_div_scale_f64 v[56:57], vcc_lo, s[8:9], v[48:49], s[8:9]
	s_delay_alu instid0(VALU_DEP_3) | instskip(NEXT) | instid1(VALU_DEP_2)
	v_rcp_f64_e32 v[10:11], v[2:3]
	v_rcp_f64_e32 v[12:13], v[4:5]
	s_delay_alu instid0(TRANS32_DEP_2) | instskip(NEXT) | instid1(TRANS32_DEP_1)
	v_fma_f64 v[52:53], -v[2:3], v[10:11], 1.0
	v_fma_f64 v[54:55], -v[4:5], v[12:13], 1.0
	s_delay_alu instid0(VALU_DEP_2) | instskip(NEXT) | instid1(VALU_DEP_2)
	v_fmac_f64_e32 v[10:11], v[10:11], v[52:53]
	v_fmac_f64_e32 v[12:13], v[12:13], v[54:55]
	s_delay_alu instid0(VALU_DEP_2) | instskip(NEXT) | instid1(VALU_DEP_2)
	v_fma_f64 v[52:53], -v[2:3], v[10:11], 1.0
	v_fma_f64 v[54:55], -v[4:5], v[12:13], 1.0
	s_delay_alu instid0(VALU_DEP_2) | instskip(SKIP_1) | instid1(VALU_DEP_3)
	v_fmac_f64_e32 v[10:11], v[10:11], v[52:53]
	v_div_scale_f64 v[52:53], s6, s[10:11], v[50:51], s[10:11]
	v_fmac_f64_e32 v[12:13], v[12:13], v[54:55]
	s_delay_alu instid0(VALU_DEP_3) | instskip(NEXT) | instid1(VALU_DEP_2)
	v_mul_f64_e32 v[54:55], v[56:57], v[10:11]
	v_mul_f64_e32 v[58:59], v[52:53], v[12:13]
	s_delay_alu instid0(VALU_DEP_2) | instskip(NEXT) | instid1(VALU_DEP_2)
	v_fma_f64 v[2:3], -v[2:3], v[54:55], v[56:57]
	v_fma_f64 v[4:5], -v[4:5], v[58:59], v[52:53]
	s_delay_alu instid0(VALU_DEP_2) | instskip(SKIP_1) | instid1(VALU_DEP_2)
	v_div_fmas_f64 v[2:3], v[2:3], v[10:11], v[54:55]
	s_mov_b32 vcc_lo, s6
	v_div_fmas_f64 v[4:5], v[4:5], v[12:13], v[58:59]
	s_delay_alu instid0(VALU_DEP_2) | instskip(NEXT) | instid1(VALU_DEP_2)
	v_div_fixup_f64 v[10:11], v[2:3], v[48:49], s[8:9]
	v_div_fixup_f64 v[12:13], v[4:5], v[50:51], s[10:11]
.LBB281_46:                             ;   in Loop: Header=BB281_4 Depth=1
	s_or_b32 exec_lo, exec_lo, s26
                                        ; implicit-def: $vgpr4_vgpr5
	s_and_not1_saveexec_b32 s6, s7
	s_cbranch_execz .LBB281_38
.LBB281_47:                             ;   in Loop: Header=BB281_4 Depth=1
	v_div_scale_f64 v[10:11], null, v[4:5], v[4:5], v[2:3]
	v_div_scale_f64 v[50:51], vcc_lo, v[2:3], v[4:5], v[2:3]
	s_delay_alu instid0(VALU_DEP_2) | instskip(SKIP_1) | instid1(TRANS32_DEP_1)
	v_rcp_f64_e32 v[12:13], v[10:11]
	v_nop
	v_fma_f64 v[48:49], -v[10:11], v[12:13], 1.0
	s_delay_alu instid0(VALU_DEP_1) | instskip(NEXT) | instid1(VALU_DEP_1)
	v_fmac_f64_e32 v[12:13], v[12:13], v[48:49]
	v_fma_f64 v[48:49], -v[10:11], v[12:13], 1.0
	s_delay_alu instid0(VALU_DEP_1) | instskip(NEXT) | instid1(VALU_DEP_1)
	v_fmac_f64_e32 v[12:13], v[12:13], v[48:49]
	v_mul_f64_e32 v[48:49], v[50:51], v[12:13]
	s_delay_alu instid0(VALU_DEP_1) | instskip(NEXT) | instid1(VALU_DEP_1)
	v_fma_f64 v[10:11], -v[10:11], v[48:49], v[50:51]
	v_div_fmas_f64 v[10:11], v[10:11], v[12:13], v[48:49]
	s_delay_alu instid0(VALU_DEP_1) | instskip(NEXT) | instid1(VALU_DEP_1)
	v_div_fixup_f64 v[10:11], v[10:11], v[4:5], v[2:3]
	v_fmac_f64_e32 v[4:5], v[2:3], v[10:11]
	s_delay_alu instid0(VALU_DEP_1) | instskip(SKIP_1) | instid1(VALU_DEP_2)
	v_div_scale_f64 v[2:3], null, v[4:5], v[4:5], 1.0
	v_div_scale_f64 v[50:51], vcc_lo, 1.0, v[4:5], 1.0
	v_rcp_f64_e32 v[12:13], v[2:3]
	v_nop
	s_delay_alu instid0(TRANS32_DEP_1) | instskip(NEXT) | instid1(VALU_DEP_1)
	v_fma_f64 v[48:49], -v[2:3], v[12:13], 1.0
	v_fmac_f64_e32 v[12:13], v[12:13], v[48:49]
	s_delay_alu instid0(VALU_DEP_1) | instskip(NEXT) | instid1(VALU_DEP_1)
	v_fma_f64 v[48:49], -v[2:3], v[12:13], 1.0
	v_fmac_f64_e32 v[12:13], v[12:13], v[48:49]
	s_delay_alu instid0(VALU_DEP_1) | instskip(NEXT) | instid1(VALU_DEP_1)
	v_mul_f64_e32 v[48:49], v[50:51], v[12:13]
	v_fma_f64 v[2:3], -v[2:3], v[48:49], v[50:51]
	s_delay_alu instid0(VALU_DEP_1) | instskip(SKIP_1) | instid1(VALU_DEP_2)
	v_div_fmas_f64 v[2:3], v[2:3], v[12:13], v[48:49]
	v_fma_f64 v[12:13], s[8:9], v[10:11], s[10:11]
	v_div_fixup_f64 v[2:3], v[2:3], v[4:5], 1.0
	v_fma_f64 v[4:5], s[10:11], v[10:11], -s[8:9]
	s_delay_alu instid0(VALU_DEP_2) | instskip(NEXT) | instid1(VALU_DEP_2)
	v_mul_f64_e32 v[10:11], v[12:13], v[2:3]
	v_mul_f64_e32 v[12:13], v[4:5], v[2:3]
	s_or_b32 exec_lo, exec_lo, s6
	s_and_saveexec_b32 s6, s2
	s_delay_alu instid0(SALU_CYCLE_1)
	s_xor_b32 s2, exec_lo, s6
	s_cbranch_execz .LBB281_39
.LBB281_48:                             ;   in Loop: Header=BB281_4 Depth=1
	global_store_b128 v[40:41], v[6:9], off
	s_wait_xcnt 0x0
	s_or_b32 exec_lo, exec_lo, s2
	s_and_saveexec_b32 s2, s3
	s_cbranch_execz .LBB281_40
.LBB281_49:                             ;   in Loop: Header=BB281_4 Depth=1
	global_store_b128 v[42:43], v[14:17], off
	s_wait_xcnt 0x0
	s_or_b32 exec_lo, exec_lo, s2
	s_and_saveexec_b32 s2, s4
	s_cbranch_execz .LBB281_41
.LBB281_50:                             ;   in Loop: Header=BB281_4 Depth=1
	global_store_b128 v[44:45], v[18:21], off offset:-8
	s_wait_xcnt 0x0
	s_or_b32 exec_lo, exec_lo, s2
	s_and_saveexec_b32 s2, s5
	s_cbranch_execz .LBB281_3
.LBB281_51:                             ;   in Loop: Header=BB281_4 Depth=1
	global_store_b128 v[46:47], v[10:13], off offset:-8
	s_branch .LBB281_3
.LBB281_52:
	s_cbranch_execz .LBB281_54
	s_branch .LBB281_89
.LBB281_53:
.LBB281_54:
	v_min_i64 v[22:23], 0x10000, s[16:17]
	v_dual_mov_b32 v3, 0 :: v_dual_lshlrev_b32 v2, 2, v0
	s_mov_b32 s2, exec_lo
	s_delay_alu instid0(VALU_DEP_1)
	v_cmpx_lt_i64_e64 v[2:3], v[22:23]
	s_cbranch_execz .LBB281_89
; %bb.55:
	s_load_b32 s2, s[0:1], 0xd4c
	v_dual_mov_b32 v1, v3 :: v_dual_lshlrev_b32 v2, 6, v0
	s_wait_xcnt 0x0
	s_add_nc_u64 s[0:1], s[12:13], s[14:15]
	s_mov_b32 s3, 0
	s_delay_alu instid0(VALU_DEP_1) | instskip(SKIP_4) | instid1(SALU_CYCLE_1)
	v_add_nc_u64_e32 v[24:25], s[0:1], v[2:3]
	s_mov_b32 s5, s3
	s_mov_b32 s1, s3
	s_wait_kmcnt 0x0
	s_and_b32 s2, s2, 0xffff
	s_lshl_b32 s4, s2, 6
	s_branch .LBB281_57
.LBB281_56:                             ;   in Loop: Header=BB281_57 Depth=1
	s_or_b32 exec_lo, exec_lo, s0
	v_add_nc_u64_e32 v[0:1], s[2:3], v[0:1]
	s_clause 0x3
	global_store_b128 v[24:25], v[6:9], off
	global_store_b128 v[24:25], v[14:17], off offset:16
	global_store_b128 v[24:25], v[18:21], off offset:32
	;; [unrolled: 1-line block ×3, first 2 shown]
	s_wait_xcnt 0x0
	v_add_nc_u64_e32 v[24:25], s[4:5], v[24:25]
	v_lshlrev_b64_e32 v[2:3], 2, v[0:1]
	s_delay_alu instid0(VALU_DEP_1) | instskip(SKIP_1) | instid1(SALU_CYCLE_1)
	v_cmp_ge_i64_e32 vcc_lo, v[2:3], v[22:23]
	s_or_b32 s1, vcc_lo, s1
	s_and_not1_b32 exec_lo, exec_lo, s1
	s_cbranch_execz .LBB281_89
.LBB281_57:                             ; =>This Inner Loop Header: Depth=1
	s_clause 0x3
	global_load_b128 v[14:17], v[24:25], off
	global_load_b128 v[18:21], v[24:25], off offset:16
	global_load_b128 v[2:5], v[24:25], off offset:48
	;; [unrolled: 1-line block ×3, first 2 shown]
	s_mov_b32 s0, exec_lo
	s_wait_loadcnt 0x3
	v_cmp_gt_f64_e32 vcc_lo, 0, v[14:15]
	v_xor_b32_e32 v6, 0x80000000, v15
	v_mov_b32_e32 v26, v14
	v_xor_b32_e32 v7, 0x80000000, v17
	s_delay_alu instid0(VALU_DEP_3) | instskip(SKIP_1) | instid1(VALU_DEP_3)
	v_dual_mov_b32 v28, v16 :: v_dual_cndmask_b32 v27, v15, v6
	v_cmp_gt_f64_e32 vcc_lo, 0, v[16:17]
	v_cndmask_b32_e32 v29, v17, v7, vcc_lo
                                        ; implicit-def: $vgpr8_vgpr9
	s_wait_xcnt 0x0
	s_delay_alu instid0(VALU_DEP_1)
	v_cmpx_ge_f64_e32 v[26:27], v[28:29]
	s_xor_b32 s6, exec_lo, s0
	s_cbranch_execz .LBB281_63
; %bb.58:                               ;   in Loop: Header=BB281_57 Depth=1
	v_cmp_neq_f64_e32 vcc_lo, 0, v[14:15]
	v_cmp_neq_f64_e64 s0, 0, v[16:17]
                                        ; implicit-def: $vgpr8_vgpr9
	s_or_b32 s0, vcc_lo, s0
	s_delay_alu instid0(SALU_CYCLE_1) | instskip(NEXT) | instid1(SALU_CYCLE_1)
	s_and_saveexec_b32 s7, s0
	s_xor_b32 s0, exec_lo, s7
	s_cbranch_execz .LBB281_60
; %bb.59:                               ;   in Loop: Header=BB281_57 Depth=1
	v_div_scale_f64 v[6:7], null, v[14:15], v[14:15], v[16:17]
	v_div_scale_f64 v[28:29], vcc_lo, v[16:17], v[14:15], v[16:17]
	s_delay_alu instid0(VALU_DEP_2) | instskip(SKIP_1) | instid1(TRANS32_DEP_1)
	v_rcp_f64_e32 v[8:9], v[6:7]
	v_nop
	v_fma_f64 v[26:27], -v[6:7], v[8:9], 1.0
	s_delay_alu instid0(VALU_DEP_1) | instskip(NEXT) | instid1(VALU_DEP_1)
	v_fmac_f64_e32 v[8:9], v[8:9], v[26:27]
	v_fma_f64 v[26:27], -v[6:7], v[8:9], 1.0
	s_delay_alu instid0(VALU_DEP_1) | instskip(NEXT) | instid1(VALU_DEP_1)
	v_fmac_f64_e32 v[8:9], v[8:9], v[26:27]
	v_mul_f64_e32 v[26:27], v[28:29], v[8:9]
	s_delay_alu instid0(VALU_DEP_1) | instskip(NEXT) | instid1(VALU_DEP_1)
	v_fma_f64 v[6:7], -v[6:7], v[26:27], v[28:29]
	v_div_fmas_f64 v[6:7], v[6:7], v[8:9], v[26:27]
	s_delay_alu instid0(VALU_DEP_1) | instskip(NEXT) | instid1(VALU_DEP_1)
	v_div_fixup_f64 v[6:7], v[6:7], v[14:15], v[16:17]
	v_fmac_f64_e32 v[14:15], v[16:17], v[6:7]
	s_delay_alu instid0(VALU_DEP_1) | instskip(SKIP_1) | instid1(VALU_DEP_2)
	v_div_scale_f64 v[8:9], null, v[14:15], v[14:15], 1.0
	v_div_scale_f64 v[28:29], vcc_lo, 1.0, v[14:15], 1.0
	v_rcp_f64_e32 v[16:17], v[8:9]
	v_nop
	s_delay_alu instid0(TRANS32_DEP_1) | instskip(NEXT) | instid1(VALU_DEP_1)
	v_fma_f64 v[26:27], -v[8:9], v[16:17], 1.0
	v_fmac_f64_e32 v[16:17], v[16:17], v[26:27]
	s_delay_alu instid0(VALU_DEP_1) | instskip(NEXT) | instid1(VALU_DEP_1)
	v_fma_f64 v[26:27], -v[8:9], v[16:17], 1.0
	v_fmac_f64_e32 v[16:17], v[16:17], v[26:27]
	s_delay_alu instid0(VALU_DEP_1) | instskip(NEXT) | instid1(VALU_DEP_1)
	v_mul_f64_e32 v[26:27], v[28:29], v[16:17]
	v_fma_f64 v[8:9], -v[8:9], v[26:27], v[28:29]
                                        ; implicit-def: $vgpr28_vgpr29
	s_delay_alu instid0(VALU_DEP_1) | instskip(SKIP_1) | instid1(VALU_DEP_2)
	v_div_fmas_f64 v[8:9], v[8:9], v[16:17], v[26:27]
	v_fma_f64 v[16:17], s[10:11], v[6:7], s[8:9]
                                        ; implicit-def: $vgpr26_vgpr27
	v_div_fixup_f64 v[8:9], v[8:9], v[14:15], 1.0
	v_fma_f64 v[14:15], -s[8:9], v[6:7], s[10:11]
	s_delay_alu instid0(VALU_DEP_2) | instskip(NEXT) | instid1(VALU_DEP_2)
	v_mul_f64_e32 v[6:7], v[16:17], v[8:9]
	v_mul_f64_e32 v[8:9], v[14:15], v[8:9]
.LBB281_60:                             ;   in Loop: Header=BB281_57 Depth=1
	s_and_not1_saveexec_b32 s7, s0
	s_cbranch_execz .LBB281_62
; %bb.61:                               ;   in Loop: Header=BB281_57 Depth=1
	v_div_scale_f64 v[6:7], null, v[26:27], v[26:27], s[8:9]
	v_div_scale_f64 v[8:9], null, v[28:29], v[28:29], s[10:11]
	v_div_scale_f64 v[34:35], vcc_lo, s[8:9], v[26:27], s[8:9]
	s_delay_alu instid0(VALU_DEP_3) | instskip(NEXT) | instid1(VALU_DEP_2)
	v_rcp_f64_e32 v[14:15], v[6:7]
	v_rcp_f64_e32 v[16:17], v[8:9]
	s_delay_alu instid0(TRANS32_DEP_2) | instskip(NEXT) | instid1(TRANS32_DEP_1)
	v_fma_f64 v[30:31], -v[6:7], v[14:15], 1.0
	v_fma_f64 v[32:33], -v[8:9], v[16:17], 1.0
	s_delay_alu instid0(VALU_DEP_2) | instskip(NEXT) | instid1(VALU_DEP_2)
	v_fmac_f64_e32 v[14:15], v[14:15], v[30:31]
	v_fmac_f64_e32 v[16:17], v[16:17], v[32:33]
	s_delay_alu instid0(VALU_DEP_2) | instskip(NEXT) | instid1(VALU_DEP_2)
	v_fma_f64 v[30:31], -v[6:7], v[14:15], 1.0
	v_fma_f64 v[32:33], -v[8:9], v[16:17], 1.0
	s_delay_alu instid0(VALU_DEP_2) | instskip(SKIP_1) | instid1(VALU_DEP_3)
	v_fmac_f64_e32 v[14:15], v[14:15], v[30:31]
	v_div_scale_f64 v[30:31], s0, s[10:11], v[28:29], s[10:11]
	v_fmac_f64_e32 v[16:17], v[16:17], v[32:33]
	s_delay_alu instid0(VALU_DEP_3) | instskip(NEXT) | instid1(VALU_DEP_2)
	v_mul_f64_e32 v[32:33], v[34:35], v[14:15]
	v_mul_f64_e32 v[36:37], v[30:31], v[16:17]
	s_delay_alu instid0(VALU_DEP_2) | instskip(NEXT) | instid1(VALU_DEP_2)
	v_fma_f64 v[6:7], -v[6:7], v[32:33], v[34:35]
	v_fma_f64 v[8:9], -v[8:9], v[36:37], v[30:31]
	s_delay_alu instid0(VALU_DEP_2) | instskip(SKIP_1) | instid1(VALU_DEP_2)
	v_div_fmas_f64 v[6:7], v[6:7], v[14:15], v[32:33]
	s_mov_b32 vcc_lo, s0
	v_div_fmas_f64 v[8:9], v[8:9], v[16:17], v[36:37]
	s_delay_alu instid0(VALU_DEP_2) | instskip(NEXT) | instid1(VALU_DEP_2)
	v_div_fixup_f64 v[6:7], v[6:7], v[26:27], s[8:9]
	v_div_fixup_f64 v[8:9], v[8:9], v[28:29], s[10:11]
.LBB281_62:                             ;   in Loop: Header=BB281_57 Depth=1
	s_or_b32 exec_lo, exec_lo, s7
                                        ; implicit-def: $vgpr16_vgpr17
.LBB281_63:                             ;   in Loop: Header=BB281_57 Depth=1
	s_and_not1_saveexec_b32 s0, s6
	s_cbranch_execz .LBB281_65
; %bb.64:                               ;   in Loop: Header=BB281_57 Depth=1
	v_div_scale_f64 v[6:7], null, v[16:17], v[16:17], v[14:15]
	v_div_scale_f64 v[28:29], vcc_lo, v[14:15], v[16:17], v[14:15]
	s_delay_alu instid0(VALU_DEP_2) | instskip(SKIP_1) | instid1(TRANS32_DEP_1)
	v_rcp_f64_e32 v[8:9], v[6:7]
	v_nop
	v_fma_f64 v[26:27], -v[6:7], v[8:9], 1.0
	s_delay_alu instid0(VALU_DEP_1) | instskip(NEXT) | instid1(VALU_DEP_1)
	v_fmac_f64_e32 v[8:9], v[8:9], v[26:27]
	v_fma_f64 v[26:27], -v[6:7], v[8:9], 1.0
	s_delay_alu instid0(VALU_DEP_1) | instskip(NEXT) | instid1(VALU_DEP_1)
	v_fmac_f64_e32 v[8:9], v[8:9], v[26:27]
	v_mul_f64_e32 v[26:27], v[28:29], v[8:9]
	s_delay_alu instid0(VALU_DEP_1) | instskip(NEXT) | instid1(VALU_DEP_1)
	v_fma_f64 v[6:7], -v[6:7], v[26:27], v[28:29]
	v_div_fmas_f64 v[6:7], v[6:7], v[8:9], v[26:27]
	s_delay_alu instid0(VALU_DEP_1) | instskip(NEXT) | instid1(VALU_DEP_1)
	v_div_fixup_f64 v[6:7], v[6:7], v[16:17], v[14:15]
	v_fmac_f64_e32 v[16:17], v[14:15], v[6:7]
	s_delay_alu instid0(VALU_DEP_1) | instskip(SKIP_1) | instid1(VALU_DEP_2)
	v_div_scale_f64 v[8:9], null, v[16:17], v[16:17], 1.0
	v_div_scale_f64 v[28:29], vcc_lo, 1.0, v[16:17], 1.0
	v_rcp_f64_e32 v[14:15], v[8:9]
	v_nop
	s_delay_alu instid0(TRANS32_DEP_1) | instskip(NEXT) | instid1(VALU_DEP_1)
	v_fma_f64 v[26:27], -v[8:9], v[14:15], 1.0
	v_fmac_f64_e32 v[14:15], v[14:15], v[26:27]
	s_delay_alu instid0(VALU_DEP_1) | instskip(NEXT) | instid1(VALU_DEP_1)
	v_fma_f64 v[26:27], -v[8:9], v[14:15], 1.0
	v_fmac_f64_e32 v[14:15], v[14:15], v[26:27]
	s_delay_alu instid0(VALU_DEP_1) | instskip(NEXT) | instid1(VALU_DEP_1)
	v_mul_f64_e32 v[26:27], v[28:29], v[14:15]
	v_fma_f64 v[8:9], -v[8:9], v[26:27], v[28:29]
	s_delay_alu instid0(VALU_DEP_1) | instskip(SKIP_1) | instid1(VALU_DEP_2)
	v_div_fmas_f64 v[8:9], v[8:9], v[14:15], v[26:27]
	v_fma_f64 v[14:15], s[8:9], v[6:7], s[10:11]
	v_div_fixup_f64 v[8:9], v[8:9], v[16:17], 1.0
	v_fma_f64 v[16:17], s[10:11], v[6:7], -s[8:9]
	s_delay_alu instid0(VALU_DEP_2) | instskip(NEXT) | instid1(VALU_DEP_2)
	v_mul_f64_e32 v[6:7], v[14:15], v[8:9]
	v_mul_f64_e32 v[8:9], v[16:17], v[8:9]
.LBB281_65:                             ;   in Loop: Header=BB281_57 Depth=1
	s_or_b32 exec_lo, exec_lo, s0
	s_wait_loadcnt 0x2
	v_cmp_gt_f64_e32 vcc_lo, 0, v[18:19]
	v_xor_b32_e32 v14, 0x80000000, v19
	v_mov_b32_e32 v26, v18
	v_xor_b32_e32 v15, 0x80000000, v21
	s_mov_b32 s0, exec_lo
	s_delay_alu instid0(VALU_DEP_3) | instskip(SKIP_1) | instid1(VALU_DEP_3)
	v_dual_mov_b32 v28, v20 :: v_dual_cndmask_b32 v27, v19, v14
	v_cmp_gt_f64_e32 vcc_lo, 0, v[20:21]
	v_cndmask_b32_e32 v29, v21, v15, vcc_lo
                                        ; implicit-def: $vgpr16_vgpr17
	s_delay_alu instid0(VALU_DEP_1)
	v_cmpx_ge_f64_e32 v[26:27], v[28:29]
	s_xor_b32 s6, exec_lo, s0
	s_cbranch_execz .LBB281_71
; %bb.66:                               ;   in Loop: Header=BB281_57 Depth=1
	v_cmp_neq_f64_e32 vcc_lo, 0, v[18:19]
	v_cmp_neq_f64_e64 s0, 0, v[20:21]
                                        ; implicit-def: $vgpr16_vgpr17
	s_or_b32 s0, vcc_lo, s0
	s_delay_alu instid0(SALU_CYCLE_1) | instskip(NEXT) | instid1(SALU_CYCLE_1)
	s_and_saveexec_b32 s7, s0
	s_xor_b32 s0, exec_lo, s7
	s_cbranch_execz .LBB281_68
; %bb.67:                               ;   in Loop: Header=BB281_57 Depth=1
	v_div_scale_f64 v[14:15], null, v[18:19], v[18:19], v[20:21]
	v_div_scale_f64 v[28:29], vcc_lo, v[20:21], v[18:19], v[20:21]
	s_delay_alu instid0(VALU_DEP_2) | instskip(SKIP_1) | instid1(TRANS32_DEP_1)
	v_rcp_f64_e32 v[16:17], v[14:15]
	v_nop
	v_fma_f64 v[26:27], -v[14:15], v[16:17], 1.0
	s_delay_alu instid0(VALU_DEP_1) | instskip(NEXT) | instid1(VALU_DEP_1)
	v_fmac_f64_e32 v[16:17], v[16:17], v[26:27]
	v_fma_f64 v[26:27], -v[14:15], v[16:17], 1.0
	s_delay_alu instid0(VALU_DEP_1) | instskip(NEXT) | instid1(VALU_DEP_1)
	v_fmac_f64_e32 v[16:17], v[16:17], v[26:27]
	v_mul_f64_e32 v[26:27], v[28:29], v[16:17]
	s_delay_alu instid0(VALU_DEP_1) | instskip(NEXT) | instid1(VALU_DEP_1)
	v_fma_f64 v[14:15], -v[14:15], v[26:27], v[28:29]
	v_div_fmas_f64 v[14:15], v[14:15], v[16:17], v[26:27]
	s_delay_alu instid0(VALU_DEP_1) | instskip(NEXT) | instid1(VALU_DEP_1)
	v_div_fixup_f64 v[14:15], v[14:15], v[18:19], v[20:21]
	v_fmac_f64_e32 v[18:19], v[20:21], v[14:15]
	s_delay_alu instid0(VALU_DEP_1) | instskip(SKIP_1) | instid1(VALU_DEP_2)
	v_div_scale_f64 v[16:17], null, v[18:19], v[18:19], 1.0
	v_div_scale_f64 v[28:29], vcc_lo, 1.0, v[18:19], 1.0
	v_rcp_f64_e32 v[20:21], v[16:17]
	v_nop
	s_delay_alu instid0(TRANS32_DEP_1) | instskip(NEXT) | instid1(VALU_DEP_1)
	v_fma_f64 v[26:27], -v[16:17], v[20:21], 1.0
	v_fmac_f64_e32 v[20:21], v[20:21], v[26:27]
	s_delay_alu instid0(VALU_DEP_1) | instskip(NEXT) | instid1(VALU_DEP_1)
	v_fma_f64 v[26:27], -v[16:17], v[20:21], 1.0
	v_fmac_f64_e32 v[20:21], v[20:21], v[26:27]
	s_delay_alu instid0(VALU_DEP_1) | instskip(NEXT) | instid1(VALU_DEP_1)
	v_mul_f64_e32 v[26:27], v[28:29], v[20:21]
	v_fma_f64 v[16:17], -v[16:17], v[26:27], v[28:29]
                                        ; implicit-def: $vgpr28_vgpr29
	s_delay_alu instid0(VALU_DEP_1) | instskip(SKIP_1) | instid1(VALU_DEP_2)
	v_div_fmas_f64 v[16:17], v[16:17], v[20:21], v[26:27]
	v_fma_f64 v[20:21], s[10:11], v[14:15], s[8:9]
                                        ; implicit-def: $vgpr26_vgpr27
	v_div_fixup_f64 v[16:17], v[16:17], v[18:19], 1.0
	v_fma_f64 v[18:19], -s[8:9], v[14:15], s[10:11]
	s_delay_alu instid0(VALU_DEP_2) | instskip(NEXT) | instid1(VALU_DEP_2)
	v_mul_f64_e32 v[14:15], v[20:21], v[16:17]
	v_mul_f64_e32 v[16:17], v[18:19], v[16:17]
.LBB281_68:                             ;   in Loop: Header=BB281_57 Depth=1
	s_and_not1_saveexec_b32 s7, s0
	s_cbranch_execz .LBB281_70
; %bb.69:                               ;   in Loop: Header=BB281_57 Depth=1
	v_div_scale_f64 v[14:15], null, v[26:27], v[26:27], s[8:9]
	v_div_scale_f64 v[16:17], null, v[28:29], v[28:29], s[10:11]
	v_div_scale_f64 v[34:35], vcc_lo, s[8:9], v[26:27], s[8:9]
	s_delay_alu instid0(VALU_DEP_3) | instskip(NEXT) | instid1(VALU_DEP_2)
	v_rcp_f64_e32 v[18:19], v[14:15]
	v_rcp_f64_e32 v[20:21], v[16:17]
	s_delay_alu instid0(TRANS32_DEP_2) | instskip(NEXT) | instid1(TRANS32_DEP_1)
	v_fma_f64 v[30:31], -v[14:15], v[18:19], 1.0
	v_fma_f64 v[32:33], -v[16:17], v[20:21], 1.0
	s_delay_alu instid0(VALU_DEP_2) | instskip(NEXT) | instid1(VALU_DEP_2)
	v_fmac_f64_e32 v[18:19], v[18:19], v[30:31]
	v_fmac_f64_e32 v[20:21], v[20:21], v[32:33]
	s_delay_alu instid0(VALU_DEP_2) | instskip(NEXT) | instid1(VALU_DEP_2)
	v_fma_f64 v[30:31], -v[14:15], v[18:19], 1.0
	v_fma_f64 v[32:33], -v[16:17], v[20:21], 1.0
	s_delay_alu instid0(VALU_DEP_2) | instskip(SKIP_1) | instid1(VALU_DEP_3)
	v_fmac_f64_e32 v[18:19], v[18:19], v[30:31]
	v_div_scale_f64 v[30:31], s0, s[10:11], v[28:29], s[10:11]
	v_fmac_f64_e32 v[20:21], v[20:21], v[32:33]
	s_delay_alu instid0(VALU_DEP_3) | instskip(NEXT) | instid1(VALU_DEP_2)
	v_mul_f64_e32 v[32:33], v[34:35], v[18:19]
	v_mul_f64_e32 v[36:37], v[30:31], v[20:21]
	s_delay_alu instid0(VALU_DEP_2) | instskip(NEXT) | instid1(VALU_DEP_2)
	v_fma_f64 v[14:15], -v[14:15], v[32:33], v[34:35]
	v_fma_f64 v[16:17], -v[16:17], v[36:37], v[30:31]
	s_delay_alu instid0(VALU_DEP_2) | instskip(SKIP_1) | instid1(VALU_DEP_2)
	v_div_fmas_f64 v[14:15], v[14:15], v[18:19], v[32:33]
	s_mov_b32 vcc_lo, s0
	v_div_fmas_f64 v[16:17], v[16:17], v[20:21], v[36:37]
	s_delay_alu instid0(VALU_DEP_2) | instskip(NEXT) | instid1(VALU_DEP_2)
	v_div_fixup_f64 v[14:15], v[14:15], v[26:27], s[8:9]
	v_div_fixup_f64 v[16:17], v[16:17], v[28:29], s[10:11]
.LBB281_70:                             ;   in Loop: Header=BB281_57 Depth=1
	s_or_b32 exec_lo, exec_lo, s7
                                        ; implicit-def: $vgpr20_vgpr21
.LBB281_71:                             ;   in Loop: Header=BB281_57 Depth=1
	s_and_not1_saveexec_b32 s0, s6
	s_cbranch_execz .LBB281_73
; %bb.72:                               ;   in Loop: Header=BB281_57 Depth=1
	v_div_scale_f64 v[14:15], null, v[20:21], v[20:21], v[18:19]
	v_div_scale_f64 v[28:29], vcc_lo, v[18:19], v[20:21], v[18:19]
	s_delay_alu instid0(VALU_DEP_2) | instskip(SKIP_1) | instid1(TRANS32_DEP_1)
	v_rcp_f64_e32 v[16:17], v[14:15]
	v_nop
	v_fma_f64 v[26:27], -v[14:15], v[16:17], 1.0
	s_delay_alu instid0(VALU_DEP_1) | instskip(NEXT) | instid1(VALU_DEP_1)
	v_fmac_f64_e32 v[16:17], v[16:17], v[26:27]
	v_fma_f64 v[26:27], -v[14:15], v[16:17], 1.0
	s_delay_alu instid0(VALU_DEP_1) | instskip(NEXT) | instid1(VALU_DEP_1)
	v_fmac_f64_e32 v[16:17], v[16:17], v[26:27]
	v_mul_f64_e32 v[26:27], v[28:29], v[16:17]
	s_delay_alu instid0(VALU_DEP_1) | instskip(NEXT) | instid1(VALU_DEP_1)
	v_fma_f64 v[14:15], -v[14:15], v[26:27], v[28:29]
	v_div_fmas_f64 v[14:15], v[14:15], v[16:17], v[26:27]
	s_delay_alu instid0(VALU_DEP_1) | instskip(NEXT) | instid1(VALU_DEP_1)
	v_div_fixup_f64 v[14:15], v[14:15], v[20:21], v[18:19]
	v_fmac_f64_e32 v[20:21], v[18:19], v[14:15]
	s_delay_alu instid0(VALU_DEP_1) | instskip(SKIP_1) | instid1(VALU_DEP_2)
	v_div_scale_f64 v[16:17], null, v[20:21], v[20:21], 1.0
	v_div_scale_f64 v[28:29], vcc_lo, 1.0, v[20:21], 1.0
	v_rcp_f64_e32 v[18:19], v[16:17]
	v_nop
	s_delay_alu instid0(TRANS32_DEP_1) | instskip(NEXT) | instid1(VALU_DEP_1)
	v_fma_f64 v[26:27], -v[16:17], v[18:19], 1.0
	v_fmac_f64_e32 v[18:19], v[18:19], v[26:27]
	s_delay_alu instid0(VALU_DEP_1) | instskip(NEXT) | instid1(VALU_DEP_1)
	v_fma_f64 v[26:27], -v[16:17], v[18:19], 1.0
	v_fmac_f64_e32 v[18:19], v[18:19], v[26:27]
	s_delay_alu instid0(VALU_DEP_1) | instskip(NEXT) | instid1(VALU_DEP_1)
	v_mul_f64_e32 v[26:27], v[28:29], v[18:19]
	v_fma_f64 v[16:17], -v[16:17], v[26:27], v[28:29]
	s_delay_alu instid0(VALU_DEP_1) | instskip(SKIP_1) | instid1(VALU_DEP_2)
	v_div_fmas_f64 v[16:17], v[16:17], v[18:19], v[26:27]
	v_fma_f64 v[18:19], s[8:9], v[14:15], s[10:11]
	v_div_fixup_f64 v[16:17], v[16:17], v[20:21], 1.0
	v_fma_f64 v[20:21], s[10:11], v[14:15], -s[8:9]
	s_delay_alu instid0(VALU_DEP_2) | instskip(NEXT) | instid1(VALU_DEP_2)
	v_mul_f64_e32 v[14:15], v[18:19], v[16:17]
	v_mul_f64_e32 v[16:17], v[20:21], v[16:17]
.LBB281_73:                             ;   in Loop: Header=BB281_57 Depth=1
	s_or_b32 exec_lo, exec_lo, s0
	s_wait_loadcnt 0x0
	v_cmp_gt_f64_e32 vcc_lo, 0, v[10:11]
	v_xor_b32_e32 v18, 0x80000000, v11
	v_mov_b32_e32 v26, v10
	v_xor_b32_e32 v19, 0x80000000, v13
	s_mov_b32 s0, exec_lo
	s_delay_alu instid0(VALU_DEP_3) | instskip(SKIP_1) | instid1(VALU_DEP_3)
	v_dual_mov_b32 v28, v12 :: v_dual_cndmask_b32 v27, v11, v18
	v_cmp_gt_f64_e32 vcc_lo, 0, v[12:13]
	v_cndmask_b32_e32 v29, v13, v19, vcc_lo
                                        ; implicit-def: $vgpr20_vgpr21
	s_delay_alu instid0(VALU_DEP_1)
	v_cmpx_ge_f64_e32 v[26:27], v[28:29]
	s_xor_b32 s6, exec_lo, s0
	s_cbranch_execz .LBB281_79
; %bb.74:                               ;   in Loop: Header=BB281_57 Depth=1
	v_cmp_neq_f64_e32 vcc_lo, 0, v[10:11]
	v_cmp_neq_f64_e64 s0, 0, v[12:13]
                                        ; implicit-def: $vgpr20_vgpr21
	s_or_b32 s0, vcc_lo, s0
	s_delay_alu instid0(SALU_CYCLE_1) | instskip(NEXT) | instid1(SALU_CYCLE_1)
	s_and_saveexec_b32 s7, s0
	s_xor_b32 s0, exec_lo, s7
	s_cbranch_execz .LBB281_76
; %bb.75:                               ;   in Loop: Header=BB281_57 Depth=1
	v_div_scale_f64 v[18:19], null, v[10:11], v[10:11], v[12:13]
	v_div_scale_f64 v[28:29], vcc_lo, v[12:13], v[10:11], v[12:13]
	s_delay_alu instid0(VALU_DEP_2) | instskip(SKIP_1) | instid1(TRANS32_DEP_1)
	v_rcp_f64_e32 v[20:21], v[18:19]
	v_nop
	v_fma_f64 v[26:27], -v[18:19], v[20:21], 1.0
	s_delay_alu instid0(VALU_DEP_1) | instskip(NEXT) | instid1(VALU_DEP_1)
	v_fmac_f64_e32 v[20:21], v[20:21], v[26:27]
	v_fma_f64 v[26:27], -v[18:19], v[20:21], 1.0
	s_delay_alu instid0(VALU_DEP_1) | instskip(NEXT) | instid1(VALU_DEP_1)
	v_fmac_f64_e32 v[20:21], v[20:21], v[26:27]
	v_mul_f64_e32 v[26:27], v[28:29], v[20:21]
	s_delay_alu instid0(VALU_DEP_1) | instskip(NEXT) | instid1(VALU_DEP_1)
	v_fma_f64 v[18:19], -v[18:19], v[26:27], v[28:29]
	v_div_fmas_f64 v[18:19], v[18:19], v[20:21], v[26:27]
	s_delay_alu instid0(VALU_DEP_1) | instskip(NEXT) | instid1(VALU_DEP_1)
	v_div_fixup_f64 v[18:19], v[18:19], v[10:11], v[12:13]
	v_fmac_f64_e32 v[10:11], v[12:13], v[18:19]
	s_delay_alu instid0(VALU_DEP_1) | instskip(SKIP_1) | instid1(VALU_DEP_2)
	v_div_scale_f64 v[12:13], null, v[10:11], v[10:11], 1.0
	v_div_scale_f64 v[28:29], vcc_lo, 1.0, v[10:11], 1.0
	v_rcp_f64_e32 v[20:21], v[12:13]
	v_nop
	s_delay_alu instid0(TRANS32_DEP_1) | instskip(NEXT) | instid1(VALU_DEP_1)
	v_fma_f64 v[26:27], -v[12:13], v[20:21], 1.0
	v_fmac_f64_e32 v[20:21], v[20:21], v[26:27]
	s_delay_alu instid0(VALU_DEP_1) | instskip(NEXT) | instid1(VALU_DEP_1)
	v_fma_f64 v[26:27], -v[12:13], v[20:21], 1.0
	v_fmac_f64_e32 v[20:21], v[20:21], v[26:27]
	s_delay_alu instid0(VALU_DEP_1) | instskip(NEXT) | instid1(VALU_DEP_1)
	v_mul_f64_e32 v[26:27], v[28:29], v[20:21]
	v_fma_f64 v[12:13], -v[12:13], v[26:27], v[28:29]
                                        ; implicit-def: $vgpr28_vgpr29
	s_delay_alu instid0(VALU_DEP_1) | instskip(SKIP_1) | instid1(VALU_DEP_2)
	v_div_fmas_f64 v[12:13], v[12:13], v[20:21], v[26:27]
	v_fma_f64 v[20:21], s[10:11], v[18:19], s[8:9]
                                        ; implicit-def: $vgpr26_vgpr27
	v_div_fixup_f64 v[10:11], v[12:13], v[10:11], 1.0
	v_fma_f64 v[12:13], -s[8:9], v[18:19], s[10:11]
	s_delay_alu instid0(VALU_DEP_2) | instskip(NEXT) | instid1(VALU_DEP_2)
	v_mul_f64_e32 v[18:19], v[20:21], v[10:11]
	v_mul_f64_e32 v[20:21], v[12:13], v[10:11]
.LBB281_76:                             ;   in Loop: Header=BB281_57 Depth=1
	s_and_not1_saveexec_b32 s7, s0
	s_cbranch_execz .LBB281_78
; %bb.77:                               ;   in Loop: Header=BB281_57 Depth=1
	v_div_scale_f64 v[10:11], null, v[26:27], v[26:27], s[8:9]
	v_div_scale_f64 v[12:13], null, v[28:29], v[28:29], s[10:11]
	v_div_scale_f64 v[34:35], vcc_lo, s[8:9], v[26:27], s[8:9]
	s_delay_alu instid0(VALU_DEP_3) | instskip(NEXT) | instid1(VALU_DEP_2)
	v_rcp_f64_e32 v[18:19], v[10:11]
	v_rcp_f64_e32 v[20:21], v[12:13]
	s_delay_alu instid0(TRANS32_DEP_2) | instskip(NEXT) | instid1(TRANS32_DEP_1)
	v_fma_f64 v[30:31], -v[10:11], v[18:19], 1.0
	v_fma_f64 v[32:33], -v[12:13], v[20:21], 1.0
	s_delay_alu instid0(VALU_DEP_2) | instskip(NEXT) | instid1(VALU_DEP_2)
	v_fmac_f64_e32 v[18:19], v[18:19], v[30:31]
	v_fmac_f64_e32 v[20:21], v[20:21], v[32:33]
	s_delay_alu instid0(VALU_DEP_2) | instskip(NEXT) | instid1(VALU_DEP_2)
	v_fma_f64 v[30:31], -v[10:11], v[18:19], 1.0
	v_fma_f64 v[32:33], -v[12:13], v[20:21], 1.0
	s_delay_alu instid0(VALU_DEP_2) | instskip(SKIP_1) | instid1(VALU_DEP_3)
	v_fmac_f64_e32 v[18:19], v[18:19], v[30:31]
	v_div_scale_f64 v[30:31], s0, s[10:11], v[28:29], s[10:11]
	v_fmac_f64_e32 v[20:21], v[20:21], v[32:33]
	s_delay_alu instid0(VALU_DEP_3) | instskip(NEXT) | instid1(VALU_DEP_2)
	v_mul_f64_e32 v[32:33], v[34:35], v[18:19]
	v_mul_f64_e32 v[36:37], v[30:31], v[20:21]
	s_delay_alu instid0(VALU_DEP_2) | instskip(NEXT) | instid1(VALU_DEP_2)
	v_fma_f64 v[10:11], -v[10:11], v[32:33], v[34:35]
	v_fma_f64 v[12:13], -v[12:13], v[36:37], v[30:31]
	s_delay_alu instid0(VALU_DEP_2) | instskip(SKIP_1) | instid1(VALU_DEP_2)
	v_div_fmas_f64 v[10:11], v[10:11], v[18:19], v[32:33]
	s_mov_b32 vcc_lo, s0
	v_div_fmas_f64 v[12:13], v[12:13], v[20:21], v[36:37]
	s_delay_alu instid0(VALU_DEP_2) | instskip(NEXT) | instid1(VALU_DEP_2)
	v_div_fixup_f64 v[18:19], v[10:11], v[26:27], s[8:9]
	v_div_fixup_f64 v[20:21], v[12:13], v[28:29], s[10:11]
.LBB281_78:                             ;   in Loop: Header=BB281_57 Depth=1
	s_or_b32 exec_lo, exec_lo, s7
                                        ; implicit-def: $vgpr12_vgpr13
.LBB281_79:                             ;   in Loop: Header=BB281_57 Depth=1
	s_and_not1_saveexec_b32 s0, s6
	s_cbranch_execz .LBB281_81
; %bb.80:                               ;   in Loop: Header=BB281_57 Depth=1
	v_div_scale_f64 v[18:19], null, v[12:13], v[12:13], v[10:11]
	v_div_scale_f64 v[28:29], vcc_lo, v[10:11], v[12:13], v[10:11]
	s_delay_alu instid0(VALU_DEP_2) | instskip(SKIP_1) | instid1(TRANS32_DEP_1)
	v_rcp_f64_e32 v[20:21], v[18:19]
	v_nop
	v_fma_f64 v[26:27], -v[18:19], v[20:21], 1.0
	s_delay_alu instid0(VALU_DEP_1) | instskip(NEXT) | instid1(VALU_DEP_1)
	v_fmac_f64_e32 v[20:21], v[20:21], v[26:27]
	v_fma_f64 v[26:27], -v[18:19], v[20:21], 1.0
	s_delay_alu instid0(VALU_DEP_1) | instskip(NEXT) | instid1(VALU_DEP_1)
	v_fmac_f64_e32 v[20:21], v[20:21], v[26:27]
	v_mul_f64_e32 v[26:27], v[28:29], v[20:21]
	s_delay_alu instid0(VALU_DEP_1) | instskip(NEXT) | instid1(VALU_DEP_1)
	v_fma_f64 v[18:19], -v[18:19], v[26:27], v[28:29]
	v_div_fmas_f64 v[18:19], v[18:19], v[20:21], v[26:27]
	s_delay_alu instid0(VALU_DEP_1) | instskip(NEXT) | instid1(VALU_DEP_1)
	v_div_fixup_f64 v[18:19], v[18:19], v[12:13], v[10:11]
	v_fmac_f64_e32 v[12:13], v[10:11], v[18:19]
	s_delay_alu instid0(VALU_DEP_1) | instskip(SKIP_1) | instid1(VALU_DEP_2)
	v_div_scale_f64 v[10:11], null, v[12:13], v[12:13], 1.0
	v_div_scale_f64 v[28:29], vcc_lo, 1.0, v[12:13], 1.0
	v_rcp_f64_e32 v[20:21], v[10:11]
	v_nop
	s_delay_alu instid0(TRANS32_DEP_1) | instskip(NEXT) | instid1(VALU_DEP_1)
	v_fma_f64 v[26:27], -v[10:11], v[20:21], 1.0
	v_fmac_f64_e32 v[20:21], v[20:21], v[26:27]
	s_delay_alu instid0(VALU_DEP_1) | instskip(NEXT) | instid1(VALU_DEP_1)
	v_fma_f64 v[26:27], -v[10:11], v[20:21], 1.0
	v_fmac_f64_e32 v[20:21], v[20:21], v[26:27]
	s_delay_alu instid0(VALU_DEP_1) | instskip(NEXT) | instid1(VALU_DEP_1)
	v_mul_f64_e32 v[26:27], v[28:29], v[20:21]
	v_fma_f64 v[10:11], -v[10:11], v[26:27], v[28:29]
	s_delay_alu instid0(VALU_DEP_1) | instskip(SKIP_1) | instid1(VALU_DEP_2)
	v_div_fmas_f64 v[10:11], v[10:11], v[20:21], v[26:27]
	v_fma_f64 v[20:21], s[8:9], v[18:19], s[10:11]
	v_div_fixup_f64 v[10:11], v[10:11], v[12:13], 1.0
	v_fma_f64 v[12:13], s[10:11], v[18:19], -s[8:9]
	s_delay_alu instid0(VALU_DEP_2) | instskip(NEXT) | instid1(VALU_DEP_2)
	v_mul_f64_e32 v[18:19], v[20:21], v[10:11]
	v_mul_f64_e32 v[20:21], v[12:13], v[10:11]
.LBB281_81:                             ;   in Loop: Header=BB281_57 Depth=1
	s_or_b32 exec_lo, exec_lo, s0
	v_cmp_gt_f64_e32 vcc_lo, 0, v[2:3]
	v_xor_b32_e32 v10, 0x80000000, v3
	v_mov_b32_e32 v26, v2
	v_xor_b32_e32 v11, 0x80000000, v5
	s_mov_b32 s0, exec_lo
	s_delay_alu instid0(VALU_DEP_3) | instskip(SKIP_1) | instid1(VALU_DEP_3)
	v_dual_mov_b32 v28, v4 :: v_dual_cndmask_b32 v27, v3, v10
	v_cmp_gt_f64_e32 vcc_lo, 0, v[4:5]
	v_cndmask_b32_e32 v29, v5, v11, vcc_lo
                                        ; implicit-def: $vgpr12_vgpr13
	s_delay_alu instid0(VALU_DEP_1)
	v_cmpx_ge_f64_e32 v[26:27], v[28:29]
	s_xor_b32 s6, exec_lo, s0
	s_cbranch_execz .LBB281_87
; %bb.82:                               ;   in Loop: Header=BB281_57 Depth=1
	v_cmp_neq_f64_e32 vcc_lo, 0, v[2:3]
	v_cmp_neq_f64_e64 s0, 0, v[4:5]
                                        ; implicit-def: $vgpr12_vgpr13
	s_or_b32 s0, vcc_lo, s0
	s_delay_alu instid0(SALU_CYCLE_1) | instskip(NEXT) | instid1(SALU_CYCLE_1)
	s_and_saveexec_b32 s7, s0
	s_xor_b32 s0, exec_lo, s7
	s_cbranch_execz .LBB281_84
; %bb.83:                               ;   in Loop: Header=BB281_57 Depth=1
	v_div_scale_f64 v[10:11], null, v[2:3], v[2:3], v[4:5]
	v_div_scale_f64 v[28:29], vcc_lo, v[4:5], v[2:3], v[4:5]
	s_delay_alu instid0(VALU_DEP_2) | instskip(SKIP_1) | instid1(TRANS32_DEP_1)
	v_rcp_f64_e32 v[12:13], v[10:11]
	v_nop
	v_fma_f64 v[26:27], -v[10:11], v[12:13], 1.0
	s_delay_alu instid0(VALU_DEP_1) | instskip(NEXT) | instid1(VALU_DEP_1)
	v_fmac_f64_e32 v[12:13], v[12:13], v[26:27]
	v_fma_f64 v[26:27], -v[10:11], v[12:13], 1.0
	s_delay_alu instid0(VALU_DEP_1) | instskip(NEXT) | instid1(VALU_DEP_1)
	v_fmac_f64_e32 v[12:13], v[12:13], v[26:27]
	v_mul_f64_e32 v[26:27], v[28:29], v[12:13]
	s_delay_alu instid0(VALU_DEP_1) | instskip(NEXT) | instid1(VALU_DEP_1)
	v_fma_f64 v[10:11], -v[10:11], v[26:27], v[28:29]
	v_div_fmas_f64 v[10:11], v[10:11], v[12:13], v[26:27]
	s_delay_alu instid0(VALU_DEP_1) | instskip(NEXT) | instid1(VALU_DEP_1)
	v_div_fixup_f64 v[10:11], v[10:11], v[2:3], v[4:5]
	v_fmac_f64_e32 v[2:3], v[4:5], v[10:11]
	s_delay_alu instid0(VALU_DEP_1) | instskip(SKIP_1) | instid1(VALU_DEP_2)
	v_div_scale_f64 v[4:5], null, v[2:3], v[2:3], 1.0
	v_div_scale_f64 v[28:29], vcc_lo, 1.0, v[2:3], 1.0
	v_rcp_f64_e32 v[12:13], v[4:5]
	v_nop
	s_delay_alu instid0(TRANS32_DEP_1) | instskip(NEXT) | instid1(VALU_DEP_1)
	v_fma_f64 v[26:27], -v[4:5], v[12:13], 1.0
	v_fmac_f64_e32 v[12:13], v[12:13], v[26:27]
	s_delay_alu instid0(VALU_DEP_1) | instskip(NEXT) | instid1(VALU_DEP_1)
	v_fma_f64 v[26:27], -v[4:5], v[12:13], 1.0
	v_fmac_f64_e32 v[12:13], v[12:13], v[26:27]
	s_delay_alu instid0(VALU_DEP_1) | instskip(NEXT) | instid1(VALU_DEP_1)
	v_mul_f64_e32 v[26:27], v[28:29], v[12:13]
	v_fma_f64 v[4:5], -v[4:5], v[26:27], v[28:29]
                                        ; implicit-def: $vgpr28_vgpr29
	s_delay_alu instid0(VALU_DEP_1) | instskip(SKIP_1) | instid1(VALU_DEP_2)
	v_div_fmas_f64 v[4:5], v[4:5], v[12:13], v[26:27]
	v_fma_f64 v[12:13], s[10:11], v[10:11], s[8:9]
                                        ; implicit-def: $vgpr26_vgpr27
	v_div_fixup_f64 v[2:3], v[4:5], v[2:3], 1.0
	v_fma_f64 v[4:5], -s[8:9], v[10:11], s[10:11]
	s_delay_alu instid0(VALU_DEP_2) | instskip(NEXT) | instid1(VALU_DEP_2)
	v_mul_f64_e32 v[10:11], v[12:13], v[2:3]
	v_mul_f64_e32 v[12:13], v[4:5], v[2:3]
.LBB281_84:                             ;   in Loop: Header=BB281_57 Depth=1
	s_and_not1_saveexec_b32 s7, s0
	s_cbranch_execz .LBB281_86
; %bb.85:                               ;   in Loop: Header=BB281_57 Depth=1
	v_div_scale_f64 v[2:3], null, v[26:27], v[26:27], s[8:9]
	v_div_scale_f64 v[4:5], null, v[28:29], v[28:29], s[10:11]
	v_div_scale_f64 v[34:35], vcc_lo, s[8:9], v[26:27], s[8:9]
	s_delay_alu instid0(VALU_DEP_3) | instskip(NEXT) | instid1(VALU_DEP_2)
	v_rcp_f64_e32 v[10:11], v[2:3]
	v_rcp_f64_e32 v[12:13], v[4:5]
	s_delay_alu instid0(TRANS32_DEP_2) | instskip(NEXT) | instid1(TRANS32_DEP_1)
	v_fma_f64 v[30:31], -v[2:3], v[10:11], 1.0
	v_fma_f64 v[32:33], -v[4:5], v[12:13], 1.0
	s_delay_alu instid0(VALU_DEP_2) | instskip(NEXT) | instid1(VALU_DEP_2)
	v_fmac_f64_e32 v[10:11], v[10:11], v[30:31]
	v_fmac_f64_e32 v[12:13], v[12:13], v[32:33]
	s_delay_alu instid0(VALU_DEP_2) | instskip(NEXT) | instid1(VALU_DEP_2)
	v_fma_f64 v[30:31], -v[2:3], v[10:11], 1.0
	v_fma_f64 v[32:33], -v[4:5], v[12:13], 1.0
	s_delay_alu instid0(VALU_DEP_2) | instskip(SKIP_1) | instid1(VALU_DEP_3)
	v_fmac_f64_e32 v[10:11], v[10:11], v[30:31]
	v_div_scale_f64 v[30:31], s0, s[10:11], v[28:29], s[10:11]
	v_fmac_f64_e32 v[12:13], v[12:13], v[32:33]
	s_delay_alu instid0(VALU_DEP_3) | instskip(NEXT) | instid1(VALU_DEP_2)
	v_mul_f64_e32 v[32:33], v[34:35], v[10:11]
	v_mul_f64_e32 v[36:37], v[30:31], v[12:13]
	s_delay_alu instid0(VALU_DEP_2) | instskip(NEXT) | instid1(VALU_DEP_2)
	v_fma_f64 v[2:3], -v[2:3], v[32:33], v[34:35]
	v_fma_f64 v[4:5], -v[4:5], v[36:37], v[30:31]
	s_delay_alu instid0(VALU_DEP_2) | instskip(SKIP_1) | instid1(VALU_DEP_2)
	v_div_fmas_f64 v[2:3], v[2:3], v[10:11], v[32:33]
	s_mov_b32 vcc_lo, s0
	v_div_fmas_f64 v[4:5], v[4:5], v[12:13], v[36:37]
	s_delay_alu instid0(VALU_DEP_2) | instskip(NEXT) | instid1(VALU_DEP_2)
	v_div_fixup_f64 v[10:11], v[2:3], v[26:27], s[8:9]
	v_div_fixup_f64 v[12:13], v[4:5], v[28:29], s[10:11]
.LBB281_86:                             ;   in Loop: Header=BB281_57 Depth=1
	s_or_b32 exec_lo, exec_lo, s7
                                        ; implicit-def: $vgpr4_vgpr5
.LBB281_87:                             ;   in Loop: Header=BB281_57 Depth=1
	s_and_not1_saveexec_b32 s0, s6
	s_cbranch_execz .LBB281_56
; %bb.88:                               ;   in Loop: Header=BB281_57 Depth=1
	v_div_scale_f64 v[10:11], null, v[4:5], v[4:5], v[2:3]
	v_div_scale_f64 v[28:29], vcc_lo, v[2:3], v[4:5], v[2:3]
	s_delay_alu instid0(VALU_DEP_2) | instskip(SKIP_1) | instid1(TRANS32_DEP_1)
	v_rcp_f64_e32 v[12:13], v[10:11]
	v_nop
	v_fma_f64 v[26:27], -v[10:11], v[12:13], 1.0
	s_delay_alu instid0(VALU_DEP_1) | instskip(NEXT) | instid1(VALU_DEP_1)
	v_fmac_f64_e32 v[12:13], v[12:13], v[26:27]
	v_fma_f64 v[26:27], -v[10:11], v[12:13], 1.0
	s_delay_alu instid0(VALU_DEP_1) | instskip(NEXT) | instid1(VALU_DEP_1)
	v_fmac_f64_e32 v[12:13], v[12:13], v[26:27]
	v_mul_f64_e32 v[26:27], v[28:29], v[12:13]
	s_delay_alu instid0(VALU_DEP_1) | instskip(NEXT) | instid1(VALU_DEP_1)
	v_fma_f64 v[10:11], -v[10:11], v[26:27], v[28:29]
	v_div_fmas_f64 v[10:11], v[10:11], v[12:13], v[26:27]
	s_delay_alu instid0(VALU_DEP_1) | instskip(NEXT) | instid1(VALU_DEP_1)
	v_div_fixup_f64 v[10:11], v[10:11], v[4:5], v[2:3]
	v_fmac_f64_e32 v[4:5], v[2:3], v[10:11]
	s_delay_alu instid0(VALU_DEP_1) | instskip(SKIP_1) | instid1(VALU_DEP_2)
	v_div_scale_f64 v[2:3], null, v[4:5], v[4:5], 1.0
	v_div_scale_f64 v[28:29], vcc_lo, 1.0, v[4:5], 1.0
	v_rcp_f64_e32 v[12:13], v[2:3]
	v_nop
	s_delay_alu instid0(TRANS32_DEP_1) | instskip(NEXT) | instid1(VALU_DEP_1)
	v_fma_f64 v[26:27], -v[2:3], v[12:13], 1.0
	v_fmac_f64_e32 v[12:13], v[12:13], v[26:27]
	s_delay_alu instid0(VALU_DEP_1) | instskip(NEXT) | instid1(VALU_DEP_1)
	v_fma_f64 v[26:27], -v[2:3], v[12:13], 1.0
	v_fmac_f64_e32 v[12:13], v[12:13], v[26:27]
	s_delay_alu instid0(VALU_DEP_1) | instskip(NEXT) | instid1(VALU_DEP_1)
	v_mul_f64_e32 v[26:27], v[28:29], v[12:13]
	v_fma_f64 v[2:3], -v[2:3], v[26:27], v[28:29]
	s_delay_alu instid0(VALU_DEP_1) | instskip(SKIP_1) | instid1(VALU_DEP_2)
	v_div_fmas_f64 v[2:3], v[2:3], v[12:13], v[26:27]
	v_fma_f64 v[12:13], s[8:9], v[10:11], s[10:11]
	v_div_fixup_f64 v[2:3], v[2:3], v[4:5], 1.0
	v_fma_f64 v[4:5], s[10:11], v[10:11], -s[8:9]
	s_delay_alu instid0(VALU_DEP_2) | instskip(NEXT) | instid1(VALU_DEP_2)
	v_mul_f64_e32 v[10:11], v[12:13], v[2:3]
	v_mul_f64_e32 v[12:13], v[4:5], v[2:3]
	s_branch .LBB281_56
.LBB281_89:
	s_endpgm
	.section	.rodata,"a",@progbits
	.p2align	6, 0x0
	.amdhsa_kernel _ZN2at6native12_GLOBAL__N_125multi_tensor_apply_kernelINS1_18TensorListMetadataILi1EEENS1_14UnaryOpFunctorIN3c107complexIdEELi1ELi1ELi0EEEJNS0_10ReciprocalIS8_EEEEEvT_T0_DpT1_
		.amdhsa_group_segment_fixed_size 0
		.amdhsa_private_segment_fixed_size 0
		.amdhsa_kernarg_size 3648
		.amdhsa_user_sgpr_count 2
		.amdhsa_user_sgpr_dispatch_ptr 0
		.amdhsa_user_sgpr_queue_ptr 0
		.amdhsa_user_sgpr_kernarg_segment_ptr 1
		.amdhsa_user_sgpr_dispatch_id 0
		.amdhsa_user_sgpr_kernarg_preload_length 0
		.amdhsa_user_sgpr_kernarg_preload_offset 0
		.amdhsa_user_sgpr_private_segment_size 0
		.amdhsa_wavefront_size32 1
		.amdhsa_uses_dynamic_stack 0
		.amdhsa_enable_private_segment 0
		.amdhsa_system_sgpr_workgroup_id_x 1
		.amdhsa_system_sgpr_workgroup_id_y 0
		.amdhsa_system_sgpr_workgroup_id_z 0
		.amdhsa_system_sgpr_workgroup_info 0
		.amdhsa_system_vgpr_workitem_id 0
		.amdhsa_next_free_vgpr 60
		.amdhsa_next_free_sgpr 27
		.amdhsa_named_barrier_count 0
		.amdhsa_reserve_vcc 1
		.amdhsa_float_round_mode_32 0
		.amdhsa_float_round_mode_16_64 0
		.amdhsa_float_denorm_mode_32 3
		.amdhsa_float_denorm_mode_16_64 3
		.amdhsa_fp16_overflow 0
		.amdhsa_memory_ordered 1
		.amdhsa_forward_progress 1
		.amdhsa_inst_pref_size 56
		.amdhsa_round_robin_scheduling 0
		.amdhsa_exception_fp_ieee_invalid_op 0
		.amdhsa_exception_fp_denorm_src 0
		.amdhsa_exception_fp_ieee_div_zero 0
		.amdhsa_exception_fp_ieee_overflow 0
		.amdhsa_exception_fp_ieee_underflow 0
		.amdhsa_exception_fp_ieee_inexact 0
		.amdhsa_exception_int_div_zero 0
	.end_amdhsa_kernel
	.section	.text._ZN2at6native12_GLOBAL__N_125multi_tensor_apply_kernelINS1_18TensorListMetadataILi1EEENS1_14UnaryOpFunctorIN3c107complexIdEELi1ELi1ELi0EEEJNS0_10ReciprocalIS8_EEEEEvT_T0_DpT1_,"axG",@progbits,_ZN2at6native12_GLOBAL__N_125multi_tensor_apply_kernelINS1_18TensorListMetadataILi1EEENS1_14UnaryOpFunctorIN3c107complexIdEELi1ELi1ELi0EEEJNS0_10ReciprocalIS8_EEEEEvT_T0_DpT1_,comdat
.Lfunc_end281:
	.size	_ZN2at6native12_GLOBAL__N_125multi_tensor_apply_kernelINS1_18TensorListMetadataILi1EEENS1_14UnaryOpFunctorIN3c107complexIdEELi1ELi1ELi0EEEJNS0_10ReciprocalIS8_EEEEEvT_T0_DpT1_, .Lfunc_end281-_ZN2at6native12_GLOBAL__N_125multi_tensor_apply_kernelINS1_18TensorListMetadataILi1EEENS1_14UnaryOpFunctorIN3c107complexIdEELi1ELi1ELi0EEEJNS0_10ReciprocalIS8_EEEEEvT_T0_DpT1_
                                        ; -- End function
	.set _ZN2at6native12_GLOBAL__N_125multi_tensor_apply_kernelINS1_18TensorListMetadataILi1EEENS1_14UnaryOpFunctorIN3c107complexIdEELi1ELi1ELi0EEEJNS0_10ReciprocalIS8_EEEEEvT_T0_DpT1_.num_vgpr, 60
	.set _ZN2at6native12_GLOBAL__N_125multi_tensor_apply_kernelINS1_18TensorListMetadataILi1EEENS1_14UnaryOpFunctorIN3c107complexIdEELi1ELi1ELi0EEEJNS0_10ReciprocalIS8_EEEEEvT_T0_DpT1_.num_agpr, 0
	.set _ZN2at6native12_GLOBAL__N_125multi_tensor_apply_kernelINS1_18TensorListMetadataILi1EEENS1_14UnaryOpFunctorIN3c107complexIdEELi1ELi1ELi0EEEJNS0_10ReciprocalIS8_EEEEEvT_T0_DpT1_.numbered_sgpr, 27
	.set _ZN2at6native12_GLOBAL__N_125multi_tensor_apply_kernelINS1_18TensorListMetadataILi1EEENS1_14UnaryOpFunctorIN3c107complexIdEELi1ELi1ELi0EEEJNS0_10ReciprocalIS8_EEEEEvT_T0_DpT1_.num_named_barrier, 0
	.set _ZN2at6native12_GLOBAL__N_125multi_tensor_apply_kernelINS1_18TensorListMetadataILi1EEENS1_14UnaryOpFunctorIN3c107complexIdEELi1ELi1ELi0EEEJNS0_10ReciprocalIS8_EEEEEvT_T0_DpT1_.private_seg_size, 0
	.set _ZN2at6native12_GLOBAL__N_125multi_tensor_apply_kernelINS1_18TensorListMetadataILi1EEENS1_14UnaryOpFunctorIN3c107complexIdEELi1ELi1ELi0EEEJNS0_10ReciprocalIS8_EEEEEvT_T0_DpT1_.uses_vcc, 1
	.set _ZN2at6native12_GLOBAL__N_125multi_tensor_apply_kernelINS1_18TensorListMetadataILi1EEENS1_14UnaryOpFunctorIN3c107complexIdEELi1ELi1ELi0EEEJNS0_10ReciprocalIS8_EEEEEvT_T0_DpT1_.uses_flat_scratch, 0
	.set _ZN2at6native12_GLOBAL__N_125multi_tensor_apply_kernelINS1_18TensorListMetadataILi1EEENS1_14UnaryOpFunctorIN3c107complexIdEELi1ELi1ELi0EEEJNS0_10ReciprocalIS8_EEEEEvT_T0_DpT1_.has_dyn_sized_stack, 0
	.set _ZN2at6native12_GLOBAL__N_125multi_tensor_apply_kernelINS1_18TensorListMetadataILi1EEENS1_14UnaryOpFunctorIN3c107complexIdEELi1ELi1ELi0EEEJNS0_10ReciprocalIS8_EEEEEvT_T0_DpT1_.has_recursion, 0
	.set _ZN2at6native12_GLOBAL__N_125multi_tensor_apply_kernelINS1_18TensorListMetadataILi1EEENS1_14UnaryOpFunctorIN3c107complexIdEELi1ELi1ELi0EEEJNS0_10ReciprocalIS8_EEEEEvT_T0_DpT1_.has_indirect_call, 0
	.section	.AMDGPU.csdata,"",@progbits
; Kernel info:
; codeLenInByte = 7068
; TotalNumSgprs: 29
; NumVgprs: 60
; ScratchSize: 0
; MemoryBound: 1
; FloatMode: 240
; IeeeMode: 1
; LDSByteSize: 0 bytes/workgroup (compile time only)
; SGPRBlocks: 0
; VGPRBlocks: 3
; NumSGPRsForWavesPerEU: 29
; NumVGPRsForWavesPerEU: 60
; NamedBarCnt: 0
; Occupancy: 16
; WaveLimiterHint : 0
; COMPUTE_PGM_RSRC2:SCRATCH_EN: 0
; COMPUTE_PGM_RSRC2:USER_SGPR: 2
; COMPUTE_PGM_RSRC2:TRAP_HANDLER: 0
; COMPUTE_PGM_RSRC2:TGID_X_EN: 1
; COMPUTE_PGM_RSRC2:TGID_Y_EN: 0
; COMPUTE_PGM_RSRC2:TGID_Z_EN: 0
; COMPUTE_PGM_RSRC2:TIDIG_COMP_CNT: 0
	.section	.text._ZN2at6native12_GLOBAL__N_125multi_tensor_apply_kernelINS1_18TensorListMetadataILi1EEENS1_14UnaryOpFunctorIN3c107complexIfEELi1ELi1ELi0EEEJNS0_10ReciprocalIS8_EEEEEvT_T0_DpT1_,"axG",@progbits,_ZN2at6native12_GLOBAL__N_125multi_tensor_apply_kernelINS1_18TensorListMetadataILi1EEENS1_14UnaryOpFunctorIN3c107complexIfEELi1ELi1ELi0EEEJNS0_10ReciprocalIS8_EEEEEvT_T0_DpT1_,comdat
	.globl	_ZN2at6native12_GLOBAL__N_125multi_tensor_apply_kernelINS1_18TensorListMetadataILi1EEENS1_14UnaryOpFunctorIN3c107complexIfEELi1ELi1ELi0EEEJNS0_10ReciprocalIS8_EEEEEvT_T0_DpT1_ ; -- Begin function _ZN2at6native12_GLOBAL__N_125multi_tensor_apply_kernelINS1_18TensorListMetadataILi1EEENS1_14UnaryOpFunctorIN3c107complexIfEELi1ELi1ELi0EEEJNS0_10ReciprocalIS8_EEEEEvT_T0_DpT1_
	.p2align	8
	.type	_ZN2at6native12_GLOBAL__N_125multi_tensor_apply_kernelINS1_18TensorListMetadataILi1EEENS1_14UnaryOpFunctorIN3c107complexIfEELi1ELi1ELi0EEEJNS0_10ReciprocalIS8_EEEEEvT_T0_DpT1_,@function
_ZN2at6native12_GLOBAL__N_125multi_tensor_apply_kernelINS1_18TensorListMetadataILi1EEENS1_14UnaryOpFunctorIN3c107complexIfEELi1ELi1ELi0EEEJNS0_10ReciprocalIS8_EEEEEvT_T0_DpT1_: ; @_ZN2at6native12_GLOBAL__N_125multi_tensor_apply_kernelINS1_18TensorListMetadataILi1EEENS1_14UnaryOpFunctorIN3c107complexIfEELi1ELi1ELi0EEEJNS0_10ReciprocalIS8_EEEEEvT_T0_DpT1_
; %bb.0:
	s_bfe_u32 s2, ttmp6, 0x4000c
	s_and_b32 s3, ttmp6, 15
	s_add_co_i32 s2, s2, 1
	s_getreg_b32 s4, hwreg(HW_REG_IB_STS2, 6, 4)
	s_mul_i32 s2, ttmp9, s2
	s_delay_alu instid0(SALU_CYCLE_1)
	s_add_co_i32 s3, s3, s2
	s_cmp_eq_u32 s4, 0
	s_cselect_b32 s2, ttmp9, s3
	s_mov_b32 s3, 0
	s_load_u8 s12, s[0:1], s2 offset:0x6e0
	s_add_nc_u64 s[4:5], s[0:1], s[2:3]
	s_mul_u64 s[6:7], s[2:3], 3
	s_delay_alu instid0(SALU_CYCLE_1)
	s_add_nc_u64 s[4:5], s[4:5], s[6:7]
	s_load_b32 s6, s[4:5], 0x820
	s_wait_kmcnt 0x0
	s_clause 0x2
	s_load_b64 s[10:11], s[0:1], s12 offset:0x0 scale_offset
	s_load_b64 s[14:15], s[0:1], s12 offset:0x370 scale_offset
	s_load_b64 s[8:9], s[0:1], 0xd30
	s_ashr_i32 s7, s6, 31
	s_wait_kmcnt 0x0
	s_and_b64 s[4:5], s[10:11], 31
	s_and_b32 s2, s14, 3
	s_lshl_b64 s[12:13], s[6:7], 19
	s_or_b64 s[2:3], s[4:5], s[2:3]
	s_lshl_b64 s[4:5], s[6:7], 16
	s_cmp_eq_u64 s[2:3], 0
	s_sub_nc_u64 s[14:15], s[14:15], s[4:5]
	s_cbranch_scc1 .LBB282_53
; %bb.1:
	v_cmp_lt_i64_e64 s2, s[14:15], 1
	s_and_b32 vcc_lo, exec_lo, s2
	s_cbranch_vccnz .LBB282_52
; %bb.2:
	s_load_b32 s4, s[0:1], 0xd44
	v_min_i64 v[2:3], 0x10000, s[14:15]
	v_min_u64 v[4:5], 0x10000, s[14:15]
	v_dual_mov_b32 v1, 0 :: v_dual_lshlrev_b32 v8, 3, v0
	s_mov_b32 s25, 0
	s_add_nc_u64 s[2:3], s[10:11], s[12:13]
	s_mov_b32 s5, s25
	s_delay_alu instid0(VALU_DEP_1)
	v_mov_b32_e32 v15, v1
	s_mov_b32 s7, s25
	s_mov_b32 s16, s9
	;; [unrolled: 1-line block ×5, first 2 shown]
	s_mov_b64 s[26:27], 0
	s_wait_kmcnt 0x0
	s_and_b32 s24, s4, 0xffff
	s_delay_alu instid0(SALU_CYCLE_1)
	v_add_nc_u64_e32 v[6:7], s[24:25], v[0:1]
	v_mov_b32_e32 v9, v1
	s_lshl_b32 s4, s24, 1
	s_mul_i32 s6, s24, 3
	v_add_nc_u64_e32 v[12:13], s[4:5], v[0:1]
	v_add_nc_u64_e32 v[10:11], s[6:7], v[0:1]
	s_lshl_b32 s18, s24, 2
	v_lshlrev_b32_e32 v14, 3, v6
	v_add_nc_u64_e32 v[8:9], s[2:3], v[8:9]
	s_lshl_b32 s20, s24, 5
	s_mul_u64 s[22:23], s[24:25], 24
	s_lshl_b32 s24, s24, 4
	v_add_nc_u64_e32 v[14:15], s[2:3], v[14:15]
	s_branch .LBB282_4
.LBB282_3:                              ;   in Loop: Header=BB282_4 Depth=1
	s_wait_xcnt 0x0
	s_or_b32 exec_lo, exec_lo, s2
	s_add_nc_u64 s[26:27], s[26:27], s[18:19]
	v_add_nc_u64_e32 v[8:9], s[20:21], v[8:9]
	v_cmp_ge_i64_e32 vcc_lo, s[26:27], v[2:3]
	v_add_nc_u64_e32 v[14:15], s[20:21], v[14:15]
	s_cbranch_vccnz .LBB282_52
.LBB282_4:                              ; =>This Inner Loop Header: Depth=1
	v_add_nc_u64_e32 v[16:17], s[26:27], v[0:1]
	v_dual_mov_b32 v26, 0 :: v_dual_mov_b32 v27, 0
	s_delay_alu instid0(VALU_DEP_2)
	v_cmp_lt_u64_e64 s2, v[16:17], v[4:5]
	s_and_saveexec_b32 s3, s2
	s_cbranch_execz .LBB282_6
; %bb.5:                                ;   in Loop: Header=BB282_4 Depth=1
	global_load_b64 v[26:27], v[8:9], off
.LBB282_6:                              ;   in Loop: Header=BB282_4 Depth=1
	s_wait_xcnt 0x0
	s_or_b32 exec_lo, exec_lo, s3
	v_add_nc_u64_e32 v[16:17], s[26:27], v[6:7]
	v_dual_mov_b32 v24, 0 :: v_dual_mov_b32 v28, 0
	v_mov_b32_e32 v29, 0
	s_delay_alu instid0(VALU_DEP_3)
	v_cmp_lt_u64_e64 s3, v[16:17], v[4:5]
	s_and_saveexec_b32 s4, s3
	s_cbranch_execz .LBB282_8
; %bb.7:                                ;   in Loop: Header=BB282_4 Depth=1
	global_load_b64 v[28:29], v[14:15], off
.LBB282_8:                              ;   in Loop: Header=BB282_4 Depth=1
	s_wait_xcnt 0x0
	s_or_b32 exec_lo, exec_lo, s4
	v_add_nc_u64_e32 v[16:17], s[26:27], v[12:13]
	v_mov_b32_e32 v25, 0
	s_delay_alu instid0(VALU_DEP_2)
	v_cmp_lt_u64_e64 s4, v[16:17], v[4:5]
	v_add_nc_u64_e32 v[16:17], s[24:25], v[8:9]
	s_and_saveexec_b32 s5, s4
	s_cbranch_execz .LBB282_10
; %bb.9:                                ;   in Loop: Header=BB282_4 Depth=1
	global_load_b64 v[24:25], v[16:17], off
.LBB282_10:                             ;   in Loop: Header=BB282_4 Depth=1
	s_wait_xcnt 0x0
	s_or_b32 exec_lo, exec_lo, s5
	v_add_nc_u64_e32 v[18:19], s[26:27], v[10:11]
	v_dual_mov_b32 v20, 0 :: v_dual_mov_b32 v21, 0
	s_delay_alu instid0(VALU_DEP_2)
	v_cmp_lt_u64_e64 s5, v[18:19], v[4:5]
	v_add_nc_u64_e32 v[18:19], s[22:23], v[8:9]
	s_and_saveexec_b32 s6, s5
	s_cbranch_execz .LBB282_12
; %bb.11:                               ;   in Loop: Header=BB282_4 Depth=1
	global_load_b64 v[20:21], v[18:19], off
.LBB282_12:                             ;   in Loop: Header=BB282_4 Depth=1
	s_wait_xcnt 0x0
	s_or_b32 exec_lo, exec_lo, s6
	s_wait_loadcnt 0x0
	v_cmp_gt_f32_e32 vcc_lo, 0, v27
                                        ; implicit-def: $vgpr22_vgpr23
	s_mov_b32 s6, exec_lo
	v_cndmask_b32_e64 v30, v27, -v27, vcc_lo
	v_cmp_gt_f32_e32 vcc_lo, 0, v26
	v_cndmask_b32_e64 v31, v26, -v26, vcc_lo
	s_delay_alu instid0(VALU_DEP_1)
	v_cmpx_ge_f32_e32 v31, v30
	s_xor_b32 s7, exec_lo, s6
	s_cbranch_execz .LBB282_18
; %bb.13:                               ;   in Loop: Header=BB282_4 Depth=1
	v_cmp_neq_f32_e32 vcc_lo, 0, v26
	v_cmp_neq_f32_e64 s6, 0, v27
                                        ; implicit-def: $vgpr22_vgpr23
	s_or_b32 s6, s6, vcc_lo
	s_delay_alu instid0(SALU_CYCLE_1) | instskip(NEXT) | instid1(SALU_CYCLE_1)
	s_and_saveexec_b32 s28, s6
	s_xor_b32 s6, exec_lo, s28
	s_cbranch_execz .LBB282_15
; %bb.14:                               ;   in Loop: Header=BB282_4 Depth=1
	v_div_scale_f32 v22, null, v26, v26, v27
	v_div_scale_f32 v31, vcc_lo, v27, v26, v27
	s_delay_alu instid0(VALU_DEP_2) | instskip(SKIP_1) | instid1(TRANS32_DEP_1)
	v_rcp_f32_e32 v23, v22
	v_nop
	v_fma_f32 v30, -v22, v23, 1.0
	s_delay_alu instid0(VALU_DEP_1) | instskip(NEXT) | instid1(VALU_DEP_1)
	v_fmac_f32_e32 v23, v30, v23
	v_mul_f32_e32 v30, v31, v23
	s_delay_alu instid0(VALU_DEP_1) | instskip(NEXT) | instid1(VALU_DEP_1)
	v_fma_f32 v32, -v22, v30, v31
	v_fmac_f32_e32 v30, v32, v23
	s_delay_alu instid0(VALU_DEP_1) | instskip(NEXT) | instid1(VALU_DEP_1)
	v_fma_f32 v22, -v22, v30, v31
	v_div_fmas_f32 v22, v22, v23, v30
	s_delay_alu instid0(VALU_DEP_1) | instskip(NEXT) | instid1(VALU_DEP_1)
	v_div_fixup_f32 v22, v22, v26, v27
	v_fmac_f32_e32 v26, v27, v22
	s_delay_alu instid0(VALU_DEP_1) | instskip(SKIP_1) | instid1(VALU_DEP_2)
	v_div_scale_f32 v23, null, v26, v26, 1.0
	v_div_scale_f32 v32, vcc_lo, 1.0, v26, 1.0
	v_rcp_f32_e32 v27, v23
	v_nop
	s_delay_alu instid0(TRANS32_DEP_1) | instskip(NEXT) | instid1(VALU_DEP_1)
	v_fma_f32 v30, -v23, v27, 1.0
	v_fmac_f32_e32 v27, v30, v27
	s_delay_alu instid0(VALU_DEP_1) | instskip(NEXT) | instid1(VALU_DEP_1)
	v_mul_f32_e32 v34, v32, v27
	v_fma_f32 v30, -v23, v34, v32
	s_delay_alu instid0(VALU_DEP_1) | instskip(SKIP_1) | instid1(VALU_DEP_2)
	v_fmac_f32_e32 v34, v30, v27
	v_mov_b64_e32 v[30:31], s[8:9]
	v_fma_f32 v23, -v23, v34, v32
	v_mov_b64_e32 v[32:33], s[16:17]
	s_delay_alu instid0(VALU_DEP_2) | instskip(NEXT) | instid1(VALU_DEP_2)
	v_div_fmas_f32 v27, v23, v27, v34
	v_pk_fma_f32 v[34:35], v[22:23], v[32:33], v[30:31] op_sel_hi:[0,1,1] neg_lo:[1,0,0] neg_hi:[1,0,0]
	v_pk_fma_f32 v[22:23], v[22:23], v[32:33], v[30:31]
	s_delay_alu instid0(VALU_DEP_3) | instskip(NEXT) | instid1(VALU_DEP_3)
	v_div_fixup_f32 v26, v27, v26, 1.0
                                        ; implicit-def: $vgpr30
                                        ; implicit-def: $vgpr31
	v_mov_b32_e32 v23, v35
	s_delay_alu instid0(VALU_DEP_1)
	v_pk_mul_f32 v[22:23], v[22:23], v[26:27] op_sel_hi:[1,0]
.LBB282_15:                             ;   in Loop: Header=BB282_4 Depth=1
	s_and_not1_saveexec_b32 s28, s6
	s_cbranch_execz .LBB282_17
; %bb.16:                               ;   in Loop: Header=BB282_4 Depth=1
	v_div_scale_f32 v22, null, v30, v30, s9
	v_div_scale_f32 v23, null, v31, v31, s8
	v_div_scale_f32 v34, vcc_lo, s9, v30, s9
	s_delay_alu instid0(VALU_DEP_3) | instskip(NEXT) | instid1(VALU_DEP_2)
	v_rcp_f32_e32 v26, v22
	v_rcp_f32_e32 v27, v23
	s_delay_alu instid0(TRANS32_DEP_2) | instskip(NEXT) | instid1(TRANS32_DEP_1)
	v_fma_f32 v32, -v22, v26, 1.0
	v_fma_f32 v33, -v23, v27, 1.0
	s_delay_alu instid0(VALU_DEP_1) | instskip(SKIP_1) | instid1(VALU_DEP_1)
	v_dual_fmac_f32 v26, v32, v26 :: v_dual_fmac_f32 v27, v33, v27
	v_div_scale_f32 v32, s6, s8, v31, s8
	v_dual_mul_f32 v33, v34, v26 :: v_dual_mul_f32 v35, v32, v27
	s_delay_alu instid0(VALU_DEP_1) | instskip(NEXT) | instid1(VALU_DEP_1)
	v_dual_fma_f32 v36, -v22, v33, v34 :: v_dual_fma_f32 v37, -v23, v35, v32
	v_dual_fmac_f32 v33, v36, v26 :: v_dual_fmac_f32 v35, v37, v27
	s_delay_alu instid0(VALU_DEP_1) | instskip(NEXT) | instid1(VALU_DEP_1)
	v_dual_fma_f32 v22, -v22, v33, v34 :: v_dual_fma_f32 v23, -v23, v35, v32
	v_div_fmas_f32 v22, v22, v26, v33
	s_mov_b32 vcc_lo, s6
	s_delay_alu instid0(VALU_DEP_2) | instskip(NEXT) | instid1(VALU_DEP_2)
	v_div_fmas_f32 v26, v23, v27, v35
	v_div_fixup_f32 v23, v22, v30, s9
	s_delay_alu instid0(VALU_DEP_2)
	v_div_fixup_f32 v22, v26, v31, s8
.LBB282_17:                             ;   in Loop: Header=BB282_4 Depth=1
	s_or_b32 exec_lo, exec_lo, s28
                                        ; implicit-def: $vgpr27
.LBB282_18:                             ;   in Loop: Header=BB282_4 Depth=1
	s_and_not1_saveexec_b32 s6, s7
	s_cbranch_execz .LBB282_20
; %bb.19:                               ;   in Loop: Header=BB282_4 Depth=1
	v_div_scale_f32 v22, null, v27, v27, v26
	v_div_scale_f32 v31, vcc_lo, v26, v27, v26
	s_delay_alu instid0(VALU_DEP_2) | instskip(SKIP_1) | instid1(TRANS32_DEP_1)
	v_rcp_f32_e32 v23, v22
	v_nop
	v_fma_f32 v30, -v22, v23, 1.0
	s_delay_alu instid0(VALU_DEP_1) | instskip(NEXT) | instid1(VALU_DEP_1)
	v_fmac_f32_e32 v23, v30, v23
	v_mul_f32_e32 v30, v31, v23
	s_delay_alu instid0(VALU_DEP_1) | instskip(NEXT) | instid1(VALU_DEP_1)
	v_fma_f32 v32, -v22, v30, v31
	v_fmac_f32_e32 v30, v32, v23
	s_delay_alu instid0(VALU_DEP_1) | instskip(NEXT) | instid1(VALU_DEP_1)
	v_fma_f32 v22, -v22, v30, v31
	v_div_fmas_f32 v22, v22, v23, v30
	s_delay_alu instid0(VALU_DEP_1) | instskip(NEXT) | instid1(VALU_DEP_1)
	v_div_fixup_f32 v22, v22, v27, v26
	v_fmac_f32_e32 v27, v26, v22
	s_delay_alu instid0(VALU_DEP_1) | instskip(SKIP_1) | instid1(VALU_DEP_2)
	v_div_scale_f32 v23, null, v27, v27, 1.0
	v_div_scale_f32 v32, vcc_lo, 1.0, v27, 1.0
	v_rcp_f32_e32 v26, v23
	v_nop
	s_delay_alu instid0(TRANS32_DEP_1) | instskip(NEXT) | instid1(VALU_DEP_1)
	v_fma_f32 v30, -v23, v26, 1.0
	v_fmac_f32_e32 v26, v30, v26
	s_delay_alu instid0(VALU_DEP_1) | instskip(NEXT) | instid1(VALU_DEP_1)
	v_mul_f32_e32 v34, v32, v26
	v_fma_f32 v30, -v23, v34, v32
	s_delay_alu instid0(VALU_DEP_1) | instskip(SKIP_1) | instid1(VALU_DEP_2)
	v_fmac_f32_e32 v34, v30, v26
	v_mov_b64_e32 v[30:31], s[16:17]
	v_fma_f32 v23, -v23, v34, v32
	v_mov_b64_e32 v[32:33], s[8:9]
	s_delay_alu instid0(VALU_DEP_2) | instskip(NEXT) | instid1(VALU_DEP_2)
	v_div_fmas_f32 v26, v23, v26, v34
	v_pk_fma_f32 v[34:35], v[22:23], v[32:33], v[30:31] op_sel_hi:[0,1,1] neg_lo:[0,0,1] neg_hi:[0,0,1]
	v_pk_fma_f32 v[22:23], v[22:23], v[32:33], v[30:31]
	s_delay_alu instid0(VALU_DEP_3) | instskip(NEXT) | instid1(VALU_DEP_3)
	v_div_fixup_f32 v26, v26, v27, 1.0
	v_mov_b32_e32 v23, v35
	s_delay_alu instid0(VALU_DEP_1)
	v_pk_mul_f32 v[22:23], v[22:23], v[26:27] op_sel_hi:[1,0]
.LBB282_20:                             ;   in Loop: Header=BB282_4 Depth=1
	s_or_b32 exec_lo, exec_lo, s6
	v_cmp_gt_f32_e32 vcc_lo, 0, v29
                                        ; implicit-def: $vgpr26_vgpr27
	s_mov_b32 s6, exec_lo
	v_cndmask_b32_e64 v30, v29, -v29, vcc_lo
	v_cmp_gt_f32_e32 vcc_lo, 0, v28
	v_cndmask_b32_e64 v31, v28, -v28, vcc_lo
	s_delay_alu instid0(VALU_DEP_1)
	v_cmpx_ge_f32_e32 v31, v30
	s_xor_b32 s7, exec_lo, s6
	s_cbranch_execz .LBB282_26
; %bb.21:                               ;   in Loop: Header=BB282_4 Depth=1
	v_cmp_neq_f32_e32 vcc_lo, 0, v28
	v_cmp_neq_f32_e64 s6, 0, v29
                                        ; implicit-def: $vgpr26_vgpr27
	s_or_b32 s6, s6, vcc_lo
	s_delay_alu instid0(SALU_CYCLE_1) | instskip(NEXT) | instid1(SALU_CYCLE_1)
	s_and_saveexec_b32 s28, s6
	s_xor_b32 s6, exec_lo, s28
	s_cbranch_execz .LBB282_23
; %bb.22:                               ;   in Loop: Header=BB282_4 Depth=1
	v_div_scale_f32 v26, null, v28, v28, v29
	v_div_scale_f32 v31, vcc_lo, v29, v28, v29
	s_delay_alu instid0(VALU_DEP_2) | instskip(SKIP_1) | instid1(TRANS32_DEP_1)
	v_rcp_f32_e32 v27, v26
	v_nop
	v_fma_f32 v30, -v26, v27, 1.0
	s_delay_alu instid0(VALU_DEP_1) | instskip(NEXT) | instid1(VALU_DEP_1)
	v_fmac_f32_e32 v27, v30, v27
	v_mul_f32_e32 v30, v31, v27
	s_delay_alu instid0(VALU_DEP_1) | instskip(NEXT) | instid1(VALU_DEP_1)
	v_fma_f32 v32, -v26, v30, v31
	v_fmac_f32_e32 v30, v32, v27
	s_delay_alu instid0(VALU_DEP_1) | instskip(NEXT) | instid1(VALU_DEP_1)
	v_fma_f32 v26, -v26, v30, v31
	v_div_fmas_f32 v26, v26, v27, v30
	s_delay_alu instid0(VALU_DEP_1) | instskip(NEXT) | instid1(VALU_DEP_1)
	v_div_fixup_f32 v26, v26, v28, v29
	v_fmac_f32_e32 v28, v29, v26
	s_delay_alu instid0(VALU_DEP_1) | instskip(SKIP_1) | instid1(VALU_DEP_2)
	v_div_scale_f32 v27, null, v28, v28, 1.0
	v_div_scale_f32 v32, vcc_lo, 1.0, v28, 1.0
	v_rcp_f32_e32 v29, v27
	v_nop
	s_delay_alu instid0(TRANS32_DEP_1) | instskip(NEXT) | instid1(VALU_DEP_1)
	v_fma_f32 v30, -v27, v29, 1.0
	v_fmac_f32_e32 v29, v30, v29
	s_delay_alu instid0(VALU_DEP_1) | instskip(NEXT) | instid1(VALU_DEP_1)
	v_mul_f32_e32 v34, v32, v29
	v_fma_f32 v30, -v27, v34, v32
	s_delay_alu instid0(VALU_DEP_1) | instskip(SKIP_1) | instid1(VALU_DEP_2)
	v_fmac_f32_e32 v34, v30, v29
	v_mov_b64_e32 v[30:31], s[8:9]
	v_fma_f32 v27, -v27, v34, v32
	v_mov_b64_e32 v[32:33], s[16:17]
	s_delay_alu instid0(VALU_DEP_2) | instskip(NEXT) | instid1(VALU_DEP_2)
	v_div_fmas_f32 v29, v27, v29, v34
	v_pk_fma_f32 v[34:35], v[26:27], v[32:33], v[30:31] op_sel_hi:[0,1,1] neg_lo:[1,0,0] neg_hi:[1,0,0]
	v_pk_fma_f32 v[26:27], v[26:27], v[32:33], v[30:31]
	s_delay_alu instid0(VALU_DEP_3) | instskip(NEXT) | instid1(VALU_DEP_3)
	v_div_fixup_f32 v28, v29, v28, 1.0
                                        ; implicit-def: $vgpr30
                                        ; implicit-def: $vgpr31
	v_mov_b32_e32 v27, v35
	s_delay_alu instid0(VALU_DEP_1)
	v_pk_mul_f32 v[26:27], v[26:27], v[28:29] op_sel_hi:[1,0]
.LBB282_23:                             ;   in Loop: Header=BB282_4 Depth=1
	s_and_not1_saveexec_b32 s28, s6
	s_cbranch_execz .LBB282_25
; %bb.24:                               ;   in Loop: Header=BB282_4 Depth=1
	v_div_scale_f32 v26, null, v30, v30, s9
	v_div_scale_f32 v27, null, v31, v31, s8
	v_div_scale_f32 v34, vcc_lo, s9, v30, s9
	s_delay_alu instid0(VALU_DEP_3) | instskip(NEXT) | instid1(VALU_DEP_2)
	v_rcp_f32_e32 v28, v26
	v_rcp_f32_e32 v29, v27
	s_delay_alu instid0(TRANS32_DEP_2) | instskip(NEXT) | instid1(TRANS32_DEP_1)
	v_fma_f32 v32, -v26, v28, 1.0
	v_fma_f32 v33, -v27, v29, 1.0
	s_delay_alu instid0(VALU_DEP_1) | instskip(SKIP_1) | instid1(VALU_DEP_1)
	v_dual_fmac_f32 v28, v32, v28 :: v_dual_fmac_f32 v29, v33, v29
	v_div_scale_f32 v32, s6, s8, v31, s8
	v_dual_mul_f32 v33, v34, v28 :: v_dual_mul_f32 v35, v32, v29
	s_delay_alu instid0(VALU_DEP_1) | instskip(NEXT) | instid1(VALU_DEP_1)
	v_dual_fma_f32 v36, -v26, v33, v34 :: v_dual_fma_f32 v37, -v27, v35, v32
	v_dual_fmac_f32 v33, v36, v28 :: v_dual_fmac_f32 v35, v37, v29
	s_delay_alu instid0(VALU_DEP_1) | instskip(NEXT) | instid1(VALU_DEP_1)
	v_dual_fma_f32 v26, -v26, v33, v34 :: v_dual_fma_f32 v27, -v27, v35, v32
	v_div_fmas_f32 v26, v26, v28, v33
	s_mov_b32 vcc_lo, s6
	s_delay_alu instid0(VALU_DEP_2) | instskip(NEXT) | instid1(VALU_DEP_2)
	v_div_fmas_f32 v28, v27, v29, v35
	v_div_fixup_f32 v27, v26, v30, s9
	s_delay_alu instid0(VALU_DEP_2)
	v_div_fixup_f32 v26, v28, v31, s8
.LBB282_25:                             ;   in Loop: Header=BB282_4 Depth=1
	s_or_b32 exec_lo, exec_lo, s28
                                        ; implicit-def: $vgpr29
.LBB282_26:                             ;   in Loop: Header=BB282_4 Depth=1
	s_and_not1_saveexec_b32 s6, s7
	s_cbranch_execz .LBB282_28
; %bb.27:                               ;   in Loop: Header=BB282_4 Depth=1
	v_div_scale_f32 v26, null, v29, v29, v28
	v_div_scale_f32 v31, vcc_lo, v28, v29, v28
	s_delay_alu instid0(VALU_DEP_2) | instskip(SKIP_1) | instid1(TRANS32_DEP_1)
	v_rcp_f32_e32 v27, v26
	v_nop
	v_fma_f32 v30, -v26, v27, 1.0
	s_delay_alu instid0(VALU_DEP_1) | instskip(NEXT) | instid1(VALU_DEP_1)
	v_fmac_f32_e32 v27, v30, v27
	v_mul_f32_e32 v30, v31, v27
	s_delay_alu instid0(VALU_DEP_1) | instskip(NEXT) | instid1(VALU_DEP_1)
	v_fma_f32 v32, -v26, v30, v31
	v_fmac_f32_e32 v30, v32, v27
	s_delay_alu instid0(VALU_DEP_1) | instskip(NEXT) | instid1(VALU_DEP_1)
	v_fma_f32 v26, -v26, v30, v31
	v_div_fmas_f32 v26, v26, v27, v30
	s_delay_alu instid0(VALU_DEP_1) | instskip(NEXT) | instid1(VALU_DEP_1)
	v_div_fixup_f32 v26, v26, v29, v28
	v_fmac_f32_e32 v29, v28, v26
	s_delay_alu instid0(VALU_DEP_1) | instskip(SKIP_1) | instid1(VALU_DEP_2)
	v_div_scale_f32 v27, null, v29, v29, 1.0
	v_div_scale_f32 v32, vcc_lo, 1.0, v29, 1.0
	v_rcp_f32_e32 v28, v27
	v_nop
	s_delay_alu instid0(TRANS32_DEP_1) | instskip(NEXT) | instid1(VALU_DEP_1)
	v_fma_f32 v30, -v27, v28, 1.0
	v_fmac_f32_e32 v28, v30, v28
	s_delay_alu instid0(VALU_DEP_1) | instskip(NEXT) | instid1(VALU_DEP_1)
	v_mul_f32_e32 v34, v32, v28
	v_fma_f32 v30, -v27, v34, v32
	s_delay_alu instid0(VALU_DEP_1) | instskip(SKIP_1) | instid1(VALU_DEP_2)
	v_fmac_f32_e32 v34, v30, v28
	v_mov_b64_e32 v[30:31], s[16:17]
	v_fma_f32 v27, -v27, v34, v32
	v_mov_b64_e32 v[32:33], s[8:9]
	s_delay_alu instid0(VALU_DEP_2) | instskip(NEXT) | instid1(VALU_DEP_2)
	v_div_fmas_f32 v28, v27, v28, v34
	v_pk_fma_f32 v[34:35], v[26:27], v[32:33], v[30:31] op_sel_hi:[0,1,1] neg_lo:[0,0,1] neg_hi:[0,0,1]
	v_pk_fma_f32 v[26:27], v[26:27], v[32:33], v[30:31]
	s_delay_alu instid0(VALU_DEP_3) | instskip(NEXT) | instid1(VALU_DEP_3)
	v_div_fixup_f32 v28, v28, v29, 1.0
	v_mov_b32_e32 v27, v35
	s_delay_alu instid0(VALU_DEP_1)
	v_pk_mul_f32 v[26:27], v[26:27], v[28:29] op_sel_hi:[1,0]
.LBB282_28:                             ;   in Loop: Header=BB282_4 Depth=1
	s_or_b32 exec_lo, exec_lo, s6
	v_cmp_gt_f32_e32 vcc_lo, 0, v25
                                        ; implicit-def: $vgpr28_vgpr29
	s_mov_b32 s6, exec_lo
	v_cndmask_b32_e64 v30, v25, -v25, vcc_lo
	v_cmp_gt_f32_e32 vcc_lo, 0, v24
	v_cndmask_b32_e64 v31, v24, -v24, vcc_lo
	s_delay_alu instid0(VALU_DEP_1)
	v_cmpx_ge_f32_e32 v31, v30
	s_xor_b32 s7, exec_lo, s6
	s_cbranch_execz .LBB282_34
; %bb.29:                               ;   in Loop: Header=BB282_4 Depth=1
	v_cmp_neq_f32_e32 vcc_lo, 0, v24
	v_cmp_neq_f32_e64 s6, 0, v25
                                        ; implicit-def: $vgpr28_vgpr29
	s_or_b32 s6, s6, vcc_lo
	s_delay_alu instid0(SALU_CYCLE_1) | instskip(NEXT) | instid1(SALU_CYCLE_1)
	s_and_saveexec_b32 s28, s6
	s_xor_b32 s6, exec_lo, s28
	s_cbranch_execz .LBB282_31
; %bb.30:                               ;   in Loop: Header=BB282_4 Depth=1
	v_div_scale_f32 v28, null, v24, v24, v25
	v_div_scale_f32 v31, vcc_lo, v25, v24, v25
	s_delay_alu instid0(VALU_DEP_2) | instskip(SKIP_1) | instid1(TRANS32_DEP_1)
	v_rcp_f32_e32 v29, v28
	v_nop
	v_fma_f32 v30, -v28, v29, 1.0
	s_delay_alu instid0(VALU_DEP_1) | instskip(NEXT) | instid1(VALU_DEP_1)
	v_fmac_f32_e32 v29, v30, v29
	v_mul_f32_e32 v30, v31, v29
	s_delay_alu instid0(VALU_DEP_1) | instskip(NEXT) | instid1(VALU_DEP_1)
	v_fma_f32 v32, -v28, v30, v31
	v_fmac_f32_e32 v30, v32, v29
	s_delay_alu instid0(VALU_DEP_1) | instskip(NEXT) | instid1(VALU_DEP_1)
	v_fma_f32 v28, -v28, v30, v31
	v_div_fmas_f32 v28, v28, v29, v30
	s_delay_alu instid0(VALU_DEP_1) | instskip(NEXT) | instid1(VALU_DEP_1)
	v_div_fixup_f32 v28, v28, v24, v25
	v_fmac_f32_e32 v24, v25, v28
	s_delay_alu instid0(VALU_DEP_1) | instskip(SKIP_1) | instid1(VALU_DEP_2)
	v_div_scale_f32 v25, null, v24, v24, 1.0
	v_div_scale_f32 v32, vcc_lo, 1.0, v24, 1.0
	v_rcp_f32_e32 v29, v25
	v_nop
	s_delay_alu instid0(TRANS32_DEP_1) | instskip(NEXT) | instid1(VALU_DEP_1)
	v_fma_f32 v30, -v25, v29, 1.0
	v_fmac_f32_e32 v29, v30, v29
	s_delay_alu instid0(VALU_DEP_1) | instskip(NEXT) | instid1(VALU_DEP_1)
	v_mul_f32_e32 v34, v32, v29
	v_fma_f32 v30, -v25, v34, v32
	s_delay_alu instid0(VALU_DEP_1) | instskip(SKIP_1) | instid1(VALU_DEP_2)
	v_fmac_f32_e32 v34, v30, v29
	v_mov_b64_e32 v[30:31], s[8:9]
	v_fma_f32 v25, -v25, v34, v32
	v_mov_b64_e32 v[32:33], s[16:17]
	s_delay_alu instid0(VALU_DEP_2) | instskip(NEXT) | instid1(VALU_DEP_2)
	v_div_fmas_f32 v25, v25, v29, v34
	v_pk_fma_f32 v[34:35], v[28:29], v[32:33], v[30:31] op_sel_hi:[0,1,1] neg_lo:[1,0,0] neg_hi:[1,0,0]
	v_pk_fma_f32 v[28:29], v[28:29], v[32:33], v[30:31]
	s_delay_alu instid0(VALU_DEP_3) | instskip(NEXT) | instid1(VALU_DEP_3)
	v_div_fixup_f32 v24, v25, v24, 1.0
                                        ; implicit-def: $vgpr30
                                        ; implicit-def: $vgpr31
	v_mov_b32_e32 v29, v35
	s_delay_alu instid0(VALU_DEP_1)
	v_pk_mul_f32 v[28:29], v[28:29], v[24:25] op_sel_hi:[1,0]
.LBB282_31:                             ;   in Loop: Header=BB282_4 Depth=1
	s_and_not1_saveexec_b32 s28, s6
	s_cbranch_execz .LBB282_33
; %bb.32:                               ;   in Loop: Header=BB282_4 Depth=1
	v_div_scale_f32 v24, null, v30, v30, s9
	v_div_scale_f32 v25, null, v31, v31, s8
	v_div_scale_f32 v34, vcc_lo, s9, v30, s9
	s_delay_alu instid0(VALU_DEP_3) | instskip(NEXT) | instid1(VALU_DEP_2)
	v_rcp_f32_e32 v28, v24
	v_rcp_f32_e32 v29, v25
	s_delay_alu instid0(TRANS32_DEP_2) | instskip(NEXT) | instid1(TRANS32_DEP_1)
	v_fma_f32 v32, -v24, v28, 1.0
	v_fma_f32 v33, -v25, v29, 1.0
	s_delay_alu instid0(VALU_DEP_1) | instskip(SKIP_1) | instid1(VALU_DEP_1)
	v_dual_fmac_f32 v28, v32, v28 :: v_dual_fmac_f32 v29, v33, v29
	v_div_scale_f32 v32, s6, s8, v31, s8
	v_dual_mul_f32 v33, v34, v28 :: v_dual_mul_f32 v35, v32, v29
	s_delay_alu instid0(VALU_DEP_1) | instskip(NEXT) | instid1(VALU_DEP_1)
	v_dual_fma_f32 v36, -v24, v33, v34 :: v_dual_fma_f32 v37, -v25, v35, v32
	v_dual_fmac_f32 v33, v36, v28 :: v_dual_fmac_f32 v35, v37, v29
	s_delay_alu instid0(VALU_DEP_1) | instskip(NEXT) | instid1(VALU_DEP_1)
	v_dual_fma_f32 v24, -v24, v33, v34 :: v_dual_fma_f32 v25, -v25, v35, v32
	v_div_fmas_f32 v24, v24, v28, v33
	s_mov_b32 vcc_lo, s6
	s_delay_alu instid0(VALU_DEP_2) | instskip(NEXT) | instid1(VALU_DEP_2)
	v_div_fmas_f32 v25, v25, v29, v35
	v_div_fixup_f32 v29, v24, v30, s9
	s_delay_alu instid0(VALU_DEP_2)
	v_div_fixup_f32 v28, v25, v31, s8
.LBB282_33:                             ;   in Loop: Header=BB282_4 Depth=1
	s_or_b32 exec_lo, exec_lo, s28
                                        ; implicit-def: $vgpr25
.LBB282_34:                             ;   in Loop: Header=BB282_4 Depth=1
	s_and_not1_saveexec_b32 s6, s7
	s_cbranch_execz .LBB282_36
; %bb.35:                               ;   in Loop: Header=BB282_4 Depth=1
	v_div_scale_f32 v28, null, v25, v25, v24
	v_div_scale_f32 v31, vcc_lo, v24, v25, v24
	s_delay_alu instid0(VALU_DEP_2) | instskip(SKIP_1) | instid1(TRANS32_DEP_1)
	v_rcp_f32_e32 v29, v28
	v_nop
	v_fma_f32 v30, -v28, v29, 1.0
	s_delay_alu instid0(VALU_DEP_1) | instskip(NEXT) | instid1(VALU_DEP_1)
	v_fmac_f32_e32 v29, v30, v29
	v_mul_f32_e32 v30, v31, v29
	s_delay_alu instid0(VALU_DEP_1) | instskip(NEXT) | instid1(VALU_DEP_1)
	v_fma_f32 v32, -v28, v30, v31
	v_fmac_f32_e32 v30, v32, v29
	s_delay_alu instid0(VALU_DEP_1) | instskip(NEXT) | instid1(VALU_DEP_1)
	v_fma_f32 v28, -v28, v30, v31
	v_div_fmas_f32 v28, v28, v29, v30
	s_delay_alu instid0(VALU_DEP_1) | instskip(NEXT) | instid1(VALU_DEP_1)
	v_div_fixup_f32 v28, v28, v25, v24
	v_fmac_f32_e32 v25, v24, v28
	s_delay_alu instid0(VALU_DEP_1) | instskip(SKIP_1) | instid1(VALU_DEP_2)
	v_div_scale_f32 v24, null, v25, v25, 1.0
	v_div_scale_f32 v32, vcc_lo, 1.0, v25, 1.0
	v_rcp_f32_e32 v29, v24
	v_nop
	s_delay_alu instid0(TRANS32_DEP_1) | instskip(NEXT) | instid1(VALU_DEP_1)
	v_fma_f32 v30, -v24, v29, 1.0
	v_fmac_f32_e32 v29, v30, v29
	s_delay_alu instid0(VALU_DEP_1) | instskip(NEXT) | instid1(VALU_DEP_1)
	v_mul_f32_e32 v34, v32, v29
	v_fma_f32 v30, -v24, v34, v32
	s_delay_alu instid0(VALU_DEP_1) | instskip(SKIP_1) | instid1(VALU_DEP_2)
	v_fmac_f32_e32 v34, v30, v29
	v_mov_b64_e32 v[30:31], s[16:17]
	v_fma_f32 v24, -v24, v34, v32
	v_mov_b64_e32 v[32:33], s[8:9]
	s_delay_alu instid0(VALU_DEP_2) | instskip(NEXT) | instid1(VALU_DEP_2)
	v_div_fmas_f32 v24, v24, v29, v34
	v_pk_fma_f32 v[34:35], v[28:29], v[32:33], v[30:31] op_sel_hi:[0,1,1] neg_lo:[0,0,1] neg_hi:[0,0,1]
	v_pk_fma_f32 v[28:29], v[28:29], v[32:33], v[30:31]
	s_delay_alu instid0(VALU_DEP_3) | instskip(NEXT) | instid1(VALU_DEP_3)
	v_div_fixup_f32 v24, v24, v25, 1.0
	v_mov_b32_e32 v29, v35
	s_delay_alu instid0(VALU_DEP_1)
	v_pk_mul_f32 v[28:29], v[28:29], v[24:25] op_sel_hi:[1,0]
.LBB282_36:                             ;   in Loop: Header=BB282_4 Depth=1
	s_or_b32 exec_lo, exec_lo, s6
	v_cmp_gt_f32_e32 vcc_lo, 0, v21
                                        ; implicit-def: $vgpr24_vgpr25
	s_mov_b32 s6, exec_lo
	v_cndmask_b32_e64 v30, v21, -v21, vcc_lo
	v_cmp_gt_f32_e32 vcc_lo, 0, v20
	v_cndmask_b32_e64 v31, v20, -v20, vcc_lo
	s_delay_alu instid0(VALU_DEP_1)
	v_cmpx_ge_f32_e32 v31, v30
	s_xor_b32 s7, exec_lo, s6
	s_cbranch_execnz .LBB282_42
; %bb.37:                               ;   in Loop: Header=BB282_4 Depth=1
	s_and_not1_saveexec_b32 s6, s7
	s_cbranch_execnz .LBB282_47
.LBB282_38:                             ;   in Loop: Header=BB282_4 Depth=1
	s_or_b32 exec_lo, exec_lo, s6
	s_and_saveexec_b32 s6, s2
	s_delay_alu instid0(SALU_CYCLE_1)
	s_xor_b32 s2, exec_lo, s6
	s_cbranch_execnz .LBB282_48
.LBB282_39:                             ;   in Loop: Header=BB282_4 Depth=1
	s_or_b32 exec_lo, exec_lo, s2
	s_and_saveexec_b32 s2, s3
	s_cbranch_execnz .LBB282_49
.LBB282_40:                             ;   in Loop: Header=BB282_4 Depth=1
	s_or_b32 exec_lo, exec_lo, s2
	s_and_saveexec_b32 s2, s4
	s_cbranch_execnz .LBB282_50
.LBB282_41:                             ;   in Loop: Header=BB282_4 Depth=1
	s_or_b32 exec_lo, exec_lo, s2
	s_and_saveexec_b32 s2, s5
	s_cbranch_execz .LBB282_3
	s_branch .LBB282_51
.LBB282_42:                             ;   in Loop: Header=BB282_4 Depth=1
	v_cmp_neq_f32_e32 vcc_lo, 0, v20
	v_cmp_neq_f32_e64 s6, 0, v21
                                        ; implicit-def: $vgpr24_vgpr25
	s_or_b32 s6, s6, vcc_lo
	s_delay_alu instid0(SALU_CYCLE_1) | instskip(NEXT) | instid1(SALU_CYCLE_1)
	s_and_saveexec_b32 s28, s6
	s_xor_b32 s6, exec_lo, s28
	s_cbranch_execz .LBB282_44
; %bb.43:                               ;   in Loop: Header=BB282_4 Depth=1
	v_div_scale_f32 v24, null, v20, v20, v21
	v_div_scale_f32 v31, vcc_lo, v21, v20, v21
	s_delay_alu instid0(VALU_DEP_2) | instskip(SKIP_1) | instid1(TRANS32_DEP_1)
	v_rcp_f32_e32 v25, v24
	v_nop
	v_fma_f32 v30, -v24, v25, 1.0
	s_delay_alu instid0(VALU_DEP_1) | instskip(NEXT) | instid1(VALU_DEP_1)
	v_fmac_f32_e32 v25, v30, v25
	v_mul_f32_e32 v30, v31, v25
	s_delay_alu instid0(VALU_DEP_1) | instskip(NEXT) | instid1(VALU_DEP_1)
	v_fma_f32 v32, -v24, v30, v31
	v_fmac_f32_e32 v30, v32, v25
	s_delay_alu instid0(VALU_DEP_1) | instskip(NEXT) | instid1(VALU_DEP_1)
	v_fma_f32 v24, -v24, v30, v31
	v_div_fmas_f32 v24, v24, v25, v30
	s_delay_alu instid0(VALU_DEP_1) | instskip(NEXT) | instid1(VALU_DEP_1)
	v_div_fixup_f32 v24, v24, v20, v21
	v_fmac_f32_e32 v20, v21, v24
	s_delay_alu instid0(VALU_DEP_1) | instskip(SKIP_1) | instid1(VALU_DEP_2)
	v_div_scale_f32 v21, null, v20, v20, 1.0
	v_div_scale_f32 v32, vcc_lo, 1.0, v20, 1.0
	v_rcp_f32_e32 v25, v21
	v_nop
	s_delay_alu instid0(TRANS32_DEP_1) | instskip(NEXT) | instid1(VALU_DEP_1)
	v_fma_f32 v30, -v21, v25, 1.0
	v_fmac_f32_e32 v25, v30, v25
	s_delay_alu instid0(VALU_DEP_1) | instskip(NEXT) | instid1(VALU_DEP_1)
	v_mul_f32_e32 v34, v32, v25
	v_fma_f32 v30, -v21, v34, v32
	s_delay_alu instid0(VALU_DEP_1) | instskip(SKIP_1) | instid1(VALU_DEP_2)
	v_fmac_f32_e32 v34, v30, v25
	v_mov_b64_e32 v[30:31], s[8:9]
	v_fma_f32 v21, -v21, v34, v32
	v_mov_b64_e32 v[32:33], s[16:17]
	s_delay_alu instid0(VALU_DEP_2) | instskip(NEXT) | instid1(VALU_DEP_2)
	v_div_fmas_f32 v21, v21, v25, v34
	v_pk_fma_f32 v[34:35], v[24:25], v[32:33], v[30:31] op_sel_hi:[0,1,1] neg_lo:[1,0,0] neg_hi:[1,0,0]
	v_pk_fma_f32 v[24:25], v[24:25], v[32:33], v[30:31]
	s_delay_alu instid0(VALU_DEP_3) | instskip(NEXT) | instid1(VALU_DEP_3)
	v_div_fixup_f32 v20, v21, v20, 1.0
                                        ; implicit-def: $vgpr30
                                        ; implicit-def: $vgpr31
	v_mov_b32_e32 v25, v35
	s_delay_alu instid0(VALU_DEP_1)
	v_pk_mul_f32 v[24:25], v[24:25], v[20:21] op_sel_hi:[1,0]
.LBB282_44:                             ;   in Loop: Header=BB282_4 Depth=1
	s_and_not1_saveexec_b32 s28, s6
	s_cbranch_execz .LBB282_46
; %bb.45:                               ;   in Loop: Header=BB282_4 Depth=1
	v_div_scale_f32 v20, null, v30, v30, s9
	v_div_scale_f32 v21, null, v31, v31, s8
	v_div_scale_f32 v34, vcc_lo, s9, v30, s9
	s_delay_alu instid0(VALU_DEP_3) | instskip(NEXT) | instid1(VALU_DEP_2)
	v_rcp_f32_e32 v24, v20
	v_rcp_f32_e32 v25, v21
	s_delay_alu instid0(TRANS32_DEP_2) | instskip(NEXT) | instid1(TRANS32_DEP_1)
	v_fma_f32 v32, -v20, v24, 1.0
	v_fma_f32 v33, -v21, v25, 1.0
	s_delay_alu instid0(VALU_DEP_1) | instskip(SKIP_1) | instid1(VALU_DEP_1)
	v_dual_fmac_f32 v24, v32, v24 :: v_dual_fmac_f32 v25, v33, v25
	v_div_scale_f32 v32, s6, s8, v31, s8
	v_dual_mul_f32 v33, v34, v24 :: v_dual_mul_f32 v35, v32, v25
	s_delay_alu instid0(VALU_DEP_1) | instskip(NEXT) | instid1(VALU_DEP_1)
	v_dual_fma_f32 v36, -v20, v33, v34 :: v_dual_fma_f32 v37, -v21, v35, v32
	v_dual_fmac_f32 v33, v36, v24 :: v_dual_fmac_f32 v35, v37, v25
	s_delay_alu instid0(VALU_DEP_1) | instskip(NEXT) | instid1(VALU_DEP_1)
	v_dual_fma_f32 v20, -v20, v33, v34 :: v_dual_fma_f32 v21, -v21, v35, v32
	v_div_fmas_f32 v20, v20, v24, v33
	s_mov_b32 vcc_lo, s6
	s_delay_alu instid0(VALU_DEP_2) | instskip(NEXT) | instid1(VALU_DEP_2)
	v_div_fmas_f32 v21, v21, v25, v35
	v_div_fixup_f32 v25, v20, v30, s9
	s_delay_alu instid0(VALU_DEP_2)
	v_div_fixup_f32 v24, v21, v31, s8
.LBB282_46:                             ;   in Loop: Header=BB282_4 Depth=1
	s_or_b32 exec_lo, exec_lo, s28
                                        ; implicit-def: $vgpr21
	s_and_not1_saveexec_b32 s6, s7
	s_cbranch_execz .LBB282_38
.LBB282_47:                             ;   in Loop: Header=BB282_4 Depth=1
	v_div_scale_f32 v24, null, v21, v21, v20
	v_div_scale_f32 v31, vcc_lo, v20, v21, v20
	s_delay_alu instid0(VALU_DEP_2) | instskip(SKIP_1) | instid1(TRANS32_DEP_1)
	v_rcp_f32_e32 v25, v24
	v_nop
	v_fma_f32 v30, -v24, v25, 1.0
	s_delay_alu instid0(VALU_DEP_1) | instskip(NEXT) | instid1(VALU_DEP_1)
	v_fmac_f32_e32 v25, v30, v25
	v_mul_f32_e32 v30, v31, v25
	s_delay_alu instid0(VALU_DEP_1) | instskip(NEXT) | instid1(VALU_DEP_1)
	v_fma_f32 v32, -v24, v30, v31
	v_fmac_f32_e32 v30, v32, v25
	s_delay_alu instid0(VALU_DEP_1) | instskip(NEXT) | instid1(VALU_DEP_1)
	v_fma_f32 v24, -v24, v30, v31
	v_div_fmas_f32 v24, v24, v25, v30
	s_delay_alu instid0(VALU_DEP_1) | instskip(NEXT) | instid1(VALU_DEP_1)
	v_div_fixup_f32 v24, v24, v21, v20
	v_fmac_f32_e32 v21, v20, v24
	s_delay_alu instid0(VALU_DEP_1) | instskip(SKIP_1) | instid1(VALU_DEP_2)
	v_div_scale_f32 v20, null, v21, v21, 1.0
	v_div_scale_f32 v32, vcc_lo, 1.0, v21, 1.0
	v_rcp_f32_e32 v25, v20
	v_nop
	s_delay_alu instid0(TRANS32_DEP_1) | instskip(NEXT) | instid1(VALU_DEP_1)
	v_fma_f32 v30, -v20, v25, 1.0
	v_fmac_f32_e32 v25, v30, v25
	s_delay_alu instid0(VALU_DEP_1) | instskip(NEXT) | instid1(VALU_DEP_1)
	v_mul_f32_e32 v34, v32, v25
	v_fma_f32 v30, -v20, v34, v32
	s_delay_alu instid0(VALU_DEP_1) | instskip(SKIP_1) | instid1(VALU_DEP_2)
	v_fmac_f32_e32 v34, v30, v25
	v_mov_b64_e32 v[30:31], s[16:17]
	v_fma_f32 v20, -v20, v34, v32
	v_mov_b64_e32 v[32:33], s[8:9]
	s_delay_alu instid0(VALU_DEP_2) | instskip(NEXT) | instid1(VALU_DEP_2)
	v_div_fmas_f32 v20, v20, v25, v34
	v_pk_fma_f32 v[34:35], v[24:25], v[32:33], v[30:31] op_sel_hi:[0,1,1] neg_lo:[0,0,1] neg_hi:[0,0,1]
	v_pk_fma_f32 v[24:25], v[24:25], v[32:33], v[30:31]
	s_delay_alu instid0(VALU_DEP_3) | instskip(NEXT) | instid1(VALU_DEP_3)
	v_div_fixup_f32 v20, v20, v21, 1.0
	v_mov_b32_e32 v25, v35
	s_delay_alu instid0(VALU_DEP_1) | instskip(SKIP_2) | instid1(SALU_CYCLE_1)
	v_pk_mul_f32 v[24:25], v[24:25], v[20:21] op_sel_hi:[1,0]
	s_or_b32 exec_lo, exec_lo, s6
	s_and_saveexec_b32 s6, s2
	s_xor_b32 s2, exec_lo, s6
	s_cbranch_execz .LBB282_39
.LBB282_48:                             ;   in Loop: Header=BB282_4 Depth=1
	global_store_b64 v[8:9], v[22:23], off
	s_wait_xcnt 0x0
	s_or_b32 exec_lo, exec_lo, s2
	s_and_saveexec_b32 s2, s3
	s_cbranch_execz .LBB282_40
.LBB282_49:                             ;   in Loop: Header=BB282_4 Depth=1
	global_store_b64 v[14:15], v[26:27], off
	s_wait_xcnt 0x0
	s_or_b32 exec_lo, exec_lo, s2
	s_and_saveexec_b32 s2, s4
	s_cbranch_execz .LBB282_41
.LBB282_50:                             ;   in Loop: Header=BB282_4 Depth=1
	global_store_b64 v[16:17], v[28:29], off
	s_wait_xcnt 0x0
	s_or_b32 exec_lo, exec_lo, s2
	s_and_saveexec_b32 s2, s5
	s_cbranch_execz .LBB282_3
.LBB282_51:                             ;   in Loop: Header=BB282_4 Depth=1
	global_store_b64 v[18:19], v[24:25], off
	s_branch .LBB282_3
.LBB282_52:
	s_cbranch_execz .LBB282_54
	s_branch .LBB282_89
.LBB282_53:
.LBB282_54:
	v_min_i64 v[14:15], 0x10000, s[14:15]
	v_dual_mov_b32 v3, 0 :: v_dual_lshlrev_b32 v2, 2, v0
	s_mov_b32 s2, exec_lo
	s_delay_alu instid0(VALU_DEP_1)
	v_cmpx_lt_i64_e64 v[2:3], v[14:15]
	s_cbranch_execz .LBB282_89
; %bb.55:
	s_load_b32 s2, s[0:1], 0xd44
	v_dual_mov_b32 v1, v3 :: v_dual_lshlrev_b32 v2, 5, v0
	s_wait_xcnt 0x0
	s_add_nc_u64 s[0:1], s[10:11], s[12:13]
	s_mov_b32 s3, 0
	s_mov_b32 s4, s9
	v_add_nc_u64_e32 v[4:5], s[0:1], v[2:3]
	s_mov_b32 s5, s8
	s_mov_b32 s7, s3
	;; [unrolled: 1-line block ×3, first 2 shown]
	s_delay_alu instid0(VALU_DEP_1) | instskip(SKIP_2) | instid1(SALU_CYCLE_1)
	v_add_nc_u64_e32 v[16:17], 16, v[4:5]
	s_wait_kmcnt 0x0
	s_and_b32 s2, s2, 0xffff
	s_lshl_b32 s6, s2, 5
	s_branch .LBB282_57
.LBB282_56:                             ;   in Loop: Header=BB282_57 Depth=1
	s_or_b32 exec_lo, exec_lo, s0
	v_add_nc_u64_e32 v[0:1], s[2:3], v[0:1]
	s_clause 0x1
	global_store_b128 v[16:17], v[6:9], off offset:-16
	global_store_b128 v[16:17], v[10:13], off
	s_wait_xcnt 0x0
	v_add_nc_u64_e32 v[16:17], s[6:7], v[16:17]
	v_lshlrev_b64_e32 v[2:3], 2, v[0:1]
	s_delay_alu instid0(VALU_DEP_1) | instskip(SKIP_1) | instid1(SALU_CYCLE_1)
	v_cmp_ge_i64_e32 vcc_lo, v[2:3], v[14:15]
	s_or_b32 s1, vcc_lo, s1
	s_and_not1_b32 exec_lo, exec_lo, s1
	s_cbranch_execz .LBB282_89
.LBB282_57:                             ; =>This Inner Loop Header: Depth=1
	s_clause 0x1
	global_load_b128 v[10:13], v[16:17], off offset:-16
	global_load_b128 v[2:5], v[16:17], off
                                        ; implicit-def: $vgpr6_vgpr7
	s_mov_b32 s0, exec_lo
	s_wait_loadcnt 0x1
	v_cmp_gt_f32_e32 vcc_lo, 0, v11
	v_cndmask_b32_e64 v8, v11, -v11, vcc_lo
	v_cmp_gt_f32_e32 vcc_lo, 0, v10
	v_cndmask_b32_e64 v9, v10, -v10, vcc_lo
	s_wait_xcnt 0x0
	s_delay_alu instid0(VALU_DEP_1)
	v_cmpx_ge_f32_e32 v9, v8
	s_xor_b32 s10, exec_lo, s0
	s_cbranch_execz .LBB282_63
; %bb.58:                               ;   in Loop: Header=BB282_57 Depth=1
	v_cmp_neq_f32_e32 vcc_lo, 0, v10
	v_cmp_neq_f32_e64 s0, 0, v11
                                        ; implicit-def: $vgpr6_vgpr7
	s_or_b32 s0, vcc_lo, s0
	s_delay_alu instid0(SALU_CYCLE_1) | instskip(NEXT) | instid1(SALU_CYCLE_1)
	s_and_saveexec_b32 s11, s0
	s_xor_b32 s0, exec_lo, s11
	s_cbranch_execz .LBB282_60
; %bb.59:                               ;   in Loop: Header=BB282_57 Depth=1
	v_div_scale_f32 v6, null, v10, v10, v11
	v_div_scale_f32 v9, vcc_lo, v11, v10, v11
	s_delay_alu instid0(VALU_DEP_2) | instskip(SKIP_1) | instid1(TRANS32_DEP_1)
	v_rcp_f32_e32 v7, v6
	v_nop
	v_fma_f32 v8, -v6, v7, 1.0
	s_delay_alu instid0(VALU_DEP_1) | instskip(NEXT) | instid1(VALU_DEP_1)
	v_fmac_f32_e32 v7, v8, v7
	v_mul_f32_e32 v8, v9, v7
	s_delay_alu instid0(VALU_DEP_1) | instskip(NEXT) | instid1(VALU_DEP_1)
	v_fma_f32 v18, -v6, v8, v9
	v_fmac_f32_e32 v8, v18, v7
	s_delay_alu instid0(VALU_DEP_1) | instskip(NEXT) | instid1(VALU_DEP_1)
	v_fma_f32 v6, -v6, v8, v9
	v_div_fmas_f32 v6, v6, v7, v8
	s_delay_alu instid0(VALU_DEP_1) | instskip(NEXT) | instid1(VALU_DEP_1)
	v_div_fixup_f32 v6, v6, v10, v11
	v_fma_f32 v22, v11, v6, v10
	s_delay_alu instid0(VALU_DEP_1) | instskip(SKIP_1) | instid1(VALU_DEP_2)
	v_div_scale_f32 v7, null, v22, v22, 1.0
	v_div_scale_f32 v18, vcc_lo, 1.0, v22, 1.0
	v_rcp_f32_e32 v20, v7
	v_nop
	s_delay_alu instid0(TRANS32_DEP_1) | instskip(NEXT) | instid1(VALU_DEP_1)
	v_fma_f32 v8, -v7, v20, 1.0
	v_fmac_f32_e32 v20, v8, v20
	s_delay_alu instid0(VALU_DEP_1) | instskip(NEXT) | instid1(VALU_DEP_1)
	v_mul_f32_e32 v21, v18, v20
	v_fma_f32 v8, -v7, v21, v18
	s_delay_alu instid0(VALU_DEP_1) | instskip(SKIP_1) | instid1(VALU_DEP_2)
	v_fmac_f32_e32 v21, v8, v20
	v_mov_b64_e32 v[8:9], s[8:9]
	v_fma_f32 v7, -v7, v21, v18
	v_mov_b64_e32 v[18:19], s[4:5]
	s_delay_alu instid0(VALU_DEP_2) | instskip(NEXT) | instid1(VALU_DEP_2)
	v_div_fmas_f32 v23, v7, v20, v21
	v_pk_fma_f32 v[20:21], v[6:7], v[18:19], v[8:9] op_sel_hi:[0,1,1] neg_lo:[1,0,0] neg_hi:[1,0,0]
	v_pk_fma_f32 v[6:7], v[6:7], v[18:19], v[8:9]
	s_delay_alu instid0(VALU_DEP_3) | instskip(NEXT) | instid1(VALU_DEP_3)
	v_div_fixup_f32 v8, v23, v22, 1.0
	v_mov_b32_e32 v7, v21
	s_delay_alu instid0(VALU_DEP_1)
	v_pk_mul_f32 v[6:7], v[6:7], v[8:9] op_sel_hi:[1,0]
                                        ; implicit-def: $vgpr8
                                        ; implicit-def: $vgpr9
.LBB282_60:                             ;   in Loop: Header=BB282_57 Depth=1
	s_and_not1_saveexec_b32 s11, s0
	s_cbranch_execz .LBB282_62
; %bb.61:                               ;   in Loop: Header=BB282_57 Depth=1
	v_div_scale_f32 v6, null, v8, v8, s9
	v_div_scale_f32 v7, null, v9, v9, s8
	v_div_scale_f32 v22, vcc_lo, s9, v8, s9
	s_delay_alu instid0(VALU_DEP_3) | instskip(NEXT) | instid1(VALU_DEP_2)
	v_rcp_f32_e32 v18, v6
	v_rcp_f32_e32 v19, v7
	s_delay_alu instid0(TRANS32_DEP_2) | instskip(NEXT) | instid1(TRANS32_DEP_1)
	v_fma_f32 v20, -v6, v18, 1.0
	v_fma_f32 v21, -v7, v19, 1.0
	s_delay_alu instid0(VALU_DEP_1) | instskip(SKIP_1) | instid1(VALU_DEP_1)
	v_dual_fmac_f32 v18, v20, v18 :: v_dual_fmac_f32 v19, v21, v19
	v_div_scale_f32 v20, s0, s8, v9, s8
	v_dual_mul_f32 v21, v22, v18 :: v_dual_mul_f32 v23, v20, v19
	s_delay_alu instid0(VALU_DEP_1) | instskip(NEXT) | instid1(VALU_DEP_1)
	v_dual_fma_f32 v24, -v6, v21, v22 :: v_dual_fma_f32 v25, -v7, v23, v20
	v_dual_fmac_f32 v21, v24, v18 :: v_dual_fmac_f32 v23, v25, v19
	s_delay_alu instid0(VALU_DEP_1) | instskip(NEXT) | instid1(VALU_DEP_1)
	v_dual_fma_f32 v6, -v6, v21, v22 :: v_dual_fma_f32 v7, -v7, v23, v20
	v_div_fmas_f32 v6, v6, v18, v21
	s_mov_b32 vcc_lo, s0
	s_delay_alu instid0(VALU_DEP_2) | instskip(NEXT) | instid1(VALU_DEP_2)
	v_div_fmas_f32 v18, v7, v19, v23
	v_div_fixup_f32 v7, v6, v8, s9
	s_delay_alu instid0(VALU_DEP_2)
	v_div_fixup_f32 v6, v18, v9, s8
.LBB282_62:                             ;   in Loop: Header=BB282_57 Depth=1
	s_or_b32 exec_lo, exec_lo, s11
.LBB282_63:                             ;   in Loop: Header=BB282_57 Depth=1
	s_and_not1_saveexec_b32 s0, s10
	s_cbranch_execz .LBB282_65
; %bb.64:                               ;   in Loop: Header=BB282_57 Depth=1
	v_div_scale_f32 v6, null, v11, v11, v10
	v_div_scale_f32 v9, vcc_lo, v10, v11, v10
	s_delay_alu instid0(VALU_DEP_2) | instskip(SKIP_1) | instid1(TRANS32_DEP_1)
	v_rcp_f32_e32 v7, v6
	v_nop
	v_fma_f32 v8, -v6, v7, 1.0
	s_delay_alu instid0(VALU_DEP_1) | instskip(NEXT) | instid1(VALU_DEP_1)
	v_fmac_f32_e32 v7, v8, v7
	v_mul_f32_e32 v8, v9, v7
	s_delay_alu instid0(VALU_DEP_1) | instskip(NEXT) | instid1(VALU_DEP_1)
	v_fma_f32 v18, -v6, v8, v9
	v_fmac_f32_e32 v8, v18, v7
	s_delay_alu instid0(VALU_DEP_1) | instskip(NEXT) | instid1(VALU_DEP_1)
	v_fma_f32 v6, -v6, v8, v9
	v_div_fmas_f32 v6, v6, v7, v8
	s_delay_alu instid0(VALU_DEP_1) | instskip(NEXT) | instid1(VALU_DEP_1)
	v_div_fixup_f32 v6, v6, v11, v10
	v_fma_f32 v20, v10, v6, v11
	s_delay_alu instid0(VALU_DEP_1) | instskip(SKIP_1) | instid1(VALU_DEP_2)
	v_div_scale_f32 v7, null, v20, v20, 1.0
	v_div_scale_f32 v10, vcc_lo, 1.0, v20, 1.0
	v_rcp_f32_e32 v18, v7
	v_nop
	s_delay_alu instid0(TRANS32_DEP_1) | instskip(NEXT) | instid1(VALU_DEP_1)
	v_fma_f32 v8, -v7, v18, 1.0
	v_fmac_f32_e32 v18, v8, v18
	s_delay_alu instid0(VALU_DEP_1) | instskip(NEXT) | instid1(VALU_DEP_1)
	v_mul_f32_e32 v19, v10, v18
	v_fma_f32 v8, -v7, v19, v10
	s_delay_alu instid0(VALU_DEP_1) | instskip(SKIP_1) | instid1(VALU_DEP_2)
	v_fmac_f32_e32 v19, v8, v18
	v_mov_b64_e32 v[8:9], s[4:5]
	v_fma_f32 v7, -v7, v19, v10
	v_mov_b64_e32 v[10:11], s[8:9]
	s_delay_alu instid0(VALU_DEP_2) | instskip(NEXT) | instid1(VALU_DEP_2)
	v_div_fmas_f32 v21, v7, v18, v19
	v_pk_fma_f32 v[18:19], v[6:7], v[10:11], v[8:9] op_sel_hi:[0,1,1] neg_lo:[0,0,1] neg_hi:[0,0,1]
	v_pk_fma_f32 v[6:7], v[6:7], v[10:11], v[8:9]
	s_delay_alu instid0(VALU_DEP_3) | instskip(NEXT) | instid1(VALU_DEP_3)
	v_div_fixup_f32 v8, v21, v20, 1.0
	v_mov_b32_e32 v7, v19
	s_delay_alu instid0(VALU_DEP_1)
	v_pk_mul_f32 v[6:7], v[6:7], v[8:9] op_sel_hi:[1,0]
.LBB282_65:                             ;   in Loop: Header=BB282_57 Depth=1
	s_or_b32 exec_lo, exec_lo, s0
	v_cmp_gt_f32_e32 vcc_lo, 0, v13
	s_mov_b32 s0, exec_lo
	v_cndmask_b32_e64 v10, v13, -v13, vcc_lo
	v_cmp_gt_f32_e32 vcc_lo, 0, v12
	v_cndmask_b32_e64 v11, v12, -v12, vcc_lo
	s_delay_alu instid0(VALU_DEP_1)
	v_cmpx_ge_f32_e32 v11, v10
	s_xor_b32 s10, exec_lo, s0
	s_cbranch_execz .LBB282_71
; %bb.66:                               ;   in Loop: Header=BB282_57 Depth=1
	v_cmp_neq_f32_e32 vcc_lo, 0, v12
	v_cmp_neq_f32_e64 s0, 0, v13
	s_or_b32 s0, vcc_lo, s0
	s_delay_alu instid0(SALU_CYCLE_1) | instskip(NEXT) | instid1(SALU_CYCLE_1)
	s_and_saveexec_b32 s11, s0
	s_xor_b32 s0, exec_lo, s11
	s_cbranch_execz .LBB282_68
; %bb.67:                               ;   in Loop: Header=BB282_57 Depth=1
	v_div_scale_f32 v8, null, v12, v12, v13
	v_div_scale_f32 v11, vcc_lo, v13, v12, v13
	s_delay_alu instid0(VALU_DEP_2) | instskip(SKIP_1) | instid1(TRANS32_DEP_1)
	v_rcp_f32_e32 v9, v8
	v_nop
	v_fma_f32 v10, -v8, v9, 1.0
	s_delay_alu instid0(VALU_DEP_1) | instskip(NEXT) | instid1(VALU_DEP_1)
	v_fmac_f32_e32 v9, v10, v9
	v_mul_f32_e32 v10, v11, v9
	s_delay_alu instid0(VALU_DEP_1) | instskip(NEXT) | instid1(VALU_DEP_1)
	v_fma_f32 v18, -v8, v10, v11
	v_fmac_f32_e32 v10, v18, v9
	s_delay_alu instid0(VALU_DEP_1) | instskip(NEXT) | instid1(VALU_DEP_1)
	v_fma_f32 v8, -v8, v10, v11
	v_div_fmas_f32 v8, v8, v9, v10
	s_delay_alu instid0(VALU_DEP_1) | instskip(NEXT) | instid1(VALU_DEP_1)
	v_div_fixup_f32 v8, v8, v12, v13
	v_fmac_f32_e32 v12, v13, v8
	s_delay_alu instid0(VALU_DEP_1) | instskip(SKIP_1) | instid1(VALU_DEP_2)
	v_div_scale_f32 v9, null, v12, v12, 1.0
	v_div_scale_f32 v18, vcc_lo, 1.0, v12, 1.0
	v_rcp_f32_e32 v13, v9
	v_nop
	s_delay_alu instid0(TRANS32_DEP_1) | instskip(NEXT) | instid1(VALU_DEP_1)
	v_fma_f32 v10, -v9, v13, 1.0
	v_fmac_f32_e32 v13, v10, v13
	s_delay_alu instid0(VALU_DEP_1) | instskip(NEXT) | instid1(VALU_DEP_1)
	v_mul_f32_e32 v20, v18, v13
	v_fma_f32 v10, -v9, v20, v18
	s_delay_alu instid0(VALU_DEP_1) | instskip(SKIP_1) | instid1(VALU_DEP_2)
	v_fmac_f32_e32 v20, v10, v13
	v_mov_b64_e32 v[10:11], s[8:9]
	v_fma_f32 v9, -v9, v20, v18
	v_mov_b64_e32 v[18:19], s[4:5]
	s_delay_alu instid0(VALU_DEP_2) | instskip(NEXT) | instid1(VALU_DEP_2)
	v_div_fmas_f32 v13, v9, v13, v20
	v_pk_fma_f32 v[20:21], v[8:9], v[18:19], v[10:11] op_sel_hi:[0,1,1] neg_lo:[1,0,0] neg_hi:[1,0,0]
	v_pk_fma_f32 v[8:9], v[8:9], v[18:19], v[10:11]
	s_delay_alu instid0(VALU_DEP_3) | instskip(NEXT) | instid1(VALU_DEP_3)
	v_div_fixup_f32 v10, v13, v12, 1.0
	v_mov_b32_e32 v9, v21
	s_delay_alu instid0(VALU_DEP_1)
	v_pk_mul_f32 v[8:9], v[8:9], v[10:11] op_sel_hi:[1,0]
                                        ; implicit-def: $vgpr10
                                        ; implicit-def: $vgpr11
.LBB282_68:                             ;   in Loop: Header=BB282_57 Depth=1
	s_and_not1_saveexec_b32 s11, s0
	s_cbranch_execz .LBB282_70
; %bb.69:                               ;   in Loop: Header=BB282_57 Depth=1
	v_div_scale_f32 v8, null, v10, v10, s9
	v_div_scale_f32 v9, null, v11, v11, s8
	v_div_scale_f32 v20, vcc_lo, s9, v10, s9
	s_delay_alu instid0(VALU_DEP_3) | instskip(NEXT) | instid1(VALU_DEP_2)
	v_rcp_f32_e32 v12, v8
	v_rcp_f32_e32 v13, v9
	s_delay_alu instid0(TRANS32_DEP_2) | instskip(NEXT) | instid1(TRANS32_DEP_1)
	v_fma_f32 v18, -v8, v12, 1.0
	v_fma_f32 v19, -v9, v13, 1.0
	s_delay_alu instid0(VALU_DEP_1) | instskip(SKIP_1) | instid1(VALU_DEP_1)
	v_dual_fmac_f32 v12, v18, v12 :: v_dual_fmac_f32 v13, v19, v13
	v_div_scale_f32 v18, s0, s8, v11, s8
	v_dual_mul_f32 v19, v20, v12 :: v_dual_mul_f32 v21, v18, v13
	s_delay_alu instid0(VALU_DEP_1) | instskip(NEXT) | instid1(VALU_DEP_1)
	v_dual_fma_f32 v22, -v8, v19, v20 :: v_dual_fma_f32 v23, -v9, v21, v18
	v_dual_fmac_f32 v19, v22, v12 :: v_dual_fmac_f32 v21, v23, v13
	s_delay_alu instid0(VALU_DEP_1) | instskip(NEXT) | instid1(VALU_DEP_1)
	v_dual_fma_f32 v8, -v8, v19, v20 :: v_dual_fma_f32 v9, -v9, v21, v18
	v_div_fmas_f32 v8, v8, v12, v19
	s_mov_b32 vcc_lo, s0
	s_delay_alu instid0(VALU_DEP_2) | instskip(NEXT) | instid1(VALU_DEP_2)
	v_div_fmas_f32 v12, v9, v13, v21
	v_div_fixup_f32 v9, v8, v10, s9
	s_delay_alu instid0(VALU_DEP_2)
	v_div_fixup_f32 v8, v12, v11, s8
.LBB282_70:                             ;   in Loop: Header=BB282_57 Depth=1
	s_or_b32 exec_lo, exec_lo, s11
                                        ; implicit-def: $vgpr10_vgpr11_vgpr12_vgpr13
.LBB282_71:                             ;   in Loop: Header=BB282_57 Depth=1
	s_and_not1_saveexec_b32 s0, s10
	s_cbranch_execz .LBB282_73
; %bb.72:                               ;   in Loop: Header=BB282_57 Depth=1
	v_div_scale_f32 v8, null, v13, v13, v12
	v_div_scale_f32 v11, vcc_lo, v12, v13, v12
	s_delay_alu instid0(VALU_DEP_2) | instskip(SKIP_1) | instid1(TRANS32_DEP_1)
	v_rcp_f32_e32 v9, v8
	v_nop
	v_fma_f32 v10, -v8, v9, 1.0
	s_delay_alu instid0(VALU_DEP_1) | instskip(NEXT) | instid1(VALU_DEP_1)
	v_fmac_f32_e32 v9, v10, v9
	v_mul_f32_e32 v10, v11, v9
	s_delay_alu instid0(VALU_DEP_1) | instskip(NEXT) | instid1(VALU_DEP_1)
	v_fma_f32 v18, -v8, v10, v11
	v_fmac_f32_e32 v10, v18, v9
	s_delay_alu instid0(VALU_DEP_1) | instskip(NEXT) | instid1(VALU_DEP_1)
	v_fma_f32 v8, -v8, v10, v11
	v_div_fmas_f32 v8, v8, v9, v10
	s_delay_alu instid0(VALU_DEP_1) | instskip(NEXT) | instid1(VALU_DEP_1)
	v_div_fixup_f32 v8, v8, v13, v12
	v_fmac_f32_e32 v13, v12, v8
	s_delay_alu instid0(VALU_DEP_1) | instskip(SKIP_1) | instid1(VALU_DEP_2)
	v_div_scale_f32 v9, null, v13, v13, 1.0
	v_div_scale_f32 v18, vcc_lo, 1.0, v13, 1.0
	v_rcp_f32_e32 v12, v9
	v_nop
	s_delay_alu instid0(TRANS32_DEP_1) | instskip(NEXT) | instid1(VALU_DEP_1)
	v_fma_f32 v10, -v9, v12, 1.0
	v_fmac_f32_e32 v12, v10, v12
	s_delay_alu instid0(VALU_DEP_1) | instskip(NEXT) | instid1(VALU_DEP_1)
	v_mul_f32_e32 v20, v18, v12
	v_fma_f32 v10, -v9, v20, v18
	s_delay_alu instid0(VALU_DEP_1) | instskip(SKIP_1) | instid1(VALU_DEP_2)
	v_fmac_f32_e32 v20, v10, v12
	v_mov_b64_e32 v[10:11], s[4:5]
	v_fma_f32 v9, -v9, v20, v18
	v_mov_b64_e32 v[18:19], s[8:9]
	s_delay_alu instid0(VALU_DEP_2) | instskip(NEXT) | instid1(VALU_DEP_2)
	v_div_fmas_f32 v12, v9, v12, v20
	v_pk_fma_f32 v[20:21], v[8:9], v[18:19], v[10:11] op_sel_hi:[0,1,1] neg_lo:[0,0,1] neg_hi:[0,0,1]
	v_pk_fma_f32 v[8:9], v[8:9], v[18:19], v[10:11]
	s_delay_alu instid0(VALU_DEP_3) | instskip(NEXT) | instid1(VALU_DEP_3)
	v_div_fixup_f32 v10, v12, v13, 1.0
	v_mov_b32_e32 v9, v21
	s_delay_alu instid0(VALU_DEP_1)
	v_pk_mul_f32 v[8:9], v[8:9], v[10:11] op_sel_hi:[1,0]
.LBB282_73:                             ;   in Loop: Header=BB282_57 Depth=1
	s_or_b32 exec_lo, exec_lo, s0
	s_wait_loadcnt 0x0
	v_cmp_gt_f32_e32 vcc_lo, 0, v3
                                        ; implicit-def: $vgpr10_vgpr11
	s_mov_b32 s0, exec_lo
	v_cndmask_b32_e64 v12, v3, -v3, vcc_lo
	v_cmp_gt_f32_e32 vcc_lo, 0, v2
	v_cndmask_b32_e64 v13, v2, -v2, vcc_lo
	s_delay_alu instid0(VALU_DEP_1)
	v_cmpx_ge_f32_e32 v13, v12
	s_xor_b32 s10, exec_lo, s0
	s_cbranch_execz .LBB282_79
; %bb.74:                               ;   in Loop: Header=BB282_57 Depth=1
	v_cmp_neq_f32_e32 vcc_lo, 0, v2
	v_cmp_neq_f32_e64 s0, 0, v3
                                        ; implicit-def: $vgpr10_vgpr11
	s_or_b32 s0, vcc_lo, s0
	s_delay_alu instid0(SALU_CYCLE_1) | instskip(NEXT) | instid1(SALU_CYCLE_1)
	s_and_saveexec_b32 s11, s0
	s_xor_b32 s0, exec_lo, s11
	s_cbranch_execz .LBB282_76
; %bb.75:                               ;   in Loop: Header=BB282_57 Depth=1
	v_div_scale_f32 v10, null, v2, v2, v3
	v_div_scale_f32 v13, vcc_lo, v3, v2, v3
	s_delay_alu instid0(VALU_DEP_2) | instskip(SKIP_1) | instid1(TRANS32_DEP_1)
	v_rcp_f32_e32 v11, v10
	v_nop
	v_fma_f32 v12, -v10, v11, 1.0
	s_delay_alu instid0(VALU_DEP_1) | instskip(NEXT) | instid1(VALU_DEP_1)
	v_fmac_f32_e32 v11, v12, v11
	v_mul_f32_e32 v12, v13, v11
	s_delay_alu instid0(VALU_DEP_1) | instskip(NEXT) | instid1(VALU_DEP_1)
	v_fma_f32 v18, -v10, v12, v13
	v_fmac_f32_e32 v12, v18, v11
	s_delay_alu instid0(VALU_DEP_1) | instskip(NEXT) | instid1(VALU_DEP_1)
	v_fma_f32 v10, -v10, v12, v13
	v_div_fmas_f32 v10, v10, v11, v12
	s_delay_alu instid0(VALU_DEP_1) | instskip(NEXT) | instid1(VALU_DEP_1)
	v_div_fixup_f32 v10, v10, v2, v3
	v_fma_f32 v22, v3, v10, v2
	s_delay_alu instid0(VALU_DEP_1) | instskip(SKIP_1) | instid1(VALU_DEP_2)
	v_div_scale_f32 v11, null, v22, v22, 1.0
	v_div_scale_f32 v18, vcc_lo, 1.0, v22, 1.0
	v_rcp_f32_e32 v20, v11
	v_nop
	s_delay_alu instid0(TRANS32_DEP_1) | instskip(NEXT) | instid1(VALU_DEP_1)
	v_fma_f32 v12, -v11, v20, 1.0
	v_fmac_f32_e32 v20, v12, v20
	s_delay_alu instid0(VALU_DEP_1) | instskip(NEXT) | instid1(VALU_DEP_1)
	v_mul_f32_e32 v21, v18, v20
	v_fma_f32 v12, -v11, v21, v18
	s_delay_alu instid0(VALU_DEP_1) | instskip(SKIP_1) | instid1(VALU_DEP_2)
	v_fmac_f32_e32 v21, v12, v20
	v_mov_b64_e32 v[12:13], s[8:9]
	v_fma_f32 v11, -v11, v21, v18
	v_mov_b64_e32 v[18:19], s[4:5]
	s_delay_alu instid0(VALU_DEP_2) | instskip(NEXT) | instid1(VALU_DEP_2)
	v_div_fmas_f32 v23, v11, v20, v21
	v_pk_fma_f32 v[20:21], v[10:11], v[18:19], v[12:13] op_sel_hi:[0,1,1] neg_lo:[1,0,0] neg_hi:[1,0,0]
	v_pk_fma_f32 v[10:11], v[10:11], v[18:19], v[12:13]
	s_delay_alu instid0(VALU_DEP_3) | instskip(NEXT) | instid1(VALU_DEP_3)
	v_div_fixup_f32 v12, v23, v22, 1.0
	v_mov_b32_e32 v11, v21
	s_delay_alu instid0(VALU_DEP_1)
	v_pk_mul_f32 v[10:11], v[10:11], v[12:13] op_sel_hi:[1,0]
                                        ; implicit-def: $vgpr12
                                        ; implicit-def: $vgpr13
.LBB282_76:                             ;   in Loop: Header=BB282_57 Depth=1
	s_and_not1_saveexec_b32 s11, s0
	s_cbranch_execz .LBB282_78
; %bb.77:                               ;   in Loop: Header=BB282_57 Depth=1
	v_div_scale_f32 v10, null, v12, v12, s9
	v_div_scale_f32 v11, null, v13, v13, s8
	v_div_scale_f32 v22, vcc_lo, s9, v12, s9
	s_delay_alu instid0(VALU_DEP_3) | instskip(NEXT) | instid1(VALU_DEP_2)
	v_rcp_f32_e32 v18, v10
	v_rcp_f32_e32 v19, v11
	s_delay_alu instid0(TRANS32_DEP_2) | instskip(NEXT) | instid1(TRANS32_DEP_1)
	v_fma_f32 v20, -v10, v18, 1.0
	v_fma_f32 v21, -v11, v19, 1.0
	s_delay_alu instid0(VALU_DEP_1) | instskip(SKIP_1) | instid1(VALU_DEP_1)
	v_dual_fmac_f32 v18, v20, v18 :: v_dual_fmac_f32 v19, v21, v19
	v_div_scale_f32 v20, s0, s8, v13, s8
	v_dual_mul_f32 v21, v22, v18 :: v_dual_mul_f32 v23, v20, v19
	s_delay_alu instid0(VALU_DEP_1) | instskip(NEXT) | instid1(VALU_DEP_1)
	v_dual_fma_f32 v24, -v10, v21, v22 :: v_dual_fma_f32 v25, -v11, v23, v20
	v_dual_fmac_f32 v21, v24, v18 :: v_dual_fmac_f32 v23, v25, v19
	s_delay_alu instid0(VALU_DEP_1) | instskip(NEXT) | instid1(VALU_DEP_1)
	v_dual_fma_f32 v10, -v10, v21, v22 :: v_dual_fma_f32 v11, -v11, v23, v20
	v_div_fmas_f32 v10, v10, v18, v21
	s_mov_b32 vcc_lo, s0
	s_delay_alu instid0(VALU_DEP_2) | instskip(NEXT) | instid1(VALU_DEP_2)
	v_div_fmas_f32 v18, v11, v19, v23
	v_div_fixup_f32 v11, v10, v12, s9
	s_delay_alu instid0(VALU_DEP_2)
	v_div_fixup_f32 v10, v18, v13, s8
.LBB282_78:                             ;   in Loop: Header=BB282_57 Depth=1
	s_or_b32 exec_lo, exec_lo, s11
.LBB282_79:                             ;   in Loop: Header=BB282_57 Depth=1
	s_and_not1_saveexec_b32 s0, s10
	s_cbranch_execz .LBB282_81
; %bb.80:                               ;   in Loop: Header=BB282_57 Depth=1
	v_div_scale_f32 v10, null, v3, v3, v2
	v_div_scale_f32 v13, vcc_lo, v2, v3, v2
	s_delay_alu instid0(VALU_DEP_2) | instskip(SKIP_1) | instid1(TRANS32_DEP_1)
	v_rcp_f32_e32 v11, v10
	v_nop
	v_fma_f32 v12, -v10, v11, 1.0
	s_delay_alu instid0(VALU_DEP_1) | instskip(NEXT) | instid1(VALU_DEP_1)
	v_fmac_f32_e32 v11, v12, v11
	v_mul_f32_e32 v12, v13, v11
	s_delay_alu instid0(VALU_DEP_1) | instskip(NEXT) | instid1(VALU_DEP_1)
	v_fma_f32 v18, -v10, v12, v13
	v_fmac_f32_e32 v12, v18, v11
	s_delay_alu instid0(VALU_DEP_1) | instskip(NEXT) | instid1(VALU_DEP_1)
	v_fma_f32 v10, -v10, v12, v13
	v_div_fmas_f32 v10, v10, v11, v12
	s_delay_alu instid0(VALU_DEP_1) | instskip(NEXT) | instid1(VALU_DEP_1)
	v_div_fixup_f32 v10, v10, v3, v2
	v_fma_f32 v11, v2, v10, v3
	s_delay_alu instid0(VALU_DEP_1) | instskip(SKIP_1) | instid1(VALU_DEP_2)
	v_div_scale_f32 v12, null, v11, v11, 1.0
	v_div_scale_f32 v13, vcc_lo, 1.0, v11, 1.0
	v_rcp_f32_e32 v18, v12
	v_nop
	s_delay_alu instid0(TRANS32_DEP_1) | instskip(NEXT) | instid1(VALU_DEP_1)
	v_fma_f32 v2, -v12, v18, 1.0
	v_fmac_f32_e32 v18, v2, v18
	s_delay_alu instid0(VALU_DEP_1) | instskip(NEXT) | instid1(VALU_DEP_1)
	v_mul_f32_e32 v19, v13, v18
	v_fma_f32 v2, -v12, v19, v13
	s_delay_alu instid0(VALU_DEP_1) | instskip(SKIP_1) | instid1(VALU_DEP_2)
	v_fmac_f32_e32 v19, v2, v18
	v_mov_b64_e32 v[2:3], s[4:5]
	v_fma_f32 v20, -v12, v19, v13
	v_mov_b64_e32 v[12:13], s[8:9]
	s_delay_alu instid0(VALU_DEP_2) | instskip(NEXT) | instid1(VALU_DEP_2)
	v_div_fmas_f32 v20, v20, v18, v19
	v_pk_fma_f32 v[18:19], v[10:11], v[12:13], v[2:3] op_sel_hi:[0,1,1] neg_lo:[0,0,1] neg_hi:[0,0,1]
	v_pk_fma_f32 v[2:3], v[10:11], v[12:13], v[2:3]
	s_delay_alu instid0(VALU_DEP_3) | instskip(NEXT) | instid1(VALU_DEP_3)
	v_div_fixup_f32 v10, v20, v11, 1.0
	v_mov_b32_e32 v3, v19
	s_delay_alu instid0(VALU_DEP_1)
	v_pk_mul_f32 v[10:11], v[2:3], v[10:11] op_sel_hi:[1,0]
.LBB282_81:                             ;   in Loop: Header=BB282_57 Depth=1
	s_or_b32 exec_lo, exec_lo, s0
	v_cmp_gt_f32_e32 vcc_lo, 0, v5
	s_mov_b32 s0, exec_lo
	v_cndmask_b32_e64 v2, v5, -v5, vcc_lo
	v_cmp_gt_f32_e32 vcc_lo, 0, v4
	v_cndmask_b32_e64 v3, v4, -v4, vcc_lo
	s_delay_alu instid0(VALU_DEP_1)
	v_cmpx_ge_f32_e32 v3, v2
	s_xor_b32 s10, exec_lo, s0
	s_cbranch_execz .LBB282_87
; %bb.82:                               ;   in Loop: Header=BB282_57 Depth=1
	v_cmp_neq_f32_e32 vcc_lo, 0, v4
	v_cmp_neq_f32_e64 s0, 0, v5
	s_or_b32 s0, vcc_lo, s0
	s_delay_alu instid0(SALU_CYCLE_1) | instskip(NEXT) | instid1(SALU_CYCLE_1)
	s_and_saveexec_b32 s11, s0
	s_xor_b32 s0, exec_lo, s11
	s_cbranch_execz .LBB282_84
; %bb.83:                               ;   in Loop: Header=BB282_57 Depth=1
	v_div_scale_f32 v2, null, v4, v4, v5
	v_div_scale_f32 v13, vcc_lo, v5, v4, v5
	s_delay_alu instid0(VALU_DEP_2) | instskip(SKIP_1) | instid1(TRANS32_DEP_1)
	v_rcp_f32_e32 v3, v2
	v_nop
	v_fma_f32 v12, -v2, v3, 1.0
	s_delay_alu instid0(VALU_DEP_1) | instskip(NEXT) | instid1(VALU_DEP_1)
	v_fmac_f32_e32 v3, v12, v3
	v_mul_f32_e32 v12, v13, v3
	s_delay_alu instid0(VALU_DEP_1) | instskip(NEXT) | instid1(VALU_DEP_1)
	v_fma_f32 v18, -v2, v12, v13
	v_fmac_f32_e32 v12, v18, v3
	s_delay_alu instid0(VALU_DEP_1) | instskip(NEXT) | instid1(VALU_DEP_1)
	v_fma_f32 v2, -v2, v12, v13
	v_div_fmas_f32 v2, v2, v3, v12
	s_delay_alu instid0(VALU_DEP_1) | instskip(NEXT) | instid1(VALU_DEP_1)
	v_div_fixup_f32 v2, v2, v4, v5
	v_fmac_f32_e32 v4, v5, v2
	s_delay_alu instid0(VALU_DEP_1) | instskip(NEXT) | instid1(VALU_DEP_1)
	v_div_scale_f32 v3, null, v4, v4, 1.0
	v_rcp_f32_e32 v5, v3
	v_nop
	s_delay_alu instid0(TRANS32_DEP_1) | instskip(NEXT) | instid1(VALU_DEP_1)
	v_fma_f32 v12, -v3, v5, 1.0
	v_fmac_f32_e32 v5, v12, v5
	v_div_scale_f32 v18, vcc_lo, 1.0, v4, 1.0
	s_delay_alu instid0(VALU_DEP_1) | instskip(NEXT) | instid1(VALU_DEP_1)
	v_mul_f32_e32 v20, v18, v5
	v_fma_f32 v12, -v3, v20, v18
	s_delay_alu instid0(VALU_DEP_1) | instskip(SKIP_1) | instid1(VALU_DEP_2)
	v_fmac_f32_e32 v20, v12, v5
	v_mov_b64_e32 v[12:13], s[8:9]
	v_fma_f32 v3, -v3, v20, v18
	v_mov_b64_e32 v[18:19], s[4:5]
	s_delay_alu instid0(VALU_DEP_2) | instskip(NEXT) | instid1(VALU_DEP_2)
	v_div_fmas_f32 v5, v3, v5, v20
	v_pk_fma_f32 v[20:21], v[2:3], v[18:19], v[12:13] op_sel_hi:[0,1,1] neg_lo:[1,0,0] neg_hi:[1,0,0]
	v_pk_fma_f32 v[2:3], v[2:3], v[18:19], v[12:13]
	s_delay_alu instid0(VALU_DEP_3) | instskip(NEXT) | instid1(VALU_DEP_3)
	v_div_fixup_f32 v4, v5, v4, 1.0
	v_mov_b32_e32 v3, v21
	s_delay_alu instid0(VALU_DEP_1)
	v_pk_mul_f32 v[12:13], v[2:3], v[4:5] op_sel_hi:[1,0]
                                        ; implicit-def: $vgpr2
                                        ; implicit-def: $vgpr3
.LBB282_84:                             ;   in Loop: Header=BB282_57 Depth=1
	s_and_not1_saveexec_b32 s11, s0
	s_cbranch_execz .LBB282_86
; %bb.85:                               ;   in Loop: Header=BB282_57 Depth=1
	v_div_scale_f32 v4, null, v2, v2, s9
	v_div_scale_f32 v5, null, v3, v3, s8
	v_div_scale_f32 v20, vcc_lo, s9, v2, s9
	s_delay_alu instid0(VALU_DEP_3) | instskip(NEXT) | instid1(VALU_DEP_2)
	v_rcp_f32_e32 v12, v4
	v_rcp_f32_e32 v13, v5
	s_delay_alu instid0(TRANS32_DEP_2) | instskip(NEXT) | instid1(TRANS32_DEP_1)
	v_fma_f32 v18, -v4, v12, 1.0
	v_fma_f32 v19, -v5, v13, 1.0
	s_delay_alu instid0(VALU_DEP_1) | instskip(SKIP_1) | instid1(VALU_DEP_1)
	v_dual_fmac_f32 v12, v18, v12 :: v_dual_fmac_f32 v13, v19, v13
	v_div_scale_f32 v18, s0, s8, v3, s8
	v_dual_mul_f32 v19, v20, v12 :: v_dual_mul_f32 v21, v18, v13
	s_delay_alu instid0(VALU_DEP_1) | instskip(NEXT) | instid1(VALU_DEP_1)
	v_dual_fma_f32 v22, -v4, v19, v20 :: v_dual_fma_f32 v23, -v5, v21, v18
	v_dual_fmac_f32 v19, v22, v12 :: v_dual_fmac_f32 v21, v23, v13
	s_delay_alu instid0(VALU_DEP_1) | instskip(NEXT) | instid1(VALU_DEP_1)
	v_dual_fma_f32 v4, -v4, v19, v20 :: v_dual_fma_f32 v5, -v5, v21, v18
	v_div_fmas_f32 v4, v4, v12, v19
	s_mov_b32 vcc_lo, s0
	s_delay_alu instid0(VALU_DEP_2) | instskip(NEXT) | instid1(VALU_DEP_2)
	v_div_fmas_f32 v5, v5, v13, v21
	v_div_fixup_f32 v13, v4, v2, s9
	s_delay_alu instid0(VALU_DEP_2)
	v_div_fixup_f32 v12, v5, v3, s8
.LBB282_86:                             ;   in Loop: Header=BB282_57 Depth=1
	s_or_b32 exec_lo, exec_lo, s11
                                        ; implicit-def: $vgpr2_vgpr3_vgpr4_vgpr5
.LBB282_87:                             ;   in Loop: Header=BB282_57 Depth=1
	s_and_not1_saveexec_b32 s0, s10
	s_cbranch_execz .LBB282_56
; %bb.88:                               ;   in Loop: Header=BB282_57 Depth=1
	v_div_scale_f32 v2, null, v5, v5, v4
	v_div_scale_f32 v13, vcc_lo, v4, v5, v4
	s_delay_alu instid0(VALU_DEP_2) | instskip(SKIP_1) | instid1(TRANS32_DEP_1)
	v_rcp_f32_e32 v3, v2
	v_nop
	v_fma_f32 v12, -v2, v3, 1.0
	s_delay_alu instid0(VALU_DEP_1) | instskip(NEXT) | instid1(VALU_DEP_1)
	v_fmac_f32_e32 v3, v12, v3
	v_mul_f32_e32 v12, v13, v3
	s_delay_alu instid0(VALU_DEP_1) | instskip(NEXT) | instid1(VALU_DEP_1)
	v_fma_f32 v18, -v2, v12, v13
	v_fmac_f32_e32 v12, v18, v3
	s_delay_alu instid0(VALU_DEP_1) | instskip(NEXT) | instid1(VALU_DEP_1)
	v_fma_f32 v2, -v2, v12, v13
	v_div_fmas_f32 v2, v2, v3, v12
	s_delay_alu instid0(VALU_DEP_1) | instskip(NEXT) | instid1(VALU_DEP_1)
	v_div_fixup_f32 v2, v2, v5, v4
	v_fmac_f32_e32 v5, v4, v2
	s_delay_alu instid0(VALU_DEP_1) | instskip(SKIP_1) | instid1(VALU_DEP_2)
	v_div_scale_f32 v3, null, v5, v5, 1.0
	v_div_scale_f32 v18, vcc_lo, 1.0, v5, 1.0
	v_rcp_f32_e32 v4, v3
	v_nop
	s_delay_alu instid0(TRANS32_DEP_1) | instskip(NEXT) | instid1(VALU_DEP_1)
	v_fma_f32 v12, -v3, v4, 1.0
	v_fmac_f32_e32 v4, v12, v4
	s_delay_alu instid0(VALU_DEP_1) | instskip(NEXT) | instid1(VALU_DEP_1)
	v_mul_f32_e32 v20, v18, v4
	v_fma_f32 v12, -v3, v20, v18
	s_delay_alu instid0(VALU_DEP_1) | instskip(SKIP_1) | instid1(VALU_DEP_2)
	v_fmac_f32_e32 v20, v12, v4
	v_mov_b64_e32 v[12:13], s[4:5]
	v_fma_f32 v3, -v3, v20, v18
	v_mov_b64_e32 v[18:19], s[8:9]
	s_delay_alu instid0(VALU_DEP_2) | instskip(NEXT) | instid1(VALU_DEP_2)
	v_div_fmas_f32 v4, v3, v4, v20
	v_pk_fma_f32 v[20:21], v[2:3], v[18:19], v[12:13] op_sel_hi:[0,1,1] neg_lo:[0,0,1] neg_hi:[0,0,1]
	v_pk_fma_f32 v[2:3], v[2:3], v[18:19], v[12:13]
	s_delay_alu instid0(VALU_DEP_3) | instskip(NEXT) | instid1(VALU_DEP_3)
	v_div_fixup_f32 v4, v4, v5, 1.0
	v_mov_b32_e32 v3, v21
	s_delay_alu instid0(VALU_DEP_1)
	v_pk_mul_f32 v[12:13], v[2:3], v[4:5] op_sel_hi:[1,0]
	s_branch .LBB282_56
.LBB282_89:
	s_endpgm
	.section	.rodata,"a",@progbits
	.p2align	6, 0x0
	.amdhsa_kernel _ZN2at6native12_GLOBAL__N_125multi_tensor_apply_kernelINS1_18TensorListMetadataILi1EEENS1_14UnaryOpFunctorIN3c107complexIfEELi1ELi1ELi0EEEJNS0_10ReciprocalIS8_EEEEEvT_T0_DpT1_
		.amdhsa_group_segment_fixed_size 0
		.amdhsa_private_segment_fixed_size 0
		.amdhsa_kernarg_size 3640
		.amdhsa_user_sgpr_count 2
		.amdhsa_user_sgpr_dispatch_ptr 0
		.amdhsa_user_sgpr_queue_ptr 0
		.amdhsa_user_sgpr_kernarg_segment_ptr 1
		.amdhsa_user_sgpr_dispatch_id 0
		.amdhsa_user_sgpr_kernarg_preload_length 0
		.amdhsa_user_sgpr_kernarg_preload_offset 0
		.amdhsa_user_sgpr_private_segment_size 0
		.amdhsa_wavefront_size32 1
		.amdhsa_uses_dynamic_stack 0
		.amdhsa_enable_private_segment 0
		.amdhsa_system_sgpr_workgroup_id_x 1
		.amdhsa_system_sgpr_workgroup_id_y 0
		.amdhsa_system_sgpr_workgroup_id_z 0
		.amdhsa_system_sgpr_workgroup_info 0
		.amdhsa_system_vgpr_workitem_id 0
		.amdhsa_next_free_vgpr 38
		.amdhsa_next_free_sgpr 29
		.amdhsa_named_barrier_count 0
		.amdhsa_reserve_vcc 1
		.amdhsa_float_round_mode_32 0
		.amdhsa_float_round_mode_16_64 0
		.amdhsa_float_denorm_mode_32 3
		.amdhsa_float_denorm_mode_16_64 3
		.amdhsa_fp16_overflow 0
		.amdhsa_memory_ordered 1
		.amdhsa_forward_progress 1
		.amdhsa_inst_pref_size 56
		.amdhsa_round_robin_scheduling 0
		.amdhsa_exception_fp_ieee_invalid_op 0
		.amdhsa_exception_fp_denorm_src 0
		.amdhsa_exception_fp_ieee_div_zero 0
		.amdhsa_exception_fp_ieee_overflow 0
		.amdhsa_exception_fp_ieee_underflow 0
		.amdhsa_exception_fp_ieee_inexact 0
		.amdhsa_exception_int_div_zero 0
	.end_amdhsa_kernel
	.section	.text._ZN2at6native12_GLOBAL__N_125multi_tensor_apply_kernelINS1_18TensorListMetadataILi1EEENS1_14UnaryOpFunctorIN3c107complexIfEELi1ELi1ELi0EEEJNS0_10ReciprocalIS8_EEEEEvT_T0_DpT1_,"axG",@progbits,_ZN2at6native12_GLOBAL__N_125multi_tensor_apply_kernelINS1_18TensorListMetadataILi1EEENS1_14UnaryOpFunctorIN3c107complexIfEELi1ELi1ELi0EEEJNS0_10ReciprocalIS8_EEEEEvT_T0_DpT1_,comdat
.Lfunc_end282:
	.size	_ZN2at6native12_GLOBAL__N_125multi_tensor_apply_kernelINS1_18TensorListMetadataILi1EEENS1_14UnaryOpFunctorIN3c107complexIfEELi1ELi1ELi0EEEJNS0_10ReciprocalIS8_EEEEEvT_T0_DpT1_, .Lfunc_end282-_ZN2at6native12_GLOBAL__N_125multi_tensor_apply_kernelINS1_18TensorListMetadataILi1EEENS1_14UnaryOpFunctorIN3c107complexIfEELi1ELi1ELi0EEEJNS0_10ReciprocalIS8_EEEEEvT_T0_DpT1_
                                        ; -- End function
	.set _ZN2at6native12_GLOBAL__N_125multi_tensor_apply_kernelINS1_18TensorListMetadataILi1EEENS1_14UnaryOpFunctorIN3c107complexIfEELi1ELi1ELi0EEEJNS0_10ReciprocalIS8_EEEEEvT_T0_DpT1_.num_vgpr, 38
	.set _ZN2at6native12_GLOBAL__N_125multi_tensor_apply_kernelINS1_18TensorListMetadataILi1EEENS1_14UnaryOpFunctorIN3c107complexIfEELi1ELi1ELi0EEEJNS0_10ReciprocalIS8_EEEEEvT_T0_DpT1_.num_agpr, 0
	.set _ZN2at6native12_GLOBAL__N_125multi_tensor_apply_kernelINS1_18TensorListMetadataILi1EEENS1_14UnaryOpFunctorIN3c107complexIfEELi1ELi1ELi0EEEJNS0_10ReciprocalIS8_EEEEEvT_T0_DpT1_.numbered_sgpr, 29
	.set _ZN2at6native12_GLOBAL__N_125multi_tensor_apply_kernelINS1_18TensorListMetadataILi1EEENS1_14UnaryOpFunctorIN3c107complexIfEELi1ELi1ELi0EEEJNS0_10ReciprocalIS8_EEEEEvT_T0_DpT1_.num_named_barrier, 0
	.set _ZN2at6native12_GLOBAL__N_125multi_tensor_apply_kernelINS1_18TensorListMetadataILi1EEENS1_14UnaryOpFunctorIN3c107complexIfEELi1ELi1ELi0EEEJNS0_10ReciprocalIS8_EEEEEvT_T0_DpT1_.private_seg_size, 0
	.set _ZN2at6native12_GLOBAL__N_125multi_tensor_apply_kernelINS1_18TensorListMetadataILi1EEENS1_14UnaryOpFunctorIN3c107complexIfEELi1ELi1ELi0EEEJNS0_10ReciprocalIS8_EEEEEvT_T0_DpT1_.uses_vcc, 1
	.set _ZN2at6native12_GLOBAL__N_125multi_tensor_apply_kernelINS1_18TensorListMetadataILi1EEENS1_14UnaryOpFunctorIN3c107complexIfEELi1ELi1ELi0EEEJNS0_10ReciprocalIS8_EEEEEvT_T0_DpT1_.uses_flat_scratch, 0
	.set _ZN2at6native12_GLOBAL__N_125multi_tensor_apply_kernelINS1_18TensorListMetadataILi1EEENS1_14UnaryOpFunctorIN3c107complexIfEELi1ELi1ELi0EEEJNS0_10ReciprocalIS8_EEEEEvT_T0_DpT1_.has_dyn_sized_stack, 0
	.set _ZN2at6native12_GLOBAL__N_125multi_tensor_apply_kernelINS1_18TensorListMetadataILi1EEENS1_14UnaryOpFunctorIN3c107complexIfEELi1ELi1ELi0EEEJNS0_10ReciprocalIS8_EEEEEvT_T0_DpT1_.has_recursion, 0
	.set _ZN2at6native12_GLOBAL__N_125multi_tensor_apply_kernelINS1_18TensorListMetadataILi1EEENS1_14UnaryOpFunctorIN3c107complexIfEELi1ELi1ELi0EEEJNS0_10ReciprocalIS8_EEEEEvT_T0_DpT1_.has_indirect_call, 0
	.section	.AMDGPU.csdata,"",@progbits
; Kernel info:
; codeLenInByte = 7052
; TotalNumSgprs: 31
; NumVgprs: 38
; ScratchSize: 0
; MemoryBound: 0
; FloatMode: 240
; IeeeMode: 1
; LDSByteSize: 0 bytes/workgroup (compile time only)
; SGPRBlocks: 0
; VGPRBlocks: 2
; NumSGPRsForWavesPerEU: 31
; NumVGPRsForWavesPerEU: 38
; NamedBarCnt: 0
; Occupancy: 16
; WaveLimiterHint : 0
; COMPUTE_PGM_RSRC2:SCRATCH_EN: 0
; COMPUTE_PGM_RSRC2:USER_SGPR: 2
; COMPUTE_PGM_RSRC2:TRAP_HANDLER: 0
; COMPUTE_PGM_RSRC2:TGID_X_EN: 1
; COMPUTE_PGM_RSRC2:TGID_Y_EN: 0
; COMPUTE_PGM_RSRC2:TGID_Z_EN: 0
; COMPUTE_PGM_RSRC2:TIDIG_COMP_CNT: 0
	.section	.text._ZN2at6native12_GLOBAL__N_125multi_tensor_apply_kernelINS1_18TensorListMetadataILi1EEENS1_14UnaryOpFunctorIN3c104HalfELi1ELi1ELi0EEEJNS0_10ReciprocalIfEEEEEvT_T0_DpT1_,"axG",@progbits,_ZN2at6native12_GLOBAL__N_125multi_tensor_apply_kernelINS1_18TensorListMetadataILi1EEENS1_14UnaryOpFunctorIN3c104HalfELi1ELi1ELi0EEEJNS0_10ReciprocalIfEEEEEvT_T0_DpT1_,comdat
	.globl	_ZN2at6native12_GLOBAL__N_125multi_tensor_apply_kernelINS1_18TensorListMetadataILi1EEENS1_14UnaryOpFunctorIN3c104HalfELi1ELi1ELi0EEEJNS0_10ReciprocalIfEEEEEvT_T0_DpT1_ ; -- Begin function _ZN2at6native12_GLOBAL__N_125multi_tensor_apply_kernelINS1_18TensorListMetadataILi1EEENS1_14UnaryOpFunctorIN3c104HalfELi1ELi1ELi0EEEJNS0_10ReciprocalIfEEEEEvT_T0_DpT1_
	.p2align	8
	.type	_ZN2at6native12_GLOBAL__N_125multi_tensor_apply_kernelINS1_18TensorListMetadataILi1EEENS1_14UnaryOpFunctorIN3c104HalfELi1ELi1ELi0EEEJNS0_10ReciprocalIfEEEEEvT_T0_DpT1_,@function
_ZN2at6native12_GLOBAL__N_125multi_tensor_apply_kernelINS1_18TensorListMetadataILi1EEENS1_14UnaryOpFunctorIN3c104HalfELi1ELi1ELi0EEEJNS0_10ReciprocalIfEEEEEvT_T0_DpT1_: ; @_ZN2at6native12_GLOBAL__N_125multi_tensor_apply_kernelINS1_18TensorListMetadataILi1EEENS1_14UnaryOpFunctorIN3c104HalfELi1ELi1ELi0EEEJNS0_10ReciprocalIfEEEEEvT_T0_DpT1_
; %bb.0:
	s_bfe_u32 s2, ttmp6, 0x4000c
	s_and_b32 s3, ttmp6, 15
	s_add_co_i32 s2, s2, 1
	s_getreg_b32 s4, hwreg(HW_REG_IB_STS2, 6, 4)
	s_mul_i32 s2, ttmp9, s2
	s_delay_alu instid0(SALU_CYCLE_1)
	s_add_co_i32 s3, s3, s2
	s_cmp_eq_u32 s4, 0
	s_cselect_b32 s2, ttmp9, s3
	s_mov_b32 s3, 0
	s_load_u8 s8, s[0:1], s2 offset:0x6e0
	s_add_nc_u64 s[4:5], s[0:1], s[2:3]
	s_mul_u64 s[6:7], s[2:3], 3
	s_delay_alu instid0(SALU_CYCLE_1)
	s_add_nc_u64 s[4:5], s[4:5], s[6:7]
	s_load_b32 s10, s[4:5], 0x820
	s_wait_kmcnt 0x0
	s_clause 0x2
	s_load_b64 s[6:7], s[0:1], s8 offset:0x0 scale_offset
	s_load_b64 s[12:13], s[0:1], s8 offset:0x370 scale_offset
	s_load_b32 s20, s[0:1], 0xd2c
	s_ashr_i32 s11, s10, 31
	s_wait_kmcnt 0x0
	s_and_b64 s[4:5], s[6:7], 7
	s_and_b32 s2, s12, 3
	s_lshl_b64 s[8:9], s[10:11], 17
	s_or_b64 s[2:3], s[4:5], s[2:3]
	s_lshl_b64 s[4:5], s[10:11], 16
	s_cmp_eq_u64 s[2:3], 0
	s_sub_nc_u64 s[10:11], s[12:13], s[4:5]
	s_cbranch_scc1 .LBB283_21
; %bb.1:
	v_cmp_lt_i64_e64 s2, s[10:11], 1
	s_and_b32 vcc_lo, exec_lo, s2
	s_cbranch_vccnz .LBB283_20
; %bb.2:
	s_load_b32 s2, s[0:1], 0xd3c
	v_min_i64 v[2:3], 0x10000, s[10:11]
	v_min_u64 v[4:5], 0x10000, s[10:11]
	v_dual_mov_b32 v1, 0 :: v_dual_lshlrev_b32 v8, 1, v0
	s_mov_b32 s3, 0
	s_add_nc_u64 s[4:5], s[6:7], s[8:9]
	s_mov_b32 s15, s3
	s_delay_alu instid0(VALU_DEP_1)
	v_mov_b32_e32 v15, v1
	s_mov_b32 s17, s3
	s_mov_b32 s13, s3
	s_mov_b64 s[18:19], 0
	s_wait_kmcnt 0x0
	s_and_b32 s2, s2, 0xffff
	s_delay_alu instid0(SALU_CYCLE_1)
	v_add_nc_u64_e32 v[6:7], s[2:3], v[0:1]
	v_mov_b32_e32 v9, v1
	s_lshl_b32 s14, s2, 1
	s_mul_i32 s16, s2, 3
	v_add_nc_u64_e32 v[12:13], s[14:15], v[0:1]
	v_add_nc_u64_e32 v[10:11], s[16:17], v[0:1]
	s_lshl_b32 s12, s2, 2
	v_lshlrev_b32_e32 v14, 1, v6
	v_add_nc_u64_e32 v[8:9], s[4:5], v[8:9]
	s_lshl_b32 s14, s2, 3
	s_mul_u64 s[16:17], s[2:3], 6
	s_delay_alu instid0(VALU_DEP_2)
	v_add_nc_u64_e32 v[14:15], s[4:5], v[14:15]
	s_branch .LBB283_4
.LBB283_3:                              ;   in Loop: Header=BB283_4 Depth=1
	s_wait_xcnt 0x0
	s_or_b32 exec_lo, exec_lo, s3
	s_add_nc_u64 s[18:19], s[18:19], s[12:13]
	v_add_nc_u64_e32 v[8:9], s[14:15], v[8:9]
	v_cmp_lt_i64_e32 vcc_lo, s[18:19], v[2:3]
	v_add_nc_u64_e32 v[14:15], s[14:15], v[14:15]
	s_cbranch_vccz .LBB283_20
.LBB283_4:                              ; =>This Inner Loop Header: Depth=1
	v_add_nc_u64_e32 v[16:17], s[18:19], v[0:1]
	v_mov_b32_e32 v23, 0
	s_delay_alu instid0(VALU_DEP_2)
	v_cmp_lt_u64_e32 vcc_lo, v[16:17], v[4:5]
	s_and_saveexec_b32 s2, vcc_lo
	s_cbranch_execz .LBB283_6
; %bb.5:                                ;   in Loop: Header=BB283_4 Depth=1
	global_load_u16 v16, v[8:9], off
	s_wait_loadcnt 0x0
	v_cvt_f32_f16_e32 v23, v16
.LBB283_6:                              ;   in Loop: Header=BB283_4 Depth=1
	s_wait_xcnt 0x0
	s_or_b32 exec_lo, exec_lo, s2
	v_add_nc_u64_e32 v[16:17], s[18:19], v[6:7]
	v_dual_mov_b32 v20, 0 :: v_dual_mov_b32 v22, 0
	s_delay_alu instid0(VALU_DEP_2)
	v_cmp_lt_u64_e64 s4, v[16:17], v[4:5]
	s_and_saveexec_b32 s2, s4
	s_cbranch_execz .LBB283_8
; %bb.7:                                ;   in Loop: Header=BB283_4 Depth=1
	global_load_u16 v16, v[14:15], off
	s_wait_loadcnt 0x0
	v_cvt_f32_f16_e32 v22, v16
.LBB283_8:                              ;   in Loop: Header=BB283_4 Depth=1
	s_wait_xcnt 0x0
	s_or_b32 exec_lo, exec_lo, s2
	v_add_nc_u64_e32 v[16:17], s[18:19], v[12:13]
	v_add_nc_u64_e32 v[18:19], s[12:13], v[8:9]
	s_delay_alu instid0(VALU_DEP_2)
	v_cmp_lt_u64_e64 s3, v[16:17], v[4:5]
	s_and_saveexec_b32 s2, s3
	s_cbranch_execz .LBB283_10
; %bb.9:                                ;   in Loop: Header=BB283_4 Depth=1
	global_load_u16 v16, v[18:19], off
	s_wait_loadcnt 0x0
	v_cvt_f32_f16_e32 v20, v16
.LBB283_10:                             ;   in Loop: Header=BB283_4 Depth=1
	s_wait_xcnt 0x0
	s_or_b32 exec_lo, exec_lo, s2
	v_add_nc_u64_e32 v[16:17], s[18:19], v[10:11]
	v_mov_b32_e32 v21, 0
	s_delay_alu instid0(VALU_DEP_2)
	v_cmp_lt_u64_e64 s2, v[16:17], v[4:5]
	v_add_nc_u64_e32 v[16:17], s[16:17], v[8:9]
	s_and_saveexec_b32 s5, s2
	s_cbranch_execnz .LBB283_15
; %bb.11:                               ;   in Loop: Header=BB283_4 Depth=1
	s_or_b32 exec_lo, exec_lo, s5
	s_and_saveexec_b32 s5, vcc_lo
	s_cbranch_execnz .LBB283_16
.LBB283_12:                             ;   in Loop: Header=BB283_4 Depth=1
	s_or_b32 exec_lo, exec_lo, s5
	s_and_saveexec_b32 s5, s4
	s_cbranch_execnz .LBB283_17
.LBB283_13:                             ;   in Loop: Header=BB283_4 Depth=1
	s_or_b32 exec_lo, exec_lo, s5
	s_and_saveexec_b32 s4, s3
	s_cbranch_execnz .LBB283_18
.LBB283_14:                             ;   in Loop: Header=BB283_4 Depth=1
	s_or_b32 exec_lo, exec_lo, s4
	s_and_saveexec_b32 s3, s2
	s_cbranch_execz .LBB283_3
	s_branch .LBB283_19
.LBB283_15:                             ;   in Loop: Header=BB283_4 Depth=1
	global_load_u16 v21, v[16:17], off
	s_wait_loadcnt 0x0
	v_cvt_f32_f16_e32 v21, v21
	s_wait_xcnt 0x0
	s_or_b32 exec_lo, exec_lo, s5
	s_and_saveexec_b32 s5, vcc_lo
	s_cbranch_execz .LBB283_12
.LBB283_16:                             ;   in Loop: Header=BB283_4 Depth=1
	v_div_scale_f32 v24, null, v23, v23, s20
	s_delay_alu instid0(VALU_DEP_1) | instskip(SKIP_1) | instid1(TRANS32_DEP_1)
	v_rcp_f32_e32 v25, v24
	v_nop
	v_fma_f32 v26, -v24, v25, 1.0
	s_delay_alu instid0(VALU_DEP_1) | instskip(SKIP_1) | instid1(VALU_DEP_1)
	v_fmac_f32_e32 v25, v26, v25
	v_div_scale_f32 v26, vcc_lo, s20, v23, s20
	v_mul_f32_e32 v27, v26, v25
	s_delay_alu instid0(VALU_DEP_1) | instskip(NEXT) | instid1(VALU_DEP_1)
	v_fma_f32 v28, -v24, v27, v26
	v_fmac_f32_e32 v27, v28, v25
	s_delay_alu instid0(VALU_DEP_1) | instskip(NEXT) | instid1(VALU_DEP_1)
	v_fma_f32 v24, -v24, v27, v26
	v_div_fmas_f32 v24, v24, v25, v27
	s_delay_alu instid0(VALU_DEP_1) | instskip(NEXT) | instid1(VALU_DEP_1)
	v_div_fixup_f32 v23, v24, v23, s20
	v_cvt_f16_f32_e32 v23, v23
	global_store_b16 v[8:9], v23, off
	s_wait_xcnt 0x0
	s_or_b32 exec_lo, exec_lo, s5
	s_and_saveexec_b32 s5, s4
	s_cbranch_execz .LBB283_13
.LBB283_17:                             ;   in Loop: Header=BB283_4 Depth=1
	v_div_scale_f32 v23, null, v22, v22, s20
	s_delay_alu instid0(VALU_DEP_1) | instskip(SKIP_1) | instid1(TRANS32_DEP_1)
	v_rcp_f32_e32 v24, v23
	v_nop
	v_fma_f32 v25, -v23, v24, 1.0
	s_delay_alu instid0(VALU_DEP_1) | instskip(SKIP_1) | instid1(VALU_DEP_1)
	v_fmac_f32_e32 v24, v25, v24
	v_div_scale_f32 v25, vcc_lo, s20, v22, s20
	v_mul_f32_e32 v26, v25, v24
	s_delay_alu instid0(VALU_DEP_1) | instskip(NEXT) | instid1(VALU_DEP_1)
	v_fma_f32 v27, -v23, v26, v25
	v_fmac_f32_e32 v26, v27, v24
	s_delay_alu instid0(VALU_DEP_1) | instskip(NEXT) | instid1(VALU_DEP_1)
	v_fma_f32 v23, -v23, v26, v25
	v_div_fmas_f32 v23, v23, v24, v26
	s_delay_alu instid0(VALU_DEP_1) | instskip(NEXT) | instid1(VALU_DEP_1)
	v_div_fixup_f32 v22, v23, v22, s20
	v_cvt_f16_f32_e32 v22, v22
	global_store_b16 v[14:15], v22, off
	s_wait_xcnt 0x0
	s_or_b32 exec_lo, exec_lo, s5
	s_and_saveexec_b32 s4, s3
	s_cbranch_execz .LBB283_14
.LBB283_18:                             ;   in Loop: Header=BB283_4 Depth=1
	v_div_scale_f32 v22, null, v20, v20, s20
	s_delay_alu instid0(VALU_DEP_1) | instskip(SKIP_1) | instid1(TRANS32_DEP_1)
	v_rcp_f32_e32 v23, v22
	v_nop
	v_fma_f32 v24, -v22, v23, 1.0
	s_delay_alu instid0(VALU_DEP_1) | instskip(SKIP_1) | instid1(VALU_DEP_1)
	v_fmac_f32_e32 v23, v24, v23
	v_div_scale_f32 v24, vcc_lo, s20, v20, s20
	v_mul_f32_e32 v25, v24, v23
	s_delay_alu instid0(VALU_DEP_1) | instskip(NEXT) | instid1(VALU_DEP_1)
	v_fma_f32 v26, -v22, v25, v24
	v_fmac_f32_e32 v25, v26, v23
	s_delay_alu instid0(VALU_DEP_1) | instskip(NEXT) | instid1(VALU_DEP_1)
	v_fma_f32 v22, -v22, v25, v24
	v_div_fmas_f32 v22, v22, v23, v25
	s_delay_alu instid0(VALU_DEP_1) | instskip(NEXT) | instid1(VALU_DEP_1)
	v_div_fixup_f32 v20, v22, v20, s20
	v_cvt_f16_f32_e32 v20, v20
	global_store_b16 v[18:19], v20, off
	s_wait_xcnt 0x0
	s_or_b32 exec_lo, exec_lo, s4
	s_and_saveexec_b32 s3, s2
	s_cbranch_execz .LBB283_3
.LBB283_19:                             ;   in Loop: Header=BB283_4 Depth=1
	v_div_scale_f32 v18, null, v21, v21, s20
	s_delay_alu instid0(VALU_DEP_1) | instskip(SKIP_1) | instid1(TRANS32_DEP_1)
	v_rcp_f32_e32 v19, v18
	v_nop
	v_fma_f32 v20, -v18, v19, 1.0
	s_delay_alu instid0(VALU_DEP_1) | instskip(SKIP_1) | instid1(VALU_DEP_1)
	v_fmac_f32_e32 v19, v20, v19
	v_div_scale_f32 v20, vcc_lo, s20, v21, s20
	v_mul_f32_e32 v22, v20, v19
	s_delay_alu instid0(VALU_DEP_1) | instskip(NEXT) | instid1(VALU_DEP_1)
	v_fma_f32 v23, -v18, v22, v20
	v_fmac_f32_e32 v22, v23, v19
	s_delay_alu instid0(VALU_DEP_1) | instskip(NEXT) | instid1(VALU_DEP_1)
	v_fma_f32 v18, -v18, v22, v20
	v_div_fmas_f32 v18, v18, v19, v22
	s_delay_alu instid0(VALU_DEP_1) | instskip(NEXT) | instid1(VALU_DEP_1)
	v_div_fixup_f32 v18, v18, v21, s20
	v_cvt_f16_f32_e32 v18, v18
	global_store_b16 v[16:17], v18, off
	s_branch .LBB283_3
.LBB283_20:
	s_cbranch_execz .LBB283_22
	s_branch .LBB283_25
.LBB283_21:
.LBB283_22:
	v_min_i64 v[2:3], 0x10000, s[10:11]
	v_dual_mov_b32 v5, 0 :: v_dual_lshlrev_b32 v4, 2, v0
	s_mov_b32 s2, exec_lo
	s_delay_alu instid0(VALU_DEP_1)
	v_cmpx_lt_i64_e64 v[4:5], v[2:3]
	s_cbranch_execz .LBB283_25
; %bb.23:
	s_load_b32 s2, s[0:1], 0xd3c
	v_dual_mov_b32 v1, v5 :: v_dual_lshlrev_b32 v4, 3, v0
	s_wait_xcnt 0x0
	s_add_nc_u64 s[0:1], s[6:7], s[8:9]
	s_mov_b32 s5, 0
	s_delay_alu instid0(VALU_DEP_1) | instskip(SKIP_2) | instid1(VALU_DEP_1)
	v_add_nc_u64_e32 v[6:7], s[0:1], v[4:5]
	s_mov_b32 s7, s5
	s_mov_b32 s3, s5
	v_add_nc_u64_e32 v[4:5], 4, v[6:7]
	s_wait_kmcnt 0x0
	s_and_b32 s4, s2, 0xffff
	s_delay_alu instid0(SALU_CYCLE_1)
	s_lshl_b32 s6, s4, 3
.LBB283_24:                             ; =>This Inner Loop Header: Depth=1
	global_load_b64 v[6:7], v[4:5], off offset:-4
	v_add_nc_u64_e32 v[0:1], s[4:5], v[0:1]
	s_wait_loadcnt 0x0
	v_cvt_f32_f16_e32 v8, v6
	v_dual_lshrrev_b32 v6, 16, v6 :: v_dual_lshrrev_b32 v9, 16, v7
	v_cvt_f32_f16_e32 v7, v7
	s_delay_alu instid0(VALU_DEP_3) | instskip(NEXT) | instid1(VALU_DEP_3)
	v_div_scale_f32 v10, null, v8, v8, s20
	v_cvt_f32_f16_e32 v6, v6
	s_delay_alu instid0(VALU_DEP_3) | instskip(SKIP_1) | instid1(VALU_DEP_4)
	v_div_scale_f32 v11, null, v7, v7, s20
	v_cvt_f32_f16_e32 v9, v9
	v_rcp_f32_e32 v13, v10
	s_delay_alu instid0(VALU_DEP_3) | instskip(NEXT) | instid1(VALU_DEP_3)
	v_div_scale_f32 v12, null, v6, v6, s20
	v_rcp_f32_e32 v14, v11
	s_delay_alu instid0(VALU_DEP_2) | instskip(NEXT) | instid1(VALU_DEP_2)
	v_div_scale_f32 v15, null, v9, v9, s20
	v_rcp_f32_e32 v16, v12
	s_delay_alu instid0(TRANS32_DEP_3) | instskip(SKIP_1) | instid1(VALU_DEP_3)
	v_fma_f32 v20, -v10, v13, 1.0
	v_div_scale_f32 v17, vcc_lo, s20, v8, s20
	v_rcp_f32_e32 v19, v15
	s_delay_alu instid0(TRANS32_DEP_3) | instskip(NEXT) | instid1(VALU_DEP_3)
	v_fma_f32 v21, -v11, v14, 1.0
	v_fmac_f32_e32 v13, v20, v13
	s_delay_alu instid0(TRANS32_DEP_2) | instskip(SKIP_1) | instid1(VALU_DEP_4)
	v_fma_f32 v22, -v12, v16, 1.0
	v_div_scale_f32 v18, s0, s20, v7, s20
	v_fmac_f32_e32 v14, v21, v14
	s_delay_alu instid0(TRANS32_DEP_1) | instskip(SKIP_3) | instid1(VALU_DEP_4)
	v_fma_f32 v20, -v15, v19, 1.0
	v_div_scale_f32 v23, s1, s20, v6, s20
	v_dual_fmac_f32 v16, v22, v16 :: v_dual_mul_f32 v22, v17, v13
	v_div_scale_f32 v21, s2, s20, v9, s20
	v_dual_mul_f32 v24, v18, v14 :: v_dual_fmac_f32 v19, v20, v19
	s_delay_alu instid0(VALU_DEP_3) | instskip(NEXT) | instid1(VALU_DEP_2)
	v_dual_mul_f32 v20, v23, v16 :: v_dual_fma_f32 v25, -v10, v22, v17
	v_dual_fma_f32 v26, -v11, v24, v18 :: v_dual_mul_f32 v27, v21, v19
	s_delay_alu instid0(VALU_DEP_2) | instskip(NEXT) | instid1(VALU_DEP_2)
	v_dual_fma_f32 v28, -v12, v20, v23 :: v_dual_fmac_f32 v22, v25, v13
	v_dual_fmac_f32 v24, v26, v14 :: v_dual_fma_f32 v25, -v15, v27, v21
	s_delay_alu instid0(VALU_DEP_2) | instskip(NEXT) | instid1(VALU_DEP_2)
	v_dual_fmac_f32 v20, v28, v16 :: v_dual_fma_f32 v10, -v10, v22, v17
	v_dual_fma_f32 v11, -v11, v24, v18 :: v_dual_fmac_f32 v27, v25, v19
	s_delay_alu instid0(VALU_DEP_2) | instskip(NEXT) | instid1(VALU_DEP_3)
	v_fma_f32 v12, -v12, v20, v23
	v_div_fmas_f32 v10, v10, v13, v22
	s_mov_b32 vcc_lo, s1
	s_delay_alu instid0(VALU_DEP_3) | instskip(NEXT) | instid1(VALU_DEP_3)
	v_fma_f32 v13, -v15, v27, v21
	v_div_fmas_f32 v12, v12, v16, v20
	s_mov_b32 vcc_lo, s0
	v_div_fixup_f32 v8, v10, v8, s20
	v_div_fmas_f32 v11, v11, v14, v24
	s_mov_b32 vcc_lo, s2
	v_div_fixup_f32 v10, v12, v6, s20
	v_div_fmas_f32 v13, v13, v19, v27
	s_delay_alu instid0(VALU_DEP_3) | instskip(SKIP_1) | instid1(VALU_DEP_4)
	v_div_fixup_f32 v11, v11, v7, s20
	v_lshlrev_b64_e32 v[6:7], 2, v[0:1]
	v_cvt_pk_f16_f32 v8, v8, v10
	s_delay_alu instid0(VALU_DEP_4) | instskip(NEXT) | instid1(VALU_DEP_1)
	v_div_fixup_f32 v9, v13, v9, s20
	v_cvt_pk_f16_f32 v9, v11, v9
	s_delay_alu instid0(VALU_DEP_4) | instskip(SKIP_4) | instid1(SALU_CYCLE_1)
	v_cmp_ge_i64_e32 vcc_lo, v[6:7], v[2:3]
	global_store_b64 v[4:5], v[8:9], off offset:-4
	s_wait_xcnt 0x0
	v_add_nc_u64_e32 v[4:5], s[6:7], v[4:5]
	s_or_b32 s3, vcc_lo, s3
	s_and_not1_b32 exec_lo, exec_lo, s3
	s_cbranch_execnz .LBB283_24
.LBB283_25:
	s_endpgm
	.section	.rodata,"a",@progbits
	.p2align	6, 0x0
	.amdhsa_kernel _ZN2at6native12_GLOBAL__N_125multi_tensor_apply_kernelINS1_18TensorListMetadataILi1EEENS1_14UnaryOpFunctorIN3c104HalfELi1ELi1ELi0EEEJNS0_10ReciprocalIfEEEEEvT_T0_DpT1_
		.amdhsa_group_segment_fixed_size 0
		.amdhsa_private_segment_fixed_size 0
		.amdhsa_kernarg_size 3632
		.amdhsa_user_sgpr_count 2
		.amdhsa_user_sgpr_dispatch_ptr 0
		.amdhsa_user_sgpr_queue_ptr 0
		.amdhsa_user_sgpr_kernarg_segment_ptr 1
		.amdhsa_user_sgpr_dispatch_id 0
		.amdhsa_user_sgpr_kernarg_preload_length 0
		.amdhsa_user_sgpr_kernarg_preload_offset 0
		.amdhsa_user_sgpr_private_segment_size 0
		.amdhsa_wavefront_size32 1
		.amdhsa_uses_dynamic_stack 0
		.amdhsa_enable_private_segment 0
		.amdhsa_system_sgpr_workgroup_id_x 1
		.amdhsa_system_sgpr_workgroup_id_y 0
		.amdhsa_system_sgpr_workgroup_id_z 0
		.amdhsa_system_sgpr_workgroup_info 0
		.amdhsa_system_vgpr_workitem_id 0
		.amdhsa_next_free_vgpr 29
		.amdhsa_next_free_sgpr 21
		.amdhsa_named_barrier_count 0
		.amdhsa_reserve_vcc 1
		.amdhsa_float_round_mode_32 0
		.amdhsa_float_round_mode_16_64 0
		.amdhsa_float_denorm_mode_32 3
		.amdhsa_float_denorm_mode_16_64 3
		.amdhsa_fp16_overflow 0
		.amdhsa_memory_ordered 1
		.amdhsa_forward_progress 1
		.amdhsa_inst_pref_size 14
		.amdhsa_round_robin_scheduling 0
		.amdhsa_exception_fp_ieee_invalid_op 0
		.amdhsa_exception_fp_denorm_src 0
		.amdhsa_exception_fp_ieee_div_zero 0
		.amdhsa_exception_fp_ieee_overflow 0
		.amdhsa_exception_fp_ieee_underflow 0
		.amdhsa_exception_fp_ieee_inexact 0
		.amdhsa_exception_int_div_zero 0
	.end_amdhsa_kernel
	.section	.text._ZN2at6native12_GLOBAL__N_125multi_tensor_apply_kernelINS1_18TensorListMetadataILi1EEENS1_14UnaryOpFunctorIN3c104HalfELi1ELi1ELi0EEEJNS0_10ReciprocalIfEEEEEvT_T0_DpT1_,"axG",@progbits,_ZN2at6native12_GLOBAL__N_125multi_tensor_apply_kernelINS1_18TensorListMetadataILi1EEENS1_14UnaryOpFunctorIN3c104HalfELi1ELi1ELi0EEEJNS0_10ReciprocalIfEEEEEvT_T0_DpT1_,comdat
.Lfunc_end283:
	.size	_ZN2at6native12_GLOBAL__N_125multi_tensor_apply_kernelINS1_18TensorListMetadataILi1EEENS1_14UnaryOpFunctorIN3c104HalfELi1ELi1ELi0EEEJNS0_10ReciprocalIfEEEEEvT_T0_DpT1_, .Lfunc_end283-_ZN2at6native12_GLOBAL__N_125multi_tensor_apply_kernelINS1_18TensorListMetadataILi1EEENS1_14UnaryOpFunctorIN3c104HalfELi1ELi1ELi0EEEJNS0_10ReciprocalIfEEEEEvT_T0_DpT1_
                                        ; -- End function
	.set _ZN2at6native12_GLOBAL__N_125multi_tensor_apply_kernelINS1_18TensorListMetadataILi1EEENS1_14UnaryOpFunctorIN3c104HalfELi1ELi1ELi0EEEJNS0_10ReciprocalIfEEEEEvT_T0_DpT1_.num_vgpr, 29
	.set _ZN2at6native12_GLOBAL__N_125multi_tensor_apply_kernelINS1_18TensorListMetadataILi1EEENS1_14UnaryOpFunctorIN3c104HalfELi1ELi1ELi0EEEJNS0_10ReciprocalIfEEEEEvT_T0_DpT1_.num_agpr, 0
	.set _ZN2at6native12_GLOBAL__N_125multi_tensor_apply_kernelINS1_18TensorListMetadataILi1EEENS1_14UnaryOpFunctorIN3c104HalfELi1ELi1ELi0EEEJNS0_10ReciprocalIfEEEEEvT_T0_DpT1_.numbered_sgpr, 21
	.set _ZN2at6native12_GLOBAL__N_125multi_tensor_apply_kernelINS1_18TensorListMetadataILi1EEENS1_14UnaryOpFunctorIN3c104HalfELi1ELi1ELi0EEEJNS0_10ReciprocalIfEEEEEvT_T0_DpT1_.num_named_barrier, 0
	.set _ZN2at6native12_GLOBAL__N_125multi_tensor_apply_kernelINS1_18TensorListMetadataILi1EEENS1_14UnaryOpFunctorIN3c104HalfELi1ELi1ELi0EEEJNS0_10ReciprocalIfEEEEEvT_T0_DpT1_.private_seg_size, 0
	.set _ZN2at6native12_GLOBAL__N_125multi_tensor_apply_kernelINS1_18TensorListMetadataILi1EEENS1_14UnaryOpFunctorIN3c104HalfELi1ELi1ELi0EEEJNS0_10ReciprocalIfEEEEEvT_T0_DpT1_.uses_vcc, 1
	.set _ZN2at6native12_GLOBAL__N_125multi_tensor_apply_kernelINS1_18TensorListMetadataILi1EEENS1_14UnaryOpFunctorIN3c104HalfELi1ELi1ELi0EEEJNS0_10ReciprocalIfEEEEEvT_T0_DpT1_.uses_flat_scratch, 0
	.set _ZN2at6native12_GLOBAL__N_125multi_tensor_apply_kernelINS1_18TensorListMetadataILi1EEENS1_14UnaryOpFunctorIN3c104HalfELi1ELi1ELi0EEEJNS0_10ReciprocalIfEEEEEvT_T0_DpT1_.has_dyn_sized_stack, 0
	.set _ZN2at6native12_GLOBAL__N_125multi_tensor_apply_kernelINS1_18TensorListMetadataILi1EEENS1_14UnaryOpFunctorIN3c104HalfELi1ELi1ELi0EEEJNS0_10ReciprocalIfEEEEEvT_T0_DpT1_.has_recursion, 0
	.set _ZN2at6native12_GLOBAL__N_125multi_tensor_apply_kernelINS1_18TensorListMetadataILi1EEENS1_14UnaryOpFunctorIN3c104HalfELi1ELi1ELi0EEEJNS0_10ReciprocalIfEEEEEvT_T0_DpT1_.has_indirect_call, 0
	.section	.AMDGPU.csdata,"",@progbits
; Kernel info:
; codeLenInByte = 1720
; TotalNumSgprs: 23
; NumVgprs: 29
; ScratchSize: 0
; MemoryBound: 0
; FloatMode: 240
; IeeeMode: 1
; LDSByteSize: 0 bytes/workgroup (compile time only)
; SGPRBlocks: 0
; VGPRBlocks: 1
; NumSGPRsForWavesPerEU: 23
; NumVGPRsForWavesPerEU: 29
; NamedBarCnt: 0
; Occupancy: 16
; WaveLimiterHint : 0
; COMPUTE_PGM_RSRC2:SCRATCH_EN: 0
; COMPUTE_PGM_RSRC2:USER_SGPR: 2
; COMPUTE_PGM_RSRC2:TRAP_HANDLER: 0
; COMPUTE_PGM_RSRC2:TGID_X_EN: 1
; COMPUTE_PGM_RSRC2:TGID_Y_EN: 0
; COMPUTE_PGM_RSRC2:TGID_Z_EN: 0
; COMPUTE_PGM_RSRC2:TIDIG_COMP_CNT: 0
	.section	.text._ZN2at6native12_GLOBAL__N_125multi_tensor_apply_kernelINS1_18TensorListMetadataILi1EEENS1_14UnaryOpFunctorIN3c108BFloat16ELi1ELi1ELi0EEEJNS0_10ReciprocalIfEEEEEvT_T0_DpT1_,"axG",@progbits,_ZN2at6native12_GLOBAL__N_125multi_tensor_apply_kernelINS1_18TensorListMetadataILi1EEENS1_14UnaryOpFunctorIN3c108BFloat16ELi1ELi1ELi0EEEJNS0_10ReciprocalIfEEEEEvT_T0_DpT1_,comdat
	.globl	_ZN2at6native12_GLOBAL__N_125multi_tensor_apply_kernelINS1_18TensorListMetadataILi1EEENS1_14UnaryOpFunctorIN3c108BFloat16ELi1ELi1ELi0EEEJNS0_10ReciprocalIfEEEEEvT_T0_DpT1_ ; -- Begin function _ZN2at6native12_GLOBAL__N_125multi_tensor_apply_kernelINS1_18TensorListMetadataILi1EEENS1_14UnaryOpFunctorIN3c108BFloat16ELi1ELi1ELi0EEEJNS0_10ReciprocalIfEEEEEvT_T0_DpT1_
	.p2align	8
	.type	_ZN2at6native12_GLOBAL__N_125multi_tensor_apply_kernelINS1_18TensorListMetadataILi1EEENS1_14UnaryOpFunctorIN3c108BFloat16ELi1ELi1ELi0EEEJNS0_10ReciprocalIfEEEEEvT_T0_DpT1_,@function
_ZN2at6native12_GLOBAL__N_125multi_tensor_apply_kernelINS1_18TensorListMetadataILi1EEENS1_14UnaryOpFunctorIN3c108BFloat16ELi1ELi1ELi0EEEJNS0_10ReciprocalIfEEEEEvT_T0_DpT1_: ; @_ZN2at6native12_GLOBAL__N_125multi_tensor_apply_kernelINS1_18TensorListMetadataILi1EEENS1_14UnaryOpFunctorIN3c108BFloat16ELi1ELi1ELi0EEEJNS0_10ReciprocalIfEEEEEvT_T0_DpT1_
; %bb.0:
	s_bfe_u32 s2, ttmp6, 0x4000c
	s_and_b32 s3, ttmp6, 15
	s_add_co_i32 s2, s2, 1
	s_getreg_b32 s4, hwreg(HW_REG_IB_STS2, 6, 4)
	s_mul_i32 s2, ttmp9, s2
	s_delay_alu instid0(SALU_CYCLE_1)
	s_add_co_i32 s3, s3, s2
	s_cmp_eq_u32 s4, 0
	s_cselect_b32 s2, ttmp9, s3
	s_mov_b32 s3, 0
	s_load_u8 s8, s[0:1], s2 offset:0x6e0
	s_add_nc_u64 s[4:5], s[0:1], s[2:3]
	s_mul_u64 s[6:7], s[2:3], 3
	s_delay_alu instid0(SALU_CYCLE_1)
	s_add_nc_u64 s[4:5], s[4:5], s[6:7]
	s_load_b32 s10, s[4:5], 0x820
	s_wait_kmcnt 0x0
	s_clause 0x2
	s_load_b64 s[6:7], s[0:1], s8 offset:0x0 scale_offset
	s_load_b64 s[12:13], s[0:1], s8 offset:0x370 scale_offset
	s_load_b32 s20, s[0:1], 0xd2c
	s_ashr_i32 s11, s10, 31
	s_wait_kmcnt 0x0
	s_and_b64 s[4:5], s[6:7], 7
	s_and_b32 s2, s12, 3
	s_lshl_b64 s[8:9], s[10:11], 17
	s_or_b64 s[2:3], s[4:5], s[2:3]
	s_lshl_b64 s[4:5], s[10:11], 16
	s_cmp_eq_u64 s[2:3], 0
	s_sub_nc_u64 s[10:11], s[12:13], s[4:5]
	s_cbranch_scc1 .LBB284_21
; %bb.1:
	v_cmp_lt_i64_e64 s2, s[10:11], 1
	s_and_b32 vcc_lo, exec_lo, s2
	s_cbranch_vccnz .LBB284_20
; %bb.2:
	s_load_b32 s2, s[0:1], 0xd3c
	v_min_i64 v[2:3], 0x10000, s[10:11]
	v_min_u64 v[4:5], 0x10000, s[10:11]
	v_dual_mov_b32 v1, 0 :: v_dual_lshlrev_b32 v8, 1, v0
	s_mov_b32 s3, 0
	s_add_nc_u64 s[4:5], s[6:7], s[8:9]
	s_mov_b32 s15, s3
	s_delay_alu instid0(VALU_DEP_1)
	v_mov_b32_e32 v15, v1
	s_mov_b32 s17, s3
	s_mov_b32 s13, s3
	s_mov_b64 s[18:19], 0
	s_wait_kmcnt 0x0
	s_and_b32 s2, s2, 0xffff
	s_delay_alu instid0(SALU_CYCLE_1)
	v_add_nc_u64_e32 v[6:7], s[2:3], v[0:1]
	v_mov_b32_e32 v9, v1
	s_lshl_b32 s14, s2, 1
	s_mul_i32 s16, s2, 3
	v_add_nc_u64_e32 v[12:13], s[14:15], v[0:1]
	v_add_nc_u64_e32 v[10:11], s[16:17], v[0:1]
	s_lshl_b32 s12, s2, 2
	v_lshlrev_b32_e32 v14, 1, v6
	v_add_nc_u64_e32 v[8:9], s[4:5], v[8:9]
	s_lshl_b32 s14, s2, 3
	s_mul_u64 s[16:17], s[2:3], 6
	s_delay_alu instid0(VALU_DEP_2)
	v_add_nc_u64_e32 v[14:15], s[4:5], v[14:15]
	s_branch .LBB284_4
.LBB284_3:                              ;   in Loop: Header=BB284_4 Depth=1
	s_wait_xcnt 0x0
	s_or_b32 exec_lo, exec_lo, s3
	s_add_nc_u64 s[18:19], s[18:19], s[12:13]
	v_add_nc_u64_e32 v[8:9], s[14:15], v[8:9]
	v_cmp_lt_i64_e32 vcc_lo, s[18:19], v[2:3]
	v_add_nc_u64_e32 v[14:15], s[14:15], v[14:15]
	s_cbranch_vccz .LBB284_20
.LBB284_4:                              ; =>This Inner Loop Header: Depth=1
	v_add_nc_u64_e32 v[16:17], s[18:19], v[0:1]
	v_mov_b32_e32 v23, 0
	s_delay_alu instid0(VALU_DEP_2)
	v_cmp_lt_u64_e32 vcc_lo, v[16:17], v[4:5]
	s_and_saveexec_b32 s2, vcc_lo
	s_cbranch_execz .LBB284_6
; %bb.5:                                ;   in Loop: Header=BB284_4 Depth=1
	global_load_u16 v16, v[8:9], off
	s_wait_loadcnt 0x0
	v_lshlrev_b32_e32 v23, 16, v16
.LBB284_6:                              ;   in Loop: Header=BB284_4 Depth=1
	s_wait_xcnt 0x0
	s_or_b32 exec_lo, exec_lo, s2
	v_add_nc_u64_e32 v[16:17], s[18:19], v[6:7]
	v_dual_mov_b32 v20, 0 :: v_dual_mov_b32 v22, 0
	s_delay_alu instid0(VALU_DEP_2)
	v_cmp_lt_u64_e64 s4, v[16:17], v[4:5]
	s_and_saveexec_b32 s2, s4
	s_cbranch_execz .LBB284_8
; %bb.7:                                ;   in Loop: Header=BB284_4 Depth=1
	global_load_u16 v16, v[14:15], off
	s_wait_loadcnt 0x0
	v_lshlrev_b32_e32 v22, 16, v16
.LBB284_8:                              ;   in Loop: Header=BB284_4 Depth=1
	s_wait_xcnt 0x0
	s_or_b32 exec_lo, exec_lo, s2
	v_add_nc_u64_e32 v[16:17], s[18:19], v[12:13]
	v_add_nc_u64_e32 v[18:19], s[12:13], v[8:9]
	s_delay_alu instid0(VALU_DEP_2)
	v_cmp_lt_u64_e64 s3, v[16:17], v[4:5]
	s_and_saveexec_b32 s2, s3
	s_cbranch_execz .LBB284_10
; %bb.9:                                ;   in Loop: Header=BB284_4 Depth=1
	global_load_u16 v16, v[18:19], off
	s_wait_loadcnt 0x0
	v_lshlrev_b32_e32 v20, 16, v16
.LBB284_10:                             ;   in Loop: Header=BB284_4 Depth=1
	s_wait_xcnt 0x0
	s_or_b32 exec_lo, exec_lo, s2
	v_add_nc_u64_e32 v[16:17], s[18:19], v[10:11]
	v_mov_b32_e32 v21, 0
	s_delay_alu instid0(VALU_DEP_2)
	v_cmp_lt_u64_e64 s2, v[16:17], v[4:5]
	v_add_nc_u64_e32 v[16:17], s[16:17], v[8:9]
	s_and_saveexec_b32 s5, s2
	s_cbranch_execnz .LBB284_15
; %bb.11:                               ;   in Loop: Header=BB284_4 Depth=1
	s_or_b32 exec_lo, exec_lo, s5
	s_and_saveexec_b32 s5, vcc_lo
	s_cbranch_execnz .LBB284_16
.LBB284_12:                             ;   in Loop: Header=BB284_4 Depth=1
	s_or_b32 exec_lo, exec_lo, s5
	s_and_saveexec_b32 s5, s4
	s_cbranch_execnz .LBB284_17
.LBB284_13:                             ;   in Loop: Header=BB284_4 Depth=1
	s_or_b32 exec_lo, exec_lo, s5
	s_and_saveexec_b32 s4, s3
	s_cbranch_execnz .LBB284_18
.LBB284_14:                             ;   in Loop: Header=BB284_4 Depth=1
	s_or_b32 exec_lo, exec_lo, s4
	s_and_saveexec_b32 s3, s2
	s_cbranch_execz .LBB284_3
	s_branch .LBB284_19
.LBB284_15:                             ;   in Loop: Header=BB284_4 Depth=1
	global_load_u16 v21, v[16:17], off
	s_wait_loadcnt 0x0
	v_lshlrev_b32_e32 v21, 16, v21
	s_wait_xcnt 0x0
	s_or_b32 exec_lo, exec_lo, s5
	s_and_saveexec_b32 s5, vcc_lo
	s_cbranch_execz .LBB284_12
.LBB284_16:                             ;   in Loop: Header=BB284_4 Depth=1
	v_div_scale_f32 v24, null, v23, v23, s20
	s_delay_alu instid0(VALU_DEP_1) | instskip(SKIP_1) | instid1(TRANS32_DEP_1)
	v_rcp_f32_e32 v25, v24
	v_nop
	v_fma_f32 v26, -v24, v25, 1.0
	s_delay_alu instid0(VALU_DEP_1) | instskip(SKIP_1) | instid1(VALU_DEP_1)
	v_fmac_f32_e32 v25, v26, v25
	v_div_scale_f32 v26, vcc_lo, s20, v23, s20
	v_mul_f32_e32 v27, v26, v25
	s_delay_alu instid0(VALU_DEP_1) | instskip(NEXT) | instid1(VALU_DEP_1)
	v_fma_f32 v28, -v24, v27, v26
	v_fmac_f32_e32 v27, v28, v25
	s_delay_alu instid0(VALU_DEP_1) | instskip(NEXT) | instid1(VALU_DEP_1)
	v_fma_f32 v24, -v24, v27, v26
	v_div_fmas_f32 v24, v24, v25, v27
	s_delay_alu instid0(VALU_DEP_1) | instskip(NEXT) | instid1(VALU_DEP_1)
	v_div_fixup_f32 v23, v24, v23, s20
	v_bfe_u32 v24, v23, 16, 1
	v_cmp_o_f32_e32 vcc_lo, v23, v23
	s_delay_alu instid0(VALU_DEP_2) | instskip(NEXT) | instid1(VALU_DEP_1)
	v_add3_u32 v24, v23, v24, 0x7fff
	v_lshrrev_b32_e32 v24, 16, v24
	s_delay_alu instid0(VALU_DEP_1)
	v_cndmask_b32_e32 v23, 0x7fc0, v24, vcc_lo
	global_store_b16 v[8:9], v23, off
	s_wait_xcnt 0x0
	s_or_b32 exec_lo, exec_lo, s5
	s_and_saveexec_b32 s5, s4
	s_cbranch_execz .LBB284_13
.LBB284_17:                             ;   in Loop: Header=BB284_4 Depth=1
	v_div_scale_f32 v23, null, v22, v22, s20
	s_delay_alu instid0(VALU_DEP_1) | instskip(SKIP_1) | instid1(TRANS32_DEP_1)
	v_rcp_f32_e32 v24, v23
	v_nop
	v_fma_f32 v25, -v23, v24, 1.0
	s_delay_alu instid0(VALU_DEP_1) | instskip(SKIP_1) | instid1(VALU_DEP_1)
	v_fmac_f32_e32 v24, v25, v24
	v_div_scale_f32 v25, vcc_lo, s20, v22, s20
	v_mul_f32_e32 v26, v25, v24
	s_delay_alu instid0(VALU_DEP_1) | instskip(NEXT) | instid1(VALU_DEP_1)
	v_fma_f32 v27, -v23, v26, v25
	v_fmac_f32_e32 v26, v27, v24
	s_delay_alu instid0(VALU_DEP_1) | instskip(NEXT) | instid1(VALU_DEP_1)
	v_fma_f32 v23, -v23, v26, v25
	v_div_fmas_f32 v23, v23, v24, v26
	s_delay_alu instid0(VALU_DEP_1) | instskip(NEXT) | instid1(VALU_DEP_1)
	v_div_fixup_f32 v22, v23, v22, s20
	v_bfe_u32 v23, v22, 16, 1
	v_cmp_o_f32_e32 vcc_lo, v22, v22
	s_delay_alu instid0(VALU_DEP_2) | instskip(NEXT) | instid1(VALU_DEP_1)
	v_add3_u32 v23, v22, v23, 0x7fff
	v_lshrrev_b32_e32 v23, 16, v23
	s_delay_alu instid0(VALU_DEP_1)
	v_cndmask_b32_e32 v22, 0x7fc0, v23, vcc_lo
	global_store_b16 v[14:15], v22, off
	s_wait_xcnt 0x0
	s_or_b32 exec_lo, exec_lo, s5
	s_and_saveexec_b32 s4, s3
	s_cbranch_execz .LBB284_14
.LBB284_18:                             ;   in Loop: Header=BB284_4 Depth=1
	v_div_scale_f32 v22, null, v20, v20, s20
	s_delay_alu instid0(VALU_DEP_1) | instskip(SKIP_1) | instid1(TRANS32_DEP_1)
	v_rcp_f32_e32 v23, v22
	v_nop
	v_fma_f32 v24, -v22, v23, 1.0
	s_delay_alu instid0(VALU_DEP_1) | instskip(SKIP_1) | instid1(VALU_DEP_1)
	v_fmac_f32_e32 v23, v24, v23
	v_div_scale_f32 v24, vcc_lo, s20, v20, s20
	v_mul_f32_e32 v25, v24, v23
	s_delay_alu instid0(VALU_DEP_1) | instskip(NEXT) | instid1(VALU_DEP_1)
	v_fma_f32 v26, -v22, v25, v24
	v_fmac_f32_e32 v25, v26, v23
	s_delay_alu instid0(VALU_DEP_1) | instskip(NEXT) | instid1(VALU_DEP_1)
	v_fma_f32 v22, -v22, v25, v24
	v_div_fmas_f32 v22, v22, v23, v25
	s_delay_alu instid0(VALU_DEP_1) | instskip(NEXT) | instid1(VALU_DEP_1)
	v_div_fixup_f32 v20, v22, v20, s20
	v_bfe_u32 v22, v20, 16, 1
	v_cmp_o_f32_e32 vcc_lo, v20, v20
	s_delay_alu instid0(VALU_DEP_2) | instskip(NEXT) | instid1(VALU_DEP_1)
	v_add3_u32 v22, v20, v22, 0x7fff
	v_lshrrev_b32_e32 v22, 16, v22
	s_delay_alu instid0(VALU_DEP_1)
	v_cndmask_b32_e32 v20, 0x7fc0, v22, vcc_lo
	global_store_b16 v[18:19], v20, off
	s_wait_xcnt 0x0
	s_or_b32 exec_lo, exec_lo, s4
	s_and_saveexec_b32 s3, s2
	s_cbranch_execz .LBB284_3
.LBB284_19:                             ;   in Loop: Header=BB284_4 Depth=1
	v_div_scale_f32 v18, null, v21, v21, s20
	s_delay_alu instid0(VALU_DEP_1) | instskip(SKIP_1) | instid1(TRANS32_DEP_1)
	v_rcp_f32_e32 v19, v18
	v_nop
	v_fma_f32 v20, -v18, v19, 1.0
	s_delay_alu instid0(VALU_DEP_1) | instskip(SKIP_1) | instid1(VALU_DEP_1)
	v_fmac_f32_e32 v19, v20, v19
	v_div_scale_f32 v20, vcc_lo, s20, v21, s20
	v_mul_f32_e32 v22, v20, v19
	s_delay_alu instid0(VALU_DEP_1) | instskip(NEXT) | instid1(VALU_DEP_1)
	v_fma_f32 v23, -v18, v22, v20
	v_fmac_f32_e32 v22, v23, v19
	s_delay_alu instid0(VALU_DEP_1) | instskip(NEXT) | instid1(VALU_DEP_1)
	v_fma_f32 v18, -v18, v22, v20
	v_div_fmas_f32 v18, v18, v19, v22
	s_delay_alu instid0(VALU_DEP_1) | instskip(NEXT) | instid1(VALU_DEP_1)
	v_div_fixup_f32 v18, v18, v21, s20
	v_bfe_u32 v19, v18, 16, 1
	v_cmp_o_f32_e32 vcc_lo, v18, v18
	s_delay_alu instid0(VALU_DEP_2) | instskip(NEXT) | instid1(VALU_DEP_1)
	v_add3_u32 v19, v18, v19, 0x7fff
	v_lshrrev_b32_e32 v19, 16, v19
	s_delay_alu instid0(VALU_DEP_1)
	v_cndmask_b32_e32 v18, 0x7fc0, v19, vcc_lo
	global_store_b16 v[16:17], v18, off
	s_branch .LBB284_3
.LBB284_20:
	s_cbranch_execz .LBB284_22
	s_branch .LBB284_25
.LBB284_21:
.LBB284_22:
	v_min_i64 v[2:3], 0x10000, s[10:11]
	v_dual_mov_b32 v5, 0 :: v_dual_lshlrev_b32 v4, 2, v0
	s_mov_b32 s2, exec_lo
	s_delay_alu instid0(VALU_DEP_1)
	v_cmpx_lt_i64_e64 v[4:5], v[2:3]
	s_cbranch_execz .LBB284_25
; %bb.23:
	s_load_b32 s2, s[0:1], 0xd3c
	v_dual_mov_b32 v1, v5 :: v_dual_lshlrev_b32 v4, 3, v0
	s_wait_xcnt 0x0
	s_add_nc_u64 s[0:1], s[6:7], s[8:9]
	s_mov_b32 s5, 0
	s_delay_alu instid0(VALU_DEP_1) | instskip(SKIP_4) | instid1(SALU_CYCLE_1)
	v_add_nc_u64_e32 v[4:5], s[0:1], v[4:5]
	s_mov_b32 s7, s5
	s_mov_b32 s3, s5
	s_wait_kmcnt 0x0
	s_and_b32 s4, s2, 0xffff
	s_lshl_b32 s6, s4, 3
.LBB284_24:                             ; =>This Inner Loop Header: Depth=1
	global_load_b64 v[6:7], v[4:5], off
	v_add_nc_u64_e32 v[0:1], s[4:5], v[0:1]
	s_wait_loadcnt 0x0
	v_lshlrev_b32_e32 v8, 16, v6
	v_and_b32_e32 v9, 0xffff0000, v6
	v_alignbit_b32 v6, v7, v6, 16
	v_and_b32_e32 v7, 0xffff0000, v7
	s_delay_alu instid0(VALU_DEP_4) | instskip(NEXT) | instid1(VALU_DEP_3)
	v_div_scale_f32 v10, null, v8, v8, s20
	v_and_b32_e32 v6, 0xffff0000, v6
	v_div_scale_f32 v11, null, v9, v9, s20
	s_delay_alu instid0(VALU_DEP_4) | instskip(NEXT) | instid1(VALU_DEP_4)
	v_div_scale_f32 v12, null, v7, v7, s20
	v_rcp_f32_e32 v13, v10
	s_delay_alu instid0(VALU_DEP_3) | instskip(NEXT) | instid1(VALU_DEP_3)
	v_div_scale_f32 v15, null, v6, v6, s20
	v_rcp_f32_e32 v14, v11
	s_delay_alu instid0(VALU_DEP_2) | instskip(SKIP_1) | instid1(VALU_DEP_2)
	v_rcp_f32_e32 v16, v12
	v_div_scale_f32 v18, s0, s20, v9, s20
	v_rcp_f32_e32 v19, v15
	v_fma_f32 v20, -v10, v13, 1.0
	v_div_scale_f32 v23, s1, s20, v7, s20
	s_delay_alu instid0(TRANS32_DEP_3) | instskip(NEXT) | instid1(TRANS32_DEP_2)
	v_fma_f32 v21, -v11, v14, 1.0
	v_fma_f32 v22, -v12, v16, 1.0
	s_delay_alu instid0(VALU_DEP_4) | instskip(SKIP_2) | instid1(VALU_DEP_4)
	v_fmac_f32_e32 v13, v20, v13
	v_div_scale_f32 v17, vcc_lo, s20, v8, s20
	v_fma_f32 v20, -v15, v19, 1.0
	v_dual_fmac_f32 v14, v21, v14 :: v_dual_fmac_f32 v16, v22, v16
	v_div_scale_f32 v21, s2, s20, v6, s20
	s_delay_alu instid0(VALU_DEP_2) | instskip(NEXT) | instid1(VALU_DEP_3)
	v_dual_mul_f32 v22, v17, v13 :: v_dual_mul_f32 v24, v18, v14
	v_dual_fmac_f32 v19, v20, v19 :: v_dual_mul_f32 v20, v23, v16
	s_delay_alu instid0(VALU_DEP_2) | instskip(NEXT) | instid1(VALU_DEP_2)
	v_dual_fma_f32 v25, -v10, v22, v17 :: v_dual_fma_f32 v26, -v11, v24, v18
	v_dual_mul_f32 v27, v21, v19 :: v_dual_fma_f32 v28, -v12, v20, v23
	s_delay_alu instid0(VALU_DEP_2) | instskip(NEXT) | instid1(VALU_DEP_2)
	v_dual_fmac_f32 v22, v25, v13 :: v_dual_fmac_f32 v24, v26, v14
	v_dual_fma_f32 v25, -v15, v27, v21 :: v_dual_fmac_f32 v20, v28, v16
	s_delay_alu instid0(VALU_DEP_2) | instskip(NEXT) | instid1(VALU_DEP_2)
	v_dual_fma_f32 v10, -v10, v22, v17 :: v_dual_fma_f32 v11, -v11, v24, v18
	v_fmac_f32_e32 v27, v25, v19
	s_delay_alu instid0(VALU_DEP_3) | instskip(NEXT) | instid1(VALU_DEP_3)
	v_fma_f32 v12, -v12, v20, v23
	v_div_fmas_f32 v10, v10, v13, v22
	s_mov_b32 vcc_lo, s0
	s_delay_alu instid0(VALU_DEP_3) | instskip(SKIP_3) | instid1(VALU_DEP_3)
	v_fma_f32 v13, -v15, v27, v21
	v_div_fmas_f32 v11, v11, v14, v24
	s_mov_b32 vcc_lo, s2
	v_div_fixup_f32 v8, v10, v8, s20
	v_div_fmas_f32 v10, v13, v19, v27
	s_delay_alu instid0(VALU_DEP_3) | instskip(SKIP_2) | instid1(VALU_DEP_3)
	v_div_fixup_f32 v9, v11, v9, s20
	s_mov_b32 vcc_lo, s1
	v_div_fmas_f32 v12, v12, v16, v20
	v_div_fixup_f32 v6, v10, v6, s20
	v_bfe_u32 v10, v8, 16, 1
	v_bfe_u32 v11, v9, 16, 1
	v_cmp_o_f32_e32 vcc_lo, v8, v8
	v_div_fixup_f32 v7, v12, v7, s20
	v_bfe_u32 v12, v6, 16, 1
	v_add3_u32 v10, v8, v10, 0x7fff
	v_add3_u32 v11, v9, v11, 0x7fff
	s_delay_alu instid0(VALU_DEP_4) | instskip(NEXT) | instid1(VALU_DEP_4)
	v_bfe_u32 v13, v7, 16, 1
	v_add3_u32 v12, v6, v12, 0x7fff
	s_delay_alu instid0(VALU_DEP_4) | instskip(NEXT) | instid1(VALU_DEP_4)
	v_lshrrev_b32_e32 v10, 16, v10
	v_and_b32_e32 v11, 0xffff0000, v11
	s_delay_alu instid0(VALU_DEP_4) | instskip(NEXT) | instid1(VALU_DEP_3)
	v_add3_u32 v13, v7, v13, 0x7fff
	v_cndmask_b32_e32 v8, 0x7fc0, v10, vcc_lo
	v_cmp_o_f32_e32 vcc_lo, v9, v9
	v_lshrrev_b32_e32 v12, 16, v12
	s_delay_alu instid0(VALU_DEP_4) | instskip(SKIP_2) | instid1(VALU_DEP_2)
	v_and_b32_e32 v10, 0xffff0000, v13
	v_cndmask_b32_e32 v9, 0x7fc00000, v11, vcc_lo
	v_cmp_o_f32_e32 vcc_lo, v6, v6
	v_or_b32_e32 v8, v8, v9
	v_cndmask_b32_e32 v11, 0x7fc0, v12, vcc_lo
	v_cmp_o_f32_e32 vcc_lo, v7, v7
	v_lshlrev_b64_e32 v[6:7], 2, v[0:1]
	s_delay_alu instid0(VALU_DEP_4) | instskip(SKIP_1) | instid1(VALU_DEP_3)
	v_or3_b32 v8, v8, 0, 0
	v_cndmask_b32_e32 v10, 0x7fc00000, v10, vcc_lo
	v_cmp_ge_i64_e32 vcc_lo, v[6:7], v[2:3]
	s_delay_alu instid0(VALU_DEP_2) | instskip(SKIP_4) | instid1(SALU_CYCLE_1)
	v_or3_b32 v9, 0, v11, v10
	global_store_b64 v[4:5], v[8:9], off
	s_wait_xcnt 0x0
	v_add_nc_u64_e32 v[4:5], s[6:7], v[4:5]
	s_or_b32 s3, vcc_lo, s3
	s_and_not1_b32 exec_lo, exec_lo, s3
	s_cbranch_execnz .LBB284_24
.LBB284_25:
	s_endpgm
	.section	.rodata,"a",@progbits
	.p2align	6, 0x0
	.amdhsa_kernel _ZN2at6native12_GLOBAL__N_125multi_tensor_apply_kernelINS1_18TensorListMetadataILi1EEENS1_14UnaryOpFunctorIN3c108BFloat16ELi1ELi1ELi0EEEJNS0_10ReciprocalIfEEEEEvT_T0_DpT1_
		.amdhsa_group_segment_fixed_size 0
		.amdhsa_private_segment_fixed_size 0
		.amdhsa_kernarg_size 3632
		.amdhsa_user_sgpr_count 2
		.amdhsa_user_sgpr_dispatch_ptr 0
		.amdhsa_user_sgpr_queue_ptr 0
		.amdhsa_user_sgpr_kernarg_segment_ptr 1
		.amdhsa_user_sgpr_dispatch_id 0
		.amdhsa_user_sgpr_kernarg_preload_length 0
		.amdhsa_user_sgpr_kernarg_preload_offset 0
		.amdhsa_user_sgpr_private_segment_size 0
		.amdhsa_wavefront_size32 1
		.amdhsa_uses_dynamic_stack 0
		.amdhsa_enable_private_segment 0
		.amdhsa_system_sgpr_workgroup_id_x 1
		.amdhsa_system_sgpr_workgroup_id_y 0
		.amdhsa_system_sgpr_workgroup_id_z 0
		.amdhsa_system_sgpr_workgroup_info 0
		.amdhsa_system_vgpr_workitem_id 0
		.amdhsa_next_free_vgpr 29
		.amdhsa_next_free_sgpr 21
		.amdhsa_named_barrier_count 0
		.amdhsa_reserve_vcc 1
		.amdhsa_float_round_mode_32 0
		.amdhsa_float_round_mode_16_64 0
		.amdhsa_float_denorm_mode_32 3
		.amdhsa_float_denorm_mode_16_64 3
		.amdhsa_fp16_overflow 0
		.amdhsa_memory_ordered 1
		.amdhsa_forward_progress 1
		.amdhsa_inst_pref_size 16
		.amdhsa_round_robin_scheduling 0
		.amdhsa_exception_fp_ieee_invalid_op 0
		.amdhsa_exception_fp_denorm_src 0
		.amdhsa_exception_fp_ieee_div_zero 0
		.amdhsa_exception_fp_ieee_overflow 0
		.amdhsa_exception_fp_ieee_underflow 0
		.amdhsa_exception_fp_ieee_inexact 0
		.amdhsa_exception_int_div_zero 0
	.end_amdhsa_kernel
	.section	.text._ZN2at6native12_GLOBAL__N_125multi_tensor_apply_kernelINS1_18TensorListMetadataILi1EEENS1_14UnaryOpFunctorIN3c108BFloat16ELi1ELi1ELi0EEEJNS0_10ReciprocalIfEEEEEvT_T0_DpT1_,"axG",@progbits,_ZN2at6native12_GLOBAL__N_125multi_tensor_apply_kernelINS1_18TensorListMetadataILi1EEENS1_14UnaryOpFunctorIN3c108BFloat16ELi1ELi1ELi0EEEJNS0_10ReciprocalIfEEEEEvT_T0_DpT1_,comdat
.Lfunc_end284:
	.size	_ZN2at6native12_GLOBAL__N_125multi_tensor_apply_kernelINS1_18TensorListMetadataILi1EEENS1_14UnaryOpFunctorIN3c108BFloat16ELi1ELi1ELi0EEEJNS0_10ReciprocalIfEEEEEvT_T0_DpT1_, .Lfunc_end284-_ZN2at6native12_GLOBAL__N_125multi_tensor_apply_kernelINS1_18TensorListMetadataILi1EEENS1_14UnaryOpFunctorIN3c108BFloat16ELi1ELi1ELi0EEEJNS0_10ReciprocalIfEEEEEvT_T0_DpT1_
                                        ; -- End function
	.set _ZN2at6native12_GLOBAL__N_125multi_tensor_apply_kernelINS1_18TensorListMetadataILi1EEENS1_14UnaryOpFunctorIN3c108BFloat16ELi1ELi1ELi0EEEJNS0_10ReciprocalIfEEEEEvT_T0_DpT1_.num_vgpr, 29
	.set _ZN2at6native12_GLOBAL__N_125multi_tensor_apply_kernelINS1_18TensorListMetadataILi1EEENS1_14UnaryOpFunctorIN3c108BFloat16ELi1ELi1ELi0EEEJNS0_10ReciprocalIfEEEEEvT_T0_DpT1_.num_agpr, 0
	.set _ZN2at6native12_GLOBAL__N_125multi_tensor_apply_kernelINS1_18TensorListMetadataILi1EEENS1_14UnaryOpFunctorIN3c108BFloat16ELi1ELi1ELi0EEEJNS0_10ReciprocalIfEEEEEvT_T0_DpT1_.numbered_sgpr, 21
	.set _ZN2at6native12_GLOBAL__N_125multi_tensor_apply_kernelINS1_18TensorListMetadataILi1EEENS1_14UnaryOpFunctorIN3c108BFloat16ELi1ELi1ELi0EEEJNS0_10ReciprocalIfEEEEEvT_T0_DpT1_.num_named_barrier, 0
	.set _ZN2at6native12_GLOBAL__N_125multi_tensor_apply_kernelINS1_18TensorListMetadataILi1EEENS1_14UnaryOpFunctorIN3c108BFloat16ELi1ELi1ELi0EEEJNS0_10ReciprocalIfEEEEEvT_T0_DpT1_.private_seg_size, 0
	.set _ZN2at6native12_GLOBAL__N_125multi_tensor_apply_kernelINS1_18TensorListMetadataILi1EEENS1_14UnaryOpFunctorIN3c108BFloat16ELi1ELi1ELi0EEEJNS0_10ReciprocalIfEEEEEvT_T0_DpT1_.uses_vcc, 1
	.set _ZN2at6native12_GLOBAL__N_125multi_tensor_apply_kernelINS1_18TensorListMetadataILi1EEENS1_14UnaryOpFunctorIN3c108BFloat16ELi1ELi1ELi0EEEJNS0_10ReciprocalIfEEEEEvT_T0_DpT1_.uses_flat_scratch, 0
	.set _ZN2at6native12_GLOBAL__N_125multi_tensor_apply_kernelINS1_18TensorListMetadataILi1EEENS1_14UnaryOpFunctorIN3c108BFloat16ELi1ELi1ELi0EEEJNS0_10ReciprocalIfEEEEEvT_T0_DpT1_.has_dyn_sized_stack, 0
	.set _ZN2at6native12_GLOBAL__N_125multi_tensor_apply_kernelINS1_18TensorListMetadataILi1EEENS1_14UnaryOpFunctorIN3c108BFloat16ELi1ELi1ELi0EEEJNS0_10ReciprocalIfEEEEEvT_T0_DpT1_.has_recursion, 0
	.set _ZN2at6native12_GLOBAL__N_125multi_tensor_apply_kernelINS1_18TensorListMetadataILi1EEENS1_14UnaryOpFunctorIN3c108BFloat16ELi1ELi1ELi0EEEJNS0_10ReciprocalIfEEEEEvT_T0_DpT1_.has_indirect_call, 0
	.section	.AMDGPU.csdata,"",@progbits
; Kernel info:
; codeLenInByte = 2048
; TotalNumSgprs: 23
; NumVgprs: 29
; ScratchSize: 0
; MemoryBound: 0
; FloatMode: 240
; IeeeMode: 1
; LDSByteSize: 0 bytes/workgroup (compile time only)
; SGPRBlocks: 0
; VGPRBlocks: 1
; NumSGPRsForWavesPerEU: 23
; NumVGPRsForWavesPerEU: 29
; NamedBarCnt: 0
; Occupancy: 16
; WaveLimiterHint : 0
; COMPUTE_PGM_RSRC2:SCRATCH_EN: 0
; COMPUTE_PGM_RSRC2:USER_SGPR: 2
; COMPUTE_PGM_RSRC2:TRAP_HANDLER: 0
; COMPUTE_PGM_RSRC2:TGID_X_EN: 1
; COMPUTE_PGM_RSRC2:TGID_Y_EN: 0
; COMPUTE_PGM_RSRC2:TGID_Z_EN: 0
; COMPUTE_PGM_RSRC2:TIDIG_COMP_CNT: 0
	.section	.text._ZN2at6native12_GLOBAL__N_125multi_tensor_apply_kernelINS1_18TensorListMetadataILi2EEENS1_14UnaryOpFunctorIdLi2ELi1ELi1EEEJNS0_4SignIdEEEEEvT_T0_DpT1_,"axG",@progbits,_ZN2at6native12_GLOBAL__N_125multi_tensor_apply_kernelINS1_18TensorListMetadataILi2EEENS1_14UnaryOpFunctorIdLi2ELi1ELi1EEEJNS0_4SignIdEEEEEvT_T0_DpT1_,comdat
	.globl	_ZN2at6native12_GLOBAL__N_125multi_tensor_apply_kernelINS1_18TensorListMetadataILi2EEENS1_14UnaryOpFunctorIdLi2ELi1ELi1EEEJNS0_4SignIdEEEEEvT_T0_DpT1_ ; -- Begin function _ZN2at6native12_GLOBAL__N_125multi_tensor_apply_kernelINS1_18TensorListMetadataILi2EEENS1_14UnaryOpFunctorIdLi2ELi1ELi1EEEJNS0_4SignIdEEEEEvT_T0_DpT1_
	.p2align	8
	.type	_ZN2at6native12_GLOBAL__N_125multi_tensor_apply_kernelINS1_18TensorListMetadataILi2EEENS1_14UnaryOpFunctorIdLi2ELi1ELi1EEEJNS0_4SignIdEEEEEvT_T0_DpT1_,@function
_ZN2at6native12_GLOBAL__N_125multi_tensor_apply_kernelINS1_18TensorListMetadataILi2EEENS1_14UnaryOpFunctorIdLi2ELi1ELi1EEEJNS0_4SignIdEEEEEvT_T0_DpT1_: ; @_ZN2at6native12_GLOBAL__N_125multi_tensor_apply_kernelINS1_18TensorListMetadataILi2EEENS1_14UnaryOpFunctorIdLi2ELi1ELi1EEEJNS0_4SignIdEEEEEvT_T0_DpT1_
; %bb.0:
	s_bfe_u32 s2, ttmp6, 0x4000c
	s_and_b32 s3, ttmp6, 15
	s_add_co_i32 s2, s2, 1
	s_getreg_b32 s4, hwreg(HW_REG_IB_STS2, 6, 4)
	s_mul_i32 s2, ttmp9, s2
	s_delay_alu instid0(SALU_CYCLE_1)
	s_add_co_i32 s3, s3, s2
	s_cmp_eq_u32 s4, 0
	s_cselect_b32 s2, ttmp9, s3
	s_mov_b32 s3, 0
	s_load_u8 s13, s[0:1], s2 offset:0x600
	s_add_nc_u64 s[4:5], s[0:1], s[2:3]
	s_mul_u64 s[6:7], s[2:3], 3
	s_delay_alu instid0(SALU_CYCLE_1)
	s_add_nc_u64 s[4:5], s[4:5], s[6:7]
	s_load_b32 s12, s[4:5], 0x740
	s_wait_kmcnt 0x0
	s_clause 0x2
	s_load_b64 s[8:9], s[0:1], s13 offset:0x0 scale_offset
	s_load_b64 s[10:11], s[0:1], s13 offset:0x200 scale_offset
	;; [unrolled: 1-line block ×3, first 2 shown]
	s_mov_b32 s5, s3
	s_wait_xcnt 0x0
	s_ashr_i32 s13, s12, 31
	s_delay_alu instid0(SALU_CYCLE_1)
	s_lshl_b64 s[6:7], s[12:13], 19
	s_wait_kmcnt 0x0
	s_and_b64 s[18:19], s[10:11], 31
	s_add_nc_u64 s[16:17], s[8:9], s[6:7]
	s_and_b32 s4, s14, 3
	s_and_b32 s2, s16, 31
	s_or_b64 s[4:5], s[18:19], s[4:5]
	s_lshl_b64 s[12:13], s[12:13], 16
	s_or_b64 s[2:3], s[4:5], s[2:3]
	s_sub_nc_u64 s[12:13], s[14:15], s[12:13]
	s_cmp_eq_u64 s[2:3], 0
	s_mov_b32 s2, -1
	s_cbranch_scc0 .LBB285_5
; %bb.1:
	v_min_i64 v[2:3], 0x10000, s[12:13]
	v_dual_mov_b32 v5, 0 :: v_dual_lshlrev_b32 v4, 2, v0
	s_mov_b32 s5, exec_lo
	s_delay_alu instid0(VALU_DEP_1)
	v_cmpx_lt_i64_e64 v[4:5], v[2:3]
	s_cbranch_execz .LBB285_4
; %bb.2:
	s_load_b32 s2, s[0:1], 0xc5c
	v_dual_mov_b32 v1, v5 :: v_dual_lshlrev_b32 v4, 5, v0
	s_mov_b32 s15, 0
	s_delay_alu instid0(SALU_CYCLE_1) | instskip(NEXT) | instid1(VALU_DEP_1)
	s_mov_b32 s17, s15
	v_add_nc_u64_e32 v[4:5], s[6:7], v[4:5]
	s_delay_alu instid0(VALU_DEP_2) | instskip(SKIP_3) | instid1(SALU_CYCLE_1)
	v_mov_b64_e32 v[6:7], v[0:1]
	s_mov_b32 s18, s15
	s_wait_kmcnt 0x0
	s_and_b32 s14, s2, 0xffff
	s_lshl_b32 s16, s14, 5
.LBB285_3:                              ; =>This Inner Loop Header: Depth=1
	s_delay_alu instid0(VALU_DEP_2) | instskip(NEXT) | instid1(VALU_DEP_2)
	v_add_nc_u64_e32 v[16:17], s[8:9], v[4:5]
	v_add_nc_u64_e32 v[6:7], s[14:15], v[6:7]
	s_clause 0x1
	global_load_b128 v[8:11], v[16:17], off
	global_load_b128 v[12:15], v[16:17], off offset:16
	s_wait_loadcnt 0x1
	v_cmp_lt_f64_e32 vcc_lo, 0, v[8:9]
	s_wait_loadcnt 0x0
	v_cmp_lt_f64_e64 s2, 0, v[12:13]
	v_cmp_lt_f64_e64 s3, 0, v[14:15]
	v_cmp_gt_f64_e64 s4, 0, v[8:9]
	v_cndmask_b32_e64 v1, 0, 1, vcc_lo
	v_cmp_lt_f64_e32 vcc_lo, 0, v[10:11]
	s_delay_alu instid0(VALU_DEP_2) | instskip(NEXT) | instid1(VALU_DEP_1)
	v_subrev_co_ci_u32_e64 v1, null, 0, v1, s4
	v_cvt_f64_i32_e32 v[8:9], v1
	s_wait_xcnt 0x0
	v_cndmask_b32_e64 v16, 0, 1, vcc_lo
	v_cmp_gt_f64_e32 vcc_lo, 0, v[10:11]
	v_cndmask_b32_e64 v10, 0, 1, s2
	v_cmp_gt_f64_e64 s2, 0, v[12:13]
	v_cndmask_b32_e64 v11, 0, 1, s3
	v_cmp_gt_f64_e64 s3, 0, v[14:15]
	v_subrev_co_ci_u32_e64 v12, null, 0, v16, vcc_lo
	s_delay_alu instid0(VALU_DEP_4) | instskip(NEXT) | instid1(VALU_DEP_3)
	v_subrev_co_ci_u32_e64 v13, null, 0, v10, s2
	v_subrev_co_ci_u32_e64 v14, null, 0, v11, s3
	s_delay_alu instid0(VALU_DEP_3) | instskip(NEXT) | instid1(VALU_DEP_3)
	v_cvt_f64_i32_e32 v[10:11], v12
	v_cvt_f64_i32_e32 v[12:13], v13
	v_lshlrev_b64_e32 v[16:17], 2, v[6:7]
	s_delay_alu instid0(VALU_DEP_4) | instskip(NEXT) | instid1(VALU_DEP_2)
	v_cvt_f64_i32_e32 v[14:15], v14
	v_cmp_ge_i64_e32 vcc_lo, v[16:17], v[2:3]
	v_add_nc_u64_e32 v[16:17], s[10:11], v[4:5]
	v_add_nc_u64_e32 v[4:5], s[16:17], v[4:5]
	s_clause 0x1
	global_store_b128 v[16:17], v[8:11], off
	global_store_b128 v[16:17], v[12:15], off offset:16
	s_or_b32 s18, vcc_lo, s18
	s_wait_xcnt 0x0
	s_and_not1_b32 exec_lo, exec_lo, s18
	s_cbranch_execnz .LBB285_3
.LBB285_4:
	s_or_b32 exec_lo, exec_lo, s5
	s_mov_b32 s2, 0
.LBB285_5:
	s_delay_alu instid0(SALU_CYCLE_1)
	s_and_not1_b32 vcc_lo, exec_lo, s2
	s_cbranch_vccnz .LBB285_25
; %bb.6:
	v_cmp_lt_i64_e64 s2, s[12:13], 1
	s_and_b32 vcc_lo, exec_lo, s2
	s_cbranch_vccnz .LBB285_25
; %bb.7:
	s_load_b32 s0, s[0:1], 0xc5c
	v_min_i64 v[2:3], 0x10000, s[12:13]
	v_min_u64 v[4:5], 0x10000, s[12:13]
	v_dual_mov_b32 v1, 0 :: v_dual_lshlrev_b32 v10, 3, v0
	s_wait_xcnt 0x0
	s_mov_b32 s1, 0
	s_delay_alu instid0(SALU_CYCLE_1) | instskip(NEXT) | instid1(VALU_DEP_1)
	s_mov_b32 s13, s1
	v_dual_mov_b32 v11, v1 :: v_dual_mov_b32 v27, v1
	s_mov_b32 s3, s1
	s_mov_b32 s5, s1
	s_delay_alu instid0(VALU_DEP_1) | instskip(SKIP_2) | instid1(SALU_CYCLE_1)
	v_add_nc_u64_e32 v[6:7], s[8:9], v[10:11]
	s_wait_kmcnt 0x0
	s_and_b32 s0, s0, 0xffff
	v_add_nc_u64_e32 v[8:9], s[0:1], v[0:1]
	v_mad_nc_u64_u32 v[22:23], s0, 24, v[10:11]
	s_lshl_b32 s12, s0, 4
	s_mul_i32 s4, s0, 3
	v_add_nc_u64_e32 v[18:19], s[12:13], v[10:11]
	s_lshl_b32 s2, s0, 1
	v_add_nc_u64_e32 v[10:11], s[10:11], v[10:11]
	v_lshlrev_b32_e32 v26, 3, v8
	v_add_nc_u64_e32 v[12:13], s[4:5], v[0:1]
	v_add_nc_u64_e32 v[14:15], s[2:3], v[0:1]
	s_lshl_b32 s4, s0, 2
	v_add_nc_u64_e32 v[16:17], s[8:9], v[18:19]
	v_add_nc_u64_e32 v[18:19], s[10:11], v[18:19]
	;; [unrolled: 1-line block ×6, first 2 shown]
	s_lshl_b32 s8, s0, 5
	s_mov_b32 s9, s1
	s_mov_b64 s[10:11], 0
	s_branch .LBB285_9
.LBB285_8:                              ;   in Loop: Header=BB285_9 Depth=1
	s_wait_xcnt 0x0
	s_or_b32 exec_lo, exec_lo, s0
	s_add_nc_u64 s[10:11], s[10:11], s[4:5]
	v_add_nc_u64_e32 v[6:7], s[8:9], v[6:7]
	v_cmp_ge_i64_e32 vcc_lo, s[10:11], v[2:3]
	v_add_nc_u64_e32 v[10:11], s[8:9], v[10:11]
	v_add_nc_u64_e32 v[20:21], s[8:9], v[20:21]
	;; [unrolled: 1-line block ×7, first 2 shown]
	s_cbranch_vccnz .LBB285_25
.LBB285_9:                              ; =>This Inner Loop Header: Depth=1
	s_wait_loadcnt 0x0
	v_add_nc_u64_e32 v[30:31], s[10:11], v[0:1]
	v_mov_b64_e32 v[28:29], 0
	v_mov_b64_e32 v[32:33], 0
	s_delay_alu instid0(VALU_DEP_3)
	v_cmp_lt_u64_e64 s0, v[30:31], v[4:5]
	s_and_saveexec_b32 s1, s0
	s_cbranch_execz .LBB285_11
; %bb.10:                               ;   in Loop: Header=BB285_9 Depth=1
	v_add_nc_u64_e32 v[30:31], s[6:7], v[6:7]
	global_load_b64 v[32:33], v[30:31], off
.LBB285_11:                             ;   in Loop: Header=BB285_9 Depth=1
	s_wait_xcnt 0x0
	s_or_b32 exec_lo, exec_lo, s1
	v_add_nc_u64_e32 v[30:31], s[10:11], v[8:9]
	s_delay_alu instid0(VALU_DEP_1)
	v_cmp_lt_u64_e32 vcc_lo, v[30:31], v[4:5]
	s_and_saveexec_b32 s1, vcc_lo
	s_cbranch_execz .LBB285_13
; %bb.12:                               ;   in Loop: Header=BB285_9 Depth=1
	v_add_nc_u64_e32 v[28:29], s[6:7], v[24:25]
	global_load_b64 v[28:29], v[28:29], off
.LBB285_13:                             ;   in Loop: Header=BB285_9 Depth=1
	s_wait_xcnt 0x0
	s_or_b32 exec_lo, exec_lo, s1
	v_add_nc_u64_e32 v[34:35], s[10:11], v[14:15]
	v_mov_b64_e32 v[30:31], 0
	s_delay_alu instid0(VALU_DEP_2)
	v_cmp_lt_u64_e64 s1, v[34:35], v[4:5]
	v_mov_b64_e32 v[34:35], 0
	s_and_saveexec_b32 s2, s1
	s_cbranch_execz .LBB285_15
; %bb.14:                               ;   in Loop: Header=BB285_9 Depth=1
	v_add_nc_u64_e32 v[34:35], s[6:7], v[16:17]
	global_load_b64 v[34:35], v[34:35], off
.LBB285_15:                             ;   in Loop: Header=BB285_9 Depth=1
	s_wait_xcnt 0x0
	s_or_b32 exec_lo, exec_lo, s2
	v_add_nc_u64_e32 v[36:37], s[10:11], v[12:13]
	s_delay_alu instid0(VALU_DEP_1)
	v_cmp_lt_u64_e64 s2, v[36:37], v[4:5]
	s_and_saveexec_b32 s3, s2
	s_cbranch_execnz .LBB285_20
; %bb.16:                               ;   in Loop: Header=BB285_9 Depth=1
	s_or_b32 exec_lo, exec_lo, s3
	s_and_saveexec_b32 s3, s0
	s_cbranch_execnz .LBB285_21
.LBB285_17:                             ;   in Loop: Header=BB285_9 Depth=1
	s_or_b32 exec_lo, exec_lo, s3
	s_and_saveexec_b32 s0, vcc_lo
	s_cbranch_execnz .LBB285_22
.LBB285_18:                             ;   in Loop: Header=BB285_9 Depth=1
	s_or_b32 exec_lo, exec_lo, s0
	s_and_saveexec_b32 s0, s1
	s_cbranch_execnz .LBB285_23
.LBB285_19:                             ;   in Loop: Header=BB285_9 Depth=1
	s_or_b32 exec_lo, exec_lo, s0
	s_and_saveexec_b32 s0, s2
	s_cbranch_execz .LBB285_8
	s_branch .LBB285_24
.LBB285_20:                             ;   in Loop: Header=BB285_9 Depth=1
	v_add_nc_u64_e32 v[30:31], s[6:7], v[20:21]
	global_load_b64 v[30:31], v[30:31], off
	s_wait_xcnt 0x0
	s_or_b32 exec_lo, exec_lo, s3
	s_and_saveexec_b32 s3, s0
	s_cbranch_execz .LBB285_17
.LBB285_21:                             ;   in Loop: Header=BB285_9 Depth=1
	s_wait_loadcnt 0x0
	v_cmp_lt_f64_e64 s0, 0, v[32:33]
	s_delay_alu instid0(VALU_DEP_1) | instskip(SKIP_1) | instid1(VALU_DEP_1)
	v_cndmask_b32_e64 v36, 0, 1, s0
	v_cmp_gt_f64_e64 s0, 0, v[32:33]
	v_subrev_co_ci_u32_e64 v32, null, 0, v36, s0
	v_add_nc_u64_e32 v[36:37], s[6:7], v[10:11]
	s_delay_alu instid0(VALU_DEP_2)
	v_cvt_f64_i32_e32 v[32:33], v32
	global_store_b64 v[36:37], v[32:33], off
	s_wait_xcnt 0x0
	s_or_b32 exec_lo, exec_lo, s3
	s_and_saveexec_b32 s0, vcc_lo
	s_cbranch_execz .LBB285_18
.LBB285_22:                             ;   in Loop: Header=BB285_9 Depth=1
	s_wait_loadcnt 0x0
	v_cmp_lt_f64_e32 vcc_lo, 0, v[28:29]
	v_cndmask_b32_e64 v32, 0, 1, vcc_lo
	v_cmp_gt_f64_e32 vcc_lo, 0, v[28:29]
	s_delay_alu instid0(VALU_DEP_2) | instskip(SKIP_1) | instid1(VALU_DEP_2)
	v_subrev_co_ci_u32_e64 v28, null, 0, v32, vcc_lo
	v_add_nc_u64_e32 v[32:33], s[6:7], v[26:27]
	v_cvt_f64_i32_e32 v[28:29], v28
	global_store_b64 v[32:33], v[28:29], off
	s_wait_xcnt 0x0
	s_or_b32 exec_lo, exec_lo, s0
	s_and_saveexec_b32 s0, s1
	s_cbranch_execz .LBB285_19
.LBB285_23:                             ;   in Loop: Header=BB285_9 Depth=1
	s_wait_loadcnt 0x0
	v_cmp_lt_f64_e32 vcc_lo, 0, v[34:35]
	v_add_nc_u64_e32 v[32:33], s[6:7], v[18:19]
	v_cndmask_b32_e64 v28, 0, 1, vcc_lo
	v_cmp_gt_f64_e32 vcc_lo, 0, v[34:35]
	s_delay_alu instid0(VALU_DEP_2) | instskip(NEXT) | instid1(VALU_DEP_1)
	v_subrev_co_ci_u32_e64 v28, null, 0, v28, vcc_lo
	v_cvt_f64_i32_e32 v[28:29], v28
	global_store_b64 v[32:33], v[28:29], off
	s_wait_xcnt 0x0
	s_or_b32 exec_lo, exec_lo, s0
	s_and_saveexec_b32 s0, s2
	s_cbranch_execz .LBB285_8
.LBB285_24:                             ;   in Loop: Header=BB285_9 Depth=1
	s_wait_loadcnt 0x0
	v_cmp_lt_f64_e32 vcc_lo, 0, v[30:31]
	v_cndmask_b32_e64 v28, 0, 1, vcc_lo
	v_cmp_gt_f64_e32 vcc_lo, 0, v[30:31]
	v_add_nc_u64_e32 v[30:31], s[6:7], v[22:23]
	s_delay_alu instid0(VALU_DEP_3) | instskip(NEXT) | instid1(VALU_DEP_1)
	v_subrev_co_ci_u32_e64 v28, null, 0, v28, vcc_lo
	v_cvt_f64_i32_e32 v[28:29], v28
	global_store_b64 v[30:31], v[28:29], off
	s_branch .LBB285_8
.LBB285_25:
	s_endpgm
	.section	.rodata,"a",@progbits
	.p2align	6, 0x0
	.amdhsa_kernel _ZN2at6native12_GLOBAL__N_125multi_tensor_apply_kernelINS1_18TensorListMetadataILi2EEENS1_14UnaryOpFunctorIdLi2ELi1ELi1EEEJNS0_4SignIdEEEEEvT_T0_DpT1_
		.amdhsa_group_segment_fixed_size 0
		.amdhsa_private_segment_fixed_size 0
		.amdhsa_kernarg_size 3408
		.amdhsa_user_sgpr_count 2
		.amdhsa_user_sgpr_dispatch_ptr 0
		.amdhsa_user_sgpr_queue_ptr 0
		.amdhsa_user_sgpr_kernarg_segment_ptr 1
		.amdhsa_user_sgpr_dispatch_id 0
		.amdhsa_user_sgpr_kernarg_preload_length 0
		.amdhsa_user_sgpr_kernarg_preload_offset 0
		.amdhsa_user_sgpr_private_segment_size 0
		.amdhsa_wavefront_size32 1
		.amdhsa_uses_dynamic_stack 0
		.amdhsa_enable_private_segment 0
		.amdhsa_system_sgpr_workgroup_id_x 1
		.amdhsa_system_sgpr_workgroup_id_y 0
		.amdhsa_system_sgpr_workgroup_id_z 0
		.amdhsa_system_sgpr_workgroup_info 0
		.amdhsa_system_vgpr_workitem_id 0
		.amdhsa_next_free_vgpr 38
		.amdhsa_next_free_sgpr 20
		.amdhsa_named_barrier_count 0
		.amdhsa_reserve_vcc 1
		.amdhsa_float_round_mode_32 0
		.amdhsa_float_round_mode_16_64 0
		.amdhsa_float_denorm_mode_32 3
		.amdhsa_float_denorm_mode_16_64 3
		.amdhsa_fp16_overflow 0
		.amdhsa_memory_ordered 1
		.amdhsa_forward_progress 1
		.amdhsa_inst_pref_size 11
		.amdhsa_round_robin_scheduling 0
		.amdhsa_exception_fp_ieee_invalid_op 0
		.amdhsa_exception_fp_denorm_src 0
		.amdhsa_exception_fp_ieee_div_zero 0
		.amdhsa_exception_fp_ieee_overflow 0
		.amdhsa_exception_fp_ieee_underflow 0
		.amdhsa_exception_fp_ieee_inexact 0
		.amdhsa_exception_int_div_zero 0
	.end_amdhsa_kernel
	.section	.text._ZN2at6native12_GLOBAL__N_125multi_tensor_apply_kernelINS1_18TensorListMetadataILi2EEENS1_14UnaryOpFunctorIdLi2ELi1ELi1EEEJNS0_4SignIdEEEEEvT_T0_DpT1_,"axG",@progbits,_ZN2at6native12_GLOBAL__N_125multi_tensor_apply_kernelINS1_18TensorListMetadataILi2EEENS1_14UnaryOpFunctorIdLi2ELi1ELi1EEEJNS0_4SignIdEEEEEvT_T0_DpT1_,comdat
.Lfunc_end285:
	.size	_ZN2at6native12_GLOBAL__N_125multi_tensor_apply_kernelINS1_18TensorListMetadataILi2EEENS1_14UnaryOpFunctorIdLi2ELi1ELi1EEEJNS0_4SignIdEEEEEvT_T0_DpT1_, .Lfunc_end285-_ZN2at6native12_GLOBAL__N_125multi_tensor_apply_kernelINS1_18TensorListMetadataILi2EEENS1_14UnaryOpFunctorIdLi2ELi1ELi1EEEJNS0_4SignIdEEEEEvT_T0_DpT1_
                                        ; -- End function
	.set _ZN2at6native12_GLOBAL__N_125multi_tensor_apply_kernelINS1_18TensorListMetadataILi2EEENS1_14UnaryOpFunctorIdLi2ELi1ELi1EEEJNS0_4SignIdEEEEEvT_T0_DpT1_.num_vgpr, 38
	.set _ZN2at6native12_GLOBAL__N_125multi_tensor_apply_kernelINS1_18TensorListMetadataILi2EEENS1_14UnaryOpFunctorIdLi2ELi1ELi1EEEJNS0_4SignIdEEEEEvT_T0_DpT1_.num_agpr, 0
	.set _ZN2at6native12_GLOBAL__N_125multi_tensor_apply_kernelINS1_18TensorListMetadataILi2EEENS1_14UnaryOpFunctorIdLi2ELi1ELi1EEEJNS0_4SignIdEEEEEvT_T0_DpT1_.numbered_sgpr, 20
	.set _ZN2at6native12_GLOBAL__N_125multi_tensor_apply_kernelINS1_18TensorListMetadataILi2EEENS1_14UnaryOpFunctorIdLi2ELi1ELi1EEEJNS0_4SignIdEEEEEvT_T0_DpT1_.num_named_barrier, 0
	.set _ZN2at6native12_GLOBAL__N_125multi_tensor_apply_kernelINS1_18TensorListMetadataILi2EEENS1_14UnaryOpFunctorIdLi2ELi1ELi1EEEJNS0_4SignIdEEEEEvT_T0_DpT1_.private_seg_size, 0
	.set _ZN2at6native12_GLOBAL__N_125multi_tensor_apply_kernelINS1_18TensorListMetadataILi2EEENS1_14UnaryOpFunctorIdLi2ELi1ELi1EEEJNS0_4SignIdEEEEEvT_T0_DpT1_.uses_vcc, 1
	.set _ZN2at6native12_GLOBAL__N_125multi_tensor_apply_kernelINS1_18TensorListMetadataILi2EEENS1_14UnaryOpFunctorIdLi2ELi1ELi1EEEJNS0_4SignIdEEEEEvT_T0_DpT1_.uses_flat_scratch, 0
	.set _ZN2at6native12_GLOBAL__N_125multi_tensor_apply_kernelINS1_18TensorListMetadataILi2EEENS1_14UnaryOpFunctorIdLi2ELi1ELi1EEEJNS0_4SignIdEEEEEvT_T0_DpT1_.has_dyn_sized_stack, 0
	.set _ZN2at6native12_GLOBAL__N_125multi_tensor_apply_kernelINS1_18TensorListMetadataILi2EEENS1_14UnaryOpFunctorIdLi2ELi1ELi1EEEJNS0_4SignIdEEEEEvT_T0_DpT1_.has_recursion, 0
	.set _ZN2at6native12_GLOBAL__N_125multi_tensor_apply_kernelINS1_18TensorListMetadataILi2EEENS1_14UnaryOpFunctorIdLi2ELi1ELi1EEEJNS0_4SignIdEEEEEvT_T0_DpT1_.has_indirect_call, 0
	.section	.AMDGPU.csdata,"",@progbits
; Kernel info:
; codeLenInByte = 1352
; TotalNumSgprs: 22
; NumVgprs: 38
; ScratchSize: 0
; MemoryBound: 0
; FloatMode: 240
; IeeeMode: 1
; LDSByteSize: 0 bytes/workgroup (compile time only)
; SGPRBlocks: 0
; VGPRBlocks: 2
; NumSGPRsForWavesPerEU: 22
; NumVGPRsForWavesPerEU: 38
; NamedBarCnt: 0
; Occupancy: 16
; WaveLimiterHint : 0
; COMPUTE_PGM_RSRC2:SCRATCH_EN: 0
; COMPUTE_PGM_RSRC2:USER_SGPR: 2
; COMPUTE_PGM_RSRC2:TRAP_HANDLER: 0
; COMPUTE_PGM_RSRC2:TGID_X_EN: 1
; COMPUTE_PGM_RSRC2:TGID_Y_EN: 0
; COMPUTE_PGM_RSRC2:TGID_Z_EN: 0
; COMPUTE_PGM_RSRC2:TIDIG_COMP_CNT: 0
	.section	.text._ZN2at6native12_GLOBAL__N_125multi_tensor_apply_kernelINS1_18TensorListMetadataILi2EEENS1_14UnaryOpFunctorIfLi2ELi1ELi1EEEJNS0_4SignIfEEEEEvT_T0_DpT1_,"axG",@progbits,_ZN2at6native12_GLOBAL__N_125multi_tensor_apply_kernelINS1_18TensorListMetadataILi2EEENS1_14UnaryOpFunctorIfLi2ELi1ELi1EEEJNS0_4SignIfEEEEEvT_T0_DpT1_,comdat
	.globl	_ZN2at6native12_GLOBAL__N_125multi_tensor_apply_kernelINS1_18TensorListMetadataILi2EEENS1_14UnaryOpFunctorIfLi2ELi1ELi1EEEJNS0_4SignIfEEEEEvT_T0_DpT1_ ; -- Begin function _ZN2at6native12_GLOBAL__N_125multi_tensor_apply_kernelINS1_18TensorListMetadataILi2EEENS1_14UnaryOpFunctorIfLi2ELi1ELi1EEEJNS0_4SignIfEEEEEvT_T0_DpT1_
	.p2align	8
	.type	_ZN2at6native12_GLOBAL__N_125multi_tensor_apply_kernelINS1_18TensorListMetadataILi2EEENS1_14UnaryOpFunctorIfLi2ELi1ELi1EEEJNS0_4SignIfEEEEEvT_T0_DpT1_,@function
_ZN2at6native12_GLOBAL__N_125multi_tensor_apply_kernelINS1_18TensorListMetadataILi2EEENS1_14UnaryOpFunctorIfLi2ELi1ELi1EEEJNS0_4SignIfEEEEEvT_T0_DpT1_: ; @_ZN2at6native12_GLOBAL__N_125multi_tensor_apply_kernelINS1_18TensorListMetadataILi2EEENS1_14UnaryOpFunctorIfLi2ELi1ELi1EEEJNS0_4SignIfEEEEEvT_T0_DpT1_
; %bb.0:
	s_bfe_u32 s2, ttmp6, 0x4000c
	s_and_b32 s3, ttmp6, 15
	s_add_co_i32 s2, s2, 1
	s_getreg_b32 s4, hwreg(HW_REG_IB_STS2, 6, 4)
	s_mul_i32 s2, ttmp9, s2
	s_mov_b32 s9, 0
	s_add_co_i32 s3, s3, s2
	s_cmp_eq_u32 s4, 0
	s_mov_b32 s15, s9
	s_cselect_b32 s8, ttmp9, s3
	s_load_u8 s11, s[0:1], s8 offset:0x600
	s_add_nc_u64 s[2:3], s[0:1], s[8:9]
	s_mul_u64 s[4:5], s[8:9], 3
	s_delay_alu instid0(SALU_CYCLE_1)
	s_add_nc_u64 s[4:5], s[2:3], s[4:5]
	s_load_b32 s10, s[4:5], 0x740
	s_wait_kmcnt 0x0
	s_clause 0x2
	s_load_b64 s[2:3], s[0:1], s11 offset:0x0 scale_offset
	s_load_b64 s[6:7], s[0:1], s11 offset:0x200 scale_offset
	;; [unrolled: 1-line block ×3, first 2 shown]
	s_wait_xcnt 0x0
	s_ashr_i32 s11, s10, 31
	s_delay_alu instid0(SALU_CYCLE_1)
	s_lshl_b64 s[4:5], s[10:11], 18
	s_wait_kmcnt 0x0
	s_and_b64 s[18:19], s[6:7], 15
	s_add_nc_u64 s[16:17], s[2:3], s[4:5]
	s_and_b32 s14, s12, 3
	s_and_b32 s8, s16, 15
	s_or_b64 s[14:15], s[18:19], s[14:15]
	s_lshl_b64 s[10:11], s[10:11], 16
	s_or_b64 s[14:15], s[14:15], s[8:9]
	s_sub_nc_u64 s[8:9], s[12:13], s[10:11]
	s_cmp_eq_u64 s[14:15], 0
	s_mov_b32 s10, -1
	s_cbranch_scc0 .LBB286_5
; %bb.1:
	v_min_i64 v[2:3], 0x10000, s[8:9]
	v_dual_mov_b32 v5, 0 :: v_dual_lshlrev_b32 v4, 2, v0
	s_mov_b32 s16, exec_lo
	s_delay_alu instid0(VALU_DEP_1)
	v_cmpx_lt_i64_e64 v[4:5], v[2:3]
	s_cbranch_execz .LBB286_4
; %bb.2:
	s_load_b32 s10, s[0:1], 0xc5c
	v_dual_mov_b32 v1, v5 :: v_dual_lshlrev_b32 v4, 4, v0
	s_mov_b32 s11, 0
	s_add_nc_u64 s[12:13], s[2:3], 8
	s_mov_b32 s15, s11
	s_delay_alu instid0(VALU_DEP_1) | instskip(SKIP_4) | instid1(SALU_CYCLE_1)
	v_add_nc_u64_e32 v[4:5], s[4:5], v[4:5]
	v_mov_b64_e32 v[6:7], v[0:1]
	s_mov_b32 s17, s11
	s_wait_kmcnt 0x0
	s_and_b32 s10, s10, 0xffff
	s_lshl_b32 s14, s10, 4
.LBB286_3:                              ; =>This Inner Loop Header: Depth=1
	s_delay_alu instid0(VALU_DEP_2) | instskip(NEXT) | instid1(VALU_DEP_2)
	v_add_nc_u64_e32 v[8:9], s[12:13], v[4:5]
	v_add_nc_u64_e32 v[6:7], s[10:11], v[6:7]
	;; [unrolled: 1-line block ×4, first 2 shown]
	global_load_b128 v[8:11], v[8:9], off offset:-8
	s_wait_loadcnt 0x0
	v_cmp_lt_f32_e32 vcc_lo, 0, v9
	v_cndmask_b32_e64 v1, 0, 1, vcc_lo
	v_cmp_lt_f32_e32 vcc_lo, 0, v8
	v_cndmask_b32_e64 v14, 0, 1, vcc_lo
	v_cmp_gt_f32_e32 vcc_lo, 0, v8
	v_cndmask_b32_e64 v15, 0, 1, vcc_lo
	v_cmp_gt_f32_e32 vcc_lo, 0, v9
	s_wait_xcnt 0x0
	v_lshlrev_b64_e32 v[8:9], 2, v[6:7]
	s_delay_alu instid0(VALU_DEP_3) | instskip(SKIP_2) | instid1(VALU_DEP_3)
	v_sub_nc_u16 v14, v14, v15
	v_cndmask_b32_e64 v16, 0, 1, vcc_lo
	v_cmp_lt_f32_e32 vcc_lo, 0, v11
	v_bfe_i32 v14, v14, 0, 16
	s_delay_alu instid0(VALU_DEP_3) | instskip(SKIP_2) | instid1(VALU_DEP_3)
	v_sub_nc_u16 v1, v1, v16
	v_cndmask_b32_e64 v17, 0, 1, vcc_lo
	v_cmp_lt_f32_e32 vcc_lo, 0, v10
	v_bfe_i32 v1, v1, 0, 16
	v_cndmask_b32_e64 v18, 0, 1, vcc_lo
	v_cmp_gt_f32_e32 vcc_lo, 0, v11
	v_cndmask_b32_e64 v11, 0, 1, vcc_lo
	v_cmp_gt_f32_e32 vcc_lo, 0, v10
	s_delay_alu instid0(VALU_DEP_2)
	v_sub_nc_u16 v11, v17, v11
	v_cndmask_b32_e64 v10, 0, 1, vcc_lo
	v_cmp_ge_i64_e32 vcc_lo, v[8:9], v[2:3]
	v_cvt_f32_i32_e32 v9, v1
	v_cvt_f32_i32_e32 v8, v14
	v_bfe_i32 v11, v11, 0, 16
	v_sub_nc_u16 v10, v18, v10
	s_or_b32 s17, vcc_lo, s17
	s_delay_alu instid0(VALU_DEP_2) | instskip(NEXT) | instid1(VALU_DEP_2)
	v_cvt_f32_i32_e32 v11, v11
	v_bfe_i32 v10, v10, 0, 16
	s_delay_alu instid0(VALU_DEP_1)
	v_cvt_f32_i32_e32 v10, v10
	global_store_b128 v[12:13], v[8:11], off
	s_wait_xcnt 0x0
	s_and_not1_b32 exec_lo, exec_lo, s17
	s_cbranch_execnz .LBB286_3
.LBB286_4:
	s_or_b32 exec_lo, exec_lo, s16
	s_mov_b32 s10, 0
.LBB286_5:
	s_delay_alu instid0(SALU_CYCLE_1)
	s_and_not1_b32 vcc_lo, exec_lo, s10
	s_cbranch_vccnz .LBB286_25
; %bb.6:
	v_cmp_lt_i64_e64 s10, s[8:9], 1
	s_and_b32 vcc_lo, exec_lo, s10
	s_cbranch_vccnz .LBB286_25
; %bb.7:
	s_load_b32 s0, s[0:1], 0xc5c
	v_min_i64 v[2:3], 0x10000, s[8:9]
	v_min_u64 v[4:5], 0x10000, s[8:9]
	v_dual_mov_b32 v1, 0 :: v_dual_lshlrev_b32 v10, 2, v0
	s_mov_b32 s9, 0
	s_delay_alu instid0(SALU_CYCLE_1) | instskip(NEXT) | instid1(VALU_DEP_1)
	s_mov_b32 s13, s9
	v_dual_mov_b32 v11, v1 :: v_dual_mov_b32 v27, v1
	s_wait_xcnt 0x0
	s_mov_b32 s1, s9
	s_mov_b32 s11, s9
	s_delay_alu instid0(VALU_DEP_1) | instskip(SKIP_2) | instid1(SALU_CYCLE_1)
	v_add_nc_u64_e32 v[6:7], s[2:3], v[10:11]
	s_wait_kmcnt 0x0
	s_and_b32 s8, s0, 0xffff
	v_add_nc_u64_e32 v[8:9], s[8:9], v[0:1]
	v_mad_nc_u64_u32 v[22:23], s8, 12, v[10:11]
	s_lshl_b32 s12, s8, 3
	s_mul_i32 s10, s8, 3
	v_add_nc_u64_e32 v[18:19], s[12:13], v[10:11]
	s_lshl_b32 s0, s8, 1
	v_add_nc_u64_e32 v[10:11], s[6:7], v[10:11]
	v_lshlrev_b32_e32 v26, 2, v8
	v_add_nc_u64_e32 v[12:13], s[10:11], v[0:1]
	v_add_nc_u64_e32 v[14:15], s[0:1], v[0:1]
	s_mov_b64 s[10:11], 0
	v_add_nc_u64_e32 v[16:17], s[2:3], v[18:19]
	v_add_nc_u64_e32 v[18:19], s[6:7], v[18:19]
	;; [unrolled: 1-line block ×6, first 2 shown]
	s_lshl_b32 s6, s8, 2
	s_mov_b32 s7, s9
	s_lshl_b32 s8, s8, 4
	s_branch .LBB286_9
.LBB286_8:                              ;   in Loop: Header=BB286_9 Depth=1
	s_wait_xcnt 0x0
	s_or_b32 exec_lo, exec_lo, s0
	s_add_nc_u64 s[10:11], s[10:11], s[6:7]
	v_add_nc_u64_e32 v[6:7], s[8:9], v[6:7]
	v_cmp_ge_i64_e32 vcc_lo, s[10:11], v[2:3]
	v_add_nc_u64_e32 v[10:11], s[8:9], v[10:11]
	v_add_nc_u64_e32 v[20:21], s[8:9], v[20:21]
	;; [unrolled: 1-line block ×7, first 2 shown]
	s_cbranch_vccnz .LBB286_25
.LBB286_9:                              ; =>This Inner Loop Header: Depth=1
	s_wait_loadcnt 0x0
	v_add_nc_u64_e32 v[28:29], s[10:11], v[0:1]
	v_mov_b32_e32 v30, 0
	s_delay_alu instid0(VALU_DEP_2)
	v_cmp_lt_u64_e64 s2, v[28:29], v[4:5]
	s_and_saveexec_b32 s0, s2
	s_cbranch_execz .LBB286_11
; %bb.10:                               ;   in Loop: Header=BB286_9 Depth=1
	v_add_nc_u64_e32 v[28:29], s[4:5], v[6:7]
	global_load_b32 v30, v[28:29], off
.LBB286_11:                             ;   in Loop: Header=BB286_9 Depth=1
	s_wait_xcnt 0x0
	s_or_b32 exec_lo, exec_lo, s0
	v_add_nc_u64_e32 v[28:29], s[10:11], v[8:9]
	v_mov_b32_e32 v31, 0
	s_delay_alu instid0(VALU_DEP_2)
	v_cmp_lt_u64_e64 s0, v[28:29], v[4:5]
	v_mov_b32_e32 v28, 0
	s_and_saveexec_b32 s1, s0
	s_cbranch_execz .LBB286_13
; %bb.12:                               ;   in Loop: Header=BB286_9 Depth=1
	v_add_nc_u64_e32 v[32:33], s[4:5], v[24:25]
	global_load_b32 v31, v[32:33], off
.LBB286_13:                             ;   in Loop: Header=BB286_9 Depth=1
	s_wait_xcnt 0x0
	s_or_b32 exec_lo, exec_lo, s1
	v_add_nc_u64_e32 v[32:33], s[10:11], v[14:15]
	s_delay_alu instid0(VALU_DEP_1)
	v_cmp_lt_u64_e64 s1, v[32:33], v[4:5]
	s_and_saveexec_b32 s3, s1
	s_cbranch_execz .LBB286_15
; %bb.14:                               ;   in Loop: Header=BB286_9 Depth=1
	v_add_nc_u64_e32 v[28:29], s[4:5], v[16:17]
	global_load_b32 v28, v[28:29], off
.LBB286_15:                             ;   in Loop: Header=BB286_9 Depth=1
	s_wait_xcnt 0x0
	s_or_b32 exec_lo, exec_lo, s3
	v_add_nc_u64_e32 v[32:33], s[10:11], v[12:13]
	v_mov_b32_e32 v29, 0
	s_delay_alu instid0(VALU_DEP_2)
	v_cmp_lt_u64_e32 vcc_lo, v[32:33], v[4:5]
	s_and_saveexec_b32 s3, vcc_lo
	s_cbranch_execnz .LBB286_20
; %bb.16:                               ;   in Loop: Header=BB286_9 Depth=1
	s_or_b32 exec_lo, exec_lo, s3
	s_and_saveexec_b32 s3, s2
	s_cbranch_execnz .LBB286_21
.LBB286_17:                             ;   in Loop: Header=BB286_9 Depth=1
	s_or_b32 exec_lo, exec_lo, s3
	s_and_saveexec_b32 s2, s0
	s_cbranch_execnz .LBB286_22
.LBB286_18:                             ;   in Loop: Header=BB286_9 Depth=1
	s_or_b32 exec_lo, exec_lo, s2
	s_and_saveexec_b32 s2, s1
	s_cbranch_execnz .LBB286_23
.LBB286_19:                             ;   in Loop: Header=BB286_9 Depth=1
	s_or_b32 exec_lo, exec_lo, s2
	s_and_saveexec_b32 s0, vcc_lo
	s_cbranch_execz .LBB286_8
	s_branch .LBB286_24
.LBB286_20:                             ;   in Loop: Header=BB286_9 Depth=1
	v_add_nc_u64_e32 v[32:33], s[4:5], v[20:21]
	global_load_b32 v29, v[32:33], off
	s_wait_xcnt 0x0
	s_or_b32 exec_lo, exec_lo, s3
	s_and_saveexec_b32 s3, s2
	s_cbranch_execz .LBB286_17
.LBB286_21:                             ;   in Loop: Header=BB286_9 Depth=1
	s_wait_loadcnt 0x0
	v_cmp_lt_f32_e64 s2, 0, v30
	s_delay_alu instid0(VALU_DEP_1) | instskip(SKIP_1) | instid1(VALU_DEP_1)
	v_cndmask_b32_e64 v32, 0, 1, s2
	v_cmp_gt_f32_e64 s2, 0, v30
	v_subrev_co_ci_u32_e64 v30, null, 0, v32, s2
	v_add_nc_u64_e32 v[32:33], s[4:5], v[10:11]
	s_delay_alu instid0(VALU_DEP_2)
	v_cvt_f32_i32_e32 v30, v30
	global_store_b32 v[32:33], v30, off
	s_wait_xcnt 0x0
	s_or_b32 exec_lo, exec_lo, s3
	s_and_saveexec_b32 s2, s0
	s_cbranch_execz .LBB286_18
.LBB286_22:                             ;   in Loop: Header=BB286_9 Depth=1
	s_wait_loadcnt 0x0
	v_cmp_lt_f32_e64 s0, 0, v31
	s_delay_alu instid0(VALU_DEP_1) | instskip(SKIP_1) | instid1(VALU_DEP_1)
	v_cndmask_b32_e64 v30, 0, 1, s0
	v_cmp_gt_f32_e64 s0, 0, v31
	v_subrev_co_ci_u32_e64 v32, null, 0, v30, s0
	v_add_nc_u64_e32 v[30:31], s[4:5], v[26:27]
	s_delay_alu instid0(VALU_DEP_2)
	v_cvt_f32_i32_e32 v32, v32
	global_store_b32 v[30:31], v32, off
	s_wait_xcnt 0x0
	s_or_b32 exec_lo, exec_lo, s2
	s_and_saveexec_b32 s2, s1
	s_cbranch_execz .LBB286_19
.LBB286_23:                             ;   in Loop: Header=BB286_9 Depth=1
	s_wait_loadcnt 0x0
	v_cmp_lt_f32_e64 s0, 0, v28
	s_delay_alu instid0(VALU_DEP_1) | instskip(SKIP_1) | instid1(VALU_DEP_1)
	v_cndmask_b32_e64 v30, 0, 1, s0
	v_cmp_gt_f32_e64 s0, 0, v28
	v_subrev_co_ci_u32_e64 v28, null, 0, v30, s0
	v_add_nc_u64_e32 v[30:31], s[4:5], v[18:19]
	s_delay_alu instid0(VALU_DEP_2)
	v_cvt_f32_i32_e32 v28, v28
	global_store_b32 v[30:31], v28, off
	s_wait_xcnt 0x0
	s_or_b32 exec_lo, exec_lo, s2
	s_and_saveexec_b32 s0, vcc_lo
	s_cbranch_execz .LBB286_8
.LBB286_24:                             ;   in Loop: Header=BB286_9 Depth=1
	s_wait_loadcnt 0x0
	v_cmp_lt_f32_e32 vcc_lo, 0, v29
	v_cndmask_b32_e64 v28, 0, 1, vcc_lo
	v_cmp_gt_f32_e32 vcc_lo, 0, v29
	s_delay_alu instid0(VALU_DEP_2) | instskip(SKIP_1) | instid1(VALU_DEP_2)
	v_subrev_co_ci_u32_e64 v30, null, 0, v28, vcc_lo
	v_add_nc_u64_e32 v[28:29], s[4:5], v[22:23]
	v_cvt_f32_i32_e32 v30, v30
	global_store_b32 v[28:29], v30, off
	s_branch .LBB286_8
.LBB286_25:
	s_endpgm
	.section	.rodata,"a",@progbits
	.p2align	6, 0x0
	.amdhsa_kernel _ZN2at6native12_GLOBAL__N_125multi_tensor_apply_kernelINS1_18TensorListMetadataILi2EEENS1_14UnaryOpFunctorIfLi2ELi1ELi1EEEJNS0_4SignIfEEEEEvT_T0_DpT1_
		.amdhsa_group_segment_fixed_size 0
		.amdhsa_private_segment_fixed_size 0
		.amdhsa_kernarg_size 3408
		.amdhsa_user_sgpr_count 2
		.amdhsa_user_sgpr_dispatch_ptr 0
		.amdhsa_user_sgpr_queue_ptr 0
		.amdhsa_user_sgpr_kernarg_segment_ptr 1
		.amdhsa_user_sgpr_dispatch_id 0
		.amdhsa_user_sgpr_kernarg_preload_length 0
		.amdhsa_user_sgpr_kernarg_preload_offset 0
		.amdhsa_user_sgpr_private_segment_size 0
		.amdhsa_wavefront_size32 1
		.amdhsa_uses_dynamic_stack 0
		.amdhsa_enable_private_segment 0
		.amdhsa_system_sgpr_workgroup_id_x 1
		.amdhsa_system_sgpr_workgroup_id_y 0
		.amdhsa_system_sgpr_workgroup_id_z 0
		.amdhsa_system_sgpr_workgroup_info 0
		.amdhsa_system_vgpr_workitem_id 0
		.amdhsa_next_free_vgpr 34
		.amdhsa_next_free_sgpr 20
		.amdhsa_named_barrier_count 0
		.amdhsa_reserve_vcc 1
		.amdhsa_float_round_mode_32 0
		.amdhsa_float_round_mode_16_64 0
		.amdhsa_float_denorm_mode_32 3
		.amdhsa_float_denorm_mode_16_64 3
		.amdhsa_fp16_overflow 0
		.amdhsa_memory_ordered 1
		.amdhsa_forward_progress 1
		.amdhsa_inst_pref_size 11
		.amdhsa_round_robin_scheduling 0
		.amdhsa_exception_fp_ieee_invalid_op 0
		.amdhsa_exception_fp_denorm_src 0
		.amdhsa_exception_fp_ieee_div_zero 0
		.amdhsa_exception_fp_ieee_overflow 0
		.amdhsa_exception_fp_ieee_underflow 0
		.amdhsa_exception_fp_ieee_inexact 0
		.amdhsa_exception_int_div_zero 0
	.end_amdhsa_kernel
	.section	.text._ZN2at6native12_GLOBAL__N_125multi_tensor_apply_kernelINS1_18TensorListMetadataILi2EEENS1_14UnaryOpFunctorIfLi2ELi1ELi1EEEJNS0_4SignIfEEEEEvT_T0_DpT1_,"axG",@progbits,_ZN2at6native12_GLOBAL__N_125multi_tensor_apply_kernelINS1_18TensorListMetadataILi2EEENS1_14UnaryOpFunctorIfLi2ELi1ELi1EEEJNS0_4SignIfEEEEEvT_T0_DpT1_,comdat
.Lfunc_end286:
	.size	_ZN2at6native12_GLOBAL__N_125multi_tensor_apply_kernelINS1_18TensorListMetadataILi2EEENS1_14UnaryOpFunctorIfLi2ELi1ELi1EEEJNS0_4SignIfEEEEEvT_T0_DpT1_, .Lfunc_end286-_ZN2at6native12_GLOBAL__N_125multi_tensor_apply_kernelINS1_18TensorListMetadataILi2EEENS1_14UnaryOpFunctorIfLi2ELi1ELi1EEEJNS0_4SignIfEEEEEvT_T0_DpT1_
                                        ; -- End function
	.set _ZN2at6native12_GLOBAL__N_125multi_tensor_apply_kernelINS1_18TensorListMetadataILi2EEENS1_14UnaryOpFunctorIfLi2ELi1ELi1EEEJNS0_4SignIfEEEEEvT_T0_DpT1_.num_vgpr, 34
	.set _ZN2at6native12_GLOBAL__N_125multi_tensor_apply_kernelINS1_18TensorListMetadataILi2EEENS1_14UnaryOpFunctorIfLi2ELi1ELi1EEEJNS0_4SignIfEEEEEvT_T0_DpT1_.num_agpr, 0
	.set _ZN2at6native12_GLOBAL__N_125multi_tensor_apply_kernelINS1_18TensorListMetadataILi2EEENS1_14UnaryOpFunctorIfLi2ELi1ELi1EEEJNS0_4SignIfEEEEEvT_T0_DpT1_.numbered_sgpr, 20
	.set _ZN2at6native12_GLOBAL__N_125multi_tensor_apply_kernelINS1_18TensorListMetadataILi2EEENS1_14UnaryOpFunctorIfLi2ELi1ELi1EEEJNS0_4SignIfEEEEEvT_T0_DpT1_.num_named_barrier, 0
	.set _ZN2at6native12_GLOBAL__N_125multi_tensor_apply_kernelINS1_18TensorListMetadataILi2EEENS1_14UnaryOpFunctorIfLi2ELi1ELi1EEEJNS0_4SignIfEEEEEvT_T0_DpT1_.private_seg_size, 0
	.set _ZN2at6native12_GLOBAL__N_125multi_tensor_apply_kernelINS1_18TensorListMetadataILi2EEENS1_14UnaryOpFunctorIfLi2ELi1ELi1EEEJNS0_4SignIfEEEEEvT_T0_DpT1_.uses_vcc, 1
	.set _ZN2at6native12_GLOBAL__N_125multi_tensor_apply_kernelINS1_18TensorListMetadataILi2EEENS1_14UnaryOpFunctorIfLi2ELi1ELi1EEEJNS0_4SignIfEEEEEvT_T0_DpT1_.uses_flat_scratch, 0
	.set _ZN2at6native12_GLOBAL__N_125multi_tensor_apply_kernelINS1_18TensorListMetadataILi2EEENS1_14UnaryOpFunctorIfLi2ELi1ELi1EEEJNS0_4SignIfEEEEEvT_T0_DpT1_.has_dyn_sized_stack, 0
	.set _ZN2at6native12_GLOBAL__N_125multi_tensor_apply_kernelINS1_18TensorListMetadataILi2EEENS1_14UnaryOpFunctorIfLi2ELi1ELi1EEEJNS0_4SignIfEEEEEvT_T0_DpT1_.has_recursion, 0
	.set _ZN2at6native12_GLOBAL__N_125multi_tensor_apply_kernelINS1_18TensorListMetadataILi2EEENS1_14UnaryOpFunctorIfLi2ELi1ELi1EEEJNS0_4SignIfEEEEEvT_T0_DpT1_.has_indirect_call, 0
	.section	.AMDGPU.csdata,"",@progbits
; Kernel info:
; codeLenInByte = 1384
; TotalNumSgprs: 22
; NumVgprs: 34
; ScratchSize: 0
; MemoryBound: 0
; FloatMode: 240
; IeeeMode: 1
; LDSByteSize: 0 bytes/workgroup (compile time only)
; SGPRBlocks: 0
; VGPRBlocks: 2
; NumSGPRsForWavesPerEU: 22
; NumVGPRsForWavesPerEU: 34
; NamedBarCnt: 0
; Occupancy: 16
; WaveLimiterHint : 0
; COMPUTE_PGM_RSRC2:SCRATCH_EN: 0
; COMPUTE_PGM_RSRC2:USER_SGPR: 2
; COMPUTE_PGM_RSRC2:TRAP_HANDLER: 0
; COMPUTE_PGM_RSRC2:TGID_X_EN: 1
; COMPUTE_PGM_RSRC2:TGID_Y_EN: 0
; COMPUTE_PGM_RSRC2:TGID_Z_EN: 0
; COMPUTE_PGM_RSRC2:TIDIG_COMP_CNT: 0
	.section	.text._ZN2at6native12_GLOBAL__N_125multi_tensor_apply_kernelINS1_18TensorListMetadataILi2EEENS1_14UnaryOpFunctorIN3c104HalfELi2ELi1ELi1EEEJNS0_4SignIfEEEEEvT_T0_DpT1_,"axG",@progbits,_ZN2at6native12_GLOBAL__N_125multi_tensor_apply_kernelINS1_18TensorListMetadataILi2EEENS1_14UnaryOpFunctorIN3c104HalfELi2ELi1ELi1EEEJNS0_4SignIfEEEEEvT_T0_DpT1_,comdat
	.globl	_ZN2at6native12_GLOBAL__N_125multi_tensor_apply_kernelINS1_18TensorListMetadataILi2EEENS1_14UnaryOpFunctorIN3c104HalfELi2ELi1ELi1EEEJNS0_4SignIfEEEEEvT_T0_DpT1_ ; -- Begin function _ZN2at6native12_GLOBAL__N_125multi_tensor_apply_kernelINS1_18TensorListMetadataILi2EEENS1_14UnaryOpFunctorIN3c104HalfELi2ELi1ELi1EEEJNS0_4SignIfEEEEEvT_T0_DpT1_
	.p2align	8
	.type	_ZN2at6native12_GLOBAL__N_125multi_tensor_apply_kernelINS1_18TensorListMetadataILi2EEENS1_14UnaryOpFunctorIN3c104HalfELi2ELi1ELi1EEEJNS0_4SignIfEEEEEvT_T0_DpT1_,@function
_ZN2at6native12_GLOBAL__N_125multi_tensor_apply_kernelINS1_18TensorListMetadataILi2EEENS1_14UnaryOpFunctorIN3c104HalfELi2ELi1ELi1EEEJNS0_4SignIfEEEEEvT_T0_DpT1_: ; @_ZN2at6native12_GLOBAL__N_125multi_tensor_apply_kernelINS1_18TensorListMetadataILi2EEENS1_14UnaryOpFunctorIN3c104HalfELi2ELi1ELi1EEEJNS0_4SignIfEEEEEvT_T0_DpT1_
; %bb.0:
	s_bfe_u32 s2, ttmp6, 0x4000c
	s_and_b32 s3, ttmp6, 15
	s_add_co_i32 s2, s2, 1
	s_getreg_b32 s4, hwreg(HW_REG_IB_STS2, 6, 4)
	s_mul_i32 s2, ttmp9, s2
	s_delay_alu instid0(SALU_CYCLE_1)
	s_add_co_i32 s3, s3, s2
	s_cmp_eq_u32 s4, 0
	s_cselect_b32 s2, ttmp9, s3
	s_mov_b32 s3, 0
	s_load_u8 s9, s[0:1], s2 offset:0x600
	s_add_nc_u64 s[4:5], s[0:1], s[2:3]
	s_mul_u64 s[6:7], s[2:3], 3
	s_mov_b32 s15, s3
	s_add_nc_u64 s[4:5], s[4:5], s[6:7]
	s_load_b32 s8, s[4:5], 0x740
	s_wait_kmcnt 0x0
	s_clause 0x2
	s_load_b64 s[6:7], s[0:1], s9 offset:0x0 scale_offset
	s_load_b64 s[10:11], s[0:1], s9 offset:0x200 scale_offset
	;; [unrolled: 1-line block ×3, first 2 shown]
	s_wait_xcnt 0x0
	s_ashr_i32 s9, s8, 31
	s_delay_alu instid0(SALU_CYCLE_1)
	s_lshl_b64 s[4:5], s[8:9], 17
	s_wait_kmcnt 0x0
	s_and_b64 s[18:19], s[10:11], 7
	s_add_nc_u64 s[16:17], s[6:7], s[4:5]
	s_and_b32 s14, s12, 3
	s_and_b32 s2, s16, 7
	s_or_b64 s[14:15], s[18:19], s[14:15]
	s_lshl_b64 s[8:9], s[8:9], 16
	s_or_b64 s[2:3], s[14:15], s[2:3]
	s_sub_nc_u64 s[8:9], s[12:13], s[8:9]
	s_cmp_eq_u64 s[2:3], 0
	s_mov_b32 s2, -1
	s_cbranch_scc0 .LBB287_5
; %bb.1:
	v_min_i64 v[2:3], 0x10000, s[8:9]
	v_dual_mov_b32 v5, 0 :: v_dual_lshlrev_b32 v4, 2, v0
	s_mov_b32 s16, exec_lo
	s_delay_alu instid0(VALU_DEP_1)
	v_cmpx_lt_i64_e64 v[4:5], v[2:3]
	s_cbranch_execz .LBB287_4
; %bb.2:
	s_load_b32 s2, s[0:1], 0xc5c
	v_dual_mov_b32 v1, v5 :: v_dual_lshlrev_b32 v4, 3, v0
	s_mov_b32 s13, 0
	s_delay_alu instid0(SALU_CYCLE_1) | instskip(NEXT) | instid1(VALU_DEP_1)
	s_mov_b32 s15, s13
	v_add_nc_u64_e32 v[4:5], s[4:5], v[4:5]
	s_delay_alu instid0(VALU_DEP_2) | instskip(SKIP_3) | instid1(SALU_CYCLE_1)
	v_mov_b64_e32 v[6:7], v[0:1]
	s_mov_b32 s17, s13
	s_wait_kmcnt 0x0
	s_and_b32 s12, s2, 0xffff
	s_lshl_b32 s14, s12, 3
.LBB287_3:                              ; =>This Inner Loop Header: Depth=1
	s_delay_alu instid0(VALU_DEP_2) | instskip(NEXT) | instid1(VALU_DEP_2)
	v_add_nc_u64_e32 v[8:9], s[6:7], v[4:5]
	v_add_nc_u64_e32 v[6:7], s[12:13], v[6:7]
	global_load_b64 v[8:9], v[8:9], off
	v_lshlrev_b64_e32 v[10:11], 2, v[6:7]
	s_wait_loadcnt 0x0
	v_cmp_lt_f16_e32 vcc_lo, 0, v8
	v_dual_lshrrev_b32 v1, 16, v8 :: v_dual_lshrrev_b32 v12, 16, v9
	v_cmp_gt_f16_e64 s2, 0, v8
	v_cndmask_b32_e64 v13, 0, 1, vcc_lo
	v_cmp_lt_f16_e32 vcc_lo, 0, v9
	s_delay_alu instid0(VALU_DEP_4) | instskip(SKIP_1) | instid1(VALU_DEP_3)
	v_cmp_lt_f16_e64 s3, 0, v12
	s_wait_xcnt 0x0
	v_subrev_co_ci_u32_e64 v8, null, 0, v13, s2
	v_cndmask_b32_e64 v14, 0, 1, vcc_lo
	v_cmp_gt_f16_e32 vcc_lo, 0, v9
	v_cmp_lt_f16_e64 s2, 0, v1
	s_delay_alu instid0(VALU_DEP_3) | instskip(NEXT) | instid1(VALU_DEP_2)
	v_subrev_co_ci_u32_e64 v13, null, 0, v14, vcc_lo
	v_cndmask_b32_e64 v9, 0, 1, s2
	v_cmp_gt_f16_e64 s2, 0, v1
	v_cndmask_b32_e64 v1, 0, 1, s3
	v_cmp_gt_f16_e32 vcc_lo, 0, v12
	v_cvt_f32_i32_e32 v12, v8
	v_cvt_f32_i32_e32 v13, v13
	v_subrev_co_ci_u32_e64 v9, null, 0, v9, s2
	v_subrev_co_ci_u32_e64 v1, null, 0, v1, vcc_lo
	v_cmp_ge_i64_e32 vcc_lo, v[10:11], v[2:3]
	s_delay_alu instid0(VALU_DEP_3) | instskip(SKIP_1) | instid1(VALU_DEP_4)
	v_cvt_f32_i32_e32 v14, v9
	v_add_nc_u64_e32 v[8:9], s[10:11], v[4:5]
	v_cvt_f32_i32_e32 v1, v1
	v_add_nc_u64_e32 v[4:5], s[14:15], v[4:5]
	s_delay_alu instid0(VALU_DEP_4) | instskip(SKIP_1) | instid1(VALU_DEP_3)
	v_cvt_pk_f16_f32 v10, v12, v14
	s_or_b32 s17, vcc_lo, s17
	v_cvt_pk_f16_f32 v11, v13, v1
	global_store_b64 v[8:9], v[10:11], off
	s_wait_xcnt 0x0
	s_and_not1_b32 exec_lo, exec_lo, s17
	s_cbranch_execnz .LBB287_3
.LBB287_4:
	s_or_b32 exec_lo, exec_lo, s16
	s_mov_b32 s2, 0
.LBB287_5:
	s_delay_alu instid0(SALU_CYCLE_1)
	s_and_not1_b32 vcc_lo, exec_lo, s2
	s_cbranch_vccnz .LBB287_25
; %bb.6:
	v_cmp_lt_i64_e64 s2, s[8:9], 1
	s_and_b32 vcc_lo, exec_lo, s2
	s_cbranch_vccnz .LBB287_25
; %bb.7:
	s_load_b32 s0, s[0:1], 0xc5c
	v_min_i64 v[2:3], 0x10000, s[8:9]
	v_min_u64 v[4:5], 0x10000, s[8:9]
	v_dual_mov_b32 v1, 0 :: v_dual_lshlrev_b32 v10, 1, v0
	s_wait_xcnt 0x0
	s_mov_b32 s1, 0
	s_delay_alu instid0(SALU_CYCLE_1) | instskip(NEXT) | instid1(VALU_DEP_1)
	s_mov_b32 s9, s1
	v_dual_mov_b32 v11, v1 :: v_dual_mov_b32 v27, v1
	s_mov_b32 s3, s1
	s_mov_b32 s13, s1
	s_delay_alu instid0(VALU_DEP_1) | instskip(SKIP_2) | instid1(SALU_CYCLE_1)
	v_add_nc_u64_e32 v[6:7], s[6:7], v[10:11]
	s_wait_kmcnt 0x0
	s_and_b32 s0, s0, 0xffff
	v_add_nc_u64_e32 v[8:9], s[0:1], v[0:1]
	v_mad_nc_u64_u32 v[22:23], s0, 6, v[10:11]
	s_lshl_b32 s8, s0, 2
	s_mul_i32 s12, s0, 3
	v_add_nc_u64_e32 v[18:19], s[8:9], v[10:11]
	s_lshl_b32 s2, s0, 1
	v_add_nc_u64_e32 v[10:11], s[10:11], v[10:11]
	v_lshlrev_b32_e32 v26, 1, v8
	v_add_nc_u64_e32 v[12:13], s[12:13], v[0:1]
	v_add_nc_u64_e32 v[14:15], s[2:3], v[0:1]
	;; [unrolled: 1-line block ×8, first 2 shown]
	s_lshl_b32 s6, s0, 3
	s_mov_b32 s7, s1
	s_mov_b64 s[10:11], 0
	s_branch .LBB287_9
.LBB287_8:                              ;   in Loop: Header=BB287_9 Depth=1
	s_wait_xcnt 0x0
	s_or_b32 exec_lo, exec_lo, s0
	s_add_nc_u64 s[10:11], s[10:11], s[8:9]
	v_add_nc_u64_e32 v[6:7], s[6:7], v[6:7]
	v_cmp_ge_i64_e32 vcc_lo, s[10:11], v[2:3]
	v_add_nc_u64_e32 v[10:11], s[6:7], v[10:11]
	v_add_nc_u64_e32 v[20:21], s[6:7], v[20:21]
	;; [unrolled: 1-line block ×7, first 2 shown]
	s_cbranch_vccnz .LBB287_25
.LBB287_9:                              ; =>This Inner Loop Header: Depth=1
	s_wait_loadcnt 0x0
	v_add_nc_u64_e32 v[28:29], s[10:11], v[0:1]
	v_mov_b32_e32 v31, 0
	s_delay_alu instid0(VALU_DEP_2)
	v_cmp_lt_u64_e64 s2, v[28:29], v[4:5]
	s_and_saveexec_b32 s0, s2
	s_cbranch_execz .LBB287_11
; %bb.10:                               ;   in Loop: Header=BB287_9 Depth=1
	v_add_nc_u64_e32 v[28:29], s[4:5], v[6:7]
	global_load_u16 v31, v[28:29], off
.LBB287_11:                             ;   in Loop: Header=BB287_9 Depth=1
	s_wait_xcnt 0x0
	s_or_b32 exec_lo, exec_lo, s0
	v_add_nc_u64_e32 v[28:29], s[10:11], v[8:9]
	v_mov_b32_e32 v30, 0
	s_delay_alu instid0(VALU_DEP_2)
	v_cmp_lt_u64_e64 s1, v[28:29], v[4:5]
	v_mov_b32_e32 v28, 0
	s_and_saveexec_b32 s0, s1
	s_cbranch_execz .LBB287_13
; %bb.12:                               ;   in Loop: Header=BB287_9 Depth=1
	v_add_nc_u64_e32 v[32:33], s[4:5], v[24:25]
	global_load_u16 v30, v[32:33], off
.LBB287_13:                             ;   in Loop: Header=BB287_9 Depth=1
	s_wait_xcnt 0x0
	s_or_b32 exec_lo, exec_lo, s0
	v_add_nc_u64_e32 v[32:33], s[10:11], v[14:15]
	s_delay_alu instid0(VALU_DEP_1)
	v_cmp_lt_u64_e64 s0, v[32:33], v[4:5]
	s_and_saveexec_b32 s3, s0
	s_cbranch_execz .LBB287_15
; %bb.14:                               ;   in Loop: Header=BB287_9 Depth=1
	v_add_nc_u64_e32 v[28:29], s[4:5], v[16:17]
	global_load_u16 v28, v[28:29], off
.LBB287_15:                             ;   in Loop: Header=BB287_9 Depth=1
	s_wait_xcnt 0x0
	s_or_b32 exec_lo, exec_lo, s3
	v_add_nc_u64_e32 v[32:33], s[10:11], v[12:13]
	v_mov_b32_e32 v29, 0
	s_delay_alu instid0(VALU_DEP_2)
	v_cmp_lt_u64_e32 vcc_lo, v[32:33], v[4:5]
	s_and_saveexec_b32 s3, vcc_lo
	s_cbranch_execnz .LBB287_20
; %bb.16:                               ;   in Loop: Header=BB287_9 Depth=1
	s_or_b32 exec_lo, exec_lo, s3
	s_and_saveexec_b32 s3, s2
	s_cbranch_execnz .LBB287_21
.LBB287_17:                             ;   in Loop: Header=BB287_9 Depth=1
	s_or_b32 exec_lo, exec_lo, s3
	s_and_saveexec_b32 s2, s1
	s_cbranch_execnz .LBB287_22
.LBB287_18:                             ;   in Loop: Header=BB287_9 Depth=1
	s_or_b32 exec_lo, exec_lo, s2
	s_and_saveexec_b32 s1, s0
	s_cbranch_execnz .LBB287_23
.LBB287_19:                             ;   in Loop: Header=BB287_9 Depth=1
	s_or_b32 exec_lo, exec_lo, s1
	s_and_saveexec_b32 s0, vcc_lo
	s_cbranch_execz .LBB287_8
	s_branch .LBB287_24
.LBB287_20:                             ;   in Loop: Header=BB287_9 Depth=1
	v_add_nc_u64_e32 v[32:33], s[4:5], v[20:21]
	global_load_u16 v29, v[32:33], off
	s_wait_xcnt 0x0
	s_or_b32 exec_lo, exec_lo, s3
	s_and_saveexec_b32 s3, s2
	s_cbranch_execz .LBB287_17
.LBB287_21:                             ;   in Loop: Header=BB287_9 Depth=1
	s_wait_loadcnt 0x0
	v_cmp_lt_f16_e64 s2, 0, v31
	s_delay_alu instid0(VALU_DEP_1) | instskip(SKIP_1) | instid1(VALU_DEP_1)
	v_cndmask_b32_e64 v32, 0, 1, s2
	v_cmp_gt_f16_e64 s2, 0, v31
	v_subrev_co_ci_u32_e64 v31, null, 0, v32, s2
	v_add_nc_u64_e32 v[32:33], s[4:5], v[10:11]
	s_delay_alu instid0(VALU_DEP_2) | instskip(NEXT) | instid1(VALU_DEP_1)
	v_cvt_f32_i32_e32 v31, v31
	v_cvt_f16_f32_e32 v31, v31
	global_store_b16 v[32:33], v31, off
	s_wait_xcnt 0x0
	s_or_b32 exec_lo, exec_lo, s3
	s_and_saveexec_b32 s2, s1
	s_cbranch_execz .LBB287_18
.LBB287_22:                             ;   in Loop: Header=BB287_9 Depth=1
	s_wait_loadcnt 0x0
	v_cmp_lt_f16_e64 s1, 0, v30
	s_delay_alu instid0(VALU_DEP_1) | instskip(SKIP_1) | instid1(VALU_DEP_1)
	v_cndmask_b32_e64 v31, 0, 1, s1
	v_cmp_gt_f16_e64 s1, 0, v30
	v_subrev_co_ci_u32_e64 v30, null, 0, v31, s1
	s_delay_alu instid0(VALU_DEP_1) | instskip(SKIP_1) | instid1(VALU_DEP_2)
	v_cvt_f32_i32_e32 v32, v30
	v_add_nc_u64_e32 v[30:31], s[4:5], v[26:27]
	v_cvt_f16_f32_e32 v32, v32
	global_store_b16 v[30:31], v32, off
	s_wait_xcnt 0x0
	s_or_b32 exec_lo, exec_lo, s2
	s_and_saveexec_b32 s1, s0
	s_cbranch_execz .LBB287_19
.LBB287_23:                             ;   in Loop: Header=BB287_9 Depth=1
	s_wait_loadcnt 0x0
	v_cmp_lt_f16_e64 s0, 0, v28
	s_delay_alu instid0(VALU_DEP_1) | instskip(SKIP_1) | instid1(VALU_DEP_1)
	v_cndmask_b32_e64 v30, 0, 1, s0
	v_cmp_gt_f16_e64 s0, 0, v28
	v_subrev_co_ci_u32_e64 v28, null, 0, v30, s0
	v_add_nc_u64_e32 v[30:31], s[4:5], v[18:19]
	s_delay_alu instid0(VALU_DEP_2) | instskip(NEXT) | instid1(VALU_DEP_1)
	v_cvt_f32_i32_e32 v28, v28
	v_cvt_f16_f32_e32 v28, v28
	global_store_b16 v[30:31], v28, off
	s_wait_xcnt 0x0
	s_or_b32 exec_lo, exec_lo, s1
	s_and_saveexec_b32 s0, vcc_lo
	s_cbranch_execz .LBB287_8
.LBB287_24:                             ;   in Loop: Header=BB287_9 Depth=1
	s_wait_loadcnt 0x0
	v_cmp_lt_f16_e32 vcc_lo, 0, v29
	v_cndmask_b32_e64 v28, 0, 1, vcc_lo
	v_cmp_gt_f16_e32 vcc_lo, 0, v29
	s_delay_alu instid0(VALU_DEP_2) | instskip(NEXT) | instid1(VALU_DEP_1)
	v_subrev_co_ci_u32_e64 v28, null, 0, v28, vcc_lo
	v_cvt_f32_i32_e32 v30, v28
	v_add_nc_u64_e32 v[28:29], s[4:5], v[22:23]
	s_delay_alu instid0(VALU_DEP_2)
	v_cvt_f16_f32_e32 v30, v30
	global_store_b16 v[28:29], v30, off
	s_branch .LBB287_8
.LBB287_25:
	s_endpgm
	.section	.rodata,"a",@progbits
	.p2align	6, 0x0
	.amdhsa_kernel _ZN2at6native12_GLOBAL__N_125multi_tensor_apply_kernelINS1_18TensorListMetadataILi2EEENS1_14UnaryOpFunctorIN3c104HalfELi2ELi1ELi1EEEJNS0_4SignIfEEEEEvT_T0_DpT1_
		.amdhsa_group_segment_fixed_size 0
		.amdhsa_private_segment_fixed_size 0
		.amdhsa_kernarg_size 3408
		.amdhsa_user_sgpr_count 2
		.amdhsa_user_sgpr_dispatch_ptr 0
		.amdhsa_user_sgpr_queue_ptr 0
		.amdhsa_user_sgpr_kernarg_segment_ptr 1
		.amdhsa_user_sgpr_dispatch_id 0
		.amdhsa_user_sgpr_kernarg_preload_length 0
		.amdhsa_user_sgpr_kernarg_preload_offset 0
		.amdhsa_user_sgpr_private_segment_size 0
		.amdhsa_wavefront_size32 1
		.amdhsa_uses_dynamic_stack 0
		.amdhsa_enable_private_segment 0
		.amdhsa_system_sgpr_workgroup_id_x 1
		.amdhsa_system_sgpr_workgroup_id_y 0
		.amdhsa_system_sgpr_workgroup_id_z 0
		.amdhsa_system_sgpr_workgroup_info 0
		.amdhsa_system_vgpr_workitem_id 0
		.amdhsa_next_free_vgpr 34
		.amdhsa_next_free_sgpr 20
		.amdhsa_named_barrier_count 0
		.amdhsa_reserve_vcc 1
		.amdhsa_float_round_mode_32 0
		.amdhsa_float_round_mode_16_64 0
		.amdhsa_float_denorm_mode_32 3
		.amdhsa_float_denorm_mode_16_64 3
		.amdhsa_fp16_overflow 0
		.amdhsa_memory_ordered 1
		.amdhsa_forward_progress 1
		.amdhsa_inst_pref_size 11
		.amdhsa_round_robin_scheduling 0
		.amdhsa_exception_fp_ieee_invalid_op 0
		.amdhsa_exception_fp_denorm_src 0
		.amdhsa_exception_fp_ieee_div_zero 0
		.amdhsa_exception_fp_ieee_overflow 0
		.amdhsa_exception_fp_ieee_underflow 0
		.amdhsa_exception_fp_ieee_inexact 0
		.amdhsa_exception_int_div_zero 0
	.end_amdhsa_kernel
	.section	.text._ZN2at6native12_GLOBAL__N_125multi_tensor_apply_kernelINS1_18TensorListMetadataILi2EEENS1_14UnaryOpFunctorIN3c104HalfELi2ELi1ELi1EEEJNS0_4SignIfEEEEEvT_T0_DpT1_,"axG",@progbits,_ZN2at6native12_GLOBAL__N_125multi_tensor_apply_kernelINS1_18TensorListMetadataILi2EEENS1_14UnaryOpFunctorIN3c104HalfELi2ELi1ELi1EEEJNS0_4SignIfEEEEEvT_T0_DpT1_,comdat
.Lfunc_end287:
	.size	_ZN2at6native12_GLOBAL__N_125multi_tensor_apply_kernelINS1_18TensorListMetadataILi2EEENS1_14UnaryOpFunctorIN3c104HalfELi2ELi1ELi1EEEJNS0_4SignIfEEEEEvT_T0_DpT1_, .Lfunc_end287-_ZN2at6native12_GLOBAL__N_125multi_tensor_apply_kernelINS1_18TensorListMetadataILi2EEENS1_14UnaryOpFunctorIN3c104HalfELi2ELi1ELi1EEEJNS0_4SignIfEEEEEvT_T0_DpT1_
                                        ; -- End function
	.set _ZN2at6native12_GLOBAL__N_125multi_tensor_apply_kernelINS1_18TensorListMetadataILi2EEENS1_14UnaryOpFunctorIN3c104HalfELi2ELi1ELi1EEEJNS0_4SignIfEEEEEvT_T0_DpT1_.num_vgpr, 34
	.set _ZN2at6native12_GLOBAL__N_125multi_tensor_apply_kernelINS1_18TensorListMetadataILi2EEENS1_14UnaryOpFunctorIN3c104HalfELi2ELi1ELi1EEEJNS0_4SignIfEEEEEvT_T0_DpT1_.num_agpr, 0
	.set _ZN2at6native12_GLOBAL__N_125multi_tensor_apply_kernelINS1_18TensorListMetadataILi2EEENS1_14UnaryOpFunctorIN3c104HalfELi2ELi1ELi1EEEJNS0_4SignIfEEEEEvT_T0_DpT1_.numbered_sgpr, 20
	.set _ZN2at6native12_GLOBAL__N_125multi_tensor_apply_kernelINS1_18TensorListMetadataILi2EEENS1_14UnaryOpFunctorIN3c104HalfELi2ELi1ELi1EEEJNS0_4SignIfEEEEEvT_T0_DpT1_.num_named_barrier, 0
	.set _ZN2at6native12_GLOBAL__N_125multi_tensor_apply_kernelINS1_18TensorListMetadataILi2EEENS1_14UnaryOpFunctorIN3c104HalfELi2ELi1ELi1EEEJNS0_4SignIfEEEEEvT_T0_DpT1_.private_seg_size, 0
	.set _ZN2at6native12_GLOBAL__N_125multi_tensor_apply_kernelINS1_18TensorListMetadataILi2EEENS1_14UnaryOpFunctorIN3c104HalfELi2ELi1ELi1EEEJNS0_4SignIfEEEEEvT_T0_DpT1_.uses_vcc, 1
	.set _ZN2at6native12_GLOBAL__N_125multi_tensor_apply_kernelINS1_18TensorListMetadataILi2EEENS1_14UnaryOpFunctorIN3c104HalfELi2ELi1ELi1EEEJNS0_4SignIfEEEEEvT_T0_DpT1_.uses_flat_scratch, 0
	.set _ZN2at6native12_GLOBAL__N_125multi_tensor_apply_kernelINS1_18TensorListMetadataILi2EEENS1_14UnaryOpFunctorIN3c104HalfELi2ELi1ELi1EEEJNS0_4SignIfEEEEEvT_T0_DpT1_.has_dyn_sized_stack, 0
	.set _ZN2at6native12_GLOBAL__N_125multi_tensor_apply_kernelINS1_18TensorListMetadataILi2EEENS1_14UnaryOpFunctorIN3c104HalfELi2ELi1ELi1EEEJNS0_4SignIfEEEEEvT_T0_DpT1_.has_recursion, 0
	.set _ZN2at6native12_GLOBAL__N_125multi_tensor_apply_kernelINS1_18TensorListMetadataILi2EEENS1_14UnaryOpFunctorIN3c104HalfELi2ELi1ELi1EEEJNS0_4SignIfEEEEEvT_T0_DpT1_.has_indirect_call, 0
	.section	.AMDGPU.csdata,"",@progbits
; Kernel info:
; codeLenInByte = 1376
; TotalNumSgprs: 22
; NumVgprs: 34
; ScratchSize: 0
; MemoryBound: 0
; FloatMode: 240
; IeeeMode: 1
; LDSByteSize: 0 bytes/workgroup (compile time only)
; SGPRBlocks: 0
; VGPRBlocks: 2
; NumSGPRsForWavesPerEU: 22
; NumVGPRsForWavesPerEU: 34
; NamedBarCnt: 0
; Occupancy: 16
; WaveLimiterHint : 0
; COMPUTE_PGM_RSRC2:SCRATCH_EN: 0
; COMPUTE_PGM_RSRC2:USER_SGPR: 2
; COMPUTE_PGM_RSRC2:TRAP_HANDLER: 0
; COMPUTE_PGM_RSRC2:TGID_X_EN: 1
; COMPUTE_PGM_RSRC2:TGID_Y_EN: 0
; COMPUTE_PGM_RSRC2:TGID_Z_EN: 0
; COMPUTE_PGM_RSRC2:TIDIG_COMP_CNT: 0
	.section	.text._ZN2at6native12_GLOBAL__N_125multi_tensor_apply_kernelINS1_18TensorListMetadataILi2EEENS1_14UnaryOpFunctorIN3c108BFloat16ELi2ELi1ELi1EEEJNS0_4SignIfEEEEEvT_T0_DpT1_,"axG",@progbits,_ZN2at6native12_GLOBAL__N_125multi_tensor_apply_kernelINS1_18TensorListMetadataILi2EEENS1_14UnaryOpFunctorIN3c108BFloat16ELi2ELi1ELi1EEEJNS0_4SignIfEEEEEvT_T0_DpT1_,comdat
	.globl	_ZN2at6native12_GLOBAL__N_125multi_tensor_apply_kernelINS1_18TensorListMetadataILi2EEENS1_14UnaryOpFunctorIN3c108BFloat16ELi2ELi1ELi1EEEJNS0_4SignIfEEEEEvT_T0_DpT1_ ; -- Begin function _ZN2at6native12_GLOBAL__N_125multi_tensor_apply_kernelINS1_18TensorListMetadataILi2EEENS1_14UnaryOpFunctorIN3c108BFloat16ELi2ELi1ELi1EEEJNS0_4SignIfEEEEEvT_T0_DpT1_
	.p2align	8
	.type	_ZN2at6native12_GLOBAL__N_125multi_tensor_apply_kernelINS1_18TensorListMetadataILi2EEENS1_14UnaryOpFunctorIN3c108BFloat16ELi2ELi1ELi1EEEJNS0_4SignIfEEEEEvT_T0_DpT1_,@function
_ZN2at6native12_GLOBAL__N_125multi_tensor_apply_kernelINS1_18TensorListMetadataILi2EEENS1_14UnaryOpFunctorIN3c108BFloat16ELi2ELi1ELi1EEEJNS0_4SignIfEEEEEvT_T0_DpT1_: ; @_ZN2at6native12_GLOBAL__N_125multi_tensor_apply_kernelINS1_18TensorListMetadataILi2EEENS1_14UnaryOpFunctorIN3c108BFloat16ELi2ELi1ELi1EEEJNS0_4SignIfEEEEEvT_T0_DpT1_
; %bb.0:
	s_bfe_u32 s2, ttmp6, 0x4000c
	s_and_b32 s3, ttmp6, 15
	s_add_co_i32 s2, s2, 1
	s_getreg_b32 s4, hwreg(HW_REG_IB_STS2, 6, 4)
	s_mul_i32 s2, ttmp9, s2
	s_delay_alu instid0(SALU_CYCLE_1)
	s_add_co_i32 s3, s3, s2
	s_cmp_eq_u32 s4, 0
	s_cselect_b32 s2, ttmp9, s3
	s_mov_b32 s3, 0
	s_load_u8 s11, s[0:1], s2 offset:0x600
	s_add_nc_u64 s[4:5], s[0:1], s[2:3]
	s_mul_u64 s[6:7], s[2:3], 3
	s_mov_b32 s15, s3
	s_add_nc_u64 s[4:5], s[4:5], s[6:7]
	s_load_b32 s10, s[4:5], 0x740
	s_wait_kmcnt 0x0
	s_clause 0x2
	s_load_b64 s[6:7], s[0:1], s11 offset:0x0 scale_offset
	s_load_b64 s[8:9], s[0:1], s11 offset:0x200 scale_offset
	;; [unrolled: 1-line block ×3, first 2 shown]
	s_wait_xcnt 0x0
	s_ashr_i32 s11, s10, 31
	s_delay_alu instid0(SALU_CYCLE_1)
	s_lshl_b64 s[4:5], s[10:11], 17
	s_wait_kmcnt 0x0
	s_and_b64 s[18:19], s[8:9], 7
	s_add_nc_u64 s[16:17], s[6:7], s[4:5]
	s_and_b32 s14, s12, 3
	s_and_b32 s2, s16, 7
	s_or_b64 s[14:15], s[18:19], s[14:15]
	s_lshl_b64 s[10:11], s[10:11], 16
	s_or_b64 s[2:3], s[14:15], s[2:3]
	s_sub_nc_u64 s[10:11], s[12:13], s[10:11]
	s_cmp_eq_u64 s[2:3], 0
	s_mov_b32 s2, -1
	s_cbranch_scc0 .LBB288_5
; %bb.1:
	v_min_i64 v[2:3], 0x10000, s[10:11]
	v_dual_mov_b32 v5, 0 :: v_dual_lshlrev_b32 v4, 2, v0
	s_mov_b32 s16, exec_lo
	s_delay_alu instid0(VALU_DEP_1)
	v_cmpx_lt_i64_e64 v[4:5], v[2:3]
	s_cbranch_execz .LBB288_4
; %bb.2:
	s_load_b32 s2, s[0:1], 0xc5c
	v_dual_mov_b32 v1, v5 :: v_dual_lshlrev_b32 v4, 3, v0
	s_mov_b32 s13, 0
	s_delay_alu instid0(SALU_CYCLE_1) | instskip(NEXT) | instid1(VALU_DEP_1)
	s_mov_b32 s15, s13
	v_add_nc_u64_e32 v[4:5], s[4:5], v[4:5]
	s_delay_alu instid0(VALU_DEP_2) | instskip(SKIP_3) | instid1(SALU_CYCLE_1)
	v_mov_b64_e32 v[6:7], v[0:1]
	s_mov_b32 s17, s13
	s_wait_kmcnt 0x0
	s_and_b32 s12, s2, 0xffff
	s_lshl_b32 s14, s12, 3
.LBB288_3:                              ; =>This Inner Loop Header: Depth=1
	s_delay_alu instid0(VALU_DEP_2) | instskip(NEXT) | instid1(VALU_DEP_2)
	v_add_nc_u64_e32 v[8:9], s[6:7], v[4:5]
	v_add_nc_u64_e32 v[6:7], s[12:13], v[6:7]
	global_load_b64 v[8:9], v[8:9], off
	s_wait_loadcnt 0x0
	v_lshlrev_b32_e32 v1, 16, v8
	v_and_b32_e32 v10, 0xffff0000, v8
	s_wait_xcnt 0x0
	v_alignbit_b32 v8, v9, v8, 16
	v_and_b32_e32 v9, 0xffff0000, v9
	v_cmp_lt_f32_e32 vcc_lo, 0, v1
	v_cmp_gt_f32_e64 s3, 0, v1
	s_delay_alu instid0(VALU_DEP_4) | instskip(NEXT) | instid1(VALU_DEP_4)
	v_and_b32_e32 v8, 0xffff0000, v8
	v_cmp_lt_f32_e64 s2, 0, v9
	v_cndmask_b32_e64 v11, 0, 1, vcc_lo
	v_cmp_lt_f32_e32 vcc_lo, 0, v10
	s_delay_alu instid0(VALU_DEP_2)
	v_subrev_co_ci_u32_e64 v1, null, 0, v11, s3
	v_cndmask_b32_e64 v12, 0, 1, vcc_lo
	v_cmp_gt_f32_e32 vcc_lo, 0, v10
	v_cndmask_b32_e64 v10, 0, 1, s2
	v_cmp_gt_f32_e64 s2, 0, v9
	v_cvt_f32_i32_e32 v1, v1
	v_subrev_co_ci_u32_e64 v9, null, 0, v12, vcc_lo
	v_cmp_lt_f32_e32 vcc_lo, 0, v8
	s_delay_alu instid0(VALU_DEP_4) | instskip(NEXT) | instid1(VALU_DEP_3)
	v_subrev_co_ci_u32_e64 v10, null, 0, v10, s2
	v_cvt_f32_i32_e32 v12, v9
	v_bfe_u32 v13, v1, 16, 1
	v_cndmask_b32_e64 v11, 0, 1, vcc_lo
	v_cmp_gt_f32_e32 vcc_lo, 0, v8
	v_cvt_f32_i32_e32 v10, v10
	v_bfe_u32 v16, v12, 16, 1
	v_add3_u32 v1, v1, v13, 0x7fff
	v_subrev_co_ci_u32_e64 v8, null, 0, v11, vcc_lo
	s_delay_alu instid0(VALU_DEP_4) | instskip(NEXT) | instid1(VALU_DEP_4)
	v_bfe_u32 v14, v10, 16, 1
	v_add3_u32 v12, v12, v16, 0x7fff
	s_delay_alu instid0(VALU_DEP_3) | instskip(SKIP_1) | instid1(VALU_DEP_4)
	v_cvt_f32_i32_e32 v11, v8
	v_lshlrev_b64_e32 v[8:9], 2, v[6:7]
	v_add3_u32 v10, v10, v14, 0x7fff
	s_delay_alu instid0(VALU_DEP_3) | instskip(NEXT) | instid1(VALU_DEP_2)
	v_bfe_u32 v15, v11, 16, 1
	v_and_b32_e32 v13, 0xffff0000, v10
	s_delay_alu instid0(VALU_DEP_4) | instskip(SKIP_1) | instid1(VALU_DEP_4)
	v_cmp_ge_i64_e32 vcc_lo, v[8:9], v[2:3]
	v_add_nc_u64_e32 v[8:9], s[8:9], v[4:5]
	v_add3_u32 v11, v11, v15, 0x7fff
	v_add_nc_u64_e32 v[4:5], s[14:15], v[4:5]
	s_delay_alu instid0(VALU_DEP_2) | instskip(SKIP_1) | instid1(VALU_DEP_1)
	v_dual_lshrrev_b32 v11, 16, v11 :: v_dual_lshrrev_b32 v1, 16, v1
	s_or_b32 s17, vcc_lo, s17
	v_or_b32_e32 v11, v13, v11
	s_delay_alu instid0(VALU_DEP_2)
	v_and_or_b32 v10, 0xffff0000, v12, v1
	global_store_b64 v[8:9], v[10:11], off
	s_wait_xcnt 0x0
	s_and_not1_b32 exec_lo, exec_lo, s17
	s_cbranch_execnz .LBB288_3
.LBB288_4:
	s_or_b32 exec_lo, exec_lo, s16
	s_mov_b32 s2, 0
.LBB288_5:
	s_delay_alu instid0(SALU_CYCLE_1)
	s_and_not1_b32 vcc_lo, exec_lo, s2
	s_cbranch_vccnz .LBB288_25
; %bb.6:
	v_cmp_lt_i64_e64 s2, s[10:11], 1
	s_and_b32 vcc_lo, exec_lo, s2
	s_cbranch_vccnz .LBB288_25
; %bb.7:
	s_load_b32 s0, s[0:1], 0xc5c
	v_min_i64 v[2:3], 0x10000, s[10:11]
	v_min_u64 v[4:5], 0x10000, s[10:11]
	v_dual_mov_b32 v1, 0 :: v_dual_lshlrev_b32 v10, 1, v0
	s_wait_xcnt 0x0
	s_mov_b32 s1, 0
	s_delay_alu instid0(SALU_CYCLE_1) | instskip(NEXT) | instid1(VALU_DEP_1)
	s_mov_b32 s11, s1
	v_dual_mov_b32 v11, v1 :: v_dual_mov_b32 v27, v1
	s_mov_b32 s3, s1
	s_mov_b32 s13, s1
	s_delay_alu instid0(VALU_DEP_1) | instskip(SKIP_2) | instid1(SALU_CYCLE_1)
	v_add_nc_u64_e32 v[6:7], s[6:7], v[10:11]
	s_wait_kmcnt 0x0
	s_and_b32 s0, s0, 0xffff
	v_add_nc_u64_e32 v[8:9], s[0:1], v[0:1]
	v_mad_nc_u64_u32 v[22:23], s0, 6, v[10:11]
	s_lshl_b32 s10, s0, 2
	s_mul_i32 s12, s0, 3
	v_add_nc_u64_e32 v[18:19], s[10:11], v[10:11]
	s_lshl_b32 s2, s0, 1
	v_add_nc_u64_e32 v[10:11], s[8:9], v[10:11]
	v_lshlrev_b32_e32 v26, 1, v8
	v_add_nc_u64_e32 v[12:13], s[12:13], v[0:1]
	v_add_nc_u64_e32 v[14:15], s[2:3], v[0:1]
	;; [unrolled: 1-line block ×8, first 2 shown]
	s_lshl_b32 s6, s0, 3
	s_mov_b32 s7, s1
	s_mov_b64 s[8:9], 0
	s_branch .LBB288_9
.LBB288_8:                              ;   in Loop: Header=BB288_9 Depth=1
	s_wait_xcnt 0x0
	s_or_b32 exec_lo, exec_lo, s0
	s_add_nc_u64 s[8:9], s[8:9], s[10:11]
	v_add_nc_u64_e32 v[6:7], s[6:7], v[6:7]
	v_cmp_ge_i64_e32 vcc_lo, s[8:9], v[2:3]
	v_add_nc_u64_e32 v[10:11], s[6:7], v[10:11]
	v_add_nc_u64_e32 v[20:21], s[6:7], v[20:21]
	;; [unrolled: 1-line block ×7, first 2 shown]
	s_cbranch_vccnz .LBB288_25
.LBB288_9:                              ; =>This Inner Loop Header: Depth=1
	v_add_nc_u64_e32 v[28:29], s[8:9], v[0:1]
	v_mov_b32_e32 v31, 0
	s_delay_alu instid0(VALU_DEP_2)
	v_cmp_lt_u64_e64 s2, v[28:29], v[4:5]
	s_and_saveexec_b32 s0, s2
	s_cbranch_execz .LBB288_11
; %bb.10:                               ;   in Loop: Header=BB288_9 Depth=1
	v_add_nc_u64_e32 v[28:29], s[4:5], v[6:7]
	global_load_u16 v28, v[28:29], off
	s_wait_loadcnt 0x0
	v_lshlrev_b32_e32 v31, 16, v28
.LBB288_11:                             ;   in Loop: Header=BB288_9 Depth=1
	s_wait_xcnt 0x0
	s_or_b32 exec_lo, exec_lo, s0
	v_add_nc_u64_e32 v[28:29], s[8:9], v[8:9]
	v_mov_b32_e32 v30, 0
	s_delay_alu instid0(VALU_DEP_2)
	v_cmp_lt_u64_e64 s1, v[28:29], v[4:5]
	v_mov_b32_e32 v28, 0
	s_and_saveexec_b32 s0, s1
	s_cbranch_execz .LBB288_13
; %bb.12:                               ;   in Loop: Header=BB288_9 Depth=1
	v_add_nc_u64_e32 v[32:33], s[4:5], v[24:25]
	global_load_u16 v29, v[32:33], off
	s_wait_loadcnt 0x0
	v_lshlrev_b32_e32 v30, 16, v29
.LBB288_13:                             ;   in Loop: Header=BB288_9 Depth=1
	s_wait_xcnt 0x0
	s_or_b32 exec_lo, exec_lo, s0
	v_add_nc_u64_e32 v[32:33], s[8:9], v[14:15]
	s_delay_alu instid0(VALU_DEP_1)
	v_cmp_lt_u64_e64 s0, v[32:33], v[4:5]
	s_and_saveexec_b32 s3, s0
	s_cbranch_execz .LBB288_15
; %bb.14:                               ;   in Loop: Header=BB288_9 Depth=1
	v_add_nc_u64_e32 v[28:29], s[4:5], v[16:17]
	global_load_u16 v28, v[28:29], off
	s_wait_loadcnt 0x0
	v_lshlrev_b32_e32 v28, 16, v28
.LBB288_15:                             ;   in Loop: Header=BB288_9 Depth=1
	s_or_b32 exec_lo, exec_lo, s3
	v_add_nc_u64_e32 v[32:33], s[8:9], v[12:13]
	v_mov_b32_e32 v29, 0
	s_delay_alu instid0(VALU_DEP_2)
	v_cmp_lt_u64_e32 vcc_lo, v[32:33], v[4:5]
	s_and_saveexec_b32 s3, vcc_lo
	s_cbranch_execnz .LBB288_20
; %bb.16:                               ;   in Loop: Header=BB288_9 Depth=1
	s_or_b32 exec_lo, exec_lo, s3
	s_and_saveexec_b32 s3, s2
	s_cbranch_execnz .LBB288_21
.LBB288_17:                             ;   in Loop: Header=BB288_9 Depth=1
	s_or_b32 exec_lo, exec_lo, s3
	s_and_saveexec_b32 s2, s1
	s_cbranch_execnz .LBB288_22
.LBB288_18:                             ;   in Loop: Header=BB288_9 Depth=1
	s_or_b32 exec_lo, exec_lo, s2
	s_and_saveexec_b32 s1, s0
	s_cbranch_execnz .LBB288_23
.LBB288_19:                             ;   in Loop: Header=BB288_9 Depth=1
	s_or_b32 exec_lo, exec_lo, s1
	s_and_saveexec_b32 s0, vcc_lo
	s_cbranch_execz .LBB288_8
	s_branch .LBB288_24
.LBB288_20:                             ;   in Loop: Header=BB288_9 Depth=1
	v_add_nc_u64_e32 v[32:33], s[4:5], v[20:21]
	global_load_u16 v29, v[32:33], off
	s_wait_loadcnt 0x0
	v_lshlrev_b32_e32 v29, 16, v29
	s_wait_xcnt 0x0
	s_or_b32 exec_lo, exec_lo, s3
	s_and_saveexec_b32 s3, s2
	s_cbranch_execz .LBB288_17
.LBB288_21:                             ;   in Loop: Header=BB288_9 Depth=1
	v_cmp_lt_f32_e64 s2, 0, v31
	s_delay_alu instid0(VALU_DEP_1) | instskip(SKIP_1) | instid1(VALU_DEP_1)
	v_cndmask_b32_e64 v32, 0, 1, s2
	v_cmp_gt_f32_e64 s2, 0, v31
	v_subrev_co_ci_u32_e64 v31, null, 0, v32, s2
	v_add_nc_u64_e32 v[32:33], s[4:5], v[10:11]
	s_delay_alu instid0(VALU_DEP_2) | instskip(NEXT) | instid1(VALU_DEP_1)
	v_cvt_f32_i32_e32 v31, v31
	v_bfe_u32 v34, v31, 16, 1
	s_delay_alu instid0(VALU_DEP_1)
	v_add3_u32 v31, v31, v34, 0x7fff
	global_store_d16_hi_b16 v[32:33], v31, off
	s_wait_xcnt 0x0
	s_or_b32 exec_lo, exec_lo, s3
	s_and_saveexec_b32 s2, s1
	s_cbranch_execz .LBB288_18
.LBB288_22:                             ;   in Loop: Header=BB288_9 Depth=1
	v_cmp_lt_f32_e64 s1, 0, v30
	s_delay_alu instid0(VALU_DEP_1) | instskip(SKIP_1) | instid1(VALU_DEP_1)
	v_cndmask_b32_e64 v31, 0, 1, s1
	v_cmp_gt_f32_e64 s1, 0, v30
	v_subrev_co_ci_u32_e64 v30, null, 0, v31, s1
	s_delay_alu instid0(VALU_DEP_1) | instskip(SKIP_1) | instid1(VALU_DEP_2)
	v_cvt_f32_i32_e32 v32, v30
	v_add_nc_u64_e32 v[30:31], s[4:5], v[26:27]
	v_bfe_u32 v33, v32, 16, 1
	s_delay_alu instid0(VALU_DEP_1)
	v_add3_u32 v32, v32, v33, 0x7fff
	global_store_d16_hi_b16 v[30:31], v32, off
	s_wait_xcnt 0x0
	s_or_b32 exec_lo, exec_lo, s2
	s_and_saveexec_b32 s1, s0
	s_cbranch_execz .LBB288_19
.LBB288_23:                             ;   in Loop: Header=BB288_9 Depth=1
	v_cmp_lt_f32_e64 s0, 0, v28
	s_delay_alu instid0(VALU_DEP_1) | instskip(SKIP_1) | instid1(VALU_DEP_1)
	v_cndmask_b32_e64 v30, 0, 1, s0
	v_cmp_gt_f32_e64 s0, 0, v28
	v_subrev_co_ci_u32_e64 v28, null, 0, v30, s0
	v_add_nc_u64_e32 v[30:31], s[4:5], v[18:19]
	s_delay_alu instid0(VALU_DEP_2) | instskip(NEXT) | instid1(VALU_DEP_1)
	v_cvt_f32_i32_e32 v28, v28
	v_bfe_u32 v32, v28, 16, 1
	s_delay_alu instid0(VALU_DEP_1)
	v_add3_u32 v28, v28, v32, 0x7fff
	global_store_d16_hi_b16 v[30:31], v28, off
	s_wait_xcnt 0x0
	s_or_b32 exec_lo, exec_lo, s1
	s_and_saveexec_b32 s0, vcc_lo
	s_cbranch_execz .LBB288_8
.LBB288_24:                             ;   in Loop: Header=BB288_9 Depth=1
	v_cmp_lt_f32_e32 vcc_lo, 0, v29
	v_cndmask_b32_e64 v28, 0, 1, vcc_lo
	v_cmp_gt_f32_e32 vcc_lo, 0, v29
	s_delay_alu instid0(VALU_DEP_2) | instskip(NEXT) | instid1(VALU_DEP_1)
	v_subrev_co_ci_u32_e64 v28, null, 0, v28, vcc_lo
	v_cvt_f32_i32_e32 v30, v28
	v_add_nc_u64_e32 v[28:29], s[4:5], v[22:23]
	s_delay_alu instid0(VALU_DEP_2) | instskip(NEXT) | instid1(VALU_DEP_1)
	v_bfe_u32 v31, v30, 16, 1
	v_add3_u32 v30, v30, v31, 0x7fff
	global_store_d16_hi_b16 v[28:29], v30, off
	s_branch .LBB288_8
.LBB288_25:
	s_endpgm
	.section	.rodata,"a",@progbits
	.p2align	6, 0x0
	.amdhsa_kernel _ZN2at6native12_GLOBAL__N_125multi_tensor_apply_kernelINS1_18TensorListMetadataILi2EEENS1_14UnaryOpFunctorIN3c108BFloat16ELi2ELi1ELi1EEEJNS0_4SignIfEEEEEvT_T0_DpT1_
		.amdhsa_group_segment_fixed_size 0
		.amdhsa_private_segment_fixed_size 0
		.amdhsa_kernarg_size 3408
		.amdhsa_user_sgpr_count 2
		.amdhsa_user_sgpr_dispatch_ptr 0
		.amdhsa_user_sgpr_queue_ptr 0
		.amdhsa_user_sgpr_kernarg_segment_ptr 1
		.amdhsa_user_sgpr_dispatch_id 0
		.amdhsa_user_sgpr_kernarg_preload_length 0
		.amdhsa_user_sgpr_kernarg_preload_offset 0
		.amdhsa_user_sgpr_private_segment_size 0
		.amdhsa_wavefront_size32 1
		.amdhsa_uses_dynamic_stack 0
		.amdhsa_enable_private_segment 0
		.amdhsa_system_sgpr_workgroup_id_x 1
		.amdhsa_system_sgpr_workgroup_id_y 0
		.amdhsa_system_sgpr_workgroup_id_z 0
		.amdhsa_system_sgpr_workgroup_info 0
		.amdhsa_system_vgpr_workitem_id 0
		.amdhsa_next_free_vgpr 35
		.amdhsa_next_free_sgpr 20
		.amdhsa_named_barrier_count 0
		.amdhsa_reserve_vcc 1
		.amdhsa_float_round_mode_32 0
		.amdhsa_float_round_mode_16_64 0
		.amdhsa_float_denorm_mode_32 3
		.amdhsa_float_denorm_mode_16_64 3
		.amdhsa_fp16_overflow 0
		.amdhsa_memory_ordered 1
		.amdhsa_forward_progress 1
		.amdhsa_inst_pref_size 13
		.amdhsa_round_robin_scheduling 0
		.amdhsa_exception_fp_ieee_invalid_op 0
		.amdhsa_exception_fp_denorm_src 0
		.amdhsa_exception_fp_ieee_div_zero 0
		.amdhsa_exception_fp_ieee_overflow 0
		.amdhsa_exception_fp_ieee_underflow 0
		.amdhsa_exception_fp_ieee_inexact 0
		.amdhsa_exception_int_div_zero 0
	.end_amdhsa_kernel
	.section	.text._ZN2at6native12_GLOBAL__N_125multi_tensor_apply_kernelINS1_18TensorListMetadataILi2EEENS1_14UnaryOpFunctorIN3c108BFloat16ELi2ELi1ELi1EEEJNS0_4SignIfEEEEEvT_T0_DpT1_,"axG",@progbits,_ZN2at6native12_GLOBAL__N_125multi_tensor_apply_kernelINS1_18TensorListMetadataILi2EEENS1_14UnaryOpFunctorIN3c108BFloat16ELi2ELi1ELi1EEEJNS0_4SignIfEEEEEvT_T0_DpT1_,comdat
.Lfunc_end288:
	.size	_ZN2at6native12_GLOBAL__N_125multi_tensor_apply_kernelINS1_18TensorListMetadataILi2EEENS1_14UnaryOpFunctorIN3c108BFloat16ELi2ELi1ELi1EEEJNS0_4SignIfEEEEEvT_T0_DpT1_, .Lfunc_end288-_ZN2at6native12_GLOBAL__N_125multi_tensor_apply_kernelINS1_18TensorListMetadataILi2EEENS1_14UnaryOpFunctorIN3c108BFloat16ELi2ELi1ELi1EEEJNS0_4SignIfEEEEEvT_T0_DpT1_
                                        ; -- End function
	.set _ZN2at6native12_GLOBAL__N_125multi_tensor_apply_kernelINS1_18TensorListMetadataILi2EEENS1_14UnaryOpFunctorIN3c108BFloat16ELi2ELi1ELi1EEEJNS0_4SignIfEEEEEvT_T0_DpT1_.num_vgpr, 35
	.set _ZN2at6native12_GLOBAL__N_125multi_tensor_apply_kernelINS1_18TensorListMetadataILi2EEENS1_14UnaryOpFunctorIN3c108BFloat16ELi2ELi1ELi1EEEJNS0_4SignIfEEEEEvT_T0_DpT1_.num_agpr, 0
	.set _ZN2at6native12_GLOBAL__N_125multi_tensor_apply_kernelINS1_18TensorListMetadataILi2EEENS1_14UnaryOpFunctorIN3c108BFloat16ELi2ELi1ELi1EEEJNS0_4SignIfEEEEEvT_T0_DpT1_.numbered_sgpr, 20
	.set _ZN2at6native12_GLOBAL__N_125multi_tensor_apply_kernelINS1_18TensorListMetadataILi2EEENS1_14UnaryOpFunctorIN3c108BFloat16ELi2ELi1ELi1EEEJNS0_4SignIfEEEEEvT_T0_DpT1_.num_named_barrier, 0
	.set _ZN2at6native12_GLOBAL__N_125multi_tensor_apply_kernelINS1_18TensorListMetadataILi2EEENS1_14UnaryOpFunctorIN3c108BFloat16ELi2ELi1ELi1EEEJNS0_4SignIfEEEEEvT_T0_DpT1_.private_seg_size, 0
	.set _ZN2at6native12_GLOBAL__N_125multi_tensor_apply_kernelINS1_18TensorListMetadataILi2EEENS1_14UnaryOpFunctorIN3c108BFloat16ELi2ELi1ELi1EEEJNS0_4SignIfEEEEEvT_T0_DpT1_.uses_vcc, 1
	.set _ZN2at6native12_GLOBAL__N_125multi_tensor_apply_kernelINS1_18TensorListMetadataILi2EEENS1_14UnaryOpFunctorIN3c108BFloat16ELi2ELi1ELi1EEEJNS0_4SignIfEEEEEvT_T0_DpT1_.uses_flat_scratch, 0
	.set _ZN2at6native12_GLOBAL__N_125multi_tensor_apply_kernelINS1_18TensorListMetadataILi2EEENS1_14UnaryOpFunctorIN3c108BFloat16ELi2ELi1ELi1EEEJNS0_4SignIfEEEEEvT_T0_DpT1_.has_dyn_sized_stack, 0
	.set _ZN2at6native12_GLOBAL__N_125multi_tensor_apply_kernelINS1_18TensorListMetadataILi2EEENS1_14UnaryOpFunctorIN3c108BFloat16ELi2ELi1ELi1EEEJNS0_4SignIfEEEEEvT_T0_DpT1_.has_recursion, 0
	.set _ZN2at6native12_GLOBAL__N_125multi_tensor_apply_kernelINS1_18TensorListMetadataILi2EEENS1_14UnaryOpFunctorIN3c108BFloat16ELi2ELi1ELi1EEEJNS0_4SignIfEEEEEvT_T0_DpT1_.has_indirect_call, 0
	.section	.AMDGPU.csdata,"",@progbits
; Kernel info:
; codeLenInByte = 1600
; TotalNumSgprs: 22
; NumVgprs: 35
; ScratchSize: 0
; MemoryBound: 0
; FloatMode: 240
; IeeeMode: 1
; LDSByteSize: 0 bytes/workgroup (compile time only)
; SGPRBlocks: 0
; VGPRBlocks: 2
; NumSGPRsForWavesPerEU: 22
; NumVGPRsForWavesPerEU: 35
; NamedBarCnt: 0
; Occupancy: 16
; WaveLimiterHint : 0
; COMPUTE_PGM_RSRC2:SCRATCH_EN: 0
; COMPUTE_PGM_RSRC2:USER_SGPR: 2
; COMPUTE_PGM_RSRC2:TRAP_HANDLER: 0
; COMPUTE_PGM_RSRC2:TGID_X_EN: 1
; COMPUTE_PGM_RSRC2:TGID_Y_EN: 0
; COMPUTE_PGM_RSRC2:TGID_Z_EN: 0
; COMPUTE_PGM_RSRC2:TIDIG_COMP_CNT: 0
	.section	.text._ZN2at6native12_GLOBAL__N_125multi_tensor_apply_kernelINS1_18TensorListMetadataILi1EEENS1_14UnaryOpFunctorIdLi1ELi1ELi0EEEJNS0_4SignIdEEEEEvT_T0_DpT1_,"axG",@progbits,_ZN2at6native12_GLOBAL__N_125multi_tensor_apply_kernelINS1_18TensorListMetadataILi1EEENS1_14UnaryOpFunctorIdLi1ELi1ELi0EEEJNS0_4SignIdEEEEEvT_T0_DpT1_,comdat
	.globl	_ZN2at6native12_GLOBAL__N_125multi_tensor_apply_kernelINS1_18TensorListMetadataILi1EEENS1_14UnaryOpFunctorIdLi1ELi1ELi0EEEJNS0_4SignIdEEEEEvT_T0_DpT1_ ; -- Begin function _ZN2at6native12_GLOBAL__N_125multi_tensor_apply_kernelINS1_18TensorListMetadataILi1EEENS1_14UnaryOpFunctorIdLi1ELi1ELi0EEEJNS0_4SignIdEEEEEvT_T0_DpT1_
	.p2align	8
	.type	_ZN2at6native12_GLOBAL__N_125multi_tensor_apply_kernelINS1_18TensorListMetadataILi1EEENS1_14UnaryOpFunctorIdLi1ELi1ELi0EEEJNS0_4SignIdEEEEEvT_T0_DpT1_,@function
_ZN2at6native12_GLOBAL__N_125multi_tensor_apply_kernelINS1_18TensorListMetadataILi1EEENS1_14UnaryOpFunctorIdLi1ELi1ELi0EEEJNS0_4SignIdEEEEEvT_T0_DpT1_: ; @_ZN2at6native12_GLOBAL__N_125multi_tensor_apply_kernelINS1_18TensorListMetadataILi1EEENS1_14UnaryOpFunctorIdLi1ELi1ELi0EEEJNS0_4SignIdEEEEEvT_T0_DpT1_
; %bb.0:
	s_bfe_u32 s2, ttmp6, 0x4000c
	s_and_b32 s3, ttmp6, 15
	s_add_co_i32 s2, s2, 1
	s_getreg_b32 s4, hwreg(HW_REG_IB_STS2, 6, 4)
	s_mul_i32 s2, ttmp9, s2
	s_delay_alu instid0(SALU_CYCLE_1)
	s_add_co_i32 s3, s3, s2
	s_cmp_eq_u32 s4, 0
	s_cselect_b32 s2, ttmp9, s3
	s_mov_b32 s3, 0
	s_load_u8 s8, s[0:1], s2 offset:0x6e0
	s_add_nc_u64 s[4:5], s[0:1], s[2:3]
	s_mul_u64 s[6:7], s[2:3], 3
	s_delay_alu instid0(SALU_CYCLE_1)
	s_add_nc_u64 s[4:5], s[4:5], s[6:7]
	s_load_b32 s10, s[4:5], 0x820
	s_wait_kmcnt 0x0
	s_clause 0x1
	s_load_b64 s[6:7], s[0:1], s8 offset:0x0 scale_offset
	s_load_b64 s[12:13], s[0:1], s8 offset:0x370 scale_offset
	s_ashr_i32 s11, s10, 31
	s_wait_kmcnt 0x0
	s_and_b64 s[4:5], s[6:7], 31
	s_and_b32 s2, s12, 3
	s_lshl_b64 s[8:9], s[10:11], 19
	s_or_b64 s[2:3], s[4:5], s[2:3]
	s_lshl_b64 s[4:5], s[10:11], 16
	s_cmp_eq_u64 s[2:3], 0
	s_sub_nc_u64 s[10:11], s[12:13], s[4:5]
	s_cbranch_scc1 .LBB289_21
; %bb.1:
	v_cmp_lt_i64_e64 s2, s[10:11], 1
	s_and_b32 vcc_lo, exec_lo, s2
	s_cbranch_vccnz .LBB289_20
; %bb.2:
	s_load_b32 s4, s[0:1], 0xd3c
	v_min_i64 v[2:3], 0x10000, s[10:11]
	v_min_u64 v[4:5], 0x10000, s[10:11]
	v_dual_mov_b32 v1, 0 :: v_dual_lshlrev_b32 v8, 3, v0
	s_mov_b32 s19, 0
	s_add_nc_u64 s[2:3], s[6:7], s[8:9]
	s_mov_b32 s5, s19
	s_delay_alu instid0(VALU_DEP_1)
	v_mov_b32_e32 v15, v1
	s_mov_b32 s17, s19
	s_mov_b32 s13, s19
	;; [unrolled: 1-line block ×3, first 2 shown]
	s_mov_b64 s[20:21], 0
	s_wait_kmcnt 0x0
	s_and_b32 s18, s4, 0xffff
	s_delay_alu instid0(SALU_CYCLE_1)
	v_add_nc_u64_e32 v[6:7], s[18:19], v[0:1]
	v_mov_b32_e32 v9, v1
	s_lshl_b32 s4, s18, 1
	s_mul_i32 s16, s18, 3
	v_add_nc_u64_e32 v[12:13], s[4:5], v[0:1]
	v_add_nc_u64_e32 v[10:11], s[16:17], v[0:1]
	s_lshl_b32 s12, s18, 2
	v_lshlrev_b32_e32 v14, 3, v6
	v_add_nc_u64_e32 v[8:9], s[2:3], v[8:9]
	s_lshl_b32 s14, s18, 5
	s_mul_u64 s[16:17], s[18:19], 24
	s_lshl_b32 s18, s18, 4
	v_add_nc_u64_e32 v[14:15], s[2:3], v[14:15]
	s_branch .LBB289_4
.LBB289_3:                              ;   in Loop: Header=BB289_4 Depth=1
	s_wait_xcnt 0x0
	s_or_b32 exec_lo, exec_lo, s2
	s_add_nc_u64 s[20:21], s[20:21], s[12:13]
	v_add_nc_u64_e32 v[8:9], s[14:15], v[8:9]
	v_cmp_lt_i64_e32 vcc_lo, s[20:21], v[2:3]
	v_add_nc_u64_e32 v[14:15], s[14:15], v[14:15]
	s_cbranch_vccz .LBB289_20
.LBB289_4:                              ; =>This Inner Loop Header: Depth=1
	s_wait_loadcnt 0x0
	v_add_nc_u64_e32 v[18:19], s[20:21], v[0:1]
	v_mov_b64_e32 v[16:17], 0
	v_mov_b64_e32 v[24:25], 0
	s_delay_alu instid0(VALU_DEP_3)
	v_cmp_lt_u64_e64 s2, v[18:19], v[4:5]
	s_and_saveexec_b32 s3, s2
	s_cbranch_execz .LBB289_6
; %bb.5:                                ;   in Loop: Header=BB289_4 Depth=1
	global_load_b64 v[24:25], v[8:9], off
.LBB289_6:                              ;   in Loop: Header=BB289_4 Depth=1
	s_wait_xcnt 0x0
	s_or_b32 exec_lo, exec_lo, s3
	v_add_nc_u64_e32 v[18:19], s[20:21], v[6:7]
	s_delay_alu instid0(VALU_DEP_1)
	v_cmp_lt_u64_e32 vcc_lo, v[18:19], v[4:5]
	s_and_saveexec_b32 s3, vcc_lo
	s_cbranch_execz .LBB289_8
; %bb.7:                                ;   in Loop: Header=BB289_4 Depth=1
	global_load_b64 v[16:17], v[14:15], off
.LBB289_8:                              ;   in Loop: Header=BB289_4 Depth=1
	s_wait_xcnt 0x0
	s_or_b32 exec_lo, exec_lo, s3
	v_add_nc_u64_e32 v[22:23], s[20:21], v[12:13]
	v_mov_b64_e32 v[18:19], 0
	v_add_nc_u64_e32 v[20:21], s[18:19], v[8:9]
	v_mov_b64_e32 v[26:27], 0
	s_delay_alu instid0(VALU_DEP_4)
	v_cmp_lt_u64_e64 s3, v[22:23], v[4:5]
	s_and_saveexec_b32 s4, s3
	s_cbranch_execz .LBB289_10
; %bb.9:                                ;   in Loop: Header=BB289_4 Depth=1
	global_load_b64 v[26:27], v[20:21], off
.LBB289_10:                             ;   in Loop: Header=BB289_4 Depth=1
	s_wait_xcnt 0x0
	s_or_b32 exec_lo, exec_lo, s4
	v_add_nc_u64_e32 v[22:23], s[20:21], v[10:11]
	s_delay_alu instid0(VALU_DEP_1)
	v_cmp_lt_u64_e64 s4, v[22:23], v[4:5]
	v_add_nc_u64_e32 v[22:23], s[16:17], v[8:9]
	s_and_saveexec_b32 s5, s4
	s_cbranch_execnz .LBB289_15
; %bb.11:                               ;   in Loop: Header=BB289_4 Depth=1
	s_or_b32 exec_lo, exec_lo, s5
	s_and_saveexec_b32 s5, s2
	s_cbranch_execnz .LBB289_16
.LBB289_12:                             ;   in Loop: Header=BB289_4 Depth=1
	s_or_b32 exec_lo, exec_lo, s5
	s_and_saveexec_b32 s2, vcc_lo
	s_cbranch_execnz .LBB289_17
.LBB289_13:                             ;   in Loop: Header=BB289_4 Depth=1
	s_or_b32 exec_lo, exec_lo, s2
	s_and_saveexec_b32 s2, s3
	s_cbranch_execnz .LBB289_18
.LBB289_14:                             ;   in Loop: Header=BB289_4 Depth=1
	s_or_b32 exec_lo, exec_lo, s2
	s_and_saveexec_b32 s2, s4
	s_cbranch_execz .LBB289_3
	s_branch .LBB289_19
.LBB289_15:                             ;   in Loop: Header=BB289_4 Depth=1
	global_load_b64 v[18:19], v[22:23], off
	s_wait_xcnt 0x0
	s_or_b32 exec_lo, exec_lo, s5
	s_and_saveexec_b32 s5, s2
	s_cbranch_execz .LBB289_12
.LBB289_16:                             ;   in Loop: Header=BB289_4 Depth=1
	s_wait_loadcnt 0x0
	v_cmp_lt_f64_e64 s2, 0, v[24:25]
	s_delay_alu instid0(VALU_DEP_1) | instskip(SKIP_1) | instid1(VALU_DEP_1)
	v_cndmask_b32_e64 v28, 0, 1, s2
	v_cmp_gt_f64_e64 s2, 0, v[24:25]
	v_subrev_co_ci_u32_e64 v24, null, 0, v28, s2
	s_delay_alu instid0(VALU_DEP_1)
	v_cvt_f64_i32_e32 v[24:25], v24
	global_store_b64 v[8:9], v[24:25], off
	s_wait_xcnt 0x0
	s_or_b32 exec_lo, exec_lo, s5
	s_and_saveexec_b32 s2, vcc_lo
	s_cbranch_execz .LBB289_13
.LBB289_17:                             ;   in Loop: Header=BB289_4 Depth=1
	s_wait_loadcnt 0x0
	v_cmp_lt_f64_e32 vcc_lo, 0, v[16:17]
	v_cndmask_b32_e64 v24, 0, 1, vcc_lo
	v_cmp_gt_f64_e32 vcc_lo, 0, v[16:17]
	s_delay_alu instid0(VALU_DEP_2) | instskip(NEXT) | instid1(VALU_DEP_1)
	v_subrev_co_ci_u32_e64 v16, null, 0, v24, vcc_lo
	v_cvt_f64_i32_e32 v[16:17], v16
	global_store_b64 v[14:15], v[16:17], off
	s_wait_xcnt 0x0
	s_or_b32 exec_lo, exec_lo, s2
	s_and_saveexec_b32 s2, s3
	s_cbranch_execz .LBB289_14
.LBB289_18:                             ;   in Loop: Header=BB289_4 Depth=1
	s_wait_loadcnt 0x0
	v_cmp_lt_f64_e32 vcc_lo, 0, v[26:27]
	v_cndmask_b32_e64 v16, 0, 1, vcc_lo
	v_cmp_gt_f64_e32 vcc_lo, 0, v[26:27]
	s_delay_alu instid0(VALU_DEP_2) | instskip(NEXT) | instid1(VALU_DEP_1)
	v_subrev_co_ci_u32_e64 v16, null, 0, v16, vcc_lo
	v_cvt_f64_i32_e32 v[16:17], v16
	global_store_b64 v[20:21], v[16:17], off
	s_wait_xcnt 0x0
	s_or_b32 exec_lo, exec_lo, s2
	s_and_saveexec_b32 s2, s4
	s_cbranch_execz .LBB289_3
.LBB289_19:                             ;   in Loop: Header=BB289_4 Depth=1
	s_wait_loadcnt 0x0
	v_cmp_lt_f64_e32 vcc_lo, 0, v[18:19]
	v_cndmask_b32_e64 v16, 0, 1, vcc_lo
	v_cmp_gt_f64_e32 vcc_lo, 0, v[18:19]
	s_delay_alu instid0(VALU_DEP_2) | instskip(NEXT) | instid1(VALU_DEP_1)
	v_subrev_co_ci_u32_e64 v16, null, 0, v16, vcc_lo
	v_cvt_f64_i32_e32 v[16:17], v16
	global_store_b64 v[22:23], v[16:17], off
	s_branch .LBB289_3
.LBB289_20:
	s_cbranch_execz .LBB289_22
	s_branch .LBB289_25
.LBB289_21:
.LBB289_22:
	v_min_i64 v[2:3], 0x10000, s[10:11]
	v_dual_mov_b32 v5, 0 :: v_dual_lshlrev_b32 v4, 2, v0
	s_mov_b32 s2, exec_lo
	s_delay_alu instid0(VALU_DEP_1)
	v_cmpx_lt_i64_e64 v[4:5], v[2:3]
	s_cbranch_execz .LBB289_25
; %bb.23:
	s_load_b32 s2, s[0:1], 0xd3c
	v_dual_mov_b32 v1, v5 :: v_dual_lshlrev_b32 v4, 5, v0
	s_wait_xcnt 0x0
	s_add_nc_u64 s[0:1], s[6:7], s[8:9]
	s_delay_alu instid0(VALU_DEP_1) | instid1(SALU_CYCLE_1)
	v_add_nc_u64_e32 v[6:7], s[0:1], v[4:5]
	s_mov_b32 s1, 0
	s_delay_alu instid0(SALU_CYCLE_1) | instskip(SKIP_1) | instid1(VALU_DEP_1)
	s_mov_b32 s3, s1
	s_mov_b32 s4, s1
	v_add_nc_u64_e32 v[4:5], 16, v[6:7]
	s_wait_kmcnt 0x0
	s_and_b32 s0, s2, 0xffff
	s_delay_alu instid0(SALU_CYCLE_1)
	s_lshl_b32 s2, s0, 5
.LBB289_24:                             ; =>This Inner Loop Header: Depth=1
	s_clause 0x1
	global_load_b128 v[6:9], v[4:5], off offset:-16
	global_load_b128 v[10:13], v[4:5], off
	v_add_nc_u64_e32 v[0:1], s[0:1], v[0:1]
	s_wait_loadcnt 0x1
	v_cmp_lt_f64_e32 vcc_lo, 0, v[6:7]
	v_cndmask_b32_e64 v14, 0, 1, vcc_lo
	v_cmp_lt_f64_e32 vcc_lo, 0, v[8:9]
	v_cndmask_b32_e64 v15, 0, 1, vcc_lo
	s_wait_loadcnt 0x0
	v_cmp_lt_f64_e32 vcc_lo, 0, v[10:11]
	v_cndmask_b32_e64 v16, 0, 1, vcc_lo
	v_cmp_lt_f64_e32 vcc_lo, 0, v[12:13]
	v_cndmask_b32_e64 v17, 0, 1, vcc_lo
	v_cmp_gt_f64_e32 vcc_lo, 0, v[6:7]
	v_subrev_co_ci_u32_e64 v6, null, 0, v14, vcc_lo
	v_cmp_gt_f64_e32 vcc_lo, 0, v[8:9]
	s_delay_alu instid0(VALU_DEP_2) | instskip(SKIP_3) | instid1(VALU_DEP_3)
	v_cvt_f64_i32_e32 v[6:7], v6
	v_subrev_co_ci_u32_e64 v8, null, 0, v15, vcc_lo
	v_cmp_gt_f64_e32 vcc_lo, 0, v[10:11]
	v_lshlrev_b64_e32 v[14:15], 2, v[0:1]
	v_cvt_f64_i32_e32 v[8:9], v8
	v_subrev_co_ci_u32_e64 v10, null, 0, v16, vcc_lo
	v_cmp_gt_f64_e32 vcc_lo, 0, v[12:13]
	s_delay_alu instid0(VALU_DEP_2) | instskip(SKIP_2) | instid1(VALU_DEP_2)
	v_cvt_f64_i32_e32 v[10:11], v10
	v_subrev_co_ci_u32_e64 v12, null, 0, v17, vcc_lo
	v_cmp_ge_i64_e32 vcc_lo, v[14:15], v[2:3]
	v_cvt_f64_i32_e32 v[12:13], v12
	s_clause 0x1
	global_store_b128 v[4:5], v[6:9], off offset:-16
	global_store_b128 v[4:5], v[10:13], off
	s_wait_xcnt 0x0
	v_add_nc_u64_e32 v[4:5], s[2:3], v[4:5]
	s_or_b32 s4, vcc_lo, s4
	s_delay_alu instid0(SALU_CYCLE_1)
	s_and_not1_b32 exec_lo, exec_lo, s4
	s_cbranch_execnz .LBB289_24
.LBB289_25:
	s_endpgm
	.section	.rodata,"a",@progbits
	.p2align	6, 0x0
	.amdhsa_kernel _ZN2at6native12_GLOBAL__N_125multi_tensor_apply_kernelINS1_18TensorListMetadataILi1EEENS1_14UnaryOpFunctorIdLi1ELi1ELi0EEEJNS0_4SignIdEEEEEvT_T0_DpT1_
		.amdhsa_group_segment_fixed_size 0
		.amdhsa_private_segment_fixed_size 0
		.amdhsa_kernarg_size 3632
		.amdhsa_user_sgpr_count 2
		.amdhsa_user_sgpr_dispatch_ptr 0
		.amdhsa_user_sgpr_queue_ptr 0
		.amdhsa_user_sgpr_kernarg_segment_ptr 1
		.amdhsa_user_sgpr_dispatch_id 0
		.amdhsa_user_sgpr_kernarg_preload_length 0
		.amdhsa_user_sgpr_kernarg_preload_offset 0
		.amdhsa_user_sgpr_private_segment_size 0
		.amdhsa_wavefront_size32 1
		.amdhsa_uses_dynamic_stack 0
		.amdhsa_enable_private_segment 0
		.amdhsa_system_sgpr_workgroup_id_x 1
		.amdhsa_system_sgpr_workgroup_id_y 0
		.amdhsa_system_sgpr_workgroup_id_z 0
		.amdhsa_system_sgpr_workgroup_info 0
		.amdhsa_system_vgpr_workitem_id 0
		.amdhsa_next_free_vgpr 29
		.amdhsa_next_free_sgpr 22
		.amdhsa_named_barrier_count 0
		.amdhsa_reserve_vcc 1
		.amdhsa_float_round_mode_32 0
		.amdhsa_float_round_mode_16_64 0
		.amdhsa_float_denorm_mode_32 3
		.amdhsa_float_denorm_mode_16_64 3
		.amdhsa_fp16_overflow 0
		.amdhsa_memory_ordered 1
		.amdhsa_forward_progress 1
		.amdhsa_inst_pref_size 10
		.amdhsa_round_robin_scheduling 0
		.amdhsa_exception_fp_ieee_invalid_op 0
		.amdhsa_exception_fp_denorm_src 0
		.amdhsa_exception_fp_ieee_div_zero 0
		.amdhsa_exception_fp_ieee_overflow 0
		.amdhsa_exception_fp_ieee_underflow 0
		.amdhsa_exception_fp_ieee_inexact 0
		.amdhsa_exception_int_div_zero 0
	.end_amdhsa_kernel
	.section	.text._ZN2at6native12_GLOBAL__N_125multi_tensor_apply_kernelINS1_18TensorListMetadataILi1EEENS1_14UnaryOpFunctorIdLi1ELi1ELi0EEEJNS0_4SignIdEEEEEvT_T0_DpT1_,"axG",@progbits,_ZN2at6native12_GLOBAL__N_125multi_tensor_apply_kernelINS1_18TensorListMetadataILi1EEENS1_14UnaryOpFunctorIdLi1ELi1ELi0EEEJNS0_4SignIdEEEEEvT_T0_DpT1_,comdat
.Lfunc_end289:
	.size	_ZN2at6native12_GLOBAL__N_125multi_tensor_apply_kernelINS1_18TensorListMetadataILi1EEENS1_14UnaryOpFunctorIdLi1ELi1ELi0EEEJNS0_4SignIdEEEEEvT_T0_DpT1_, .Lfunc_end289-_ZN2at6native12_GLOBAL__N_125multi_tensor_apply_kernelINS1_18TensorListMetadataILi1EEENS1_14UnaryOpFunctorIdLi1ELi1ELi0EEEJNS0_4SignIdEEEEEvT_T0_DpT1_
                                        ; -- End function
	.set _ZN2at6native12_GLOBAL__N_125multi_tensor_apply_kernelINS1_18TensorListMetadataILi1EEENS1_14UnaryOpFunctorIdLi1ELi1ELi0EEEJNS0_4SignIdEEEEEvT_T0_DpT1_.num_vgpr, 29
	.set _ZN2at6native12_GLOBAL__N_125multi_tensor_apply_kernelINS1_18TensorListMetadataILi1EEENS1_14UnaryOpFunctorIdLi1ELi1ELi0EEEJNS0_4SignIdEEEEEvT_T0_DpT1_.num_agpr, 0
	.set _ZN2at6native12_GLOBAL__N_125multi_tensor_apply_kernelINS1_18TensorListMetadataILi1EEENS1_14UnaryOpFunctorIdLi1ELi1ELi0EEEJNS0_4SignIdEEEEEvT_T0_DpT1_.numbered_sgpr, 22
	.set _ZN2at6native12_GLOBAL__N_125multi_tensor_apply_kernelINS1_18TensorListMetadataILi1EEENS1_14UnaryOpFunctorIdLi1ELi1ELi0EEEJNS0_4SignIdEEEEEvT_T0_DpT1_.num_named_barrier, 0
	.set _ZN2at6native12_GLOBAL__N_125multi_tensor_apply_kernelINS1_18TensorListMetadataILi1EEENS1_14UnaryOpFunctorIdLi1ELi1ELi0EEEJNS0_4SignIdEEEEEvT_T0_DpT1_.private_seg_size, 0
	.set _ZN2at6native12_GLOBAL__N_125multi_tensor_apply_kernelINS1_18TensorListMetadataILi1EEENS1_14UnaryOpFunctorIdLi1ELi1ELi0EEEJNS0_4SignIdEEEEEvT_T0_DpT1_.uses_vcc, 1
	.set _ZN2at6native12_GLOBAL__N_125multi_tensor_apply_kernelINS1_18TensorListMetadataILi1EEENS1_14UnaryOpFunctorIdLi1ELi1ELi0EEEJNS0_4SignIdEEEEEvT_T0_DpT1_.uses_flat_scratch, 0
	.set _ZN2at6native12_GLOBAL__N_125multi_tensor_apply_kernelINS1_18TensorListMetadataILi1EEENS1_14UnaryOpFunctorIdLi1ELi1ELi0EEEJNS0_4SignIdEEEEEvT_T0_DpT1_.has_dyn_sized_stack, 0
	.set _ZN2at6native12_GLOBAL__N_125multi_tensor_apply_kernelINS1_18TensorListMetadataILi1EEENS1_14UnaryOpFunctorIdLi1ELi1ELi0EEEJNS0_4SignIdEEEEEvT_T0_DpT1_.has_recursion, 0
	.set _ZN2at6native12_GLOBAL__N_125multi_tensor_apply_kernelINS1_18TensorListMetadataILi1EEENS1_14UnaryOpFunctorIdLi1ELi1ELi0EEEJNS0_4SignIdEEEEEvT_T0_DpT1_.has_indirect_call, 0
	.section	.AMDGPU.csdata,"",@progbits
; Kernel info:
; codeLenInByte = 1192
; TotalNumSgprs: 24
; NumVgprs: 29
; ScratchSize: 0
; MemoryBound: 0
; FloatMode: 240
; IeeeMode: 1
; LDSByteSize: 0 bytes/workgroup (compile time only)
; SGPRBlocks: 0
; VGPRBlocks: 1
; NumSGPRsForWavesPerEU: 24
; NumVGPRsForWavesPerEU: 29
; NamedBarCnt: 0
; Occupancy: 16
; WaveLimiterHint : 0
; COMPUTE_PGM_RSRC2:SCRATCH_EN: 0
; COMPUTE_PGM_RSRC2:USER_SGPR: 2
; COMPUTE_PGM_RSRC2:TRAP_HANDLER: 0
; COMPUTE_PGM_RSRC2:TGID_X_EN: 1
; COMPUTE_PGM_RSRC2:TGID_Y_EN: 0
; COMPUTE_PGM_RSRC2:TGID_Z_EN: 0
; COMPUTE_PGM_RSRC2:TIDIG_COMP_CNT: 0
	.section	.text._ZN2at6native12_GLOBAL__N_125multi_tensor_apply_kernelINS1_18TensorListMetadataILi1EEENS1_14UnaryOpFunctorIfLi1ELi1ELi0EEEJNS0_4SignIfEEEEEvT_T0_DpT1_,"axG",@progbits,_ZN2at6native12_GLOBAL__N_125multi_tensor_apply_kernelINS1_18TensorListMetadataILi1EEENS1_14UnaryOpFunctorIfLi1ELi1ELi0EEEJNS0_4SignIfEEEEEvT_T0_DpT1_,comdat
	.globl	_ZN2at6native12_GLOBAL__N_125multi_tensor_apply_kernelINS1_18TensorListMetadataILi1EEENS1_14UnaryOpFunctorIfLi1ELi1ELi0EEEJNS0_4SignIfEEEEEvT_T0_DpT1_ ; -- Begin function _ZN2at6native12_GLOBAL__N_125multi_tensor_apply_kernelINS1_18TensorListMetadataILi1EEENS1_14UnaryOpFunctorIfLi1ELi1ELi0EEEJNS0_4SignIfEEEEEvT_T0_DpT1_
	.p2align	8
	.type	_ZN2at6native12_GLOBAL__N_125multi_tensor_apply_kernelINS1_18TensorListMetadataILi1EEENS1_14UnaryOpFunctorIfLi1ELi1ELi0EEEJNS0_4SignIfEEEEEvT_T0_DpT1_,@function
_ZN2at6native12_GLOBAL__N_125multi_tensor_apply_kernelINS1_18TensorListMetadataILi1EEENS1_14UnaryOpFunctorIfLi1ELi1ELi0EEEJNS0_4SignIfEEEEEvT_T0_DpT1_: ; @_ZN2at6native12_GLOBAL__N_125multi_tensor_apply_kernelINS1_18TensorListMetadataILi1EEENS1_14UnaryOpFunctorIfLi1ELi1ELi0EEEJNS0_4SignIfEEEEEvT_T0_DpT1_
; %bb.0:
	s_bfe_u32 s2, ttmp6, 0x4000c
	s_and_b32 s3, ttmp6, 15
	s_add_co_i32 s2, s2, 1
	s_getreg_b32 s4, hwreg(HW_REG_IB_STS2, 6, 4)
	s_mul_i32 s2, ttmp9, s2
	s_delay_alu instid0(SALU_CYCLE_1)
	s_add_co_i32 s3, s3, s2
	s_cmp_eq_u32 s4, 0
	s_cselect_b32 s2, ttmp9, s3
	s_mov_b32 s3, 0
	s_load_u8 s8, s[0:1], s2 offset:0x6e0
	s_add_nc_u64 s[4:5], s[0:1], s[2:3]
	s_mul_u64 s[6:7], s[2:3], 3
	s_delay_alu instid0(SALU_CYCLE_1)
	s_add_nc_u64 s[4:5], s[4:5], s[6:7]
	s_load_b32 s10, s[4:5], 0x820
	s_wait_kmcnt 0x0
	s_clause 0x1
	s_load_b64 s[6:7], s[0:1], s8 offset:0x0 scale_offset
	s_load_b64 s[12:13], s[0:1], s8 offset:0x370 scale_offset
	s_ashr_i32 s11, s10, 31
	s_wait_kmcnt 0x0
	s_and_b64 s[4:5], s[6:7], 15
	s_and_b32 s2, s12, 3
	s_lshl_b64 s[8:9], s[10:11], 18
	s_or_b64 s[2:3], s[4:5], s[2:3]
	s_lshl_b64 s[4:5], s[10:11], 16
	s_cmp_eq_u64 s[2:3], 0
	s_sub_nc_u64 s[10:11], s[12:13], s[4:5]
	s_cbranch_scc1 .LBB290_21
; %bb.1:
	v_cmp_lt_i64_e64 s2, s[10:11], 1
	s_and_b32 vcc_lo, exec_lo, s2
	s_cbranch_vccnz .LBB290_20
; %bb.2:
	s_load_b32 s4, s[0:1], 0xd3c
	v_min_i64 v[2:3], 0x10000, s[10:11]
	v_min_u64 v[4:5], 0x10000, s[10:11]
	v_dual_mov_b32 v1, 0 :: v_dual_lshlrev_b32 v8, 2, v0
	s_mov_b32 s19, 0
	s_add_nc_u64 s[2:3], s[6:7], s[8:9]
	s_mov_b32 s5, s19
	s_delay_alu instid0(VALU_DEP_1)
	v_mov_b32_e32 v15, v1
	s_mov_b32 s17, s19
	s_mov_b32 s13, s19
	;; [unrolled: 1-line block ×3, first 2 shown]
	s_mov_b64 s[20:21], 0
	s_wait_kmcnt 0x0
	s_and_b32 s18, s4, 0xffff
	s_delay_alu instid0(SALU_CYCLE_1)
	v_add_nc_u64_e32 v[6:7], s[18:19], v[0:1]
	v_mov_b32_e32 v9, v1
	s_lshl_b32 s4, s18, 1
	s_mul_i32 s16, s18, 3
	v_add_nc_u64_e32 v[12:13], s[4:5], v[0:1]
	v_add_nc_u64_e32 v[10:11], s[16:17], v[0:1]
	s_lshl_b32 s12, s18, 2
	v_lshlrev_b32_e32 v14, 2, v6
	v_add_nc_u64_e32 v[8:9], s[2:3], v[8:9]
	s_lshl_b32 s14, s18, 4
	s_mul_u64 s[16:17], s[18:19], 12
	s_lshl_b32 s18, s18, 3
	v_add_nc_u64_e32 v[14:15], s[2:3], v[14:15]
	s_branch .LBB290_4
.LBB290_3:                              ;   in Loop: Header=BB290_4 Depth=1
	s_wait_xcnt 0x0
	s_or_b32 exec_lo, exec_lo, s2
	s_add_nc_u64 s[20:21], s[20:21], s[12:13]
	v_add_nc_u64_e32 v[8:9], s[14:15], v[8:9]
	v_cmp_lt_i64_e32 vcc_lo, s[20:21], v[2:3]
	v_add_nc_u64_e32 v[14:15], s[14:15], v[14:15]
	s_cbranch_vccz .LBB290_20
.LBB290_4:                              ; =>This Inner Loop Header: Depth=1
	v_add_nc_u64_e32 v[16:17], s[20:21], v[0:1]
	s_wait_loadcnt 0x0
	v_mov_b32_e32 v21, 0
	s_delay_alu instid0(VALU_DEP_2)
	v_cmp_lt_u64_e64 s2, v[16:17], v[4:5]
	s_and_saveexec_b32 s3, s2
	s_cbranch_execz .LBB290_6
; %bb.5:                                ;   in Loop: Header=BB290_4 Depth=1
	global_load_b32 v21, v[8:9], off
.LBB290_6:                              ;   in Loop: Header=BB290_4 Depth=1
	s_wait_xcnt 0x0
	s_or_b32 exec_lo, exec_lo, s3
	v_add_nc_u64_e32 v[16:17], s[20:21], v[6:7]
	v_dual_mov_b32 v20, 0 :: v_dual_mov_b32 v22, 0
	s_delay_alu instid0(VALU_DEP_2)
	v_cmp_lt_u64_e32 vcc_lo, v[16:17], v[4:5]
	s_and_saveexec_b32 s3, vcc_lo
	s_cbranch_execz .LBB290_8
; %bb.7:                                ;   in Loop: Header=BB290_4 Depth=1
	global_load_b32 v22, v[14:15], off
.LBB290_8:                              ;   in Loop: Header=BB290_4 Depth=1
	s_wait_xcnt 0x0
	s_or_b32 exec_lo, exec_lo, s3
	v_add_nc_u64_e32 v[16:17], s[20:21], v[12:13]
	s_delay_alu instid0(VALU_DEP_1)
	v_cmp_lt_u64_e64 s3, v[16:17], v[4:5]
	v_add_nc_u64_e32 v[16:17], s[18:19], v[8:9]
	s_and_saveexec_b32 s4, s3
	s_cbranch_execz .LBB290_10
; %bb.9:                                ;   in Loop: Header=BB290_4 Depth=1
	global_load_b32 v20, v[16:17], off
.LBB290_10:                             ;   in Loop: Header=BB290_4 Depth=1
	s_wait_xcnt 0x0
	s_or_b32 exec_lo, exec_lo, s4
	v_add_nc_u64_e32 v[18:19], s[20:21], v[10:11]
	v_mov_b32_e32 v23, 0
	s_delay_alu instid0(VALU_DEP_2)
	v_cmp_lt_u64_e64 s4, v[18:19], v[4:5]
	v_add_nc_u64_e32 v[18:19], s[16:17], v[8:9]
	s_and_saveexec_b32 s5, s4
	s_cbranch_execnz .LBB290_15
; %bb.11:                               ;   in Loop: Header=BB290_4 Depth=1
	s_or_b32 exec_lo, exec_lo, s5
	s_and_saveexec_b32 s5, s2
	s_cbranch_execnz .LBB290_16
.LBB290_12:                             ;   in Loop: Header=BB290_4 Depth=1
	s_or_b32 exec_lo, exec_lo, s5
	s_and_saveexec_b32 s2, vcc_lo
	s_cbranch_execnz .LBB290_17
.LBB290_13:                             ;   in Loop: Header=BB290_4 Depth=1
	s_or_b32 exec_lo, exec_lo, s2
	s_and_saveexec_b32 s2, s3
	s_cbranch_execnz .LBB290_18
.LBB290_14:                             ;   in Loop: Header=BB290_4 Depth=1
	s_or_b32 exec_lo, exec_lo, s2
	s_and_saveexec_b32 s2, s4
	s_cbranch_execz .LBB290_3
	s_branch .LBB290_19
.LBB290_15:                             ;   in Loop: Header=BB290_4 Depth=1
	global_load_b32 v23, v[18:19], off
	s_wait_xcnt 0x0
	s_or_b32 exec_lo, exec_lo, s5
	s_and_saveexec_b32 s5, s2
	s_cbranch_execz .LBB290_12
.LBB290_16:                             ;   in Loop: Header=BB290_4 Depth=1
	s_wait_loadcnt 0x0
	v_cmp_lt_f32_e64 s2, 0, v21
	s_delay_alu instid0(VALU_DEP_1) | instskip(SKIP_1) | instid1(VALU_DEP_1)
	v_cndmask_b32_e64 v24, 0, 1, s2
	v_cmp_gt_f32_e64 s2, 0, v21
	v_subrev_co_ci_u32_e64 v21, null, 0, v24, s2
	s_delay_alu instid0(VALU_DEP_1)
	v_cvt_f32_i32_e32 v21, v21
	global_store_b32 v[8:9], v21, off
	s_wait_xcnt 0x0
	s_or_b32 exec_lo, exec_lo, s5
	s_and_saveexec_b32 s2, vcc_lo
	s_cbranch_execz .LBB290_13
.LBB290_17:                             ;   in Loop: Header=BB290_4 Depth=1
	s_wait_loadcnt 0x0
	v_cmp_lt_f32_e32 vcc_lo, 0, v22
	v_cndmask_b32_e64 v21, 0, 1, vcc_lo
	v_cmp_gt_f32_e32 vcc_lo, 0, v22
	s_delay_alu instid0(VALU_DEP_2) | instskip(NEXT) | instid1(VALU_DEP_1)
	v_subrev_co_ci_u32_e64 v21, null, 0, v21, vcc_lo
	v_cvt_f32_i32_e32 v21, v21
	global_store_b32 v[14:15], v21, off
	s_wait_xcnt 0x0
	s_or_b32 exec_lo, exec_lo, s2
	s_and_saveexec_b32 s2, s3
	s_cbranch_execz .LBB290_14
.LBB290_18:                             ;   in Loop: Header=BB290_4 Depth=1
	s_wait_loadcnt 0x0
	v_cmp_lt_f32_e32 vcc_lo, 0, v20
	v_cndmask_b32_e64 v21, 0, 1, vcc_lo
	v_cmp_gt_f32_e32 vcc_lo, 0, v20
	s_delay_alu instid0(VALU_DEP_2) | instskip(NEXT) | instid1(VALU_DEP_1)
	v_subrev_co_ci_u32_e64 v20, null, 0, v21, vcc_lo
	v_cvt_f32_i32_e32 v20, v20
	global_store_b32 v[16:17], v20, off
	s_wait_xcnt 0x0
	s_or_b32 exec_lo, exec_lo, s2
	s_and_saveexec_b32 s2, s4
	s_cbranch_execz .LBB290_3
.LBB290_19:                             ;   in Loop: Header=BB290_4 Depth=1
	s_wait_loadcnt 0x0
	v_cmp_lt_f32_e32 vcc_lo, 0, v23
	v_cndmask_b32_e64 v16, 0, 1, vcc_lo
	v_cmp_gt_f32_e32 vcc_lo, 0, v23
	s_delay_alu instid0(VALU_DEP_2) | instskip(NEXT) | instid1(VALU_DEP_1)
	v_subrev_co_ci_u32_e64 v16, null, 0, v16, vcc_lo
	v_cvt_f32_i32_e32 v16, v16
	global_store_b32 v[18:19], v16, off
	s_branch .LBB290_3
.LBB290_20:
	s_cbranch_execz .LBB290_22
	s_branch .LBB290_25
.LBB290_21:
.LBB290_22:
	v_min_i64 v[2:3], 0x10000, s[10:11]
	v_dual_mov_b32 v5, 0 :: v_dual_lshlrev_b32 v4, 2, v0
	s_mov_b32 s2, exec_lo
	s_delay_alu instid0(VALU_DEP_1)
	v_cmpx_lt_i64_e64 v[4:5], v[2:3]
	s_cbranch_execz .LBB290_25
; %bb.23:
	s_load_b32 s2, s[0:1], 0xd3c
	v_dual_mov_b32 v1, v5 :: v_dual_lshlrev_b32 v4, 4, v0
	s_wait_xcnt 0x0
	s_add_nc_u64 s[0:1], s[6:7], s[8:9]
	s_delay_alu instid0(VALU_DEP_1) | instid1(SALU_CYCLE_1)
	v_add_nc_u64_e32 v[6:7], s[0:1], v[4:5]
	s_mov_b32 s1, 0
	s_delay_alu instid0(SALU_CYCLE_1) | instskip(SKIP_1) | instid1(VALU_DEP_1)
	s_mov_b32 s3, s1
	s_mov_b32 s4, s1
	v_add_nc_u64_e32 v[4:5], 8, v[6:7]
	s_wait_kmcnt 0x0
	s_and_b32 s0, s2, 0xffff
	s_delay_alu instid0(SALU_CYCLE_1)
	s_lshl_b32 s2, s0, 4
.LBB290_24:                             ; =>This Inner Loop Header: Depth=1
	global_load_b128 v[6:9], v[4:5], off offset:-8
	v_add_nc_u64_e32 v[0:1], s[0:1], v[0:1]
	s_wait_loadcnt 0x0
	v_cmp_lt_f32_e32 vcc_lo, 0, v7
	v_cndmask_b32_e64 v10, 0, 1, vcc_lo
	v_cmp_lt_f32_e32 vcc_lo, 0, v6
	v_cndmask_b32_e64 v11, 0, 1, vcc_lo
	v_cmp_gt_f32_e32 vcc_lo, 0, v6
	v_cndmask_b32_e64 v6, 0, 1, vcc_lo
	v_cmp_gt_f32_e32 vcc_lo, 0, v7
	s_delay_alu instid0(VALU_DEP_2) | instskip(SKIP_2) | instid1(VALU_DEP_3)
	v_sub_nc_u16 v6, v11, v6
	v_cndmask_b32_e64 v7, 0, 1, vcc_lo
	v_cmp_lt_f32_e32 vcc_lo, 0, v9
	v_bfe_i32 v6, v6, 0, 16
	s_delay_alu instid0(VALU_DEP_3)
	v_sub_nc_u16 v7, v10, v7
	v_cndmask_b32_e64 v12, 0, 1, vcc_lo
	v_cmp_lt_f32_e32 vcc_lo, 0, v8
	v_lshlrev_b64_e32 v[10:11], 2, v[0:1]
	v_cvt_f32_i32_e32 v6, v6
	v_bfe_i32 v7, v7, 0, 16
	v_cndmask_b32_e64 v13, 0, 1, vcc_lo
	v_cmp_gt_f32_e32 vcc_lo, 0, v9
	s_delay_alu instid0(VALU_DEP_3) | instskip(SKIP_2) | instid1(VALU_DEP_2)
	v_cvt_f32_i32_e32 v7, v7
	v_cndmask_b32_e64 v9, 0, 1, vcc_lo
	v_cmp_gt_f32_e32 vcc_lo, 0, v8
	v_sub_nc_u16 v9, v12, v9
	v_cndmask_b32_e64 v8, 0, 1, vcc_lo
	v_cmp_ge_i64_e32 vcc_lo, v[10:11], v[2:3]
	s_delay_alu instid0(VALU_DEP_3) | instskip(NEXT) | instid1(VALU_DEP_3)
	v_bfe_i32 v9, v9, 0, 16
	v_sub_nc_u16 v8, v13, v8
	s_or_b32 s4, vcc_lo, s4
	s_delay_alu instid0(VALU_DEP_2) | instskip(NEXT) | instid1(VALU_DEP_2)
	v_cvt_f32_i32_e32 v9, v9
	v_bfe_i32 v8, v8, 0, 16
	s_delay_alu instid0(VALU_DEP_1)
	v_cvt_f32_i32_e32 v8, v8
	global_store_b128 v[4:5], v[6:9], off offset:-8
	s_wait_xcnt 0x0
	v_add_nc_u64_e32 v[4:5], s[2:3], v[4:5]
	s_and_not1_b32 exec_lo, exec_lo, s4
	s_cbranch_execnz .LBB290_24
.LBB290_25:
	s_endpgm
	.section	.rodata,"a",@progbits
	.p2align	6, 0x0
	.amdhsa_kernel _ZN2at6native12_GLOBAL__N_125multi_tensor_apply_kernelINS1_18TensorListMetadataILi1EEENS1_14UnaryOpFunctorIfLi1ELi1ELi0EEEJNS0_4SignIfEEEEEvT_T0_DpT1_
		.amdhsa_group_segment_fixed_size 0
		.amdhsa_private_segment_fixed_size 0
		.amdhsa_kernarg_size 3632
		.amdhsa_user_sgpr_count 2
		.amdhsa_user_sgpr_dispatch_ptr 0
		.amdhsa_user_sgpr_queue_ptr 0
		.amdhsa_user_sgpr_kernarg_segment_ptr 1
		.amdhsa_user_sgpr_dispatch_id 0
		.amdhsa_user_sgpr_kernarg_preload_length 0
		.amdhsa_user_sgpr_kernarg_preload_offset 0
		.amdhsa_user_sgpr_private_segment_size 0
		.amdhsa_wavefront_size32 1
		.amdhsa_uses_dynamic_stack 0
		.amdhsa_enable_private_segment 0
		.amdhsa_system_sgpr_workgroup_id_x 1
		.amdhsa_system_sgpr_workgroup_id_y 0
		.amdhsa_system_sgpr_workgroup_id_z 0
		.amdhsa_system_sgpr_workgroup_info 0
		.amdhsa_system_vgpr_workitem_id 0
		.amdhsa_next_free_vgpr 25
		.amdhsa_next_free_sgpr 22
		.amdhsa_named_barrier_count 0
		.amdhsa_reserve_vcc 1
		.amdhsa_float_round_mode_32 0
		.amdhsa_float_round_mode_16_64 0
		.amdhsa_float_denorm_mode_32 3
		.amdhsa_float_denorm_mode_16_64 3
		.amdhsa_fp16_overflow 0
		.amdhsa_memory_ordered 1
		.amdhsa_forward_progress 1
		.amdhsa_inst_pref_size 10
		.amdhsa_round_robin_scheduling 0
		.amdhsa_exception_fp_ieee_invalid_op 0
		.amdhsa_exception_fp_denorm_src 0
		.amdhsa_exception_fp_ieee_div_zero 0
		.amdhsa_exception_fp_ieee_overflow 0
		.amdhsa_exception_fp_ieee_underflow 0
		.amdhsa_exception_fp_ieee_inexact 0
		.amdhsa_exception_int_div_zero 0
	.end_amdhsa_kernel
	.section	.text._ZN2at6native12_GLOBAL__N_125multi_tensor_apply_kernelINS1_18TensorListMetadataILi1EEENS1_14UnaryOpFunctorIfLi1ELi1ELi0EEEJNS0_4SignIfEEEEEvT_T0_DpT1_,"axG",@progbits,_ZN2at6native12_GLOBAL__N_125multi_tensor_apply_kernelINS1_18TensorListMetadataILi1EEENS1_14UnaryOpFunctorIfLi1ELi1ELi0EEEJNS0_4SignIfEEEEEvT_T0_DpT1_,comdat
.Lfunc_end290:
	.size	_ZN2at6native12_GLOBAL__N_125multi_tensor_apply_kernelINS1_18TensorListMetadataILi1EEENS1_14UnaryOpFunctorIfLi1ELi1ELi0EEEJNS0_4SignIfEEEEEvT_T0_DpT1_, .Lfunc_end290-_ZN2at6native12_GLOBAL__N_125multi_tensor_apply_kernelINS1_18TensorListMetadataILi1EEENS1_14UnaryOpFunctorIfLi1ELi1ELi0EEEJNS0_4SignIfEEEEEvT_T0_DpT1_
                                        ; -- End function
	.set _ZN2at6native12_GLOBAL__N_125multi_tensor_apply_kernelINS1_18TensorListMetadataILi1EEENS1_14UnaryOpFunctorIfLi1ELi1ELi0EEEJNS0_4SignIfEEEEEvT_T0_DpT1_.num_vgpr, 25
	.set _ZN2at6native12_GLOBAL__N_125multi_tensor_apply_kernelINS1_18TensorListMetadataILi1EEENS1_14UnaryOpFunctorIfLi1ELi1ELi0EEEJNS0_4SignIfEEEEEvT_T0_DpT1_.num_agpr, 0
	.set _ZN2at6native12_GLOBAL__N_125multi_tensor_apply_kernelINS1_18TensorListMetadataILi1EEENS1_14UnaryOpFunctorIfLi1ELi1ELi0EEEJNS0_4SignIfEEEEEvT_T0_DpT1_.numbered_sgpr, 22
	.set _ZN2at6native12_GLOBAL__N_125multi_tensor_apply_kernelINS1_18TensorListMetadataILi1EEENS1_14UnaryOpFunctorIfLi1ELi1ELi0EEEJNS0_4SignIfEEEEEvT_T0_DpT1_.num_named_barrier, 0
	.set _ZN2at6native12_GLOBAL__N_125multi_tensor_apply_kernelINS1_18TensorListMetadataILi1EEENS1_14UnaryOpFunctorIfLi1ELi1ELi0EEEJNS0_4SignIfEEEEEvT_T0_DpT1_.private_seg_size, 0
	.set _ZN2at6native12_GLOBAL__N_125multi_tensor_apply_kernelINS1_18TensorListMetadataILi1EEENS1_14UnaryOpFunctorIfLi1ELi1ELi0EEEJNS0_4SignIfEEEEEvT_T0_DpT1_.uses_vcc, 1
	.set _ZN2at6native12_GLOBAL__N_125multi_tensor_apply_kernelINS1_18TensorListMetadataILi1EEENS1_14UnaryOpFunctorIfLi1ELi1ELi0EEEJNS0_4SignIfEEEEEvT_T0_DpT1_.uses_flat_scratch, 0
	.set _ZN2at6native12_GLOBAL__N_125multi_tensor_apply_kernelINS1_18TensorListMetadataILi1EEENS1_14UnaryOpFunctorIfLi1ELi1ELi0EEEJNS0_4SignIfEEEEEvT_T0_DpT1_.has_dyn_sized_stack, 0
	.set _ZN2at6native12_GLOBAL__N_125multi_tensor_apply_kernelINS1_18TensorListMetadataILi1EEENS1_14UnaryOpFunctorIfLi1ELi1ELi0EEEJNS0_4SignIfEEEEEvT_T0_DpT1_.has_recursion, 0
	.set _ZN2at6native12_GLOBAL__N_125multi_tensor_apply_kernelINS1_18TensorListMetadataILi1EEENS1_14UnaryOpFunctorIfLi1ELi1ELi0EEEJNS0_4SignIfEEEEEvT_T0_DpT1_.has_indirect_call, 0
	.section	.AMDGPU.csdata,"",@progbits
; Kernel info:
; codeLenInByte = 1236
; TotalNumSgprs: 24
; NumVgprs: 25
; ScratchSize: 0
; MemoryBound: 0
; FloatMode: 240
; IeeeMode: 1
; LDSByteSize: 0 bytes/workgroup (compile time only)
; SGPRBlocks: 0
; VGPRBlocks: 1
; NumSGPRsForWavesPerEU: 24
; NumVGPRsForWavesPerEU: 25
; NamedBarCnt: 0
; Occupancy: 16
; WaveLimiterHint : 0
; COMPUTE_PGM_RSRC2:SCRATCH_EN: 0
; COMPUTE_PGM_RSRC2:USER_SGPR: 2
; COMPUTE_PGM_RSRC2:TRAP_HANDLER: 0
; COMPUTE_PGM_RSRC2:TGID_X_EN: 1
; COMPUTE_PGM_RSRC2:TGID_Y_EN: 0
; COMPUTE_PGM_RSRC2:TGID_Z_EN: 0
; COMPUTE_PGM_RSRC2:TIDIG_COMP_CNT: 0
	.section	.text._ZN2at6native12_GLOBAL__N_125multi_tensor_apply_kernelINS1_18TensorListMetadataILi1EEENS1_14UnaryOpFunctorIN3c104HalfELi1ELi1ELi0EEEJNS0_4SignIfEEEEEvT_T0_DpT1_,"axG",@progbits,_ZN2at6native12_GLOBAL__N_125multi_tensor_apply_kernelINS1_18TensorListMetadataILi1EEENS1_14UnaryOpFunctorIN3c104HalfELi1ELi1ELi0EEEJNS0_4SignIfEEEEEvT_T0_DpT1_,comdat
	.globl	_ZN2at6native12_GLOBAL__N_125multi_tensor_apply_kernelINS1_18TensorListMetadataILi1EEENS1_14UnaryOpFunctorIN3c104HalfELi1ELi1ELi0EEEJNS0_4SignIfEEEEEvT_T0_DpT1_ ; -- Begin function _ZN2at6native12_GLOBAL__N_125multi_tensor_apply_kernelINS1_18TensorListMetadataILi1EEENS1_14UnaryOpFunctorIN3c104HalfELi1ELi1ELi0EEEJNS0_4SignIfEEEEEvT_T0_DpT1_
	.p2align	8
	.type	_ZN2at6native12_GLOBAL__N_125multi_tensor_apply_kernelINS1_18TensorListMetadataILi1EEENS1_14UnaryOpFunctorIN3c104HalfELi1ELi1ELi0EEEJNS0_4SignIfEEEEEvT_T0_DpT1_,@function
_ZN2at6native12_GLOBAL__N_125multi_tensor_apply_kernelINS1_18TensorListMetadataILi1EEENS1_14UnaryOpFunctorIN3c104HalfELi1ELi1ELi0EEEJNS0_4SignIfEEEEEvT_T0_DpT1_: ; @_ZN2at6native12_GLOBAL__N_125multi_tensor_apply_kernelINS1_18TensorListMetadataILi1EEENS1_14UnaryOpFunctorIN3c104HalfELi1ELi1ELi0EEEJNS0_4SignIfEEEEEvT_T0_DpT1_
; %bb.0:
	s_bfe_u32 s2, ttmp6, 0x4000c
	s_and_b32 s3, ttmp6, 15
	s_add_co_i32 s2, s2, 1
	s_getreg_b32 s4, hwreg(HW_REG_IB_STS2, 6, 4)
	s_mul_i32 s2, ttmp9, s2
	s_delay_alu instid0(SALU_CYCLE_1)
	s_add_co_i32 s3, s3, s2
	s_cmp_eq_u32 s4, 0
	s_cselect_b32 s2, ttmp9, s3
	s_mov_b32 s3, 0
	s_load_u8 s8, s[0:1], s2 offset:0x6e0
	s_add_nc_u64 s[4:5], s[0:1], s[2:3]
	s_mul_u64 s[6:7], s[2:3], 3
	s_delay_alu instid0(SALU_CYCLE_1)
	s_add_nc_u64 s[4:5], s[4:5], s[6:7]
	s_load_b32 s10, s[4:5], 0x820
	s_wait_kmcnt 0x0
	s_clause 0x1
	s_load_b64 s[6:7], s[0:1], s8 offset:0x0 scale_offset
	s_load_b64 s[12:13], s[0:1], s8 offset:0x370 scale_offset
	s_ashr_i32 s11, s10, 31
	s_wait_kmcnt 0x0
	s_and_b64 s[4:5], s[6:7], 7
	s_and_b32 s2, s12, 3
	s_lshl_b64 s[8:9], s[10:11], 17
	s_or_b64 s[2:3], s[4:5], s[2:3]
	s_lshl_b64 s[4:5], s[10:11], 16
	s_cmp_eq_u64 s[2:3], 0
	s_sub_nc_u64 s[10:11], s[12:13], s[4:5]
	s_cbranch_scc1 .LBB291_21
; %bb.1:
	v_cmp_lt_i64_e64 s2, s[10:11], 1
	s_and_b32 vcc_lo, exec_lo, s2
	s_cbranch_vccnz .LBB291_20
; %bb.2:
	s_load_b32 s2, s[0:1], 0xd3c
	v_min_i64 v[2:3], 0x10000, s[10:11]
	v_min_u64 v[4:5], 0x10000, s[10:11]
	v_dual_mov_b32 v1, 0 :: v_dual_lshlrev_b32 v8, 1, v0
	s_mov_b32 s3, 0
	s_add_nc_u64 s[4:5], s[6:7], s[8:9]
	s_mov_b32 s15, s3
	s_delay_alu instid0(VALU_DEP_1)
	v_mov_b32_e32 v15, v1
	s_mov_b32 s17, s3
	s_mov_b32 s13, s3
	s_mov_b64 s[18:19], 0
	s_wait_kmcnt 0x0
	s_and_b32 s2, s2, 0xffff
	s_delay_alu instid0(SALU_CYCLE_1)
	v_add_nc_u64_e32 v[6:7], s[2:3], v[0:1]
	v_mov_b32_e32 v9, v1
	s_lshl_b32 s14, s2, 1
	s_mul_i32 s16, s2, 3
	v_add_nc_u64_e32 v[12:13], s[14:15], v[0:1]
	v_add_nc_u64_e32 v[10:11], s[16:17], v[0:1]
	s_lshl_b32 s12, s2, 2
	v_lshlrev_b32_e32 v14, 1, v6
	v_add_nc_u64_e32 v[8:9], s[4:5], v[8:9]
	s_lshl_b32 s14, s2, 3
	s_mul_u64 s[16:17], s[2:3], 6
	s_delay_alu instid0(VALU_DEP_2)
	v_add_nc_u64_e32 v[14:15], s[4:5], v[14:15]
	s_branch .LBB291_4
.LBB291_3:                              ;   in Loop: Header=BB291_4 Depth=1
	s_wait_xcnt 0x0
	s_or_b32 exec_lo, exec_lo, s2
	s_add_nc_u64 s[18:19], s[18:19], s[12:13]
	v_add_nc_u64_e32 v[8:9], s[14:15], v[8:9]
	v_cmp_lt_i64_e32 vcc_lo, s[18:19], v[2:3]
	v_add_nc_u64_e32 v[14:15], s[14:15], v[14:15]
	s_cbranch_vccz .LBB291_20
.LBB291_4:                              ; =>This Inner Loop Header: Depth=1
	v_add_nc_u64_e32 v[16:17], s[18:19], v[0:1]
	s_wait_loadcnt 0x0
	v_mov_b32_e32 v21, 0
	s_delay_alu instid0(VALU_DEP_2)
	v_cmp_lt_u64_e64 s4, v[16:17], v[4:5]
	s_and_saveexec_b32 s2, s4
	s_cbranch_execz .LBB291_6
; %bb.5:                                ;   in Loop: Header=BB291_4 Depth=1
	global_load_u16 v21, v[8:9], off
.LBB291_6:                              ;   in Loop: Header=BB291_4 Depth=1
	s_wait_xcnt 0x0
	s_or_b32 exec_lo, exec_lo, s2
	v_add_nc_u64_e32 v[16:17], s[18:19], v[6:7]
	v_dual_mov_b32 v20, 0 :: v_dual_mov_b32 v22, 0
	s_delay_alu instid0(VALU_DEP_2)
	v_cmp_lt_u64_e32 vcc_lo, v[16:17], v[4:5]
	s_and_saveexec_b32 s2, vcc_lo
	s_cbranch_execz .LBB291_8
; %bb.7:                                ;   in Loop: Header=BB291_4 Depth=1
	global_load_u16 v22, v[14:15], off
.LBB291_8:                              ;   in Loop: Header=BB291_4 Depth=1
	s_wait_xcnt 0x0
	s_or_b32 exec_lo, exec_lo, s2
	v_add_nc_u64_e32 v[16:17], s[18:19], v[12:13]
	s_delay_alu instid0(VALU_DEP_1)
	v_cmp_lt_u64_e64 s2, v[16:17], v[4:5]
	v_add_nc_u64_e32 v[16:17], s[12:13], v[8:9]
	s_and_saveexec_b32 s3, s2
	s_cbranch_execz .LBB291_10
; %bb.9:                                ;   in Loop: Header=BB291_4 Depth=1
	global_load_u16 v20, v[16:17], off
.LBB291_10:                             ;   in Loop: Header=BB291_4 Depth=1
	s_wait_xcnt 0x0
	s_or_b32 exec_lo, exec_lo, s3
	v_add_nc_u64_e32 v[18:19], s[18:19], v[10:11]
	v_mov_b32_e32 v23, 0
	s_delay_alu instid0(VALU_DEP_2)
	v_cmp_lt_u64_e64 s3, v[18:19], v[4:5]
	v_add_nc_u64_e32 v[18:19], s[16:17], v[8:9]
	s_and_saveexec_b32 s5, s3
	s_cbranch_execnz .LBB291_15
; %bb.11:                               ;   in Loop: Header=BB291_4 Depth=1
	s_or_b32 exec_lo, exec_lo, s5
	s_and_saveexec_b32 s5, s4
	s_cbranch_execnz .LBB291_16
.LBB291_12:                             ;   in Loop: Header=BB291_4 Depth=1
	s_or_b32 exec_lo, exec_lo, s5
	s_and_saveexec_b32 s4, vcc_lo
	s_cbranch_execnz .LBB291_17
.LBB291_13:                             ;   in Loop: Header=BB291_4 Depth=1
	s_or_b32 exec_lo, exec_lo, s4
	s_and_saveexec_b32 s4, s2
	s_cbranch_execnz .LBB291_18
.LBB291_14:                             ;   in Loop: Header=BB291_4 Depth=1
	s_or_b32 exec_lo, exec_lo, s4
	s_and_saveexec_b32 s2, s3
	s_cbranch_execz .LBB291_3
	s_branch .LBB291_19
.LBB291_15:                             ;   in Loop: Header=BB291_4 Depth=1
	global_load_u16 v23, v[18:19], off
	s_wait_xcnt 0x0
	s_or_b32 exec_lo, exec_lo, s5
	s_and_saveexec_b32 s5, s4
	s_cbranch_execz .LBB291_12
.LBB291_16:                             ;   in Loop: Header=BB291_4 Depth=1
	s_wait_loadcnt 0x0
	v_cmp_lt_f16_e64 s4, 0, v21
	s_delay_alu instid0(VALU_DEP_1) | instskip(SKIP_1) | instid1(VALU_DEP_1)
	v_cndmask_b32_e64 v24, 0, 1, s4
	v_cmp_gt_f16_e64 s4, 0, v21
	v_subrev_co_ci_u32_e64 v21, null, 0, v24, s4
	s_delay_alu instid0(VALU_DEP_1) | instskip(NEXT) | instid1(VALU_DEP_1)
	v_cvt_f32_i32_e32 v21, v21
	v_cvt_f16_f32_e32 v21, v21
	global_store_b16 v[8:9], v21, off
	s_wait_xcnt 0x0
	s_or_b32 exec_lo, exec_lo, s5
	s_and_saveexec_b32 s4, vcc_lo
	s_cbranch_execz .LBB291_13
.LBB291_17:                             ;   in Loop: Header=BB291_4 Depth=1
	s_wait_loadcnt 0x0
	v_cmp_lt_f16_e32 vcc_lo, 0, v22
	v_cndmask_b32_e64 v21, 0, 1, vcc_lo
	v_cmp_gt_f16_e32 vcc_lo, 0, v22
	s_delay_alu instid0(VALU_DEP_2) | instskip(NEXT) | instid1(VALU_DEP_1)
	v_subrev_co_ci_u32_e64 v21, null, 0, v21, vcc_lo
	v_cvt_f32_i32_e32 v21, v21
	s_delay_alu instid0(VALU_DEP_1)
	v_cvt_f16_f32_e32 v21, v21
	global_store_b16 v[14:15], v21, off
	s_wait_xcnt 0x0
	s_or_b32 exec_lo, exec_lo, s4
	s_and_saveexec_b32 s4, s2
	s_cbranch_execz .LBB291_14
.LBB291_18:                             ;   in Loop: Header=BB291_4 Depth=1
	s_wait_loadcnt 0x0
	v_cmp_lt_f16_e32 vcc_lo, 0, v20
	v_cndmask_b32_e64 v21, 0, 1, vcc_lo
	v_cmp_gt_f16_e32 vcc_lo, 0, v20
	s_delay_alu instid0(VALU_DEP_2) | instskip(NEXT) | instid1(VALU_DEP_1)
	v_subrev_co_ci_u32_e64 v20, null, 0, v21, vcc_lo
	v_cvt_f32_i32_e32 v20, v20
	s_delay_alu instid0(VALU_DEP_1)
	v_cvt_f16_f32_e32 v20, v20
	global_store_b16 v[16:17], v20, off
	s_wait_xcnt 0x0
	s_or_b32 exec_lo, exec_lo, s4
	s_and_saveexec_b32 s2, s3
	s_cbranch_execz .LBB291_3
.LBB291_19:                             ;   in Loop: Header=BB291_4 Depth=1
	s_wait_loadcnt 0x0
	v_cmp_lt_f16_e32 vcc_lo, 0, v23
	v_cndmask_b32_e64 v16, 0, 1, vcc_lo
	v_cmp_gt_f16_e32 vcc_lo, 0, v23
	s_delay_alu instid0(VALU_DEP_2) | instskip(NEXT) | instid1(VALU_DEP_1)
	v_subrev_co_ci_u32_e64 v16, null, 0, v16, vcc_lo
	v_cvt_f32_i32_e32 v16, v16
	s_delay_alu instid0(VALU_DEP_1)
	v_cvt_f16_f32_e32 v16, v16
	global_store_b16 v[18:19], v16, off
	s_branch .LBB291_3
.LBB291_20:
	s_cbranch_execz .LBB291_22
	s_branch .LBB291_25
.LBB291_21:
.LBB291_22:
	v_min_i64 v[2:3], 0x10000, s[10:11]
	v_dual_mov_b32 v5, 0 :: v_dual_lshlrev_b32 v4, 2, v0
	s_mov_b32 s2, exec_lo
	s_delay_alu instid0(VALU_DEP_1)
	v_cmpx_lt_i64_e64 v[4:5], v[2:3]
	s_cbranch_execz .LBB291_25
; %bb.23:
	s_load_b32 s2, s[0:1], 0xd3c
	v_dual_mov_b32 v1, v5 :: v_dual_lshlrev_b32 v4, 3, v0
	s_wait_xcnt 0x0
	s_add_nc_u64 s[0:1], s[6:7], s[8:9]
	s_delay_alu instid0(VALU_DEP_1) | instid1(SALU_CYCLE_1)
	v_add_nc_u64_e32 v[6:7], s[0:1], v[4:5]
	s_mov_b32 s1, 0
	s_delay_alu instid0(SALU_CYCLE_1) | instskip(SKIP_1) | instid1(VALU_DEP_1)
	s_mov_b32 s3, s1
	s_mov_b32 s4, s1
	v_add_nc_u64_e32 v[4:5], 4, v[6:7]
	s_wait_kmcnt 0x0
	s_and_b32 s0, s2, 0xffff
	s_delay_alu instid0(SALU_CYCLE_1)
	s_lshl_b32 s2, s0, 3
.LBB291_24:                             ; =>This Inner Loop Header: Depth=1
	global_load_b64 v[6:7], v[4:5], off offset:-4
	v_add_nc_u64_e32 v[0:1], s[0:1], v[0:1]
	s_wait_loadcnt 0x0
	v_cmp_lt_f16_e32 vcc_lo, 0, v6
	v_dual_lshrrev_b32 v8, 16, v6 :: v_dual_lshrrev_b32 v9, 16, v7
	v_cndmask_b32_e64 v10, 0, 1, vcc_lo
	v_cmp_lt_f16_e32 vcc_lo, 0, v7
	v_cndmask_b32_e64 v11, 0, 1, vcc_lo
	v_cmp_gt_f16_e32 vcc_lo, 0, v6
	s_delay_alu instid0(VALU_DEP_4)
	v_subrev_co_ci_u32_e64 v6, null, 0, v10, vcc_lo
	v_cmp_lt_f16_e32 vcc_lo, 0, v8
	v_cndmask_b32_e64 v10, 0, 1, vcc_lo
	v_cmp_lt_f16_e32 vcc_lo, 0, v9
	v_cndmask_b32_e64 v12, 0, 1, vcc_lo
	v_cmp_gt_f16_e32 vcc_lo, 0, v7
	v_subrev_co_ci_u32_e64 v7, null, 0, v11, vcc_lo
	v_cmp_gt_f16_e32 vcc_lo, 0, v9
	s_delay_alu instid0(VALU_DEP_2) | instskip(SKIP_2) | instid1(VALU_DEP_2)
	v_cvt_f32_i32_e32 v11, v7
	v_subrev_co_ci_u32_e64 v9, null, 0, v12, vcc_lo
	v_cmp_gt_f16_e32 vcc_lo, 0, v8
	v_cvt_f32_i32_e32 v9, v9
	v_subrev_co_ci_u32_e64 v8, null, 0, v10, vcc_lo
	v_cvt_f32_i32_e32 v10, v6
	v_lshlrev_b64_e32 v[6:7], 2, v[0:1]
	s_delay_alu instid0(VALU_DEP_4) | instskip(NEXT) | instid1(VALU_DEP_4)
	v_cvt_pk_f16_f32 v9, v11, v9
	v_cvt_f32_i32_e32 v8, v8
	s_delay_alu instid0(VALU_DEP_1) | instskip(NEXT) | instid1(VALU_DEP_4)
	v_cvt_pk_f16_f32 v8, v10, v8
	v_cmp_ge_i64_e32 vcc_lo, v[6:7], v[2:3]
	global_store_b64 v[4:5], v[8:9], off offset:-4
	s_wait_xcnt 0x0
	v_add_nc_u64_e32 v[4:5], s[2:3], v[4:5]
	s_or_b32 s4, vcc_lo, s4
	s_delay_alu instid0(SALU_CYCLE_1)
	s_and_not1_b32 exec_lo, exec_lo, s4
	s_cbranch_execnz .LBB291_24
.LBB291_25:
	s_endpgm
	.section	.rodata,"a",@progbits
	.p2align	6, 0x0
	.amdhsa_kernel _ZN2at6native12_GLOBAL__N_125multi_tensor_apply_kernelINS1_18TensorListMetadataILi1EEENS1_14UnaryOpFunctorIN3c104HalfELi1ELi1ELi0EEEJNS0_4SignIfEEEEEvT_T0_DpT1_
		.amdhsa_group_segment_fixed_size 0
		.amdhsa_private_segment_fixed_size 0
		.amdhsa_kernarg_size 3632
		.amdhsa_user_sgpr_count 2
		.amdhsa_user_sgpr_dispatch_ptr 0
		.amdhsa_user_sgpr_queue_ptr 0
		.amdhsa_user_sgpr_kernarg_segment_ptr 1
		.amdhsa_user_sgpr_dispatch_id 0
		.amdhsa_user_sgpr_kernarg_preload_length 0
		.amdhsa_user_sgpr_kernarg_preload_offset 0
		.amdhsa_user_sgpr_private_segment_size 0
		.amdhsa_wavefront_size32 1
		.amdhsa_uses_dynamic_stack 0
		.amdhsa_enable_private_segment 0
		.amdhsa_system_sgpr_workgroup_id_x 1
		.amdhsa_system_sgpr_workgroup_id_y 0
		.amdhsa_system_sgpr_workgroup_id_z 0
		.amdhsa_system_sgpr_workgroup_info 0
		.amdhsa_system_vgpr_workitem_id 0
		.amdhsa_next_free_vgpr 25
		.amdhsa_next_free_sgpr 20
		.amdhsa_named_barrier_count 0
		.amdhsa_reserve_vcc 1
		.amdhsa_float_round_mode_32 0
		.amdhsa_float_round_mode_16_64 0
		.amdhsa_float_denorm_mode_32 3
		.amdhsa_float_denorm_mode_16_64 3
		.amdhsa_fp16_overflow 0
		.amdhsa_memory_ordered 1
		.amdhsa_forward_progress 1
		.amdhsa_inst_pref_size 10
		.amdhsa_round_robin_scheduling 0
		.amdhsa_exception_fp_ieee_invalid_op 0
		.amdhsa_exception_fp_denorm_src 0
		.amdhsa_exception_fp_ieee_div_zero 0
		.amdhsa_exception_fp_ieee_overflow 0
		.amdhsa_exception_fp_ieee_underflow 0
		.amdhsa_exception_fp_ieee_inexact 0
		.amdhsa_exception_int_div_zero 0
	.end_amdhsa_kernel
	.section	.text._ZN2at6native12_GLOBAL__N_125multi_tensor_apply_kernelINS1_18TensorListMetadataILi1EEENS1_14UnaryOpFunctorIN3c104HalfELi1ELi1ELi0EEEJNS0_4SignIfEEEEEvT_T0_DpT1_,"axG",@progbits,_ZN2at6native12_GLOBAL__N_125multi_tensor_apply_kernelINS1_18TensorListMetadataILi1EEENS1_14UnaryOpFunctorIN3c104HalfELi1ELi1ELi0EEEJNS0_4SignIfEEEEEvT_T0_DpT1_,comdat
.Lfunc_end291:
	.size	_ZN2at6native12_GLOBAL__N_125multi_tensor_apply_kernelINS1_18TensorListMetadataILi1EEENS1_14UnaryOpFunctorIN3c104HalfELi1ELi1ELi0EEEJNS0_4SignIfEEEEEvT_T0_DpT1_, .Lfunc_end291-_ZN2at6native12_GLOBAL__N_125multi_tensor_apply_kernelINS1_18TensorListMetadataILi1EEENS1_14UnaryOpFunctorIN3c104HalfELi1ELi1ELi0EEEJNS0_4SignIfEEEEEvT_T0_DpT1_
                                        ; -- End function
	.set _ZN2at6native12_GLOBAL__N_125multi_tensor_apply_kernelINS1_18TensorListMetadataILi1EEENS1_14UnaryOpFunctorIN3c104HalfELi1ELi1ELi0EEEJNS0_4SignIfEEEEEvT_T0_DpT1_.num_vgpr, 25
	.set _ZN2at6native12_GLOBAL__N_125multi_tensor_apply_kernelINS1_18TensorListMetadataILi1EEENS1_14UnaryOpFunctorIN3c104HalfELi1ELi1ELi0EEEJNS0_4SignIfEEEEEvT_T0_DpT1_.num_agpr, 0
	.set _ZN2at6native12_GLOBAL__N_125multi_tensor_apply_kernelINS1_18TensorListMetadataILi1EEENS1_14UnaryOpFunctorIN3c104HalfELi1ELi1ELi0EEEJNS0_4SignIfEEEEEvT_T0_DpT1_.numbered_sgpr, 20
	.set _ZN2at6native12_GLOBAL__N_125multi_tensor_apply_kernelINS1_18TensorListMetadataILi1EEENS1_14UnaryOpFunctorIN3c104HalfELi1ELi1ELi0EEEJNS0_4SignIfEEEEEvT_T0_DpT1_.num_named_barrier, 0
	.set _ZN2at6native12_GLOBAL__N_125multi_tensor_apply_kernelINS1_18TensorListMetadataILi1EEENS1_14UnaryOpFunctorIN3c104HalfELi1ELi1ELi0EEEJNS0_4SignIfEEEEEvT_T0_DpT1_.private_seg_size, 0
	.set _ZN2at6native12_GLOBAL__N_125multi_tensor_apply_kernelINS1_18TensorListMetadataILi1EEENS1_14UnaryOpFunctorIN3c104HalfELi1ELi1ELi0EEEJNS0_4SignIfEEEEEvT_T0_DpT1_.uses_vcc, 1
	.set _ZN2at6native12_GLOBAL__N_125multi_tensor_apply_kernelINS1_18TensorListMetadataILi1EEENS1_14UnaryOpFunctorIN3c104HalfELi1ELi1ELi0EEEJNS0_4SignIfEEEEEvT_T0_DpT1_.uses_flat_scratch, 0
	.set _ZN2at6native12_GLOBAL__N_125multi_tensor_apply_kernelINS1_18TensorListMetadataILi1EEENS1_14UnaryOpFunctorIN3c104HalfELi1ELi1ELi0EEEJNS0_4SignIfEEEEEvT_T0_DpT1_.has_dyn_sized_stack, 0
	.set _ZN2at6native12_GLOBAL__N_125multi_tensor_apply_kernelINS1_18TensorListMetadataILi1EEENS1_14UnaryOpFunctorIN3c104HalfELi1ELi1ELi0EEEJNS0_4SignIfEEEEEvT_T0_DpT1_.has_recursion, 0
	.set _ZN2at6native12_GLOBAL__N_125multi_tensor_apply_kernelINS1_18TensorListMetadataILi1EEENS1_14UnaryOpFunctorIN3c104HalfELi1ELi1ELi0EEEJNS0_4SignIfEEEEEvT_T0_DpT1_.has_indirect_call, 0
	.section	.AMDGPU.csdata,"",@progbits
; Kernel info:
; codeLenInByte = 1220
; TotalNumSgprs: 22
; NumVgprs: 25
; ScratchSize: 0
; MemoryBound: 0
; FloatMode: 240
; IeeeMode: 1
; LDSByteSize: 0 bytes/workgroup (compile time only)
; SGPRBlocks: 0
; VGPRBlocks: 1
; NumSGPRsForWavesPerEU: 22
; NumVGPRsForWavesPerEU: 25
; NamedBarCnt: 0
; Occupancy: 16
; WaveLimiterHint : 0
; COMPUTE_PGM_RSRC2:SCRATCH_EN: 0
; COMPUTE_PGM_RSRC2:USER_SGPR: 2
; COMPUTE_PGM_RSRC2:TRAP_HANDLER: 0
; COMPUTE_PGM_RSRC2:TGID_X_EN: 1
; COMPUTE_PGM_RSRC2:TGID_Y_EN: 0
; COMPUTE_PGM_RSRC2:TGID_Z_EN: 0
; COMPUTE_PGM_RSRC2:TIDIG_COMP_CNT: 0
	.section	.text._ZN2at6native12_GLOBAL__N_125multi_tensor_apply_kernelINS1_18TensorListMetadataILi1EEENS1_14UnaryOpFunctorIN3c108BFloat16ELi1ELi1ELi0EEEJNS0_4SignIfEEEEEvT_T0_DpT1_,"axG",@progbits,_ZN2at6native12_GLOBAL__N_125multi_tensor_apply_kernelINS1_18TensorListMetadataILi1EEENS1_14UnaryOpFunctorIN3c108BFloat16ELi1ELi1ELi0EEEJNS0_4SignIfEEEEEvT_T0_DpT1_,comdat
	.globl	_ZN2at6native12_GLOBAL__N_125multi_tensor_apply_kernelINS1_18TensorListMetadataILi1EEENS1_14UnaryOpFunctorIN3c108BFloat16ELi1ELi1ELi0EEEJNS0_4SignIfEEEEEvT_T0_DpT1_ ; -- Begin function _ZN2at6native12_GLOBAL__N_125multi_tensor_apply_kernelINS1_18TensorListMetadataILi1EEENS1_14UnaryOpFunctorIN3c108BFloat16ELi1ELi1ELi0EEEJNS0_4SignIfEEEEEvT_T0_DpT1_
	.p2align	8
	.type	_ZN2at6native12_GLOBAL__N_125multi_tensor_apply_kernelINS1_18TensorListMetadataILi1EEENS1_14UnaryOpFunctorIN3c108BFloat16ELi1ELi1ELi0EEEJNS0_4SignIfEEEEEvT_T0_DpT1_,@function
_ZN2at6native12_GLOBAL__N_125multi_tensor_apply_kernelINS1_18TensorListMetadataILi1EEENS1_14UnaryOpFunctorIN3c108BFloat16ELi1ELi1ELi0EEEJNS0_4SignIfEEEEEvT_T0_DpT1_: ; @_ZN2at6native12_GLOBAL__N_125multi_tensor_apply_kernelINS1_18TensorListMetadataILi1EEENS1_14UnaryOpFunctorIN3c108BFloat16ELi1ELi1ELi0EEEJNS0_4SignIfEEEEEvT_T0_DpT1_
; %bb.0:
	s_bfe_u32 s2, ttmp6, 0x4000c
	s_and_b32 s3, ttmp6, 15
	s_add_co_i32 s2, s2, 1
	s_getreg_b32 s4, hwreg(HW_REG_IB_STS2, 6, 4)
	s_mul_i32 s2, ttmp9, s2
	s_delay_alu instid0(SALU_CYCLE_1)
	s_add_co_i32 s3, s3, s2
	s_cmp_eq_u32 s4, 0
	s_cselect_b32 s2, ttmp9, s3
	s_mov_b32 s3, 0
	s_load_u8 s8, s[0:1], s2 offset:0x6e0
	s_add_nc_u64 s[4:5], s[0:1], s[2:3]
	s_mul_u64 s[6:7], s[2:3], 3
	s_delay_alu instid0(SALU_CYCLE_1)
	s_add_nc_u64 s[4:5], s[4:5], s[6:7]
	s_load_b32 s10, s[4:5], 0x820
	s_wait_kmcnt 0x0
	s_clause 0x1
	s_load_b64 s[6:7], s[0:1], s8 offset:0x0 scale_offset
	s_load_b64 s[12:13], s[0:1], s8 offset:0x370 scale_offset
	s_ashr_i32 s11, s10, 31
	s_wait_kmcnt 0x0
	s_and_b64 s[4:5], s[6:7], 7
	s_and_b32 s2, s12, 3
	s_lshl_b64 s[8:9], s[10:11], 17
	s_or_b64 s[2:3], s[4:5], s[2:3]
	s_lshl_b64 s[4:5], s[10:11], 16
	s_cmp_eq_u64 s[2:3], 0
	s_sub_nc_u64 s[10:11], s[12:13], s[4:5]
	s_cbranch_scc1 .LBB292_21
; %bb.1:
	v_cmp_lt_i64_e64 s2, s[10:11], 1
	s_and_b32 vcc_lo, exec_lo, s2
	s_cbranch_vccnz .LBB292_20
; %bb.2:
	s_load_b32 s2, s[0:1], 0xd3c
	v_min_i64 v[2:3], 0x10000, s[10:11]
	v_min_u64 v[4:5], 0x10000, s[10:11]
	v_dual_mov_b32 v1, 0 :: v_dual_lshlrev_b32 v8, 1, v0
	s_mov_b32 s3, 0
	s_add_nc_u64 s[4:5], s[6:7], s[8:9]
	s_mov_b32 s15, s3
	s_delay_alu instid0(VALU_DEP_1)
	v_mov_b32_e32 v15, v1
	s_mov_b32 s17, s3
	s_mov_b32 s13, s3
	s_mov_b64 s[18:19], 0
	s_wait_kmcnt 0x0
	s_and_b32 s2, s2, 0xffff
	s_delay_alu instid0(SALU_CYCLE_1)
	v_add_nc_u64_e32 v[6:7], s[2:3], v[0:1]
	v_mov_b32_e32 v9, v1
	s_lshl_b32 s14, s2, 1
	s_mul_i32 s16, s2, 3
	v_add_nc_u64_e32 v[12:13], s[14:15], v[0:1]
	v_add_nc_u64_e32 v[10:11], s[16:17], v[0:1]
	s_lshl_b32 s12, s2, 2
	v_lshlrev_b32_e32 v14, 1, v6
	v_add_nc_u64_e32 v[8:9], s[4:5], v[8:9]
	s_lshl_b32 s14, s2, 3
	s_mul_u64 s[16:17], s[2:3], 6
	s_delay_alu instid0(VALU_DEP_2)
	v_add_nc_u64_e32 v[14:15], s[4:5], v[14:15]
	s_branch .LBB292_4
.LBB292_3:                              ;   in Loop: Header=BB292_4 Depth=1
	s_wait_xcnt 0x0
	s_or_b32 exec_lo, exec_lo, s2
	s_add_nc_u64 s[18:19], s[18:19], s[12:13]
	v_add_nc_u64_e32 v[8:9], s[14:15], v[8:9]
	v_cmp_lt_i64_e32 vcc_lo, s[18:19], v[2:3]
	v_add_nc_u64_e32 v[14:15], s[14:15], v[14:15]
	s_cbranch_vccz .LBB292_20
.LBB292_4:                              ; =>This Inner Loop Header: Depth=1
	v_add_nc_u64_e32 v[16:17], s[18:19], v[0:1]
	v_mov_b32_e32 v21, 0
	s_delay_alu instid0(VALU_DEP_2)
	v_cmp_lt_u64_e64 s4, v[16:17], v[4:5]
	s_and_saveexec_b32 s2, s4
	s_cbranch_execz .LBB292_6
; %bb.5:                                ;   in Loop: Header=BB292_4 Depth=1
	global_load_u16 v16, v[8:9], off
	s_wait_loadcnt 0x0
	v_lshlrev_b32_e32 v21, 16, v16
.LBB292_6:                              ;   in Loop: Header=BB292_4 Depth=1
	s_wait_xcnt 0x0
	s_or_b32 exec_lo, exec_lo, s2
	v_add_nc_u64_e32 v[16:17], s[18:19], v[6:7]
	v_dual_mov_b32 v20, 0 :: v_dual_mov_b32 v22, 0
	s_delay_alu instid0(VALU_DEP_2)
	v_cmp_lt_u64_e32 vcc_lo, v[16:17], v[4:5]
	s_and_saveexec_b32 s2, vcc_lo
	s_cbranch_execz .LBB292_8
; %bb.7:                                ;   in Loop: Header=BB292_4 Depth=1
	global_load_u16 v16, v[14:15], off
	s_wait_loadcnt 0x0
	v_lshlrev_b32_e32 v22, 16, v16
.LBB292_8:                              ;   in Loop: Header=BB292_4 Depth=1
	s_wait_xcnt 0x0
	s_or_b32 exec_lo, exec_lo, s2
	v_add_nc_u64_e32 v[16:17], s[18:19], v[12:13]
	s_delay_alu instid0(VALU_DEP_1)
	v_cmp_lt_u64_e64 s2, v[16:17], v[4:5]
	v_add_nc_u64_e32 v[16:17], s[12:13], v[8:9]
	s_and_saveexec_b32 s3, s2
	s_cbranch_execz .LBB292_10
; %bb.9:                                ;   in Loop: Header=BB292_4 Depth=1
	global_load_u16 v18, v[16:17], off
	s_wait_loadcnt 0x0
	v_lshlrev_b32_e32 v20, 16, v18
.LBB292_10:                             ;   in Loop: Header=BB292_4 Depth=1
	s_wait_xcnt 0x0
	s_or_b32 exec_lo, exec_lo, s3
	v_add_nc_u64_e32 v[18:19], s[18:19], v[10:11]
	v_mov_b32_e32 v23, 0
	s_delay_alu instid0(VALU_DEP_2)
	v_cmp_lt_u64_e64 s3, v[18:19], v[4:5]
	v_add_nc_u64_e32 v[18:19], s[16:17], v[8:9]
	s_and_saveexec_b32 s5, s3
	s_cbranch_execnz .LBB292_15
; %bb.11:                               ;   in Loop: Header=BB292_4 Depth=1
	s_or_b32 exec_lo, exec_lo, s5
	s_and_saveexec_b32 s5, s4
	s_cbranch_execnz .LBB292_16
.LBB292_12:                             ;   in Loop: Header=BB292_4 Depth=1
	s_or_b32 exec_lo, exec_lo, s5
	s_and_saveexec_b32 s4, vcc_lo
	s_cbranch_execnz .LBB292_17
.LBB292_13:                             ;   in Loop: Header=BB292_4 Depth=1
	s_or_b32 exec_lo, exec_lo, s4
	s_and_saveexec_b32 s4, s2
	s_cbranch_execnz .LBB292_18
.LBB292_14:                             ;   in Loop: Header=BB292_4 Depth=1
	s_or_b32 exec_lo, exec_lo, s4
	s_and_saveexec_b32 s2, s3
	s_cbranch_execz .LBB292_3
	s_branch .LBB292_19
.LBB292_15:                             ;   in Loop: Header=BB292_4 Depth=1
	global_load_u16 v23, v[18:19], off
	s_wait_loadcnt 0x0
	v_lshlrev_b32_e32 v23, 16, v23
	s_wait_xcnt 0x0
	s_or_b32 exec_lo, exec_lo, s5
	s_and_saveexec_b32 s5, s4
	s_cbranch_execz .LBB292_12
.LBB292_16:                             ;   in Loop: Header=BB292_4 Depth=1
	v_cmp_lt_f32_e64 s4, 0, v21
	s_delay_alu instid0(VALU_DEP_1) | instskip(SKIP_1) | instid1(VALU_DEP_1)
	v_cndmask_b32_e64 v24, 0, 1, s4
	v_cmp_gt_f32_e64 s4, 0, v21
	v_subrev_co_ci_u32_e64 v21, null, 0, v24, s4
	s_delay_alu instid0(VALU_DEP_1) | instskip(NEXT) | instid1(VALU_DEP_1)
	v_cvt_f32_i32_e32 v21, v21
	v_bfe_u32 v24, v21, 16, 1
	s_delay_alu instid0(VALU_DEP_1)
	v_add3_u32 v21, v21, v24, 0x7fff
	global_store_d16_hi_b16 v[8:9], v21, off
	s_wait_xcnt 0x0
	s_or_b32 exec_lo, exec_lo, s5
	s_and_saveexec_b32 s4, vcc_lo
	s_cbranch_execz .LBB292_13
.LBB292_17:                             ;   in Loop: Header=BB292_4 Depth=1
	v_cmp_lt_f32_e32 vcc_lo, 0, v22
	v_cndmask_b32_e64 v21, 0, 1, vcc_lo
	v_cmp_gt_f32_e32 vcc_lo, 0, v22
	s_delay_alu instid0(VALU_DEP_2) | instskip(NEXT) | instid1(VALU_DEP_1)
	v_subrev_co_ci_u32_e64 v21, null, 0, v21, vcc_lo
	v_cvt_f32_i32_e32 v21, v21
	s_delay_alu instid0(VALU_DEP_1) | instskip(NEXT) | instid1(VALU_DEP_1)
	v_bfe_u32 v22, v21, 16, 1
	v_add3_u32 v21, v21, v22, 0x7fff
	global_store_d16_hi_b16 v[14:15], v21, off
	s_wait_xcnt 0x0
	s_or_b32 exec_lo, exec_lo, s4
	s_and_saveexec_b32 s4, s2
	s_cbranch_execz .LBB292_14
.LBB292_18:                             ;   in Loop: Header=BB292_4 Depth=1
	v_cmp_lt_f32_e32 vcc_lo, 0, v20
	v_cndmask_b32_e64 v21, 0, 1, vcc_lo
	v_cmp_gt_f32_e32 vcc_lo, 0, v20
	s_delay_alu instid0(VALU_DEP_2) | instskip(NEXT) | instid1(VALU_DEP_1)
	v_subrev_co_ci_u32_e64 v20, null, 0, v21, vcc_lo
	v_cvt_f32_i32_e32 v20, v20
	s_delay_alu instid0(VALU_DEP_1) | instskip(NEXT) | instid1(VALU_DEP_1)
	v_bfe_u32 v21, v20, 16, 1
	v_add3_u32 v20, v20, v21, 0x7fff
	global_store_d16_hi_b16 v[16:17], v20, off
	s_wait_xcnt 0x0
	s_or_b32 exec_lo, exec_lo, s4
	s_and_saveexec_b32 s2, s3
	s_cbranch_execz .LBB292_3
.LBB292_19:                             ;   in Loop: Header=BB292_4 Depth=1
	v_cmp_lt_f32_e32 vcc_lo, 0, v23
	v_cndmask_b32_e64 v16, 0, 1, vcc_lo
	v_cmp_gt_f32_e32 vcc_lo, 0, v23
	s_delay_alu instid0(VALU_DEP_2) | instskip(NEXT) | instid1(VALU_DEP_1)
	v_subrev_co_ci_u32_e64 v16, null, 0, v16, vcc_lo
	v_cvt_f32_i32_e32 v16, v16
	s_delay_alu instid0(VALU_DEP_1) | instskip(NEXT) | instid1(VALU_DEP_1)
	v_bfe_u32 v17, v16, 16, 1
	v_add3_u32 v16, v16, v17, 0x7fff
	global_store_d16_hi_b16 v[18:19], v16, off
	s_branch .LBB292_3
.LBB292_20:
	s_cbranch_execz .LBB292_22
	s_branch .LBB292_25
.LBB292_21:
.LBB292_22:
	v_min_i64 v[2:3], 0x10000, s[10:11]
	v_dual_mov_b32 v5, 0 :: v_dual_lshlrev_b32 v4, 2, v0
	s_mov_b32 s2, exec_lo
	s_delay_alu instid0(VALU_DEP_1)
	v_cmpx_lt_i64_e64 v[4:5], v[2:3]
	s_cbranch_execz .LBB292_25
; %bb.23:
	s_load_b32 s2, s[0:1], 0xd3c
	v_dual_mov_b32 v1, v5 :: v_dual_lshlrev_b32 v4, 3, v0
	s_wait_xcnt 0x0
	s_add_nc_u64 s[0:1], s[6:7], s[8:9]
	s_delay_alu instid0(VALU_DEP_1) | instid1(SALU_CYCLE_1)
	v_add_nc_u64_e32 v[4:5], s[0:1], v[4:5]
	s_mov_b32 s1, 0
	s_delay_alu instid0(SALU_CYCLE_1) | instskip(SKIP_3) | instid1(SALU_CYCLE_1)
	s_mov_b32 s3, s1
	s_mov_b32 s4, s1
	s_wait_kmcnt 0x0
	s_and_b32 s0, s2, 0xffff
	s_lshl_b32 s2, s0, 3
.LBB292_24:                             ; =>This Inner Loop Header: Depth=1
	global_load_b64 v[6:7], v[4:5], off
	v_add_nc_u64_e32 v[0:1], s[0:1], v[0:1]
	s_wait_loadcnt 0x0
	v_lshlrev_b32_e32 v8, 16, v6
	v_and_b32_e32 v9, 0xffff0000, v6
	v_alignbit_b32 v6, v7, v6, 16
	v_and_b32_e32 v7, 0xffff0000, v7
	s_delay_alu instid0(VALU_DEP_4) | instskip(NEXT) | instid1(VALU_DEP_3)
	v_cmp_lt_f32_e32 vcc_lo, 0, v8
	v_and_b32_e32 v6, 0xffff0000, v6
	v_cndmask_b32_e64 v10, 0, 1, vcc_lo
	v_cmp_lt_f32_e32 vcc_lo, 0, v9
	v_cndmask_b32_e64 v11, 0, 1, vcc_lo
	v_cmp_lt_f32_e32 vcc_lo, 0, v7
	v_cndmask_b32_e64 v12, 0, 1, vcc_lo
	v_cmp_gt_f32_e32 vcc_lo, 0, v8
	v_subrev_co_ci_u32_e64 v8, null, 0, v10, vcc_lo
	v_cmp_lt_f32_e32 vcc_lo, 0, v6
	s_delay_alu instid0(VALU_DEP_2) | instskip(SKIP_4) | instid1(VALU_DEP_2)
	v_cvt_f32_i32_e32 v8, v8
	v_cndmask_b32_e64 v10, 0, 1, vcc_lo
	v_cmp_gt_f32_e32 vcc_lo, 0, v7
	v_subrev_co_ci_u32_e64 v7, null, 0, v12, vcc_lo
	v_cmp_gt_f32_e32 vcc_lo, 0, v6
	v_cvt_f32_i32_e32 v7, v7
	v_subrev_co_ci_u32_e64 v6, null, 0, v10, vcc_lo
	v_cmp_gt_f32_e32 vcc_lo, 0, v9
	v_bfe_u32 v10, v8, 16, 1
	s_delay_alu instid0(VALU_DEP_3) | instskip(SKIP_2) | instid1(VALU_DEP_3)
	v_cvt_f32_i32_e32 v6, v6
	v_subrev_co_ci_u32_e64 v9, null, 0, v11, vcc_lo
	v_bfe_u32 v11, v7, 16, 1
	v_bfe_u32 v12, v6, 16, 1
	v_add3_u32 v8, v8, v10, 0x7fff
	s_delay_alu instid0(VALU_DEP_4) | instskip(NEXT) | instid1(VALU_DEP_4)
	v_cvt_f32_i32_e32 v9, v9
	v_add3_u32 v7, v7, v11, 0x7fff
	s_delay_alu instid0(VALU_DEP_4) | instskip(NEXT) | instid1(VALU_DEP_3)
	v_add3_u32 v6, v6, v12, 0x7fff
	v_bfe_u32 v13, v9, 16, 1
	s_delay_alu instid0(VALU_DEP_3) | instskip(NEXT) | instid1(VALU_DEP_3)
	v_and_b32_e32 v10, 0xffff0000, v7
	v_dual_lshrrev_b32 v11, 16, v6 :: v_dual_lshrrev_b32 v8, 16, v8
	s_delay_alu instid0(VALU_DEP_3) | instskip(SKIP_1) | instid1(VALU_DEP_2)
	v_add3_u32 v9, v9, v13, 0x7fff
	v_lshlrev_b64_e32 v[6:7], 2, v[0:1]
	v_and_or_b32 v8, 0xffff0000, v9, v8
	s_delay_alu instid0(VALU_DEP_4) | instskip(NEXT) | instid1(VALU_DEP_3)
	v_or_b32_e32 v9, v10, v11
	v_cmp_ge_i64_e32 vcc_lo, v[6:7], v[2:3]
	global_store_b64 v[4:5], v[8:9], off
	s_wait_xcnt 0x0
	v_add_nc_u64_e32 v[4:5], s[2:3], v[4:5]
	s_or_b32 s4, vcc_lo, s4
	s_delay_alu instid0(SALU_CYCLE_1)
	s_and_not1_b32 exec_lo, exec_lo, s4
	s_cbranch_execnz .LBB292_24
.LBB292_25:
	s_endpgm
	.section	.rodata,"a",@progbits
	.p2align	6, 0x0
	.amdhsa_kernel _ZN2at6native12_GLOBAL__N_125multi_tensor_apply_kernelINS1_18TensorListMetadataILi1EEENS1_14UnaryOpFunctorIN3c108BFloat16ELi1ELi1ELi0EEEJNS0_4SignIfEEEEEvT_T0_DpT1_
		.amdhsa_group_segment_fixed_size 0
		.amdhsa_private_segment_fixed_size 0
		.amdhsa_kernarg_size 3632
		.amdhsa_user_sgpr_count 2
		.amdhsa_user_sgpr_dispatch_ptr 0
		.amdhsa_user_sgpr_queue_ptr 0
		.amdhsa_user_sgpr_kernarg_segment_ptr 1
		.amdhsa_user_sgpr_dispatch_id 0
		.amdhsa_user_sgpr_kernarg_preload_length 0
		.amdhsa_user_sgpr_kernarg_preload_offset 0
		.amdhsa_user_sgpr_private_segment_size 0
		.amdhsa_wavefront_size32 1
		.amdhsa_uses_dynamic_stack 0
		.amdhsa_enable_private_segment 0
		.amdhsa_system_sgpr_workgroup_id_x 1
		.amdhsa_system_sgpr_workgroup_id_y 0
		.amdhsa_system_sgpr_workgroup_id_z 0
		.amdhsa_system_sgpr_workgroup_info 0
		.amdhsa_system_vgpr_workitem_id 0
		.amdhsa_next_free_vgpr 25
		.amdhsa_next_free_sgpr 20
		.amdhsa_named_barrier_count 0
		.amdhsa_reserve_vcc 1
		.amdhsa_float_round_mode_32 0
		.amdhsa_float_round_mode_16_64 0
		.amdhsa_float_denorm_mode_32 3
		.amdhsa_float_denorm_mode_16_64 3
		.amdhsa_fp16_overflow 0
		.amdhsa_memory_ordered 1
		.amdhsa_forward_progress 1
		.amdhsa_inst_pref_size 12
		.amdhsa_round_robin_scheduling 0
		.amdhsa_exception_fp_ieee_invalid_op 0
		.amdhsa_exception_fp_denorm_src 0
		.amdhsa_exception_fp_ieee_div_zero 0
		.amdhsa_exception_fp_ieee_overflow 0
		.amdhsa_exception_fp_ieee_underflow 0
		.amdhsa_exception_fp_ieee_inexact 0
		.amdhsa_exception_int_div_zero 0
	.end_amdhsa_kernel
	.section	.text._ZN2at6native12_GLOBAL__N_125multi_tensor_apply_kernelINS1_18TensorListMetadataILi1EEENS1_14UnaryOpFunctorIN3c108BFloat16ELi1ELi1ELi0EEEJNS0_4SignIfEEEEEvT_T0_DpT1_,"axG",@progbits,_ZN2at6native12_GLOBAL__N_125multi_tensor_apply_kernelINS1_18TensorListMetadataILi1EEENS1_14UnaryOpFunctorIN3c108BFloat16ELi1ELi1ELi0EEEJNS0_4SignIfEEEEEvT_T0_DpT1_,comdat
.Lfunc_end292:
	.size	_ZN2at6native12_GLOBAL__N_125multi_tensor_apply_kernelINS1_18TensorListMetadataILi1EEENS1_14UnaryOpFunctorIN3c108BFloat16ELi1ELi1ELi0EEEJNS0_4SignIfEEEEEvT_T0_DpT1_, .Lfunc_end292-_ZN2at6native12_GLOBAL__N_125multi_tensor_apply_kernelINS1_18TensorListMetadataILi1EEENS1_14UnaryOpFunctorIN3c108BFloat16ELi1ELi1ELi0EEEJNS0_4SignIfEEEEEvT_T0_DpT1_
                                        ; -- End function
	.set _ZN2at6native12_GLOBAL__N_125multi_tensor_apply_kernelINS1_18TensorListMetadataILi1EEENS1_14UnaryOpFunctorIN3c108BFloat16ELi1ELi1ELi0EEEJNS0_4SignIfEEEEEvT_T0_DpT1_.num_vgpr, 25
	.set _ZN2at6native12_GLOBAL__N_125multi_tensor_apply_kernelINS1_18TensorListMetadataILi1EEENS1_14UnaryOpFunctorIN3c108BFloat16ELi1ELi1ELi0EEEJNS0_4SignIfEEEEEvT_T0_DpT1_.num_agpr, 0
	.set _ZN2at6native12_GLOBAL__N_125multi_tensor_apply_kernelINS1_18TensorListMetadataILi1EEENS1_14UnaryOpFunctorIN3c108BFloat16ELi1ELi1ELi0EEEJNS0_4SignIfEEEEEvT_T0_DpT1_.numbered_sgpr, 20
	.set _ZN2at6native12_GLOBAL__N_125multi_tensor_apply_kernelINS1_18TensorListMetadataILi1EEENS1_14UnaryOpFunctorIN3c108BFloat16ELi1ELi1ELi0EEEJNS0_4SignIfEEEEEvT_T0_DpT1_.num_named_barrier, 0
	.set _ZN2at6native12_GLOBAL__N_125multi_tensor_apply_kernelINS1_18TensorListMetadataILi1EEENS1_14UnaryOpFunctorIN3c108BFloat16ELi1ELi1ELi0EEEJNS0_4SignIfEEEEEvT_T0_DpT1_.private_seg_size, 0
	.set _ZN2at6native12_GLOBAL__N_125multi_tensor_apply_kernelINS1_18TensorListMetadataILi1EEENS1_14UnaryOpFunctorIN3c108BFloat16ELi1ELi1ELi0EEEJNS0_4SignIfEEEEEvT_T0_DpT1_.uses_vcc, 1
	.set _ZN2at6native12_GLOBAL__N_125multi_tensor_apply_kernelINS1_18TensorListMetadataILi1EEENS1_14UnaryOpFunctorIN3c108BFloat16ELi1ELi1ELi0EEEJNS0_4SignIfEEEEEvT_T0_DpT1_.uses_flat_scratch, 0
	.set _ZN2at6native12_GLOBAL__N_125multi_tensor_apply_kernelINS1_18TensorListMetadataILi1EEENS1_14UnaryOpFunctorIN3c108BFloat16ELi1ELi1ELi0EEEJNS0_4SignIfEEEEEvT_T0_DpT1_.has_dyn_sized_stack, 0
	.set _ZN2at6native12_GLOBAL__N_125multi_tensor_apply_kernelINS1_18TensorListMetadataILi1EEENS1_14UnaryOpFunctorIN3c108BFloat16ELi1ELi1ELi0EEEJNS0_4SignIfEEEEEvT_T0_DpT1_.has_recursion, 0
	.set _ZN2at6native12_GLOBAL__N_125multi_tensor_apply_kernelINS1_18TensorListMetadataILi1EEENS1_14UnaryOpFunctorIN3c108BFloat16ELi1ELi1ELi0EEEJNS0_4SignIfEEEEEvT_T0_DpT1_.has_indirect_call, 0
	.section	.AMDGPU.csdata,"",@progbits
; Kernel info:
; codeLenInByte = 1432
; TotalNumSgprs: 22
; NumVgprs: 25
; ScratchSize: 0
; MemoryBound: 0
; FloatMode: 240
; IeeeMode: 1
; LDSByteSize: 0 bytes/workgroup (compile time only)
; SGPRBlocks: 0
; VGPRBlocks: 1
; NumSGPRsForWavesPerEU: 22
; NumVGPRsForWavesPerEU: 25
; NamedBarCnt: 0
; Occupancy: 16
; WaveLimiterHint : 0
; COMPUTE_PGM_RSRC2:SCRATCH_EN: 0
; COMPUTE_PGM_RSRC2:USER_SGPR: 2
; COMPUTE_PGM_RSRC2:TRAP_HANDLER: 0
; COMPUTE_PGM_RSRC2:TGID_X_EN: 1
; COMPUTE_PGM_RSRC2:TGID_Y_EN: 0
; COMPUTE_PGM_RSRC2:TGID_Z_EN: 0
; COMPUTE_PGM_RSRC2:TIDIG_COMP_CNT: 0
	.section	.text._ZN2at6native12_GLOBAL__N_125multi_tensor_apply_kernelINS1_18TensorListMetadataILi2EEENS1_14UnaryOpFunctorIdLi2ELi1ELi1EEEJNS0_5RsqrtIdEEEEEvT_T0_DpT1_,"axG",@progbits,_ZN2at6native12_GLOBAL__N_125multi_tensor_apply_kernelINS1_18TensorListMetadataILi2EEENS1_14UnaryOpFunctorIdLi2ELi1ELi1EEEJNS0_5RsqrtIdEEEEEvT_T0_DpT1_,comdat
	.globl	_ZN2at6native12_GLOBAL__N_125multi_tensor_apply_kernelINS1_18TensorListMetadataILi2EEENS1_14UnaryOpFunctorIdLi2ELi1ELi1EEEJNS0_5RsqrtIdEEEEEvT_T0_DpT1_ ; -- Begin function _ZN2at6native12_GLOBAL__N_125multi_tensor_apply_kernelINS1_18TensorListMetadataILi2EEENS1_14UnaryOpFunctorIdLi2ELi1ELi1EEEJNS0_5RsqrtIdEEEEEvT_T0_DpT1_
	.p2align	8
	.type	_ZN2at6native12_GLOBAL__N_125multi_tensor_apply_kernelINS1_18TensorListMetadataILi2EEENS1_14UnaryOpFunctorIdLi2ELi1ELi1EEEJNS0_5RsqrtIdEEEEEvT_T0_DpT1_,@function
_ZN2at6native12_GLOBAL__N_125multi_tensor_apply_kernelINS1_18TensorListMetadataILi2EEENS1_14UnaryOpFunctorIdLi2ELi1ELi1EEEJNS0_5RsqrtIdEEEEEvT_T0_DpT1_: ; @_ZN2at6native12_GLOBAL__N_125multi_tensor_apply_kernelINS1_18TensorListMetadataILi2EEENS1_14UnaryOpFunctorIdLi2ELi1ELi1EEEJNS0_5RsqrtIdEEEEEvT_T0_DpT1_
; %bb.0:
	s_bfe_u32 s2, ttmp6, 0x4000c
	s_and_b32 s3, ttmp6, 15
	s_add_co_i32 s2, s2, 1
	s_getreg_b32 s4, hwreg(HW_REG_IB_STS2, 6, 4)
	s_mul_i32 s2, ttmp9, s2
	s_delay_alu instid0(SALU_CYCLE_1)
	s_add_co_i32 s3, s3, s2
	s_cmp_eq_u32 s4, 0
	s_cselect_b32 s2, ttmp9, s3
	s_mov_b32 s3, 0
	s_load_u8 s13, s[0:1], s2 offset:0x600
	s_add_nc_u64 s[4:5], s[0:1], s[2:3]
	s_mul_u64 s[6:7], s[2:3], 3
	s_delay_alu instid0(SALU_CYCLE_1)
	s_add_nc_u64 s[4:5], s[4:5], s[6:7]
	s_load_b32 s12, s[4:5], 0x740
	s_wait_kmcnt 0x0
	s_clause 0x2
	s_load_b64 s[8:9], s[0:1], s13 offset:0x0 scale_offset
	s_load_b64 s[10:11], s[0:1], s13 offset:0x200 scale_offset
	;; [unrolled: 1-line block ×3, first 2 shown]
	s_mov_b32 s5, s3
	s_wait_xcnt 0x0
	s_ashr_i32 s13, s12, 31
	s_delay_alu instid0(SALU_CYCLE_1)
	s_lshl_b64 s[6:7], s[12:13], 19
	s_wait_kmcnt 0x0
	s_and_b64 s[18:19], s[10:11], 31
	s_add_nc_u64 s[16:17], s[8:9], s[6:7]
	s_and_b32 s4, s14, 3
	s_and_b32 s2, s16, 31
	s_or_b64 s[4:5], s[18:19], s[4:5]
	s_lshl_b64 s[12:13], s[12:13], 16
	s_or_b64 s[2:3], s[4:5], s[2:3]
	s_sub_nc_u64 s[12:13], s[14:15], s[12:13]
	s_cmp_eq_u64 s[2:3], 0
	s_mov_b32 s2, -1
	s_cbranch_scc0 .LBB293_5
; %bb.1:
	v_min_i64 v[2:3], 0x10000, s[12:13]
	v_dual_mov_b32 v5, 0 :: v_dual_lshlrev_b32 v4, 2, v0
	s_mov_b32 s18, exec_lo
	s_delay_alu instid0(VALU_DEP_1)
	v_cmpx_lt_i64_e64 v[4:5], v[2:3]
	s_cbranch_execz .LBB293_4
; %bb.2:
	s_load_b32 s2, s[0:1], 0xc5c
	v_dual_mov_b32 v1, v5 :: v_dual_lshlrev_b32 v4, 5, v0
	s_mov_b32 s15, 0
	s_delay_alu instid0(SALU_CYCLE_1) | instskip(NEXT) | instid1(VALU_DEP_1)
	s_mov_b32 s17, s15
	v_add_nc_u64_e32 v[4:5], s[6:7], v[4:5]
	s_delay_alu instid0(VALU_DEP_2) | instskip(SKIP_3) | instid1(SALU_CYCLE_1)
	v_mov_b64_e32 v[6:7], v[0:1]
	s_mov_b32 s19, s15
	s_wait_kmcnt 0x0
	s_and_b32 s14, s2, 0xffff
	s_lshl_b32 s16, s14, 5
.LBB293_3:                              ; =>This Inner Loop Header: Depth=1
	s_delay_alu instid0(VALU_DEP_2) | instskip(NEXT) | instid1(VALU_DEP_2)
	v_add_nc_u64_e32 v[16:17], s[8:9], v[4:5]
	v_add_nc_u64_e32 v[6:7], s[14:15], v[6:7]
	s_clause 0x1
	global_load_b128 v[8:11], v[16:17], off
	global_load_b128 v[12:15], v[16:17], off offset:16
	s_wait_loadcnt 0x1
	s_wait_xcnt 0x0
	v_rsq_f64_e32 v[16:17], v[8:9]
	v_rsq_f64_e32 v[18:19], v[10:11]
	s_wait_loadcnt 0x0
	v_rsq_f64_e32 v[20:21], v[12:13]
	v_rsq_f64_e32 v[22:23], v[14:15]
	v_cmp_class_f64_e64 vcc_lo, v[16:17], 0x180
	s_delay_alu instid0(TRANS32_DEP_3) | instskip(NEXT) | instid1(TRANS32_DEP_2)
	v_mul_f64_e64 v[10:11], v[18:19], -v[10:11]
	v_cmp_class_f64_e64 s3, v[20:21], 0x180
	v_cmp_class_f64_e64 s2, v[18:19], 0x180
	s_delay_alu instid0(TRANS32_DEP_1) | instskip(NEXT) | instid1(VALU_DEP_4)
	v_cmp_class_f64_e64 s4, v[22:23], 0x180
	v_fma_f64 v[10:11], v[10:11], v[18:19], 1.0
	s_delay_alu instid0(VALU_DEP_1) | instskip(SKIP_1) | instid1(VALU_DEP_1)
	v_mul_f64_e32 v[26:27], v[18:19], v[10:11]
	v_fma_f64 v[10:11], 0x3fd80000, v[10:11], 0.5
	v_fma_f64 v[10:11], v[26:27], v[10:11], v[18:19]
	v_mul_f64_e64 v[8:9], v[16:17], -v[8:9]
	v_mul_f64_e64 v[12:13], v[20:21], -v[12:13]
	v_add_nc_u64_e32 v[26:27], s[10:11], v[4:5]
	v_add_nc_u64_e32 v[4:5], s[16:17], v[4:5]
	v_cndmask_b32_e64 v11, v19, v11, s2
	v_fma_f64 v[8:9], v[8:9], v[16:17], 1.0
	v_cndmask_b32_e64 v10, v18, v10, s2
	v_fma_f64 v[12:13], v[12:13], v[20:21], 1.0
	s_delay_alu instid0(VALU_DEP_3) | instskip(SKIP_1) | instid1(VALU_DEP_1)
	v_mul_f64_e32 v[24:25], v[16:17], v[8:9]
	v_fma_f64 v[8:9], 0x3fd80000, v[8:9], 0.5
	v_fma_f64 v[8:9], v[24:25], v[8:9], v[16:17]
	v_mul_f64_e64 v[14:15], v[22:23], -v[14:15]
	v_lshlrev_b64_e32 v[24:25], 2, v[6:7]
	s_delay_alu instid0(VALU_DEP_1) | instskip(SKIP_3) | instid1(VALU_DEP_1)
	v_cmp_ge_i64_e64 s5, v[24:25], v[2:3]
	s_or_b32 s19, s5, s19
	v_cndmask_b32_e32 v8, v16, v8, vcc_lo
	v_fma_f64 v[14:15], v[14:15], v[22:23], 1.0
	v_dual_mul_f64 v[30:31], v[22:23], v[14:15] :: v_dual_cndmask_b32 v9, v17, v9, vcc_lo
	v_fma_f64 v[14:15], 0x3fd80000, v[14:15], 0.5
	s_delay_alu instid0(VALU_DEP_1) | instskip(SKIP_2) | instid1(VALU_DEP_3)
	v_fma_f64 v[14:15], v[30:31], v[14:15], v[22:23]
	v_mul_f64_e32 v[28:29], v[20:21], v[12:13]
	v_fma_f64 v[12:13], 0x3fd80000, v[12:13], 0.5
	v_dual_cndmask_b32 v14, v22, v14, s4 :: v_dual_cndmask_b32 v15, v23, v15, s4
	s_delay_alu instid0(VALU_DEP_2) | instskip(NEXT) | instid1(VALU_DEP_1)
	v_fma_f64 v[12:13], v[28:29], v[12:13], v[20:21]
	v_dual_cndmask_b32 v13, v21, v13, s3 :: v_dual_cndmask_b32 v12, v20, v12, s3
	s_clause 0x1
	global_store_b128 v[26:27], v[8:11], off
	global_store_b128 v[26:27], v[12:15], off offset:16
	s_wait_xcnt 0x0
	s_and_not1_b32 exec_lo, exec_lo, s19
	s_cbranch_execnz .LBB293_3
.LBB293_4:
	s_or_b32 exec_lo, exec_lo, s18
	s_mov_b32 s2, 0
.LBB293_5:
	s_delay_alu instid0(SALU_CYCLE_1)
	s_and_not1_b32 vcc_lo, exec_lo, s2
	s_cbranch_vccnz .LBB293_25
; %bb.6:
	v_cmp_lt_i64_e64 s2, s[12:13], 1
	s_and_b32 vcc_lo, exec_lo, s2
	s_cbranch_vccnz .LBB293_25
; %bb.7:
	s_load_b32 s0, s[0:1], 0xc5c
	v_min_i64 v[2:3], 0x10000, s[12:13]
	v_min_u64 v[4:5], 0x10000, s[12:13]
	v_dual_mov_b32 v1, 0 :: v_dual_lshlrev_b32 v10, 3, v0
	s_wait_xcnt 0x0
	s_mov_b32 s1, 0
	s_delay_alu instid0(SALU_CYCLE_1) | instskip(NEXT) | instid1(VALU_DEP_1)
	s_mov_b32 s13, s1
	v_dual_mov_b32 v11, v1 :: v_dual_mov_b32 v27, v1
	s_mov_b32 s3, s1
	s_mov_b32 s5, s1
	s_delay_alu instid0(VALU_DEP_1) | instskip(SKIP_2) | instid1(SALU_CYCLE_1)
	v_add_nc_u64_e32 v[6:7], s[8:9], v[10:11]
	s_wait_kmcnt 0x0
	s_and_b32 s0, s0, 0xffff
	v_add_nc_u64_e32 v[8:9], s[0:1], v[0:1]
	v_mad_nc_u64_u32 v[22:23], s0, 24, v[10:11]
	s_lshl_b32 s12, s0, 4
	s_mul_i32 s4, s0, 3
	v_add_nc_u64_e32 v[18:19], s[12:13], v[10:11]
	s_lshl_b32 s2, s0, 1
	v_add_nc_u64_e32 v[10:11], s[10:11], v[10:11]
	v_lshlrev_b32_e32 v26, 3, v8
	v_add_nc_u64_e32 v[12:13], s[4:5], v[0:1]
	v_add_nc_u64_e32 v[14:15], s[2:3], v[0:1]
	s_lshl_b32 s4, s0, 2
	v_add_nc_u64_e32 v[16:17], s[8:9], v[18:19]
	v_add_nc_u64_e32 v[18:19], s[10:11], v[18:19]
	;; [unrolled: 1-line block ×6, first 2 shown]
	s_lshl_b32 s8, s0, 5
	s_mov_b32 s9, s1
	s_mov_b64 s[10:11], 0
	s_branch .LBB293_9
.LBB293_8:                              ;   in Loop: Header=BB293_9 Depth=1
	s_wait_xcnt 0x0
	s_or_b32 exec_lo, exec_lo, s0
	s_add_nc_u64 s[10:11], s[10:11], s[4:5]
	v_add_nc_u64_e32 v[6:7], s[8:9], v[6:7]
	v_cmp_ge_i64_e32 vcc_lo, s[10:11], v[2:3]
	v_add_nc_u64_e32 v[10:11], s[8:9], v[10:11]
	v_add_nc_u64_e32 v[20:21], s[8:9], v[20:21]
	;; [unrolled: 1-line block ×7, first 2 shown]
	s_cbranch_vccnz .LBB293_25
.LBB293_9:                              ; =>This Inner Loop Header: Depth=1
	s_wait_loadcnt 0x0
	v_add_nc_u64_e32 v[28:29], s[10:11], v[0:1]
	v_mov_b64_e32 v[30:31], 0
	v_mov_b64_e32 v[34:35], 0
	s_delay_alu instid0(VALU_DEP_3)
	v_cmp_lt_u64_e64 s2, v[28:29], v[4:5]
	s_and_saveexec_b32 s0, s2
	s_cbranch_execz .LBB293_11
; %bb.10:                               ;   in Loop: Header=BB293_9 Depth=1
	v_add_nc_u64_e32 v[28:29], s[6:7], v[6:7]
	global_load_b64 v[34:35], v[28:29], off
.LBB293_11:                             ;   in Loop: Header=BB293_9 Depth=1
	s_wait_xcnt 0x0
	s_or_b32 exec_lo, exec_lo, s0
	v_add_nc_u64_e32 v[28:29], s[10:11], v[8:9]
	s_delay_alu instid0(VALU_DEP_1)
	v_cmp_lt_u64_e64 s1, v[28:29], v[4:5]
	s_and_saveexec_b32 s0, s1
	s_cbranch_execz .LBB293_13
; %bb.12:                               ;   in Loop: Header=BB293_9 Depth=1
	v_add_nc_u64_e32 v[28:29], s[6:7], v[24:25]
	global_load_b64 v[30:31], v[28:29], off
.LBB293_13:                             ;   in Loop: Header=BB293_9 Depth=1
	s_wait_xcnt 0x0
	s_or_b32 exec_lo, exec_lo, s0
	v_add_nc_u64_e32 v[32:33], s[10:11], v[14:15]
	v_mov_b64_e32 v[28:29], 0
	s_delay_alu instid0(VALU_DEP_2)
	v_cmp_lt_u64_e64 s0, v[32:33], v[4:5]
	v_mov_b64_e32 v[32:33], 0
	s_and_saveexec_b32 s3, s0
	s_cbranch_execz .LBB293_15
; %bb.14:                               ;   in Loop: Header=BB293_9 Depth=1
	v_add_nc_u64_e32 v[32:33], s[6:7], v[16:17]
	global_load_b64 v[32:33], v[32:33], off
.LBB293_15:                             ;   in Loop: Header=BB293_9 Depth=1
	s_wait_xcnt 0x0
	s_or_b32 exec_lo, exec_lo, s3
	v_add_nc_u64_e32 v[36:37], s[10:11], v[12:13]
	s_delay_alu instid0(VALU_DEP_1)
	v_cmp_lt_u64_e32 vcc_lo, v[36:37], v[4:5]
	s_and_saveexec_b32 s3, vcc_lo
	s_cbranch_execnz .LBB293_20
; %bb.16:                               ;   in Loop: Header=BB293_9 Depth=1
	s_or_b32 exec_lo, exec_lo, s3
	s_and_saveexec_b32 s3, s2
	s_cbranch_execnz .LBB293_21
.LBB293_17:                             ;   in Loop: Header=BB293_9 Depth=1
	s_or_b32 exec_lo, exec_lo, s3
	s_and_saveexec_b32 s2, s1
	s_cbranch_execnz .LBB293_22
.LBB293_18:                             ;   in Loop: Header=BB293_9 Depth=1
	s_or_b32 exec_lo, exec_lo, s2
	s_and_saveexec_b32 s1, s0
	s_cbranch_execnz .LBB293_23
.LBB293_19:                             ;   in Loop: Header=BB293_9 Depth=1
	s_or_b32 exec_lo, exec_lo, s1
	s_and_saveexec_b32 s0, vcc_lo
	s_cbranch_execz .LBB293_8
	s_branch .LBB293_24
.LBB293_20:                             ;   in Loop: Header=BB293_9 Depth=1
	v_add_nc_u64_e32 v[28:29], s[6:7], v[20:21]
	global_load_b64 v[28:29], v[28:29], off
	s_wait_xcnt 0x0
	s_or_b32 exec_lo, exec_lo, s3
	s_and_saveexec_b32 s3, s2
	s_cbranch_execz .LBB293_17
.LBB293_21:                             ;   in Loop: Header=BB293_9 Depth=1
	s_wait_loadcnt 0x0
	v_rsq_f64_e32 v[36:37], v[34:35]
	v_nop
	s_delay_alu instid0(TRANS32_DEP_1) | instskip(SKIP_1) | instid1(VALU_DEP_2)
	v_mul_f64_e64 v[34:35], v[36:37], -v[34:35]
	v_cmp_class_f64_e64 s2, v[36:37], 0x180
	v_fma_f64 v[34:35], v[34:35], v[36:37], 1.0
	s_delay_alu instid0(VALU_DEP_1) | instskip(SKIP_1) | instid1(VALU_DEP_1)
	v_mul_f64_e32 v[38:39], v[36:37], v[34:35]
	v_fma_f64 v[34:35], 0x3fd80000, v[34:35], 0.5
	v_fma_f64 v[34:35], v[38:39], v[34:35], v[36:37]
	v_add_nc_u64_e32 v[38:39], s[6:7], v[10:11]
	s_delay_alu instid0(VALU_DEP_2)
	v_dual_cndmask_b32 v35, v37, v35, s2 :: v_dual_cndmask_b32 v34, v36, v34, s2
	global_store_b64 v[38:39], v[34:35], off
	s_wait_xcnt 0x0
	s_or_b32 exec_lo, exec_lo, s3
	s_and_saveexec_b32 s2, s1
	s_cbranch_execz .LBB293_18
.LBB293_22:                             ;   in Loop: Header=BB293_9 Depth=1
	s_wait_loadcnt 0x0
	v_rsq_f64_e32 v[34:35], v[30:31]
	v_nop
	s_delay_alu instid0(TRANS32_DEP_1) | instskip(SKIP_1) | instid1(VALU_DEP_2)
	v_mul_f64_e64 v[30:31], v[34:35], -v[30:31]
	v_cmp_class_f64_e64 s1, v[34:35], 0x180
	v_fma_f64 v[30:31], v[30:31], v[34:35], 1.0
	s_delay_alu instid0(VALU_DEP_1) | instskip(SKIP_1) | instid1(VALU_DEP_1)
	v_mul_f64_e32 v[36:37], v[34:35], v[30:31]
	v_fma_f64 v[30:31], 0x3fd80000, v[30:31], 0.5
	v_fma_f64 v[30:31], v[36:37], v[30:31], v[34:35]
	v_add_nc_u64_e32 v[36:37], s[6:7], v[26:27]
	s_delay_alu instid0(VALU_DEP_2)
	v_dual_cndmask_b32 v31, v35, v31, s1 :: v_dual_cndmask_b32 v30, v34, v30, s1
	global_store_b64 v[36:37], v[30:31], off
	s_wait_xcnt 0x0
	s_or_b32 exec_lo, exec_lo, s2
	s_and_saveexec_b32 s1, s0
	s_cbranch_execz .LBB293_19
.LBB293_23:                             ;   in Loop: Header=BB293_9 Depth=1
	s_wait_loadcnt 0x0
	v_rsq_f64_e32 v[30:31], v[32:33]
	v_nop
	s_delay_alu instid0(TRANS32_DEP_1) | instskip(SKIP_1) | instid1(VALU_DEP_2)
	v_mul_f64_e64 v[32:33], v[30:31], -v[32:33]
	v_cmp_class_f64_e64 s0, v[30:31], 0x180
	v_fma_f64 v[32:33], v[32:33], v[30:31], 1.0
	s_delay_alu instid0(VALU_DEP_1) | instskip(SKIP_1) | instid1(VALU_DEP_1)
	v_mul_f64_e32 v[34:35], v[30:31], v[32:33]
	v_fma_f64 v[32:33], 0x3fd80000, v[32:33], 0.5
	v_fma_f64 v[32:33], v[34:35], v[32:33], v[30:31]
	v_add_nc_u64_e32 v[34:35], s[6:7], v[18:19]
	s_delay_alu instid0(VALU_DEP_2)
	v_dual_cndmask_b32 v31, v31, v33, s0 :: v_dual_cndmask_b32 v30, v30, v32, s0
	global_store_b64 v[34:35], v[30:31], off
	s_wait_xcnt 0x0
	s_or_b32 exec_lo, exec_lo, s1
	s_and_saveexec_b32 s0, vcc_lo
	s_cbranch_execz .LBB293_8
.LBB293_24:                             ;   in Loop: Header=BB293_9 Depth=1
	s_wait_loadcnt 0x0
	v_rsq_f64_e32 v[30:31], v[28:29]
	v_nop
	s_delay_alu instid0(TRANS32_DEP_1) | instskip(SKIP_1) | instid1(VALU_DEP_2)
	v_mul_f64_e64 v[28:29], v[30:31], -v[28:29]
	v_cmp_class_f64_e64 vcc_lo, v[30:31], 0x180
	v_fma_f64 v[28:29], v[28:29], v[30:31], 1.0
	s_delay_alu instid0(VALU_DEP_1) | instskip(SKIP_1) | instid1(VALU_DEP_1)
	v_mul_f64_e32 v[32:33], v[30:31], v[28:29]
	v_fma_f64 v[28:29], 0x3fd80000, v[28:29], 0.5
	v_fma_f64 v[28:29], v[32:33], v[28:29], v[30:31]
	v_add_nc_u64_e32 v[32:33], s[6:7], v[22:23]
	s_delay_alu instid0(VALU_DEP_2)
	v_dual_cndmask_b32 v29, v31, v29 :: v_dual_cndmask_b32 v28, v30, v28
	global_store_b64 v[32:33], v[28:29], off
	s_branch .LBB293_8
.LBB293_25:
	s_endpgm
	.section	.rodata,"a",@progbits
	.p2align	6, 0x0
	.amdhsa_kernel _ZN2at6native12_GLOBAL__N_125multi_tensor_apply_kernelINS1_18TensorListMetadataILi2EEENS1_14UnaryOpFunctorIdLi2ELi1ELi1EEEJNS0_5RsqrtIdEEEEEvT_T0_DpT1_
		.amdhsa_group_segment_fixed_size 0
		.amdhsa_private_segment_fixed_size 0
		.amdhsa_kernarg_size 3408
		.amdhsa_user_sgpr_count 2
		.amdhsa_user_sgpr_dispatch_ptr 0
		.amdhsa_user_sgpr_queue_ptr 0
		.amdhsa_user_sgpr_kernarg_segment_ptr 1
		.amdhsa_user_sgpr_dispatch_id 0
		.amdhsa_user_sgpr_kernarg_preload_length 0
		.amdhsa_user_sgpr_kernarg_preload_offset 0
		.amdhsa_user_sgpr_private_segment_size 0
		.amdhsa_wavefront_size32 1
		.amdhsa_uses_dynamic_stack 0
		.amdhsa_enable_private_segment 0
		.amdhsa_system_sgpr_workgroup_id_x 1
		.amdhsa_system_sgpr_workgroup_id_y 0
		.amdhsa_system_sgpr_workgroup_id_z 0
		.amdhsa_system_sgpr_workgroup_info 0
		.amdhsa_system_vgpr_workitem_id 0
		.amdhsa_next_free_vgpr 40
		.amdhsa_next_free_sgpr 20
		.amdhsa_named_barrier_count 0
		.amdhsa_reserve_vcc 1
		.amdhsa_float_round_mode_32 0
		.amdhsa_float_round_mode_16_64 0
		.amdhsa_float_denorm_mode_32 3
		.amdhsa_float_denorm_mode_16_64 3
		.amdhsa_fp16_overflow 0
		.amdhsa_memory_ordered 1
		.amdhsa_forward_progress 1
		.amdhsa_inst_pref_size 14
		.amdhsa_round_robin_scheduling 0
		.amdhsa_exception_fp_ieee_invalid_op 0
		.amdhsa_exception_fp_denorm_src 0
		.amdhsa_exception_fp_ieee_div_zero 0
		.amdhsa_exception_fp_ieee_overflow 0
		.amdhsa_exception_fp_ieee_underflow 0
		.amdhsa_exception_fp_ieee_inexact 0
		.amdhsa_exception_int_div_zero 0
	.end_amdhsa_kernel
	.section	.text._ZN2at6native12_GLOBAL__N_125multi_tensor_apply_kernelINS1_18TensorListMetadataILi2EEENS1_14UnaryOpFunctorIdLi2ELi1ELi1EEEJNS0_5RsqrtIdEEEEEvT_T0_DpT1_,"axG",@progbits,_ZN2at6native12_GLOBAL__N_125multi_tensor_apply_kernelINS1_18TensorListMetadataILi2EEENS1_14UnaryOpFunctorIdLi2ELi1ELi1EEEJNS0_5RsqrtIdEEEEEvT_T0_DpT1_,comdat
.Lfunc_end293:
	.size	_ZN2at6native12_GLOBAL__N_125multi_tensor_apply_kernelINS1_18TensorListMetadataILi2EEENS1_14UnaryOpFunctorIdLi2ELi1ELi1EEEJNS0_5RsqrtIdEEEEEvT_T0_DpT1_, .Lfunc_end293-_ZN2at6native12_GLOBAL__N_125multi_tensor_apply_kernelINS1_18TensorListMetadataILi2EEENS1_14UnaryOpFunctorIdLi2ELi1ELi1EEEJNS0_5RsqrtIdEEEEEvT_T0_DpT1_
                                        ; -- End function
	.set _ZN2at6native12_GLOBAL__N_125multi_tensor_apply_kernelINS1_18TensorListMetadataILi2EEENS1_14UnaryOpFunctorIdLi2ELi1ELi1EEEJNS0_5RsqrtIdEEEEEvT_T0_DpT1_.num_vgpr, 40
	.set _ZN2at6native12_GLOBAL__N_125multi_tensor_apply_kernelINS1_18TensorListMetadataILi2EEENS1_14UnaryOpFunctorIdLi2ELi1ELi1EEEJNS0_5RsqrtIdEEEEEvT_T0_DpT1_.num_agpr, 0
	.set _ZN2at6native12_GLOBAL__N_125multi_tensor_apply_kernelINS1_18TensorListMetadataILi2EEENS1_14UnaryOpFunctorIdLi2ELi1ELi1EEEJNS0_5RsqrtIdEEEEEvT_T0_DpT1_.numbered_sgpr, 20
	.set _ZN2at6native12_GLOBAL__N_125multi_tensor_apply_kernelINS1_18TensorListMetadataILi2EEENS1_14UnaryOpFunctorIdLi2ELi1ELi1EEEJNS0_5RsqrtIdEEEEEvT_T0_DpT1_.num_named_barrier, 0
	.set _ZN2at6native12_GLOBAL__N_125multi_tensor_apply_kernelINS1_18TensorListMetadataILi2EEENS1_14UnaryOpFunctorIdLi2ELi1ELi1EEEJNS0_5RsqrtIdEEEEEvT_T0_DpT1_.private_seg_size, 0
	.set _ZN2at6native12_GLOBAL__N_125multi_tensor_apply_kernelINS1_18TensorListMetadataILi2EEENS1_14UnaryOpFunctorIdLi2ELi1ELi1EEEJNS0_5RsqrtIdEEEEEvT_T0_DpT1_.uses_vcc, 1
	.set _ZN2at6native12_GLOBAL__N_125multi_tensor_apply_kernelINS1_18TensorListMetadataILi2EEENS1_14UnaryOpFunctorIdLi2ELi1ELi1EEEJNS0_5RsqrtIdEEEEEvT_T0_DpT1_.uses_flat_scratch, 0
	.set _ZN2at6native12_GLOBAL__N_125multi_tensor_apply_kernelINS1_18TensorListMetadataILi2EEENS1_14UnaryOpFunctorIdLi2ELi1ELi1EEEJNS0_5RsqrtIdEEEEEvT_T0_DpT1_.has_dyn_sized_stack, 0
	.set _ZN2at6native12_GLOBAL__N_125multi_tensor_apply_kernelINS1_18TensorListMetadataILi2EEENS1_14UnaryOpFunctorIdLi2ELi1ELi1EEEJNS0_5RsqrtIdEEEEEvT_T0_DpT1_.has_recursion, 0
	.set _ZN2at6native12_GLOBAL__N_125multi_tensor_apply_kernelINS1_18TensorListMetadataILi2EEENS1_14UnaryOpFunctorIdLi2ELi1ELi1EEEJNS0_5RsqrtIdEEEEEvT_T0_DpT1_.has_indirect_call, 0
	.section	.AMDGPU.csdata,"",@progbits
; Kernel info:
; codeLenInByte = 1704
; TotalNumSgprs: 22
; NumVgprs: 40
; ScratchSize: 0
; MemoryBound: 0
; FloatMode: 240
; IeeeMode: 1
; LDSByteSize: 0 bytes/workgroup (compile time only)
; SGPRBlocks: 0
; VGPRBlocks: 2
; NumSGPRsForWavesPerEU: 22
; NumVGPRsForWavesPerEU: 40
; NamedBarCnt: 0
; Occupancy: 16
; WaveLimiterHint : 0
; COMPUTE_PGM_RSRC2:SCRATCH_EN: 0
; COMPUTE_PGM_RSRC2:USER_SGPR: 2
; COMPUTE_PGM_RSRC2:TRAP_HANDLER: 0
; COMPUTE_PGM_RSRC2:TGID_X_EN: 1
; COMPUTE_PGM_RSRC2:TGID_Y_EN: 0
; COMPUTE_PGM_RSRC2:TGID_Z_EN: 0
; COMPUTE_PGM_RSRC2:TIDIG_COMP_CNT: 0
	.section	.text._ZN2at6native12_GLOBAL__N_125multi_tensor_apply_kernelINS1_18TensorListMetadataILi2EEENS1_14UnaryOpFunctorIfLi2ELi1ELi1EEEJNS0_5RsqrtIfEEEEEvT_T0_DpT1_,"axG",@progbits,_ZN2at6native12_GLOBAL__N_125multi_tensor_apply_kernelINS1_18TensorListMetadataILi2EEENS1_14UnaryOpFunctorIfLi2ELi1ELi1EEEJNS0_5RsqrtIfEEEEEvT_T0_DpT1_,comdat
	.globl	_ZN2at6native12_GLOBAL__N_125multi_tensor_apply_kernelINS1_18TensorListMetadataILi2EEENS1_14UnaryOpFunctorIfLi2ELi1ELi1EEEJNS0_5RsqrtIfEEEEEvT_T0_DpT1_ ; -- Begin function _ZN2at6native12_GLOBAL__N_125multi_tensor_apply_kernelINS1_18TensorListMetadataILi2EEENS1_14UnaryOpFunctorIfLi2ELi1ELi1EEEJNS0_5RsqrtIfEEEEEvT_T0_DpT1_
	.p2align	8
	.type	_ZN2at6native12_GLOBAL__N_125multi_tensor_apply_kernelINS1_18TensorListMetadataILi2EEENS1_14UnaryOpFunctorIfLi2ELi1ELi1EEEJNS0_5RsqrtIfEEEEEvT_T0_DpT1_,@function
_ZN2at6native12_GLOBAL__N_125multi_tensor_apply_kernelINS1_18TensorListMetadataILi2EEENS1_14UnaryOpFunctorIfLi2ELi1ELi1EEEJNS0_5RsqrtIfEEEEEvT_T0_DpT1_: ; @_ZN2at6native12_GLOBAL__N_125multi_tensor_apply_kernelINS1_18TensorListMetadataILi2EEENS1_14UnaryOpFunctorIfLi2ELi1ELi1EEEJNS0_5RsqrtIfEEEEEvT_T0_DpT1_
; %bb.0:
	s_bfe_u32 s2, ttmp6, 0x4000c
	s_and_b32 s3, ttmp6, 15
	s_add_co_i32 s2, s2, 1
	s_getreg_b32 s4, hwreg(HW_REG_IB_STS2, 6, 4)
	s_mul_i32 s2, ttmp9, s2
	s_delay_alu instid0(SALU_CYCLE_1)
	s_add_co_i32 s3, s3, s2
	s_cmp_eq_u32 s4, 0
	s_cselect_b32 s2, ttmp9, s3
	s_mov_b32 s3, 0
	s_load_u8 s13, s[0:1], s2 offset:0x600
	s_add_nc_u64 s[4:5], s[0:1], s[2:3]
	s_mul_u64 s[6:7], s[2:3], 3
	s_delay_alu instid0(SALU_CYCLE_1)
	s_add_nc_u64 s[4:5], s[4:5], s[6:7]
	s_load_b32 s12, s[4:5], 0x740
	s_wait_kmcnt 0x0
	s_clause 0x2
	s_load_b64 s[8:9], s[0:1], s13 offset:0x0 scale_offset
	s_load_b64 s[10:11], s[0:1], s13 offset:0x200 scale_offset
	;; [unrolled: 1-line block ×3, first 2 shown]
	s_mov_b32 s5, s3
	s_wait_xcnt 0x0
	s_ashr_i32 s13, s12, 31
	s_delay_alu instid0(SALU_CYCLE_1)
	s_lshl_b64 s[6:7], s[12:13], 18
	s_wait_kmcnt 0x0
	s_and_b64 s[18:19], s[10:11], 15
	s_add_nc_u64 s[16:17], s[8:9], s[6:7]
	s_and_b32 s4, s14, 3
	s_and_b32 s2, s16, 15
	s_or_b64 s[4:5], s[18:19], s[4:5]
	s_lshl_b64 s[12:13], s[12:13], 16
	s_or_b64 s[2:3], s[4:5], s[2:3]
	s_sub_nc_u64 s[12:13], s[14:15], s[12:13]
	s_cmp_eq_u64 s[2:3], 0
	s_mov_b32 s2, -1
	s_cbranch_scc0 .LBB294_5
; %bb.1:
	v_min_i64 v[2:3], 0x10000, s[12:13]
	v_dual_mov_b32 v5, 0 :: v_dual_lshlrev_b32 v4, 2, v0
	s_mov_b32 s19, exec_lo
	s_delay_alu instid0(VALU_DEP_1)
	v_cmpx_lt_i64_e64 v[4:5], v[2:3]
	s_cbranch_execz .LBB294_4
; %bb.2:
	s_load_b32 s2, s[0:1], 0xc5c
	v_dual_mov_b32 v1, v5 :: v_dual_lshlrev_b32 v4, 4, v0
	s_mov_b32 s15, 0
	s_add_nc_u64 s[16:17], s[8:9], 8
	s_mov_b32 s18, 0x45800000
	s_delay_alu instid0(VALU_DEP_1)
	v_add_nc_u64_e32 v[4:5], s[6:7], v[4:5]
	v_mov_b64_e32 v[6:7], v[0:1]
	s_mov_b32 s21, s15
	s_mov_b32 s22, s15
	s_wait_kmcnt 0x0
	s_and_b32 s14, s2, 0xffff
	s_delay_alu instid0(SALU_CYCLE_1)
	s_lshl_b32 s20, s14, 4
.LBB294_3:                              ; =>This Inner Loop Header: Depth=1
	v_add_nc_u64_e32 v[8:9], s[16:17], v[4:5]
	v_add_nc_u64_e32 v[6:7], s[14:15], v[6:7]
	global_load_b128 v[8:11], v[8:9], off offset:-8
	s_wait_loadcnt 0x0
	v_dual_mul_f32 v1, 0x4b800000, v8 :: v_dual_mul_f32 v12, 0x4b800000, v9
	v_cmp_gt_f32_e32 vcc_lo, 0x800000, v9
	v_dual_mul_f32 v13, 0x4b800000, v10 :: v_dual_mul_f32 v14, 0x4b800000, v11
	v_cmp_gt_f32_e64 s2, 0x800000, v11
	v_cmp_gt_f32_e64 s3, 0x800000, v10
	;; [unrolled: 1-line block ×3, first 2 shown]
	s_wait_xcnt 0x0
	s_delay_alu instid0(VALU_DEP_3) | instskip(NEXT) | instid1(VALU_DEP_3)
	v_dual_cndmask_b32 v9, v9, v12, vcc_lo :: v_dual_cndmask_b32 v11, v11, v14, s2
	v_cndmask_b32_e64 v10, v10, v13, s3
	s_delay_alu instid0(VALU_DEP_3) | instskip(NEXT) | instid1(VALU_DEP_3)
	v_cndmask_b32_e64 v1, v8, v1, s4
	v_rsq_f32_e32 v9, v9
	v_lshlrev_b64_e32 v[12:13], 2, v[6:7]
	v_rsq_f32_e32 v11, v11
	v_rsq_f32_e32 v10, v10
	;; [unrolled: 1-line block ×3, first 2 shown]
	v_add_nc_u64_e32 v[14:15], s[10:11], v[4:5]
	v_add_nc_u64_e32 v[4:5], s[20:21], v[4:5]
	s_delay_alu instid0(VALU_DEP_3) | instskip(NEXT) | instid1(TRANS32_DEP_2)
	v_cmp_ge_i64_e64 s5, v[12:13], v[2:3]
	v_pk_mul_f32 v[18:19], v[10:11], s[18:19] op_sel_hi:[1,0]
	s_delay_alu instid0(TRANS32_DEP_1) | instskip(NEXT) | instid1(VALU_DEP_2)
	v_pk_mul_f32 v[16:17], v[8:9], s[18:19] op_sel_hi:[1,0]
	v_dual_cndmask_b32 v11, v11, v19, s2 :: v_dual_cndmask_b32 v10, v10, v18, s3
	s_delay_alu instid0(VALU_DEP_2)
	v_dual_cndmask_b32 v9, v9, v17, vcc_lo :: v_dual_cndmask_b32 v8, v8, v16, s4
	s_or_b32 s22, s5, s22
	global_store_b128 v[14:15], v[8:11], off
	s_wait_xcnt 0x0
	s_and_not1_b32 exec_lo, exec_lo, s22
	s_cbranch_execnz .LBB294_3
.LBB294_4:
	s_or_b32 exec_lo, exec_lo, s19
	s_mov_b32 s2, 0
.LBB294_5:
	s_delay_alu instid0(SALU_CYCLE_1)
	s_and_not1_b32 vcc_lo, exec_lo, s2
	s_cbranch_vccnz .LBB294_25
; %bb.6:
	v_cmp_lt_i64_e64 s2, s[12:13], 1
	s_and_b32 vcc_lo, exec_lo, s2
	s_cbranch_vccnz .LBB294_25
; %bb.7:
	s_load_b32 s0, s[0:1], 0xc5c
	v_min_i64 v[2:3], 0x10000, s[12:13]
	v_min_u64 v[4:5], 0x10000, s[12:13]
	v_dual_mov_b32 v1, 0 :: v_dual_lshlrev_b32 v10, 2, v0
	s_wait_xcnt 0x0
	s_mov_b32 s1, 0
	s_delay_alu instid0(SALU_CYCLE_1) | instskip(NEXT) | instid1(VALU_DEP_1)
	s_mov_b32 s13, s1
	v_dual_mov_b32 v11, v1 :: v_dual_mov_b32 v27, v1
	s_mov_b32 s3, s1
	s_mov_b32 s5, s1
	s_delay_alu instid0(VALU_DEP_1) | instskip(SKIP_2) | instid1(SALU_CYCLE_1)
	v_add_nc_u64_e32 v[6:7], s[8:9], v[10:11]
	s_wait_kmcnt 0x0
	s_and_b32 s0, s0, 0xffff
	v_add_nc_u64_e32 v[8:9], s[0:1], v[0:1]
	v_mad_nc_u64_u32 v[22:23], s0, 12, v[10:11]
	s_lshl_b32 s12, s0, 3
	s_mul_i32 s4, s0, 3
	v_add_nc_u64_e32 v[18:19], s[12:13], v[10:11]
	s_lshl_b32 s2, s0, 1
	v_add_nc_u64_e32 v[10:11], s[10:11], v[10:11]
	v_lshlrev_b32_e32 v26, 2, v8
	v_add_nc_u64_e32 v[12:13], s[4:5], v[0:1]
	v_add_nc_u64_e32 v[14:15], s[2:3], v[0:1]
	s_lshl_b32 s4, s0, 2
	v_add_nc_u64_e32 v[16:17], s[8:9], v[18:19]
	v_add_nc_u64_e32 v[18:19], s[10:11], v[18:19]
	;; [unrolled: 1-line block ×6, first 2 shown]
	s_lshl_b32 s8, s0, 4
	s_mov_b32 s9, s1
	s_mov_b64 s[10:11], 0
	s_branch .LBB294_9
.LBB294_8:                              ;   in Loop: Header=BB294_9 Depth=1
	s_wait_xcnt 0x0
	s_or_b32 exec_lo, exec_lo, s0
	s_add_nc_u64 s[10:11], s[10:11], s[4:5]
	v_add_nc_u64_e32 v[6:7], s[8:9], v[6:7]
	v_cmp_ge_i64_e32 vcc_lo, s[10:11], v[2:3]
	v_add_nc_u64_e32 v[10:11], s[8:9], v[10:11]
	v_add_nc_u64_e32 v[20:21], s[8:9], v[20:21]
	v_add_nc_u64_e32 v[22:23], s[8:9], v[22:23]
	v_add_nc_u64_e32 v[16:17], s[8:9], v[16:17]
	v_add_nc_u64_e32 v[18:19], s[8:9], v[18:19]
	v_add_nc_u64_e32 v[24:25], s[8:9], v[24:25]
	v_add_nc_u64_e32 v[26:27], s[8:9], v[26:27]
	s_cbranch_vccnz .LBB294_25
.LBB294_9:                              ; =>This Inner Loop Header: Depth=1
	s_wait_loadcnt 0x0
	v_add_nc_u64_e32 v[28:29], s[10:11], v[0:1]
	v_mov_b32_e32 v31, 0
	s_delay_alu instid0(VALU_DEP_2)
	v_cmp_lt_u64_e64 s2, v[28:29], v[4:5]
	s_and_saveexec_b32 s0, s2
	s_cbranch_execz .LBB294_11
; %bb.10:                               ;   in Loop: Header=BB294_9 Depth=1
	v_add_nc_u64_e32 v[28:29], s[6:7], v[6:7]
	global_load_b32 v31, v[28:29], off
.LBB294_11:                             ;   in Loop: Header=BB294_9 Depth=1
	s_wait_xcnt 0x0
	s_or_b32 exec_lo, exec_lo, s0
	v_add_nc_u64_e32 v[28:29], s[10:11], v[8:9]
	v_mov_b32_e32 v30, 0
	s_delay_alu instid0(VALU_DEP_2)
	v_cmp_lt_u64_e64 s1, v[28:29], v[4:5]
	v_mov_b32_e32 v28, 0
	s_and_saveexec_b32 s0, s1
	s_cbranch_execz .LBB294_13
; %bb.12:                               ;   in Loop: Header=BB294_9 Depth=1
	v_add_nc_u64_e32 v[32:33], s[6:7], v[24:25]
	global_load_b32 v30, v[32:33], off
.LBB294_13:                             ;   in Loop: Header=BB294_9 Depth=1
	s_wait_xcnt 0x0
	s_or_b32 exec_lo, exec_lo, s0
	v_add_nc_u64_e32 v[32:33], s[10:11], v[14:15]
	s_delay_alu instid0(VALU_DEP_1)
	v_cmp_lt_u64_e64 s0, v[32:33], v[4:5]
	s_and_saveexec_b32 s3, s0
	s_cbranch_execz .LBB294_15
; %bb.14:                               ;   in Loop: Header=BB294_9 Depth=1
	v_add_nc_u64_e32 v[28:29], s[6:7], v[16:17]
	global_load_b32 v28, v[28:29], off
.LBB294_15:                             ;   in Loop: Header=BB294_9 Depth=1
	s_wait_xcnt 0x0
	s_or_b32 exec_lo, exec_lo, s3
	v_add_nc_u64_e32 v[32:33], s[10:11], v[12:13]
	v_mov_b32_e32 v29, 0
	s_delay_alu instid0(VALU_DEP_2)
	v_cmp_lt_u64_e32 vcc_lo, v[32:33], v[4:5]
	s_and_saveexec_b32 s3, vcc_lo
	s_cbranch_execnz .LBB294_20
; %bb.16:                               ;   in Loop: Header=BB294_9 Depth=1
	s_or_b32 exec_lo, exec_lo, s3
	s_and_saveexec_b32 s3, s2
	s_cbranch_execnz .LBB294_21
.LBB294_17:                             ;   in Loop: Header=BB294_9 Depth=1
	s_or_b32 exec_lo, exec_lo, s3
	s_and_saveexec_b32 s2, s1
	s_cbranch_execnz .LBB294_22
.LBB294_18:                             ;   in Loop: Header=BB294_9 Depth=1
	s_or_b32 exec_lo, exec_lo, s2
	s_and_saveexec_b32 s1, s0
	s_cbranch_execnz .LBB294_23
.LBB294_19:                             ;   in Loop: Header=BB294_9 Depth=1
	s_or_b32 exec_lo, exec_lo, s1
	s_and_saveexec_b32 s0, vcc_lo
	s_cbranch_execz .LBB294_8
	s_branch .LBB294_24
.LBB294_20:                             ;   in Loop: Header=BB294_9 Depth=1
	v_add_nc_u64_e32 v[32:33], s[6:7], v[20:21]
	global_load_b32 v29, v[32:33], off
	s_wait_xcnt 0x0
	s_or_b32 exec_lo, exec_lo, s3
	s_and_saveexec_b32 s3, s2
	s_cbranch_execz .LBB294_17
.LBB294_21:                             ;   in Loop: Header=BB294_9 Depth=1
	s_wait_loadcnt 0x0
	v_mul_f32_e32 v32, 0x4b800000, v31
	v_cmp_gt_f32_e64 s2, 0x800000, v31
	s_delay_alu instid0(VALU_DEP_1) | instskip(SKIP_1) | instid1(VALU_DEP_2)
	v_cndmask_b32_e64 v31, v31, v32, s2
	v_add_nc_u64_e32 v[32:33], s[6:7], v[10:11]
	v_rsq_f32_e32 v31, v31
	v_nop
	s_delay_alu instid0(TRANS32_DEP_1) | instskip(NEXT) | instid1(VALU_DEP_1)
	v_mul_f32_e32 v34, 0x45800000, v31
	v_cndmask_b32_e64 v31, v31, v34, s2
	global_store_b32 v[32:33], v31, off
	s_wait_xcnt 0x0
	s_or_b32 exec_lo, exec_lo, s3
	s_and_saveexec_b32 s2, s1
	s_cbranch_execz .LBB294_18
.LBB294_22:                             ;   in Loop: Header=BB294_9 Depth=1
	s_wait_loadcnt 0x0
	v_mul_f32_e32 v31, 0x4b800000, v30
	v_cmp_gt_f32_e64 s1, 0x800000, v30
	s_delay_alu instid0(VALU_DEP_1) | instskip(NEXT) | instid1(VALU_DEP_1)
	v_cndmask_b32_e64 v30, v30, v31, s1
	v_rsq_f32_e32 v32, v30
	v_nop
	v_add_nc_u64_e32 v[30:31], s[6:7], v[26:27]
	s_delay_alu instid0(TRANS32_DEP_1) | instskip(NEXT) | instid1(VALU_DEP_1)
	v_mul_f32_e32 v33, 0x45800000, v32
	v_cndmask_b32_e64 v32, v32, v33, s1
	global_store_b32 v[30:31], v32, off
	s_wait_xcnt 0x0
	s_or_b32 exec_lo, exec_lo, s2
	s_and_saveexec_b32 s1, s0
	s_cbranch_execz .LBB294_19
.LBB294_23:                             ;   in Loop: Header=BB294_9 Depth=1
	s_wait_loadcnt 0x0
	v_mul_f32_e32 v30, 0x4b800000, v28
	v_cmp_gt_f32_e64 s0, 0x800000, v28
	s_delay_alu instid0(VALU_DEP_1) | instskip(SKIP_1) | instid1(VALU_DEP_2)
	v_cndmask_b32_e64 v28, v28, v30, s0
	v_add_nc_u64_e32 v[30:31], s[6:7], v[18:19]
	v_rsq_f32_e32 v28, v28
	v_nop
	s_delay_alu instid0(TRANS32_DEP_1) | instskip(NEXT) | instid1(VALU_DEP_1)
	v_mul_f32_e32 v32, 0x45800000, v28
	v_cndmask_b32_e64 v28, v28, v32, s0
	global_store_b32 v[30:31], v28, off
	s_wait_xcnt 0x0
	s_or_b32 exec_lo, exec_lo, s1
	s_and_saveexec_b32 s0, vcc_lo
	s_cbranch_execz .LBB294_8
.LBB294_24:                             ;   in Loop: Header=BB294_9 Depth=1
	s_wait_loadcnt 0x0
	v_mul_f32_e32 v28, 0x4b800000, v29
	v_cmp_gt_f32_e32 vcc_lo, 0x800000, v29
	s_delay_alu instid0(VALU_DEP_2) | instskip(NEXT) | instid1(VALU_DEP_1)
	v_cndmask_b32_e32 v28, v29, v28, vcc_lo
	v_rsq_f32_e32 v30, v28
	v_nop
	v_add_nc_u64_e32 v[28:29], s[6:7], v[22:23]
	s_delay_alu instid0(TRANS32_DEP_1) | instskip(NEXT) | instid1(VALU_DEP_1)
	v_mul_f32_e32 v31, 0x45800000, v30
	v_cndmask_b32_e32 v30, v30, v31, vcc_lo
	global_store_b32 v[28:29], v30, off
	s_branch .LBB294_8
.LBB294_25:
	s_endpgm
	.section	.rodata,"a",@progbits
	.p2align	6, 0x0
	.amdhsa_kernel _ZN2at6native12_GLOBAL__N_125multi_tensor_apply_kernelINS1_18TensorListMetadataILi2EEENS1_14UnaryOpFunctorIfLi2ELi1ELi1EEEJNS0_5RsqrtIfEEEEEvT_T0_DpT1_
		.amdhsa_group_segment_fixed_size 0
		.amdhsa_private_segment_fixed_size 0
		.amdhsa_kernarg_size 3408
		.amdhsa_user_sgpr_count 2
		.amdhsa_user_sgpr_dispatch_ptr 0
		.amdhsa_user_sgpr_queue_ptr 0
		.amdhsa_user_sgpr_kernarg_segment_ptr 1
		.amdhsa_user_sgpr_dispatch_id 0
		.amdhsa_user_sgpr_kernarg_preload_length 0
		.amdhsa_user_sgpr_kernarg_preload_offset 0
		.amdhsa_user_sgpr_private_segment_size 0
		.amdhsa_wavefront_size32 1
		.amdhsa_uses_dynamic_stack 0
		.amdhsa_enable_private_segment 0
		.amdhsa_system_sgpr_workgroup_id_x 1
		.amdhsa_system_sgpr_workgroup_id_y 0
		.amdhsa_system_sgpr_workgroup_id_z 0
		.amdhsa_system_sgpr_workgroup_info 0
		.amdhsa_system_vgpr_workitem_id 0
		.amdhsa_next_free_vgpr 35
		.amdhsa_next_free_sgpr 23
		.amdhsa_named_barrier_count 0
		.amdhsa_reserve_vcc 1
		.amdhsa_float_round_mode_32 0
		.amdhsa_float_round_mode_16_64 0
		.amdhsa_float_denorm_mode_32 3
		.amdhsa_float_denorm_mode_16_64 3
		.amdhsa_fp16_overflow 0
		.amdhsa_memory_ordered 1
		.amdhsa_forward_progress 1
		.amdhsa_inst_pref_size 12
		.amdhsa_round_robin_scheduling 0
		.amdhsa_exception_fp_ieee_invalid_op 0
		.amdhsa_exception_fp_denorm_src 0
		.amdhsa_exception_fp_ieee_div_zero 0
		.amdhsa_exception_fp_ieee_overflow 0
		.amdhsa_exception_fp_ieee_underflow 0
		.amdhsa_exception_fp_ieee_inexact 0
		.amdhsa_exception_int_div_zero 0
	.end_amdhsa_kernel
	.section	.text._ZN2at6native12_GLOBAL__N_125multi_tensor_apply_kernelINS1_18TensorListMetadataILi2EEENS1_14UnaryOpFunctorIfLi2ELi1ELi1EEEJNS0_5RsqrtIfEEEEEvT_T0_DpT1_,"axG",@progbits,_ZN2at6native12_GLOBAL__N_125multi_tensor_apply_kernelINS1_18TensorListMetadataILi2EEENS1_14UnaryOpFunctorIfLi2ELi1ELi1EEEJNS0_5RsqrtIfEEEEEvT_T0_DpT1_,comdat
.Lfunc_end294:
	.size	_ZN2at6native12_GLOBAL__N_125multi_tensor_apply_kernelINS1_18TensorListMetadataILi2EEENS1_14UnaryOpFunctorIfLi2ELi1ELi1EEEJNS0_5RsqrtIfEEEEEvT_T0_DpT1_, .Lfunc_end294-_ZN2at6native12_GLOBAL__N_125multi_tensor_apply_kernelINS1_18TensorListMetadataILi2EEENS1_14UnaryOpFunctorIfLi2ELi1ELi1EEEJNS0_5RsqrtIfEEEEEvT_T0_DpT1_
                                        ; -- End function
	.set _ZN2at6native12_GLOBAL__N_125multi_tensor_apply_kernelINS1_18TensorListMetadataILi2EEENS1_14UnaryOpFunctorIfLi2ELi1ELi1EEEJNS0_5RsqrtIfEEEEEvT_T0_DpT1_.num_vgpr, 35
	.set _ZN2at6native12_GLOBAL__N_125multi_tensor_apply_kernelINS1_18TensorListMetadataILi2EEENS1_14UnaryOpFunctorIfLi2ELi1ELi1EEEJNS0_5RsqrtIfEEEEEvT_T0_DpT1_.num_agpr, 0
	.set _ZN2at6native12_GLOBAL__N_125multi_tensor_apply_kernelINS1_18TensorListMetadataILi2EEENS1_14UnaryOpFunctorIfLi2ELi1ELi1EEEJNS0_5RsqrtIfEEEEEvT_T0_DpT1_.numbered_sgpr, 23
	.set _ZN2at6native12_GLOBAL__N_125multi_tensor_apply_kernelINS1_18TensorListMetadataILi2EEENS1_14UnaryOpFunctorIfLi2ELi1ELi1EEEJNS0_5RsqrtIfEEEEEvT_T0_DpT1_.num_named_barrier, 0
	.set _ZN2at6native12_GLOBAL__N_125multi_tensor_apply_kernelINS1_18TensorListMetadataILi2EEENS1_14UnaryOpFunctorIfLi2ELi1ELi1EEEJNS0_5RsqrtIfEEEEEvT_T0_DpT1_.private_seg_size, 0
	.set _ZN2at6native12_GLOBAL__N_125multi_tensor_apply_kernelINS1_18TensorListMetadataILi2EEENS1_14UnaryOpFunctorIfLi2ELi1ELi1EEEJNS0_5RsqrtIfEEEEEvT_T0_DpT1_.uses_vcc, 1
	.set _ZN2at6native12_GLOBAL__N_125multi_tensor_apply_kernelINS1_18TensorListMetadataILi2EEENS1_14UnaryOpFunctorIfLi2ELi1ELi1EEEJNS0_5RsqrtIfEEEEEvT_T0_DpT1_.uses_flat_scratch, 0
	.set _ZN2at6native12_GLOBAL__N_125multi_tensor_apply_kernelINS1_18TensorListMetadataILi2EEENS1_14UnaryOpFunctorIfLi2ELi1ELi1EEEJNS0_5RsqrtIfEEEEEvT_T0_DpT1_.has_dyn_sized_stack, 0
	.set _ZN2at6native12_GLOBAL__N_125multi_tensor_apply_kernelINS1_18TensorListMetadataILi2EEENS1_14UnaryOpFunctorIfLi2ELi1ELi1EEEJNS0_5RsqrtIfEEEEEvT_T0_DpT1_.has_recursion, 0
	.set _ZN2at6native12_GLOBAL__N_125multi_tensor_apply_kernelINS1_18TensorListMetadataILi2EEENS1_14UnaryOpFunctorIfLi2ELi1ELi1EEEJNS0_5RsqrtIfEEEEEvT_T0_DpT1_.has_indirect_call, 0
	.section	.AMDGPU.csdata,"",@progbits
; Kernel info:
; codeLenInByte = 1440
; TotalNumSgprs: 25
; NumVgprs: 35
; ScratchSize: 0
; MemoryBound: 0
; FloatMode: 240
; IeeeMode: 1
; LDSByteSize: 0 bytes/workgroup (compile time only)
; SGPRBlocks: 0
; VGPRBlocks: 2
; NumSGPRsForWavesPerEU: 25
; NumVGPRsForWavesPerEU: 35
; NamedBarCnt: 0
; Occupancy: 16
; WaveLimiterHint : 0
; COMPUTE_PGM_RSRC2:SCRATCH_EN: 0
; COMPUTE_PGM_RSRC2:USER_SGPR: 2
; COMPUTE_PGM_RSRC2:TRAP_HANDLER: 0
; COMPUTE_PGM_RSRC2:TGID_X_EN: 1
; COMPUTE_PGM_RSRC2:TGID_Y_EN: 0
; COMPUTE_PGM_RSRC2:TGID_Z_EN: 0
; COMPUTE_PGM_RSRC2:TIDIG_COMP_CNT: 0
	.section	.text._ZN2at6native12_GLOBAL__N_125multi_tensor_apply_kernelINS1_18TensorListMetadataILi2EEENS1_14UnaryOpFunctorIN3c107complexIdEELi2ELi1ELi1EEEJNS0_5RsqrtIS8_EEEEEvT_T0_DpT1_,"axG",@progbits,_ZN2at6native12_GLOBAL__N_125multi_tensor_apply_kernelINS1_18TensorListMetadataILi2EEENS1_14UnaryOpFunctorIN3c107complexIdEELi2ELi1ELi1EEEJNS0_5RsqrtIS8_EEEEEvT_T0_DpT1_,comdat
	.globl	_ZN2at6native12_GLOBAL__N_125multi_tensor_apply_kernelINS1_18TensorListMetadataILi2EEENS1_14UnaryOpFunctorIN3c107complexIdEELi2ELi1ELi1EEEJNS0_5RsqrtIS8_EEEEEvT_T0_DpT1_ ; -- Begin function _ZN2at6native12_GLOBAL__N_125multi_tensor_apply_kernelINS1_18TensorListMetadataILi2EEENS1_14UnaryOpFunctorIN3c107complexIdEELi2ELi1ELi1EEEJNS0_5RsqrtIS8_EEEEEvT_T0_DpT1_
	.p2align	8
	.type	_ZN2at6native12_GLOBAL__N_125multi_tensor_apply_kernelINS1_18TensorListMetadataILi2EEENS1_14UnaryOpFunctorIN3c107complexIdEELi2ELi1ELi1EEEJNS0_5RsqrtIS8_EEEEEvT_T0_DpT1_,@function
_ZN2at6native12_GLOBAL__N_125multi_tensor_apply_kernelINS1_18TensorListMetadataILi2EEENS1_14UnaryOpFunctorIN3c107complexIdEELi2ELi1ELi1EEEJNS0_5RsqrtIS8_EEEEEvT_T0_DpT1_: ; @_ZN2at6native12_GLOBAL__N_125multi_tensor_apply_kernelINS1_18TensorListMetadataILi2EEENS1_14UnaryOpFunctorIN3c107complexIdEELi2ELi1ELi1EEEJNS0_5RsqrtIS8_EEEEEvT_T0_DpT1_
; %bb.0:
	s_bfe_u32 s2, ttmp6, 0x4000c
	s_and_b32 s3, ttmp6, 15
	s_add_co_i32 s2, s2, 1
	s_getreg_b32 s4, hwreg(HW_REG_IB_STS2, 6, 4)
	s_mul_i32 s2, ttmp9, s2
	s_delay_alu instid0(SALU_CYCLE_1)
	s_add_co_i32 s3, s3, s2
	s_cmp_eq_u32 s4, 0
	s_cselect_b32 s2, ttmp9, s3
	s_mov_b32 s3, 0
	s_load_u8 s11, s[0:1], s2 offset:0x600
	s_add_nc_u64 s[4:5], s[0:1], s[2:3]
	s_mul_u64 s[6:7], s[2:3], 3
	s_delay_alu instid0(SALU_CYCLE_1)
	s_add_nc_u64 s[4:5], s[4:5], s[6:7]
	s_load_b32 s10, s[4:5], 0x740
	s_wait_kmcnt 0x0
	s_clause 0x2
	s_load_b64 s[6:7], s[0:1], s11 offset:0x0 scale_offset
	s_load_b64 s[8:9], s[0:1], s11 offset:0x200 scale_offset
	;; [unrolled: 1-line block ×3, first 2 shown]
	s_wait_xcnt 0x0
	s_ashr_i32 s11, s10, 31
	s_delay_alu instid0(SALU_CYCLE_1)
	s_lshl_b64 s[4:5], s[10:11], 20
	s_lshl_b64 s[10:11], s[10:11], 16
	s_wait_kmcnt 0x0
	s_add_nc_u64 s[8:9], s[8:9], s[4:5]
	s_add_nc_u64 s[6:7], s[6:7], s[4:5]
	s_and_b32 s4, s12, 3
	s_and_b64 s[14:15], s[8:9], 63
	s_mov_b32 s5, s3
	s_and_b32 s2, s6, 63
	s_or_b64 s[4:5], s[14:15], s[4:5]
	s_delay_alu instid0(SALU_CYCLE_1)
	s_or_b64 s[2:3], s[4:5], s[2:3]
	s_sub_nc_u64 s[4:5], s[12:13], s[10:11]
	s_cmp_eq_u64 s[2:3], 0
	s_mov_b32 s2, -1
	s_cbranch_scc0 .LBB295_165
; %bb.1:
	v_min_i64 v[24:25], 0x10000, s[4:5]
	v_dual_mov_b32 v27, 0 :: v_dual_lshlrev_b32 v26, 2, v0
	s_mov_b32 s20, exec_lo
	s_delay_alu instid0(VALU_DEP_1)
	v_cmpx_lt_i64_e64 v[26:27], v[24:25]
	s_cbranch_execz .LBB295_164
; %bb.2:
	s_load_b32 s2, s[0:1], 0xc5c
	v_dual_mov_b32 v1, v27 :: v_dual_lshlrev_b32 v26, 6, v0
	s_mov_b32 s11, 0
	s_mov_b64 s[12:13], 0x7fda827999fcef32
	s_mov_b64 s[14:15], s[6:7]
	s_delay_alu instid0(VALU_DEP_1)
	v_mov_b64_e32 v[28:29], v[0:1]
	s_mov_b32 s17, s11
	s_mov_b32 s21, s11
	s_mov_b64 s[18:19], s[8:9]
	s_wait_kmcnt 0x0
	s_and_b32 s10, s2, 0xffff
	s_delay_alu instid0(SALU_CYCLE_1)
	s_lshl_b32 s16, s10, 6
	s_branch .LBB295_4
.LBB295_3:                              ;   in Loop: Header=BB295_4 Depth=1
	s_or_b32 exec_lo, exec_lo, s2
	v_add_nc_u64_e32 v[28:29], s[10:11], v[28:29]
	v_add_nc_u64_e32 v[4:5], s[18:19], v[26:27]
	s_add_nc_u64 s[18:19], s[18:19], s[16:17]
	s_add_nc_u64 s[14:15], s[14:15], s[16:17]
	s_clause 0x1
	global_store_b128 v[4:5], v[6:9], off
	global_store_b128 v[4:5], v[14:17], off offset:16
	v_lshlrev_b64_e32 v[2:3], 2, v[28:29]
	s_clause 0x1
	global_store_b128 v[4:5], v[18:21], off offset:32
	global_store_b128 v[4:5], v[10:13], off offset:48
	v_cmp_ge_i64_e32 vcc_lo, v[2:3], v[24:25]
	s_or_b32 s21, vcc_lo, s21
	s_wait_xcnt 0x0
	s_and_not1_b32 exec_lo, exec_lo, s21
	s_cbranch_execz .LBB295_164
.LBB295_4:                              ; =>This Inner Loop Header: Depth=1
	v_add_nc_u64_e32 v[6:7], s[14:15], v[26:27]
	v_mov_b64_e32 v[14:15], 0
	s_clause 0x3
	global_load_b128 v[20:23], v[6:7], off
	global_load_b128 v[16:19], v[6:7], off offset:16
	global_load_b128 v[2:5], v[6:7], off offset:48
	;; [unrolled: 1-line block ×3, first 2 shown]
	s_wait_loadcnt 0x3
	v_cmp_neq_f64_e32 vcc_lo, 0, v[20:21]
	v_cmp_neq_f64_e64 s2, 0, v[22:23]
	s_or_b32 s2, vcc_lo, s2
	s_wait_xcnt 0x0
	s_and_saveexec_b32 s22, s2
	s_cbranch_execz .LBB295_30
; %bb.5:                                ;   in Loop: Header=BB295_4 Depth=1
	v_mov_b64_e32 v[14:15], 0x7ff0000000000000
	s_mov_b32 s23, exec_lo
	v_cmpx_neq_f64_e64 0x7ff00000, |v[22:23]|
	s_cbranch_execz .LBB295_29
; %bb.6:                                ;   in Loop: Header=BB295_4 Depth=1
                                        ; implicit-def: $vgpr14_vgpr15
	s_mov_b32 s2, exec_lo
	v_cmpx_o_f64_e32 v[20:21], v[20:21]
	s_xor_b32 s24, exec_lo, s2
	s_cbranch_execz .LBB295_26
; %bb.7:                                ;   in Loop: Header=BB295_4 Depth=1
                                        ; implicit-def: $vgpr14_vgpr15
	s_mov_b32 s3, exec_lo
	v_cmpx_neq_f64_e64 0x7ff00000, |v[20:21]|
	s_xor_b32 s25, exec_lo, s3
	s_cbranch_execz .LBB295_20
; %bb.8:                                ;   in Loop: Header=BB295_4 Depth=1
	v_max_num_f64_e64 v[6:7], |v[22:23]|, |v[22:23]|
	v_max_num_f64_e64 v[8:9], |v[20:21]|, |v[20:21]|
                                        ; implicit-def: $sgpr26
	s_delay_alu instid0(VALU_DEP_1) | instskip(NEXT) | instid1(VALU_DEP_1)
	v_max_num_f64_e32 v[6:7], v[8:9], v[6:7]
	v_cmp_nle_f64_e64 s2, s[12:13], v[6:7]
	s_and_saveexec_b32 s3, s2
	s_delay_alu instid0(SALU_CYCLE_1)
	s_xor_b32 s3, exec_lo, s3
	s_cbranch_execz .LBB295_12
; %bb.9:                                ;   in Loop: Header=BB295_4 Depth=1
	v_cmp_ge_f64_e64 s26, 0x200000, |v[20:21]|
	v_cmp_ge_f64_e64 s27, 0x200000, |v[22:23]|
	s_and_b32 s28, s26, s27
	s_mov_b32 s26, 0
	s_and_saveexec_b32 s27, s28
	s_cbranch_execz .LBB295_11
; %bb.10:                               ;   in Loop: Header=BB295_4 Depth=1
	v_mul_f64_e32 v[20:21], 4.0, v[20:21]
	v_mul_f64_e32 v[22:23], 4.0, v[22:23]
	s_mov_b32 s26, exec_lo
.LBB295_11:                             ;   in Loop: Header=BB295_4 Depth=1
	s_or_b32 exec_lo, exec_lo, s27
.LBB295_12:                             ;   in Loop: Header=BB295_4 Depth=1
	s_and_not1_saveexec_b32 s3, s3
	s_cbranch_execz .LBB295_14
; %bb.13:                               ;   in Loop: Header=BB295_4 Depth=1
	s_delay_alu instid0(VALU_DEP_2) | instskip(NEXT) | instid1(VALU_DEP_2)
	v_ldexp_f64 v[20:21], v[20:21], -2
	v_ldexp_f64 v[22:23], v[22:23], -2
	s_and_not1_b32 s26, s26, exec_lo
.LBB295_14:                             ;   in Loop: Header=BB295_4 Depth=1
	s_or_b32 exec_lo, exec_lo, s3
	s_delay_alu instid0(VALU_DEP_1) | instskip(NEXT) | instid1(VALU_DEP_3)
	v_max_num_f64_e64 v[6:7], |v[22:23]|, |v[22:23]|
	v_max_num_f64_e64 v[8:9], |v[20:21]|, |v[20:21]|
	v_cmp_class_f64_e64 s27, v[20:21], 0x204
	v_cmp_class_f64_e64 s28, v[22:23], 0x204
	v_cmp_le_f64_e64 s3, 0, v[20:21]
	s_delay_alu instid0(VALU_DEP_4) | instskip(SKIP_1) | instid1(VALU_DEP_1)
	v_max_num_f64_e32 v[6:7], v[8:9], v[6:7]
	s_or_b32 s27, s28, s27
	v_frexp_exp_i32_f64_e32 v1, v[6:7]
	s_delay_alu instid0(VALU_DEP_1) | instskip(NEXT) | instid1(VALU_DEP_1)
	v_sub_nc_u32_e32 v8, 0, v1
	v_ldexp_f64 v[6:7], |v[22:23]|, v8
	v_ldexp_f64 v[8:9], |v[20:21]|, v8
	s_delay_alu instid0(VALU_DEP_2) | instskip(NEXT) | instid1(VALU_DEP_1)
	v_mul_f64_e32 v[6:7], v[6:7], v[6:7]
	v_fmac_f64_e32 v[6:7], v[8:9], v[8:9]
	s_delay_alu instid0(VALU_DEP_1) | instskip(SKIP_1) | instid1(TRANS32_DEP_1)
	v_rsq_f64_e32 v[8:9], v[6:7]
	v_cmp_eq_f64_e32 vcc_lo, 0, v[6:7]
	v_mul_f64_e32 v[14:15], v[6:7], v[8:9]
	v_mul_f64_e32 v[8:9], 0.5, v[8:9]
	s_delay_alu instid0(VALU_DEP_1) | instskip(NEXT) | instid1(VALU_DEP_1)
	v_fma_f64 v[30:31], -v[8:9], v[14:15], 0.5
	v_fmac_f64_e32 v[14:15], v[14:15], v[30:31]
	v_fmac_f64_e32 v[8:9], v[8:9], v[30:31]
	s_delay_alu instid0(VALU_DEP_2) | instskip(NEXT) | instid1(VALU_DEP_1)
	v_fma_f64 v[30:31], -v[14:15], v[14:15], v[6:7]
	v_fmac_f64_e32 v[14:15], v[30:31], v[8:9]
	s_delay_alu instid0(VALU_DEP_1) | instskip(SKIP_1) | instid1(VALU_DEP_2)
	v_dual_cndmask_b32 v7, v15, v7 :: v_dual_cndmask_b32 v6, v14, v6
	v_cmp_o_f64_e32 vcc_lo, v[22:23], v[22:23]
                                        ; implicit-def: $vgpr14_vgpr15
	v_ldexp_f64 v[6:7], v[6:7], v1
	s_delay_alu instid0(VALU_DEP_1) | instskip(NEXT) | instid1(VALU_DEP_2)
	v_cndmask_b32_e32 v1, 0, v6, vcc_lo
	v_cndmask_b32_e32 v6, 0x7ff80000, v7, vcc_lo
	s_delay_alu instid0(VALU_DEP_1) | instskip(NEXT) | instid1(VALU_DEP_3)
	v_cndmask_b32_e64 v7, v6, 0x7ff00000, s27
	v_cndmask_b32_e64 v6, v1, 0, s27
	s_and_saveexec_b32 s27, s3
	s_delay_alu instid0(SALU_CYCLE_1)
	s_xor_b32 s3, exec_lo, s27
	s_cbranch_execnz .LBB295_144
; %bb.15:                               ;   in Loop: Header=BB295_4 Depth=1
	s_and_not1_saveexec_b32 s3, s3
	s_cbranch_execnz .LBB295_145
.LBB295_16:                             ;   in Loop: Header=BB295_4 Depth=1
	s_or_b32 exec_lo, exec_lo, s3
	s_and_saveexec_b32 s3, s2
	s_delay_alu instid0(SALU_CYCLE_1)
	s_xor_b32 s2, exec_lo, s3
	s_cbranch_execnz .LBB295_146
.LBB295_17:                             ;   in Loop: Header=BB295_4 Depth=1
	s_and_not1_saveexec_b32 s2, s2
	s_cbranch_execz .LBB295_19
.LBB295_18:                             ;   in Loop: Header=BB295_4 Depth=1
	s_delay_alu instid0(VALU_DEP_2) | instskip(NEXT) | instid1(VALU_DEP_2)
	v_add_f64_e32 v[14:15], v[14:15], v[14:15]
	v_add_f64_e32 v[22:23], v[22:23], v[22:23]
.LBB295_19:                             ;   in Loop: Header=BB295_4 Depth=1
	s_or_b32 exec_lo, exec_lo, s2
.LBB295_20:                             ;   in Loop: Header=BB295_4 Depth=1
	s_and_not1_saveexec_b32 s2, s25
	s_cbranch_execz .LBB295_143
; %bb.21:                               ;   in Loop: Header=BB295_4 Depth=1
	s_delay_alu instid0(VALU_DEP_1) | instskip(SKIP_1) | instid1(VALU_DEP_1)
	v_add_f64_e64 v[6:7], v[22:23], -v[22:23]
	s_mov_b32 s3, exec_lo
	v_and_b32_e32 v15, 0x7fffffff, v7
	s_delay_alu instid0(VALU_DEP_2)
	v_mov_b32_e32 v14, v6
	v_cmpx_lt_i64_e32 -1, v[20:21]
	s_xor_b32 s3, exec_lo, s3
; %bb.22:                               ;   in Loop: Header=BB295_4 Depth=1
	v_bfi_b32 v7, 0x7fffffff, v7, v23
	v_mov_b64_e32 v[14:15], v[20:21]
	s_delay_alu instid0(VALU_DEP_2)
	v_mov_b64_e32 v[22:23], v[6:7]
; %bb.23:                               ;   in Loop: Header=BB295_4 Depth=1
	s_and_not1_saveexec_b32 s3, s3
; %bb.24:                               ;   in Loop: Header=BB295_4 Depth=1
	s_delay_alu instid0(VALU_DEP_1) | instskip(NEXT) | instid1(VALU_DEP_1)
	v_bfi_b32 v21, 0x7fffffff, v21, v23
	v_mov_b64_e32 v[22:23], v[20:21]
; %bb.25:                               ;   in Loop: Header=BB295_4 Depth=1
	s_or_b32 exec_lo, exec_lo, s3
	s_delay_alu instid0(SALU_CYCLE_1)
	s_or_b32 exec_lo, exec_lo, s2
.LBB295_26:                             ;   in Loop: Header=BB295_4 Depth=1
	s_and_not1_saveexec_b32 s2, s24
	s_cbranch_execz .LBB295_28
.LBB295_27:                             ;   in Loop: Header=BB295_4 Depth=1
	s_delay_alu instid0(VALU_DEP_1) | instskip(NEXT) | instid1(VALU_DEP_1)
	v_add_f64_e64 v[6:7], v[22:23], -v[22:23]
	v_div_scale_f64 v[8:9], vcc_lo, v[6:7], v[6:7], v[6:7]
	s_delay_alu instid0(VALU_DEP_1) | instskip(SKIP_1) | instid1(TRANS32_DEP_1)
	v_rcp_f64_e32 v[14:15], v[8:9]
	v_nop
	v_fma_f64 v[22:23], -v[8:9], v[14:15], 1.0
	s_delay_alu instid0(VALU_DEP_1) | instskip(NEXT) | instid1(VALU_DEP_1)
	v_fmac_f64_e32 v[14:15], v[14:15], v[22:23]
	v_fma_f64 v[22:23], -v[8:9], v[14:15], 1.0
	s_delay_alu instid0(VALU_DEP_1) | instskip(NEXT) | instid1(VALU_DEP_1)
	v_fmac_f64_e32 v[14:15], v[14:15], v[22:23]
	v_mul_f64_e32 v[22:23], v[8:9], v[14:15]
	s_delay_alu instid0(VALU_DEP_1) | instskip(NEXT) | instid1(VALU_DEP_1)
	v_fma_f64 v[8:9], -v[8:9], v[22:23], v[8:9]
	v_div_fmas_f64 v[8:9], v[8:9], v[14:15], v[22:23]
	v_mov_b64_e32 v[14:15], v[20:21]
	s_delay_alu instid0(VALU_DEP_2)
	v_div_fixup_f64 v[22:23], v[8:9], v[6:7], v[6:7]
.LBB295_28:                             ;   in Loop: Header=BB295_4 Depth=1
	s_or_b32 exec_lo, exec_lo, s2
.LBB295_29:                             ;   in Loop: Header=BB295_4 Depth=1
	s_delay_alu instid0(SALU_CYCLE_1)
	s_or_b32 exec_lo, exec_lo, s23
.LBB295_30:                             ;   in Loop: Header=BB295_4 Depth=1
	s_delay_alu instid0(SALU_CYCLE_1) | instskip(NEXT) | instid1(VALU_DEP_2)
	s_or_b32 exec_lo, exec_lo, s22
	v_cmp_gt_f64_e32 vcc_lo, 0, v[14:15]
	v_xor_b32_e32 v1, 0x80000000, v15
	v_mov_b32_e32 v20, v14
	s_delay_alu instid0(VALU_DEP_4) | instskip(SKIP_1) | instid1(VALU_DEP_3)
	v_xor_b32_e32 v6, 0x80000000, v23
	s_mov_b32 s2, exec_lo
	v_dual_mov_b32 v30, v22 :: v_dual_cndmask_b32 v21, v15, v1
	v_cmp_gt_f64_e32 vcc_lo, 0, v[22:23]
	s_delay_alu instid0(VALU_DEP_3) | instskip(NEXT) | instid1(VALU_DEP_1)
	v_cndmask_b32_e32 v31, v23, v6, vcc_lo
                                        ; implicit-def: $vgpr8_vgpr9
	v_cmpx_ge_f64_e32 v[20:21], v[30:31]
	s_xor_b32 s3, exec_lo, s2
	s_cbranch_execz .LBB295_36
; %bb.31:                               ;   in Loop: Header=BB295_4 Depth=1
	v_cmp_neq_f64_e32 vcc_lo, 0, v[14:15]
	v_cmp_neq_f64_e64 s2, 0, v[22:23]
                                        ; implicit-def: $vgpr8_vgpr9
	s_or_b32 s2, vcc_lo, s2
	s_delay_alu instid0(SALU_CYCLE_1) | instskip(NEXT) | instid1(SALU_CYCLE_1)
	s_and_saveexec_b32 s22, s2
	s_xor_b32 s2, exec_lo, s22
	s_cbranch_execz .LBB295_33
; %bb.32:                               ;   in Loop: Header=BB295_4 Depth=1
	v_div_scale_f64 v[6:7], null, v[14:15], v[14:15], v[22:23]
	v_div_scale_f64 v[30:31], vcc_lo, v[22:23], v[14:15], v[22:23]
	s_delay_alu instid0(VALU_DEP_2) | instskip(SKIP_1) | instid1(TRANS32_DEP_1)
	v_rcp_f64_e32 v[8:9], v[6:7]
	v_nop
	v_fma_f64 v[20:21], -v[6:7], v[8:9], 1.0
	s_delay_alu instid0(VALU_DEP_1) | instskip(NEXT) | instid1(VALU_DEP_1)
	v_fmac_f64_e32 v[8:9], v[8:9], v[20:21]
	v_fma_f64 v[20:21], -v[6:7], v[8:9], 1.0
	s_delay_alu instid0(VALU_DEP_1) | instskip(NEXT) | instid1(VALU_DEP_1)
	v_fmac_f64_e32 v[8:9], v[8:9], v[20:21]
	v_mul_f64_e32 v[20:21], v[30:31], v[8:9]
	s_delay_alu instid0(VALU_DEP_1) | instskip(NEXT) | instid1(VALU_DEP_1)
	v_fma_f64 v[6:7], -v[6:7], v[20:21], v[30:31]
	v_div_fmas_f64 v[6:7], v[6:7], v[8:9], v[20:21]
	s_delay_alu instid0(VALU_DEP_1) | instskip(NEXT) | instid1(VALU_DEP_1)
	v_div_fixup_f64 v[6:7], v[6:7], v[14:15], v[22:23]
	v_fmac_f64_e32 v[14:15], v[22:23], v[6:7]
	s_delay_alu instid0(VALU_DEP_1) | instskip(SKIP_1) | instid1(VALU_DEP_2)
	v_div_scale_f64 v[8:9], null, v[14:15], v[14:15], 1.0
	v_div_scale_f64 v[30:31], vcc_lo, 1.0, v[14:15], 1.0
	v_rcp_f64_e32 v[20:21], v[8:9]
	v_nop
	s_delay_alu instid0(TRANS32_DEP_1) | instskip(NEXT) | instid1(VALU_DEP_1)
	v_fma_f64 v[22:23], -v[8:9], v[20:21], 1.0
	v_fmac_f64_e32 v[20:21], v[20:21], v[22:23]
	s_delay_alu instid0(VALU_DEP_1) | instskip(NEXT) | instid1(VALU_DEP_1)
	v_fma_f64 v[22:23], -v[8:9], v[20:21], 1.0
	v_fmac_f64_e32 v[20:21], v[20:21], v[22:23]
	s_delay_alu instid0(VALU_DEP_1) | instskip(NEXT) | instid1(VALU_DEP_1)
	v_mul_f64_e32 v[22:23], v[30:31], v[20:21]
	v_fma_f64 v[8:9], -v[8:9], v[22:23], v[30:31]
                                        ; implicit-def: $vgpr30_vgpr31
	s_delay_alu instid0(VALU_DEP_1) | instskip(SKIP_1) | instid1(VALU_DEP_2)
	v_div_fmas_f64 v[8:9], v[8:9], v[20:21], v[22:23]
	v_fma_f64 v[20:21], v[6:7], 0, 1.0
	v_div_fixup_f64 v[8:9], v[8:9], v[14:15], 1.0
	v_add_f64_e64 v[14:15], -v[6:7], 0
	s_delay_alu instid0(VALU_DEP_2) | instskip(NEXT) | instid1(VALU_DEP_2)
	v_mul_f64_e32 v[6:7], v[20:21], v[8:9]
	v_mul_f64_e32 v[8:9], v[14:15], v[8:9]
                                        ; implicit-def: $vgpr20_vgpr21
.LBB295_33:                             ;   in Loop: Header=BB295_4 Depth=1
	s_and_not1_saveexec_b32 s22, s2
	s_cbranch_execz .LBB295_35
; %bb.34:                               ;   in Loop: Header=BB295_4 Depth=1
	v_div_scale_f64 v[6:7], null, v[20:21], v[20:21], 1.0
	v_div_scale_f64 v[8:9], null, v[30:31], v[30:31], 0
	v_div_scale_f64 v[36:37], vcc_lo, 1.0, v[20:21], 1.0
	s_delay_alu instid0(VALU_DEP_3) | instskip(NEXT) | instid1(VALU_DEP_2)
	v_rcp_f64_e32 v[14:15], v[6:7]
	v_rcp_f64_e32 v[22:23], v[8:9]
	s_delay_alu instid0(TRANS32_DEP_2) | instskip(NEXT) | instid1(TRANS32_DEP_1)
	v_fma_f64 v[32:33], -v[6:7], v[14:15], 1.0
	v_fma_f64 v[34:35], -v[8:9], v[22:23], 1.0
	s_delay_alu instid0(VALU_DEP_2) | instskip(NEXT) | instid1(VALU_DEP_2)
	v_fmac_f64_e32 v[14:15], v[14:15], v[32:33]
	v_fmac_f64_e32 v[22:23], v[22:23], v[34:35]
	s_delay_alu instid0(VALU_DEP_2) | instskip(NEXT) | instid1(VALU_DEP_2)
	v_fma_f64 v[32:33], -v[6:7], v[14:15], 1.0
	v_fma_f64 v[34:35], -v[8:9], v[22:23], 1.0
	s_delay_alu instid0(VALU_DEP_2) | instskip(SKIP_1) | instid1(VALU_DEP_3)
	v_fmac_f64_e32 v[14:15], v[14:15], v[32:33]
	v_div_scale_f64 v[32:33], s2, 0, v[30:31], 0
	v_fmac_f64_e32 v[22:23], v[22:23], v[34:35]
	s_delay_alu instid0(VALU_DEP_3) | instskip(NEXT) | instid1(VALU_DEP_2)
	v_mul_f64_e32 v[34:35], v[36:37], v[14:15]
	v_mul_f64_e32 v[38:39], v[32:33], v[22:23]
	s_delay_alu instid0(VALU_DEP_2) | instskip(NEXT) | instid1(VALU_DEP_2)
	v_fma_f64 v[6:7], -v[6:7], v[34:35], v[36:37]
	v_fma_f64 v[8:9], -v[8:9], v[38:39], v[32:33]
	s_delay_alu instid0(VALU_DEP_2) | instskip(SKIP_1) | instid1(VALU_DEP_2)
	v_div_fmas_f64 v[6:7], v[6:7], v[14:15], v[34:35]
	s_mov_b32 vcc_lo, s2
	v_div_fmas_f64 v[8:9], v[8:9], v[22:23], v[38:39]
	s_delay_alu instid0(VALU_DEP_2) | instskip(NEXT) | instid1(VALU_DEP_2)
	v_div_fixup_f64 v[6:7], v[6:7], v[20:21], 1.0
	v_div_fixup_f64 v[8:9], v[8:9], v[30:31], 0
.LBB295_35:                             ;   in Loop: Header=BB295_4 Depth=1
	s_or_b32 exec_lo, exec_lo, s22
                                        ; implicit-def: $vgpr22_vgpr23
                                        ; implicit-def: $vgpr14_vgpr15
.LBB295_36:                             ;   in Loop: Header=BB295_4 Depth=1
	s_and_not1_saveexec_b32 s2, s3
	s_cbranch_execz .LBB295_38
; %bb.37:                               ;   in Loop: Header=BB295_4 Depth=1
	v_div_scale_f64 v[6:7], null, v[22:23], v[22:23], v[14:15]
	v_div_scale_f64 v[30:31], vcc_lo, v[14:15], v[22:23], v[14:15]
	s_delay_alu instid0(VALU_DEP_2) | instskip(SKIP_1) | instid1(TRANS32_DEP_1)
	v_rcp_f64_e32 v[8:9], v[6:7]
	v_nop
	v_fma_f64 v[20:21], -v[6:7], v[8:9], 1.0
	s_delay_alu instid0(VALU_DEP_1) | instskip(NEXT) | instid1(VALU_DEP_1)
	v_fmac_f64_e32 v[8:9], v[8:9], v[20:21]
	v_fma_f64 v[20:21], -v[6:7], v[8:9], 1.0
	s_delay_alu instid0(VALU_DEP_1) | instskip(NEXT) | instid1(VALU_DEP_1)
	v_fmac_f64_e32 v[8:9], v[8:9], v[20:21]
	v_mul_f64_e32 v[20:21], v[30:31], v[8:9]
	s_delay_alu instid0(VALU_DEP_1) | instskip(NEXT) | instid1(VALU_DEP_1)
	v_fma_f64 v[6:7], -v[6:7], v[20:21], v[30:31]
	v_div_fmas_f64 v[6:7], v[6:7], v[8:9], v[20:21]
	s_delay_alu instid0(VALU_DEP_1) | instskip(NEXT) | instid1(VALU_DEP_1)
	v_div_fixup_f64 v[6:7], v[6:7], v[22:23], v[14:15]
	v_fmac_f64_e32 v[22:23], v[14:15], v[6:7]
	s_delay_alu instid0(VALU_DEP_1) | instskip(SKIP_1) | instid1(VALU_DEP_2)
	v_div_scale_f64 v[8:9], null, v[22:23], v[22:23], 1.0
	v_div_scale_f64 v[30:31], vcc_lo, 1.0, v[22:23], 1.0
	v_rcp_f64_e32 v[14:15], v[8:9]
	v_nop
	s_delay_alu instid0(TRANS32_DEP_1) | instskip(NEXT) | instid1(VALU_DEP_1)
	v_fma_f64 v[20:21], -v[8:9], v[14:15], 1.0
	v_fmac_f64_e32 v[14:15], v[14:15], v[20:21]
	s_delay_alu instid0(VALU_DEP_1) | instskip(NEXT) | instid1(VALU_DEP_1)
	v_fma_f64 v[20:21], -v[8:9], v[14:15], 1.0
	v_fmac_f64_e32 v[14:15], v[14:15], v[20:21]
	s_delay_alu instid0(VALU_DEP_1) | instskip(NEXT) | instid1(VALU_DEP_1)
	v_mul_f64_e32 v[20:21], v[30:31], v[14:15]
	v_fma_f64 v[8:9], -v[8:9], v[20:21], v[30:31]
	s_delay_alu instid0(VALU_DEP_1) | instskip(SKIP_2) | instid1(VALU_DEP_3)
	v_div_fmas_f64 v[8:9], v[8:9], v[14:15], v[20:21]
	v_add_f64_e32 v[14:15], 0, v[6:7]
	v_fma_f64 v[20:21], v[6:7], 0, -1.0
	v_div_fixup_f64 v[8:9], v[8:9], v[22:23], 1.0
	s_delay_alu instid0(VALU_DEP_1) | instskip(NEXT) | instid1(VALU_DEP_3)
	v_mul_f64_e32 v[6:7], v[14:15], v[8:9]
	v_mul_f64_e32 v[8:9], v[20:21], v[8:9]
.LBB295_38:                             ;   in Loop: Header=BB295_4 Depth=1
	s_or_b32 exec_lo, exec_lo, s2
	s_wait_loadcnt 0x2
	v_cmp_neq_f64_e32 vcc_lo, 0, v[16:17]
	v_cmp_neq_f64_e64 s2, 0, v[18:19]
	v_mov_b64_e32 v[20:21], 0
	s_or_b32 s2, vcc_lo, s2
	s_delay_alu instid0(SALU_CYCLE_1)
	s_and_saveexec_b32 s22, s2
	s_cbranch_execz .LBB295_65
; %bb.39:                               ;   in Loop: Header=BB295_4 Depth=1
	v_mov_b64_e32 v[20:21], 0x7ff0000000000000
	s_mov_b32 s23, exec_lo
	v_cmpx_neq_f64_e64 0x7ff00000, |v[18:19]|
	s_cbranch_execz .LBB295_64
; %bb.40:                               ;   in Loop: Header=BB295_4 Depth=1
                                        ; implicit-def: $vgpr20_vgpr21
	s_mov_b32 s2, exec_lo
	v_cmpx_o_f64_e32 v[16:17], v[16:17]
	s_xor_b32 s24, exec_lo, s2
	s_cbranch_execz .LBB295_61
; %bb.41:                               ;   in Loop: Header=BB295_4 Depth=1
                                        ; implicit-def: $vgpr20_vgpr21
	s_mov_b32 s3, exec_lo
	v_cmpx_neq_f64_e64 0x7ff00000, |v[16:17]|
	s_xor_b32 s25, exec_lo, s3
	s_cbranch_execz .LBB295_54
; %bb.42:                               ;   in Loop: Header=BB295_4 Depth=1
	v_max_num_f64_e64 v[14:15], |v[18:19]|, |v[18:19]|
	v_max_num_f64_e64 v[20:21], |v[16:17]|, |v[16:17]|
                                        ; implicit-def: $sgpr26
	s_delay_alu instid0(VALU_DEP_1) | instskip(NEXT) | instid1(VALU_DEP_1)
	v_max_num_f64_e32 v[14:15], v[20:21], v[14:15]
	v_cmp_nle_f64_e64 s2, s[12:13], v[14:15]
	s_and_saveexec_b32 s3, s2
	s_delay_alu instid0(SALU_CYCLE_1)
	s_xor_b32 s3, exec_lo, s3
	s_cbranch_execz .LBB295_46
; %bb.43:                               ;   in Loop: Header=BB295_4 Depth=1
	v_cmp_ge_f64_e64 s26, 0x200000, |v[16:17]|
	v_cmp_ge_f64_e64 s27, 0x200000, |v[18:19]|
	s_and_b32 s28, s26, s27
	s_mov_b32 s26, 0
	s_and_saveexec_b32 s27, s28
	s_cbranch_execz .LBB295_45
; %bb.44:                               ;   in Loop: Header=BB295_4 Depth=1
	v_mul_f64_e32 v[16:17], 4.0, v[16:17]
	v_mul_f64_e32 v[18:19], 4.0, v[18:19]
	s_mov_b32 s26, exec_lo
.LBB295_45:                             ;   in Loop: Header=BB295_4 Depth=1
	s_or_b32 exec_lo, exec_lo, s27
.LBB295_46:                             ;   in Loop: Header=BB295_4 Depth=1
	s_and_not1_saveexec_b32 s3, s3
	s_cbranch_execz .LBB295_48
; %bb.47:                               ;   in Loop: Header=BB295_4 Depth=1
	s_delay_alu instid0(VALU_DEP_2) | instskip(NEXT) | instid1(VALU_DEP_2)
	v_ldexp_f64 v[16:17], v[16:17], -2
	v_ldexp_f64 v[18:19], v[18:19], -2
	s_and_not1_b32 s26, s26, exec_lo
.LBB295_48:                             ;   in Loop: Header=BB295_4 Depth=1
	s_or_b32 exec_lo, exec_lo, s3
	s_delay_alu instid0(VALU_DEP_1) | instskip(NEXT) | instid1(VALU_DEP_3)
	v_max_num_f64_e64 v[14:15], |v[18:19]|, |v[18:19]|
	v_max_num_f64_e64 v[20:21], |v[16:17]|, |v[16:17]|
	v_cmp_class_f64_e64 s27, v[16:17], 0x204
	v_cmp_class_f64_e64 s28, v[18:19], 0x204
	v_cmp_le_f64_e64 s3, 0, v[16:17]
	s_delay_alu instid0(VALU_DEP_4) | instskip(SKIP_1) | instid1(VALU_DEP_1)
	v_max_num_f64_e32 v[14:15], v[20:21], v[14:15]
	s_or_b32 s27, s28, s27
	v_frexp_exp_i32_f64_e32 v1, v[14:15]
	s_delay_alu instid0(VALU_DEP_1) | instskip(NEXT) | instid1(VALU_DEP_1)
	v_sub_nc_u32_e32 v20, 0, v1
	v_ldexp_f64 v[14:15], |v[18:19]|, v20
	v_ldexp_f64 v[20:21], |v[16:17]|, v20
	s_delay_alu instid0(VALU_DEP_2) | instskip(NEXT) | instid1(VALU_DEP_1)
	v_mul_f64_e32 v[14:15], v[14:15], v[14:15]
	v_fmac_f64_e32 v[14:15], v[20:21], v[20:21]
	s_delay_alu instid0(VALU_DEP_1) | instskip(SKIP_1) | instid1(TRANS32_DEP_1)
	v_rsq_f64_e32 v[20:21], v[14:15]
	v_cmp_eq_f64_e32 vcc_lo, 0, v[14:15]
	v_mul_f64_e32 v[22:23], v[14:15], v[20:21]
	v_mul_f64_e32 v[20:21], 0.5, v[20:21]
	s_delay_alu instid0(VALU_DEP_1) | instskip(NEXT) | instid1(VALU_DEP_1)
	v_fma_f64 v[30:31], -v[20:21], v[22:23], 0.5
	v_fmac_f64_e32 v[22:23], v[22:23], v[30:31]
	v_fmac_f64_e32 v[20:21], v[20:21], v[30:31]
	s_delay_alu instid0(VALU_DEP_2) | instskip(NEXT) | instid1(VALU_DEP_1)
	v_fma_f64 v[30:31], -v[22:23], v[22:23], v[14:15]
	v_fmac_f64_e32 v[22:23], v[30:31], v[20:21]
                                        ; implicit-def: $vgpr20_vgpr21
	s_delay_alu instid0(VALU_DEP_1) | instskip(SKIP_1) | instid1(VALU_DEP_2)
	v_dual_cndmask_b32 v15, v23, v15 :: v_dual_cndmask_b32 v14, v22, v14
	v_cmp_o_f64_e32 vcc_lo, v[18:19], v[18:19]
	v_ldexp_f64 v[14:15], v[14:15], v1
	s_delay_alu instid0(VALU_DEP_1) | instskip(NEXT) | instid1(VALU_DEP_2)
	v_cndmask_b32_e32 v1, 0, v14, vcc_lo
	v_cndmask_b32_e32 v14, 0x7ff80000, v15, vcc_lo
	s_delay_alu instid0(VALU_DEP_1) | instskip(NEXT) | instid1(VALU_DEP_3)
	v_cndmask_b32_e64 v15, v14, 0x7ff00000, s27
	v_cndmask_b32_e64 v14, v1, 0, s27
	s_and_saveexec_b32 s27, s3
	s_delay_alu instid0(SALU_CYCLE_1)
	s_xor_b32 s3, exec_lo, s27
	s_cbranch_execnz .LBB295_149
; %bb.49:                               ;   in Loop: Header=BB295_4 Depth=1
	s_and_not1_saveexec_b32 s3, s3
	s_cbranch_execnz .LBB295_150
.LBB295_50:                             ;   in Loop: Header=BB295_4 Depth=1
	s_or_b32 exec_lo, exec_lo, s3
	s_and_saveexec_b32 s3, s2
	s_delay_alu instid0(SALU_CYCLE_1)
	s_xor_b32 s2, exec_lo, s3
	s_cbranch_execnz .LBB295_151
.LBB295_51:                             ;   in Loop: Header=BB295_4 Depth=1
	s_and_not1_saveexec_b32 s2, s2
	s_cbranch_execz .LBB295_53
.LBB295_52:                             ;   in Loop: Header=BB295_4 Depth=1
	s_delay_alu instid0(VALU_DEP_2) | instskip(NEXT) | instid1(VALU_DEP_2)
	v_add_f64_e32 v[20:21], v[20:21], v[20:21]
	v_add_f64_e32 v[18:19], v[18:19], v[18:19]
.LBB295_53:                             ;   in Loop: Header=BB295_4 Depth=1
	s_or_b32 exec_lo, exec_lo, s2
.LBB295_54:                             ;   in Loop: Header=BB295_4 Depth=1
	s_and_not1_saveexec_b32 s2, s25
	s_cbranch_execz .LBB295_60
; %bb.55:                               ;   in Loop: Header=BB295_4 Depth=1
	s_delay_alu instid0(VALU_DEP_1) | instskip(SKIP_1) | instid1(VALU_DEP_1)
	v_add_f64_e64 v[14:15], v[18:19], -v[18:19]
	s_mov_b32 s3, exec_lo
	v_and_b32_e32 v21, 0x7fffffff, v15
	s_delay_alu instid0(VALU_DEP_2)
	v_mov_b32_e32 v20, v14
	v_cmpx_lt_i64_e32 -1, v[16:17]
	s_xor_b32 s3, exec_lo, s3
; %bb.56:                               ;   in Loop: Header=BB295_4 Depth=1
	v_bfi_b32 v15, 0x7fffffff, v15, v19
	v_mov_b64_e32 v[20:21], v[16:17]
	s_delay_alu instid0(VALU_DEP_2)
	v_mov_b64_e32 v[18:19], v[14:15]
; %bb.57:                               ;   in Loop: Header=BB295_4 Depth=1
	s_and_not1_saveexec_b32 s3, s3
; %bb.58:                               ;   in Loop: Header=BB295_4 Depth=1
	s_delay_alu instid0(VALU_DEP_1) | instskip(NEXT) | instid1(VALU_DEP_1)
	v_bfi_b32 v17, 0x7fffffff, v17, v19
	v_mov_b64_e32 v[18:19], v[16:17]
; %bb.59:                               ;   in Loop: Header=BB295_4 Depth=1
	s_or_b32 exec_lo, exec_lo, s3
.LBB295_60:                             ;   in Loop: Header=BB295_4 Depth=1
	s_delay_alu instid0(SALU_CYCLE_1)
	s_or_b32 exec_lo, exec_lo, s2
.LBB295_61:                             ;   in Loop: Header=BB295_4 Depth=1
	s_and_not1_saveexec_b32 s2, s24
	s_cbranch_execz .LBB295_63
; %bb.62:                               ;   in Loop: Header=BB295_4 Depth=1
	s_delay_alu instid0(VALU_DEP_1) | instskip(NEXT) | instid1(VALU_DEP_1)
	v_add_f64_e64 v[14:15], v[18:19], -v[18:19]
	v_div_scale_f64 v[18:19], vcc_lo, v[14:15], v[14:15], v[14:15]
	s_delay_alu instid0(VALU_DEP_1) | instskip(SKIP_1) | instid1(TRANS32_DEP_1)
	v_rcp_f64_e32 v[20:21], v[18:19]
	v_nop
	v_fma_f64 v[22:23], -v[18:19], v[20:21], 1.0
	s_delay_alu instid0(VALU_DEP_1) | instskip(NEXT) | instid1(VALU_DEP_1)
	v_fmac_f64_e32 v[20:21], v[20:21], v[22:23]
	v_fma_f64 v[22:23], -v[18:19], v[20:21], 1.0
	s_delay_alu instid0(VALU_DEP_1) | instskip(NEXT) | instid1(VALU_DEP_1)
	v_fmac_f64_e32 v[20:21], v[20:21], v[22:23]
	v_mul_f64_e32 v[22:23], v[18:19], v[20:21]
	s_delay_alu instid0(VALU_DEP_1) | instskip(NEXT) | instid1(VALU_DEP_1)
	v_fma_f64 v[18:19], -v[18:19], v[22:23], v[18:19]
	v_div_fmas_f64 v[18:19], v[18:19], v[20:21], v[22:23]
	v_mov_b64_e32 v[20:21], v[16:17]
	s_delay_alu instid0(VALU_DEP_2)
	v_div_fixup_f64 v[18:19], v[18:19], v[14:15], v[14:15]
.LBB295_63:                             ;   in Loop: Header=BB295_4 Depth=1
	s_or_b32 exec_lo, exec_lo, s2
.LBB295_64:                             ;   in Loop: Header=BB295_4 Depth=1
	s_delay_alu instid0(SALU_CYCLE_1)
	s_or_b32 exec_lo, exec_lo, s23
.LBB295_65:                             ;   in Loop: Header=BB295_4 Depth=1
	s_delay_alu instid0(SALU_CYCLE_1) | instskip(NEXT) | instid1(VALU_DEP_1)
	s_or_b32 exec_lo, exec_lo, s22
	v_cmp_gt_f64_e32 vcc_lo, 0, v[20:21]
	v_xor_b32_e32 v1, 0x80000000, v21
	v_mov_b32_e32 v22, v20
	s_delay_alu instid0(VALU_DEP_4) | instskip(SKIP_1) | instid1(VALU_DEP_3)
	v_xor_b32_e32 v14, 0x80000000, v19
	s_mov_b32 s2, exec_lo
	v_dual_mov_b32 v30, v18 :: v_dual_cndmask_b32 v23, v21, v1
	v_cmp_gt_f64_e32 vcc_lo, 0, v[18:19]
	s_delay_alu instid0(VALU_DEP_3) | instskip(NEXT) | instid1(VALU_DEP_1)
	v_cndmask_b32_e32 v31, v19, v14, vcc_lo
                                        ; implicit-def: $vgpr16_vgpr17
	v_cmpx_ge_f64_e32 v[22:23], v[30:31]
	s_xor_b32 s3, exec_lo, s2
	s_cbranch_execz .LBB295_71
; %bb.66:                               ;   in Loop: Header=BB295_4 Depth=1
	v_cmp_neq_f64_e32 vcc_lo, 0, v[20:21]
	v_cmp_neq_f64_e64 s2, 0, v[18:19]
                                        ; implicit-def: $vgpr16_vgpr17
	s_or_b32 s2, vcc_lo, s2
	s_delay_alu instid0(SALU_CYCLE_1) | instskip(NEXT) | instid1(SALU_CYCLE_1)
	s_and_saveexec_b32 s22, s2
	s_xor_b32 s2, exec_lo, s22
	s_cbranch_execz .LBB295_68
; %bb.67:                               ;   in Loop: Header=BB295_4 Depth=1
	v_div_scale_f64 v[14:15], null, v[20:21], v[20:21], v[18:19]
	v_div_scale_f64 v[30:31], vcc_lo, v[18:19], v[20:21], v[18:19]
	s_delay_alu instid0(VALU_DEP_2) | instskip(SKIP_1) | instid1(TRANS32_DEP_1)
	v_rcp_f64_e32 v[16:17], v[14:15]
	v_nop
	v_fma_f64 v[22:23], -v[14:15], v[16:17], 1.0
	s_delay_alu instid0(VALU_DEP_1) | instskip(NEXT) | instid1(VALU_DEP_1)
	v_fmac_f64_e32 v[16:17], v[16:17], v[22:23]
	v_fma_f64 v[22:23], -v[14:15], v[16:17], 1.0
	s_delay_alu instid0(VALU_DEP_1) | instskip(NEXT) | instid1(VALU_DEP_1)
	v_fmac_f64_e32 v[16:17], v[16:17], v[22:23]
	v_mul_f64_e32 v[22:23], v[30:31], v[16:17]
	s_delay_alu instid0(VALU_DEP_1) | instskip(NEXT) | instid1(VALU_DEP_1)
	v_fma_f64 v[14:15], -v[14:15], v[22:23], v[30:31]
	v_div_fmas_f64 v[14:15], v[14:15], v[16:17], v[22:23]
	s_delay_alu instid0(VALU_DEP_1) | instskip(NEXT) | instid1(VALU_DEP_1)
	v_div_fixup_f64 v[14:15], v[14:15], v[20:21], v[18:19]
	v_fmac_f64_e32 v[20:21], v[18:19], v[14:15]
	s_delay_alu instid0(VALU_DEP_1) | instskip(SKIP_1) | instid1(VALU_DEP_2)
	v_div_scale_f64 v[16:17], null, v[20:21], v[20:21], 1.0
	v_div_scale_f64 v[30:31], vcc_lo, 1.0, v[20:21], 1.0
	v_rcp_f64_e32 v[18:19], v[16:17]
	v_nop
	s_delay_alu instid0(TRANS32_DEP_1) | instskip(NEXT) | instid1(VALU_DEP_1)
	v_fma_f64 v[22:23], -v[16:17], v[18:19], 1.0
	v_fmac_f64_e32 v[18:19], v[18:19], v[22:23]
	s_delay_alu instid0(VALU_DEP_1) | instskip(NEXT) | instid1(VALU_DEP_1)
	v_fma_f64 v[22:23], -v[16:17], v[18:19], 1.0
	v_fmac_f64_e32 v[18:19], v[18:19], v[22:23]
	s_delay_alu instid0(VALU_DEP_1) | instskip(NEXT) | instid1(VALU_DEP_1)
	v_mul_f64_e32 v[22:23], v[30:31], v[18:19]
	v_fma_f64 v[16:17], -v[16:17], v[22:23], v[30:31]
                                        ; implicit-def: $vgpr30_vgpr31
	s_delay_alu instid0(VALU_DEP_1) | instskip(SKIP_1) | instid1(VALU_DEP_2)
	v_div_fmas_f64 v[16:17], v[16:17], v[18:19], v[22:23]
	v_fma_f64 v[18:19], v[14:15], 0, 1.0
                                        ; implicit-def: $vgpr22_vgpr23
	v_div_fixup_f64 v[16:17], v[16:17], v[20:21], 1.0
	v_add_f64_e64 v[20:21], -v[14:15], 0
	s_delay_alu instid0(VALU_DEP_2) | instskip(NEXT) | instid1(VALU_DEP_2)
	v_mul_f64_e32 v[14:15], v[18:19], v[16:17]
	v_mul_f64_e32 v[16:17], v[20:21], v[16:17]
.LBB295_68:                             ;   in Loop: Header=BB295_4 Depth=1
	s_and_not1_saveexec_b32 s22, s2
	s_cbranch_execz .LBB295_70
; %bb.69:                               ;   in Loop: Header=BB295_4 Depth=1
	v_div_scale_f64 v[14:15], null, v[22:23], v[22:23], 1.0
	v_div_scale_f64 v[16:17], null, v[30:31], v[30:31], 0
	v_div_scale_f64 v[36:37], vcc_lo, 1.0, v[22:23], 1.0
	s_delay_alu instid0(VALU_DEP_3) | instskip(NEXT) | instid1(VALU_DEP_2)
	v_rcp_f64_e32 v[18:19], v[14:15]
	v_rcp_f64_e32 v[20:21], v[16:17]
	s_delay_alu instid0(TRANS32_DEP_2) | instskip(NEXT) | instid1(TRANS32_DEP_1)
	v_fma_f64 v[32:33], -v[14:15], v[18:19], 1.0
	v_fma_f64 v[34:35], -v[16:17], v[20:21], 1.0
	s_delay_alu instid0(VALU_DEP_2) | instskip(NEXT) | instid1(VALU_DEP_2)
	v_fmac_f64_e32 v[18:19], v[18:19], v[32:33]
	v_fmac_f64_e32 v[20:21], v[20:21], v[34:35]
	s_delay_alu instid0(VALU_DEP_2) | instskip(NEXT) | instid1(VALU_DEP_2)
	v_fma_f64 v[32:33], -v[14:15], v[18:19], 1.0
	v_fma_f64 v[34:35], -v[16:17], v[20:21], 1.0
	s_delay_alu instid0(VALU_DEP_2) | instskip(SKIP_1) | instid1(VALU_DEP_3)
	v_fmac_f64_e32 v[18:19], v[18:19], v[32:33]
	v_div_scale_f64 v[32:33], s2, 0, v[30:31], 0
	v_fmac_f64_e32 v[20:21], v[20:21], v[34:35]
	s_delay_alu instid0(VALU_DEP_3) | instskip(NEXT) | instid1(VALU_DEP_2)
	v_mul_f64_e32 v[34:35], v[36:37], v[18:19]
	v_mul_f64_e32 v[38:39], v[32:33], v[20:21]
	s_delay_alu instid0(VALU_DEP_2) | instskip(NEXT) | instid1(VALU_DEP_2)
	v_fma_f64 v[14:15], -v[14:15], v[34:35], v[36:37]
	v_fma_f64 v[16:17], -v[16:17], v[38:39], v[32:33]
	s_delay_alu instid0(VALU_DEP_2) | instskip(SKIP_1) | instid1(VALU_DEP_2)
	v_div_fmas_f64 v[14:15], v[14:15], v[18:19], v[34:35]
	s_mov_b32 vcc_lo, s2
	v_div_fmas_f64 v[16:17], v[16:17], v[20:21], v[38:39]
	s_delay_alu instid0(VALU_DEP_2) | instskip(NEXT) | instid1(VALU_DEP_2)
	v_div_fixup_f64 v[14:15], v[14:15], v[22:23], 1.0
	v_div_fixup_f64 v[16:17], v[16:17], v[30:31], 0
.LBB295_70:                             ;   in Loop: Header=BB295_4 Depth=1
	s_or_b32 exec_lo, exec_lo, s22
                                        ; implicit-def: $vgpr18_vgpr19
                                        ; implicit-def: $vgpr20_vgpr21
.LBB295_71:                             ;   in Loop: Header=BB295_4 Depth=1
	s_and_not1_saveexec_b32 s2, s3
	s_cbranch_execz .LBB295_73
; %bb.72:                               ;   in Loop: Header=BB295_4 Depth=1
	v_div_scale_f64 v[14:15], null, v[18:19], v[18:19], v[20:21]
	v_div_scale_f64 v[30:31], vcc_lo, v[20:21], v[18:19], v[20:21]
	s_delay_alu instid0(VALU_DEP_2) | instskip(SKIP_1) | instid1(TRANS32_DEP_1)
	v_rcp_f64_e32 v[16:17], v[14:15]
	v_nop
	v_fma_f64 v[22:23], -v[14:15], v[16:17], 1.0
	s_delay_alu instid0(VALU_DEP_1) | instskip(NEXT) | instid1(VALU_DEP_1)
	v_fmac_f64_e32 v[16:17], v[16:17], v[22:23]
	v_fma_f64 v[22:23], -v[14:15], v[16:17], 1.0
	s_delay_alu instid0(VALU_DEP_1) | instskip(NEXT) | instid1(VALU_DEP_1)
	v_fmac_f64_e32 v[16:17], v[16:17], v[22:23]
	v_mul_f64_e32 v[22:23], v[30:31], v[16:17]
	s_delay_alu instid0(VALU_DEP_1) | instskip(NEXT) | instid1(VALU_DEP_1)
	v_fma_f64 v[14:15], -v[14:15], v[22:23], v[30:31]
	v_div_fmas_f64 v[14:15], v[14:15], v[16:17], v[22:23]
	s_delay_alu instid0(VALU_DEP_1) | instskip(NEXT) | instid1(VALU_DEP_1)
	v_div_fixup_f64 v[14:15], v[14:15], v[18:19], v[20:21]
	v_fmac_f64_e32 v[18:19], v[20:21], v[14:15]
	s_delay_alu instid0(VALU_DEP_1) | instskip(SKIP_1) | instid1(VALU_DEP_2)
	v_div_scale_f64 v[16:17], null, v[18:19], v[18:19], 1.0
	v_div_scale_f64 v[30:31], vcc_lo, 1.0, v[18:19], 1.0
	v_rcp_f64_e32 v[20:21], v[16:17]
	v_nop
	s_delay_alu instid0(TRANS32_DEP_1) | instskip(NEXT) | instid1(VALU_DEP_1)
	v_fma_f64 v[22:23], -v[16:17], v[20:21], 1.0
	v_fmac_f64_e32 v[20:21], v[20:21], v[22:23]
	s_delay_alu instid0(VALU_DEP_1) | instskip(NEXT) | instid1(VALU_DEP_1)
	v_fma_f64 v[22:23], -v[16:17], v[20:21], 1.0
	v_fmac_f64_e32 v[20:21], v[20:21], v[22:23]
	s_delay_alu instid0(VALU_DEP_1) | instskip(NEXT) | instid1(VALU_DEP_1)
	v_mul_f64_e32 v[22:23], v[30:31], v[20:21]
	v_fma_f64 v[16:17], -v[16:17], v[22:23], v[30:31]
	s_delay_alu instid0(VALU_DEP_1) | instskip(SKIP_1) | instid1(VALU_DEP_2)
	v_div_fmas_f64 v[16:17], v[16:17], v[20:21], v[22:23]
	v_add_f64_e32 v[20:21], 0, v[14:15]
	v_div_fixup_f64 v[16:17], v[16:17], v[18:19], 1.0
	v_fma_f64 v[18:19], v[14:15], 0, -1.0
	s_delay_alu instid0(VALU_DEP_2) | instskip(NEXT) | instid1(VALU_DEP_2)
	v_mul_f64_e32 v[14:15], v[20:21], v[16:17]
	v_mul_f64_e32 v[16:17], v[18:19], v[16:17]
.LBB295_73:                             ;   in Loop: Header=BB295_4 Depth=1
	s_or_b32 exec_lo, exec_lo, s2
	s_wait_loadcnt 0x0
	v_cmp_neq_f64_e32 vcc_lo, 0, v[10:11]
	v_cmp_neq_f64_e64 s2, 0, v[12:13]
	v_mov_b64_e32 v[22:23], 0
	s_or_b32 s2, vcc_lo, s2
	s_delay_alu instid0(SALU_CYCLE_1)
	s_and_saveexec_b32 s22, s2
	s_cbranch_execz .LBB295_100
; %bb.74:                               ;   in Loop: Header=BB295_4 Depth=1
	v_mov_b64_e32 v[22:23], 0x7ff0000000000000
	s_mov_b32 s23, exec_lo
	v_cmpx_neq_f64_e64 0x7ff00000, |v[12:13]|
	s_cbranch_execz .LBB295_99
; %bb.75:                               ;   in Loop: Header=BB295_4 Depth=1
                                        ; implicit-def: $vgpr22_vgpr23
	s_mov_b32 s2, exec_lo
	v_cmpx_o_f64_e32 v[10:11], v[10:11]
	s_xor_b32 s24, exec_lo, s2
	s_cbranch_execz .LBB295_96
; %bb.76:                               ;   in Loop: Header=BB295_4 Depth=1
                                        ; implicit-def: $vgpr22_vgpr23
	s_mov_b32 s3, exec_lo
	v_cmpx_neq_f64_e64 0x7ff00000, |v[10:11]|
	s_xor_b32 s25, exec_lo, s3
	s_cbranch_execz .LBB295_89
; %bb.77:                               ;   in Loop: Header=BB295_4 Depth=1
	v_max_num_f64_e64 v[18:19], |v[12:13]|, |v[12:13]|
	v_max_num_f64_e64 v[20:21], |v[10:11]|, |v[10:11]|
                                        ; implicit-def: $sgpr26
	s_delay_alu instid0(VALU_DEP_1) | instskip(NEXT) | instid1(VALU_DEP_1)
	v_max_num_f64_e32 v[18:19], v[20:21], v[18:19]
	v_cmp_nle_f64_e64 s2, s[12:13], v[18:19]
	s_and_saveexec_b32 s3, s2
	s_delay_alu instid0(SALU_CYCLE_1)
	s_xor_b32 s3, exec_lo, s3
	s_cbranch_execz .LBB295_81
; %bb.78:                               ;   in Loop: Header=BB295_4 Depth=1
	v_cmp_ge_f64_e64 s26, 0x200000, |v[10:11]|
	v_cmp_ge_f64_e64 s27, 0x200000, |v[12:13]|
	s_and_b32 s28, s26, s27
	s_mov_b32 s26, 0
	s_and_saveexec_b32 s27, s28
	s_cbranch_execz .LBB295_80
; %bb.79:                               ;   in Loop: Header=BB295_4 Depth=1
	v_mul_f64_e32 v[10:11], 4.0, v[10:11]
	v_mul_f64_e32 v[12:13], 4.0, v[12:13]
	s_mov_b32 s26, exec_lo
.LBB295_80:                             ;   in Loop: Header=BB295_4 Depth=1
	s_or_b32 exec_lo, exec_lo, s27
.LBB295_81:                             ;   in Loop: Header=BB295_4 Depth=1
	s_and_not1_saveexec_b32 s3, s3
	s_cbranch_execz .LBB295_83
; %bb.82:                               ;   in Loop: Header=BB295_4 Depth=1
	s_delay_alu instid0(VALU_DEP_2) | instskip(NEXT) | instid1(VALU_DEP_2)
	v_ldexp_f64 v[10:11], v[10:11], -2
	v_ldexp_f64 v[12:13], v[12:13], -2
	s_and_not1_b32 s26, s26, exec_lo
.LBB295_83:                             ;   in Loop: Header=BB295_4 Depth=1
	s_or_b32 exec_lo, exec_lo, s3
	s_delay_alu instid0(VALU_DEP_1) | instskip(NEXT) | instid1(VALU_DEP_3)
	v_max_num_f64_e64 v[18:19], |v[12:13]|, |v[12:13]|
	v_max_num_f64_e64 v[20:21], |v[10:11]|, |v[10:11]|
	v_cmp_class_f64_e64 s27, v[10:11], 0x204
	v_cmp_class_f64_e64 s28, v[12:13], 0x204
	v_cmp_le_f64_e64 s3, 0, v[10:11]
	s_delay_alu instid0(VALU_DEP_4) | instskip(SKIP_1) | instid1(VALU_DEP_1)
	v_max_num_f64_e32 v[18:19], v[20:21], v[18:19]
	s_or_b32 s27, s28, s27
	v_frexp_exp_i32_f64_e32 v1, v[18:19]
	s_delay_alu instid0(VALU_DEP_1) | instskip(NEXT) | instid1(VALU_DEP_1)
	v_sub_nc_u32_e32 v20, 0, v1
	v_ldexp_f64 v[18:19], |v[12:13]|, v20
	v_ldexp_f64 v[20:21], |v[10:11]|, v20
	s_delay_alu instid0(VALU_DEP_2) | instskip(NEXT) | instid1(VALU_DEP_1)
	v_mul_f64_e32 v[18:19], v[18:19], v[18:19]
	v_fmac_f64_e32 v[18:19], v[20:21], v[20:21]
	s_delay_alu instid0(VALU_DEP_1) | instskip(SKIP_1) | instid1(TRANS32_DEP_1)
	v_rsq_f64_e32 v[20:21], v[18:19]
	v_cmp_eq_f64_e32 vcc_lo, 0, v[18:19]
	v_mul_f64_e32 v[22:23], v[18:19], v[20:21]
	v_mul_f64_e32 v[20:21], 0.5, v[20:21]
	s_delay_alu instid0(VALU_DEP_1) | instskip(NEXT) | instid1(VALU_DEP_1)
	v_fma_f64 v[30:31], -v[20:21], v[22:23], 0.5
	v_fmac_f64_e32 v[22:23], v[22:23], v[30:31]
	v_fmac_f64_e32 v[20:21], v[20:21], v[30:31]
	s_delay_alu instid0(VALU_DEP_2) | instskip(NEXT) | instid1(VALU_DEP_1)
	v_fma_f64 v[30:31], -v[22:23], v[22:23], v[18:19]
	v_fmac_f64_e32 v[22:23], v[30:31], v[20:21]
	s_delay_alu instid0(VALU_DEP_1) | instskip(SKIP_1) | instid1(VALU_DEP_2)
	v_dual_cndmask_b32 v19, v23, v19 :: v_dual_cndmask_b32 v18, v22, v18
	v_cmp_o_f64_e32 vcc_lo, v[12:13], v[12:13]
                                        ; implicit-def: $vgpr22_vgpr23
	v_ldexp_f64 v[18:19], v[18:19], v1
	s_delay_alu instid0(VALU_DEP_1) | instskip(NEXT) | instid1(VALU_DEP_2)
	v_cndmask_b32_e32 v1, 0, v18, vcc_lo
	v_cndmask_b32_e32 v18, 0x7ff80000, v19, vcc_lo
	s_delay_alu instid0(VALU_DEP_1) | instskip(NEXT) | instid1(VALU_DEP_3)
	v_cndmask_b32_e64 v19, v18, 0x7ff00000, s27
	v_cndmask_b32_e64 v18, v1, 0, s27
	s_and_saveexec_b32 s27, s3
	s_delay_alu instid0(SALU_CYCLE_1)
	s_xor_b32 s3, exec_lo, s27
	s_cbranch_execnz .LBB295_154
; %bb.84:                               ;   in Loop: Header=BB295_4 Depth=1
	s_and_not1_saveexec_b32 s3, s3
	s_cbranch_execnz .LBB295_155
.LBB295_85:                             ;   in Loop: Header=BB295_4 Depth=1
	s_or_b32 exec_lo, exec_lo, s3
	s_and_saveexec_b32 s3, s2
	s_delay_alu instid0(SALU_CYCLE_1)
	s_xor_b32 s2, exec_lo, s3
	s_cbranch_execnz .LBB295_156
.LBB295_86:                             ;   in Loop: Header=BB295_4 Depth=1
	s_and_not1_saveexec_b32 s2, s2
	s_cbranch_execz .LBB295_88
.LBB295_87:                             ;   in Loop: Header=BB295_4 Depth=1
	s_delay_alu instid0(VALU_DEP_2) | instskip(NEXT) | instid1(VALU_DEP_2)
	v_add_f64_e32 v[22:23], v[22:23], v[22:23]
	v_add_f64_e32 v[12:13], v[12:13], v[12:13]
.LBB295_88:                             ;   in Loop: Header=BB295_4 Depth=1
	s_or_b32 exec_lo, exec_lo, s2
.LBB295_89:                             ;   in Loop: Header=BB295_4 Depth=1
	s_and_not1_saveexec_b32 s2, s25
	s_cbranch_execz .LBB295_95
; %bb.90:                               ;   in Loop: Header=BB295_4 Depth=1
	s_delay_alu instid0(VALU_DEP_1) | instskip(SKIP_1) | instid1(VALU_DEP_1)
	v_add_f64_e64 v[18:19], v[12:13], -v[12:13]
	s_mov_b32 s3, exec_lo
	v_and_b32_e32 v23, 0x7fffffff, v19
	s_delay_alu instid0(VALU_DEP_2)
	v_mov_b32_e32 v22, v18
	v_cmpx_lt_i64_e32 -1, v[10:11]
	s_xor_b32 s3, exec_lo, s3
; %bb.91:                               ;   in Loop: Header=BB295_4 Depth=1
	v_bfi_b32 v19, 0x7fffffff, v19, v13
	v_mov_b64_e32 v[22:23], v[10:11]
	s_delay_alu instid0(VALU_DEP_2)
	v_mov_b64_e32 v[12:13], v[18:19]
; %bb.92:                               ;   in Loop: Header=BB295_4 Depth=1
	s_and_not1_saveexec_b32 s3, s3
; %bb.93:                               ;   in Loop: Header=BB295_4 Depth=1
	s_delay_alu instid0(VALU_DEP_1) | instskip(NEXT) | instid1(VALU_DEP_1)
	v_bfi_b32 v11, 0x7fffffff, v11, v13
	v_mov_b64_e32 v[12:13], v[10:11]
; %bb.94:                               ;   in Loop: Header=BB295_4 Depth=1
	s_or_b32 exec_lo, exec_lo, s3
.LBB295_95:                             ;   in Loop: Header=BB295_4 Depth=1
	s_delay_alu instid0(SALU_CYCLE_1)
	s_or_b32 exec_lo, exec_lo, s2
.LBB295_96:                             ;   in Loop: Header=BB295_4 Depth=1
	s_and_not1_saveexec_b32 s2, s24
	s_cbranch_execz .LBB295_98
; %bb.97:                               ;   in Loop: Header=BB295_4 Depth=1
	s_delay_alu instid0(VALU_DEP_1) | instskip(NEXT) | instid1(VALU_DEP_1)
	v_add_f64_e64 v[12:13], v[12:13], -v[12:13]
	v_div_scale_f64 v[18:19], vcc_lo, v[12:13], v[12:13], v[12:13]
	s_delay_alu instid0(VALU_DEP_1) | instskip(SKIP_1) | instid1(TRANS32_DEP_1)
	v_rcp_f64_e32 v[20:21], v[18:19]
	v_nop
	v_fma_f64 v[22:23], -v[18:19], v[20:21], 1.0
	s_delay_alu instid0(VALU_DEP_1) | instskip(NEXT) | instid1(VALU_DEP_1)
	v_fmac_f64_e32 v[20:21], v[20:21], v[22:23]
	v_fma_f64 v[22:23], -v[18:19], v[20:21], 1.0
	s_delay_alu instid0(VALU_DEP_1) | instskip(NEXT) | instid1(VALU_DEP_1)
	v_fmac_f64_e32 v[20:21], v[20:21], v[22:23]
	v_mul_f64_e32 v[22:23], v[18:19], v[20:21]
	s_delay_alu instid0(VALU_DEP_1) | instskip(NEXT) | instid1(VALU_DEP_1)
	v_fma_f64 v[18:19], -v[18:19], v[22:23], v[18:19]
	v_div_fmas_f64 v[18:19], v[18:19], v[20:21], v[22:23]
	v_mov_b64_e32 v[22:23], v[10:11]
	s_delay_alu instid0(VALU_DEP_2)
	v_div_fixup_f64 v[12:13], v[18:19], v[12:13], v[12:13]
.LBB295_98:                             ;   in Loop: Header=BB295_4 Depth=1
	s_or_b32 exec_lo, exec_lo, s2
.LBB295_99:                             ;   in Loop: Header=BB295_4 Depth=1
	s_delay_alu instid0(SALU_CYCLE_1)
	s_or_b32 exec_lo, exec_lo, s23
.LBB295_100:                            ;   in Loop: Header=BB295_4 Depth=1
	s_delay_alu instid0(SALU_CYCLE_1) | instskip(NEXT) | instid1(VALU_DEP_1)
	s_or_b32 exec_lo, exec_lo, s22
	v_cmp_gt_f64_e32 vcc_lo, 0, v[22:23]
	v_xor_b32_e32 v1, 0x80000000, v23
	v_mov_b32_e32 v10, v22
	s_delay_alu instid0(VALU_DEP_4) | instskip(SKIP_1) | instid1(VALU_DEP_3)
	v_xor_b32_e32 v18, 0x80000000, v13
	s_mov_b32 s2, exec_lo
	v_dual_mov_b32 v30, v12 :: v_dual_cndmask_b32 v11, v23, v1
	v_cmp_gt_f64_e32 vcc_lo, 0, v[12:13]
	s_delay_alu instid0(VALU_DEP_3) | instskip(NEXT) | instid1(VALU_DEP_1)
	v_cndmask_b32_e32 v31, v13, v18, vcc_lo
                                        ; implicit-def: $vgpr20_vgpr21
	v_cmpx_ge_f64_e32 v[10:11], v[30:31]
	s_xor_b32 s3, exec_lo, s2
	s_cbranch_execz .LBB295_106
; %bb.101:                              ;   in Loop: Header=BB295_4 Depth=1
	v_cmp_neq_f64_e32 vcc_lo, 0, v[22:23]
	v_cmp_neq_f64_e64 s2, 0, v[12:13]
                                        ; implicit-def: $vgpr20_vgpr21
	s_or_b32 s2, vcc_lo, s2
	s_delay_alu instid0(SALU_CYCLE_1) | instskip(NEXT) | instid1(SALU_CYCLE_1)
	s_and_saveexec_b32 s22, s2
	s_xor_b32 s2, exec_lo, s22
	s_cbranch_execz .LBB295_103
; %bb.102:                              ;   in Loop: Header=BB295_4 Depth=1
	v_div_scale_f64 v[10:11], null, v[22:23], v[22:23], v[12:13]
	v_div_scale_f64 v[30:31], vcc_lo, v[12:13], v[22:23], v[12:13]
	s_delay_alu instid0(VALU_DEP_2) | instskip(SKIP_1) | instid1(TRANS32_DEP_1)
	v_rcp_f64_e32 v[18:19], v[10:11]
	v_nop
	v_fma_f64 v[20:21], -v[10:11], v[18:19], 1.0
	s_delay_alu instid0(VALU_DEP_1) | instskip(NEXT) | instid1(VALU_DEP_1)
	v_fmac_f64_e32 v[18:19], v[18:19], v[20:21]
	v_fma_f64 v[20:21], -v[10:11], v[18:19], 1.0
	s_delay_alu instid0(VALU_DEP_1) | instskip(NEXT) | instid1(VALU_DEP_1)
	v_fmac_f64_e32 v[18:19], v[18:19], v[20:21]
	v_mul_f64_e32 v[20:21], v[30:31], v[18:19]
	s_delay_alu instid0(VALU_DEP_1) | instskip(NEXT) | instid1(VALU_DEP_1)
	v_fma_f64 v[10:11], -v[10:11], v[20:21], v[30:31]
	v_div_fmas_f64 v[10:11], v[10:11], v[18:19], v[20:21]
	s_delay_alu instid0(VALU_DEP_1) | instskip(NEXT) | instid1(VALU_DEP_1)
	v_div_fixup_f64 v[10:11], v[10:11], v[22:23], v[12:13]
	v_fmac_f64_e32 v[22:23], v[12:13], v[10:11]
	s_delay_alu instid0(VALU_DEP_1) | instskip(SKIP_1) | instid1(VALU_DEP_2)
	v_div_scale_f64 v[12:13], null, v[22:23], v[22:23], 1.0
	v_div_scale_f64 v[30:31], vcc_lo, 1.0, v[22:23], 1.0
	v_rcp_f64_e32 v[18:19], v[12:13]
	v_nop
	s_delay_alu instid0(TRANS32_DEP_1) | instskip(NEXT) | instid1(VALU_DEP_1)
	v_fma_f64 v[20:21], -v[12:13], v[18:19], 1.0
	v_fmac_f64_e32 v[18:19], v[18:19], v[20:21]
	s_delay_alu instid0(VALU_DEP_1) | instskip(NEXT) | instid1(VALU_DEP_1)
	v_fma_f64 v[20:21], -v[12:13], v[18:19], 1.0
	v_fmac_f64_e32 v[18:19], v[18:19], v[20:21]
	s_delay_alu instid0(VALU_DEP_1) | instskip(NEXT) | instid1(VALU_DEP_1)
	v_mul_f64_e32 v[20:21], v[30:31], v[18:19]
	v_fma_f64 v[12:13], -v[12:13], v[20:21], v[30:31]
                                        ; implicit-def: $vgpr30_vgpr31
	s_delay_alu instid0(VALU_DEP_1) | instskip(SKIP_2) | instid1(VALU_DEP_3)
	v_div_fmas_f64 v[12:13], v[12:13], v[18:19], v[20:21]
	v_fma_f64 v[18:19], v[10:11], 0, 1.0
	v_add_f64_e64 v[10:11], -v[10:11], 0
	v_div_fixup_f64 v[12:13], v[12:13], v[22:23], 1.0
	s_delay_alu instid0(VALU_DEP_1) | instskip(NEXT) | instid1(VALU_DEP_3)
	v_mul_f64_e32 v[18:19], v[18:19], v[12:13]
	v_mul_f64_e32 v[20:21], v[10:11], v[12:13]
                                        ; implicit-def: $vgpr10_vgpr11
.LBB295_103:                            ;   in Loop: Header=BB295_4 Depth=1
	s_and_not1_saveexec_b32 s22, s2
	s_cbranch_execz .LBB295_105
; %bb.104:                              ;   in Loop: Header=BB295_4 Depth=1
	v_div_scale_f64 v[12:13], null, v[10:11], v[10:11], 1.0
	v_div_scale_f64 v[18:19], null, v[30:31], v[30:31], 0
	v_div_scale_f64 v[36:37], vcc_lo, 1.0, v[10:11], 1.0
	s_delay_alu instid0(VALU_DEP_3) | instskip(NEXT) | instid1(VALU_DEP_2)
	v_rcp_f64_e32 v[20:21], v[12:13]
	v_rcp_f64_e32 v[22:23], v[18:19]
	s_delay_alu instid0(TRANS32_DEP_2) | instskip(NEXT) | instid1(TRANS32_DEP_1)
	v_fma_f64 v[32:33], -v[12:13], v[20:21], 1.0
	v_fma_f64 v[34:35], -v[18:19], v[22:23], 1.0
	s_delay_alu instid0(VALU_DEP_2) | instskip(NEXT) | instid1(VALU_DEP_2)
	v_fmac_f64_e32 v[20:21], v[20:21], v[32:33]
	v_fmac_f64_e32 v[22:23], v[22:23], v[34:35]
	s_delay_alu instid0(VALU_DEP_2) | instskip(NEXT) | instid1(VALU_DEP_2)
	v_fma_f64 v[32:33], -v[12:13], v[20:21], 1.0
	v_fma_f64 v[34:35], -v[18:19], v[22:23], 1.0
	s_delay_alu instid0(VALU_DEP_2) | instskip(SKIP_1) | instid1(VALU_DEP_3)
	v_fmac_f64_e32 v[20:21], v[20:21], v[32:33]
	v_div_scale_f64 v[32:33], s2, 0, v[30:31], 0
	v_fmac_f64_e32 v[22:23], v[22:23], v[34:35]
	s_delay_alu instid0(VALU_DEP_3) | instskip(NEXT) | instid1(VALU_DEP_2)
	v_mul_f64_e32 v[34:35], v[36:37], v[20:21]
	v_mul_f64_e32 v[38:39], v[32:33], v[22:23]
	s_delay_alu instid0(VALU_DEP_2) | instskip(NEXT) | instid1(VALU_DEP_2)
	v_fma_f64 v[12:13], -v[12:13], v[34:35], v[36:37]
	v_fma_f64 v[18:19], -v[18:19], v[38:39], v[32:33]
	s_delay_alu instid0(VALU_DEP_2) | instskip(SKIP_1) | instid1(VALU_DEP_2)
	v_div_fmas_f64 v[12:13], v[12:13], v[20:21], v[34:35]
	s_mov_b32 vcc_lo, s2
	v_div_fmas_f64 v[20:21], v[18:19], v[22:23], v[38:39]
	s_delay_alu instid0(VALU_DEP_2) | instskip(NEXT) | instid1(VALU_DEP_2)
	v_div_fixup_f64 v[18:19], v[12:13], v[10:11], 1.0
	v_div_fixup_f64 v[20:21], v[20:21], v[30:31], 0
.LBB295_105:                            ;   in Loop: Header=BB295_4 Depth=1
	s_or_b32 exec_lo, exec_lo, s22
                                        ; implicit-def: $vgpr12_vgpr13
                                        ; implicit-def: $vgpr22_vgpr23
.LBB295_106:                            ;   in Loop: Header=BB295_4 Depth=1
	s_and_not1_saveexec_b32 s2, s3
	s_cbranch_execz .LBB295_108
; %bb.107:                              ;   in Loop: Header=BB295_4 Depth=1
	v_div_scale_f64 v[10:11], null, v[12:13], v[12:13], v[22:23]
	v_div_scale_f64 v[30:31], vcc_lo, v[22:23], v[12:13], v[22:23]
	s_delay_alu instid0(VALU_DEP_2) | instskip(SKIP_1) | instid1(TRANS32_DEP_1)
	v_rcp_f64_e32 v[18:19], v[10:11]
	v_nop
	v_fma_f64 v[20:21], -v[10:11], v[18:19], 1.0
	s_delay_alu instid0(VALU_DEP_1) | instskip(NEXT) | instid1(VALU_DEP_1)
	v_fmac_f64_e32 v[18:19], v[18:19], v[20:21]
	v_fma_f64 v[20:21], -v[10:11], v[18:19], 1.0
	s_delay_alu instid0(VALU_DEP_1) | instskip(NEXT) | instid1(VALU_DEP_1)
	v_fmac_f64_e32 v[18:19], v[18:19], v[20:21]
	v_mul_f64_e32 v[20:21], v[30:31], v[18:19]
	s_delay_alu instid0(VALU_DEP_1) | instskip(NEXT) | instid1(VALU_DEP_1)
	v_fma_f64 v[10:11], -v[10:11], v[20:21], v[30:31]
	v_div_fmas_f64 v[10:11], v[10:11], v[18:19], v[20:21]
	s_delay_alu instid0(VALU_DEP_1) | instskip(NEXT) | instid1(VALU_DEP_1)
	v_div_fixup_f64 v[10:11], v[10:11], v[12:13], v[22:23]
	v_fmac_f64_e32 v[12:13], v[22:23], v[10:11]
	s_delay_alu instid0(VALU_DEP_1) | instskip(SKIP_1) | instid1(VALU_DEP_2)
	v_div_scale_f64 v[18:19], null, v[12:13], v[12:13], 1.0
	v_div_scale_f64 v[30:31], vcc_lo, 1.0, v[12:13], 1.0
	v_rcp_f64_e32 v[20:21], v[18:19]
	v_nop
	s_delay_alu instid0(TRANS32_DEP_1) | instskip(NEXT) | instid1(VALU_DEP_1)
	v_fma_f64 v[22:23], -v[18:19], v[20:21], 1.0
	v_fmac_f64_e32 v[20:21], v[20:21], v[22:23]
	s_delay_alu instid0(VALU_DEP_1) | instskip(NEXT) | instid1(VALU_DEP_1)
	v_fma_f64 v[22:23], -v[18:19], v[20:21], 1.0
	v_fmac_f64_e32 v[20:21], v[20:21], v[22:23]
	s_delay_alu instid0(VALU_DEP_1) | instskip(NEXT) | instid1(VALU_DEP_1)
	v_mul_f64_e32 v[22:23], v[30:31], v[20:21]
	v_fma_f64 v[18:19], -v[18:19], v[22:23], v[30:31]
	s_delay_alu instid0(VALU_DEP_1) | instskip(SKIP_2) | instid1(VALU_DEP_3)
	v_div_fmas_f64 v[18:19], v[18:19], v[20:21], v[22:23]
	v_add_f64_e32 v[20:21], 0, v[10:11]
	v_fma_f64 v[10:11], v[10:11], 0, -1.0
	v_div_fixup_f64 v[12:13], v[18:19], v[12:13], 1.0
	s_delay_alu instid0(VALU_DEP_1) | instskip(NEXT) | instid1(VALU_DEP_3)
	v_mul_f64_e32 v[18:19], v[20:21], v[12:13]
	v_mul_f64_e32 v[20:21], v[10:11], v[12:13]
.LBB295_108:                            ;   in Loop: Header=BB295_4 Depth=1
	s_or_b32 exec_lo, exec_lo, s2
	v_cmp_neq_f64_e32 vcc_lo, 0, v[2:3]
	v_cmp_neq_f64_e64 s2, 0, v[4:5]
	v_mov_b64_e32 v[22:23], 0
	s_or_b32 s2, vcc_lo, s2
	s_delay_alu instid0(SALU_CYCLE_1)
	s_and_saveexec_b32 s22, s2
	s_cbranch_execz .LBB295_135
; %bb.109:                              ;   in Loop: Header=BB295_4 Depth=1
	v_mov_b64_e32 v[22:23], 0x7ff0000000000000
	s_mov_b32 s23, exec_lo
	v_cmpx_neq_f64_e64 0x7ff00000, |v[4:5]|
	s_cbranch_execz .LBB295_134
; %bb.110:                              ;   in Loop: Header=BB295_4 Depth=1
                                        ; implicit-def: $vgpr22_vgpr23
	s_mov_b32 s2, exec_lo
	v_cmpx_o_f64_e32 v[2:3], v[2:3]
	s_xor_b32 s24, exec_lo, s2
	s_cbranch_execz .LBB295_131
; %bb.111:                              ;   in Loop: Header=BB295_4 Depth=1
                                        ; implicit-def: $vgpr22_vgpr23
	s_mov_b32 s3, exec_lo
	v_cmpx_neq_f64_e64 0x7ff00000, |v[2:3]|
	s_xor_b32 s25, exec_lo, s3
	s_cbranch_execz .LBB295_124
; %bb.112:                              ;   in Loop: Header=BB295_4 Depth=1
	v_max_num_f64_e64 v[10:11], |v[4:5]|, |v[4:5]|
	v_max_num_f64_e64 v[12:13], |v[2:3]|, |v[2:3]|
                                        ; implicit-def: $sgpr26
	s_delay_alu instid0(VALU_DEP_1) | instskip(NEXT) | instid1(VALU_DEP_1)
	v_max_num_f64_e32 v[10:11], v[12:13], v[10:11]
	v_cmp_nle_f64_e64 s2, s[12:13], v[10:11]
	s_and_saveexec_b32 s3, s2
	s_delay_alu instid0(SALU_CYCLE_1)
	s_xor_b32 s3, exec_lo, s3
	s_cbranch_execz .LBB295_116
; %bb.113:                              ;   in Loop: Header=BB295_4 Depth=1
	v_cmp_ge_f64_e64 s26, 0x200000, |v[2:3]|
	v_cmp_ge_f64_e64 s27, 0x200000, |v[4:5]|
	s_and_b32 s28, s26, s27
	s_mov_b32 s26, 0
	s_and_saveexec_b32 s27, s28
	s_cbranch_execz .LBB295_115
; %bb.114:                              ;   in Loop: Header=BB295_4 Depth=1
	v_mul_f64_e32 v[2:3], 4.0, v[2:3]
	v_mul_f64_e32 v[4:5], 4.0, v[4:5]
	s_mov_b32 s26, exec_lo
.LBB295_115:                            ;   in Loop: Header=BB295_4 Depth=1
	s_or_b32 exec_lo, exec_lo, s27
.LBB295_116:                            ;   in Loop: Header=BB295_4 Depth=1
	s_and_not1_saveexec_b32 s3, s3
	s_cbranch_execz .LBB295_118
; %bb.117:                              ;   in Loop: Header=BB295_4 Depth=1
	s_delay_alu instid0(VALU_DEP_2) | instskip(NEXT) | instid1(VALU_DEP_2)
	v_ldexp_f64 v[2:3], v[2:3], -2
	v_ldexp_f64 v[4:5], v[4:5], -2
	s_and_not1_b32 s26, s26, exec_lo
.LBB295_118:                            ;   in Loop: Header=BB295_4 Depth=1
	s_or_b32 exec_lo, exec_lo, s3
	s_delay_alu instid0(VALU_DEP_1) | instskip(NEXT) | instid1(VALU_DEP_3)
	v_max_num_f64_e64 v[10:11], |v[4:5]|, |v[4:5]|
	v_max_num_f64_e64 v[12:13], |v[2:3]|, |v[2:3]|
	v_cmp_class_f64_e64 s27, v[2:3], 0x204
	v_cmp_class_f64_e64 s28, v[4:5], 0x204
	v_cmp_le_f64_e64 s3, 0, v[2:3]
	s_delay_alu instid0(VALU_DEP_4) | instskip(SKIP_1) | instid1(VALU_DEP_1)
	v_max_num_f64_e32 v[10:11], v[12:13], v[10:11]
	s_or_b32 s27, s28, s27
	v_frexp_exp_i32_f64_e32 v1, v[10:11]
	s_delay_alu instid0(VALU_DEP_1) | instskip(NEXT) | instid1(VALU_DEP_1)
	v_sub_nc_u32_e32 v12, 0, v1
	v_ldexp_f64 v[10:11], |v[4:5]|, v12
	v_ldexp_f64 v[12:13], |v[2:3]|, v12
	s_delay_alu instid0(VALU_DEP_2) | instskip(NEXT) | instid1(VALU_DEP_1)
	v_mul_f64_e32 v[10:11], v[10:11], v[10:11]
	v_fmac_f64_e32 v[10:11], v[12:13], v[12:13]
	s_delay_alu instid0(VALU_DEP_1) | instskip(SKIP_1) | instid1(TRANS32_DEP_1)
	v_rsq_f64_e32 v[12:13], v[10:11]
	v_cmp_eq_f64_e32 vcc_lo, 0, v[10:11]
	v_mul_f64_e32 v[22:23], v[10:11], v[12:13]
	v_mul_f64_e32 v[12:13], 0.5, v[12:13]
	s_delay_alu instid0(VALU_DEP_1) | instskip(NEXT) | instid1(VALU_DEP_1)
	v_fma_f64 v[30:31], -v[12:13], v[22:23], 0.5
	v_fmac_f64_e32 v[22:23], v[22:23], v[30:31]
	v_fmac_f64_e32 v[12:13], v[12:13], v[30:31]
	s_delay_alu instid0(VALU_DEP_2) | instskip(NEXT) | instid1(VALU_DEP_1)
	v_fma_f64 v[30:31], -v[22:23], v[22:23], v[10:11]
	v_fmac_f64_e32 v[22:23], v[30:31], v[12:13]
	s_delay_alu instid0(VALU_DEP_1) | instskip(SKIP_1) | instid1(VALU_DEP_2)
	v_dual_cndmask_b32 v11, v23, v11 :: v_dual_cndmask_b32 v10, v22, v10
	v_cmp_o_f64_e32 vcc_lo, v[4:5], v[4:5]
                                        ; implicit-def: $vgpr22_vgpr23
	v_ldexp_f64 v[10:11], v[10:11], v1
	s_delay_alu instid0(VALU_DEP_1) | instskip(NEXT) | instid1(VALU_DEP_2)
	v_cndmask_b32_e32 v1, 0, v10, vcc_lo
	v_cndmask_b32_e32 v10, 0x7ff80000, v11, vcc_lo
	s_delay_alu instid0(VALU_DEP_1) | instskip(NEXT) | instid1(VALU_DEP_3)
	v_cndmask_b32_e64 v11, v10, 0x7ff00000, s27
	v_cndmask_b32_e64 v10, v1, 0, s27
	s_and_saveexec_b32 s27, s3
	s_delay_alu instid0(SALU_CYCLE_1)
	s_xor_b32 s3, exec_lo, s27
	s_cbranch_execnz .LBB295_159
; %bb.119:                              ;   in Loop: Header=BB295_4 Depth=1
	s_and_not1_saveexec_b32 s3, s3
	s_cbranch_execnz .LBB295_160
.LBB295_120:                            ;   in Loop: Header=BB295_4 Depth=1
	s_or_b32 exec_lo, exec_lo, s3
	s_and_saveexec_b32 s3, s2
	s_delay_alu instid0(SALU_CYCLE_1)
	s_xor_b32 s2, exec_lo, s3
	s_cbranch_execnz .LBB295_161
.LBB295_121:                            ;   in Loop: Header=BB295_4 Depth=1
	s_and_not1_saveexec_b32 s2, s2
	s_cbranch_execz .LBB295_123
.LBB295_122:                            ;   in Loop: Header=BB295_4 Depth=1
	s_delay_alu instid0(VALU_DEP_2) | instskip(NEXT) | instid1(VALU_DEP_2)
	v_add_f64_e32 v[22:23], v[22:23], v[22:23]
	v_add_f64_e32 v[4:5], v[4:5], v[4:5]
.LBB295_123:                            ;   in Loop: Header=BB295_4 Depth=1
	s_or_b32 exec_lo, exec_lo, s2
.LBB295_124:                            ;   in Loop: Header=BB295_4 Depth=1
	s_and_not1_saveexec_b32 s2, s25
	s_cbranch_execz .LBB295_130
; %bb.125:                              ;   in Loop: Header=BB295_4 Depth=1
	s_delay_alu instid0(VALU_DEP_1) | instskip(SKIP_1) | instid1(VALU_DEP_1)
	v_add_f64_e64 v[10:11], v[4:5], -v[4:5]
	s_mov_b32 s3, exec_lo
	v_and_b32_e32 v23, 0x7fffffff, v11
	s_delay_alu instid0(VALU_DEP_2)
	v_mov_b32_e32 v22, v10
	v_cmpx_lt_i64_e32 -1, v[2:3]
	s_xor_b32 s3, exec_lo, s3
; %bb.126:                              ;   in Loop: Header=BB295_4 Depth=1
	v_bfi_b32 v11, 0x7fffffff, v11, v5
	v_mov_b64_e32 v[22:23], v[2:3]
	s_delay_alu instid0(VALU_DEP_2)
	v_mov_b64_e32 v[4:5], v[10:11]
; %bb.127:                              ;   in Loop: Header=BB295_4 Depth=1
	s_and_not1_saveexec_b32 s3, s3
; %bb.128:                              ;   in Loop: Header=BB295_4 Depth=1
	s_delay_alu instid0(VALU_DEP_1) | instskip(NEXT) | instid1(VALU_DEP_1)
	v_bfi_b32 v3, 0x7fffffff, v3, v5
	v_mov_b64_e32 v[4:5], v[2:3]
; %bb.129:                              ;   in Loop: Header=BB295_4 Depth=1
	s_or_b32 exec_lo, exec_lo, s3
.LBB295_130:                            ;   in Loop: Header=BB295_4 Depth=1
	s_delay_alu instid0(SALU_CYCLE_1)
	s_or_b32 exec_lo, exec_lo, s2
.LBB295_131:                            ;   in Loop: Header=BB295_4 Depth=1
	s_and_not1_saveexec_b32 s2, s24
	s_cbranch_execz .LBB295_133
; %bb.132:                              ;   in Loop: Header=BB295_4 Depth=1
	s_delay_alu instid0(VALU_DEP_1) | instskip(NEXT) | instid1(VALU_DEP_1)
	v_add_f64_e64 v[4:5], v[4:5], -v[4:5]
	v_div_scale_f64 v[10:11], vcc_lo, v[4:5], v[4:5], v[4:5]
	s_delay_alu instid0(VALU_DEP_1) | instskip(SKIP_1) | instid1(TRANS32_DEP_1)
	v_rcp_f64_e32 v[12:13], v[10:11]
	v_nop
	v_fma_f64 v[22:23], -v[10:11], v[12:13], 1.0
	s_delay_alu instid0(VALU_DEP_1) | instskip(NEXT) | instid1(VALU_DEP_1)
	v_fmac_f64_e32 v[12:13], v[12:13], v[22:23]
	v_fma_f64 v[22:23], -v[10:11], v[12:13], 1.0
	s_delay_alu instid0(VALU_DEP_1) | instskip(NEXT) | instid1(VALU_DEP_1)
	v_fmac_f64_e32 v[12:13], v[12:13], v[22:23]
	v_mul_f64_e32 v[22:23], v[10:11], v[12:13]
	s_delay_alu instid0(VALU_DEP_1) | instskip(NEXT) | instid1(VALU_DEP_1)
	v_fma_f64 v[10:11], -v[10:11], v[22:23], v[10:11]
	v_div_fmas_f64 v[10:11], v[10:11], v[12:13], v[22:23]
	v_mov_b64_e32 v[22:23], v[2:3]
	s_delay_alu instid0(VALU_DEP_2)
	v_div_fixup_f64 v[4:5], v[10:11], v[4:5], v[4:5]
.LBB295_133:                            ;   in Loop: Header=BB295_4 Depth=1
	s_or_b32 exec_lo, exec_lo, s2
.LBB295_134:                            ;   in Loop: Header=BB295_4 Depth=1
	s_delay_alu instid0(SALU_CYCLE_1)
	s_or_b32 exec_lo, exec_lo, s23
.LBB295_135:                            ;   in Loop: Header=BB295_4 Depth=1
	s_delay_alu instid0(SALU_CYCLE_1) | instskip(NEXT) | instid1(VALU_DEP_1)
	s_or_b32 exec_lo, exec_lo, s22
	v_cmp_gt_f64_e32 vcc_lo, 0, v[22:23]
	v_xor_b32_e32 v1, 0x80000000, v23
	v_mov_b32_e32 v2, v22
	s_delay_alu instid0(VALU_DEP_4) | instskip(SKIP_1) | instid1(VALU_DEP_3)
	v_xor_b32_e32 v10, 0x80000000, v5
	s_mov_b32 s2, exec_lo
	v_dual_mov_b32 v30, v4 :: v_dual_cndmask_b32 v3, v23, v1
	v_cmp_gt_f64_e32 vcc_lo, 0, v[4:5]
	s_delay_alu instid0(VALU_DEP_3) | instskip(NEXT) | instid1(VALU_DEP_1)
	v_cndmask_b32_e32 v31, v5, v10, vcc_lo
                                        ; implicit-def: $vgpr12_vgpr13
	v_cmpx_ge_f64_e32 v[2:3], v[30:31]
	s_xor_b32 s3, exec_lo, s2
	s_cbranch_execz .LBB295_141
; %bb.136:                              ;   in Loop: Header=BB295_4 Depth=1
	v_cmp_neq_f64_e32 vcc_lo, 0, v[22:23]
	v_cmp_neq_f64_e64 s2, 0, v[4:5]
                                        ; implicit-def: $vgpr12_vgpr13
	s_or_b32 s2, vcc_lo, s2
	s_delay_alu instid0(SALU_CYCLE_1) | instskip(NEXT) | instid1(SALU_CYCLE_1)
	s_and_saveexec_b32 s22, s2
	s_xor_b32 s2, exec_lo, s22
	s_cbranch_execz .LBB295_138
; %bb.137:                              ;   in Loop: Header=BB295_4 Depth=1
	v_div_scale_f64 v[2:3], null, v[22:23], v[22:23], v[4:5]
	v_div_scale_f64 v[30:31], vcc_lo, v[4:5], v[22:23], v[4:5]
	s_delay_alu instid0(VALU_DEP_2) | instskip(SKIP_1) | instid1(TRANS32_DEP_1)
	v_rcp_f64_e32 v[10:11], v[2:3]
	v_nop
	v_fma_f64 v[12:13], -v[2:3], v[10:11], 1.0
	s_delay_alu instid0(VALU_DEP_1) | instskip(NEXT) | instid1(VALU_DEP_1)
	v_fmac_f64_e32 v[10:11], v[10:11], v[12:13]
	v_fma_f64 v[12:13], -v[2:3], v[10:11], 1.0
	s_delay_alu instid0(VALU_DEP_1) | instskip(NEXT) | instid1(VALU_DEP_1)
	v_fmac_f64_e32 v[10:11], v[10:11], v[12:13]
	v_mul_f64_e32 v[12:13], v[30:31], v[10:11]
	s_delay_alu instid0(VALU_DEP_1) | instskip(NEXT) | instid1(VALU_DEP_1)
	v_fma_f64 v[2:3], -v[2:3], v[12:13], v[30:31]
	v_div_fmas_f64 v[2:3], v[2:3], v[10:11], v[12:13]
	s_delay_alu instid0(VALU_DEP_1) | instskip(NEXT) | instid1(VALU_DEP_1)
	v_div_fixup_f64 v[2:3], v[2:3], v[22:23], v[4:5]
	v_fmac_f64_e32 v[22:23], v[4:5], v[2:3]
	s_delay_alu instid0(VALU_DEP_1) | instskip(SKIP_1) | instid1(VALU_DEP_2)
	v_div_scale_f64 v[4:5], null, v[22:23], v[22:23], 1.0
	v_div_scale_f64 v[30:31], vcc_lo, 1.0, v[22:23], 1.0
	v_rcp_f64_e32 v[10:11], v[4:5]
	v_nop
	s_delay_alu instid0(TRANS32_DEP_1) | instskip(NEXT) | instid1(VALU_DEP_1)
	v_fma_f64 v[12:13], -v[4:5], v[10:11], 1.0
	v_fmac_f64_e32 v[10:11], v[10:11], v[12:13]
	s_delay_alu instid0(VALU_DEP_1) | instskip(NEXT) | instid1(VALU_DEP_1)
	v_fma_f64 v[12:13], -v[4:5], v[10:11], 1.0
	v_fmac_f64_e32 v[10:11], v[10:11], v[12:13]
	s_delay_alu instid0(VALU_DEP_1) | instskip(NEXT) | instid1(VALU_DEP_1)
	v_mul_f64_e32 v[12:13], v[30:31], v[10:11]
	v_fma_f64 v[4:5], -v[4:5], v[12:13], v[30:31]
                                        ; implicit-def: $vgpr30_vgpr31
	s_delay_alu instid0(VALU_DEP_1) | instskip(SKIP_2) | instid1(VALU_DEP_3)
	v_div_fmas_f64 v[4:5], v[4:5], v[10:11], v[12:13]
	v_fma_f64 v[10:11], v[2:3], 0, 1.0
	v_add_f64_e64 v[2:3], -v[2:3], 0
	v_div_fixup_f64 v[4:5], v[4:5], v[22:23], 1.0
	s_delay_alu instid0(VALU_DEP_1) | instskip(NEXT) | instid1(VALU_DEP_3)
	v_mul_f64_e32 v[10:11], v[10:11], v[4:5]
	v_mul_f64_e32 v[12:13], v[2:3], v[4:5]
                                        ; implicit-def: $vgpr2_vgpr3
.LBB295_138:                            ;   in Loop: Header=BB295_4 Depth=1
	s_and_not1_saveexec_b32 s22, s2
	s_cbranch_execz .LBB295_140
; %bb.139:                              ;   in Loop: Header=BB295_4 Depth=1
	v_div_scale_f64 v[4:5], null, v[2:3], v[2:3], 1.0
	v_div_scale_f64 v[10:11], null, v[30:31], v[30:31], 0
	v_div_scale_f64 v[36:37], vcc_lo, 1.0, v[2:3], 1.0
	s_delay_alu instid0(VALU_DEP_3) | instskip(NEXT) | instid1(VALU_DEP_2)
	v_rcp_f64_e32 v[12:13], v[4:5]
	v_rcp_f64_e32 v[22:23], v[10:11]
	s_delay_alu instid0(TRANS32_DEP_2) | instskip(NEXT) | instid1(TRANS32_DEP_1)
	v_fma_f64 v[32:33], -v[4:5], v[12:13], 1.0
	v_fma_f64 v[34:35], -v[10:11], v[22:23], 1.0
	s_delay_alu instid0(VALU_DEP_2) | instskip(NEXT) | instid1(VALU_DEP_2)
	v_fmac_f64_e32 v[12:13], v[12:13], v[32:33]
	v_fmac_f64_e32 v[22:23], v[22:23], v[34:35]
	s_delay_alu instid0(VALU_DEP_2) | instskip(NEXT) | instid1(VALU_DEP_2)
	v_fma_f64 v[32:33], -v[4:5], v[12:13], 1.0
	v_fma_f64 v[34:35], -v[10:11], v[22:23], 1.0
	s_delay_alu instid0(VALU_DEP_2) | instskip(SKIP_1) | instid1(VALU_DEP_3)
	v_fmac_f64_e32 v[12:13], v[12:13], v[32:33]
	v_div_scale_f64 v[32:33], s2, 0, v[30:31], 0
	v_fmac_f64_e32 v[22:23], v[22:23], v[34:35]
	s_delay_alu instid0(VALU_DEP_3) | instskip(NEXT) | instid1(VALU_DEP_2)
	v_mul_f64_e32 v[34:35], v[36:37], v[12:13]
	v_mul_f64_e32 v[38:39], v[32:33], v[22:23]
	s_delay_alu instid0(VALU_DEP_2) | instskip(NEXT) | instid1(VALU_DEP_2)
	v_fma_f64 v[4:5], -v[4:5], v[34:35], v[36:37]
	v_fma_f64 v[10:11], -v[10:11], v[38:39], v[32:33]
	s_delay_alu instid0(VALU_DEP_2) | instskip(SKIP_1) | instid1(VALU_DEP_2)
	v_div_fmas_f64 v[4:5], v[4:5], v[12:13], v[34:35]
	s_mov_b32 vcc_lo, s2
	v_div_fmas_f64 v[12:13], v[10:11], v[22:23], v[38:39]
	s_delay_alu instid0(VALU_DEP_2) | instskip(NEXT) | instid1(VALU_DEP_2)
	v_div_fixup_f64 v[10:11], v[4:5], v[2:3], 1.0
	v_div_fixup_f64 v[12:13], v[12:13], v[30:31], 0
.LBB295_140:                            ;   in Loop: Header=BB295_4 Depth=1
	s_or_b32 exec_lo, exec_lo, s22
                                        ; implicit-def: $vgpr4_vgpr5
                                        ; implicit-def: $vgpr22_vgpr23
.LBB295_141:                            ;   in Loop: Header=BB295_4 Depth=1
	s_and_not1_saveexec_b32 s2, s3
	s_cbranch_execz .LBB295_3
; %bb.142:                              ;   in Loop: Header=BB295_4 Depth=1
	v_div_scale_f64 v[2:3], null, v[4:5], v[4:5], v[22:23]
	v_div_scale_f64 v[30:31], vcc_lo, v[22:23], v[4:5], v[22:23]
	s_delay_alu instid0(VALU_DEP_2) | instskip(SKIP_1) | instid1(TRANS32_DEP_1)
	v_rcp_f64_e32 v[10:11], v[2:3]
	v_nop
	v_fma_f64 v[12:13], -v[2:3], v[10:11], 1.0
	s_delay_alu instid0(VALU_DEP_1) | instskip(NEXT) | instid1(VALU_DEP_1)
	v_fmac_f64_e32 v[10:11], v[10:11], v[12:13]
	v_fma_f64 v[12:13], -v[2:3], v[10:11], 1.0
	s_delay_alu instid0(VALU_DEP_1) | instskip(NEXT) | instid1(VALU_DEP_1)
	v_fmac_f64_e32 v[10:11], v[10:11], v[12:13]
	v_mul_f64_e32 v[12:13], v[30:31], v[10:11]
	s_delay_alu instid0(VALU_DEP_1) | instskip(NEXT) | instid1(VALU_DEP_1)
	v_fma_f64 v[2:3], -v[2:3], v[12:13], v[30:31]
	v_div_fmas_f64 v[2:3], v[2:3], v[10:11], v[12:13]
	s_delay_alu instid0(VALU_DEP_1) | instskip(NEXT) | instid1(VALU_DEP_1)
	v_div_fixup_f64 v[2:3], v[2:3], v[4:5], v[22:23]
	v_fmac_f64_e32 v[4:5], v[22:23], v[2:3]
	s_delay_alu instid0(VALU_DEP_1) | instskip(SKIP_1) | instid1(VALU_DEP_2)
	v_div_scale_f64 v[10:11], null, v[4:5], v[4:5], 1.0
	v_div_scale_f64 v[30:31], vcc_lo, 1.0, v[4:5], 1.0
	v_rcp_f64_e32 v[12:13], v[10:11]
	v_nop
	s_delay_alu instid0(TRANS32_DEP_1) | instskip(NEXT) | instid1(VALU_DEP_1)
	v_fma_f64 v[22:23], -v[10:11], v[12:13], 1.0
	v_fmac_f64_e32 v[12:13], v[12:13], v[22:23]
	s_delay_alu instid0(VALU_DEP_1) | instskip(NEXT) | instid1(VALU_DEP_1)
	v_fma_f64 v[22:23], -v[10:11], v[12:13], 1.0
	v_fmac_f64_e32 v[12:13], v[12:13], v[22:23]
	s_delay_alu instid0(VALU_DEP_1) | instskip(NEXT) | instid1(VALU_DEP_1)
	v_mul_f64_e32 v[22:23], v[30:31], v[12:13]
	v_fma_f64 v[10:11], -v[10:11], v[22:23], v[30:31]
	s_delay_alu instid0(VALU_DEP_1) | instskip(SKIP_2) | instid1(VALU_DEP_3)
	v_div_fmas_f64 v[10:11], v[10:11], v[12:13], v[22:23]
	v_add_f64_e32 v[12:13], 0, v[2:3]
	v_fma_f64 v[2:3], v[2:3], 0, -1.0
	v_div_fixup_f64 v[4:5], v[10:11], v[4:5], 1.0
	s_delay_alu instid0(VALU_DEP_1) | instskip(NEXT) | instid1(VALU_DEP_3)
	v_mul_f64_e32 v[10:11], v[12:13], v[4:5]
	v_mul_f64_e32 v[12:13], v[2:3], v[4:5]
	s_branch .LBB295_3
.LBB295_143:                            ;   in Loop: Header=BB295_4 Depth=1
	s_or_b32 exec_lo, exec_lo, s2
	s_and_not1_saveexec_b32 s2, s24
	s_cbranch_execnz .LBB295_27
	s_branch .LBB295_28
.LBB295_144:                            ;   in Loop: Header=BB295_4 Depth=1
	s_delay_alu instid0(VALU_DEP_1) | instskip(NEXT) | instid1(VALU_DEP_1)
	v_add_f64_e32 v[6:7], v[20:21], v[6:7]
	v_mul_f64_e32 v[6:7], 0.5, v[6:7]
	s_delay_alu instid0(VALU_DEP_1) | instskip(SKIP_1) | instid1(VALU_DEP_1)
	v_cmp_gt_f64_e32 vcc_lo, 0x10000000, v[6:7]
	v_cndmask_b32_e64 v1, 0, 0x100, vcc_lo
	v_ldexp_f64 v[6:7], v[6:7], v1
	v_cndmask_b32_e64 v1, 0, 0xffffff80, vcc_lo
	s_delay_alu instid0(VALU_DEP_2) | instskip(SKIP_1) | instid1(TRANS32_DEP_1)
	v_rsq_f64_e32 v[8:9], v[6:7]
	v_cmp_class_f64_e64 vcc_lo, v[6:7], 0x260
	v_mul_f64_e32 v[14:15], v[6:7], v[8:9]
	v_mul_f64_e32 v[8:9], 0.5, v[8:9]
	s_delay_alu instid0(VALU_DEP_1) | instskip(NEXT) | instid1(VALU_DEP_1)
	v_fma_f64 v[20:21], -v[8:9], v[14:15], 0.5
	v_fmac_f64_e32 v[14:15], v[14:15], v[20:21]
	v_fmac_f64_e32 v[8:9], v[8:9], v[20:21]
	s_delay_alu instid0(VALU_DEP_2) | instskip(NEXT) | instid1(VALU_DEP_1)
	v_fma_f64 v[20:21], -v[14:15], v[14:15], v[6:7]
	v_fmac_f64_e32 v[14:15], v[20:21], v[8:9]
	s_delay_alu instid0(VALU_DEP_1) | instskip(NEXT) | instid1(VALU_DEP_1)
	v_fma_f64 v[20:21], -v[14:15], v[14:15], v[6:7]
	v_fmac_f64_e32 v[14:15], v[20:21], v[8:9]
	s_delay_alu instid0(VALU_DEP_1) | instskip(NEXT) | instid1(VALU_DEP_1)
	v_ldexp_f64 v[8:9], v[14:15], v1
	v_dual_cndmask_b32 v15, v9, v7 :: v_dual_cndmask_b32 v14, v8, v6
	s_delay_alu instid0(VALU_DEP_1) | instskip(NEXT) | instid1(VALU_DEP_1)
	v_add_f64_e32 v[6:7], v[14:15], v[14:15]
	v_div_scale_f64 v[8:9], null, v[6:7], v[6:7], v[22:23]
	s_delay_alu instid0(VALU_DEP_1) | instskip(SKIP_1) | instid1(TRANS32_DEP_1)
	v_rcp_f64_e32 v[20:21], v[8:9]
	v_nop
	v_fma_f64 v[30:31], -v[8:9], v[20:21], 1.0
	s_delay_alu instid0(VALU_DEP_1) | instskip(NEXT) | instid1(VALU_DEP_1)
	v_fmac_f64_e32 v[20:21], v[20:21], v[30:31]
	v_fma_f64 v[30:31], -v[8:9], v[20:21], 1.0
	s_delay_alu instid0(VALU_DEP_1) | instskip(SKIP_1) | instid1(VALU_DEP_1)
	v_fmac_f64_e32 v[20:21], v[20:21], v[30:31]
	v_div_scale_f64 v[30:31], vcc_lo, v[22:23], v[6:7], v[22:23]
	v_mul_f64_e32 v[32:33], v[30:31], v[20:21]
	s_delay_alu instid0(VALU_DEP_1) | instskip(NEXT) | instid1(VALU_DEP_1)
	v_fma_f64 v[8:9], -v[8:9], v[32:33], v[30:31]
	v_div_fmas_f64 v[8:9], v[8:9], v[20:21], v[32:33]
	s_delay_alu instid0(VALU_DEP_1)
	v_div_fixup_f64 v[22:23], v[8:9], v[6:7], v[22:23]
                                        ; implicit-def: $vgpr6_vgpr7
	s_and_not1_saveexec_b32 s3, s3
	s_cbranch_execz .LBB295_16
.LBB295_145:                            ;   in Loop: Header=BB295_4 Depth=1
	v_add_f64_e64 v[6:7], v[6:7], -v[20:21]
	s_delay_alu instid0(VALU_DEP_1) | instskip(NEXT) | instid1(VALU_DEP_1)
	v_mul_f64_e32 v[6:7], 0.5, v[6:7]
	v_cmp_gt_f64_e32 vcc_lo, 0x10000000, v[6:7]
	v_cndmask_b32_e64 v1, 0, 0x100, vcc_lo
	s_delay_alu instid0(VALU_DEP_1) | instskip(SKIP_1) | instid1(VALU_DEP_2)
	v_ldexp_f64 v[6:7], v[6:7], v1
	v_cndmask_b32_e64 v1, 0, 0xffffff80, vcc_lo
	v_rsq_f64_e32 v[8:9], v[6:7]
	v_cmp_class_f64_e64 vcc_lo, v[6:7], 0x260
	s_delay_alu instid0(TRANS32_DEP_1) | instskip(SKIP_1) | instid1(VALU_DEP_1)
	v_mul_f64_e32 v[14:15], v[6:7], v[8:9]
	v_mul_f64_e32 v[8:9], 0.5, v[8:9]
	v_fma_f64 v[20:21], -v[8:9], v[14:15], 0.5
	s_delay_alu instid0(VALU_DEP_1) | instskip(SKIP_1) | instid1(VALU_DEP_2)
	v_fmac_f64_e32 v[14:15], v[14:15], v[20:21]
	v_fmac_f64_e32 v[8:9], v[8:9], v[20:21]
	v_fma_f64 v[20:21], -v[14:15], v[14:15], v[6:7]
	s_delay_alu instid0(VALU_DEP_1) | instskip(NEXT) | instid1(VALU_DEP_1)
	v_fmac_f64_e32 v[14:15], v[20:21], v[8:9]
	v_fma_f64 v[20:21], -v[14:15], v[14:15], v[6:7]
	s_delay_alu instid0(VALU_DEP_1) | instskip(NEXT) | instid1(VALU_DEP_1)
	v_fmac_f64_e32 v[14:15], v[20:21], v[8:9]
	v_ldexp_f64 v[8:9], v[14:15], v1
	v_and_b32_e32 v15, 0x7fffffff, v23
	s_delay_alu instid0(VALU_DEP_2) | instskip(NEXT) | instid1(VALU_DEP_3)
	v_dual_mov_b32 v14, v22 :: v_dual_cndmask_b32 v7, v9, v7
	v_cndmask_b32_e32 v6, v8, v6, vcc_lo
	s_delay_alu instid0(VALU_DEP_1) | instskip(SKIP_1) | instid1(VALU_DEP_2)
	v_add_f64_e32 v[8:9], v[6:7], v[6:7]
	v_bfi_b32 v7, 0x7fffffff, v7, v23
	v_div_scale_f64 v[20:21], null, v[8:9], v[8:9], v[14:15]
	v_div_scale_f64 v[14:15], vcc_lo, v[14:15], v[8:9], v[14:15]
	s_delay_alu instid0(VALU_DEP_2) | instskip(SKIP_1) | instid1(TRANS32_DEP_1)
	v_rcp_f64_e32 v[30:31], v[20:21]
	v_nop
	v_fma_f64 v[32:33], -v[20:21], v[30:31], 1.0
	s_delay_alu instid0(VALU_DEP_1) | instskip(NEXT) | instid1(VALU_DEP_1)
	v_fmac_f64_e32 v[30:31], v[30:31], v[32:33]
	v_fma_f64 v[32:33], -v[20:21], v[30:31], 1.0
	s_delay_alu instid0(VALU_DEP_1) | instskip(NEXT) | instid1(VALU_DEP_1)
	v_fmac_f64_e32 v[30:31], v[30:31], v[32:33]
	v_mul_f64_e32 v[32:33], v[14:15], v[30:31]
	s_delay_alu instid0(VALU_DEP_1) | instskip(NEXT) | instid1(VALU_DEP_1)
	v_fma_f64 v[14:15], -v[20:21], v[32:33], v[14:15]
	v_div_fmas_f64 v[14:15], v[14:15], v[30:31], v[32:33]
	s_delay_alu instid0(VALU_DEP_1) | instskip(SKIP_3) | instid1(SALU_CYCLE_1)
	v_div_fixup_f64 v[14:15], v[14:15], v[8:9], |v[22:23]|
	v_mov_b64_e32 v[22:23], v[6:7]
	s_or_b32 exec_lo, exec_lo, s3
	s_and_saveexec_b32 s3, s2
	s_xor_b32 s2, exec_lo, s3
	s_cbranch_execz .LBB295_17
.LBB295_146:                            ;   in Loop: Header=BB295_4 Depth=1
	s_and_saveexec_b32 s3, s26
	s_cbranch_execz .LBB295_148
; %bb.147:                              ;   in Loop: Header=BB295_4 Depth=1
	s_delay_alu instid0(VALU_DEP_2) | instskip(NEXT) | instid1(VALU_DEP_2)
	v_mul_f64_e32 v[14:15], 0.5, v[14:15]
	v_mul_f64_e32 v[22:23], 0.5, v[22:23]
.LBB295_148:                            ;   in Loop: Header=BB295_4 Depth=1
	s_or_b32 exec_lo, exec_lo, s3
	s_and_not1_saveexec_b32 s2, s2
	s_cbranch_execnz .LBB295_18
	s_branch .LBB295_19
.LBB295_149:                            ;   in Loop: Header=BB295_4 Depth=1
	s_delay_alu instid0(VALU_DEP_1) | instskip(NEXT) | instid1(VALU_DEP_1)
	v_add_f64_e32 v[14:15], v[16:17], v[14:15]
	v_mul_f64_e32 v[14:15], 0.5, v[14:15]
	s_delay_alu instid0(VALU_DEP_1) | instskip(SKIP_1) | instid1(VALU_DEP_1)
	v_cmp_gt_f64_e32 vcc_lo, 0x10000000, v[14:15]
	v_cndmask_b32_e64 v1, 0, 0x100, vcc_lo
	v_ldexp_f64 v[14:15], v[14:15], v1
	v_cndmask_b32_e64 v1, 0, 0xffffff80, vcc_lo
	s_delay_alu instid0(VALU_DEP_2) | instskip(SKIP_1) | instid1(TRANS32_DEP_1)
	v_rsq_f64_e32 v[16:17], v[14:15]
	v_cmp_class_f64_e64 vcc_lo, v[14:15], 0x260
	v_mul_f64_e32 v[20:21], v[14:15], v[16:17]
	v_mul_f64_e32 v[16:17], 0.5, v[16:17]
	s_delay_alu instid0(VALU_DEP_1) | instskip(NEXT) | instid1(VALU_DEP_1)
	v_fma_f64 v[22:23], -v[16:17], v[20:21], 0.5
	v_fmac_f64_e32 v[20:21], v[20:21], v[22:23]
	v_fmac_f64_e32 v[16:17], v[16:17], v[22:23]
	s_delay_alu instid0(VALU_DEP_2) | instskip(NEXT) | instid1(VALU_DEP_1)
	v_fma_f64 v[22:23], -v[20:21], v[20:21], v[14:15]
	v_fmac_f64_e32 v[20:21], v[22:23], v[16:17]
	s_delay_alu instid0(VALU_DEP_1) | instskip(NEXT) | instid1(VALU_DEP_1)
	v_fma_f64 v[22:23], -v[20:21], v[20:21], v[14:15]
	v_fmac_f64_e32 v[20:21], v[22:23], v[16:17]
	s_delay_alu instid0(VALU_DEP_1) | instskip(NEXT) | instid1(VALU_DEP_1)
	v_ldexp_f64 v[16:17], v[20:21], v1
	v_dual_cndmask_b32 v21, v17, v15 :: v_dual_cndmask_b32 v20, v16, v14
	s_delay_alu instid0(VALU_DEP_1) | instskip(NEXT) | instid1(VALU_DEP_1)
	v_add_f64_e32 v[14:15], v[20:21], v[20:21]
	v_div_scale_f64 v[16:17], null, v[14:15], v[14:15], v[18:19]
	s_delay_alu instid0(VALU_DEP_1) | instskip(SKIP_1) | instid1(TRANS32_DEP_1)
	v_rcp_f64_e32 v[22:23], v[16:17]
	v_nop
	v_fma_f64 v[30:31], -v[16:17], v[22:23], 1.0
	s_delay_alu instid0(VALU_DEP_1) | instskip(NEXT) | instid1(VALU_DEP_1)
	v_fmac_f64_e32 v[22:23], v[22:23], v[30:31]
	v_fma_f64 v[30:31], -v[16:17], v[22:23], 1.0
	s_delay_alu instid0(VALU_DEP_1) | instskip(SKIP_1) | instid1(VALU_DEP_1)
	v_fmac_f64_e32 v[22:23], v[22:23], v[30:31]
	v_div_scale_f64 v[30:31], vcc_lo, v[18:19], v[14:15], v[18:19]
	v_mul_f64_e32 v[32:33], v[30:31], v[22:23]
	s_delay_alu instid0(VALU_DEP_1) | instskip(NEXT) | instid1(VALU_DEP_1)
	v_fma_f64 v[16:17], -v[16:17], v[32:33], v[30:31]
	v_div_fmas_f64 v[16:17], v[16:17], v[22:23], v[32:33]
	s_delay_alu instid0(VALU_DEP_1)
	v_div_fixup_f64 v[18:19], v[16:17], v[14:15], v[18:19]
                                        ; implicit-def: $vgpr14_vgpr15
	s_and_not1_saveexec_b32 s3, s3
	s_cbranch_execz .LBB295_50
.LBB295_150:                            ;   in Loop: Header=BB295_4 Depth=1
	v_add_f64_e64 v[14:15], v[14:15], -v[16:17]
	s_delay_alu instid0(VALU_DEP_1) | instskip(NEXT) | instid1(VALU_DEP_1)
	v_mul_f64_e32 v[14:15], 0.5, v[14:15]
	v_cmp_gt_f64_e32 vcc_lo, 0x10000000, v[14:15]
	v_cndmask_b32_e64 v1, 0, 0x100, vcc_lo
	s_delay_alu instid0(VALU_DEP_1) | instskip(SKIP_1) | instid1(VALU_DEP_2)
	v_ldexp_f64 v[14:15], v[14:15], v1
	v_cndmask_b32_e64 v1, 0, 0xffffff80, vcc_lo
	v_rsq_f64_e32 v[16:17], v[14:15]
	v_cmp_class_f64_e64 vcc_lo, v[14:15], 0x260
	s_delay_alu instid0(TRANS32_DEP_1) | instskip(SKIP_1) | instid1(VALU_DEP_1)
	v_mul_f64_e32 v[20:21], v[14:15], v[16:17]
	v_mul_f64_e32 v[16:17], 0.5, v[16:17]
	v_fma_f64 v[22:23], -v[16:17], v[20:21], 0.5
	s_delay_alu instid0(VALU_DEP_1) | instskip(SKIP_1) | instid1(VALU_DEP_2)
	v_fmac_f64_e32 v[20:21], v[20:21], v[22:23]
	v_fmac_f64_e32 v[16:17], v[16:17], v[22:23]
	v_fma_f64 v[22:23], -v[20:21], v[20:21], v[14:15]
	s_delay_alu instid0(VALU_DEP_1) | instskip(NEXT) | instid1(VALU_DEP_1)
	v_fmac_f64_e32 v[20:21], v[22:23], v[16:17]
	v_fma_f64 v[22:23], -v[20:21], v[20:21], v[14:15]
	s_delay_alu instid0(VALU_DEP_1) | instskip(NEXT) | instid1(VALU_DEP_1)
	v_fmac_f64_e32 v[20:21], v[22:23], v[16:17]
	v_ldexp_f64 v[16:17], v[20:21], v1
	v_and_b32_e32 v21, 0x7fffffff, v19
	s_delay_alu instid0(VALU_DEP_2) | instskip(NEXT) | instid1(VALU_DEP_3)
	v_dual_mov_b32 v20, v18 :: v_dual_cndmask_b32 v15, v17, v15
	v_cndmask_b32_e32 v14, v16, v14, vcc_lo
	s_delay_alu instid0(VALU_DEP_1) | instskip(SKIP_1) | instid1(VALU_DEP_2)
	v_add_f64_e32 v[16:17], v[14:15], v[14:15]
	v_bfi_b32 v15, 0x7fffffff, v15, v19
	v_div_scale_f64 v[22:23], null, v[16:17], v[16:17], v[20:21]
	v_div_scale_f64 v[20:21], vcc_lo, v[20:21], v[16:17], v[20:21]
	s_delay_alu instid0(VALU_DEP_2) | instskip(SKIP_1) | instid1(TRANS32_DEP_1)
	v_rcp_f64_e32 v[30:31], v[22:23]
	v_nop
	v_fma_f64 v[32:33], -v[22:23], v[30:31], 1.0
	s_delay_alu instid0(VALU_DEP_1) | instskip(NEXT) | instid1(VALU_DEP_1)
	v_fmac_f64_e32 v[30:31], v[30:31], v[32:33]
	v_fma_f64 v[32:33], -v[22:23], v[30:31], 1.0
	s_delay_alu instid0(VALU_DEP_1) | instskip(NEXT) | instid1(VALU_DEP_1)
	v_fmac_f64_e32 v[30:31], v[30:31], v[32:33]
	v_mul_f64_e32 v[32:33], v[20:21], v[30:31]
	s_delay_alu instid0(VALU_DEP_1) | instskip(NEXT) | instid1(VALU_DEP_1)
	v_fma_f64 v[20:21], -v[22:23], v[32:33], v[20:21]
	v_div_fmas_f64 v[20:21], v[20:21], v[30:31], v[32:33]
	s_delay_alu instid0(VALU_DEP_1) | instskip(SKIP_3) | instid1(SALU_CYCLE_1)
	v_div_fixup_f64 v[20:21], v[20:21], v[16:17], |v[18:19]|
	v_mov_b64_e32 v[18:19], v[14:15]
	s_or_b32 exec_lo, exec_lo, s3
	s_and_saveexec_b32 s3, s2
	s_xor_b32 s2, exec_lo, s3
	s_cbranch_execz .LBB295_51
.LBB295_151:                            ;   in Loop: Header=BB295_4 Depth=1
	s_and_saveexec_b32 s3, s26
	s_cbranch_execz .LBB295_153
; %bb.152:                              ;   in Loop: Header=BB295_4 Depth=1
	s_delay_alu instid0(VALU_DEP_2) | instskip(NEXT) | instid1(VALU_DEP_2)
	v_mul_f64_e32 v[20:21], 0.5, v[20:21]
	v_mul_f64_e32 v[18:19], 0.5, v[18:19]
.LBB295_153:                            ;   in Loop: Header=BB295_4 Depth=1
	s_or_b32 exec_lo, exec_lo, s3
	s_and_not1_saveexec_b32 s2, s2
	s_cbranch_execnz .LBB295_52
	s_branch .LBB295_53
.LBB295_154:                            ;   in Loop: Header=BB295_4 Depth=1
	s_delay_alu instid0(VALU_DEP_1) | instskip(NEXT) | instid1(VALU_DEP_1)
	v_add_f64_e32 v[10:11], v[10:11], v[18:19]
	v_mul_f64_e32 v[10:11], 0.5, v[10:11]
	s_delay_alu instid0(VALU_DEP_1) | instskip(SKIP_1) | instid1(VALU_DEP_1)
	v_cmp_gt_f64_e32 vcc_lo, 0x10000000, v[10:11]
	v_cndmask_b32_e64 v1, 0, 0x100, vcc_lo
	v_ldexp_f64 v[10:11], v[10:11], v1
	v_cndmask_b32_e64 v1, 0, 0xffffff80, vcc_lo
	s_delay_alu instid0(VALU_DEP_2) | instskip(SKIP_1) | instid1(TRANS32_DEP_1)
	v_rsq_f64_e32 v[18:19], v[10:11]
	v_cmp_class_f64_e64 vcc_lo, v[10:11], 0x260
	v_mul_f64_e32 v[20:21], v[10:11], v[18:19]
	v_mul_f64_e32 v[18:19], 0.5, v[18:19]
	s_delay_alu instid0(VALU_DEP_1) | instskip(NEXT) | instid1(VALU_DEP_1)
	v_fma_f64 v[22:23], -v[18:19], v[20:21], 0.5
	v_fmac_f64_e32 v[20:21], v[20:21], v[22:23]
	v_fmac_f64_e32 v[18:19], v[18:19], v[22:23]
	s_delay_alu instid0(VALU_DEP_2) | instskip(NEXT) | instid1(VALU_DEP_1)
	v_fma_f64 v[22:23], -v[20:21], v[20:21], v[10:11]
	v_fmac_f64_e32 v[20:21], v[22:23], v[18:19]
	s_delay_alu instid0(VALU_DEP_1) | instskip(NEXT) | instid1(VALU_DEP_1)
	v_fma_f64 v[22:23], -v[20:21], v[20:21], v[10:11]
	v_fmac_f64_e32 v[20:21], v[22:23], v[18:19]
	s_delay_alu instid0(VALU_DEP_1) | instskip(NEXT) | instid1(VALU_DEP_1)
	v_ldexp_f64 v[18:19], v[20:21], v1
	v_dual_cndmask_b32 v23, v19, v11 :: v_dual_cndmask_b32 v22, v18, v10
	s_delay_alu instid0(VALU_DEP_1) | instskip(NEXT) | instid1(VALU_DEP_1)
	v_add_f64_e32 v[10:11], v[22:23], v[22:23]
	v_div_scale_f64 v[18:19], null, v[10:11], v[10:11], v[12:13]
	s_delay_alu instid0(VALU_DEP_1) | instskip(SKIP_1) | instid1(TRANS32_DEP_1)
	v_rcp_f64_e32 v[20:21], v[18:19]
	v_nop
	v_fma_f64 v[30:31], -v[18:19], v[20:21], 1.0
	s_delay_alu instid0(VALU_DEP_1) | instskip(NEXT) | instid1(VALU_DEP_1)
	v_fmac_f64_e32 v[20:21], v[20:21], v[30:31]
	v_fma_f64 v[30:31], -v[18:19], v[20:21], 1.0
	s_delay_alu instid0(VALU_DEP_1) | instskip(SKIP_1) | instid1(VALU_DEP_1)
	v_fmac_f64_e32 v[20:21], v[20:21], v[30:31]
	v_div_scale_f64 v[30:31], vcc_lo, v[12:13], v[10:11], v[12:13]
	v_mul_f64_e32 v[32:33], v[30:31], v[20:21]
	s_delay_alu instid0(VALU_DEP_1) | instskip(NEXT) | instid1(VALU_DEP_1)
	v_fma_f64 v[18:19], -v[18:19], v[32:33], v[30:31]
	v_div_fmas_f64 v[18:19], v[18:19], v[20:21], v[32:33]
	s_delay_alu instid0(VALU_DEP_1)
	v_div_fixup_f64 v[12:13], v[18:19], v[10:11], v[12:13]
                                        ; implicit-def: $vgpr18_vgpr19
	s_and_not1_saveexec_b32 s3, s3
	s_cbranch_execz .LBB295_85
.LBB295_155:                            ;   in Loop: Header=BB295_4 Depth=1
	v_add_f64_e64 v[10:11], v[18:19], -v[10:11]
	s_delay_alu instid0(VALU_DEP_1) | instskip(NEXT) | instid1(VALU_DEP_1)
	v_mul_f64_e32 v[10:11], 0.5, v[10:11]
	v_cmp_gt_f64_e32 vcc_lo, 0x10000000, v[10:11]
	v_cndmask_b32_e64 v1, 0, 0x100, vcc_lo
	s_delay_alu instid0(VALU_DEP_1) | instskip(SKIP_1) | instid1(VALU_DEP_2)
	v_ldexp_f64 v[10:11], v[10:11], v1
	v_cndmask_b32_e64 v1, 0, 0xffffff80, vcc_lo
	v_rsq_f64_e32 v[18:19], v[10:11]
	v_cmp_class_f64_e64 vcc_lo, v[10:11], 0x260
	s_delay_alu instid0(TRANS32_DEP_1) | instskip(SKIP_1) | instid1(VALU_DEP_1)
	v_mul_f64_e32 v[20:21], v[10:11], v[18:19]
	v_mul_f64_e32 v[18:19], 0.5, v[18:19]
	v_fma_f64 v[22:23], -v[18:19], v[20:21], 0.5
	s_delay_alu instid0(VALU_DEP_1) | instskip(SKIP_1) | instid1(VALU_DEP_2)
	v_fmac_f64_e32 v[20:21], v[20:21], v[22:23]
	v_fmac_f64_e32 v[18:19], v[18:19], v[22:23]
	v_fma_f64 v[22:23], -v[20:21], v[20:21], v[10:11]
	s_delay_alu instid0(VALU_DEP_1) | instskip(NEXT) | instid1(VALU_DEP_1)
	v_fmac_f64_e32 v[20:21], v[22:23], v[18:19]
	v_fma_f64 v[22:23], -v[20:21], v[20:21], v[10:11]
	s_delay_alu instid0(VALU_DEP_1) | instskip(NEXT) | instid1(VALU_DEP_1)
	v_fmac_f64_e32 v[20:21], v[22:23], v[18:19]
	v_ldexp_f64 v[18:19], v[20:21], v1
	v_and_b32_e32 v21, 0x7fffffff, v13
	s_delay_alu instid0(VALU_DEP_2) | instskip(NEXT) | instid1(VALU_DEP_3)
	v_dual_mov_b32 v20, v12 :: v_dual_cndmask_b32 v11, v19, v11
	v_cndmask_b32_e32 v10, v18, v10, vcc_lo
	s_delay_alu instid0(VALU_DEP_1) | instskip(SKIP_1) | instid1(VALU_DEP_2)
	v_add_f64_e32 v[18:19], v[10:11], v[10:11]
	v_bfi_b32 v11, 0x7fffffff, v11, v13
	v_div_scale_f64 v[22:23], null, v[18:19], v[18:19], v[20:21]
	v_div_scale_f64 v[20:21], vcc_lo, v[20:21], v[18:19], v[20:21]
	s_delay_alu instid0(VALU_DEP_2) | instskip(SKIP_1) | instid1(TRANS32_DEP_1)
	v_rcp_f64_e32 v[30:31], v[22:23]
	v_nop
	v_fma_f64 v[32:33], -v[22:23], v[30:31], 1.0
	s_delay_alu instid0(VALU_DEP_1) | instskip(NEXT) | instid1(VALU_DEP_1)
	v_fmac_f64_e32 v[30:31], v[30:31], v[32:33]
	v_fma_f64 v[32:33], -v[22:23], v[30:31], 1.0
	s_delay_alu instid0(VALU_DEP_1) | instskip(NEXT) | instid1(VALU_DEP_1)
	v_fmac_f64_e32 v[30:31], v[30:31], v[32:33]
	v_mul_f64_e32 v[32:33], v[20:21], v[30:31]
	s_delay_alu instid0(VALU_DEP_1) | instskip(NEXT) | instid1(VALU_DEP_1)
	v_fma_f64 v[20:21], -v[22:23], v[32:33], v[20:21]
	v_div_fmas_f64 v[20:21], v[20:21], v[30:31], v[32:33]
	s_delay_alu instid0(VALU_DEP_1) | instskip(SKIP_3) | instid1(SALU_CYCLE_1)
	v_div_fixup_f64 v[22:23], v[20:21], v[18:19], |v[12:13]|
	v_mov_b64_e32 v[12:13], v[10:11]
	s_or_b32 exec_lo, exec_lo, s3
	s_and_saveexec_b32 s3, s2
	s_xor_b32 s2, exec_lo, s3
	s_cbranch_execz .LBB295_86
.LBB295_156:                            ;   in Loop: Header=BB295_4 Depth=1
	s_and_saveexec_b32 s3, s26
	s_cbranch_execz .LBB295_158
; %bb.157:                              ;   in Loop: Header=BB295_4 Depth=1
	s_delay_alu instid0(VALU_DEP_2) | instskip(NEXT) | instid1(VALU_DEP_2)
	v_mul_f64_e32 v[22:23], 0.5, v[22:23]
	v_mul_f64_e32 v[12:13], 0.5, v[12:13]
.LBB295_158:                            ;   in Loop: Header=BB295_4 Depth=1
	s_or_b32 exec_lo, exec_lo, s3
	s_and_not1_saveexec_b32 s2, s2
	s_cbranch_execnz .LBB295_87
	s_branch .LBB295_88
.LBB295_159:                            ;   in Loop: Header=BB295_4 Depth=1
	s_delay_alu instid0(VALU_DEP_1) | instskip(NEXT) | instid1(VALU_DEP_1)
	v_add_f64_e32 v[2:3], v[2:3], v[10:11]
	v_mul_f64_e32 v[2:3], 0.5, v[2:3]
	s_delay_alu instid0(VALU_DEP_1) | instskip(SKIP_1) | instid1(VALU_DEP_1)
	v_cmp_gt_f64_e32 vcc_lo, 0x10000000, v[2:3]
	v_cndmask_b32_e64 v1, 0, 0x100, vcc_lo
	v_ldexp_f64 v[2:3], v[2:3], v1
	v_cndmask_b32_e64 v1, 0, 0xffffff80, vcc_lo
	s_delay_alu instid0(VALU_DEP_2) | instskip(SKIP_1) | instid1(TRANS32_DEP_1)
	v_rsq_f64_e32 v[10:11], v[2:3]
	v_cmp_class_f64_e64 vcc_lo, v[2:3], 0x260
	v_mul_f64_e32 v[12:13], v[2:3], v[10:11]
	v_mul_f64_e32 v[10:11], 0.5, v[10:11]
	s_delay_alu instid0(VALU_DEP_1) | instskip(NEXT) | instid1(VALU_DEP_1)
	v_fma_f64 v[22:23], -v[10:11], v[12:13], 0.5
	v_fmac_f64_e32 v[12:13], v[12:13], v[22:23]
	v_fmac_f64_e32 v[10:11], v[10:11], v[22:23]
	s_delay_alu instid0(VALU_DEP_2) | instskip(NEXT) | instid1(VALU_DEP_1)
	v_fma_f64 v[22:23], -v[12:13], v[12:13], v[2:3]
	v_fmac_f64_e32 v[12:13], v[22:23], v[10:11]
	s_delay_alu instid0(VALU_DEP_1) | instskip(NEXT) | instid1(VALU_DEP_1)
	v_fma_f64 v[22:23], -v[12:13], v[12:13], v[2:3]
	v_fmac_f64_e32 v[12:13], v[22:23], v[10:11]
	s_delay_alu instid0(VALU_DEP_1) | instskip(NEXT) | instid1(VALU_DEP_1)
	v_ldexp_f64 v[10:11], v[12:13], v1
	v_dual_cndmask_b32 v23, v11, v3 :: v_dual_cndmask_b32 v22, v10, v2
	s_delay_alu instid0(VALU_DEP_1) | instskip(NEXT) | instid1(VALU_DEP_1)
	v_add_f64_e32 v[2:3], v[22:23], v[22:23]
	v_div_scale_f64 v[10:11], null, v[2:3], v[2:3], v[4:5]
	s_delay_alu instid0(VALU_DEP_1) | instskip(SKIP_1) | instid1(TRANS32_DEP_1)
	v_rcp_f64_e32 v[12:13], v[10:11]
	v_nop
	v_fma_f64 v[30:31], -v[10:11], v[12:13], 1.0
	s_delay_alu instid0(VALU_DEP_1) | instskip(NEXT) | instid1(VALU_DEP_1)
	v_fmac_f64_e32 v[12:13], v[12:13], v[30:31]
	v_fma_f64 v[30:31], -v[10:11], v[12:13], 1.0
	s_delay_alu instid0(VALU_DEP_1) | instskip(SKIP_1) | instid1(VALU_DEP_1)
	v_fmac_f64_e32 v[12:13], v[12:13], v[30:31]
	v_div_scale_f64 v[30:31], vcc_lo, v[4:5], v[2:3], v[4:5]
	v_mul_f64_e32 v[32:33], v[30:31], v[12:13]
	s_delay_alu instid0(VALU_DEP_1) | instskip(NEXT) | instid1(VALU_DEP_1)
	v_fma_f64 v[10:11], -v[10:11], v[32:33], v[30:31]
	v_div_fmas_f64 v[10:11], v[10:11], v[12:13], v[32:33]
	s_delay_alu instid0(VALU_DEP_1)
	v_div_fixup_f64 v[4:5], v[10:11], v[2:3], v[4:5]
                                        ; implicit-def: $vgpr10_vgpr11
	s_and_not1_saveexec_b32 s3, s3
	s_cbranch_execz .LBB295_120
.LBB295_160:                            ;   in Loop: Header=BB295_4 Depth=1
	v_add_f64_e64 v[2:3], v[10:11], -v[2:3]
	s_delay_alu instid0(VALU_DEP_1) | instskip(NEXT) | instid1(VALU_DEP_1)
	v_mul_f64_e32 v[2:3], 0.5, v[2:3]
	v_cmp_gt_f64_e32 vcc_lo, 0x10000000, v[2:3]
	v_cndmask_b32_e64 v1, 0, 0x100, vcc_lo
	s_delay_alu instid0(VALU_DEP_1) | instskip(SKIP_1) | instid1(VALU_DEP_2)
	v_ldexp_f64 v[2:3], v[2:3], v1
	v_cndmask_b32_e64 v1, 0, 0xffffff80, vcc_lo
	v_rsq_f64_e32 v[10:11], v[2:3]
	v_cmp_class_f64_e64 vcc_lo, v[2:3], 0x260
	s_delay_alu instid0(TRANS32_DEP_1) | instskip(SKIP_1) | instid1(VALU_DEP_1)
	v_mul_f64_e32 v[12:13], v[2:3], v[10:11]
	v_mul_f64_e32 v[10:11], 0.5, v[10:11]
	v_fma_f64 v[22:23], -v[10:11], v[12:13], 0.5
	s_delay_alu instid0(VALU_DEP_1) | instskip(SKIP_1) | instid1(VALU_DEP_2)
	v_fmac_f64_e32 v[12:13], v[12:13], v[22:23]
	v_fmac_f64_e32 v[10:11], v[10:11], v[22:23]
	v_fma_f64 v[22:23], -v[12:13], v[12:13], v[2:3]
	s_delay_alu instid0(VALU_DEP_1) | instskip(NEXT) | instid1(VALU_DEP_1)
	v_fmac_f64_e32 v[12:13], v[22:23], v[10:11]
	v_fma_f64 v[22:23], -v[12:13], v[12:13], v[2:3]
	s_delay_alu instid0(VALU_DEP_1) | instskip(NEXT) | instid1(VALU_DEP_1)
	v_fmac_f64_e32 v[12:13], v[22:23], v[10:11]
	v_ldexp_f64 v[10:11], v[12:13], v1
	v_and_b32_e32 v13, 0x7fffffff, v5
	s_delay_alu instid0(VALU_DEP_2) | instskip(NEXT) | instid1(VALU_DEP_3)
	v_dual_mov_b32 v12, v4 :: v_dual_cndmask_b32 v3, v11, v3
	v_cndmask_b32_e32 v2, v10, v2, vcc_lo
	s_delay_alu instid0(VALU_DEP_1) | instskip(SKIP_1) | instid1(VALU_DEP_2)
	v_add_f64_e32 v[10:11], v[2:3], v[2:3]
	v_bfi_b32 v3, 0x7fffffff, v3, v5
	v_div_scale_f64 v[22:23], null, v[10:11], v[10:11], v[12:13]
	v_div_scale_f64 v[12:13], vcc_lo, v[12:13], v[10:11], v[12:13]
	s_delay_alu instid0(VALU_DEP_2) | instskip(SKIP_1) | instid1(TRANS32_DEP_1)
	v_rcp_f64_e32 v[30:31], v[22:23]
	v_nop
	v_fma_f64 v[32:33], -v[22:23], v[30:31], 1.0
	s_delay_alu instid0(VALU_DEP_1) | instskip(NEXT) | instid1(VALU_DEP_1)
	v_fmac_f64_e32 v[30:31], v[30:31], v[32:33]
	v_fma_f64 v[32:33], -v[22:23], v[30:31], 1.0
	s_delay_alu instid0(VALU_DEP_1) | instskip(NEXT) | instid1(VALU_DEP_1)
	v_fmac_f64_e32 v[30:31], v[30:31], v[32:33]
	v_mul_f64_e32 v[32:33], v[12:13], v[30:31]
	s_delay_alu instid0(VALU_DEP_1) | instskip(NEXT) | instid1(VALU_DEP_1)
	v_fma_f64 v[12:13], -v[22:23], v[32:33], v[12:13]
	v_div_fmas_f64 v[12:13], v[12:13], v[30:31], v[32:33]
	s_delay_alu instid0(VALU_DEP_1) | instskip(SKIP_3) | instid1(SALU_CYCLE_1)
	v_div_fixup_f64 v[22:23], v[12:13], v[10:11], |v[4:5]|
	v_mov_b64_e32 v[4:5], v[2:3]
	s_or_b32 exec_lo, exec_lo, s3
	s_and_saveexec_b32 s3, s2
	s_xor_b32 s2, exec_lo, s3
	s_cbranch_execz .LBB295_121
.LBB295_161:                            ;   in Loop: Header=BB295_4 Depth=1
	s_and_saveexec_b32 s3, s26
	s_cbranch_execz .LBB295_163
; %bb.162:                              ;   in Loop: Header=BB295_4 Depth=1
	s_delay_alu instid0(VALU_DEP_2) | instskip(NEXT) | instid1(VALU_DEP_2)
	v_mul_f64_e32 v[22:23], 0.5, v[22:23]
	v_mul_f64_e32 v[4:5], 0.5, v[4:5]
.LBB295_163:                            ;   in Loop: Header=BB295_4 Depth=1
	s_or_b32 exec_lo, exec_lo, s3
	s_and_not1_saveexec_b32 s2, s2
	s_cbranch_execnz .LBB295_122
	s_branch .LBB295_123
.LBB295_164:
	s_or_b32 exec_lo, exec_lo, s20
	s_mov_b32 s2, 0
.LBB295_165:
	s_delay_alu instid0(SALU_CYCLE_1)
	s_and_not1_b32 vcc_lo, exec_lo, s2
	s_cbranch_vccnz .LBB295_345
; %bb.166:
	v_cmp_lt_i64_e64 s2, s[4:5], 1
	s_and_b32 vcc_lo, exec_lo, s2
	s_cbranch_vccnz .LBB295_345
; %bb.167:
	v_min_i64 v[24:25], 0x10000, s[4:5]
	v_min_u64 v[26:27], 0x10000, s[4:5]
	s_load_b32 s0, s[0:1], 0xc5c
	v_mov_b32_e32 v1, 0
	s_mov_b32 s11, 0
	s_mov_b64 s[14:15], 0x7fda827999fcef32
	s_mov_b32 s13, s11
	s_mov_b32 s17, s11
	;; [unrolled: 1-line block ×3, first 2 shown]
	s_mov_b64 s[20:21], 0
	s_wait_kmcnt 0x0
	s_and_b32 s10, s0, 0xffff
	s_delay_alu instid0(SALU_CYCLE_1)
	s_lshl_b32 s12, s10, 1
	s_mul_i32 s16, s10, 3
	s_lshl_b32 s18, s10, 2
	s_branch .LBB295_169
.LBB295_168:                            ;   in Loop: Header=BB295_169 Depth=1
	s_wait_xcnt 0x0
	s_or_b32 exec_lo, exec_lo, s0
	s_add_nc_u64 s[20:21], s[20:21], s[18:19]
	s_delay_alu instid0(SALU_CYCLE_1)
	v_cmp_ge_i64_e32 vcc_lo, s[20:21], v[24:25]
	s_cbranch_vccnz .LBB295_345
.LBB295_169:                            ; =>This Inner Loop Header: Depth=1
	v_add_nc_u64_e32 v[28:29], s[20:21], v[0:1]
	v_mov_b64_e32 v[18:19], 0
	v_mov_b64_e32 v[22:23], 0
	;; [unrolled: 1-line block ×3, first 2 shown]
	s_delay_alu instid0(VALU_DEP_4)
	v_cmp_lt_u64_e64 s0, v[28:29], v[26:27]
	s_and_saveexec_b32 s1, s0
	s_cbranch_execz .LBB295_171
; %bb.170:                              ;   in Loop: Header=BB295_169 Depth=1
	v_lshl_add_u64 v[2:3], v[28:29], 4, s[6:7]
	global_load_b128 v[20:23], v[2:3], off
.LBB295_171:                            ;   in Loop: Header=BB295_169 Depth=1
	s_wait_xcnt 0x0
	s_or_b32 exec_lo, exec_lo, s1
	v_add_nc_u64_e32 v[30:31], s[10:11], v[28:29]
	v_mov_b64_e32 v[16:17], 0
	s_delay_alu instid0(VALU_DEP_2)
	v_cmp_lt_u64_e64 s1, v[30:31], v[26:27]
	s_and_saveexec_b32 s2, s1
	s_cbranch_execz .LBB295_173
; %bb.172:                              ;   in Loop: Header=BB295_169 Depth=1
	v_lshl_add_u64 v[2:3], v[30:31], 4, s[6:7]
	global_load_b128 v[16:19], v[2:3], off
.LBB295_173:                            ;   in Loop: Header=BB295_169 Depth=1
	s_wait_xcnt 0x0
	s_or_b32 exec_lo, exec_lo, s2
	v_add_nc_u64_e32 v[32:33], s[12:13], v[28:29]
	v_mov_b64_e32 v[4:5], 0
	v_mov_b64_e32 v[12:13], 0
	;; [unrolled: 1-line block ×3, first 2 shown]
	s_delay_alu instid0(VALU_DEP_4)
	v_cmp_lt_u64_e64 s2, v[32:33], v[26:27]
	s_and_saveexec_b32 s3, s2
	s_cbranch_execz .LBB295_175
; %bb.174:                              ;   in Loop: Header=BB295_169 Depth=1
	v_lshl_add_u64 v[2:3], v[32:33], 4, s[6:7]
	global_load_b128 v[10:13], v[2:3], off
.LBB295_175:                            ;   in Loop: Header=BB295_169 Depth=1
	s_wait_xcnt 0x0
	s_or_b32 exec_lo, exec_lo, s3
	v_add_nc_u64_e32 v[34:35], s[16:17], v[28:29]
	v_mov_b64_e32 v[2:3], 0
	s_delay_alu instid0(VALU_DEP_2)
	v_cmp_lt_u64_e64 s3, v[34:35], v[26:27]
	s_and_saveexec_b32 s4, s3
	s_cbranch_execz .LBB295_177
; %bb.176:                              ;   in Loop: Header=BB295_169 Depth=1
	v_lshl_add_u64 v[2:3], v[34:35], 4, s[6:7]
	global_load_b128 v[2:5], v[2:3], off
.LBB295_177:                            ;   in Loop: Header=BB295_169 Depth=1
	s_wait_xcnt 0x0
	s_or_b32 exec_lo, exec_lo, s4
	s_wait_loadcnt 0x0
	v_cmp_neq_f64_e32 vcc_lo, 0, v[20:21]
	v_cmp_neq_f64_e64 s4, 0, v[22:23]
	v_mov_b64_e32 v[14:15], 0
	s_or_b32 s4, vcc_lo, s4
	s_delay_alu instid0(SALU_CYCLE_1)
	s_and_saveexec_b32 s22, s4
	s_cbranch_execz .LBB295_203
; %bb.178:                              ;   in Loop: Header=BB295_169 Depth=1
	v_mov_b64_e32 v[14:15], 0x7ff0000000000000
	s_mov_b32 s23, exec_lo
	v_cmpx_neq_f64_e64 0x7ff00000, |v[22:23]|
	s_cbranch_execz .LBB295_202
; %bb.179:                              ;   in Loop: Header=BB295_169 Depth=1
                                        ; implicit-def: $vgpr14_vgpr15
	s_mov_b32 s4, exec_lo
	v_cmpx_o_f64_e32 v[20:21], v[20:21]
	s_xor_b32 s24, exec_lo, s4
	s_cbranch_execz .LBB295_199
; %bb.180:                              ;   in Loop: Header=BB295_169 Depth=1
                                        ; implicit-def: $vgpr14_vgpr15
	s_mov_b32 s5, exec_lo
	v_cmpx_neq_f64_e64 0x7ff00000, |v[20:21]|
	s_xor_b32 s25, exec_lo, s5
	s_cbranch_execz .LBB295_193
; %bb.181:                              ;   in Loop: Header=BB295_169 Depth=1
	v_max_num_f64_e64 v[6:7], |v[20:21]|, |v[20:21]|
	v_max_num_f64_e64 v[8:9], |v[22:23]|, |v[22:23]|
                                        ; implicit-def: $sgpr26
	s_delay_alu instid0(VALU_DEP_1) | instskip(NEXT) | instid1(VALU_DEP_1)
	v_max_num_f64_e32 v[6:7], v[8:9], v[6:7]
	v_cmp_nle_f64_e64 s4, s[14:15], v[6:7]
	s_and_saveexec_b32 s5, s4
	s_delay_alu instid0(SALU_CYCLE_1)
	s_xor_b32 s5, exec_lo, s5
	s_cbranch_execz .LBB295_185
; %bb.182:                              ;   in Loop: Header=BB295_169 Depth=1
	v_cmp_ge_f64_e64 s26, 0x200000, |v[20:21]|
	v_cmp_ge_f64_e64 s27, 0x200000, |v[22:23]|
	s_and_b32 s28, s27, s26
	s_mov_b32 s26, 0
	s_and_saveexec_b32 s27, s28
	s_cbranch_execz .LBB295_184
; %bb.183:                              ;   in Loop: Header=BB295_169 Depth=1
	v_mul_f64_e32 v[20:21], 4.0, v[20:21]
	v_mul_f64_e32 v[22:23], 4.0, v[22:23]
	s_mov_b32 s26, exec_lo
.LBB295_184:                            ;   in Loop: Header=BB295_169 Depth=1
	s_or_b32 exec_lo, exec_lo, s27
.LBB295_185:                            ;   in Loop: Header=BB295_169 Depth=1
	s_and_not1_saveexec_b32 s5, s5
	s_cbranch_execz .LBB295_187
; %bb.186:                              ;   in Loop: Header=BB295_169 Depth=1
	s_delay_alu instid0(VALU_DEP_2) | instskip(NEXT) | instid1(VALU_DEP_2)
	v_ldexp_f64 v[20:21], v[20:21], -2
	v_ldexp_f64 v[22:23], v[22:23], -2
	s_and_not1_b32 s26, s26, exec_lo
.LBB295_187:                            ;   in Loop: Header=BB295_169 Depth=1
	s_or_b32 exec_lo, exec_lo, s5
	s_delay_alu instid0(VALU_DEP_1) | instskip(NEXT) | instid1(VALU_DEP_3)
	v_max_num_f64_e64 v[6:7], |v[22:23]|, |v[22:23]|
	v_max_num_f64_e64 v[8:9], |v[20:21]|, |v[20:21]|
	v_cmp_class_f64_e64 s27, v[20:21], 0x204
	v_cmp_class_f64_e64 s28, v[22:23], 0x204
	v_cmp_le_f64_e64 s5, 0, v[20:21]
	s_delay_alu instid0(VALU_DEP_4) | instskip(SKIP_1) | instid1(VALU_DEP_1)
	v_max_num_f64_e32 v[6:7], v[8:9], v[6:7]
	s_or_b32 s27, s28, s27
	v_frexp_exp_i32_f64_e32 v38, v[6:7]
	s_delay_alu instid0(VALU_DEP_1) | instskip(NEXT) | instid1(VALU_DEP_1)
	v_sub_nc_u32_e32 v8, 0, v38
	v_ldexp_f64 v[6:7], |v[22:23]|, v8
	v_ldexp_f64 v[8:9], |v[20:21]|, v8
	s_delay_alu instid0(VALU_DEP_2) | instskip(NEXT) | instid1(VALU_DEP_1)
	v_mul_f64_e32 v[6:7], v[6:7], v[6:7]
	v_fmac_f64_e32 v[6:7], v[8:9], v[8:9]
	s_delay_alu instid0(VALU_DEP_1) | instskip(SKIP_1) | instid1(TRANS32_DEP_1)
	v_rsq_f64_e32 v[8:9], v[6:7]
	v_cmp_eq_f64_e32 vcc_lo, 0, v[6:7]
	v_mul_f64_e32 v[14:15], v[6:7], v[8:9]
	v_mul_f64_e32 v[8:9], 0.5, v[8:9]
	s_delay_alu instid0(VALU_DEP_1) | instskip(NEXT) | instid1(VALU_DEP_1)
	v_fma_f64 v[36:37], -v[8:9], v[14:15], 0.5
	v_fmac_f64_e32 v[14:15], v[14:15], v[36:37]
	v_fmac_f64_e32 v[8:9], v[8:9], v[36:37]
	s_delay_alu instid0(VALU_DEP_2) | instskip(NEXT) | instid1(VALU_DEP_1)
	v_fma_f64 v[36:37], -v[14:15], v[14:15], v[6:7]
	v_fmac_f64_e32 v[14:15], v[36:37], v[8:9]
	s_delay_alu instid0(VALU_DEP_1) | instskip(SKIP_1) | instid1(VALU_DEP_2)
	v_dual_cndmask_b32 v7, v15, v7 :: v_dual_cndmask_b32 v6, v14, v6
	v_cmp_o_f64_e32 vcc_lo, v[22:23], v[22:23]
                                        ; implicit-def: $vgpr14_vgpr15
	v_ldexp_f64 v[6:7], v[6:7], v38
	s_delay_alu instid0(VALU_DEP_1) | instskip(NEXT) | instid1(VALU_DEP_2)
	v_cndmask_b32_e32 v6, 0, v6, vcc_lo
	v_cndmask_b32_e32 v7, 0x7ff80000, v7, vcc_lo
	s_delay_alu instid0(VALU_DEP_2) | instskip(NEXT) | instid1(VALU_DEP_2)
	v_cndmask_b32_e64 v6, v6, 0, s27
	v_cndmask_b32_e64 v7, v7, 0x7ff00000, s27
	s_and_saveexec_b32 s27, s5
	s_delay_alu instid0(SALU_CYCLE_1)
	s_xor_b32 s5, exec_lo, s27
	s_cbranch_execnz .LBB295_325
; %bb.188:                              ;   in Loop: Header=BB295_169 Depth=1
	s_and_not1_saveexec_b32 s5, s5
	s_cbranch_execnz .LBB295_326
.LBB295_189:                            ;   in Loop: Header=BB295_169 Depth=1
	s_or_b32 exec_lo, exec_lo, s5
	s_and_saveexec_b32 s5, s4
	s_delay_alu instid0(SALU_CYCLE_1)
	s_xor_b32 s4, exec_lo, s5
	s_cbranch_execnz .LBB295_327
.LBB295_190:                            ;   in Loop: Header=BB295_169 Depth=1
	s_and_not1_saveexec_b32 s4, s4
	s_cbranch_execz .LBB295_192
.LBB295_191:                            ;   in Loop: Header=BB295_169 Depth=1
	s_delay_alu instid0(VALU_DEP_2) | instskip(NEXT) | instid1(VALU_DEP_2)
	v_add_f64_e32 v[14:15], v[14:15], v[14:15]
	v_add_f64_e32 v[22:23], v[22:23], v[22:23]
.LBB295_192:                            ;   in Loop: Header=BB295_169 Depth=1
	s_or_b32 exec_lo, exec_lo, s4
.LBB295_193:                            ;   in Loop: Header=BB295_169 Depth=1
	s_and_not1_saveexec_b32 s4, s25
	s_cbranch_execz .LBB295_324
; %bb.194:                              ;   in Loop: Header=BB295_169 Depth=1
	s_delay_alu instid0(VALU_DEP_1) | instskip(SKIP_1) | instid1(VALU_DEP_1)
	v_add_f64_e64 v[6:7], v[22:23], -v[22:23]
	s_mov_b32 s5, exec_lo
	v_and_b32_e32 v15, 0x7fffffff, v7
	s_delay_alu instid0(VALU_DEP_2)
	v_mov_b32_e32 v14, v6
	v_cmpx_lt_i64_e32 -1, v[20:21]
	s_xor_b32 s5, exec_lo, s5
; %bb.195:                              ;   in Loop: Header=BB295_169 Depth=1
	v_bfi_b32 v7, 0x7fffffff, v7, v23
	v_mov_b64_e32 v[14:15], v[20:21]
	s_delay_alu instid0(VALU_DEP_2)
	v_mov_b64_e32 v[22:23], v[6:7]
; %bb.196:                              ;   in Loop: Header=BB295_169 Depth=1
	s_and_not1_saveexec_b32 s5, s5
; %bb.197:                              ;   in Loop: Header=BB295_169 Depth=1
	s_delay_alu instid0(VALU_DEP_1) | instskip(NEXT) | instid1(VALU_DEP_1)
	v_bfi_b32 v21, 0x7fffffff, v21, v23
	v_mov_b64_e32 v[22:23], v[20:21]
; %bb.198:                              ;   in Loop: Header=BB295_169 Depth=1
	s_or_b32 exec_lo, exec_lo, s5
	s_delay_alu instid0(SALU_CYCLE_1)
	s_or_b32 exec_lo, exec_lo, s4
.LBB295_199:                            ;   in Loop: Header=BB295_169 Depth=1
	s_and_not1_saveexec_b32 s4, s24
	s_cbranch_execz .LBB295_201
.LBB295_200:                            ;   in Loop: Header=BB295_169 Depth=1
	s_delay_alu instid0(VALU_DEP_1) | instskip(NEXT) | instid1(VALU_DEP_1)
	v_add_f64_e64 v[6:7], v[22:23], -v[22:23]
	v_div_scale_f64 v[8:9], vcc_lo, v[6:7], v[6:7], v[6:7]
	s_delay_alu instid0(VALU_DEP_1) | instskip(SKIP_1) | instid1(TRANS32_DEP_1)
	v_rcp_f64_e32 v[14:15], v[8:9]
	v_nop
	v_fma_f64 v[22:23], -v[8:9], v[14:15], 1.0
	s_delay_alu instid0(VALU_DEP_1) | instskip(NEXT) | instid1(VALU_DEP_1)
	v_fmac_f64_e32 v[14:15], v[14:15], v[22:23]
	v_fma_f64 v[22:23], -v[8:9], v[14:15], 1.0
	s_delay_alu instid0(VALU_DEP_1) | instskip(NEXT) | instid1(VALU_DEP_1)
	v_fmac_f64_e32 v[14:15], v[14:15], v[22:23]
	v_mul_f64_e32 v[22:23], v[8:9], v[14:15]
	s_delay_alu instid0(VALU_DEP_1) | instskip(NEXT) | instid1(VALU_DEP_1)
	v_fma_f64 v[8:9], -v[8:9], v[22:23], v[8:9]
	v_div_fmas_f64 v[8:9], v[8:9], v[14:15], v[22:23]
	v_mov_b64_e32 v[14:15], v[20:21]
	s_delay_alu instid0(VALU_DEP_2)
	v_div_fixup_f64 v[22:23], v[8:9], v[6:7], v[6:7]
.LBB295_201:                            ;   in Loop: Header=BB295_169 Depth=1
	s_or_b32 exec_lo, exec_lo, s4
.LBB295_202:                            ;   in Loop: Header=BB295_169 Depth=1
	s_delay_alu instid0(SALU_CYCLE_1)
	s_or_b32 exec_lo, exec_lo, s23
.LBB295_203:                            ;   in Loop: Header=BB295_169 Depth=1
	s_delay_alu instid0(SALU_CYCLE_1) | instskip(NEXT) | instid1(VALU_DEP_1)
	s_or_b32 exec_lo, exec_lo, s22
	v_cmp_gt_f64_e32 vcc_lo, 0, v[14:15]
	v_xor_b32_e32 v6, 0x80000000, v15
	v_mov_b32_e32 v20, v14
	s_delay_alu instid0(VALU_DEP_4) | instskip(SKIP_1) | instid1(VALU_DEP_3)
	v_xor_b32_e32 v7, 0x80000000, v23
	s_mov_b32 s4, exec_lo
	v_dual_mov_b32 v36, v22 :: v_dual_cndmask_b32 v21, v15, v6
	v_cmp_gt_f64_e32 vcc_lo, 0, v[22:23]
	s_delay_alu instid0(VALU_DEP_3) | instskip(NEXT) | instid1(VALU_DEP_1)
	v_cndmask_b32_e32 v37, v23, v7, vcc_lo
                                        ; implicit-def: $vgpr8_vgpr9
	v_cmpx_ge_f64_e32 v[20:21], v[36:37]
	s_xor_b32 s5, exec_lo, s4
	s_cbranch_execz .LBB295_209
; %bb.204:                              ;   in Loop: Header=BB295_169 Depth=1
	v_cmp_neq_f64_e32 vcc_lo, 0, v[14:15]
	v_cmp_neq_f64_e64 s4, 0, v[22:23]
                                        ; implicit-def: $vgpr8_vgpr9
	s_or_b32 s4, vcc_lo, s4
	s_delay_alu instid0(SALU_CYCLE_1) | instskip(NEXT) | instid1(SALU_CYCLE_1)
	s_and_saveexec_b32 s22, s4
	s_xor_b32 s4, exec_lo, s22
	s_cbranch_execz .LBB295_206
; %bb.205:                              ;   in Loop: Header=BB295_169 Depth=1
	v_div_scale_f64 v[6:7], null, v[14:15], v[14:15], v[22:23]
	v_div_scale_f64 v[36:37], vcc_lo, v[22:23], v[14:15], v[22:23]
	s_delay_alu instid0(VALU_DEP_2) | instskip(SKIP_1) | instid1(TRANS32_DEP_1)
	v_rcp_f64_e32 v[8:9], v[6:7]
	v_nop
	v_fma_f64 v[20:21], -v[6:7], v[8:9], 1.0
	s_delay_alu instid0(VALU_DEP_1) | instskip(NEXT) | instid1(VALU_DEP_1)
	v_fmac_f64_e32 v[8:9], v[8:9], v[20:21]
	v_fma_f64 v[20:21], -v[6:7], v[8:9], 1.0
	s_delay_alu instid0(VALU_DEP_1) | instskip(NEXT) | instid1(VALU_DEP_1)
	v_fmac_f64_e32 v[8:9], v[8:9], v[20:21]
	v_mul_f64_e32 v[20:21], v[36:37], v[8:9]
	s_delay_alu instid0(VALU_DEP_1) | instskip(NEXT) | instid1(VALU_DEP_1)
	v_fma_f64 v[6:7], -v[6:7], v[20:21], v[36:37]
	v_div_fmas_f64 v[6:7], v[6:7], v[8:9], v[20:21]
	s_delay_alu instid0(VALU_DEP_1) | instskip(NEXT) | instid1(VALU_DEP_1)
	v_div_fixup_f64 v[6:7], v[6:7], v[14:15], v[22:23]
	v_fmac_f64_e32 v[14:15], v[22:23], v[6:7]
	s_delay_alu instid0(VALU_DEP_1) | instskip(SKIP_1) | instid1(VALU_DEP_2)
	v_div_scale_f64 v[8:9], null, v[14:15], v[14:15], 1.0
	v_div_scale_f64 v[36:37], vcc_lo, 1.0, v[14:15], 1.0
	v_rcp_f64_e32 v[20:21], v[8:9]
	v_nop
	s_delay_alu instid0(TRANS32_DEP_1) | instskip(NEXT) | instid1(VALU_DEP_1)
	v_fma_f64 v[22:23], -v[8:9], v[20:21], 1.0
	v_fmac_f64_e32 v[20:21], v[20:21], v[22:23]
	s_delay_alu instid0(VALU_DEP_1) | instskip(NEXT) | instid1(VALU_DEP_1)
	v_fma_f64 v[22:23], -v[8:9], v[20:21], 1.0
	v_fmac_f64_e32 v[20:21], v[20:21], v[22:23]
	s_delay_alu instid0(VALU_DEP_1) | instskip(NEXT) | instid1(VALU_DEP_1)
	v_mul_f64_e32 v[22:23], v[36:37], v[20:21]
	v_fma_f64 v[8:9], -v[8:9], v[22:23], v[36:37]
                                        ; implicit-def: $vgpr36_vgpr37
	s_delay_alu instid0(VALU_DEP_1) | instskip(SKIP_1) | instid1(VALU_DEP_2)
	v_div_fmas_f64 v[8:9], v[8:9], v[20:21], v[22:23]
	v_fma_f64 v[20:21], v[6:7], 0, 1.0
	v_div_fixup_f64 v[8:9], v[8:9], v[14:15], 1.0
	v_add_f64_e64 v[14:15], -v[6:7], 0
	s_delay_alu instid0(VALU_DEP_2) | instskip(NEXT) | instid1(VALU_DEP_2)
	v_mul_f64_e32 v[6:7], v[20:21], v[8:9]
	v_mul_f64_e32 v[8:9], v[14:15], v[8:9]
                                        ; implicit-def: $vgpr20_vgpr21
.LBB295_206:                            ;   in Loop: Header=BB295_169 Depth=1
	s_and_not1_saveexec_b32 s22, s4
	s_cbranch_execz .LBB295_208
; %bb.207:                              ;   in Loop: Header=BB295_169 Depth=1
	v_div_scale_f64 v[6:7], null, v[20:21], v[20:21], 1.0
	v_div_scale_f64 v[8:9], null, v[36:37], v[36:37], 0
	v_div_scale_f64 v[42:43], vcc_lo, 1.0, v[20:21], 1.0
	s_delay_alu instid0(VALU_DEP_3) | instskip(NEXT) | instid1(VALU_DEP_2)
	v_rcp_f64_e32 v[14:15], v[6:7]
	v_rcp_f64_e32 v[22:23], v[8:9]
	s_delay_alu instid0(TRANS32_DEP_2) | instskip(NEXT) | instid1(TRANS32_DEP_1)
	v_fma_f64 v[38:39], -v[6:7], v[14:15], 1.0
	v_fma_f64 v[40:41], -v[8:9], v[22:23], 1.0
	s_delay_alu instid0(VALU_DEP_2) | instskip(NEXT) | instid1(VALU_DEP_2)
	v_fmac_f64_e32 v[14:15], v[14:15], v[38:39]
	v_fmac_f64_e32 v[22:23], v[22:23], v[40:41]
	s_delay_alu instid0(VALU_DEP_2) | instskip(NEXT) | instid1(VALU_DEP_2)
	v_fma_f64 v[38:39], -v[6:7], v[14:15], 1.0
	v_fma_f64 v[40:41], -v[8:9], v[22:23], 1.0
	s_delay_alu instid0(VALU_DEP_2) | instskip(SKIP_1) | instid1(VALU_DEP_3)
	v_fmac_f64_e32 v[14:15], v[14:15], v[38:39]
	v_div_scale_f64 v[38:39], s4, 0, v[36:37], 0
	v_fmac_f64_e32 v[22:23], v[22:23], v[40:41]
	s_delay_alu instid0(VALU_DEP_3) | instskip(NEXT) | instid1(VALU_DEP_2)
	v_mul_f64_e32 v[40:41], v[42:43], v[14:15]
	v_mul_f64_e32 v[44:45], v[38:39], v[22:23]
	s_delay_alu instid0(VALU_DEP_2) | instskip(NEXT) | instid1(VALU_DEP_2)
	v_fma_f64 v[6:7], -v[6:7], v[40:41], v[42:43]
	v_fma_f64 v[8:9], -v[8:9], v[44:45], v[38:39]
	s_delay_alu instid0(VALU_DEP_2) | instskip(SKIP_1) | instid1(VALU_DEP_2)
	v_div_fmas_f64 v[6:7], v[6:7], v[14:15], v[40:41]
	s_mov_b32 vcc_lo, s4
	v_div_fmas_f64 v[8:9], v[8:9], v[22:23], v[44:45]
	s_delay_alu instid0(VALU_DEP_2) | instskip(NEXT) | instid1(VALU_DEP_2)
	v_div_fixup_f64 v[6:7], v[6:7], v[20:21], 1.0
	v_div_fixup_f64 v[8:9], v[8:9], v[36:37], 0
.LBB295_208:                            ;   in Loop: Header=BB295_169 Depth=1
	s_or_b32 exec_lo, exec_lo, s22
                                        ; implicit-def: $vgpr22_vgpr23
                                        ; implicit-def: $vgpr14_vgpr15
.LBB295_209:                            ;   in Loop: Header=BB295_169 Depth=1
	s_and_not1_saveexec_b32 s4, s5
	s_cbranch_execz .LBB295_211
; %bb.210:                              ;   in Loop: Header=BB295_169 Depth=1
	v_div_scale_f64 v[6:7], null, v[22:23], v[22:23], v[14:15]
	v_div_scale_f64 v[36:37], vcc_lo, v[14:15], v[22:23], v[14:15]
	s_delay_alu instid0(VALU_DEP_2) | instskip(SKIP_1) | instid1(TRANS32_DEP_1)
	v_rcp_f64_e32 v[8:9], v[6:7]
	v_nop
	v_fma_f64 v[20:21], -v[6:7], v[8:9], 1.0
	s_delay_alu instid0(VALU_DEP_1) | instskip(NEXT) | instid1(VALU_DEP_1)
	v_fmac_f64_e32 v[8:9], v[8:9], v[20:21]
	v_fma_f64 v[20:21], -v[6:7], v[8:9], 1.0
	s_delay_alu instid0(VALU_DEP_1) | instskip(NEXT) | instid1(VALU_DEP_1)
	v_fmac_f64_e32 v[8:9], v[8:9], v[20:21]
	v_mul_f64_e32 v[20:21], v[36:37], v[8:9]
	s_delay_alu instid0(VALU_DEP_1) | instskip(NEXT) | instid1(VALU_DEP_1)
	v_fma_f64 v[6:7], -v[6:7], v[20:21], v[36:37]
	v_div_fmas_f64 v[6:7], v[6:7], v[8:9], v[20:21]
	s_delay_alu instid0(VALU_DEP_1) | instskip(NEXT) | instid1(VALU_DEP_1)
	v_div_fixup_f64 v[6:7], v[6:7], v[22:23], v[14:15]
	v_fmac_f64_e32 v[22:23], v[14:15], v[6:7]
	s_delay_alu instid0(VALU_DEP_1) | instskip(SKIP_1) | instid1(VALU_DEP_2)
	v_div_scale_f64 v[8:9], null, v[22:23], v[22:23], 1.0
	v_div_scale_f64 v[36:37], vcc_lo, 1.0, v[22:23], 1.0
	v_rcp_f64_e32 v[14:15], v[8:9]
	v_nop
	s_delay_alu instid0(TRANS32_DEP_1) | instskip(NEXT) | instid1(VALU_DEP_1)
	v_fma_f64 v[20:21], -v[8:9], v[14:15], 1.0
	v_fmac_f64_e32 v[14:15], v[14:15], v[20:21]
	s_delay_alu instid0(VALU_DEP_1) | instskip(NEXT) | instid1(VALU_DEP_1)
	v_fma_f64 v[20:21], -v[8:9], v[14:15], 1.0
	v_fmac_f64_e32 v[14:15], v[14:15], v[20:21]
	s_delay_alu instid0(VALU_DEP_1) | instskip(NEXT) | instid1(VALU_DEP_1)
	v_mul_f64_e32 v[20:21], v[36:37], v[14:15]
	v_fma_f64 v[8:9], -v[8:9], v[20:21], v[36:37]
	s_delay_alu instid0(VALU_DEP_1) | instskip(SKIP_2) | instid1(VALU_DEP_3)
	v_div_fmas_f64 v[8:9], v[8:9], v[14:15], v[20:21]
	v_add_f64_e32 v[14:15], 0, v[6:7]
	v_fma_f64 v[20:21], v[6:7], 0, -1.0
	v_div_fixup_f64 v[8:9], v[8:9], v[22:23], 1.0
	s_delay_alu instid0(VALU_DEP_1) | instskip(NEXT) | instid1(VALU_DEP_3)
	v_mul_f64_e32 v[6:7], v[14:15], v[8:9]
	v_mul_f64_e32 v[8:9], v[20:21], v[8:9]
.LBB295_211:                            ;   in Loop: Header=BB295_169 Depth=1
	s_or_b32 exec_lo, exec_lo, s4
	v_cmp_neq_f64_e32 vcc_lo, 0, v[16:17]
	v_cmp_neq_f64_e64 s4, 0, v[18:19]
	v_mov_b64_e32 v[20:21], 0
	s_or_b32 s4, vcc_lo, s4
	s_delay_alu instid0(SALU_CYCLE_1)
	s_and_saveexec_b32 s22, s4
	s_cbranch_execz .LBB295_238
; %bb.212:                              ;   in Loop: Header=BB295_169 Depth=1
	v_mov_b64_e32 v[20:21], 0x7ff0000000000000
	s_mov_b32 s23, exec_lo
	v_cmpx_neq_f64_e64 0x7ff00000, |v[18:19]|
	s_cbranch_execz .LBB295_237
; %bb.213:                              ;   in Loop: Header=BB295_169 Depth=1
                                        ; implicit-def: $vgpr20_vgpr21
	s_mov_b32 s4, exec_lo
	v_cmpx_o_f64_e32 v[16:17], v[16:17]
	s_xor_b32 s24, exec_lo, s4
	s_cbranch_execz .LBB295_234
; %bb.214:                              ;   in Loop: Header=BB295_169 Depth=1
                                        ; implicit-def: $vgpr20_vgpr21
	s_mov_b32 s5, exec_lo
	v_cmpx_neq_f64_e64 0x7ff00000, |v[16:17]|
	s_xor_b32 s25, exec_lo, s5
	s_cbranch_execz .LBB295_227
; %bb.215:                              ;   in Loop: Header=BB295_169 Depth=1
	v_max_num_f64_e64 v[14:15], |v[16:17]|, |v[16:17]|
	v_max_num_f64_e64 v[20:21], |v[18:19]|, |v[18:19]|
                                        ; implicit-def: $sgpr26
	s_delay_alu instid0(VALU_DEP_1) | instskip(NEXT) | instid1(VALU_DEP_1)
	v_max_num_f64_e32 v[14:15], v[20:21], v[14:15]
	v_cmp_nle_f64_e64 s4, s[14:15], v[14:15]
	s_and_saveexec_b32 s5, s4
	s_delay_alu instid0(SALU_CYCLE_1)
	s_xor_b32 s5, exec_lo, s5
	s_cbranch_execz .LBB295_219
; %bb.216:                              ;   in Loop: Header=BB295_169 Depth=1
	v_cmp_ge_f64_e64 s26, 0x200000, |v[16:17]|
	v_cmp_ge_f64_e64 s27, 0x200000, |v[18:19]|
	s_and_b32 s28, s27, s26
	s_mov_b32 s26, 0
	s_and_saveexec_b32 s27, s28
	s_cbranch_execz .LBB295_218
; %bb.217:                              ;   in Loop: Header=BB295_169 Depth=1
	v_mul_f64_e32 v[16:17], 4.0, v[16:17]
	v_mul_f64_e32 v[18:19], 4.0, v[18:19]
	s_mov_b32 s26, exec_lo
.LBB295_218:                            ;   in Loop: Header=BB295_169 Depth=1
	s_or_b32 exec_lo, exec_lo, s27
.LBB295_219:                            ;   in Loop: Header=BB295_169 Depth=1
	s_and_not1_saveexec_b32 s5, s5
	s_cbranch_execz .LBB295_221
; %bb.220:                              ;   in Loop: Header=BB295_169 Depth=1
	s_delay_alu instid0(VALU_DEP_2) | instskip(NEXT) | instid1(VALU_DEP_2)
	v_ldexp_f64 v[16:17], v[16:17], -2
	v_ldexp_f64 v[18:19], v[18:19], -2
	s_and_not1_b32 s26, s26, exec_lo
.LBB295_221:                            ;   in Loop: Header=BB295_169 Depth=1
	s_or_b32 exec_lo, exec_lo, s5
	s_delay_alu instid0(VALU_DEP_1) | instskip(NEXT) | instid1(VALU_DEP_3)
	v_max_num_f64_e64 v[14:15], |v[18:19]|, |v[18:19]|
	v_max_num_f64_e64 v[20:21], |v[16:17]|, |v[16:17]|
	v_cmp_class_f64_e64 s27, v[16:17], 0x204
	v_cmp_class_f64_e64 s28, v[18:19], 0x204
	v_cmp_le_f64_e64 s5, 0, v[16:17]
	s_delay_alu instid0(VALU_DEP_4) | instskip(SKIP_1) | instid1(VALU_DEP_1)
	v_max_num_f64_e32 v[14:15], v[20:21], v[14:15]
	s_or_b32 s27, s28, s27
	v_frexp_exp_i32_f64_e32 v38, v[14:15]
	s_delay_alu instid0(VALU_DEP_1) | instskip(NEXT) | instid1(VALU_DEP_1)
	v_sub_nc_u32_e32 v20, 0, v38
	v_ldexp_f64 v[14:15], |v[18:19]|, v20
	v_ldexp_f64 v[20:21], |v[16:17]|, v20
	s_delay_alu instid0(VALU_DEP_2) | instskip(NEXT) | instid1(VALU_DEP_1)
	v_mul_f64_e32 v[14:15], v[14:15], v[14:15]
	v_fmac_f64_e32 v[14:15], v[20:21], v[20:21]
	s_delay_alu instid0(VALU_DEP_1) | instskip(SKIP_1) | instid1(TRANS32_DEP_1)
	v_rsq_f64_e32 v[20:21], v[14:15]
	v_cmp_eq_f64_e32 vcc_lo, 0, v[14:15]
	v_mul_f64_e32 v[22:23], v[14:15], v[20:21]
	v_mul_f64_e32 v[20:21], 0.5, v[20:21]
	s_delay_alu instid0(VALU_DEP_1) | instskip(NEXT) | instid1(VALU_DEP_1)
	v_fma_f64 v[36:37], -v[20:21], v[22:23], 0.5
	v_fmac_f64_e32 v[22:23], v[22:23], v[36:37]
	v_fmac_f64_e32 v[20:21], v[20:21], v[36:37]
	s_delay_alu instid0(VALU_DEP_2) | instskip(NEXT) | instid1(VALU_DEP_1)
	v_fma_f64 v[36:37], -v[22:23], v[22:23], v[14:15]
	v_fmac_f64_e32 v[22:23], v[36:37], v[20:21]
                                        ; implicit-def: $vgpr20_vgpr21
	s_delay_alu instid0(VALU_DEP_1) | instskip(SKIP_1) | instid1(VALU_DEP_2)
	v_dual_cndmask_b32 v15, v23, v15 :: v_dual_cndmask_b32 v14, v22, v14
	v_cmp_o_f64_e32 vcc_lo, v[18:19], v[18:19]
	v_ldexp_f64 v[14:15], v[14:15], v38
	s_delay_alu instid0(VALU_DEP_1) | instskip(NEXT) | instid1(VALU_DEP_2)
	v_cndmask_b32_e32 v14, 0, v14, vcc_lo
	v_cndmask_b32_e32 v15, 0x7ff80000, v15, vcc_lo
	s_delay_alu instid0(VALU_DEP_2) | instskip(NEXT) | instid1(VALU_DEP_2)
	v_cndmask_b32_e64 v14, v14, 0, s27
	v_cndmask_b32_e64 v15, v15, 0x7ff00000, s27
	s_and_saveexec_b32 s27, s5
	s_delay_alu instid0(SALU_CYCLE_1)
	s_xor_b32 s5, exec_lo, s27
	s_cbranch_execnz .LBB295_330
; %bb.222:                              ;   in Loop: Header=BB295_169 Depth=1
	s_and_not1_saveexec_b32 s5, s5
	s_cbranch_execnz .LBB295_331
.LBB295_223:                            ;   in Loop: Header=BB295_169 Depth=1
	s_or_b32 exec_lo, exec_lo, s5
	s_and_saveexec_b32 s5, s4
	s_delay_alu instid0(SALU_CYCLE_1)
	s_xor_b32 s4, exec_lo, s5
	s_cbranch_execnz .LBB295_332
.LBB295_224:                            ;   in Loop: Header=BB295_169 Depth=1
	s_and_not1_saveexec_b32 s4, s4
	s_cbranch_execz .LBB295_226
.LBB295_225:                            ;   in Loop: Header=BB295_169 Depth=1
	s_delay_alu instid0(VALU_DEP_2) | instskip(NEXT) | instid1(VALU_DEP_2)
	v_add_f64_e32 v[20:21], v[20:21], v[20:21]
	v_add_f64_e32 v[18:19], v[18:19], v[18:19]
.LBB295_226:                            ;   in Loop: Header=BB295_169 Depth=1
	s_or_b32 exec_lo, exec_lo, s4
.LBB295_227:                            ;   in Loop: Header=BB295_169 Depth=1
	s_and_not1_saveexec_b32 s4, s25
	s_cbranch_execz .LBB295_233
; %bb.228:                              ;   in Loop: Header=BB295_169 Depth=1
	s_delay_alu instid0(VALU_DEP_1) | instskip(SKIP_1) | instid1(VALU_DEP_1)
	v_add_f64_e64 v[14:15], v[18:19], -v[18:19]
	s_mov_b32 s5, exec_lo
	v_and_b32_e32 v21, 0x7fffffff, v15
	s_delay_alu instid0(VALU_DEP_2)
	v_mov_b32_e32 v20, v14
	v_cmpx_lt_i64_e32 -1, v[16:17]
	s_xor_b32 s5, exec_lo, s5
; %bb.229:                              ;   in Loop: Header=BB295_169 Depth=1
	v_bfi_b32 v15, 0x7fffffff, v15, v19
	v_mov_b64_e32 v[20:21], v[16:17]
	s_delay_alu instid0(VALU_DEP_2)
	v_mov_b64_e32 v[18:19], v[14:15]
; %bb.230:                              ;   in Loop: Header=BB295_169 Depth=1
	s_and_not1_saveexec_b32 s5, s5
; %bb.231:                              ;   in Loop: Header=BB295_169 Depth=1
	s_delay_alu instid0(VALU_DEP_1) | instskip(NEXT) | instid1(VALU_DEP_1)
	v_bfi_b32 v17, 0x7fffffff, v17, v19
	v_mov_b64_e32 v[18:19], v[16:17]
; %bb.232:                              ;   in Loop: Header=BB295_169 Depth=1
	s_or_b32 exec_lo, exec_lo, s5
.LBB295_233:                            ;   in Loop: Header=BB295_169 Depth=1
	s_delay_alu instid0(SALU_CYCLE_1)
	s_or_b32 exec_lo, exec_lo, s4
.LBB295_234:                            ;   in Loop: Header=BB295_169 Depth=1
	s_and_not1_saveexec_b32 s4, s24
	s_cbranch_execz .LBB295_236
; %bb.235:                              ;   in Loop: Header=BB295_169 Depth=1
	s_delay_alu instid0(VALU_DEP_1) | instskip(NEXT) | instid1(VALU_DEP_1)
	v_add_f64_e64 v[14:15], v[18:19], -v[18:19]
	v_div_scale_f64 v[18:19], vcc_lo, v[14:15], v[14:15], v[14:15]
	s_delay_alu instid0(VALU_DEP_1) | instskip(SKIP_1) | instid1(TRANS32_DEP_1)
	v_rcp_f64_e32 v[20:21], v[18:19]
	v_nop
	v_fma_f64 v[22:23], -v[18:19], v[20:21], 1.0
	s_delay_alu instid0(VALU_DEP_1) | instskip(NEXT) | instid1(VALU_DEP_1)
	v_fmac_f64_e32 v[20:21], v[20:21], v[22:23]
	v_fma_f64 v[22:23], -v[18:19], v[20:21], 1.0
	s_delay_alu instid0(VALU_DEP_1) | instskip(NEXT) | instid1(VALU_DEP_1)
	v_fmac_f64_e32 v[20:21], v[20:21], v[22:23]
	v_mul_f64_e32 v[22:23], v[18:19], v[20:21]
	s_delay_alu instid0(VALU_DEP_1) | instskip(NEXT) | instid1(VALU_DEP_1)
	v_fma_f64 v[18:19], -v[18:19], v[22:23], v[18:19]
	v_div_fmas_f64 v[18:19], v[18:19], v[20:21], v[22:23]
	v_mov_b64_e32 v[20:21], v[16:17]
	s_delay_alu instid0(VALU_DEP_2)
	v_div_fixup_f64 v[18:19], v[18:19], v[14:15], v[14:15]
.LBB295_236:                            ;   in Loop: Header=BB295_169 Depth=1
	s_or_b32 exec_lo, exec_lo, s4
.LBB295_237:                            ;   in Loop: Header=BB295_169 Depth=1
	s_delay_alu instid0(SALU_CYCLE_1)
	s_or_b32 exec_lo, exec_lo, s23
.LBB295_238:                            ;   in Loop: Header=BB295_169 Depth=1
	s_delay_alu instid0(SALU_CYCLE_1) | instskip(NEXT) | instid1(VALU_DEP_1)
	s_or_b32 exec_lo, exec_lo, s22
	v_cmp_gt_f64_e32 vcc_lo, 0, v[20:21]
	v_xor_b32_e32 v14, 0x80000000, v21
	v_mov_b32_e32 v22, v20
	s_delay_alu instid0(VALU_DEP_4) | instskip(SKIP_1) | instid1(VALU_DEP_3)
	v_xor_b32_e32 v15, 0x80000000, v19
	s_mov_b32 s4, exec_lo
	v_dual_mov_b32 v36, v18 :: v_dual_cndmask_b32 v23, v21, v14
	v_cmp_gt_f64_e32 vcc_lo, 0, v[18:19]
	s_delay_alu instid0(VALU_DEP_3) | instskip(NEXT) | instid1(VALU_DEP_1)
	v_cndmask_b32_e32 v37, v19, v15, vcc_lo
                                        ; implicit-def: $vgpr16_vgpr17
	v_cmpx_ge_f64_e32 v[22:23], v[36:37]
	s_xor_b32 s5, exec_lo, s4
	s_cbranch_execz .LBB295_244
; %bb.239:                              ;   in Loop: Header=BB295_169 Depth=1
	v_cmp_neq_f64_e32 vcc_lo, 0, v[20:21]
	v_cmp_neq_f64_e64 s4, 0, v[18:19]
                                        ; implicit-def: $vgpr16_vgpr17
	s_or_b32 s4, vcc_lo, s4
	s_delay_alu instid0(SALU_CYCLE_1) | instskip(NEXT) | instid1(SALU_CYCLE_1)
	s_and_saveexec_b32 s22, s4
	s_xor_b32 s4, exec_lo, s22
	s_cbranch_execz .LBB295_241
; %bb.240:                              ;   in Loop: Header=BB295_169 Depth=1
	v_div_scale_f64 v[14:15], null, v[20:21], v[20:21], v[18:19]
	v_div_scale_f64 v[36:37], vcc_lo, v[18:19], v[20:21], v[18:19]
	s_delay_alu instid0(VALU_DEP_2) | instskip(SKIP_1) | instid1(TRANS32_DEP_1)
	v_rcp_f64_e32 v[16:17], v[14:15]
	v_nop
	v_fma_f64 v[22:23], -v[14:15], v[16:17], 1.0
	s_delay_alu instid0(VALU_DEP_1) | instskip(NEXT) | instid1(VALU_DEP_1)
	v_fmac_f64_e32 v[16:17], v[16:17], v[22:23]
	v_fma_f64 v[22:23], -v[14:15], v[16:17], 1.0
	s_delay_alu instid0(VALU_DEP_1) | instskip(NEXT) | instid1(VALU_DEP_1)
	v_fmac_f64_e32 v[16:17], v[16:17], v[22:23]
	v_mul_f64_e32 v[22:23], v[36:37], v[16:17]
	s_delay_alu instid0(VALU_DEP_1) | instskip(NEXT) | instid1(VALU_DEP_1)
	v_fma_f64 v[14:15], -v[14:15], v[22:23], v[36:37]
	v_div_fmas_f64 v[14:15], v[14:15], v[16:17], v[22:23]
	s_delay_alu instid0(VALU_DEP_1) | instskip(NEXT) | instid1(VALU_DEP_1)
	v_div_fixup_f64 v[14:15], v[14:15], v[20:21], v[18:19]
	v_fmac_f64_e32 v[20:21], v[18:19], v[14:15]
	s_delay_alu instid0(VALU_DEP_1) | instskip(SKIP_1) | instid1(VALU_DEP_2)
	v_div_scale_f64 v[16:17], null, v[20:21], v[20:21], 1.0
	v_div_scale_f64 v[36:37], vcc_lo, 1.0, v[20:21], 1.0
	v_rcp_f64_e32 v[18:19], v[16:17]
	v_nop
	s_delay_alu instid0(TRANS32_DEP_1) | instskip(NEXT) | instid1(VALU_DEP_1)
	v_fma_f64 v[22:23], -v[16:17], v[18:19], 1.0
	v_fmac_f64_e32 v[18:19], v[18:19], v[22:23]
	s_delay_alu instid0(VALU_DEP_1) | instskip(NEXT) | instid1(VALU_DEP_1)
	v_fma_f64 v[22:23], -v[16:17], v[18:19], 1.0
	v_fmac_f64_e32 v[18:19], v[18:19], v[22:23]
	s_delay_alu instid0(VALU_DEP_1) | instskip(NEXT) | instid1(VALU_DEP_1)
	v_mul_f64_e32 v[22:23], v[36:37], v[18:19]
	v_fma_f64 v[16:17], -v[16:17], v[22:23], v[36:37]
                                        ; implicit-def: $vgpr36_vgpr37
	s_delay_alu instid0(VALU_DEP_1) | instskip(SKIP_1) | instid1(VALU_DEP_2)
	v_div_fmas_f64 v[16:17], v[16:17], v[18:19], v[22:23]
	v_fma_f64 v[18:19], v[14:15], 0, 1.0
                                        ; implicit-def: $vgpr22_vgpr23
	v_div_fixup_f64 v[16:17], v[16:17], v[20:21], 1.0
	v_add_f64_e64 v[20:21], -v[14:15], 0
	s_delay_alu instid0(VALU_DEP_2) | instskip(NEXT) | instid1(VALU_DEP_2)
	v_mul_f64_e32 v[14:15], v[18:19], v[16:17]
	v_mul_f64_e32 v[16:17], v[20:21], v[16:17]
.LBB295_241:                            ;   in Loop: Header=BB295_169 Depth=1
	s_and_not1_saveexec_b32 s22, s4
	s_cbranch_execz .LBB295_243
; %bb.242:                              ;   in Loop: Header=BB295_169 Depth=1
	v_div_scale_f64 v[14:15], null, v[22:23], v[22:23], 1.0
	v_div_scale_f64 v[16:17], null, v[36:37], v[36:37], 0
	v_div_scale_f64 v[42:43], vcc_lo, 1.0, v[22:23], 1.0
	s_delay_alu instid0(VALU_DEP_3) | instskip(NEXT) | instid1(VALU_DEP_2)
	v_rcp_f64_e32 v[18:19], v[14:15]
	v_rcp_f64_e32 v[20:21], v[16:17]
	s_delay_alu instid0(TRANS32_DEP_2) | instskip(NEXT) | instid1(TRANS32_DEP_1)
	v_fma_f64 v[38:39], -v[14:15], v[18:19], 1.0
	v_fma_f64 v[40:41], -v[16:17], v[20:21], 1.0
	s_delay_alu instid0(VALU_DEP_2) | instskip(NEXT) | instid1(VALU_DEP_2)
	v_fmac_f64_e32 v[18:19], v[18:19], v[38:39]
	v_fmac_f64_e32 v[20:21], v[20:21], v[40:41]
	s_delay_alu instid0(VALU_DEP_2) | instskip(NEXT) | instid1(VALU_DEP_2)
	v_fma_f64 v[38:39], -v[14:15], v[18:19], 1.0
	v_fma_f64 v[40:41], -v[16:17], v[20:21], 1.0
	s_delay_alu instid0(VALU_DEP_2) | instskip(SKIP_1) | instid1(VALU_DEP_3)
	v_fmac_f64_e32 v[18:19], v[18:19], v[38:39]
	v_div_scale_f64 v[38:39], s4, 0, v[36:37], 0
	v_fmac_f64_e32 v[20:21], v[20:21], v[40:41]
	s_delay_alu instid0(VALU_DEP_3) | instskip(NEXT) | instid1(VALU_DEP_2)
	v_mul_f64_e32 v[40:41], v[42:43], v[18:19]
	v_mul_f64_e32 v[44:45], v[38:39], v[20:21]
	s_delay_alu instid0(VALU_DEP_2) | instskip(NEXT) | instid1(VALU_DEP_2)
	v_fma_f64 v[14:15], -v[14:15], v[40:41], v[42:43]
	v_fma_f64 v[16:17], -v[16:17], v[44:45], v[38:39]
	s_delay_alu instid0(VALU_DEP_2) | instskip(SKIP_1) | instid1(VALU_DEP_2)
	v_div_fmas_f64 v[14:15], v[14:15], v[18:19], v[40:41]
	s_mov_b32 vcc_lo, s4
	v_div_fmas_f64 v[16:17], v[16:17], v[20:21], v[44:45]
	s_delay_alu instid0(VALU_DEP_2) | instskip(NEXT) | instid1(VALU_DEP_2)
	v_div_fixup_f64 v[14:15], v[14:15], v[22:23], 1.0
	v_div_fixup_f64 v[16:17], v[16:17], v[36:37], 0
.LBB295_243:                            ;   in Loop: Header=BB295_169 Depth=1
	s_or_b32 exec_lo, exec_lo, s22
                                        ; implicit-def: $vgpr18_vgpr19
                                        ; implicit-def: $vgpr20_vgpr21
.LBB295_244:                            ;   in Loop: Header=BB295_169 Depth=1
	s_and_not1_saveexec_b32 s4, s5
	s_cbranch_execz .LBB295_246
; %bb.245:                              ;   in Loop: Header=BB295_169 Depth=1
	v_div_scale_f64 v[14:15], null, v[18:19], v[18:19], v[20:21]
	v_div_scale_f64 v[36:37], vcc_lo, v[20:21], v[18:19], v[20:21]
	s_delay_alu instid0(VALU_DEP_2) | instskip(SKIP_1) | instid1(TRANS32_DEP_1)
	v_rcp_f64_e32 v[16:17], v[14:15]
	v_nop
	v_fma_f64 v[22:23], -v[14:15], v[16:17], 1.0
	s_delay_alu instid0(VALU_DEP_1) | instskip(NEXT) | instid1(VALU_DEP_1)
	v_fmac_f64_e32 v[16:17], v[16:17], v[22:23]
	v_fma_f64 v[22:23], -v[14:15], v[16:17], 1.0
	s_delay_alu instid0(VALU_DEP_1) | instskip(NEXT) | instid1(VALU_DEP_1)
	v_fmac_f64_e32 v[16:17], v[16:17], v[22:23]
	v_mul_f64_e32 v[22:23], v[36:37], v[16:17]
	s_delay_alu instid0(VALU_DEP_1) | instskip(NEXT) | instid1(VALU_DEP_1)
	v_fma_f64 v[14:15], -v[14:15], v[22:23], v[36:37]
	v_div_fmas_f64 v[14:15], v[14:15], v[16:17], v[22:23]
	s_delay_alu instid0(VALU_DEP_1) | instskip(NEXT) | instid1(VALU_DEP_1)
	v_div_fixup_f64 v[14:15], v[14:15], v[18:19], v[20:21]
	v_fmac_f64_e32 v[18:19], v[20:21], v[14:15]
	s_delay_alu instid0(VALU_DEP_1) | instskip(SKIP_1) | instid1(VALU_DEP_2)
	v_div_scale_f64 v[16:17], null, v[18:19], v[18:19], 1.0
	v_div_scale_f64 v[36:37], vcc_lo, 1.0, v[18:19], 1.0
	v_rcp_f64_e32 v[20:21], v[16:17]
	v_nop
	s_delay_alu instid0(TRANS32_DEP_1) | instskip(NEXT) | instid1(VALU_DEP_1)
	v_fma_f64 v[22:23], -v[16:17], v[20:21], 1.0
	v_fmac_f64_e32 v[20:21], v[20:21], v[22:23]
	s_delay_alu instid0(VALU_DEP_1) | instskip(NEXT) | instid1(VALU_DEP_1)
	v_fma_f64 v[22:23], -v[16:17], v[20:21], 1.0
	v_fmac_f64_e32 v[20:21], v[20:21], v[22:23]
	s_delay_alu instid0(VALU_DEP_1) | instskip(NEXT) | instid1(VALU_DEP_1)
	v_mul_f64_e32 v[22:23], v[36:37], v[20:21]
	v_fma_f64 v[16:17], -v[16:17], v[22:23], v[36:37]
	s_delay_alu instid0(VALU_DEP_1) | instskip(SKIP_1) | instid1(VALU_DEP_2)
	v_div_fmas_f64 v[16:17], v[16:17], v[20:21], v[22:23]
	v_add_f64_e32 v[20:21], 0, v[14:15]
	v_div_fixup_f64 v[16:17], v[16:17], v[18:19], 1.0
	v_fma_f64 v[18:19], v[14:15], 0, -1.0
	s_delay_alu instid0(VALU_DEP_2) | instskip(NEXT) | instid1(VALU_DEP_2)
	v_mul_f64_e32 v[14:15], v[20:21], v[16:17]
	v_mul_f64_e32 v[16:17], v[18:19], v[16:17]
.LBB295_246:                            ;   in Loop: Header=BB295_169 Depth=1
	s_or_b32 exec_lo, exec_lo, s4
	v_cmp_neq_f64_e32 vcc_lo, 0, v[10:11]
	v_cmp_neq_f64_e64 s4, 0, v[12:13]
	v_mov_b64_e32 v[22:23], 0
	s_or_b32 s4, vcc_lo, s4
	s_delay_alu instid0(SALU_CYCLE_1)
	s_and_saveexec_b32 s22, s4
	s_cbranch_execz .LBB295_273
; %bb.247:                              ;   in Loop: Header=BB295_169 Depth=1
	v_mov_b64_e32 v[22:23], 0x7ff0000000000000
	s_mov_b32 s23, exec_lo
	v_cmpx_neq_f64_e64 0x7ff00000, |v[12:13]|
	s_cbranch_execz .LBB295_272
; %bb.248:                              ;   in Loop: Header=BB295_169 Depth=1
                                        ; implicit-def: $vgpr22_vgpr23
	s_mov_b32 s4, exec_lo
	v_cmpx_o_f64_e32 v[10:11], v[10:11]
	s_xor_b32 s24, exec_lo, s4
	s_cbranch_execz .LBB295_269
; %bb.249:                              ;   in Loop: Header=BB295_169 Depth=1
                                        ; implicit-def: $vgpr22_vgpr23
	s_mov_b32 s5, exec_lo
	v_cmpx_neq_f64_e64 0x7ff00000, |v[10:11]|
	s_xor_b32 s25, exec_lo, s5
	s_cbranch_execz .LBB295_262
; %bb.250:                              ;   in Loop: Header=BB295_169 Depth=1
	v_max_num_f64_e64 v[18:19], |v[10:11]|, |v[10:11]|
	v_max_num_f64_e64 v[20:21], |v[12:13]|, |v[12:13]|
                                        ; implicit-def: $sgpr26
	s_delay_alu instid0(VALU_DEP_1) | instskip(NEXT) | instid1(VALU_DEP_1)
	v_max_num_f64_e32 v[18:19], v[20:21], v[18:19]
	v_cmp_nle_f64_e64 s4, s[14:15], v[18:19]
	s_and_saveexec_b32 s5, s4
	s_delay_alu instid0(SALU_CYCLE_1)
	s_xor_b32 s5, exec_lo, s5
	s_cbranch_execz .LBB295_254
; %bb.251:                              ;   in Loop: Header=BB295_169 Depth=1
	v_cmp_ge_f64_e64 s26, 0x200000, |v[10:11]|
	v_cmp_ge_f64_e64 s27, 0x200000, |v[12:13]|
	s_and_b32 s28, s27, s26
	s_mov_b32 s26, 0
	s_and_saveexec_b32 s27, s28
	s_cbranch_execz .LBB295_253
; %bb.252:                              ;   in Loop: Header=BB295_169 Depth=1
	v_mul_f64_e32 v[10:11], 4.0, v[10:11]
	v_mul_f64_e32 v[12:13], 4.0, v[12:13]
	s_mov_b32 s26, exec_lo
.LBB295_253:                            ;   in Loop: Header=BB295_169 Depth=1
	s_or_b32 exec_lo, exec_lo, s27
.LBB295_254:                            ;   in Loop: Header=BB295_169 Depth=1
	s_and_not1_saveexec_b32 s5, s5
	s_cbranch_execz .LBB295_256
; %bb.255:                              ;   in Loop: Header=BB295_169 Depth=1
	s_delay_alu instid0(VALU_DEP_2) | instskip(NEXT) | instid1(VALU_DEP_2)
	v_ldexp_f64 v[10:11], v[10:11], -2
	v_ldexp_f64 v[12:13], v[12:13], -2
	s_and_not1_b32 s26, s26, exec_lo
.LBB295_256:                            ;   in Loop: Header=BB295_169 Depth=1
	s_or_b32 exec_lo, exec_lo, s5
	s_delay_alu instid0(VALU_DEP_1) | instskip(NEXT) | instid1(VALU_DEP_3)
	v_max_num_f64_e64 v[18:19], |v[12:13]|, |v[12:13]|
	v_max_num_f64_e64 v[20:21], |v[10:11]|, |v[10:11]|
	v_cmp_class_f64_e64 s27, v[10:11], 0x204
	v_cmp_class_f64_e64 s28, v[12:13], 0x204
	v_cmp_le_f64_e64 s5, 0, v[10:11]
	s_delay_alu instid0(VALU_DEP_4) | instskip(SKIP_1) | instid1(VALU_DEP_1)
	v_max_num_f64_e32 v[18:19], v[20:21], v[18:19]
	s_or_b32 s27, s28, s27
	v_frexp_exp_i32_f64_e32 v38, v[18:19]
	s_delay_alu instid0(VALU_DEP_1) | instskip(NEXT) | instid1(VALU_DEP_1)
	v_sub_nc_u32_e32 v20, 0, v38
	v_ldexp_f64 v[18:19], |v[12:13]|, v20
	v_ldexp_f64 v[20:21], |v[10:11]|, v20
	s_delay_alu instid0(VALU_DEP_2) | instskip(NEXT) | instid1(VALU_DEP_1)
	v_mul_f64_e32 v[18:19], v[18:19], v[18:19]
	v_fmac_f64_e32 v[18:19], v[20:21], v[20:21]
	s_delay_alu instid0(VALU_DEP_1) | instskip(SKIP_1) | instid1(TRANS32_DEP_1)
	v_rsq_f64_e32 v[20:21], v[18:19]
	v_cmp_eq_f64_e32 vcc_lo, 0, v[18:19]
	v_mul_f64_e32 v[22:23], v[18:19], v[20:21]
	v_mul_f64_e32 v[20:21], 0.5, v[20:21]
	s_delay_alu instid0(VALU_DEP_1) | instskip(NEXT) | instid1(VALU_DEP_1)
	v_fma_f64 v[36:37], -v[20:21], v[22:23], 0.5
	v_fmac_f64_e32 v[22:23], v[22:23], v[36:37]
	v_fmac_f64_e32 v[20:21], v[20:21], v[36:37]
	s_delay_alu instid0(VALU_DEP_2) | instskip(NEXT) | instid1(VALU_DEP_1)
	v_fma_f64 v[36:37], -v[22:23], v[22:23], v[18:19]
	v_fmac_f64_e32 v[22:23], v[36:37], v[20:21]
	s_delay_alu instid0(VALU_DEP_1) | instskip(SKIP_1) | instid1(VALU_DEP_2)
	v_dual_cndmask_b32 v19, v23, v19 :: v_dual_cndmask_b32 v18, v22, v18
	v_cmp_o_f64_e32 vcc_lo, v[12:13], v[12:13]
                                        ; implicit-def: $vgpr22_vgpr23
	v_ldexp_f64 v[18:19], v[18:19], v38
	s_delay_alu instid0(VALU_DEP_1) | instskip(NEXT) | instid1(VALU_DEP_2)
	v_cndmask_b32_e32 v18, 0, v18, vcc_lo
	v_cndmask_b32_e32 v19, 0x7ff80000, v19, vcc_lo
	s_delay_alu instid0(VALU_DEP_2) | instskip(NEXT) | instid1(VALU_DEP_2)
	v_cndmask_b32_e64 v18, v18, 0, s27
	v_cndmask_b32_e64 v19, v19, 0x7ff00000, s27
	s_and_saveexec_b32 s27, s5
	s_delay_alu instid0(SALU_CYCLE_1)
	s_xor_b32 s5, exec_lo, s27
	s_cbranch_execnz .LBB295_335
; %bb.257:                              ;   in Loop: Header=BB295_169 Depth=1
	s_and_not1_saveexec_b32 s5, s5
	s_cbranch_execnz .LBB295_336
.LBB295_258:                            ;   in Loop: Header=BB295_169 Depth=1
	s_or_b32 exec_lo, exec_lo, s5
	s_and_saveexec_b32 s5, s4
	s_delay_alu instid0(SALU_CYCLE_1)
	s_xor_b32 s4, exec_lo, s5
	s_cbranch_execnz .LBB295_337
.LBB295_259:                            ;   in Loop: Header=BB295_169 Depth=1
	s_and_not1_saveexec_b32 s4, s4
	s_cbranch_execz .LBB295_261
.LBB295_260:                            ;   in Loop: Header=BB295_169 Depth=1
	s_delay_alu instid0(VALU_DEP_2) | instskip(NEXT) | instid1(VALU_DEP_2)
	v_add_f64_e32 v[22:23], v[22:23], v[22:23]
	v_add_f64_e32 v[12:13], v[12:13], v[12:13]
.LBB295_261:                            ;   in Loop: Header=BB295_169 Depth=1
	s_or_b32 exec_lo, exec_lo, s4
.LBB295_262:                            ;   in Loop: Header=BB295_169 Depth=1
	s_and_not1_saveexec_b32 s4, s25
	s_cbranch_execz .LBB295_268
; %bb.263:                              ;   in Loop: Header=BB295_169 Depth=1
	s_delay_alu instid0(VALU_DEP_1) | instskip(SKIP_1) | instid1(VALU_DEP_1)
	v_add_f64_e64 v[18:19], v[12:13], -v[12:13]
	s_mov_b32 s5, exec_lo
	v_and_b32_e32 v23, 0x7fffffff, v19
	s_delay_alu instid0(VALU_DEP_2)
	v_mov_b32_e32 v22, v18
	v_cmpx_lt_i64_e32 -1, v[10:11]
	s_xor_b32 s5, exec_lo, s5
; %bb.264:                              ;   in Loop: Header=BB295_169 Depth=1
	v_bfi_b32 v19, 0x7fffffff, v19, v13
	v_mov_b64_e32 v[22:23], v[10:11]
	s_delay_alu instid0(VALU_DEP_2)
	v_mov_b64_e32 v[12:13], v[18:19]
; %bb.265:                              ;   in Loop: Header=BB295_169 Depth=1
	s_and_not1_saveexec_b32 s5, s5
; %bb.266:                              ;   in Loop: Header=BB295_169 Depth=1
	s_delay_alu instid0(VALU_DEP_1) | instskip(NEXT) | instid1(VALU_DEP_1)
	v_bfi_b32 v11, 0x7fffffff, v11, v13
	v_mov_b64_e32 v[12:13], v[10:11]
; %bb.267:                              ;   in Loop: Header=BB295_169 Depth=1
	s_or_b32 exec_lo, exec_lo, s5
.LBB295_268:                            ;   in Loop: Header=BB295_169 Depth=1
	s_delay_alu instid0(SALU_CYCLE_1)
	s_or_b32 exec_lo, exec_lo, s4
.LBB295_269:                            ;   in Loop: Header=BB295_169 Depth=1
	s_and_not1_saveexec_b32 s4, s24
	s_cbranch_execz .LBB295_271
; %bb.270:                              ;   in Loop: Header=BB295_169 Depth=1
	s_delay_alu instid0(VALU_DEP_1) | instskip(NEXT) | instid1(VALU_DEP_1)
	v_add_f64_e64 v[12:13], v[12:13], -v[12:13]
	v_div_scale_f64 v[18:19], vcc_lo, v[12:13], v[12:13], v[12:13]
	s_delay_alu instid0(VALU_DEP_1) | instskip(SKIP_1) | instid1(TRANS32_DEP_1)
	v_rcp_f64_e32 v[20:21], v[18:19]
	v_nop
	v_fma_f64 v[22:23], -v[18:19], v[20:21], 1.0
	s_delay_alu instid0(VALU_DEP_1) | instskip(NEXT) | instid1(VALU_DEP_1)
	v_fmac_f64_e32 v[20:21], v[20:21], v[22:23]
	v_fma_f64 v[22:23], -v[18:19], v[20:21], 1.0
	s_delay_alu instid0(VALU_DEP_1) | instskip(NEXT) | instid1(VALU_DEP_1)
	v_fmac_f64_e32 v[20:21], v[20:21], v[22:23]
	v_mul_f64_e32 v[22:23], v[18:19], v[20:21]
	s_delay_alu instid0(VALU_DEP_1) | instskip(NEXT) | instid1(VALU_DEP_1)
	v_fma_f64 v[18:19], -v[18:19], v[22:23], v[18:19]
	v_div_fmas_f64 v[18:19], v[18:19], v[20:21], v[22:23]
	v_mov_b64_e32 v[22:23], v[10:11]
	s_delay_alu instid0(VALU_DEP_2)
	v_div_fixup_f64 v[12:13], v[18:19], v[12:13], v[12:13]
.LBB295_271:                            ;   in Loop: Header=BB295_169 Depth=1
	s_or_b32 exec_lo, exec_lo, s4
.LBB295_272:                            ;   in Loop: Header=BB295_169 Depth=1
	s_delay_alu instid0(SALU_CYCLE_1)
	s_or_b32 exec_lo, exec_lo, s23
.LBB295_273:                            ;   in Loop: Header=BB295_169 Depth=1
	s_delay_alu instid0(SALU_CYCLE_1) | instskip(NEXT) | instid1(VALU_DEP_1)
	s_or_b32 exec_lo, exec_lo, s22
	v_cmp_gt_f64_e32 vcc_lo, 0, v[22:23]
	v_xor_b32_e32 v11, 0x80000000, v23
	v_mov_b32_e32 v10, v22
	s_delay_alu instid0(VALU_DEP_4) | instskip(SKIP_1) | instid1(VALU_DEP_3)
	v_xor_b32_e32 v18, 0x80000000, v13
	s_mov_b32 s4, exec_lo
	v_dual_mov_b32 v36, v12 :: v_dual_cndmask_b32 v11, v23, v11
	v_cmp_gt_f64_e32 vcc_lo, 0, v[12:13]
	s_delay_alu instid0(VALU_DEP_3) | instskip(NEXT) | instid1(VALU_DEP_1)
	v_cndmask_b32_e32 v37, v13, v18, vcc_lo
                                        ; implicit-def: $vgpr20_vgpr21
	v_cmpx_ge_f64_e32 v[10:11], v[36:37]
	s_xor_b32 s5, exec_lo, s4
	s_cbranch_execz .LBB295_279
; %bb.274:                              ;   in Loop: Header=BB295_169 Depth=1
	v_cmp_neq_f64_e32 vcc_lo, 0, v[22:23]
	v_cmp_neq_f64_e64 s4, 0, v[12:13]
                                        ; implicit-def: $vgpr20_vgpr21
	s_or_b32 s4, vcc_lo, s4
	s_delay_alu instid0(SALU_CYCLE_1) | instskip(NEXT) | instid1(SALU_CYCLE_1)
	s_and_saveexec_b32 s22, s4
	s_xor_b32 s4, exec_lo, s22
	s_cbranch_execz .LBB295_276
; %bb.275:                              ;   in Loop: Header=BB295_169 Depth=1
	v_div_scale_f64 v[10:11], null, v[22:23], v[22:23], v[12:13]
	v_div_scale_f64 v[36:37], vcc_lo, v[12:13], v[22:23], v[12:13]
	s_delay_alu instid0(VALU_DEP_2) | instskip(SKIP_1) | instid1(TRANS32_DEP_1)
	v_rcp_f64_e32 v[18:19], v[10:11]
	v_nop
	v_fma_f64 v[20:21], -v[10:11], v[18:19], 1.0
	s_delay_alu instid0(VALU_DEP_1) | instskip(NEXT) | instid1(VALU_DEP_1)
	v_fmac_f64_e32 v[18:19], v[18:19], v[20:21]
	v_fma_f64 v[20:21], -v[10:11], v[18:19], 1.0
	s_delay_alu instid0(VALU_DEP_1) | instskip(NEXT) | instid1(VALU_DEP_1)
	v_fmac_f64_e32 v[18:19], v[18:19], v[20:21]
	v_mul_f64_e32 v[20:21], v[36:37], v[18:19]
	s_delay_alu instid0(VALU_DEP_1) | instskip(NEXT) | instid1(VALU_DEP_1)
	v_fma_f64 v[10:11], -v[10:11], v[20:21], v[36:37]
	v_div_fmas_f64 v[10:11], v[10:11], v[18:19], v[20:21]
	s_delay_alu instid0(VALU_DEP_1) | instskip(NEXT) | instid1(VALU_DEP_1)
	v_div_fixup_f64 v[10:11], v[10:11], v[22:23], v[12:13]
	v_fmac_f64_e32 v[22:23], v[12:13], v[10:11]
	s_delay_alu instid0(VALU_DEP_1) | instskip(SKIP_1) | instid1(VALU_DEP_2)
	v_div_scale_f64 v[12:13], null, v[22:23], v[22:23], 1.0
	v_div_scale_f64 v[36:37], vcc_lo, 1.0, v[22:23], 1.0
	v_rcp_f64_e32 v[18:19], v[12:13]
	v_nop
	s_delay_alu instid0(TRANS32_DEP_1) | instskip(NEXT) | instid1(VALU_DEP_1)
	v_fma_f64 v[20:21], -v[12:13], v[18:19], 1.0
	v_fmac_f64_e32 v[18:19], v[18:19], v[20:21]
	s_delay_alu instid0(VALU_DEP_1) | instskip(NEXT) | instid1(VALU_DEP_1)
	v_fma_f64 v[20:21], -v[12:13], v[18:19], 1.0
	v_fmac_f64_e32 v[18:19], v[18:19], v[20:21]
	s_delay_alu instid0(VALU_DEP_1) | instskip(NEXT) | instid1(VALU_DEP_1)
	v_mul_f64_e32 v[20:21], v[36:37], v[18:19]
	v_fma_f64 v[12:13], -v[12:13], v[20:21], v[36:37]
                                        ; implicit-def: $vgpr36_vgpr37
	s_delay_alu instid0(VALU_DEP_1) | instskip(SKIP_2) | instid1(VALU_DEP_3)
	v_div_fmas_f64 v[12:13], v[12:13], v[18:19], v[20:21]
	v_fma_f64 v[18:19], v[10:11], 0, 1.0
	v_add_f64_e64 v[10:11], -v[10:11], 0
	v_div_fixup_f64 v[12:13], v[12:13], v[22:23], 1.0
	s_delay_alu instid0(VALU_DEP_1) | instskip(NEXT) | instid1(VALU_DEP_3)
	v_mul_f64_e32 v[18:19], v[18:19], v[12:13]
	v_mul_f64_e32 v[20:21], v[10:11], v[12:13]
                                        ; implicit-def: $vgpr10_vgpr11
.LBB295_276:                            ;   in Loop: Header=BB295_169 Depth=1
	s_and_not1_saveexec_b32 s22, s4
	s_cbranch_execz .LBB295_278
; %bb.277:                              ;   in Loop: Header=BB295_169 Depth=1
	v_div_scale_f64 v[12:13], null, v[10:11], v[10:11], 1.0
	v_div_scale_f64 v[18:19], null, v[36:37], v[36:37], 0
	v_div_scale_f64 v[42:43], vcc_lo, 1.0, v[10:11], 1.0
	s_delay_alu instid0(VALU_DEP_3) | instskip(NEXT) | instid1(VALU_DEP_2)
	v_rcp_f64_e32 v[20:21], v[12:13]
	v_rcp_f64_e32 v[22:23], v[18:19]
	s_delay_alu instid0(TRANS32_DEP_2) | instskip(NEXT) | instid1(TRANS32_DEP_1)
	v_fma_f64 v[38:39], -v[12:13], v[20:21], 1.0
	v_fma_f64 v[40:41], -v[18:19], v[22:23], 1.0
	s_delay_alu instid0(VALU_DEP_2) | instskip(NEXT) | instid1(VALU_DEP_2)
	v_fmac_f64_e32 v[20:21], v[20:21], v[38:39]
	v_fmac_f64_e32 v[22:23], v[22:23], v[40:41]
	s_delay_alu instid0(VALU_DEP_2) | instskip(NEXT) | instid1(VALU_DEP_2)
	v_fma_f64 v[38:39], -v[12:13], v[20:21], 1.0
	v_fma_f64 v[40:41], -v[18:19], v[22:23], 1.0
	s_delay_alu instid0(VALU_DEP_2) | instskip(SKIP_1) | instid1(VALU_DEP_3)
	v_fmac_f64_e32 v[20:21], v[20:21], v[38:39]
	v_div_scale_f64 v[38:39], s4, 0, v[36:37], 0
	v_fmac_f64_e32 v[22:23], v[22:23], v[40:41]
	s_delay_alu instid0(VALU_DEP_3) | instskip(NEXT) | instid1(VALU_DEP_2)
	v_mul_f64_e32 v[40:41], v[42:43], v[20:21]
	v_mul_f64_e32 v[44:45], v[38:39], v[22:23]
	s_delay_alu instid0(VALU_DEP_2) | instskip(NEXT) | instid1(VALU_DEP_2)
	v_fma_f64 v[12:13], -v[12:13], v[40:41], v[42:43]
	v_fma_f64 v[18:19], -v[18:19], v[44:45], v[38:39]
	s_delay_alu instid0(VALU_DEP_2) | instskip(SKIP_1) | instid1(VALU_DEP_2)
	v_div_fmas_f64 v[12:13], v[12:13], v[20:21], v[40:41]
	s_mov_b32 vcc_lo, s4
	v_div_fmas_f64 v[20:21], v[18:19], v[22:23], v[44:45]
	s_delay_alu instid0(VALU_DEP_2) | instskip(NEXT) | instid1(VALU_DEP_2)
	v_div_fixup_f64 v[18:19], v[12:13], v[10:11], 1.0
	v_div_fixup_f64 v[20:21], v[20:21], v[36:37], 0
.LBB295_278:                            ;   in Loop: Header=BB295_169 Depth=1
	s_or_b32 exec_lo, exec_lo, s22
                                        ; implicit-def: $vgpr12_vgpr13
                                        ; implicit-def: $vgpr22_vgpr23
.LBB295_279:                            ;   in Loop: Header=BB295_169 Depth=1
	s_and_not1_saveexec_b32 s4, s5
	s_cbranch_execz .LBB295_281
; %bb.280:                              ;   in Loop: Header=BB295_169 Depth=1
	v_div_scale_f64 v[10:11], null, v[12:13], v[12:13], v[22:23]
	v_div_scale_f64 v[36:37], vcc_lo, v[22:23], v[12:13], v[22:23]
	s_delay_alu instid0(VALU_DEP_2) | instskip(SKIP_1) | instid1(TRANS32_DEP_1)
	v_rcp_f64_e32 v[18:19], v[10:11]
	v_nop
	v_fma_f64 v[20:21], -v[10:11], v[18:19], 1.0
	s_delay_alu instid0(VALU_DEP_1) | instskip(NEXT) | instid1(VALU_DEP_1)
	v_fmac_f64_e32 v[18:19], v[18:19], v[20:21]
	v_fma_f64 v[20:21], -v[10:11], v[18:19], 1.0
	s_delay_alu instid0(VALU_DEP_1) | instskip(NEXT) | instid1(VALU_DEP_1)
	v_fmac_f64_e32 v[18:19], v[18:19], v[20:21]
	v_mul_f64_e32 v[20:21], v[36:37], v[18:19]
	s_delay_alu instid0(VALU_DEP_1) | instskip(NEXT) | instid1(VALU_DEP_1)
	v_fma_f64 v[10:11], -v[10:11], v[20:21], v[36:37]
	v_div_fmas_f64 v[10:11], v[10:11], v[18:19], v[20:21]
	s_delay_alu instid0(VALU_DEP_1) | instskip(NEXT) | instid1(VALU_DEP_1)
	v_div_fixup_f64 v[10:11], v[10:11], v[12:13], v[22:23]
	v_fmac_f64_e32 v[12:13], v[22:23], v[10:11]
	s_delay_alu instid0(VALU_DEP_1) | instskip(SKIP_1) | instid1(VALU_DEP_2)
	v_div_scale_f64 v[18:19], null, v[12:13], v[12:13], 1.0
	v_div_scale_f64 v[36:37], vcc_lo, 1.0, v[12:13], 1.0
	v_rcp_f64_e32 v[20:21], v[18:19]
	v_nop
	s_delay_alu instid0(TRANS32_DEP_1) | instskip(NEXT) | instid1(VALU_DEP_1)
	v_fma_f64 v[22:23], -v[18:19], v[20:21], 1.0
	v_fmac_f64_e32 v[20:21], v[20:21], v[22:23]
	s_delay_alu instid0(VALU_DEP_1) | instskip(NEXT) | instid1(VALU_DEP_1)
	v_fma_f64 v[22:23], -v[18:19], v[20:21], 1.0
	v_fmac_f64_e32 v[20:21], v[20:21], v[22:23]
	s_delay_alu instid0(VALU_DEP_1) | instskip(NEXT) | instid1(VALU_DEP_1)
	v_mul_f64_e32 v[22:23], v[36:37], v[20:21]
	v_fma_f64 v[18:19], -v[18:19], v[22:23], v[36:37]
	s_delay_alu instid0(VALU_DEP_1) | instskip(SKIP_2) | instid1(VALU_DEP_3)
	v_div_fmas_f64 v[18:19], v[18:19], v[20:21], v[22:23]
	v_add_f64_e32 v[20:21], 0, v[10:11]
	v_fma_f64 v[10:11], v[10:11], 0, -1.0
	v_div_fixup_f64 v[12:13], v[18:19], v[12:13], 1.0
	s_delay_alu instid0(VALU_DEP_1) | instskip(NEXT) | instid1(VALU_DEP_3)
	v_mul_f64_e32 v[18:19], v[20:21], v[12:13]
	v_mul_f64_e32 v[20:21], v[10:11], v[12:13]
.LBB295_281:                            ;   in Loop: Header=BB295_169 Depth=1
	s_or_b32 exec_lo, exec_lo, s4
	v_cmp_neq_f64_e32 vcc_lo, 0, v[2:3]
	v_cmp_neq_f64_e64 s4, 0, v[4:5]
	v_mov_b64_e32 v[22:23], 0
	s_or_b32 s4, vcc_lo, s4
	s_delay_alu instid0(SALU_CYCLE_1)
	s_and_saveexec_b32 s22, s4
	s_cbranch_execz .LBB295_308
; %bb.282:                              ;   in Loop: Header=BB295_169 Depth=1
	v_mov_b64_e32 v[22:23], 0x7ff0000000000000
	s_mov_b32 s23, exec_lo
	v_cmpx_neq_f64_e64 0x7ff00000, |v[4:5]|
	s_cbranch_execz .LBB295_307
; %bb.283:                              ;   in Loop: Header=BB295_169 Depth=1
                                        ; implicit-def: $vgpr22_vgpr23
	s_mov_b32 s4, exec_lo
	v_cmpx_o_f64_e32 v[2:3], v[2:3]
	s_xor_b32 s24, exec_lo, s4
	s_cbranch_execz .LBB295_304
; %bb.284:                              ;   in Loop: Header=BB295_169 Depth=1
                                        ; implicit-def: $vgpr22_vgpr23
	s_mov_b32 s5, exec_lo
	v_cmpx_neq_f64_e64 0x7ff00000, |v[2:3]|
	s_xor_b32 s25, exec_lo, s5
	s_cbranch_execz .LBB295_297
; %bb.285:                              ;   in Loop: Header=BB295_169 Depth=1
	v_max_num_f64_e64 v[10:11], |v[2:3]|, |v[2:3]|
	v_max_num_f64_e64 v[12:13], |v[4:5]|, |v[4:5]|
                                        ; implicit-def: $sgpr26
	s_delay_alu instid0(VALU_DEP_1) | instskip(NEXT) | instid1(VALU_DEP_1)
	v_max_num_f64_e32 v[10:11], v[12:13], v[10:11]
	v_cmp_nle_f64_e64 s4, s[14:15], v[10:11]
	s_and_saveexec_b32 s5, s4
	s_delay_alu instid0(SALU_CYCLE_1)
	s_xor_b32 s5, exec_lo, s5
	s_cbranch_execz .LBB295_289
; %bb.286:                              ;   in Loop: Header=BB295_169 Depth=1
	v_cmp_ge_f64_e64 s26, 0x200000, |v[2:3]|
	v_cmp_ge_f64_e64 s27, 0x200000, |v[4:5]|
	s_and_b32 s28, s27, s26
	s_mov_b32 s26, 0
	s_and_saveexec_b32 s27, s28
	s_cbranch_execz .LBB295_288
; %bb.287:                              ;   in Loop: Header=BB295_169 Depth=1
	v_mul_f64_e32 v[2:3], 4.0, v[2:3]
	v_mul_f64_e32 v[4:5], 4.0, v[4:5]
	s_mov_b32 s26, exec_lo
.LBB295_288:                            ;   in Loop: Header=BB295_169 Depth=1
	s_or_b32 exec_lo, exec_lo, s27
.LBB295_289:                            ;   in Loop: Header=BB295_169 Depth=1
	s_and_not1_saveexec_b32 s5, s5
	s_cbranch_execz .LBB295_291
; %bb.290:                              ;   in Loop: Header=BB295_169 Depth=1
	s_delay_alu instid0(VALU_DEP_2) | instskip(NEXT) | instid1(VALU_DEP_2)
	v_ldexp_f64 v[2:3], v[2:3], -2
	v_ldexp_f64 v[4:5], v[4:5], -2
	s_and_not1_b32 s26, s26, exec_lo
.LBB295_291:                            ;   in Loop: Header=BB295_169 Depth=1
	s_or_b32 exec_lo, exec_lo, s5
	s_delay_alu instid0(VALU_DEP_1) | instskip(NEXT) | instid1(VALU_DEP_3)
	v_max_num_f64_e64 v[10:11], |v[4:5]|, |v[4:5]|
	v_max_num_f64_e64 v[12:13], |v[2:3]|, |v[2:3]|
	v_cmp_class_f64_e64 s27, v[2:3], 0x204
	v_cmp_class_f64_e64 s28, v[4:5], 0x204
	v_cmp_le_f64_e64 s5, 0, v[2:3]
	s_delay_alu instid0(VALU_DEP_4) | instskip(SKIP_1) | instid1(VALU_DEP_1)
	v_max_num_f64_e32 v[10:11], v[12:13], v[10:11]
	s_or_b32 s27, s28, s27
	v_frexp_exp_i32_f64_e32 v38, v[10:11]
	s_delay_alu instid0(VALU_DEP_1) | instskip(NEXT) | instid1(VALU_DEP_1)
	v_sub_nc_u32_e32 v12, 0, v38
	v_ldexp_f64 v[10:11], |v[4:5]|, v12
	v_ldexp_f64 v[12:13], |v[2:3]|, v12
	s_delay_alu instid0(VALU_DEP_2) | instskip(NEXT) | instid1(VALU_DEP_1)
	v_mul_f64_e32 v[10:11], v[10:11], v[10:11]
	v_fmac_f64_e32 v[10:11], v[12:13], v[12:13]
	s_delay_alu instid0(VALU_DEP_1) | instskip(SKIP_1) | instid1(TRANS32_DEP_1)
	v_rsq_f64_e32 v[12:13], v[10:11]
	v_cmp_eq_f64_e32 vcc_lo, 0, v[10:11]
	v_mul_f64_e32 v[22:23], v[10:11], v[12:13]
	v_mul_f64_e32 v[12:13], 0.5, v[12:13]
	s_delay_alu instid0(VALU_DEP_1) | instskip(NEXT) | instid1(VALU_DEP_1)
	v_fma_f64 v[36:37], -v[12:13], v[22:23], 0.5
	v_fmac_f64_e32 v[22:23], v[22:23], v[36:37]
	v_fmac_f64_e32 v[12:13], v[12:13], v[36:37]
	s_delay_alu instid0(VALU_DEP_2) | instskip(NEXT) | instid1(VALU_DEP_1)
	v_fma_f64 v[36:37], -v[22:23], v[22:23], v[10:11]
	v_fmac_f64_e32 v[22:23], v[36:37], v[12:13]
	s_delay_alu instid0(VALU_DEP_1) | instskip(SKIP_1) | instid1(VALU_DEP_2)
	v_dual_cndmask_b32 v11, v23, v11 :: v_dual_cndmask_b32 v10, v22, v10
	v_cmp_o_f64_e32 vcc_lo, v[4:5], v[4:5]
                                        ; implicit-def: $vgpr22_vgpr23
	v_ldexp_f64 v[10:11], v[10:11], v38
	s_delay_alu instid0(VALU_DEP_1) | instskip(NEXT) | instid1(VALU_DEP_2)
	v_cndmask_b32_e32 v10, 0, v10, vcc_lo
	v_cndmask_b32_e32 v11, 0x7ff80000, v11, vcc_lo
	s_delay_alu instid0(VALU_DEP_2) | instskip(NEXT) | instid1(VALU_DEP_2)
	v_cndmask_b32_e64 v10, v10, 0, s27
	v_cndmask_b32_e64 v11, v11, 0x7ff00000, s27
	s_and_saveexec_b32 s27, s5
	s_delay_alu instid0(SALU_CYCLE_1)
	s_xor_b32 s5, exec_lo, s27
	s_cbranch_execnz .LBB295_340
; %bb.292:                              ;   in Loop: Header=BB295_169 Depth=1
	s_and_not1_saveexec_b32 s5, s5
	s_cbranch_execnz .LBB295_341
.LBB295_293:                            ;   in Loop: Header=BB295_169 Depth=1
	s_or_b32 exec_lo, exec_lo, s5
	s_and_saveexec_b32 s5, s4
	s_delay_alu instid0(SALU_CYCLE_1)
	s_xor_b32 s4, exec_lo, s5
	s_cbranch_execnz .LBB295_342
.LBB295_294:                            ;   in Loop: Header=BB295_169 Depth=1
	s_and_not1_saveexec_b32 s4, s4
	s_cbranch_execz .LBB295_296
.LBB295_295:                            ;   in Loop: Header=BB295_169 Depth=1
	s_delay_alu instid0(VALU_DEP_2) | instskip(NEXT) | instid1(VALU_DEP_2)
	v_add_f64_e32 v[22:23], v[22:23], v[22:23]
	v_add_f64_e32 v[4:5], v[4:5], v[4:5]
.LBB295_296:                            ;   in Loop: Header=BB295_169 Depth=1
	s_or_b32 exec_lo, exec_lo, s4
.LBB295_297:                            ;   in Loop: Header=BB295_169 Depth=1
	s_and_not1_saveexec_b32 s4, s25
	s_cbranch_execz .LBB295_303
; %bb.298:                              ;   in Loop: Header=BB295_169 Depth=1
	s_delay_alu instid0(VALU_DEP_1) | instskip(SKIP_1) | instid1(VALU_DEP_1)
	v_add_f64_e64 v[10:11], v[4:5], -v[4:5]
	s_mov_b32 s5, exec_lo
	v_and_b32_e32 v23, 0x7fffffff, v11
	s_delay_alu instid0(VALU_DEP_2)
	v_mov_b32_e32 v22, v10
	v_cmpx_lt_i64_e32 -1, v[2:3]
	s_xor_b32 s5, exec_lo, s5
; %bb.299:                              ;   in Loop: Header=BB295_169 Depth=1
	v_bfi_b32 v11, 0x7fffffff, v11, v5
	v_mov_b64_e32 v[22:23], v[2:3]
	s_delay_alu instid0(VALU_DEP_2)
	v_mov_b64_e32 v[4:5], v[10:11]
; %bb.300:                              ;   in Loop: Header=BB295_169 Depth=1
	s_and_not1_saveexec_b32 s5, s5
; %bb.301:                              ;   in Loop: Header=BB295_169 Depth=1
	s_delay_alu instid0(VALU_DEP_1) | instskip(NEXT) | instid1(VALU_DEP_1)
	v_bfi_b32 v3, 0x7fffffff, v3, v5
	v_mov_b64_e32 v[4:5], v[2:3]
; %bb.302:                              ;   in Loop: Header=BB295_169 Depth=1
	s_or_b32 exec_lo, exec_lo, s5
.LBB295_303:                            ;   in Loop: Header=BB295_169 Depth=1
	s_delay_alu instid0(SALU_CYCLE_1)
	s_or_b32 exec_lo, exec_lo, s4
.LBB295_304:                            ;   in Loop: Header=BB295_169 Depth=1
	s_and_not1_saveexec_b32 s4, s24
	s_cbranch_execz .LBB295_306
; %bb.305:                              ;   in Loop: Header=BB295_169 Depth=1
	s_delay_alu instid0(VALU_DEP_1) | instskip(NEXT) | instid1(VALU_DEP_1)
	v_add_f64_e64 v[4:5], v[4:5], -v[4:5]
	v_div_scale_f64 v[10:11], vcc_lo, v[4:5], v[4:5], v[4:5]
	s_delay_alu instid0(VALU_DEP_1) | instskip(SKIP_1) | instid1(TRANS32_DEP_1)
	v_rcp_f64_e32 v[12:13], v[10:11]
	v_nop
	v_fma_f64 v[22:23], -v[10:11], v[12:13], 1.0
	s_delay_alu instid0(VALU_DEP_1) | instskip(NEXT) | instid1(VALU_DEP_1)
	v_fmac_f64_e32 v[12:13], v[12:13], v[22:23]
	v_fma_f64 v[22:23], -v[10:11], v[12:13], 1.0
	s_delay_alu instid0(VALU_DEP_1) | instskip(NEXT) | instid1(VALU_DEP_1)
	v_fmac_f64_e32 v[12:13], v[12:13], v[22:23]
	v_mul_f64_e32 v[22:23], v[10:11], v[12:13]
	s_delay_alu instid0(VALU_DEP_1) | instskip(NEXT) | instid1(VALU_DEP_1)
	v_fma_f64 v[10:11], -v[10:11], v[22:23], v[10:11]
	v_div_fmas_f64 v[10:11], v[10:11], v[12:13], v[22:23]
	v_mov_b64_e32 v[22:23], v[2:3]
	s_delay_alu instid0(VALU_DEP_2)
	v_div_fixup_f64 v[4:5], v[10:11], v[4:5], v[4:5]
.LBB295_306:                            ;   in Loop: Header=BB295_169 Depth=1
	s_or_b32 exec_lo, exec_lo, s4
.LBB295_307:                            ;   in Loop: Header=BB295_169 Depth=1
	s_delay_alu instid0(SALU_CYCLE_1)
	s_or_b32 exec_lo, exec_lo, s23
.LBB295_308:                            ;   in Loop: Header=BB295_169 Depth=1
	s_delay_alu instid0(SALU_CYCLE_1) | instskip(NEXT) | instid1(VALU_DEP_1)
	s_or_b32 exec_lo, exec_lo, s22
	v_cmp_gt_f64_e32 vcc_lo, 0, v[22:23]
	v_xor_b32_e32 v3, 0x80000000, v23
	v_mov_b32_e32 v2, v22
	s_delay_alu instid0(VALU_DEP_4) | instskip(SKIP_1) | instid1(VALU_DEP_3)
	v_xor_b32_e32 v10, 0x80000000, v5
	s_mov_b32 s4, exec_lo
	v_dual_mov_b32 v36, v4 :: v_dual_cndmask_b32 v3, v23, v3
	v_cmp_gt_f64_e32 vcc_lo, 0, v[4:5]
	s_delay_alu instid0(VALU_DEP_3) | instskip(NEXT) | instid1(VALU_DEP_1)
	v_cndmask_b32_e32 v37, v5, v10, vcc_lo
                                        ; implicit-def: $vgpr12_vgpr13
	v_cmpx_ge_f64_e32 v[2:3], v[36:37]
	s_xor_b32 s5, exec_lo, s4
	s_cbranch_execnz .LBB295_314
; %bb.309:                              ;   in Loop: Header=BB295_169 Depth=1
	s_and_not1_saveexec_b32 s4, s5
	s_cbranch_execnz .LBB295_319
.LBB295_310:                            ;   in Loop: Header=BB295_169 Depth=1
	s_or_b32 exec_lo, exec_lo, s4
	s_and_saveexec_b32 s4, s0
	s_delay_alu instid0(SALU_CYCLE_1)
	s_xor_b32 s0, exec_lo, s4
	s_cbranch_execnz .LBB295_320
.LBB295_311:                            ;   in Loop: Header=BB295_169 Depth=1
	s_or_b32 exec_lo, exec_lo, s0
	s_and_saveexec_b32 s0, s1
	s_cbranch_execnz .LBB295_321
.LBB295_312:                            ;   in Loop: Header=BB295_169 Depth=1
	s_or_b32 exec_lo, exec_lo, s0
	s_and_saveexec_b32 s0, s2
	s_cbranch_execnz .LBB295_322
.LBB295_313:                            ;   in Loop: Header=BB295_169 Depth=1
	s_or_b32 exec_lo, exec_lo, s0
	s_and_saveexec_b32 s0, s3
	s_cbranch_execz .LBB295_168
	s_branch .LBB295_323
.LBB295_314:                            ;   in Loop: Header=BB295_169 Depth=1
	v_cmp_neq_f64_e32 vcc_lo, 0, v[22:23]
	v_cmp_neq_f64_e64 s4, 0, v[4:5]
                                        ; implicit-def: $vgpr12_vgpr13
	s_or_b32 s4, vcc_lo, s4
	s_delay_alu instid0(SALU_CYCLE_1) | instskip(NEXT) | instid1(SALU_CYCLE_1)
	s_and_saveexec_b32 s22, s4
	s_xor_b32 s4, exec_lo, s22
	s_cbranch_execz .LBB295_316
; %bb.315:                              ;   in Loop: Header=BB295_169 Depth=1
	v_div_scale_f64 v[2:3], null, v[22:23], v[22:23], v[4:5]
	v_div_scale_f64 v[36:37], vcc_lo, v[4:5], v[22:23], v[4:5]
	s_delay_alu instid0(VALU_DEP_2) | instskip(SKIP_1) | instid1(TRANS32_DEP_1)
	v_rcp_f64_e32 v[10:11], v[2:3]
	v_nop
	v_fma_f64 v[12:13], -v[2:3], v[10:11], 1.0
	s_delay_alu instid0(VALU_DEP_1) | instskip(NEXT) | instid1(VALU_DEP_1)
	v_fmac_f64_e32 v[10:11], v[10:11], v[12:13]
	v_fma_f64 v[12:13], -v[2:3], v[10:11], 1.0
	s_delay_alu instid0(VALU_DEP_1) | instskip(NEXT) | instid1(VALU_DEP_1)
	v_fmac_f64_e32 v[10:11], v[10:11], v[12:13]
	v_mul_f64_e32 v[12:13], v[36:37], v[10:11]
	s_delay_alu instid0(VALU_DEP_1) | instskip(NEXT) | instid1(VALU_DEP_1)
	v_fma_f64 v[2:3], -v[2:3], v[12:13], v[36:37]
	v_div_fmas_f64 v[2:3], v[2:3], v[10:11], v[12:13]
	s_delay_alu instid0(VALU_DEP_1) | instskip(NEXT) | instid1(VALU_DEP_1)
	v_div_fixup_f64 v[2:3], v[2:3], v[22:23], v[4:5]
	v_fmac_f64_e32 v[22:23], v[4:5], v[2:3]
	s_delay_alu instid0(VALU_DEP_1) | instskip(SKIP_1) | instid1(VALU_DEP_2)
	v_div_scale_f64 v[4:5], null, v[22:23], v[22:23], 1.0
	v_div_scale_f64 v[36:37], vcc_lo, 1.0, v[22:23], 1.0
	v_rcp_f64_e32 v[10:11], v[4:5]
	v_nop
	s_delay_alu instid0(TRANS32_DEP_1) | instskip(NEXT) | instid1(VALU_DEP_1)
	v_fma_f64 v[12:13], -v[4:5], v[10:11], 1.0
	v_fmac_f64_e32 v[10:11], v[10:11], v[12:13]
	s_delay_alu instid0(VALU_DEP_1) | instskip(NEXT) | instid1(VALU_DEP_1)
	v_fma_f64 v[12:13], -v[4:5], v[10:11], 1.0
	v_fmac_f64_e32 v[10:11], v[10:11], v[12:13]
	s_delay_alu instid0(VALU_DEP_1) | instskip(NEXT) | instid1(VALU_DEP_1)
	v_mul_f64_e32 v[12:13], v[36:37], v[10:11]
	v_fma_f64 v[4:5], -v[4:5], v[12:13], v[36:37]
                                        ; implicit-def: $vgpr36_vgpr37
	s_delay_alu instid0(VALU_DEP_1) | instskip(SKIP_2) | instid1(VALU_DEP_3)
	v_div_fmas_f64 v[4:5], v[4:5], v[10:11], v[12:13]
	v_fma_f64 v[10:11], v[2:3], 0, 1.0
	v_add_f64_e64 v[2:3], -v[2:3], 0
	v_div_fixup_f64 v[4:5], v[4:5], v[22:23], 1.0
	s_delay_alu instid0(VALU_DEP_1) | instskip(NEXT) | instid1(VALU_DEP_3)
	v_mul_f64_e32 v[10:11], v[10:11], v[4:5]
	v_mul_f64_e32 v[12:13], v[2:3], v[4:5]
                                        ; implicit-def: $vgpr2_vgpr3
.LBB295_316:                            ;   in Loop: Header=BB295_169 Depth=1
	s_and_not1_saveexec_b32 s22, s4
	s_cbranch_execz .LBB295_318
; %bb.317:                              ;   in Loop: Header=BB295_169 Depth=1
	v_div_scale_f64 v[4:5], null, v[2:3], v[2:3], 1.0
	v_div_scale_f64 v[10:11], null, v[36:37], v[36:37], 0
	v_div_scale_f64 v[42:43], vcc_lo, 1.0, v[2:3], 1.0
	s_delay_alu instid0(VALU_DEP_3) | instskip(NEXT) | instid1(VALU_DEP_2)
	v_rcp_f64_e32 v[12:13], v[4:5]
	v_rcp_f64_e32 v[22:23], v[10:11]
	s_delay_alu instid0(TRANS32_DEP_2) | instskip(NEXT) | instid1(TRANS32_DEP_1)
	v_fma_f64 v[38:39], -v[4:5], v[12:13], 1.0
	v_fma_f64 v[40:41], -v[10:11], v[22:23], 1.0
	s_delay_alu instid0(VALU_DEP_2) | instskip(NEXT) | instid1(VALU_DEP_2)
	v_fmac_f64_e32 v[12:13], v[12:13], v[38:39]
	v_fmac_f64_e32 v[22:23], v[22:23], v[40:41]
	s_delay_alu instid0(VALU_DEP_2) | instskip(NEXT) | instid1(VALU_DEP_2)
	v_fma_f64 v[38:39], -v[4:5], v[12:13], 1.0
	v_fma_f64 v[40:41], -v[10:11], v[22:23], 1.0
	s_delay_alu instid0(VALU_DEP_2) | instskip(SKIP_1) | instid1(VALU_DEP_3)
	v_fmac_f64_e32 v[12:13], v[12:13], v[38:39]
	v_div_scale_f64 v[38:39], s4, 0, v[36:37], 0
	v_fmac_f64_e32 v[22:23], v[22:23], v[40:41]
	s_delay_alu instid0(VALU_DEP_3) | instskip(NEXT) | instid1(VALU_DEP_2)
	v_mul_f64_e32 v[40:41], v[42:43], v[12:13]
	v_mul_f64_e32 v[44:45], v[38:39], v[22:23]
	s_delay_alu instid0(VALU_DEP_2) | instskip(NEXT) | instid1(VALU_DEP_2)
	v_fma_f64 v[4:5], -v[4:5], v[40:41], v[42:43]
	v_fma_f64 v[10:11], -v[10:11], v[44:45], v[38:39]
	s_delay_alu instid0(VALU_DEP_2) | instskip(SKIP_1) | instid1(VALU_DEP_2)
	v_div_fmas_f64 v[4:5], v[4:5], v[12:13], v[40:41]
	s_mov_b32 vcc_lo, s4
	v_div_fmas_f64 v[12:13], v[10:11], v[22:23], v[44:45]
	s_delay_alu instid0(VALU_DEP_2) | instskip(NEXT) | instid1(VALU_DEP_2)
	v_div_fixup_f64 v[10:11], v[4:5], v[2:3], 1.0
	v_div_fixup_f64 v[12:13], v[12:13], v[36:37], 0
.LBB295_318:                            ;   in Loop: Header=BB295_169 Depth=1
	s_or_b32 exec_lo, exec_lo, s22
                                        ; implicit-def: $vgpr4_vgpr5
                                        ; implicit-def: $vgpr22_vgpr23
	s_and_not1_saveexec_b32 s4, s5
	s_cbranch_execz .LBB295_310
.LBB295_319:                            ;   in Loop: Header=BB295_169 Depth=1
	v_div_scale_f64 v[2:3], null, v[4:5], v[4:5], v[22:23]
	v_div_scale_f64 v[36:37], vcc_lo, v[22:23], v[4:5], v[22:23]
	s_delay_alu instid0(VALU_DEP_2) | instskip(SKIP_1) | instid1(TRANS32_DEP_1)
	v_rcp_f64_e32 v[10:11], v[2:3]
	v_nop
	v_fma_f64 v[12:13], -v[2:3], v[10:11], 1.0
	s_delay_alu instid0(VALU_DEP_1) | instskip(NEXT) | instid1(VALU_DEP_1)
	v_fmac_f64_e32 v[10:11], v[10:11], v[12:13]
	v_fma_f64 v[12:13], -v[2:3], v[10:11], 1.0
	s_delay_alu instid0(VALU_DEP_1) | instskip(NEXT) | instid1(VALU_DEP_1)
	v_fmac_f64_e32 v[10:11], v[10:11], v[12:13]
	v_mul_f64_e32 v[12:13], v[36:37], v[10:11]
	s_delay_alu instid0(VALU_DEP_1) | instskip(NEXT) | instid1(VALU_DEP_1)
	v_fma_f64 v[2:3], -v[2:3], v[12:13], v[36:37]
	v_div_fmas_f64 v[2:3], v[2:3], v[10:11], v[12:13]
	s_delay_alu instid0(VALU_DEP_1) | instskip(NEXT) | instid1(VALU_DEP_1)
	v_div_fixup_f64 v[2:3], v[2:3], v[4:5], v[22:23]
	v_fmac_f64_e32 v[4:5], v[22:23], v[2:3]
	s_delay_alu instid0(VALU_DEP_1) | instskip(SKIP_1) | instid1(VALU_DEP_2)
	v_div_scale_f64 v[10:11], null, v[4:5], v[4:5], 1.0
	v_div_scale_f64 v[36:37], vcc_lo, 1.0, v[4:5], 1.0
	v_rcp_f64_e32 v[12:13], v[10:11]
	v_nop
	s_delay_alu instid0(TRANS32_DEP_1) | instskip(NEXT) | instid1(VALU_DEP_1)
	v_fma_f64 v[22:23], -v[10:11], v[12:13], 1.0
	v_fmac_f64_e32 v[12:13], v[12:13], v[22:23]
	s_delay_alu instid0(VALU_DEP_1) | instskip(NEXT) | instid1(VALU_DEP_1)
	v_fma_f64 v[22:23], -v[10:11], v[12:13], 1.0
	v_fmac_f64_e32 v[12:13], v[12:13], v[22:23]
	s_delay_alu instid0(VALU_DEP_1) | instskip(NEXT) | instid1(VALU_DEP_1)
	v_mul_f64_e32 v[22:23], v[36:37], v[12:13]
	v_fma_f64 v[10:11], -v[10:11], v[22:23], v[36:37]
	s_delay_alu instid0(VALU_DEP_1) | instskip(SKIP_2) | instid1(VALU_DEP_3)
	v_div_fmas_f64 v[10:11], v[10:11], v[12:13], v[22:23]
	v_add_f64_e32 v[12:13], 0, v[2:3]
	v_fma_f64 v[2:3], v[2:3], 0, -1.0
	v_div_fixup_f64 v[4:5], v[10:11], v[4:5], 1.0
	s_delay_alu instid0(VALU_DEP_1) | instskip(NEXT) | instid1(VALU_DEP_3)
	v_mul_f64_e32 v[10:11], v[12:13], v[4:5]
	v_mul_f64_e32 v[12:13], v[2:3], v[4:5]
	s_or_b32 exec_lo, exec_lo, s4
	s_and_saveexec_b32 s4, s0
	s_delay_alu instid0(SALU_CYCLE_1)
	s_xor_b32 s0, exec_lo, s4
	s_cbranch_execz .LBB295_311
.LBB295_320:                            ;   in Loop: Header=BB295_169 Depth=1
	v_lshl_add_u64 v[2:3], v[28:29], 4, s[8:9]
	global_store_b128 v[2:3], v[6:9], off
	s_wait_xcnt 0x0
	s_or_b32 exec_lo, exec_lo, s0
	s_and_saveexec_b32 s0, s1
	s_cbranch_execz .LBB295_312
.LBB295_321:                            ;   in Loop: Header=BB295_169 Depth=1
	v_lshl_add_u64 v[2:3], v[30:31], 4, s[8:9]
	global_store_b128 v[2:3], v[14:17], off
	s_wait_xcnt 0x0
	s_or_b32 exec_lo, exec_lo, s0
	s_and_saveexec_b32 s0, s2
	s_cbranch_execz .LBB295_313
.LBB295_322:                            ;   in Loop: Header=BB295_169 Depth=1
	v_lshl_add_u64 v[2:3], v[32:33], 4, s[8:9]
	global_store_b128 v[2:3], v[18:21], off
	s_wait_xcnt 0x0
	s_or_b32 exec_lo, exec_lo, s0
	s_and_saveexec_b32 s0, s3
	s_cbranch_execz .LBB295_168
.LBB295_323:                            ;   in Loop: Header=BB295_169 Depth=1
	v_lshl_add_u64 v[2:3], v[34:35], 4, s[8:9]
	global_store_b128 v[2:3], v[10:13], off
	s_branch .LBB295_168
.LBB295_324:                            ;   in Loop: Header=BB295_169 Depth=1
	s_or_b32 exec_lo, exec_lo, s4
	s_and_not1_saveexec_b32 s4, s24
	s_cbranch_execnz .LBB295_200
	s_branch .LBB295_201
.LBB295_325:                            ;   in Loop: Header=BB295_169 Depth=1
	s_delay_alu instid0(VALU_DEP_1) | instskip(NEXT) | instid1(VALU_DEP_1)
	v_add_f64_e32 v[6:7], v[20:21], v[6:7]
	v_mul_f64_e32 v[6:7], 0.5, v[6:7]
	s_delay_alu instid0(VALU_DEP_1) | instskip(SKIP_1) | instid1(VALU_DEP_1)
	v_cmp_gt_f64_e32 vcc_lo, 0x10000000, v[6:7]
	v_cndmask_b32_e64 v8, 0, 0x100, vcc_lo
	v_ldexp_f64 v[6:7], v[6:7], v8
	s_delay_alu instid0(VALU_DEP_1) | instskip(SKIP_1) | instid1(TRANS32_DEP_1)
	v_rsq_f64_e32 v[8:9], v[6:7]
	v_nop
	v_mul_f64_e32 v[14:15], v[6:7], v[8:9]
	v_mul_f64_e32 v[8:9], 0.5, v[8:9]
	s_delay_alu instid0(VALU_DEP_1) | instskip(NEXT) | instid1(VALU_DEP_1)
	v_fma_f64 v[20:21], -v[8:9], v[14:15], 0.5
	v_fmac_f64_e32 v[14:15], v[14:15], v[20:21]
	v_fmac_f64_e32 v[8:9], v[8:9], v[20:21]
	s_delay_alu instid0(VALU_DEP_2) | instskip(NEXT) | instid1(VALU_DEP_1)
	v_fma_f64 v[20:21], -v[14:15], v[14:15], v[6:7]
	v_fmac_f64_e32 v[14:15], v[20:21], v[8:9]
	s_delay_alu instid0(VALU_DEP_1) | instskip(NEXT) | instid1(VALU_DEP_1)
	v_fma_f64 v[20:21], -v[14:15], v[14:15], v[6:7]
	v_fmac_f64_e32 v[14:15], v[20:21], v[8:9]
	v_cndmask_b32_e64 v8, 0, 0xffffff80, vcc_lo
	v_cmp_class_f64_e64 vcc_lo, v[6:7], 0x260
	s_delay_alu instid0(VALU_DEP_2) | instskip(NEXT) | instid1(VALU_DEP_1)
	v_ldexp_f64 v[8:9], v[14:15], v8
	v_dual_cndmask_b32 v15, v9, v7 :: v_dual_cndmask_b32 v14, v8, v6
	s_delay_alu instid0(VALU_DEP_1) | instskip(NEXT) | instid1(VALU_DEP_1)
	v_add_f64_e32 v[6:7], v[14:15], v[14:15]
	v_div_scale_f64 v[8:9], null, v[6:7], v[6:7], v[22:23]
	s_delay_alu instid0(VALU_DEP_1) | instskip(SKIP_1) | instid1(TRANS32_DEP_1)
	v_rcp_f64_e32 v[20:21], v[8:9]
	v_nop
	v_fma_f64 v[36:37], -v[8:9], v[20:21], 1.0
	s_delay_alu instid0(VALU_DEP_1) | instskip(NEXT) | instid1(VALU_DEP_1)
	v_fmac_f64_e32 v[20:21], v[20:21], v[36:37]
	v_fma_f64 v[36:37], -v[8:9], v[20:21], 1.0
	s_delay_alu instid0(VALU_DEP_1) | instskip(SKIP_1) | instid1(VALU_DEP_1)
	v_fmac_f64_e32 v[20:21], v[20:21], v[36:37]
	v_div_scale_f64 v[36:37], vcc_lo, v[22:23], v[6:7], v[22:23]
	v_mul_f64_e32 v[38:39], v[36:37], v[20:21]
	s_delay_alu instid0(VALU_DEP_1) | instskip(NEXT) | instid1(VALU_DEP_1)
	v_fma_f64 v[8:9], -v[8:9], v[38:39], v[36:37]
	v_div_fmas_f64 v[8:9], v[8:9], v[20:21], v[38:39]
	s_delay_alu instid0(VALU_DEP_1)
	v_div_fixup_f64 v[22:23], v[8:9], v[6:7], v[22:23]
                                        ; implicit-def: $vgpr6_vgpr7
	s_and_not1_saveexec_b32 s5, s5
	s_cbranch_execz .LBB295_189
.LBB295_326:                            ;   in Loop: Header=BB295_169 Depth=1
	v_add_f64_e64 v[6:7], v[6:7], -v[20:21]
	s_delay_alu instid0(VALU_DEP_1) | instskip(NEXT) | instid1(VALU_DEP_1)
	v_mul_f64_e32 v[6:7], 0.5, v[6:7]
	v_cmp_gt_f64_e32 vcc_lo, 0x10000000, v[6:7]
	v_cndmask_b32_e64 v8, 0, 0x100, vcc_lo
	s_delay_alu instid0(VALU_DEP_1) | instskip(NEXT) | instid1(VALU_DEP_1)
	v_ldexp_f64 v[6:7], v[6:7], v8
	v_rsq_f64_e32 v[8:9], v[6:7]
	v_nop
	s_delay_alu instid0(TRANS32_DEP_1) | instskip(SKIP_1) | instid1(VALU_DEP_1)
	v_mul_f64_e32 v[14:15], v[6:7], v[8:9]
	v_mul_f64_e32 v[8:9], 0.5, v[8:9]
	v_fma_f64 v[20:21], -v[8:9], v[14:15], 0.5
	s_delay_alu instid0(VALU_DEP_1) | instskip(SKIP_1) | instid1(VALU_DEP_2)
	v_fmac_f64_e32 v[14:15], v[14:15], v[20:21]
	v_fmac_f64_e32 v[8:9], v[8:9], v[20:21]
	v_fma_f64 v[20:21], -v[14:15], v[14:15], v[6:7]
	s_delay_alu instid0(VALU_DEP_1) | instskip(NEXT) | instid1(VALU_DEP_1)
	v_fmac_f64_e32 v[14:15], v[20:21], v[8:9]
	v_fma_f64 v[20:21], -v[14:15], v[14:15], v[6:7]
	s_delay_alu instid0(VALU_DEP_1) | instskip(SKIP_2) | instid1(VALU_DEP_2)
	v_fmac_f64_e32 v[14:15], v[20:21], v[8:9]
	v_cndmask_b32_e64 v8, 0, 0xffffff80, vcc_lo
	v_cmp_class_f64_e64 vcc_lo, v[6:7], 0x260
	v_ldexp_f64 v[8:9], v[14:15], v8
	v_and_b32_e32 v15, 0x7fffffff, v23
	s_delay_alu instid0(VALU_DEP_2) | instskip(NEXT) | instid1(VALU_DEP_3)
	v_dual_mov_b32 v14, v22 :: v_dual_cndmask_b32 v7, v9, v7
	v_cndmask_b32_e32 v6, v8, v6, vcc_lo
	s_delay_alu instid0(VALU_DEP_1) | instskip(SKIP_1) | instid1(VALU_DEP_2)
	v_add_f64_e32 v[8:9], v[6:7], v[6:7]
	v_bfi_b32 v7, 0x7fffffff, v7, v23
	v_div_scale_f64 v[20:21], null, v[8:9], v[8:9], v[14:15]
	v_div_scale_f64 v[14:15], vcc_lo, v[14:15], v[8:9], v[14:15]
	s_delay_alu instid0(VALU_DEP_2) | instskip(SKIP_1) | instid1(TRANS32_DEP_1)
	v_rcp_f64_e32 v[36:37], v[20:21]
	v_nop
	v_fma_f64 v[38:39], -v[20:21], v[36:37], 1.0
	s_delay_alu instid0(VALU_DEP_1) | instskip(NEXT) | instid1(VALU_DEP_1)
	v_fmac_f64_e32 v[36:37], v[36:37], v[38:39]
	v_fma_f64 v[38:39], -v[20:21], v[36:37], 1.0
	s_delay_alu instid0(VALU_DEP_1) | instskip(NEXT) | instid1(VALU_DEP_1)
	v_fmac_f64_e32 v[36:37], v[36:37], v[38:39]
	v_mul_f64_e32 v[38:39], v[14:15], v[36:37]
	s_delay_alu instid0(VALU_DEP_1) | instskip(NEXT) | instid1(VALU_DEP_1)
	v_fma_f64 v[14:15], -v[20:21], v[38:39], v[14:15]
	v_div_fmas_f64 v[14:15], v[14:15], v[36:37], v[38:39]
	s_delay_alu instid0(VALU_DEP_1) | instskip(SKIP_3) | instid1(SALU_CYCLE_1)
	v_div_fixup_f64 v[14:15], v[14:15], v[8:9], |v[22:23]|
	v_mov_b64_e32 v[22:23], v[6:7]
	s_or_b32 exec_lo, exec_lo, s5
	s_and_saveexec_b32 s5, s4
	s_xor_b32 s4, exec_lo, s5
	s_cbranch_execz .LBB295_190
.LBB295_327:                            ;   in Loop: Header=BB295_169 Depth=1
	s_and_saveexec_b32 s5, s26
	s_cbranch_execz .LBB295_329
; %bb.328:                              ;   in Loop: Header=BB295_169 Depth=1
	s_delay_alu instid0(VALU_DEP_2) | instskip(NEXT) | instid1(VALU_DEP_2)
	v_mul_f64_e32 v[14:15], 0.5, v[14:15]
	v_mul_f64_e32 v[22:23], 0.5, v[22:23]
.LBB295_329:                            ;   in Loop: Header=BB295_169 Depth=1
	s_or_b32 exec_lo, exec_lo, s5
	s_and_not1_saveexec_b32 s4, s4
	s_cbranch_execnz .LBB295_191
	s_branch .LBB295_192
.LBB295_330:                            ;   in Loop: Header=BB295_169 Depth=1
	s_delay_alu instid0(VALU_DEP_1) | instskip(NEXT) | instid1(VALU_DEP_1)
	v_add_f64_e32 v[14:15], v[16:17], v[14:15]
	v_mul_f64_e32 v[14:15], 0.5, v[14:15]
	s_delay_alu instid0(VALU_DEP_1) | instskip(SKIP_1) | instid1(VALU_DEP_1)
	v_cmp_gt_f64_e32 vcc_lo, 0x10000000, v[14:15]
	v_cndmask_b32_e64 v16, 0, 0x100, vcc_lo
	v_ldexp_f64 v[14:15], v[14:15], v16
	s_delay_alu instid0(VALU_DEP_1) | instskip(SKIP_1) | instid1(TRANS32_DEP_1)
	v_rsq_f64_e32 v[16:17], v[14:15]
	v_nop
	v_mul_f64_e32 v[20:21], v[14:15], v[16:17]
	v_mul_f64_e32 v[16:17], 0.5, v[16:17]
	s_delay_alu instid0(VALU_DEP_1) | instskip(NEXT) | instid1(VALU_DEP_1)
	v_fma_f64 v[22:23], -v[16:17], v[20:21], 0.5
	v_fmac_f64_e32 v[20:21], v[20:21], v[22:23]
	v_fmac_f64_e32 v[16:17], v[16:17], v[22:23]
	s_delay_alu instid0(VALU_DEP_2) | instskip(NEXT) | instid1(VALU_DEP_1)
	v_fma_f64 v[22:23], -v[20:21], v[20:21], v[14:15]
	v_fmac_f64_e32 v[20:21], v[22:23], v[16:17]
	s_delay_alu instid0(VALU_DEP_1) | instskip(NEXT) | instid1(VALU_DEP_1)
	v_fma_f64 v[22:23], -v[20:21], v[20:21], v[14:15]
	v_fmac_f64_e32 v[20:21], v[22:23], v[16:17]
	v_cndmask_b32_e64 v16, 0, 0xffffff80, vcc_lo
	v_cmp_class_f64_e64 vcc_lo, v[14:15], 0x260
	s_delay_alu instid0(VALU_DEP_2) | instskip(NEXT) | instid1(VALU_DEP_1)
	v_ldexp_f64 v[16:17], v[20:21], v16
	v_dual_cndmask_b32 v21, v17, v15 :: v_dual_cndmask_b32 v20, v16, v14
	s_delay_alu instid0(VALU_DEP_1) | instskip(NEXT) | instid1(VALU_DEP_1)
	v_add_f64_e32 v[14:15], v[20:21], v[20:21]
	v_div_scale_f64 v[16:17], null, v[14:15], v[14:15], v[18:19]
	s_delay_alu instid0(VALU_DEP_1) | instskip(SKIP_1) | instid1(TRANS32_DEP_1)
	v_rcp_f64_e32 v[22:23], v[16:17]
	v_nop
	v_fma_f64 v[36:37], -v[16:17], v[22:23], 1.0
	s_delay_alu instid0(VALU_DEP_1) | instskip(NEXT) | instid1(VALU_DEP_1)
	v_fmac_f64_e32 v[22:23], v[22:23], v[36:37]
	v_fma_f64 v[36:37], -v[16:17], v[22:23], 1.0
	s_delay_alu instid0(VALU_DEP_1) | instskip(SKIP_1) | instid1(VALU_DEP_1)
	v_fmac_f64_e32 v[22:23], v[22:23], v[36:37]
	v_div_scale_f64 v[36:37], vcc_lo, v[18:19], v[14:15], v[18:19]
	v_mul_f64_e32 v[38:39], v[36:37], v[22:23]
	s_delay_alu instid0(VALU_DEP_1) | instskip(NEXT) | instid1(VALU_DEP_1)
	v_fma_f64 v[16:17], -v[16:17], v[38:39], v[36:37]
	v_div_fmas_f64 v[16:17], v[16:17], v[22:23], v[38:39]
	s_delay_alu instid0(VALU_DEP_1)
	v_div_fixup_f64 v[18:19], v[16:17], v[14:15], v[18:19]
                                        ; implicit-def: $vgpr14_vgpr15
	s_and_not1_saveexec_b32 s5, s5
	s_cbranch_execz .LBB295_223
.LBB295_331:                            ;   in Loop: Header=BB295_169 Depth=1
	v_add_f64_e64 v[14:15], v[14:15], -v[16:17]
	s_delay_alu instid0(VALU_DEP_1) | instskip(NEXT) | instid1(VALU_DEP_1)
	v_mul_f64_e32 v[14:15], 0.5, v[14:15]
	v_cmp_gt_f64_e32 vcc_lo, 0x10000000, v[14:15]
	v_cndmask_b32_e64 v16, 0, 0x100, vcc_lo
	s_delay_alu instid0(VALU_DEP_1) | instskip(NEXT) | instid1(VALU_DEP_1)
	v_ldexp_f64 v[14:15], v[14:15], v16
	v_rsq_f64_e32 v[16:17], v[14:15]
	v_nop
	s_delay_alu instid0(TRANS32_DEP_1) | instskip(SKIP_1) | instid1(VALU_DEP_1)
	v_mul_f64_e32 v[20:21], v[14:15], v[16:17]
	v_mul_f64_e32 v[16:17], 0.5, v[16:17]
	v_fma_f64 v[22:23], -v[16:17], v[20:21], 0.5
	s_delay_alu instid0(VALU_DEP_1) | instskip(SKIP_1) | instid1(VALU_DEP_2)
	v_fmac_f64_e32 v[20:21], v[20:21], v[22:23]
	v_fmac_f64_e32 v[16:17], v[16:17], v[22:23]
	v_fma_f64 v[22:23], -v[20:21], v[20:21], v[14:15]
	s_delay_alu instid0(VALU_DEP_1) | instskip(NEXT) | instid1(VALU_DEP_1)
	v_fmac_f64_e32 v[20:21], v[22:23], v[16:17]
	v_fma_f64 v[22:23], -v[20:21], v[20:21], v[14:15]
	s_delay_alu instid0(VALU_DEP_1) | instskip(SKIP_2) | instid1(VALU_DEP_2)
	v_fmac_f64_e32 v[20:21], v[22:23], v[16:17]
	v_cndmask_b32_e64 v16, 0, 0xffffff80, vcc_lo
	v_cmp_class_f64_e64 vcc_lo, v[14:15], 0x260
	v_ldexp_f64 v[16:17], v[20:21], v16
	v_and_b32_e32 v21, 0x7fffffff, v19
	s_delay_alu instid0(VALU_DEP_2) | instskip(NEXT) | instid1(VALU_DEP_3)
	v_dual_mov_b32 v20, v18 :: v_dual_cndmask_b32 v15, v17, v15
	v_cndmask_b32_e32 v14, v16, v14, vcc_lo
	s_delay_alu instid0(VALU_DEP_1) | instskip(SKIP_1) | instid1(VALU_DEP_2)
	v_add_f64_e32 v[16:17], v[14:15], v[14:15]
	v_bfi_b32 v15, 0x7fffffff, v15, v19
	v_div_scale_f64 v[22:23], null, v[16:17], v[16:17], v[20:21]
	v_div_scale_f64 v[20:21], vcc_lo, v[20:21], v[16:17], v[20:21]
	s_delay_alu instid0(VALU_DEP_2) | instskip(SKIP_1) | instid1(TRANS32_DEP_1)
	v_rcp_f64_e32 v[36:37], v[22:23]
	v_nop
	v_fma_f64 v[38:39], -v[22:23], v[36:37], 1.0
	s_delay_alu instid0(VALU_DEP_1) | instskip(NEXT) | instid1(VALU_DEP_1)
	v_fmac_f64_e32 v[36:37], v[36:37], v[38:39]
	v_fma_f64 v[38:39], -v[22:23], v[36:37], 1.0
	s_delay_alu instid0(VALU_DEP_1) | instskip(NEXT) | instid1(VALU_DEP_1)
	v_fmac_f64_e32 v[36:37], v[36:37], v[38:39]
	v_mul_f64_e32 v[38:39], v[20:21], v[36:37]
	s_delay_alu instid0(VALU_DEP_1) | instskip(NEXT) | instid1(VALU_DEP_1)
	v_fma_f64 v[20:21], -v[22:23], v[38:39], v[20:21]
	v_div_fmas_f64 v[20:21], v[20:21], v[36:37], v[38:39]
	s_delay_alu instid0(VALU_DEP_1) | instskip(SKIP_3) | instid1(SALU_CYCLE_1)
	v_div_fixup_f64 v[20:21], v[20:21], v[16:17], |v[18:19]|
	v_mov_b64_e32 v[18:19], v[14:15]
	s_or_b32 exec_lo, exec_lo, s5
	s_and_saveexec_b32 s5, s4
	s_xor_b32 s4, exec_lo, s5
	s_cbranch_execz .LBB295_224
.LBB295_332:                            ;   in Loop: Header=BB295_169 Depth=1
	s_and_saveexec_b32 s5, s26
	s_cbranch_execz .LBB295_334
; %bb.333:                              ;   in Loop: Header=BB295_169 Depth=1
	s_delay_alu instid0(VALU_DEP_2) | instskip(NEXT) | instid1(VALU_DEP_2)
	v_mul_f64_e32 v[20:21], 0.5, v[20:21]
	v_mul_f64_e32 v[18:19], 0.5, v[18:19]
.LBB295_334:                            ;   in Loop: Header=BB295_169 Depth=1
	s_or_b32 exec_lo, exec_lo, s5
	s_and_not1_saveexec_b32 s4, s4
	s_cbranch_execnz .LBB295_225
	s_branch .LBB295_226
.LBB295_335:                            ;   in Loop: Header=BB295_169 Depth=1
	s_delay_alu instid0(VALU_DEP_1) | instskip(NEXT) | instid1(VALU_DEP_1)
	v_add_f64_e32 v[10:11], v[10:11], v[18:19]
	v_mul_f64_e32 v[10:11], 0.5, v[10:11]
	s_delay_alu instid0(VALU_DEP_1) | instskip(SKIP_1) | instid1(VALU_DEP_1)
	v_cmp_gt_f64_e32 vcc_lo, 0x10000000, v[10:11]
	v_cndmask_b32_e64 v18, 0, 0x100, vcc_lo
	v_ldexp_f64 v[10:11], v[10:11], v18
	s_delay_alu instid0(VALU_DEP_1) | instskip(SKIP_1) | instid1(TRANS32_DEP_1)
	v_rsq_f64_e32 v[18:19], v[10:11]
	v_nop
	v_mul_f64_e32 v[20:21], v[10:11], v[18:19]
	v_mul_f64_e32 v[18:19], 0.5, v[18:19]
	s_delay_alu instid0(VALU_DEP_1) | instskip(NEXT) | instid1(VALU_DEP_1)
	v_fma_f64 v[22:23], -v[18:19], v[20:21], 0.5
	v_fmac_f64_e32 v[20:21], v[20:21], v[22:23]
	v_fmac_f64_e32 v[18:19], v[18:19], v[22:23]
	s_delay_alu instid0(VALU_DEP_2) | instskip(NEXT) | instid1(VALU_DEP_1)
	v_fma_f64 v[22:23], -v[20:21], v[20:21], v[10:11]
	v_fmac_f64_e32 v[20:21], v[22:23], v[18:19]
	s_delay_alu instid0(VALU_DEP_1) | instskip(NEXT) | instid1(VALU_DEP_1)
	v_fma_f64 v[22:23], -v[20:21], v[20:21], v[10:11]
	v_fmac_f64_e32 v[20:21], v[22:23], v[18:19]
	v_cndmask_b32_e64 v18, 0, 0xffffff80, vcc_lo
	v_cmp_class_f64_e64 vcc_lo, v[10:11], 0x260
	s_delay_alu instid0(VALU_DEP_2) | instskip(NEXT) | instid1(VALU_DEP_1)
	v_ldexp_f64 v[18:19], v[20:21], v18
	v_dual_cndmask_b32 v23, v19, v11 :: v_dual_cndmask_b32 v22, v18, v10
	s_delay_alu instid0(VALU_DEP_1) | instskip(NEXT) | instid1(VALU_DEP_1)
	v_add_f64_e32 v[10:11], v[22:23], v[22:23]
	v_div_scale_f64 v[18:19], null, v[10:11], v[10:11], v[12:13]
	s_delay_alu instid0(VALU_DEP_1) | instskip(SKIP_1) | instid1(TRANS32_DEP_1)
	v_rcp_f64_e32 v[20:21], v[18:19]
	v_nop
	v_fma_f64 v[36:37], -v[18:19], v[20:21], 1.0
	s_delay_alu instid0(VALU_DEP_1) | instskip(NEXT) | instid1(VALU_DEP_1)
	v_fmac_f64_e32 v[20:21], v[20:21], v[36:37]
	v_fma_f64 v[36:37], -v[18:19], v[20:21], 1.0
	s_delay_alu instid0(VALU_DEP_1) | instskip(SKIP_1) | instid1(VALU_DEP_1)
	v_fmac_f64_e32 v[20:21], v[20:21], v[36:37]
	v_div_scale_f64 v[36:37], vcc_lo, v[12:13], v[10:11], v[12:13]
	v_mul_f64_e32 v[38:39], v[36:37], v[20:21]
	s_delay_alu instid0(VALU_DEP_1) | instskip(NEXT) | instid1(VALU_DEP_1)
	v_fma_f64 v[18:19], -v[18:19], v[38:39], v[36:37]
	v_div_fmas_f64 v[18:19], v[18:19], v[20:21], v[38:39]
	s_delay_alu instid0(VALU_DEP_1)
	v_div_fixup_f64 v[12:13], v[18:19], v[10:11], v[12:13]
                                        ; implicit-def: $vgpr18_vgpr19
	s_and_not1_saveexec_b32 s5, s5
	s_cbranch_execz .LBB295_258
.LBB295_336:                            ;   in Loop: Header=BB295_169 Depth=1
	v_add_f64_e64 v[10:11], v[18:19], -v[10:11]
	s_delay_alu instid0(VALU_DEP_1) | instskip(NEXT) | instid1(VALU_DEP_1)
	v_mul_f64_e32 v[10:11], 0.5, v[10:11]
	v_cmp_gt_f64_e32 vcc_lo, 0x10000000, v[10:11]
	v_cndmask_b32_e64 v18, 0, 0x100, vcc_lo
	s_delay_alu instid0(VALU_DEP_1) | instskip(NEXT) | instid1(VALU_DEP_1)
	v_ldexp_f64 v[10:11], v[10:11], v18
	v_rsq_f64_e32 v[18:19], v[10:11]
	v_nop
	s_delay_alu instid0(TRANS32_DEP_1) | instskip(SKIP_1) | instid1(VALU_DEP_1)
	v_mul_f64_e32 v[20:21], v[10:11], v[18:19]
	v_mul_f64_e32 v[18:19], 0.5, v[18:19]
	v_fma_f64 v[22:23], -v[18:19], v[20:21], 0.5
	s_delay_alu instid0(VALU_DEP_1) | instskip(SKIP_1) | instid1(VALU_DEP_2)
	v_fmac_f64_e32 v[20:21], v[20:21], v[22:23]
	v_fmac_f64_e32 v[18:19], v[18:19], v[22:23]
	v_fma_f64 v[22:23], -v[20:21], v[20:21], v[10:11]
	s_delay_alu instid0(VALU_DEP_1) | instskip(NEXT) | instid1(VALU_DEP_1)
	v_fmac_f64_e32 v[20:21], v[22:23], v[18:19]
	v_fma_f64 v[22:23], -v[20:21], v[20:21], v[10:11]
	s_delay_alu instid0(VALU_DEP_1) | instskip(SKIP_2) | instid1(VALU_DEP_2)
	v_fmac_f64_e32 v[20:21], v[22:23], v[18:19]
	v_cndmask_b32_e64 v18, 0, 0xffffff80, vcc_lo
	v_cmp_class_f64_e64 vcc_lo, v[10:11], 0x260
	v_ldexp_f64 v[18:19], v[20:21], v18
	v_and_b32_e32 v21, 0x7fffffff, v13
	s_delay_alu instid0(VALU_DEP_2) | instskip(NEXT) | instid1(VALU_DEP_3)
	v_dual_mov_b32 v20, v12 :: v_dual_cndmask_b32 v11, v19, v11
	v_cndmask_b32_e32 v10, v18, v10, vcc_lo
	s_delay_alu instid0(VALU_DEP_1) | instskip(SKIP_1) | instid1(VALU_DEP_2)
	v_add_f64_e32 v[18:19], v[10:11], v[10:11]
	v_bfi_b32 v11, 0x7fffffff, v11, v13
	v_div_scale_f64 v[22:23], null, v[18:19], v[18:19], v[20:21]
	v_div_scale_f64 v[20:21], vcc_lo, v[20:21], v[18:19], v[20:21]
	s_delay_alu instid0(VALU_DEP_2) | instskip(SKIP_1) | instid1(TRANS32_DEP_1)
	v_rcp_f64_e32 v[36:37], v[22:23]
	v_nop
	v_fma_f64 v[38:39], -v[22:23], v[36:37], 1.0
	s_delay_alu instid0(VALU_DEP_1) | instskip(NEXT) | instid1(VALU_DEP_1)
	v_fmac_f64_e32 v[36:37], v[36:37], v[38:39]
	v_fma_f64 v[38:39], -v[22:23], v[36:37], 1.0
	s_delay_alu instid0(VALU_DEP_1) | instskip(NEXT) | instid1(VALU_DEP_1)
	v_fmac_f64_e32 v[36:37], v[36:37], v[38:39]
	v_mul_f64_e32 v[38:39], v[20:21], v[36:37]
	s_delay_alu instid0(VALU_DEP_1) | instskip(NEXT) | instid1(VALU_DEP_1)
	v_fma_f64 v[20:21], -v[22:23], v[38:39], v[20:21]
	v_div_fmas_f64 v[20:21], v[20:21], v[36:37], v[38:39]
	s_delay_alu instid0(VALU_DEP_1) | instskip(SKIP_3) | instid1(SALU_CYCLE_1)
	v_div_fixup_f64 v[22:23], v[20:21], v[18:19], |v[12:13]|
	v_mov_b64_e32 v[12:13], v[10:11]
	s_or_b32 exec_lo, exec_lo, s5
	s_and_saveexec_b32 s5, s4
	s_xor_b32 s4, exec_lo, s5
	s_cbranch_execz .LBB295_259
.LBB295_337:                            ;   in Loop: Header=BB295_169 Depth=1
	s_and_saveexec_b32 s5, s26
	s_cbranch_execz .LBB295_339
; %bb.338:                              ;   in Loop: Header=BB295_169 Depth=1
	s_delay_alu instid0(VALU_DEP_2) | instskip(NEXT) | instid1(VALU_DEP_2)
	v_mul_f64_e32 v[22:23], 0.5, v[22:23]
	v_mul_f64_e32 v[12:13], 0.5, v[12:13]
.LBB295_339:                            ;   in Loop: Header=BB295_169 Depth=1
	s_or_b32 exec_lo, exec_lo, s5
	s_and_not1_saveexec_b32 s4, s4
	s_cbranch_execnz .LBB295_260
	s_branch .LBB295_261
.LBB295_340:                            ;   in Loop: Header=BB295_169 Depth=1
	s_delay_alu instid0(VALU_DEP_1) | instskip(NEXT) | instid1(VALU_DEP_1)
	v_add_f64_e32 v[2:3], v[2:3], v[10:11]
	v_mul_f64_e32 v[2:3], 0.5, v[2:3]
	s_delay_alu instid0(VALU_DEP_1) | instskip(SKIP_1) | instid1(VALU_DEP_1)
	v_cmp_gt_f64_e32 vcc_lo, 0x10000000, v[2:3]
	v_cndmask_b32_e64 v10, 0, 0x100, vcc_lo
	v_ldexp_f64 v[2:3], v[2:3], v10
	s_delay_alu instid0(VALU_DEP_1) | instskip(SKIP_1) | instid1(TRANS32_DEP_1)
	v_rsq_f64_e32 v[10:11], v[2:3]
	v_nop
	v_mul_f64_e32 v[12:13], v[2:3], v[10:11]
	v_mul_f64_e32 v[10:11], 0.5, v[10:11]
	s_delay_alu instid0(VALU_DEP_1) | instskip(NEXT) | instid1(VALU_DEP_1)
	v_fma_f64 v[22:23], -v[10:11], v[12:13], 0.5
	v_fmac_f64_e32 v[12:13], v[12:13], v[22:23]
	v_fmac_f64_e32 v[10:11], v[10:11], v[22:23]
	s_delay_alu instid0(VALU_DEP_2) | instskip(NEXT) | instid1(VALU_DEP_1)
	v_fma_f64 v[22:23], -v[12:13], v[12:13], v[2:3]
	v_fmac_f64_e32 v[12:13], v[22:23], v[10:11]
	s_delay_alu instid0(VALU_DEP_1) | instskip(NEXT) | instid1(VALU_DEP_1)
	v_fma_f64 v[22:23], -v[12:13], v[12:13], v[2:3]
	v_fmac_f64_e32 v[12:13], v[22:23], v[10:11]
	v_cndmask_b32_e64 v10, 0, 0xffffff80, vcc_lo
	v_cmp_class_f64_e64 vcc_lo, v[2:3], 0x260
	s_delay_alu instid0(VALU_DEP_2) | instskip(NEXT) | instid1(VALU_DEP_1)
	v_ldexp_f64 v[10:11], v[12:13], v10
	v_dual_cndmask_b32 v23, v11, v3 :: v_dual_cndmask_b32 v22, v10, v2
	s_delay_alu instid0(VALU_DEP_1) | instskip(NEXT) | instid1(VALU_DEP_1)
	v_add_f64_e32 v[2:3], v[22:23], v[22:23]
	v_div_scale_f64 v[10:11], null, v[2:3], v[2:3], v[4:5]
	s_delay_alu instid0(VALU_DEP_1) | instskip(SKIP_1) | instid1(TRANS32_DEP_1)
	v_rcp_f64_e32 v[12:13], v[10:11]
	v_nop
	v_fma_f64 v[36:37], -v[10:11], v[12:13], 1.0
	s_delay_alu instid0(VALU_DEP_1) | instskip(NEXT) | instid1(VALU_DEP_1)
	v_fmac_f64_e32 v[12:13], v[12:13], v[36:37]
	v_fma_f64 v[36:37], -v[10:11], v[12:13], 1.0
	s_delay_alu instid0(VALU_DEP_1) | instskip(SKIP_1) | instid1(VALU_DEP_1)
	v_fmac_f64_e32 v[12:13], v[12:13], v[36:37]
	v_div_scale_f64 v[36:37], vcc_lo, v[4:5], v[2:3], v[4:5]
	v_mul_f64_e32 v[38:39], v[36:37], v[12:13]
	s_delay_alu instid0(VALU_DEP_1) | instskip(NEXT) | instid1(VALU_DEP_1)
	v_fma_f64 v[10:11], -v[10:11], v[38:39], v[36:37]
	v_div_fmas_f64 v[10:11], v[10:11], v[12:13], v[38:39]
	s_delay_alu instid0(VALU_DEP_1)
	v_div_fixup_f64 v[4:5], v[10:11], v[2:3], v[4:5]
                                        ; implicit-def: $vgpr10_vgpr11
	s_and_not1_saveexec_b32 s5, s5
	s_cbranch_execz .LBB295_293
.LBB295_341:                            ;   in Loop: Header=BB295_169 Depth=1
	v_add_f64_e64 v[2:3], v[10:11], -v[2:3]
	s_delay_alu instid0(VALU_DEP_1) | instskip(NEXT) | instid1(VALU_DEP_1)
	v_mul_f64_e32 v[2:3], 0.5, v[2:3]
	v_cmp_gt_f64_e32 vcc_lo, 0x10000000, v[2:3]
	v_cndmask_b32_e64 v10, 0, 0x100, vcc_lo
	s_delay_alu instid0(VALU_DEP_1) | instskip(NEXT) | instid1(VALU_DEP_1)
	v_ldexp_f64 v[2:3], v[2:3], v10
	v_rsq_f64_e32 v[10:11], v[2:3]
	v_nop
	s_delay_alu instid0(TRANS32_DEP_1) | instskip(SKIP_1) | instid1(VALU_DEP_1)
	v_mul_f64_e32 v[12:13], v[2:3], v[10:11]
	v_mul_f64_e32 v[10:11], 0.5, v[10:11]
	v_fma_f64 v[22:23], -v[10:11], v[12:13], 0.5
	s_delay_alu instid0(VALU_DEP_1) | instskip(SKIP_1) | instid1(VALU_DEP_2)
	v_fmac_f64_e32 v[12:13], v[12:13], v[22:23]
	v_fmac_f64_e32 v[10:11], v[10:11], v[22:23]
	v_fma_f64 v[22:23], -v[12:13], v[12:13], v[2:3]
	s_delay_alu instid0(VALU_DEP_1) | instskip(NEXT) | instid1(VALU_DEP_1)
	v_fmac_f64_e32 v[12:13], v[22:23], v[10:11]
	v_fma_f64 v[22:23], -v[12:13], v[12:13], v[2:3]
	s_delay_alu instid0(VALU_DEP_1) | instskip(SKIP_2) | instid1(VALU_DEP_2)
	v_fmac_f64_e32 v[12:13], v[22:23], v[10:11]
	v_cndmask_b32_e64 v10, 0, 0xffffff80, vcc_lo
	v_cmp_class_f64_e64 vcc_lo, v[2:3], 0x260
	v_ldexp_f64 v[10:11], v[12:13], v10
	v_and_b32_e32 v13, 0x7fffffff, v5
	s_delay_alu instid0(VALU_DEP_2) | instskip(NEXT) | instid1(VALU_DEP_3)
	v_dual_mov_b32 v12, v4 :: v_dual_cndmask_b32 v3, v11, v3
	v_cndmask_b32_e32 v2, v10, v2, vcc_lo
	s_delay_alu instid0(VALU_DEP_1) | instskip(SKIP_1) | instid1(VALU_DEP_2)
	v_add_f64_e32 v[10:11], v[2:3], v[2:3]
	v_bfi_b32 v3, 0x7fffffff, v3, v5
	v_div_scale_f64 v[22:23], null, v[10:11], v[10:11], v[12:13]
	v_div_scale_f64 v[12:13], vcc_lo, v[12:13], v[10:11], v[12:13]
	s_delay_alu instid0(VALU_DEP_2) | instskip(SKIP_1) | instid1(TRANS32_DEP_1)
	v_rcp_f64_e32 v[36:37], v[22:23]
	v_nop
	v_fma_f64 v[38:39], -v[22:23], v[36:37], 1.0
	s_delay_alu instid0(VALU_DEP_1) | instskip(NEXT) | instid1(VALU_DEP_1)
	v_fmac_f64_e32 v[36:37], v[36:37], v[38:39]
	v_fma_f64 v[38:39], -v[22:23], v[36:37], 1.0
	s_delay_alu instid0(VALU_DEP_1) | instskip(NEXT) | instid1(VALU_DEP_1)
	v_fmac_f64_e32 v[36:37], v[36:37], v[38:39]
	v_mul_f64_e32 v[38:39], v[12:13], v[36:37]
	s_delay_alu instid0(VALU_DEP_1) | instskip(NEXT) | instid1(VALU_DEP_1)
	v_fma_f64 v[12:13], -v[22:23], v[38:39], v[12:13]
	v_div_fmas_f64 v[12:13], v[12:13], v[36:37], v[38:39]
	s_delay_alu instid0(VALU_DEP_1) | instskip(SKIP_3) | instid1(SALU_CYCLE_1)
	v_div_fixup_f64 v[22:23], v[12:13], v[10:11], |v[4:5]|
	v_mov_b64_e32 v[4:5], v[2:3]
	s_or_b32 exec_lo, exec_lo, s5
	s_and_saveexec_b32 s5, s4
	s_xor_b32 s4, exec_lo, s5
	s_cbranch_execz .LBB295_294
.LBB295_342:                            ;   in Loop: Header=BB295_169 Depth=1
	s_and_saveexec_b32 s5, s26
	s_cbranch_execz .LBB295_344
; %bb.343:                              ;   in Loop: Header=BB295_169 Depth=1
	s_delay_alu instid0(VALU_DEP_2) | instskip(NEXT) | instid1(VALU_DEP_2)
	v_mul_f64_e32 v[22:23], 0.5, v[22:23]
	v_mul_f64_e32 v[4:5], 0.5, v[4:5]
.LBB295_344:                            ;   in Loop: Header=BB295_169 Depth=1
	s_or_b32 exec_lo, exec_lo, s5
	s_and_not1_saveexec_b32 s4, s4
	s_cbranch_execnz .LBB295_295
	s_branch .LBB295_296
.LBB295_345:
	s_endpgm
	.section	.rodata,"a",@progbits
	.p2align	6, 0x0
	.amdhsa_kernel _ZN2at6native12_GLOBAL__N_125multi_tensor_apply_kernelINS1_18TensorListMetadataILi2EEENS1_14UnaryOpFunctorIN3c107complexIdEELi2ELi1ELi1EEEJNS0_5RsqrtIS8_EEEEEvT_T0_DpT1_
		.amdhsa_group_segment_fixed_size 0
		.amdhsa_private_segment_fixed_size 0
		.amdhsa_kernarg_size 3408
		.amdhsa_user_sgpr_count 2
		.amdhsa_user_sgpr_dispatch_ptr 0
		.amdhsa_user_sgpr_queue_ptr 0
		.amdhsa_user_sgpr_kernarg_segment_ptr 1
		.amdhsa_user_sgpr_dispatch_id 0
		.amdhsa_user_sgpr_kernarg_preload_length 0
		.amdhsa_user_sgpr_kernarg_preload_offset 0
		.amdhsa_user_sgpr_private_segment_size 0
		.amdhsa_wavefront_size32 1
		.amdhsa_uses_dynamic_stack 0
		.amdhsa_enable_private_segment 0
		.amdhsa_system_sgpr_workgroup_id_x 1
		.amdhsa_system_sgpr_workgroup_id_y 0
		.amdhsa_system_sgpr_workgroup_id_z 0
		.amdhsa_system_sgpr_workgroup_info 0
		.amdhsa_system_vgpr_workitem_id 0
		.amdhsa_next_free_vgpr 46
		.amdhsa_next_free_sgpr 29
		.amdhsa_named_barrier_count 0
		.amdhsa_reserve_vcc 1
		.amdhsa_float_round_mode_32 0
		.amdhsa_float_round_mode_16_64 0
		.amdhsa_float_denorm_mode_32 3
		.amdhsa_float_denorm_mode_16_64 3
		.amdhsa_fp16_overflow 0
		.amdhsa_memory_ordered 1
		.amdhsa_forward_progress 1
		.amdhsa_inst_pref_size 143
		.amdhsa_round_robin_scheduling 0
		.amdhsa_exception_fp_ieee_invalid_op 0
		.amdhsa_exception_fp_denorm_src 0
		.amdhsa_exception_fp_ieee_div_zero 0
		.amdhsa_exception_fp_ieee_overflow 0
		.amdhsa_exception_fp_ieee_underflow 0
		.amdhsa_exception_fp_ieee_inexact 0
		.amdhsa_exception_int_div_zero 0
	.end_amdhsa_kernel
	.section	.text._ZN2at6native12_GLOBAL__N_125multi_tensor_apply_kernelINS1_18TensorListMetadataILi2EEENS1_14UnaryOpFunctorIN3c107complexIdEELi2ELi1ELi1EEEJNS0_5RsqrtIS8_EEEEEvT_T0_DpT1_,"axG",@progbits,_ZN2at6native12_GLOBAL__N_125multi_tensor_apply_kernelINS1_18TensorListMetadataILi2EEENS1_14UnaryOpFunctorIN3c107complexIdEELi2ELi1ELi1EEEJNS0_5RsqrtIS8_EEEEEvT_T0_DpT1_,comdat
.Lfunc_end295:
	.size	_ZN2at6native12_GLOBAL__N_125multi_tensor_apply_kernelINS1_18TensorListMetadataILi2EEENS1_14UnaryOpFunctorIN3c107complexIdEELi2ELi1ELi1EEEJNS0_5RsqrtIS8_EEEEEvT_T0_DpT1_, .Lfunc_end295-_ZN2at6native12_GLOBAL__N_125multi_tensor_apply_kernelINS1_18TensorListMetadataILi2EEENS1_14UnaryOpFunctorIN3c107complexIdEELi2ELi1ELi1EEEJNS0_5RsqrtIS8_EEEEEvT_T0_DpT1_
                                        ; -- End function
	.set _ZN2at6native12_GLOBAL__N_125multi_tensor_apply_kernelINS1_18TensorListMetadataILi2EEENS1_14UnaryOpFunctorIN3c107complexIdEELi2ELi1ELi1EEEJNS0_5RsqrtIS8_EEEEEvT_T0_DpT1_.num_vgpr, 46
	.set _ZN2at6native12_GLOBAL__N_125multi_tensor_apply_kernelINS1_18TensorListMetadataILi2EEENS1_14UnaryOpFunctorIN3c107complexIdEELi2ELi1ELi1EEEJNS0_5RsqrtIS8_EEEEEvT_T0_DpT1_.num_agpr, 0
	.set _ZN2at6native12_GLOBAL__N_125multi_tensor_apply_kernelINS1_18TensorListMetadataILi2EEENS1_14UnaryOpFunctorIN3c107complexIdEELi2ELi1ELi1EEEJNS0_5RsqrtIS8_EEEEEvT_T0_DpT1_.numbered_sgpr, 29
	.set _ZN2at6native12_GLOBAL__N_125multi_tensor_apply_kernelINS1_18TensorListMetadataILi2EEENS1_14UnaryOpFunctorIN3c107complexIdEELi2ELi1ELi1EEEJNS0_5RsqrtIS8_EEEEEvT_T0_DpT1_.num_named_barrier, 0
	.set _ZN2at6native12_GLOBAL__N_125multi_tensor_apply_kernelINS1_18TensorListMetadataILi2EEENS1_14UnaryOpFunctorIN3c107complexIdEELi2ELi1ELi1EEEJNS0_5RsqrtIS8_EEEEEvT_T0_DpT1_.private_seg_size, 0
	.set _ZN2at6native12_GLOBAL__N_125multi_tensor_apply_kernelINS1_18TensorListMetadataILi2EEENS1_14UnaryOpFunctorIN3c107complexIdEELi2ELi1ELi1EEEJNS0_5RsqrtIS8_EEEEEvT_T0_DpT1_.uses_vcc, 1
	.set _ZN2at6native12_GLOBAL__N_125multi_tensor_apply_kernelINS1_18TensorListMetadataILi2EEENS1_14UnaryOpFunctorIN3c107complexIdEELi2ELi1ELi1EEEJNS0_5RsqrtIS8_EEEEEvT_T0_DpT1_.uses_flat_scratch, 0
	.set _ZN2at6native12_GLOBAL__N_125multi_tensor_apply_kernelINS1_18TensorListMetadataILi2EEENS1_14UnaryOpFunctorIN3c107complexIdEELi2ELi1ELi1EEEJNS0_5RsqrtIS8_EEEEEvT_T0_DpT1_.has_dyn_sized_stack, 0
	.set _ZN2at6native12_GLOBAL__N_125multi_tensor_apply_kernelINS1_18TensorListMetadataILi2EEENS1_14UnaryOpFunctorIN3c107complexIdEELi2ELi1ELi1EEEJNS0_5RsqrtIS8_EEEEEvT_T0_DpT1_.has_recursion, 0
	.set _ZN2at6native12_GLOBAL__N_125multi_tensor_apply_kernelINS1_18TensorListMetadataILi2EEENS1_14UnaryOpFunctorIN3c107complexIdEELi2ELi1ELi1EEEJNS0_5RsqrtIS8_EEEEEvT_T0_DpT1_.has_indirect_call, 0
	.section	.AMDGPU.csdata,"",@progbits
; Kernel info:
; codeLenInByte = 18248
; TotalNumSgprs: 31
; NumVgprs: 46
; ScratchSize: 0
; MemoryBound: 1
; FloatMode: 240
; IeeeMode: 1
; LDSByteSize: 0 bytes/workgroup (compile time only)
; SGPRBlocks: 0
; VGPRBlocks: 2
; NumSGPRsForWavesPerEU: 31
; NumVGPRsForWavesPerEU: 46
; NamedBarCnt: 0
; Occupancy: 16
; WaveLimiterHint : 0
; COMPUTE_PGM_RSRC2:SCRATCH_EN: 0
; COMPUTE_PGM_RSRC2:USER_SGPR: 2
; COMPUTE_PGM_RSRC2:TRAP_HANDLER: 0
; COMPUTE_PGM_RSRC2:TGID_X_EN: 1
; COMPUTE_PGM_RSRC2:TGID_Y_EN: 0
; COMPUTE_PGM_RSRC2:TGID_Z_EN: 0
; COMPUTE_PGM_RSRC2:TIDIG_COMP_CNT: 0
	.section	.text._ZN2at6native12_GLOBAL__N_125multi_tensor_apply_kernelINS1_18TensorListMetadataILi2EEENS1_14UnaryOpFunctorIN3c107complexIfEELi2ELi1ELi1EEEJNS0_5RsqrtIS8_EEEEEvT_T0_DpT1_,"axG",@progbits,_ZN2at6native12_GLOBAL__N_125multi_tensor_apply_kernelINS1_18TensorListMetadataILi2EEENS1_14UnaryOpFunctorIN3c107complexIfEELi2ELi1ELi1EEEJNS0_5RsqrtIS8_EEEEEvT_T0_DpT1_,comdat
	.globl	_ZN2at6native12_GLOBAL__N_125multi_tensor_apply_kernelINS1_18TensorListMetadataILi2EEENS1_14UnaryOpFunctorIN3c107complexIfEELi2ELi1ELi1EEEJNS0_5RsqrtIS8_EEEEEvT_T0_DpT1_ ; -- Begin function _ZN2at6native12_GLOBAL__N_125multi_tensor_apply_kernelINS1_18TensorListMetadataILi2EEENS1_14UnaryOpFunctorIN3c107complexIfEELi2ELi1ELi1EEEJNS0_5RsqrtIS8_EEEEEvT_T0_DpT1_
	.p2align	8
	.type	_ZN2at6native12_GLOBAL__N_125multi_tensor_apply_kernelINS1_18TensorListMetadataILi2EEENS1_14UnaryOpFunctorIN3c107complexIfEELi2ELi1ELi1EEEJNS0_5RsqrtIS8_EEEEEvT_T0_DpT1_,@function
_ZN2at6native12_GLOBAL__N_125multi_tensor_apply_kernelINS1_18TensorListMetadataILi2EEENS1_14UnaryOpFunctorIN3c107complexIfEELi2ELi1ELi1EEEJNS0_5RsqrtIS8_EEEEEvT_T0_DpT1_: ; @_ZN2at6native12_GLOBAL__N_125multi_tensor_apply_kernelINS1_18TensorListMetadataILi2EEENS1_14UnaryOpFunctorIN3c107complexIfEELi2ELi1ELi1EEEJNS0_5RsqrtIS8_EEEEEvT_T0_DpT1_
; %bb.0:
	s_bfe_u32 s2, ttmp6, 0x4000c
	s_and_b32 s3, ttmp6, 15
	s_add_co_i32 s2, s2, 1
	s_getreg_b32 s4, hwreg(HW_REG_IB_STS2, 6, 4)
	s_mul_i32 s2, ttmp9, s2
	s_delay_alu instid0(SALU_CYCLE_1)
	s_add_co_i32 s3, s3, s2
	s_cmp_eq_u32 s4, 0
	s_cselect_b32 s2, ttmp9, s3
	s_mov_b32 s3, 0
	s_load_u8 s11, s[0:1], s2 offset:0x600
	s_add_nc_u64 s[4:5], s[0:1], s[2:3]
	s_mul_u64 s[6:7], s[2:3], 3
	s_mov_b32 s15, s3
	s_add_nc_u64 s[6:7], s[4:5], s[6:7]
	s_load_b32 s10, s[6:7], 0x740
	s_wait_kmcnt 0x0
	s_clause 0x2
	s_load_b64 s[4:5], s[0:1], s11 offset:0x0 scale_offset
	s_load_b64 s[8:9], s[0:1], s11 offset:0x200 scale_offset
	s_load_b64 s[12:13], s[0:1], s11 offset:0x400 scale_offset
	s_wait_xcnt 0x0
	s_ashr_i32 s11, s10, 31
	s_delay_alu instid0(SALU_CYCLE_1)
	s_lshl_b64 s[6:7], s[10:11], 19
	s_wait_kmcnt 0x0
	s_and_b64 s[18:19], s[8:9], 31
	s_add_nc_u64 s[16:17], s[4:5], s[6:7]
	s_and_b32 s14, s12, 3
	s_and_b32 s2, s16, 31
	s_or_b64 s[14:15], s[18:19], s[14:15]
	s_lshl_b64 s[10:11], s[10:11], 16
	s_or_b64 s[2:3], s[14:15], s[2:3]
	s_sub_nc_u64 s[10:11], s[12:13], s[10:11]
	s_cmp_eq_u64 s[2:3], 0
	s_mov_b32 s2, -1
	s_cbranch_scc0 .LBB296_157
; %bb.1:
	v_min_i64 v[14:15], 0x10000, s[10:11]
	v_dual_mov_b32 v3, 0 :: v_dual_lshlrev_b32 v2, 2, v0
	s_mov_b32 s15, exec_lo
	s_delay_alu instid0(VALU_DEP_1)
	v_cmpx_lt_i64_e64 v[2:3], v[14:15]
	s_cbranch_execz .LBB296_156
; %bb.2:
	s_load_b32 s2, s[0:1], 0xc5c
	v_dual_mov_b32 v1, v3 :: v_dual_lshlrev_b32 v2, 5, v0
	v_mov_b64_e32 v[16:17], 0xbf80000000000000
	s_mov_b32 s13, 0
	s_mov_b32 s14, 0x3e800000
	s_delay_alu instid0(VALU_DEP_2)
	v_add_nc_u64_e32 v[18:19], s[6:7], v[2:3]
	v_mov_b64_e32 v[20:21], v[0:1]
	s_mov_b32 s17, s13
	s_mov_b32 s18, s13
	s_wait_kmcnt 0x0
	s_and_b32 s12, s2, 0xffff
	s_delay_alu instid0(SALU_CYCLE_1)
	s_lshl_b32 s16, s12, 5
	s_branch .LBB296_4
.LBB296_3:                              ;   in Loop: Header=BB296_4 Depth=1
	s_or_b32 exec_lo, exec_lo, s2
	v_add_nc_u64_e32 v[20:21], s[12:13], v[20:21]
	s_delay_alu instid0(VALU_DEP_1) | instskip(NEXT) | instid1(VALU_DEP_1)
	v_lshlrev_b64_e32 v[2:3], 2, v[20:21]
	v_cmp_ge_i64_e32 vcc_lo, v[2:3], v[14:15]
	v_add_nc_u64_e32 v[2:3], s[8:9], v[18:19]
	v_add_nc_u64_e32 v[18:19], s[16:17], v[18:19]
	s_clause 0x1
	global_store_b128 v[2:3], v[6:9], off
	global_store_b128 v[2:3], v[10:13], off offset:16
	s_or_b32 s18, vcc_lo, s18
	s_wait_xcnt 0x0
	s_and_not1_b32 exec_lo, exec_lo, s18
	s_cbranch_execz .LBB296_156
.LBB296_4:                              ; =>This Inner Loop Header: Depth=1
	v_add_nc_u64_e32 v[6:7], s[4:5], v[18:19]
	v_mov_b32_e32 v12, 0
	s_clause 0x1
	global_load_b128 v[8:11], v[6:7], off
	global_load_b128 v[2:5], v[6:7], off offset:16
	s_wait_loadcnt 0x1
	v_cmp_neq_f32_e32 vcc_lo, 0, v8
	v_cmp_neq_f32_e64 s2, 0, v9
	s_or_b32 s2, vcc_lo, s2
	s_wait_xcnt 0x0
	s_and_saveexec_b32 s19, s2
	s_cbranch_execz .LBB296_33
; %bb.5:                                ;   in Loop: Header=BB296_4 Depth=1
	v_mov_b32_e32 v12, 0x7f800000
	s_mov_b32 s20, exec_lo
	v_cmpx_neq_f32_e64 0x7f800000, |v9|
	s_cbranch_execz .LBB296_32
; %bb.6:                                ;   in Loop: Header=BB296_4 Depth=1
                                        ; implicit-def: $vgpr13
	s_mov_b32 s2, exec_lo
	v_cmpx_o_f32_e32 v8, v8
	s_xor_b32 s21, exec_lo, s2
	s_cbranch_execz .LBB296_29
; %bb.7:                                ;   in Loop: Header=BB296_4 Depth=1
                                        ; implicit-def: $vgpr13
	s_mov_b32 s3, exec_lo
	v_cmpx_neq_f32_e64 0x7f800000, |v8|
	s_xor_b32 s22, exec_lo, s3
	s_cbranch_execz .LBB296_23
; %bb.8:                                ;   in Loop: Header=BB296_4 Depth=1
	v_max_num_f32_e64 v1, |v9|, |v9|
	v_max_num_f32_e64 v6, |v8|, |v8|
                                        ; implicit-def: $sgpr23
	s_delay_alu instid0(VALU_DEP_1) | instskip(NEXT) | instid1(VALU_DEP_1)
	v_max_num_f32_e32 v1, v6, v1
                                        ; implicit-def: $vgpr6_vgpr7
	v_cmp_nle_f32_e64 s2, 0x7ed413cb, v1
	s_and_saveexec_b32 s3, s2
	s_delay_alu instid0(SALU_CYCLE_1)
	s_xor_b32 s3, exec_lo, s3
	s_cbranch_execz .LBB296_12
; %bb.9:                                ;   in Loop: Header=BB296_4 Depth=1
	v_cmp_ge_f32_e64 s23, 0x1000000, |v8|
	v_cmp_ge_f32_e64 s24, 0x1000000, |v9|
	v_mov_b64_e32 v[6:7], v[8:9]
	s_and_b32 s25, s23, s24
	s_mov_b32 s23, 0
	s_and_saveexec_b32 s24, s25
; %bb.10:                               ;   in Loop: Header=BB296_4 Depth=1
	v_pk_mul_f32 v[6:7], v[8:9], 4.0 op_sel_hi:[1,0]
	s_mov_b32 s23, exec_lo
; %bb.11:                               ;   in Loop: Header=BB296_4 Depth=1
	s_or_b32 exec_lo, exec_lo, s24
.LBB296_12:                             ;   in Loop: Header=BB296_4 Depth=1
	s_and_not1_saveexec_b32 s3, s3
; %bb.13:                               ;   in Loop: Header=BB296_4 Depth=1
	v_pk_mul_f32 v[6:7], v[8:9], s[14:15] op_sel_hi:[1,0]
	s_and_not1_b32 s23, s23, exec_lo
; %bb.14:                               ;   in Loop: Header=BB296_4 Depth=1
	s_or_b32 exec_lo, exec_lo, s3
	s_delay_alu instid0(VALU_DEP_1) | instskip(NEXT) | instid1(VALU_DEP_2)
	v_max_num_f32_e64 v1, |v7|, |v7|
	v_max_num_f32_e64 v12, |v6|, |v6|
	s_delay_alu instid0(VALU_DEP_1) | instskip(NEXT) | instid1(VALU_DEP_1)
	v_max_num_f32_e32 v1, v12, v1
	v_cvt_f64_f32_e32 v[12:13], v1
	s_delay_alu instid0(VALU_DEP_1) | instskip(NEXT) | instid1(VALU_DEP_1)
	v_frexp_exp_i32_f64_e32 v12, v[12:13]
	v_sub_nc_u32_e32 v13, 0, v12
	v_cmp_neq_f32_e64 s3, 0x7f800000, v1
	s_delay_alu instid0(VALU_DEP_2) | instskip(SKIP_1) | instid1(VALU_DEP_2)
	v_ldexp_f32 v22, |v7|, v13
	v_ldexp_f32 v13, |v6|, v13
	v_mul_f32_e32 v22, v22, v22
	s_delay_alu instid0(VALU_DEP_1) | instskip(NEXT) | instid1(VALU_DEP_1)
	v_fmac_f32_e32 v22, v13, v13
	v_sqrt_f32_e32 v13, v22
                                        ; implicit-def: $vgpr22_vgpr23
	v_nop
	s_delay_alu instid0(TRANS32_DEP_1) | instskip(NEXT) | instid1(VALU_DEP_1)
	v_ldexp_f32 v12, v13, v12
	v_cndmask_b32_e64 v1, 0x7f800000, v12, s3
	s_mov_b32 s3, exec_lo
	v_cmpx_le_f32_e32 0, v6
	s_xor_b32 s24, exec_lo, s3
	s_cbranch_execz .LBB296_16
; %bb.15:                               ;   in Loop: Header=BB296_4 Depth=1
	v_add_f32_e32 v1, v6, v1
	s_delay_alu instid0(VALU_DEP_1) | instskip(NEXT) | instid1(VALU_DEP_1)
	v_mul_f32_e32 v1, 0.5, v1
	v_mul_f32_e32 v6, 0x4f800000, v1
	v_cmp_gt_f32_e32 vcc_lo, 0xf800000, v1
	s_delay_alu instid0(VALU_DEP_2) | instskip(NEXT) | instid1(VALU_DEP_1)
	v_cndmask_b32_e32 v1, v1, v6, vcc_lo
	v_sqrt_f32_e32 v6, v1
	v_nop
	s_delay_alu instid0(TRANS32_DEP_1) | instskip(NEXT) | instid1(VALU_DEP_1)
	v_dual_add_nc_u32 v12, -1, v6 :: v_dual_add_nc_u32 v13, 1, v6
	v_dual_fma_f32 v22, -v12, v6, v1 :: v_dual_fma_f32 v23, -v13, v6, v1
	s_delay_alu instid0(VALU_DEP_1) | instskip(NEXT) | instid1(VALU_DEP_1)
	v_cmp_ge_f32_e64 s3, 0, v22
	v_cndmask_b32_e64 v6, v6, v12, s3
	s_delay_alu instid0(VALU_DEP_3) | instskip(NEXT) | instid1(VALU_DEP_1)
	v_cmp_lt_f32_e64 s3, 0, v23
	v_cndmask_b32_e64 v6, v6, v13, s3
	s_delay_alu instid0(VALU_DEP_1) | instskip(NEXT) | instid1(VALU_DEP_1)
	v_mul_f32_e32 v12, 0x37800000, v6
	v_cndmask_b32_e32 v6, v6, v12, vcc_lo
	v_cmp_class_f32_e64 vcc_lo, v1, 0x260
	s_delay_alu instid0(VALU_DEP_2) | instskip(NEXT) | instid1(VALU_DEP_1)
	v_cndmask_b32_e32 v22, v6, v1, vcc_lo
	v_add_f32_e32 v1, v22, v22
	s_delay_alu instid0(VALU_DEP_1) | instskip(NEXT) | instid1(VALU_DEP_1)
	v_div_scale_f32 v6, null, v1, v1, v7
	v_rcp_f32_e32 v12, v6
	v_nop
	s_delay_alu instid0(TRANS32_DEP_1) | instskip(NEXT) | instid1(VALU_DEP_1)
	v_fma_f32 v13, -v6, v12, 1.0
	v_fmac_f32_e32 v12, v13, v12
	v_div_scale_f32 v13, vcc_lo, v7, v1, v7
	s_delay_alu instid0(VALU_DEP_1) | instskip(NEXT) | instid1(VALU_DEP_1)
	v_mul_f32_e32 v23, v13, v12
	v_fma_f32 v24, -v6, v23, v13
	s_delay_alu instid0(VALU_DEP_1) | instskip(NEXT) | instid1(VALU_DEP_1)
	v_fmac_f32_e32 v23, v24, v12
	v_fma_f32 v6, -v6, v23, v13
	s_delay_alu instid0(VALU_DEP_1) | instskip(NEXT) | instid1(VALU_DEP_1)
	v_div_fmas_f32 v6, v6, v12, v23
	v_div_fixup_f32 v23, v6, v1, v7
                                        ; implicit-def: $vgpr1
                                        ; implicit-def: $vgpr6_vgpr7
	s_and_not1_saveexec_b32 s24, s24
	s_cbranch_execz .LBB296_18
	s_branch .LBB296_17
.LBB296_16:                             ;   in Loop: Header=BB296_4 Depth=1
	s_and_not1_saveexec_b32 s24, s24
	s_cbranch_execz .LBB296_18
.LBB296_17:                             ;   in Loop: Header=BB296_4 Depth=1
	v_sub_f32_e32 v1, v1, v6
	s_delay_alu instid0(VALU_DEP_1) | instskip(NEXT) | instid1(VALU_DEP_1)
	v_mul_f32_e32 v1, 0.5, v1
	v_mul_f32_e32 v6, 0x4f800000, v1
	v_cmp_gt_f32_e32 vcc_lo, 0xf800000, v1
	s_delay_alu instid0(VALU_DEP_2) | instskip(NEXT) | instid1(VALU_DEP_1)
	v_cndmask_b32_e32 v1, v1, v6, vcc_lo
	v_sqrt_f32_e32 v6, v1
	v_nop
	s_delay_alu instid0(TRANS32_DEP_1) | instskip(NEXT) | instid1(VALU_DEP_1)
	v_dual_add_nc_u32 v12, -1, v6 :: v_dual_add_nc_u32 v13, 1, v6
	v_dual_fma_f32 v22, -v12, v6, v1 :: v_dual_fma_f32 v23, -v13, v6, v1
	s_delay_alu instid0(VALU_DEP_1) | instskip(NEXT) | instid1(VALU_DEP_1)
	v_cmp_ge_f32_e64 s3, 0, v22
	v_cndmask_b32_e64 v6, v6, v12, s3
	s_delay_alu instid0(VALU_DEP_3) | instskip(NEXT) | instid1(VALU_DEP_1)
	v_cmp_lt_f32_e64 s3, 0, v23
	v_cndmask_b32_e64 v6, v6, v13, s3
	s_delay_alu instid0(VALU_DEP_1) | instskip(NEXT) | instid1(VALU_DEP_1)
	v_mul_f32_e32 v12, 0x37800000, v6
	v_cndmask_b32_e32 v6, v6, v12, vcc_lo
	v_cmp_class_f32_e64 vcc_lo, v1, 0x260
	s_delay_alu instid0(VALU_DEP_2) | instskip(SKIP_1) | instid1(VALU_DEP_2)
	v_cndmask_b32_e32 v1, v6, v1, vcc_lo
	v_and_b32_e32 v6, 0x7fffffff, v7
	v_add_f32_e32 v12, v1, v1
	s_delay_alu instid0(VALU_DEP_1) | instskip(SKIP_1) | instid1(VALU_DEP_2)
	v_div_scale_f32 v13, null, v12, v12, v6
	v_div_scale_f32 v6, vcc_lo, v6, v12, v6
	v_rcp_f32_e32 v22, v13
	v_nop
	s_delay_alu instid0(TRANS32_DEP_1) | instskip(NEXT) | instid1(VALU_DEP_1)
	v_fma_f32 v23, -v13, v22, 1.0
	v_fmac_f32_e32 v22, v23, v22
	s_delay_alu instid0(VALU_DEP_1) | instskip(NEXT) | instid1(VALU_DEP_1)
	v_mul_f32_e32 v23, v6, v22
	v_fma_f32 v24, -v13, v23, v6
	s_delay_alu instid0(VALU_DEP_1) | instskip(NEXT) | instid1(VALU_DEP_1)
	v_fmac_f32_e32 v23, v24, v22
	v_fma_f32 v6, -v13, v23, v6
	s_delay_alu instid0(VALU_DEP_1) | instskip(SKIP_1) | instid1(VALU_DEP_2)
	v_div_fmas_f32 v6, v6, v22, v23
	v_bfi_b32 v23, 0x7fffffff, v1, v7
	v_div_fixup_f32 v22, v6, v12, |v7|
.LBB296_18:                             ;   in Loop: Header=BB296_4 Depth=1
	s_or_b32 exec_lo, exec_lo, s24
                                        ; implicit-def: $vgpr13
	s_and_saveexec_b32 s3, s2
	s_delay_alu instid0(SALU_CYCLE_1)
	s_xor_b32 s2, exec_lo, s3
	s_cbranch_execz .LBB296_20
; %bb.19:                               ;   in Loop: Header=BB296_4 Depth=1
	v_pk_mul_f32 v[6:7], v[22:23], 0.5 op_sel_hi:[1,0]
	s_delay_alu instid0(VALU_DEP_1)
	v_dual_cndmask_b32 v12, v22, v6, s23 :: v_dual_cndmask_b32 v13, v23, v7, s23
                                        ; implicit-def: $vgpr22_vgpr23
	s_and_not1_saveexec_b32 s2, s2
	s_cbranch_execnz .LBB296_21
	s_branch .LBB296_22
.LBB296_20:                             ;   in Loop: Header=BB296_4 Depth=1
	s_and_not1_saveexec_b32 s2, s2
.LBB296_21:                             ;   in Loop: Header=BB296_4 Depth=1
	v_pk_add_f32 v[12:13], v[22:23], v[22:23]
.LBB296_22:                             ;   in Loop: Header=BB296_4 Depth=1
	s_or_b32 exec_lo, exec_lo, s2
.LBB296_23:                             ;   in Loop: Header=BB296_4 Depth=1
	s_and_not1_saveexec_b32 s2, s22
	s_cbranch_execz .LBB296_53
; %bb.24:                               ;   in Loop: Header=BB296_4 Depth=1
	v_sub_f32_e32 v1, v9, v9
	s_mov_b32 s3, exec_lo
	s_delay_alu instid0(VALU_DEP_1)
	v_and_b32_e32 v12, 0x7fffffff, v1
	v_cmpx_lt_i32_e32 -1, v8
	s_xor_b32 s3, exec_lo, s3
; %bb.25:                               ;   in Loop: Header=BB296_4 Depth=1
	v_bfi_b32 v13, 0x7fffffff, v1, v9
	v_mov_b32_e32 v12, v8
; %bb.26:                               ;   in Loop: Header=BB296_4 Depth=1
	s_and_not1_saveexec_b32 s3, s3
; %bb.27:                               ;   in Loop: Header=BB296_4 Depth=1
	v_bfi_b32 v13, 0x7fffffff, v8, v9
; %bb.28:                               ;   in Loop: Header=BB296_4 Depth=1
	s_or_b32 exec_lo, exec_lo, s3
	s_delay_alu instid0(SALU_CYCLE_1)
	s_or_b32 exec_lo, exec_lo, s2
.LBB296_29:                             ;   in Loop: Header=BB296_4 Depth=1
	s_and_not1_saveexec_b32 s2, s21
	s_cbranch_execz .LBB296_31
.LBB296_30:                             ;   in Loop: Header=BB296_4 Depth=1
	v_sub_f32_e32 v1, v9, v9
	s_delay_alu instid0(VALU_DEP_1) | instskip(NEXT) | instid1(VALU_DEP_1)
	v_div_scale_f32 v6, vcc_lo, v1, v1, v1
	v_rcp_f32_e32 v7, v6
	v_nop
	s_delay_alu instid0(TRANS32_DEP_1) | instskip(NEXT) | instid1(VALU_DEP_1)
	v_fma_f32 v9, -v6, v7, 1.0
	v_fmac_f32_e32 v7, v9, v7
	s_delay_alu instid0(VALU_DEP_1) | instskip(NEXT) | instid1(VALU_DEP_1)
	v_mul_f32_e32 v9, v6, v7
	v_fma_f32 v12, -v6, v9, v6
	s_delay_alu instid0(VALU_DEP_1) | instskip(NEXT) | instid1(VALU_DEP_1)
	v_fmac_f32_e32 v9, v12, v7
	v_dual_mov_b32 v12, v8 :: v_dual_fma_f32 v6, -v6, v9, v6
	s_delay_alu instid0(VALU_DEP_1) | instskip(NEXT) | instid1(VALU_DEP_1)
	v_div_fmas_f32 v6, v6, v7, v9
	v_div_fixup_f32 v13, v6, v1, v1
.LBB296_31:                             ;   in Loop: Header=BB296_4 Depth=1
	s_or_b32 exec_lo, exec_lo, s2
	s_delay_alu instid0(VALU_DEP_1)
	v_mov_b32_e32 v9, v13
.LBB296_32:                             ;   in Loop: Header=BB296_4 Depth=1
	s_or_b32 exec_lo, exec_lo, s20
.LBB296_33:                             ;   in Loop: Header=BB296_4 Depth=1
	s_delay_alu instid0(SALU_CYCLE_1) | instskip(NEXT) | instid1(VALU_DEP_1)
	s_or_b32 exec_lo, exec_lo, s19
	v_cmp_gt_f32_e32 vcc_lo, 0, v9
                                        ; implicit-def: $vgpr6_vgpr7
	s_mov_b32 s2, exec_lo
	v_cndmask_b32_e64 v1, v9, -v9, vcc_lo
	v_cmp_gt_f32_e32 vcc_lo, 0, v12
	v_cndmask_b32_e64 v8, v12, -v12, vcc_lo
	s_delay_alu instid0(VALU_DEP_1)
	v_cmpx_ge_f32_e32 v8, v1
	s_xor_b32 s3, exec_lo, s2
	s_cbranch_execz .LBB296_39
; %bb.34:                               ;   in Loop: Header=BB296_4 Depth=1
	v_cmp_neq_f32_e32 vcc_lo, 0, v12
	v_cmp_neq_f32_e64 s2, 0, v9
                                        ; implicit-def: $vgpr6_vgpr7
	s_or_b32 s2, vcc_lo, s2
	s_delay_alu instid0(SALU_CYCLE_1) | instskip(NEXT) | instid1(SALU_CYCLE_1)
	s_and_saveexec_b32 s19, s2
	s_xor_b32 s2, exec_lo, s19
	s_cbranch_execz .LBB296_36
; %bb.35:                               ;   in Loop: Header=BB296_4 Depth=1
	v_div_scale_f32 v1, null, v12, v12, v9
	v_div_scale_f32 v8, vcc_lo, v9, v12, v9
	s_delay_alu instid0(VALU_DEP_2) | instskip(SKIP_1) | instid1(TRANS32_DEP_1)
	v_rcp_f32_e32 v6, v1
	v_nop
	v_fma_f32 v7, -v1, v6, 1.0
	s_delay_alu instid0(VALU_DEP_1) | instskip(NEXT) | instid1(VALU_DEP_1)
	v_fmac_f32_e32 v6, v7, v6
	v_mul_f32_e32 v7, v8, v6
	s_delay_alu instid0(VALU_DEP_1) | instskip(NEXT) | instid1(VALU_DEP_1)
	v_fma_f32 v13, -v1, v7, v8
	v_fmac_f32_e32 v7, v13, v6
	s_delay_alu instid0(VALU_DEP_1) | instskip(NEXT) | instid1(VALU_DEP_1)
	v_fma_f32 v1, -v1, v7, v8
	v_div_fmas_f32 v1, v1, v6, v7
	s_delay_alu instid0(VALU_DEP_1) | instskip(NEXT) | instid1(VALU_DEP_1)
	v_div_fixup_f32 v1, v1, v12, v9
	v_fmac_f32_e32 v12, v9, v1
	s_delay_alu instid0(VALU_DEP_1) | instskip(SKIP_1) | instid1(VALU_DEP_2)
	v_div_scale_f32 v6, null, v12, v12, 1.0
	v_div_scale_f32 v13, vcc_lo, 1.0, v12, 1.0
	v_rcp_f32_e32 v7, v6
	v_nop
	s_delay_alu instid0(TRANS32_DEP_1) | instskip(NEXT) | instid1(VALU_DEP_1)
	v_fma_f32 v8, -v6, v7, 1.0
	v_fmac_f32_e32 v7, v8, v7
	s_delay_alu instid0(VALU_DEP_1) | instskip(NEXT) | instid1(VALU_DEP_1)
	v_mul_f32_e32 v8, v13, v7
	v_fma_f32 v22, -v6, v8, v13
	s_delay_alu instid0(VALU_DEP_1) | instskip(NEXT) | instid1(VALU_DEP_1)
	v_fmac_f32_e32 v8, v22, v7
	v_dual_fma_f32 v6, -v6, v8, v13 :: v_dual_mul_f32 v13, 0, v1
	s_delay_alu instid0(VALU_DEP_1) | instskip(NEXT) | instid1(VALU_DEP_2)
	v_div_fmas_f32 v7, v6, v7, v8
	v_add_f32_e32 v6, 1.0, v13
	s_delay_alu instid0(VALU_DEP_2) | instskip(SKIP_1) | instid1(VALU_DEP_1)
	v_div_fixup_f32 v8, v7, v12, 1.0
	v_sub_f32_e32 v7, 0, v1
                                        ; implicit-def: $vgpr1
	v_pk_mul_f32 v[6:7], v[6:7], v[8:9] op_sel_hi:[1,0]
                                        ; implicit-def: $vgpr8
.LBB296_36:                             ;   in Loop: Header=BB296_4 Depth=1
	s_and_not1_saveexec_b32 s19, s2
	s_cbranch_execz .LBB296_38
; %bb.37:                               ;   in Loop: Header=BB296_4 Depth=1
	v_div_scale_f32 v6, null, v1, v1, 0
	v_div_scale_f32 v7, null, v8, v8, 1.0
	v_div_scale_f32 v24, vcc_lo, 0, v1, 0
	s_delay_alu instid0(VALU_DEP_3) | instskip(NEXT) | instid1(VALU_DEP_2)
	v_rcp_f32_e32 v12, v6
	v_rcp_f32_e32 v13, v7
	s_delay_alu instid0(TRANS32_DEP_2) | instskip(NEXT) | instid1(TRANS32_DEP_1)
	v_fma_f32 v22, -v6, v12, 1.0
	v_fma_f32 v23, -v7, v13, 1.0
	s_delay_alu instid0(VALU_DEP_1) | instskip(SKIP_1) | instid1(VALU_DEP_1)
	v_dual_fmac_f32 v12, v22, v12 :: v_dual_fmac_f32 v13, v23, v13
	v_div_scale_f32 v22, s2, 1.0, v8, 1.0
	v_dual_mul_f32 v23, v24, v12 :: v_dual_mul_f32 v25, v22, v13
	s_delay_alu instid0(VALU_DEP_1) | instskip(NEXT) | instid1(VALU_DEP_1)
	v_dual_fma_f32 v26, -v6, v23, v24 :: v_dual_fma_f32 v27, -v7, v25, v22
	v_dual_fmac_f32 v23, v26, v12 :: v_dual_fmac_f32 v25, v27, v13
	s_delay_alu instid0(VALU_DEP_1) | instskip(NEXT) | instid1(VALU_DEP_1)
	v_dual_fma_f32 v6, -v6, v23, v24 :: v_dual_fma_f32 v7, -v7, v25, v22
	v_div_fmas_f32 v6, v6, v12, v23
	s_mov_b32 vcc_lo, s2
	s_delay_alu instid0(VALU_DEP_2) | instskip(NEXT) | instid1(VALU_DEP_2)
	v_div_fmas_f32 v12, v7, v13, v25
	v_div_fixup_f32 v7, v6, v1, 0
	s_delay_alu instid0(VALU_DEP_2)
	v_div_fixup_f32 v6, v12, v8, 1.0
.LBB296_38:                             ;   in Loop: Header=BB296_4 Depth=1
	s_or_b32 exec_lo, exec_lo, s19
                                        ; implicit-def: $vgpr12
.LBB296_39:                             ;   in Loop: Header=BB296_4 Depth=1
	s_and_not1_saveexec_b32 s2, s3
	s_cbranch_execz .LBB296_41
; %bb.40:                               ;   in Loop: Header=BB296_4 Depth=1
	v_div_scale_f32 v1, null, v9, v9, v12
	v_div_scale_f32 v8, vcc_lo, v12, v9, v12
	s_delay_alu instid0(VALU_DEP_2) | instskip(SKIP_1) | instid1(TRANS32_DEP_1)
	v_rcp_f32_e32 v6, v1
	v_nop
	v_fma_f32 v7, -v1, v6, 1.0
	s_delay_alu instid0(VALU_DEP_1) | instskip(NEXT) | instid1(VALU_DEP_1)
	v_fmac_f32_e32 v6, v7, v6
	v_mul_f32_e32 v7, v8, v6
	s_delay_alu instid0(VALU_DEP_1) | instskip(NEXT) | instid1(VALU_DEP_1)
	v_fma_f32 v13, -v1, v7, v8
	v_fmac_f32_e32 v7, v13, v6
	s_delay_alu instid0(VALU_DEP_1) | instskip(NEXT) | instid1(VALU_DEP_1)
	v_fma_f32 v1, -v1, v7, v8
	v_div_fmas_f32 v1, v1, v6, v7
	s_delay_alu instid0(VALU_DEP_1) | instskip(NEXT) | instid1(VALU_DEP_1)
	v_div_fixup_f32 v6, v1, v9, v12
	v_fmac_f32_e32 v9, v12, v6
	s_delay_alu instid0(VALU_DEP_1) | instskip(SKIP_1) | instid1(VALU_DEP_2)
	v_div_scale_f32 v1, null, v9, v9, 1.0
	v_div_scale_f32 v12, vcc_lo, 1.0, v9, 1.0
	v_rcp_f32_e32 v7, v1
	v_nop
	s_delay_alu instid0(TRANS32_DEP_1) | instskip(NEXT) | instid1(VALU_DEP_1)
	v_fma_f32 v8, -v1, v7, 1.0
	v_fmac_f32_e32 v7, v8, v7
	s_delay_alu instid0(VALU_DEP_1) | instskip(NEXT) | instid1(VALU_DEP_1)
	v_mul_f32_e32 v8, v12, v7
	v_fma_f32 v13, -v1, v8, v12
	s_delay_alu instid0(VALU_DEP_1) | instskip(NEXT) | instid1(VALU_DEP_1)
	v_fmac_f32_e32 v8, v13, v7
	v_fma_f32 v1, -v1, v8, v12
	s_delay_alu instid0(VALU_DEP_1) | instskip(SKIP_1) | instid1(VALU_DEP_2)
	v_div_fmas_f32 v1, v1, v7, v8
	v_mul_f32_e32 v7, 0, v6
	v_div_fixup_f32 v8, v1, v9, 1.0
	s_delay_alu instid0(VALU_DEP_2) | instskip(NEXT) | instid1(VALU_DEP_1)
	v_pk_add_f32 v[6:7], v[6:7], v[16:17]
	v_pk_mul_f32 v[6:7], v[6:7], v[8:9] op_sel_hi:[1,0]
.LBB296_41:                             ;   in Loop: Header=BB296_4 Depth=1
	s_or_b32 exec_lo, exec_lo, s2
	v_cmp_neq_f32_e32 vcc_lo, 0, v10
	v_cmp_neq_f32_e64 s2, 0, v11
	v_mov_b32_e32 v1, 0
	s_or_b32 s2, vcc_lo, s2
	s_delay_alu instid0(SALU_CYCLE_1)
	s_and_saveexec_b32 s19, s2
	s_cbranch_execz .LBB296_72
; %bb.42:                               ;   in Loop: Header=BB296_4 Depth=1
	v_mov_b32_e32 v1, 0x7f800000
	s_mov_b32 s20, exec_lo
	v_cmpx_neq_f32_e64 0x7f800000, |v11|
	s_cbranch_execz .LBB296_71
; %bb.43:                               ;   in Loop: Header=BB296_4 Depth=1
                                        ; implicit-def: $vgpr1
	s_mov_b32 s2, exec_lo
	v_cmpx_o_f32_e32 v10, v10
	s_xor_b32 s21, exec_lo, s2
	s_cbranch_execz .LBB296_68
; %bb.44:                               ;   in Loop: Header=BB296_4 Depth=1
                                        ; implicit-def: $vgpr1
	s_mov_b32 s3, exec_lo
	v_cmpx_neq_f32_e64 0x7f800000, |v10|
	s_xor_b32 s22, exec_lo, s3
	s_cbranch_execz .LBB296_61
; %bb.45:                               ;   in Loop: Header=BB296_4 Depth=1
	v_max_num_f32_e64 v1, |v11|, |v11|
	v_max_num_f32_e64 v8, |v10|, |v10|
                                        ; implicit-def: $sgpr23
	s_delay_alu instid0(VALU_DEP_1) | instskip(NEXT) | instid1(VALU_DEP_1)
	v_max_num_f32_e32 v1, v8, v1
	v_cmp_nle_f32_e64 s2, 0x7ed413cb, v1
	s_and_saveexec_b32 s3, s2
	s_delay_alu instid0(SALU_CYCLE_1)
	s_xor_b32 s3, exec_lo, s3
	s_cbranch_execz .LBB296_49
; %bb.46:                               ;   in Loop: Header=BB296_4 Depth=1
	v_cmp_ge_f32_e64 s23, 0x1000000, |v10|
	v_cmp_ge_f32_e64 s24, 0x1000000, |v11|
	s_and_b32 s25, s23, s24
	s_mov_b32 s23, 0
	s_and_saveexec_b32 s24, s25
; %bb.47:                               ;   in Loop: Header=BB296_4 Depth=1
	v_pk_mul_f32 v[10:11], v[10:11], 4.0 op_sel_hi:[1,0]
	s_mov_b32 s23, exec_lo
; %bb.48:                               ;   in Loop: Header=BB296_4 Depth=1
	s_or_b32 exec_lo, exec_lo, s24
.LBB296_49:                             ;   in Loop: Header=BB296_4 Depth=1
	s_and_not1_saveexec_b32 s3, s3
; %bb.50:                               ;   in Loop: Header=BB296_4 Depth=1
	s_delay_alu instid0(VALU_DEP_1)
	v_pk_mul_f32 v[10:11], v[10:11], s[14:15] op_sel_hi:[1,0]
	s_and_not1_b32 s23, s23, exec_lo
; %bb.51:                               ;   in Loop: Header=BB296_4 Depth=1
	s_or_b32 exec_lo, exec_lo, s3
	s_delay_alu instid0(VALU_DEP_1) | instskip(NEXT) | instid1(VALU_DEP_2)
	v_max_num_f32_e64 v1, |v11|, |v11|
	v_max_num_f32_e64 v8, |v10|, |v10|
	s_delay_alu instid0(VALU_DEP_1) | instskip(NEXT) | instid1(VALU_DEP_1)
	v_max_num_f32_e32 v1, v8, v1
	v_cvt_f64_f32_e32 v[8:9], v1
	s_delay_alu instid0(VALU_DEP_1) | instskip(NEXT) | instid1(VALU_DEP_1)
	v_frexp_exp_i32_f64_e32 v8, v[8:9]
	v_sub_nc_u32_e32 v9, 0, v8
	v_cmp_neq_f32_e64 s3, 0x7f800000, v1
	s_delay_alu instid0(VALU_DEP_2) | instskip(SKIP_1) | instid1(VALU_DEP_2)
	v_ldexp_f32 v12, |v11|, v9
	v_ldexp_f32 v9, |v10|, v9
	v_mul_f32_e32 v12, v12, v12
	s_delay_alu instid0(VALU_DEP_1) | instskip(NEXT) | instid1(VALU_DEP_1)
	v_fmac_f32_e32 v12, v9, v9
	v_sqrt_f32_e32 v9, v12
	v_nop
	s_delay_alu instid0(TRANS32_DEP_1) | instskip(NEXT) | instid1(VALU_DEP_1)
	v_ldexp_f32 v8, v9, v8
	v_cndmask_b32_e64 v1, 0x7f800000, v8, s3
                                        ; implicit-def: $vgpr8_vgpr9
	s_mov_b32 s3, exec_lo
	v_cmpx_le_f32_e32 0, v10
	s_xor_b32 s24, exec_lo, s3
	s_cbranch_execz .LBB296_54
; %bb.52:                               ;   in Loop: Header=BB296_4 Depth=1
	v_add_f32_e32 v1, v10, v1
	s_delay_alu instid0(VALU_DEP_1) | instskip(NEXT) | instid1(VALU_DEP_1)
	v_mul_f32_e32 v1, 0.5, v1
	v_mul_f32_e32 v8, 0x4f800000, v1
	v_cmp_gt_f32_e32 vcc_lo, 0xf800000, v1
	s_delay_alu instid0(VALU_DEP_2) | instskip(NEXT) | instid1(VALU_DEP_1)
	v_cndmask_b32_e32 v1, v1, v8, vcc_lo
	v_sqrt_f32_e32 v8, v1
	v_nop
	s_delay_alu instid0(TRANS32_DEP_1) | instskip(NEXT) | instid1(VALU_DEP_1)
	v_dual_add_nc_u32 v9, -1, v8 :: v_dual_add_nc_u32 v10, 1, v8
	v_dual_fma_f32 v12, -v9, v8, v1 :: v_dual_fma_f32 v13, -v10, v8, v1
	s_delay_alu instid0(VALU_DEP_1) | instskip(NEXT) | instid1(VALU_DEP_1)
	v_cmp_ge_f32_e64 s3, 0, v12
	v_cndmask_b32_e64 v8, v8, v9, s3
	s_delay_alu instid0(VALU_DEP_3) | instskip(NEXT) | instid1(VALU_DEP_1)
	v_cmp_lt_f32_e64 s3, 0, v13
	v_cndmask_b32_e64 v8, v8, v10, s3
	s_delay_alu instid0(VALU_DEP_1) | instskip(NEXT) | instid1(VALU_DEP_1)
	v_mul_f32_e32 v9, 0x37800000, v8
	v_cndmask_b32_e32 v8, v8, v9, vcc_lo
	v_cmp_class_f32_e64 vcc_lo, v1, 0x260
	s_delay_alu instid0(VALU_DEP_2) | instskip(NEXT) | instid1(VALU_DEP_1)
	v_cndmask_b32_e32 v8, v8, v1, vcc_lo
	v_add_f32_e32 v1, v8, v8
	s_delay_alu instid0(VALU_DEP_1) | instskip(NEXT) | instid1(VALU_DEP_1)
	v_div_scale_f32 v9, null, v1, v1, v11
	v_rcp_f32_e32 v10, v9
	v_nop
	s_delay_alu instid0(TRANS32_DEP_1) | instskip(NEXT) | instid1(VALU_DEP_1)
	v_fma_f32 v12, -v9, v10, 1.0
	v_fmac_f32_e32 v10, v12, v10
	v_div_scale_f32 v12, vcc_lo, v11, v1, v11
	s_delay_alu instid0(VALU_DEP_1) | instskip(NEXT) | instid1(VALU_DEP_1)
	v_mul_f32_e32 v13, v12, v10
	v_fma_f32 v22, -v9, v13, v12
	s_delay_alu instid0(VALU_DEP_1) | instskip(NEXT) | instid1(VALU_DEP_1)
	v_fmac_f32_e32 v13, v22, v10
	v_fma_f32 v9, -v9, v13, v12
	s_delay_alu instid0(VALU_DEP_1) | instskip(NEXT) | instid1(VALU_DEP_1)
	v_div_fmas_f32 v9, v9, v10, v13
	v_div_fixup_f32 v9, v9, v1, v11
                                        ; implicit-def: $vgpr1
                                        ; implicit-def: $vgpr10_vgpr11
	s_and_not1_saveexec_b32 s24, s24
	s_cbranch_execz .LBB296_56
	s_branch .LBB296_55
.LBB296_53:                             ;   in Loop: Header=BB296_4 Depth=1
	s_or_b32 exec_lo, exec_lo, s2
	s_and_not1_saveexec_b32 s2, s21
	s_cbranch_execnz .LBB296_30
	s_branch .LBB296_31
.LBB296_54:                             ;   in Loop: Header=BB296_4 Depth=1
	s_and_not1_saveexec_b32 s24, s24
	s_cbranch_execz .LBB296_56
.LBB296_55:                             ;   in Loop: Header=BB296_4 Depth=1
	v_sub_f32_e32 v1, v1, v10
	s_delay_alu instid0(VALU_DEP_1) | instskip(NEXT) | instid1(VALU_DEP_1)
	v_mul_f32_e32 v1, 0.5, v1
	v_mul_f32_e32 v8, 0x4f800000, v1
	v_cmp_gt_f32_e32 vcc_lo, 0xf800000, v1
	s_delay_alu instid0(VALU_DEP_2) | instskip(NEXT) | instid1(VALU_DEP_1)
	v_cndmask_b32_e32 v1, v1, v8, vcc_lo
	v_sqrt_f32_e32 v8, v1
	v_nop
	s_delay_alu instid0(TRANS32_DEP_1) | instskip(NEXT) | instid1(VALU_DEP_1)
	v_dual_add_nc_u32 v9, -1, v8 :: v_dual_add_nc_u32 v10, 1, v8
	v_dual_fma_f32 v12, -v9, v8, v1 :: v_dual_fma_f32 v13, -v10, v8, v1
	s_delay_alu instid0(VALU_DEP_1) | instskip(NEXT) | instid1(VALU_DEP_1)
	v_cmp_ge_f32_e64 s3, 0, v12
	v_cndmask_b32_e64 v8, v8, v9, s3
	s_delay_alu instid0(VALU_DEP_3) | instskip(NEXT) | instid1(VALU_DEP_1)
	v_cmp_lt_f32_e64 s3, 0, v13
	v_cndmask_b32_e64 v8, v8, v10, s3
	s_delay_alu instid0(VALU_DEP_1) | instskip(NEXT) | instid1(VALU_DEP_1)
	v_mul_f32_e32 v9, 0x37800000, v8
	v_cndmask_b32_e32 v8, v8, v9, vcc_lo
	v_cmp_class_f32_e64 vcc_lo, v1, 0x260
	s_delay_alu instid0(VALU_DEP_2) | instskip(SKIP_1) | instid1(VALU_DEP_2)
	v_cndmask_b32_e32 v1, v8, v1, vcc_lo
	v_and_b32_e32 v8, 0x7fffffff, v11
	v_add_f32_e32 v9, v1, v1
	s_delay_alu instid0(VALU_DEP_1) | instskip(SKIP_1) | instid1(VALU_DEP_2)
	v_div_scale_f32 v10, null, v9, v9, v8
	v_div_scale_f32 v8, vcc_lo, v8, v9, v8
	v_rcp_f32_e32 v12, v10
	v_nop
	s_delay_alu instid0(TRANS32_DEP_1) | instskip(NEXT) | instid1(VALU_DEP_1)
	v_fma_f32 v13, -v10, v12, 1.0
	v_fmac_f32_e32 v12, v13, v12
	s_delay_alu instid0(VALU_DEP_1) | instskip(NEXT) | instid1(VALU_DEP_1)
	v_mul_f32_e32 v13, v8, v12
	v_fma_f32 v22, -v10, v13, v8
	s_delay_alu instid0(VALU_DEP_1) | instskip(NEXT) | instid1(VALU_DEP_1)
	v_fmac_f32_e32 v13, v22, v12
	v_fma_f32 v8, -v10, v13, v8
	s_delay_alu instid0(VALU_DEP_1) | instskip(NEXT) | instid1(VALU_DEP_1)
	v_div_fmas_f32 v8, v8, v12, v13
	v_div_fixup_f32 v8, v8, v9, |v11|
	v_bfi_b32 v9, 0x7fffffff, v1, v11
.LBB296_56:                             ;   in Loop: Header=BB296_4 Depth=1
	s_or_b32 exec_lo, exec_lo, s24
                                        ; implicit-def: $vgpr11
                                        ; implicit-def: $vgpr1
	s_and_saveexec_b32 s3, s2
	s_delay_alu instid0(SALU_CYCLE_1)
	s_xor_b32 s2, exec_lo, s3
	s_cbranch_execz .LBB296_58
; %bb.57:                               ;   in Loop: Header=BB296_4 Depth=1
	v_pk_mul_f32 v[10:11], v[8:9], 0.5 op_sel_hi:[1,0]
	s_delay_alu instid0(VALU_DEP_1)
	v_dual_cndmask_b32 v1, v8, v10, s23 :: v_dual_cndmask_b32 v11, v9, v11, s23
                                        ; implicit-def: $vgpr8_vgpr9
	s_and_not1_saveexec_b32 s2, s2
	s_cbranch_execnz .LBB296_59
	s_branch .LBB296_60
.LBB296_58:                             ;   in Loop: Header=BB296_4 Depth=1
	s_and_not1_saveexec_b32 s2, s2
.LBB296_59:                             ;   in Loop: Header=BB296_4 Depth=1
	v_pk_add_f32 v[10:11], v[8:9], v[8:9]
	s_delay_alu instid0(VALU_DEP_1)
	v_mov_b32_e32 v1, v10
.LBB296_60:                             ;   in Loop: Header=BB296_4 Depth=1
	s_or_b32 exec_lo, exec_lo, s2
.LBB296_61:                             ;   in Loop: Header=BB296_4 Depth=1
	s_and_not1_saveexec_b32 s2, s22
	s_cbranch_execz .LBB296_67
; %bb.62:                               ;   in Loop: Header=BB296_4 Depth=1
	v_sub_f32_e32 v8, v11, v11
	s_mov_b32 s3, exec_lo
	s_delay_alu instid0(VALU_DEP_1)
	v_and_b32_e32 v1, 0x7fffffff, v8
	v_cmpx_lt_i32_e32 -1, v10
	s_xor_b32 s3, exec_lo, s3
; %bb.63:                               ;   in Loop: Header=BB296_4 Depth=1
	v_bfi_b32 v11, 0x7fffffff, v8, v11
	v_mov_b32_e32 v1, v10
; %bb.64:                               ;   in Loop: Header=BB296_4 Depth=1
	s_and_not1_saveexec_b32 s3, s3
; %bb.65:                               ;   in Loop: Header=BB296_4 Depth=1
	s_delay_alu instid0(VALU_DEP_2)
	v_bfi_b32 v11, 0x7fffffff, v10, v11
; %bb.66:                               ;   in Loop: Header=BB296_4 Depth=1
	s_or_b32 exec_lo, exec_lo, s3
.LBB296_67:                             ;   in Loop: Header=BB296_4 Depth=1
	s_delay_alu instid0(SALU_CYCLE_1)
	s_or_b32 exec_lo, exec_lo, s2
.LBB296_68:                             ;   in Loop: Header=BB296_4 Depth=1
	s_and_not1_saveexec_b32 s2, s21
	s_cbranch_execz .LBB296_70
; %bb.69:                               ;   in Loop: Header=BB296_4 Depth=1
	v_sub_f32_e32 v1, v11, v11
	s_delay_alu instid0(VALU_DEP_1) | instskip(NEXT) | instid1(VALU_DEP_1)
	v_div_scale_f32 v8, vcc_lo, v1, v1, v1
	v_rcp_f32_e32 v9, v8
	v_nop
	s_delay_alu instid0(TRANS32_DEP_1) | instskip(NEXT) | instid1(VALU_DEP_1)
	v_fma_f32 v11, -v8, v9, 1.0
	v_fmac_f32_e32 v9, v11, v9
	s_delay_alu instid0(VALU_DEP_1) | instskip(NEXT) | instid1(VALU_DEP_1)
	v_mul_f32_e32 v11, v8, v9
	v_fma_f32 v12, -v8, v11, v8
	s_delay_alu instid0(VALU_DEP_1) | instskip(NEXT) | instid1(VALU_DEP_1)
	v_fmac_f32_e32 v11, v12, v9
	v_fma_f32 v8, -v8, v11, v8
	s_delay_alu instid0(VALU_DEP_1) | instskip(NEXT) | instid1(VALU_DEP_1)
	v_div_fmas_f32 v8, v8, v9, v11
	v_div_fixup_f32 v11, v8, v1, v1
	v_mov_b32_e32 v1, v10
.LBB296_70:                             ;   in Loop: Header=BB296_4 Depth=1
	s_or_b32 exec_lo, exec_lo, s2
.LBB296_71:                             ;   in Loop: Header=BB296_4 Depth=1
	s_delay_alu instid0(SALU_CYCLE_1)
	s_or_b32 exec_lo, exec_lo, s20
.LBB296_72:                             ;   in Loop: Header=BB296_4 Depth=1
	s_delay_alu instid0(SALU_CYCLE_1)
	s_or_b32 exec_lo, exec_lo, s19
	v_cmp_gt_f32_e32 vcc_lo, 0, v11
	s_mov_b32 s2, exec_lo
	v_cndmask_b32_e64 v10, v11, -v11, vcc_lo
	v_cmp_gt_f32_e32 vcc_lo, 0, v1
	v_cndmask_b32_e64 v12, v1, -v1, vcc_lo
	s_delay_alu instid0(VALU_DEP_1)
	v_cmpx_ge_f32_e32 v12, v10
	s_xor_b32 s3, exec_lo, s2
	s_cbranch_execz .LBB296_78
; %bb.73:                               ;   in Loop: Header=BB296_4 Depth=1
	v_cmp_neq_f32_e32 vcc_lo, 0, v1
	v_cmp_neq_f32_e64 s2, 0, v11
	s_or_b32 s2, vcc_lo, s2
	s_delay_alu instid0(SALU_CYCLE_1) | instskip(NEXT) | instid1(SALU_CYCLE_1)
	s_and_saveexec_b32 s19, s2
	s_xor_b32 s2, exec_lo, s19
	s_cbranch_execz .LBB296_75
; %bb.74:                               ;   in Loop: Header=BB296_4 Depth=1
	v_div_scale_f32 v8, null, v1, v1, v11
	v_div_scale_f32 v12, vcc_lo, v11, v1, v11
	s_delay_alu instid0(VALU_DEP_2) | instskip(SKIP_1) | instid1(TRANS32_DEP_1)
	v_rcp_f32_e32 v9, v8
	v_nop
	v_fma_f32 v10, -v8, v9, 1.0
	s_delay_alu instid0(VALU_DEP_1) | instskip(NEXT) | instid1(VALU_DEP_1)
	v_fmac_f32_e32 v9, v10, v9
	v_mul_f32_e32 v10, v12, v9
	s_delay_alu instid0(VALU_DEP_1) | instskip(NEXT) | instid1(VALU_DEP_1)
	v_fma_f32 v13, -v8, v10, v12
	v_fmac_f32_e32 v10, v13, v9
	s_delay_alu instid0(VALU_DEP_1) | instskip(NEXT) | instid1(VALU_DEP_1)
	v_fma_f32 v8, -v8, v10, v12
	v_div_fmas_f32 v8, v8, v9, v10
	s_delay_alu instid0(VALU_DEP_1) | instskip(NEXT) | instid1(VALU_DEP_1)
	v_div_fixup_f32 v9, v8, v1, v11
	v_fmac_f32_e32 v1, v11, v9
	s_delay_alu instid0(VALU_DEP_1) | instskip(SKIP_1) | instid1(VALU_DEP_2)
	v_div_scale_f32 v8, null, v1, v1, 1.0
	v_div_scale_f32 v12, vcc_lo, 1.0, v1, 1.0
	v_rcp_f32_e32 v10, v8
	v_nop
	s_delay_alu instid0(TRANS32_DEP_1) | instskip(NEXT) | instid1(VALU_DEP_1)
	v_fma_f32 v11, -v8, v10, 1.0
	v_fmac_f32_e32 v10, v11, v10
	s_delay_alu instid0(VALU_DEP_1) | instskip(NEXT) | instid1(VALU_DEP_1)
	v_mul_f32_e32 v11, v12, v10
	v_fma_f32 v13, -v8, v11, v12
	s_delay_alu instid0(VALU_DEP_1) | instskip(NEXT) | instid1(VALU_DEP_1)
	v_fmac_f32_e32 v11, v13, v10
	v_dual_fma_f32 v8, -v8, v11, v12 :: v_dual_mul_f32 v12, 0, v9
	v_sub_f32_e32 v9, 0, v9
	s_delay_alu instid0(VALU_DEP_2) | instskip(NEXT) | instid1(VALU_DEP_3)
	v_div_fmas_f32 v10, v8, v10, v11
	v_add_f32_e32 v8, 1.0, v12
                                        ; implicit-def: $vgpr12
	s_delay_alu instid0(VALU_DEP_2) | instskip(NEXT) | instid1(VALU_DEP_1)
	v_div_fixup_f32 v10, v10, v1, 1.0
	v_pk_mul_f32 v[8:9], v[8:9], v[10:11] op_sel_hi:[1,0]
                                        ; implicit-def: $vgpr10
.LBB296_75:                             ;   in Loop: Header=BB296_4 Depth=1
	s_and_not1_saveexec_b32 s19, s2
	s_cbranch_execz .LBB296_77
; %bb.76:                               ;   in Loop: Header=BB296_4 Depth=1
	v_div_scale_f32 v1, null, v10, v10, 0
	v_div_scale_f32 v8, null, v12, v12, 1.0
	v_div_scale_f32 v23, vcc_lo, 0, v10, 0
	s_delay_alu instid0(VALU_DEP_3) | instskip(NEXT) | instid1(VALU_DEP_2)
	v_rcp_f32_e32 v9, v1
	v_rcp_f32_e32 v11, v8
	s_delay_alu instid0(TRANS32_DEP_2) | instskip(NEXT) | instid1(TRANS32_DEP_1)
	v_fma_f32 v13, -v1, v9, 1.0
	v_fma_f32 v22, -v8, v11, 1.0
	s_delay_alu instid0(VALU_DEP_1) | instskip(SKIP_1) | instid1(VALU_DEP_1)
	v_dual_fmac_f32 v9, v13, v9 :: v_dual_fmac_f32 v11, v22, v11
	v_div_scale_f32 v13, s2, 1.0, v12, 1.0
	v_dual_mul_f32 v22, v23, v9 :: v_dual_mul_f32 v24, v13, v11
	s_delay_alu instid0(VALU_DEP_1) | instskip(NEXT) | instid1(VALU_DEP_1)
	v_dual_fma_f32 v25, -v1, v22, v23 :: v_dual_fma_f32 v26, -v8, v24, v13
	v_dual_fmac_f32 v22, v25, v9 :: v_dual_fmac_f32 v24, v26, v11
	s_delay_alu instid0(VALU_DEP_1) | instskip(NEXT) | instid1(VALU_DEP_1)
	v_dual_fma_f32 v1, -v1, v22, v23 :: v_dual_fma_f32 v8, -v8, v24, v13
	v_div_fmas_f32 v1, v1, v9, v22
	s_mov_b32 vcc_lo, s2
	s_delay_alu instid0(VALU_DEP_2) | instskip(NEXT) | instid1(VALU_DEP_2)
	v_div_fmas_f32 v8, v8, v11, v24
	v_div_fixup_f32 v9, v1, v10, 0
	s_delay_alu instid0(VALU_DEP_2)
	v_div_fixup_f32 v8, v8, v12, 1.0
.LBB296_77:                             ;   in Loop: Header=BB296_4 Depth=1
	s_or_b32 exec_lo, exec_lo, s19
                                        ; implicit-def: $vgpr11
                                        ; implicit-def: $vgpr1
.LBB296_78:                             ;   in Loop: Header=BB296_4 Depth=1
	s_and_not1_saveexec_b32 s2, s3
	s_cbranch_execz .LBB296_80
; %bb.79:                               ;   in Loop: Header=BB296_4 Depth=1
	v_div_scale_f32 v8, null, v11, v11, v1
	v_div_scale_f32 v12, vcc_lo, v1, v11, v1
	s_delay_alu instid0(VALU_DEP_2) | instskip(SKIP_1) | instid1(TRANS32_DEP_1)
	v_rcp_f32_e32 v9, v8
	v_nop
	v_fma_f32 v10, -v8, v9, 1.0
	s_delay_alu instid0(VALU_DEP_1) | instskip(NEXT) | instid1(VALU_DEP_1)
	v_fmac_f32_e32 v9, v10, v9
	v_mul_f32_e32 v10, v12, v9
	s_delay_alu instid0(VALU_DEP_1) | instskip(NEXT) | instid1(VALU_DEP_1)
	v_fma_f32 v13, -v8, v10, v12
	v_fmac_f32_e32 v10, v13, v9
	s_delay_alu instid0(VALU_DEP_1) | instskip(NEXT) | instid1(VALU_DEP_1)
	v_fma_f32 v8, -v8, v10, v12
	v_div_fmas_f32 v8, v8, v9, v10
	s_delay_alu instid0(VALU_DEP_1) | instskip(NEXT) | instid1(VALU_DEP_1)
	v_div_fixup_f32 v8, v8, v11, v1
	v_fmac_f32_e32 v11, v1, v8
	s_delay_alu instid0(VALU_DEP_1) | instskip(SKIP_1) | instid1(VALU_DEP_2)
	v_div_scale_f32 v1, null, v11, v11, 1.0
	v_div_scale_f32 v12, vcc_lo, 1.0, v11, 1.0
	v_rcp_f32_e32 v9, v1
	v_nop
	s_delay_alu instid0(TRANS32_DEP_1) | instskip(NEXT) | instid1(VALU_DEP_1)
	v_fma_f32 v10, -v1, v9, 1.0
	v_fmac_f32_e32 v9, v10, v9
	s_delay_alu instid0(VALU_DEP_1) | instskip(NEXT) | instid1(VALU_DEP_1)
	v_mul_f32_e32 v10, v12, v9
	v_fma_f32 v13, -v1, v10, v12
	s_delay_alu instid0(VALU_DEP_1) | instskip(NEXT) | instid1(VALU_DEP_1)
	v_fmac_f32_e32 v10, v13, v9
	v_fma_f32 v1, -v1, v10, v12
	s_delay_alu instid0(VALU_DEP_1) | instskip(SKIP_1) | instid1(VALU_DEP_2)
	v_div_fmas_f32 v1, v1, v9, v10
	v_mul_f32_e32 v9, 0, v8
	v_div_fixup_f32 v10, v1, v11, 1.0
	s_delay_alu instid0(VALU_DEP_2) | instskip(NEXT) | instid1(VALU_DEP_1)
	v_pk_add_f32 v[8:9], v[8:9], v[16:17]
	v_pk_mul_f32 v[8:9], v[8:9], v[10:11] op_sel_hi:[1,0]
.LBB296_80:                             ;   in Loop: Header=BB296_4 Depth=1
	s_or_b32 exec_lo, exec_lo, s2
	s_wait_loadcnt 0x0
	v_cmp_neq_f32_e32 vcc_lo, 0, v2
	v_cmp_neq_f32_e64 s2, 0, v3
	v_mov_b32_e32 v12, 0
	s_or_b32 s2, vcc_lo, s2
	s_delay_alu instid0(SALU_CYCLE_1)
	s_and_saveexec_b32 s19, s2
	s_cbranch_execz .LBB296_110
; %bb.81:                               ;   in Loop: Header=BB296_4 Depth=1
	v_mov_b32_e32 v12, 0x7f800000
	s_mov_b32 s20, exec_lo
	v_cmpx_neq_f32_e64 0x7f800000, |v3|
	s_cbranch_execz .LBB296_109
; %bb.82:                               ;   in Loop: Header=BB296_4 Depth=1
                                        ; implicit-def: $vgpr13
	s_mov_b32 s2, exec_lo
	v_cmpx_o_f32_e32 v2, v2
	s_xor_b32 s21, exec_lo, s2
	s_cbranch_execz .LBB296_106
; %bb.83:                               ;   in Loop: Header=BB296_4 Depth=1
                                        ; implicit-def: $vgpr13
	s_mov_b32 s3, exec_lo
	v_cmpx_neq_f32_e64 0x7f800000, |v2|
	s_xor_b32 s22, exec_lo, s3
	s_cbranch_execz .LBB296_99
; %bb.84:                               ;   in Loop: Header=BB296_4 Depth=1
	v_max_num_f32_e64 v1, |v3|, |v3|
	v_max_num_f32_e64 v10, |v2|, |v2|
                                        ; implicit-def: $sgpr23
	s_delay_alu instid0(VALU_DEP_1) | instskip(NEXT) | instid1(VALU_DEP_1)
	v_max_num_f32_e32 v1, v10, v1
                                        ; implicit-def: $vgpr10_vgpr11
	v_cmp_nle_f32_e64 s2, 0x7ed413cb, v1
	s_and_saveexec_b32 s3, s2
	s_delay_alu instid0(SALU_CYCLE_1)
	s_xor_b32 s3, exec_lo, s3
	s_cbranch_execz .LBB296_88
; %bb.85:                               ;   in Loop: Header=BB296_4 Depth=1
	v_cmp_ge_f32_e64 s23, 0x1000000, |v2|
	v_cmp_ge_f32_e64 s24, 0x1000000, |v3|
	v_mov_b64_e32 v[10:11], v[2:3]
	s_and_b32 s25, s23, s24
	s_mov_b32 s23, 0
	s_and_saveexec_b32 s24, s25
; %bb.86:                               ;   in Loop: Header=BB296_4 Depth=1
	v_pk_mul_f32 v[10:11], v[2:3], 4.0 op_sel_hi:[1,0]
	s_mov_b32 s23, exec_lo
; %bb.87:                               ;   in Loop: Header=BB296_4 Depth=1
	s_or_b32 exec_lo, exec_lo, s24
.LBB296_88:                             ;   in Loop: Header=BB296_4 Depth=1
	s_and_not1_saveexec_b32 s3, s3
; %bb.89:                               ;   in Loop: Header=BB296_4 Depth=1
	v_pk_mul_f32 v[10:11], v[2:3], s[14:15] op_sel_hi:[1,0]
	s_and_not1_b32 s23, s23, exec_lo
; %bb.90:                               ;   in Loop: Header=BB296_4 Depth=1
	s_or_b32 exec_lo, exec_lo, s3
	s_delay_alu instid0(VALU_DEP_1) | instskip(NEXT) | instid1(VALU_DEP_2)
	v_max_num_f32_e64 v1, |v11|, |v11|
	v_max_num_f32_e64 v12, |v10|, |v10|
	s_delay_alu instid0(VALU_DEP_1) | instskip(NEXT) | instid1(VALU_DEP_1)
	v_max_num_f32_e32 v1, v12, v1
	v_cvt_f64_f32_e32 v[12:13], v1
	s_delay_alu instid0(VALU_DEP_1) | instskip(NEXT) | instid1(VALU_DEP_1)
	v_frexp_exp_i32_f64_e32 v12, v[12:13]
	v_sub_nc_u32_e32 v13, 0, v12
	v_cmp_neq_f32_e64 s3, 0x7f800000, v1
	s_delay_alu instid0(VALU_DEP_2) | instskip(SKIP_1) | instid1(VALU_DEP_2)
	v_ldexp_f32 v22, |v11|, v13
	v_ldexp_f32 v13, |v10|, v13
	v_mul_f32_e32 v22, v22, v22
	s_delay_alu instid0(VALU_DEP_1) | instskip(NEXT) | instid1(VALU_DEP_1)
	v_fmac_f32_e32 v22, v13, v13
	v_sqrt_f32_e32 v13, v22
                                        ; implicit-def: $vgpr22_vgpr23
	v_nop
	s_delay_alu instid0(TRANS32_DEP_1) | instskip(NEXT) | instid1(VALU_DEP_1)
	v_ldexp_f32 v12, v13, v12
	v_cndmask_b32_e64 v1, 0x7f800000, v12, s3
	s_mov_b32 s3, exec_lo
	v_cmpx_le_f32_e32 0, v10
	s_xor_b32 s24, exec_lo, s3
	s_cbranch_execz .LBB296_92
; %bb.91:                               ;   in Loop: Header=BB296_4 Depth=1
	v_add_f32_e32 v1, v10, v1
	s_delay_alu instid0(VALU_DEP_1) | instskip(NEXT) | instid1(VALU_DEP_1)
	v_mul_f32_e32 v1, 0.5, v1
	v_mul_f32_e32 v10, 0x4f800000, v1
	v_cmp_gt_f32_e32 vcc_lo, 0xf800000, v1
	s_delay_alu instid0(VALU_DEP_2) | instskip(NEXT) | instid1(VALU_DEP_1)
	v_cndmask_b32_e32 v1, v1, v10, vcc_lo
	v_sqrt_f32_e32 v10, v1
	v_nop
	s_delay_alu instid0(TRANS32_DEP_1) | instskip(NEXT) | instid1(VALU_DEP_1)
	v_dual_add_nc_u32 v12, -1, v10 :: v_dual_add_nc_u32 v13, 1, v10
	v_dual_fma_f32 v22, -v12, v10, v1 :: v_dual_fma_f32 v23, -v13, v10, v1
	s_delay_alu instid0(VALU_DEP_1) | instskip(NEXT) | instid1(VALU_DEP_1)
	v_cmp_ge_f32_e64 s3, 0, v22
	v_cndmask_b32_e64 v10, v10, v12, s3
	s_delay_alu instid0(VALU_DEP_3) | instskip(NEXT) | instid1(VALU_DEP_1)
	v_cmp_lt_f32_e64 s3, 0, v23
	v_cndmask_b32_e64 v10, v10, v13, s3
	s_delay_alu instid0(VALU_DEP_1) | instskip(NEXT) | instid1(VALU_DEP_1)
	v_mul_f32_e32 v12, 0x37800000, v10
	v_cndmask_b32_e32 v10, v10, v12, vcc_lo
	v_cmp_class_f32_e64 vcc_lo, v1, 0x260
	s_delay_alu instid0(VALU_DEP_2) | instskip(NEXT) | instid1(VALU_DEP_1)
	v_cndmask_b32_e32 v22, v10, v1, vcc_lo
	v_add_f32_e32 v1, v22, v22
	s_delay_alu instid0(VALU_DEP_1) | instskip(NEXT) | instid1(VALU_DEP_1)
	v_div_scale_f32 v10, null, v1, v1, v11
	v_rcp_f32_e32 v12, v10
	v_nop
	s_delay_alu instid0(TRANS32_DEP_1) | instskip(NEXT) | instid1(VALU_DEP_1)
	v_fma_f32 v13, -v10, v12, 1.0
	v_fmac_f32_e32 v12, v13, v12
	v_div_scale_f32 v13, vcc_lo, v11, v1, v11
	s_delay_alu instid0(VALU_DEP_1) | instskip(NEXT) | instid1(VALU_DEP_1)
	v_mul_f32_e32 v23, v13, v12
	v_fma_f32 v24, -v10, v23, v13
	s_delay_alu instid0(VALU_DEP_1) | instskip(NEXT) | instid1(VALU_DEP_1)
	v_fmac_f32_e32 v23, v24, v12
	v_fma_f32 v10, -v10, v23, v13
	s_delay_alu instid0(VALU_DEP_1) | instskip(NEXT) | instid1(VALU_DEP_1)
	v_div_fmas_f32 v10, v10, v12, v23
	v_div_fixup_f32 v23, v10, v1, v11
                                        ; implicit-def: $vgpr1
                                        ; implicit-def: $vgpr10_vgpr11
	s_and_not1_saveexec_b32 s24, s24
	s_cbranch_execz .LBB296_94
	s_branch .LBB296_93
.LBB296_92:                             ;   in Loop: Header=BB296_4 Depth=1
	s_and_not1_saveexec_b32 s24, s24
	s_cbranch_execz .LBB296_94
.LBB296_93:                             ;   in Loop: Header=BB296_4 Depth=1
	v_sub_f32_e32 v1, v1, v10
	s_delay_alu instid0(VALU_DEP_1) | instskip(NEXT) | instid1(VALU_DEP_1)
	v_mul_f32_e32 v1, 0.5, v1
	v_mul_f32_e32 v10, 0x4f800000, v1
	v_cmp_gt_f32_e32 vcc_lo, 0xf800000, v1
	s_delay_alu instid0(VALU_DEP_2) | instskip(NEXT) | instid1(VALU_DEP_1)
	v_cndmask_b32_e32 v1, v1, v10, vcc_lo
	v_sqrt_f32_e32 v10, v1
	v_nop
	s_delay_alu instid0(TRANS32_DEP_1) | instskip(NEXT) | instid1(VALU_DEP_1)
	v_dual_add_nc_u32 v12, -1, v10 :: v_dual_add_nc_u32 v13, 1, v10
	v_dual_fma_f32 v22, -v12, v10, v1 :: v_dual_fma_f32 v23, -v13, v10, v1
	s_delay_alu instid0(VALU_DEP_1) | instskip(NEXT) | instid1(VALU_DEP_1)
	v_cmp_ge_f32_e64 s3, 0, v22
	v_cndmask_b32_e64 v10, v10, v12, s3
	s_delay_alu instid0(VALU_DEP_3) | instskip(NEXT) | instid1(VALU_DEP_1)
	v_cmp_lt_f32_e64 s3, 0, v23
	v_cndmask_b32_e64 v10, v10, v13, s3
	s_delay_alu instid0(VALU_DEP_1) | instskip(NEXT) | instid1(VALU_DEP_1)
	v_mul_f32_e32 v12, 0x37800000, v10
	v_cndmask_b32_e32 v10, v10, v12, vcc_lo
	v_cmp_class_f32_e64 vcc_lo, v1, 0x260
	s_delay_alu instid0(VALU_DEP_2) | instskip(SKIP_1) | instid1(VALU_DEP_2)
	v_cndmask_b32_e32 v1, v10, v1, vcc_lo
	v_and_b32_e32 v10, 0x7fffffff, v11
	v_add_f32_e32 v12, v1, v1
	s_delay_alu instid0(VALU_DEP_1) | instskip(SKIP_1) | instid1(VALU_DEP_2)
	v_div_scale_f32 v13, null, v12, v12, v10
	v_div_scale_f32 v10, vcc_lo, v10, v12, v10
	v_rcp_f32_e32 v22, v13
	v_nop
	s_delay_alu instid0(TRANS32_DEP_1) | instskip(NEXT) | instid1(VALU_DEP_1)
	v_fma_f32 v23, -v13, v22, 1.0
	v_fmac_f32_e32 v22, v23, v22
	s_delay_alu instid0(VALU_DEP_1) | instskip(NEXT) | instid1(VALU_DEP_1)
	v_mul_f32_e32 v23, v10, v22
	v_fma_f32 v24, -v13, v23, v10
	s_delay_alu instid0(VALU_DEP_1) | instskip(NEXT) | instid1(VALU_DEP_1)
	v_fmac_f32_e32 v23, v24, v22
	v_fma_f32 v10, -v13, v23, v10
	s_delay_alu instid0(VALU_DEP_1) | instskip(SKIP_1) | instid1(VALU_DEP_2)
	v_div_fmas_f32 v10, v10, v22, v23
	v_bfi_b32 v23, 0x7fffffff, v1, v11
	v_div_fixup_f32 v22, v10, v12, |v11|
.LBB296_94:                             ;   in Loop: Header=BB296_4 Depth=1
	s_or_b32 exec_lo, exec_lo, s24
                                        ; implicit-def: $vgpr13
	s_and_saveexec_b32 s3, s2
	s_delay_alu instid0(SALU_CYCLE_1)
	s_xor_b32 s2, exec_lo, s3
	s_cbranch_execz .LBB296_96
; %bb.95:                               ;   in Loop: Header=BB296_4 Depth=1
	v_pk_mul_f32 v[10:11], v[22:23], 0.5 op_sel_hi:[1,0]
	s_delay_alu instid0(VALU_DEP_1)
	v_dual_cndmask_b32 v12, v22, v10, s23 :: v_dual_cndmask_b32 v13, v23, v11, s23
                                        ; implicit-def: $vgpr22_vgpr23
	s_and_not1_saveexec_b32 s2, s2
	s_cbranch_execnz .LBB296_97
	s_branch .LBB296_98
.LBB296_96:                             ;   in Loop: Header=BB296_4 Depth=1
	s_and_not1_saveexec_b32 s2, s2
.LBB296_97:                             ;   in Loop: Header=BB296_4 Depth=1
	v_pk_add_f32 v[12:13], v[22:23], v[22:23]
.LBB296_98:                             ;   in Loop: Header=BB296_4 Depth=1
	s_or_b32 exec_lo, exec_lo, s2
.LBB296_99:                             ;   in Loop: Header=BB296_4 Depth=1
	s_and_not1_saveexec_b32 s2, s22
	s_cbranch_execz .LBB296_105
; %bb.100:                              ;   in Loop: Header=BB296_4 Depth=1
	v_sub_f32_e32 v1, v3, v3
	s_mov_b32 s3, exec_lo
	s_delay_alu instid0(VALU_DEP_1)
	v_and_b32_e32 v12, 0x7fffffff, v1
	v_cmpx_lt_i32_e32 -1, v2
	s_xor_b32 s3, exec_lo, s3
; %bb.101:                              ;   in Loop: Header=BB296_4 Depth=1
	v_bfi_b32 v13, 0x7fffffff, v1, v3
	v_mov_b32_e32 v12, v2
; %bb.102:                              ;   in Loop: Header=BB296_4 Depth=1
	s_and_not1_saveexec_b32 s3, s3
; %bb.103:                              ;   in Loop: Header=BB296_4 Depth=1
	v_bfi_b32 v13, 0x7fffffff, v2, v3
; %bb.104:                              ;   in Loop: Header=BB296_4 Depth=1
	s_or_b32 exec_lo, exec_lo, s3
.LBB296_105:                            ;   in Loop: Header=BB296_4 Depth=1
	s_delay_alu instid0(SALU_CYCLE_1)
	s_or_b32 exec_lo, exec_lo, s2
.LBB296_106:                            ;   in Loop: Header=BB296_4 Depth=1
	s_and_not1_saveexec_b32 s2, s21
	s_cbranch_execz .LBB296_108
; %bb.107:                              ;   in Loop: Header=BB296_4 Depth=1
	v_sub_f32_e32 v1, v3, v3
	s_delay_alu instid0(VALU_DEP_1) | instskip(NEXT) | instid1(VALU_DEP_1)
	v_div_scale_f32 v3, vcc_lo, v1, v1, v1
	v_rcp_f32_e32 v10, v3
	v_nop
	s_delay_alu instid0(TRANS32_DEP_1) | instskip(NEXT) | instid1(VALU_DEP_1)
	v_fma_f32 v11, -v3, v10, 1.0
	v_fmac_f32_e32 v10, v11, v10
	s_delay_alu instid0(VALU_DEP_1) | instskip(NEXT) | instid1(VALU_DEP_1)
	v_mul_f32_e32 v11, v3, v10
	v_fma_f32 v12, -v3, v11, v3
	s_delay_alu instid0(VALU_DEP_1) | instskip(NEXT) | instid1(VALU_DEP_1)
	v_dual_fmac_f32 v11, v12, v10 :: v_dual_mov_b32 v12, v2
	v_fma_f32 v3, -v3, v11, v3
	s_delay_alu instid0(VALU_DEP_1) | instskip(NEXT) | instid1(VALU_DEP_1)
	v_div_fmas_f32 v3, v3, v10, v11
	v_div_fixup_f32 v13, v3, v1, v1
.LBB296_108:                            ;   in Loop: Header=BB296_4 Depth=1
	s_or_b32 exec_lo, exec_lo, s2
	s_delay_alu instid0(VALU_DEP_1)
	v_mov_b32_e32 v3, v13
.LBB296_109:                            ;   in Loop: Header=BB296_4 Depth=1
	s_or_b32 exec_lo, exec_lo, s20
.LBB296_110:                            ;   in Loop: Header=BB296_4 Depth=1
	s_delay_alu instid0(SALU_CYCLE_1) | instskip(NEXT) | instid1(VALU_DEP_1)
	s_or_b32 exec_lo, exec_lo, s19
	v_cmp_gt_f32_e32 vcc_lo, 0, v3
                                        ; implicit-def: $vgpr10_vgpr11
	s_mov_b32 s2, exec_lo
	v_cndmask_b32_e64 v1, v3, -v3, vcc_lo
	v_cmp_gt_f32_e32 vcc_lo, 0, v12
	v_cndmask_b32_e64 v2, v12, -v12, vcc_lo
	s_delay_alu instid0(VALU_DEP_1)
	v_cmpx_ge_f32_e32 v2, v1
	s_xor_b32 s3, exec_lo, s2
	s_cbranch_execz .LBB296_116
; %bb.111:                              ;   in Loop: Header=BB296_4 Depth=1
	v_cmp_neq_f32_e32 vcc_lo, 0, v12
	v_cmp_neq_f32_e64 s2, 0, v3
                                        ; implicit-def: $vgpr10_vgpr11
	s_or_b32 s2, vcc_lo, s2
	s_delay_alu instid0(SALU_CYCLE_1) | instskip(NEXT) | instid1(SALU_CYCLE_1)
	s_and_saveexec_b32 s19, s2
	s_xor_b32 s2, exec_lo, s19
	s_cbranch_execz .LBB296_113
; %bb.112:                              ;   in Loop: Header=BB296_4 Depth=1
	v_div_scale_f32 v1, null, v12, v12, v3
	v_div_scale_f32 v11, vcc_lo, v3, v12, v3
	s_delay_alu instid0(VALU_DEP_2) | instskip(SKIP_1) | instid1(TRANS32_DEP_1)
	v_rcp_f32_e32 v2, v1
	v_nop
	v_fma_f32 v10, -v1, v2, 1.0
	s_delay_alu instid0(VALU_DEP_1) | instskip(NEXT) | instid1(VALU_DEP_1)
	v_fmac_f32_e32 v2, v10, v2
	v_mul_f32_e32 v10, v11, v2
	s_delay_alu instid0(VALU_DEP_1) | instskip(NEXT) | instid1(VALU_DEP_1)
	v_fma_f32 v13, -v1, v10, v11
	v_fmac_f32_e32 v10, v13, v2
	s_delay_alu instid0(VALU_DEP_1) | instskip(NEXT) | instid1(VALU_DEP_1)
	v_fma_f32 v1, -v1, v10, v11
	v_div_fmas_f32 v1, v1, v2, v10
	s_delay_alu instid0(VALU_DEP_1) | instskip(NEXT) | instid1(VALU_DEP_1)
	v_div_fixup_f32 v1, v1, v12, v3
	v_fmac_f32_e32 v12, v3, v1
	s_delay_alu instid0(VALU_DEP_1) | instskip(SKIP_1) | instid1(VALU_DEP_2)
	v_div_scale_f32 v2, null, v12, v12, 1.0
	v_div_scale_f32 v13, vcc_lo, 1.0, v12, 1.0
	v_rcp_f32_e32 v10, v2
	v_nop
	s_delay_alu instid0(TRANS32_DEP_1) | instskip(NEXT) | instid1(VALU_DEP_1)
	v_fma_f32 v11, -v2, v10, 1.0
	v_fmac_f32_e32 v10, v11, v10
	s_delay_alu instid0(VALU_DEP_1) | instskip(NEXT) | instid1(VALU_DEP_1)
	v_mul_f32_e32 v11, v13, v10
	v_fma_f32 v22, -v2, v11, v13
	s_delay_alu instid0(VALU_DEP_1) | instskip(NEXT) | instid1(VALU_DEP_1)
	v_fmac_f32_e32 v11, v22, v10
	v_dual_fma_f32 v2, -v2, v11, v13 :: v_dual_mul_f32 v13, 0, v1
	s_delay_alu instid0(VALU_DEP_1) | instskip(NEXT) | instid1(VALU_DEP_2)
	v_div_fmas_f32 v2, v2, v10, v11
	v_add_f32_e32 v10, 1.0, v13
	v_sub_f32_e32 v11, 0, v1
                                        ; implicit-def: $vgpr1
	s_delay_alu instid0(VALU_DEP_3) | instskip(NEXT) | instid1(VALU_DEP_1)
	v_div_fixup_f32 v2, v2, v12, 1.0
	v_pk_mul_f32 v[10:11], v[10:11], v[2:3] op_sel_hi:[1,0]
                                        ; implicit-def: $vgpr2
.LBB296_113:                            ;   in Loop: Header=BB296_4 Depth=1
	s_and_not1_saveexec_b32 s19, s2
	s_cbranch_execz .LBB296_115
; %bb.114:                              ;   in Loop: Header=BB296_4 Depth=1
	v_div_scale_f32 v10, null, v1, v1, 0
	v_div_scale_f32 v11, null, v2, v2, 1.0
	v_div_scale_f32 v24, vcc_lo, 0, v1, 0
	s_delay_alu instid0(VALU_DEP_3) | instskip(NEXT) | instid1(VALU_DEP_2)
	v_rcp_f32_e32 v12, v10
	v_rcp_f32_e32 v13, v11
	s_delay_alu instid0(TRANS32_DEP_2) | instskip(NEXT) | instid1(TRANS32_DEP_1)
	v_fma_f32 v22, -v10, v12, 1.0
	v_fma_f32 v23, -v11, v13, 1.0
	s_delay_alu instid0(VALU_DEP_1) | instskip(SKIP_1) | instid1(VALU_DEP_1)
	v_dual_fmac_f32 v12, v22, v12 :: v_dual_fmac_f32 v13, v23, v13
	v_div_scale_f32 v22, s2, 1.0, v2, 1.0
	v_dual_mul_f32 v23, v24, v12 :: v_dual_mul_f32 v25, v22, v13
	s_delay_alu instid0(VALU_DEP_1) | instskip(NEXT) | instid1(VALU_DEP_1)
	v_dual_fma_f32 v26, -v10, v23, v24 :: v_dual_fma_f32 v27, -v11, v25, v22
	v_dual_fmac_f32 v23, v26, v12 :: v_dual_fmac_f32 v25, v27, v13
	s_delay_alu instid0(VALU_DEP_1) | instskip(NEXT) | instid1(VALU_DEP_1)
	v_dual_fma_f32 v10, -v10, v23, v24 :: v_dual_fma_f32 v11, -v11, v25, v22
	v_div_fmas_f32 v10, v10, v12, v23
	s_mov_b32 vcc_lo, s2
	s_delay_alu instid0(VALU_DEP_2) | instskip(NEXT) | instid1(VALU_DEP_2)
	v_div_fmas_f32 v12, v11, v13, v25
	v_div_fixup_f32 v11, v10, v1, 0
	s_delay_alu instid0(VALU_DEP_2)
	v_div_fixup_f32 v10, v12, v2, 1.0
.LBB296_115:                            ;   in Loop: Header=BB296_4 Depth=1
	s_or_b32 exec_lo, exec_lo, s19
                                        ; implicit-def: $vgpr12
.LBB296_116:                            ;   in Loop: Header=BB296_4 Depth=1
	s_and_not1_saveexec_b32 s2, s3
	s_cbranch_execz .LBB296_118
; %bb.117:                              ;   in Loop: Header=BB296_4 Depth=1
	v_div_scale_f32 v1, null, v3, v3, v12
	v_div_scale_f32 v11, vcc_lo, v12, v3, v12
	s_delay_alu instid0(VALU_DEP_2) | instskip(SKIP_1) | instid1(TRANS32_DEP_1)
	v_rcp_f32_e32 v2, v1
	v_nop
	v_fma_f32 v10, -v1, v2, 1.0
	s_delay_alu instid0(VALU_DEP_1) | instskip(NEXT) | instid1(VALU_DEP_1)
	v_fmac_f32_e32 v2, v10, v2
	v_mul_f32_e32 v10, v11, v2
	s_delay_alu instid0(VALU_DEP_1) | instskip(NEXT) | instid1(VALU_DEP_1)
	v_fma_f32 v13, -v1, v10, v11
	v_fmac_f32_e32 v10, v13, v2
	s_delay_alu instid0(VALU_DEP_1) | instskip(NEXT) | instid1(VALU_DEP_1)
	v_fma_f32 v1, -v1, v10, v11
	v_div_fmas_f32 v1, v1, v2, v10
	s_delay_alu instid0(VALU_DEP_1) | instskip(NEXT) | instid1(VALU_DEP_1)
	v_div_fixup_f32 v10, v1, v3, v12
	v_fmac_f32_e32 v3, v12, v10
	s_delay_alu instid0(VALU_DEP_1) | instskip(SKIP_1) | instid1(VALU_DEP_2)
	v_div_scale_f32 v1, null, v3, v3, 1.0
	v_div_scale_f32 v12, vcc_lo, 1.0, v3, 1.0
	v_rcp_f32_e32 v2, v1
	v_nop
	s_delay_alu instid0(TRANS32_DEP_1) | instskip(NEXT) | instid1(VALU_DEP_1)
	v_fma_f32 v11, -v1, v2, 1.0
	v_fmac_f32_e32 v2, v11, v2
	s_delay_alu instid0(VALU_DEP_1) | instskip(NEXT) | instid1(VALU_DEP_1)
	v_mul_f32_e32 v11, v12, v2
	v_fma_f32 v13, -v1, v11, v12
	s_delay_alu instid0(VALU_DEP_1) | instskip(NEXT) | instid1(VALU_DEP_1)
	v_fmac_f32_e32 v11, v13, v2
	v_fma_f32 v1, -v1, v11, v12
	s_delay_alu instid0(VALU_DEP_1) | instskip(SKIP_1) | instid1(VALU_DEP_2)
	v_div_fmas_f32 v1, v1, v2, v11
	v_mul_f32_e32 v11, 0, v10
	v_div_fixup_f32 v2, v1, v3, 1.0
	s_delay_alu instid0(VALU_DEP_2) | instskip(NEXT) | instid1(VALU_DEP_1)
	v_pk_add_f32 v[10:11], v[10:11], v[16:17]
	v_pk_mul_f32 v[10:11], v[10:11], v[2:3] op_sel_hi:[1,0]
.LBB296_118:                            ;   in Loop: Header=BB296_4 Depth=1
	s_or_b32 exec_lo, exec_lo, s2
	v_cmp_neq_f32_e32 vcc_lo, 0, v4
	v_cmp_neq_f32_e64 s2, 0, v5
	v_mov_b32_e32 v1, 0
	s_or_b32 s2, vcc_lo, s2
	s_delay_alu instid0(SALU_CYCLE_1)
	s_and_saveexec_b32 s19, s2
	s_cbranch_execz .LBB296_148
; %bb.119:                              ;   in Loop: Header=BB296_4 Depth=1
	v_mov_b32_e32 v1, 0x7f800000
	s_mov_b32 s20, exec_lo
	v_cmpx_neq_f32_e64 0x7f800000, |v5|
	s_cbranch_execz .LBB296_147
; %bb.120:                              ;   in Loop: Header=BB296_4 Depth=1
                                        ; implicit-def: $vgpr1
	s_mov_b32 s2, exec_lo
	v_cmpx_o_f32_e32 v4, v4
	s_xor_b32 s21, exec_lo, s2
	s_cbranch_execz .LBB296_144
; %bb.121:                              ;   in Loop: Header=BB296_4 Depth=1
                                        ; implicit-def: $vgpr1
	s_mov_b32 s3, exec_lo
	v_cmpx_neq_f32_e64 0x7f800000, |v4|
	s_xor_b32 s22, exec_lo, s3
	s_cbranch_execz .LBB296_137
; %bb.122:                              ;   in Loop: Header=BB296_4 Depth=1
	v_max_num_f32_e64 v1, |v5|, |v5|
	v_max_num_f32_e64 v2, |v4|, |v4|
                                        ; implicit-def: $sgpr23
	s_delay_alu instid0(VALU_DEP_1) | instskip(NEXT) | instid1(VALU_DEP_1)
	v_max_num_f32_e32 v1, v2, v1
	v_cmp_nle_f32_e64 s2, 0x7ed413cb, v1
	s_and_saveexec_b32 s3, s2
	s_delay_alu instid0(SALU_CYCLE_1)
	s_xor_b32 s3, exec_lo, s3
	s_cbranch_execz .LBB296_126
; %bb.123:                              ;   in Loop: Header=BB296_4 Depth=1
	v_cmp_ge_f32_e64 s23, 0x1000000, |v4|
	v_cmp_ge_f32_e64 s24, 0x1000000, |v5|
	s_and_b32 s25, s23, s24
	s_mov_b32 s23, 0
	s_and_saveexec_b32 s24, s25
; %bb.124:                              ;   in Loop: Header=BB296_4 Depth=1
	v_pk_mul_f32 v[4:5], v[4:5], 4.0 op_sel_hi:[1,0]
	s_mov_b32 s23, exec_lo
; %bb.125:                              ;   in Loop: Header=BB296_4 Depth=1
	s_or_b32 exec_lo, exec_lo, s24
.LBB296_126:                            ;   in Loop: Header=BB296_4 Depth=1
	s_and_not1_saveexec_b32 s3, s3
; %bb.127:                              ;   in Loop: Header=BB296_4 Depth=1
	s_delay_alu instid0(VALU_DEP_1)
	v_pk_mul_f32 v[4:5], v[4:5], s[14:15] op_sel_hi:[1,0]
	s_and_not1_b32 s23, s23, exec_lo
; %bb.128:                              ;   in Loop: Header=BB296_4 Depth=1
	s_or_b32 exec_lo, exec_lo, s3
	s_delay_alu instid0(VALU_DEP_1) | instskip(NEXT) | instid1(VALU_DEP_2)
	v_max_num_f32_e64 v1, |v5|, |v5|
	v_max_num_f32_e64 v2, |v4|, |v4|
	s_delay_alu instid0(VALU_DEP_1) | instskip(NEXT) | instid1(VALU_DEP_1)
	v_max_num_f32_e32 v1, v2, v1
	v_cvt_f64_f32_e32 v[2:3], v1
	s_delay_alu instid0(VALU_DEP_1) | instskip(NEXT) | instid1(VALU_DEP_1)
	v_frexp_exp_i32_f64_e32 v2, v[2:3]
	v_sub_nc_u32_e32 v3, 0, v2
	v_cmp_neq_f32_e64 s3, 0x7f800000, v1
	s_delay_alu instid0(VALU_DEP_2) | instskip(SKIP_1) | instid1(VALU_DEP_2)
	v_ldexp_f32 v12, |v5|, v3
	v_ldexp_f32 v3, |v4|, v3
	v_mul_f32_e32 v12, v12, v12
	s_delay_alu instid0(VALU_DEP_1) | instskip(NEXT) | instid1(VALU_DEP_1)
	v_fmac_f32_e32 v12, v3, v3
	v_sqrt_f32_e32 v3, v12
	v_nop
	s_delay_alu instid0(TRANS32_DEP_1) | instskip(NEXT) | instid1(VALU_DEP_1)
	v_ldexp_f32 v2, v3, v2
	v_cndmask_b32_e64 v1, 0x7f800000, v2, s3
                                        ; implicit-def: $vgpr2_vgpr3
	s_mov_b32 s3, exec_lo
	v_cmpx_le_f32_e32 0, v4
	s_xor_b32 s24, exec_lo, s3
	s_cbranch_execz .LBB296_130
; %bb.129:                              ;   in Loop: Header=BB296_4 Depth=1
	v_add_f32_e32 v1, v4, v1
	s_delay_alu instid0(VALU_DEP_1) | instskip(NEXT) | instid1(VALU_DEP_1)
	v_mul_f32_e32 v1, 0.5, v1
	v_mul_f32_e32 v2, 0x4f800000, v1
	v_cmp_gt_f32_e32 vcc_lo, 0xf800000, v1
	s_delay_alu instid0(VALU_DEP_2) | instskip(NEXT) | instid1(VALU_DEP_1)
	v_cndmask_b32_e32 v1, v1, v2, vcc_lo
	v_sqrt_f32_e32 v2, v1
	v_nop
	s_delay_alu instid0(TRANS32_DEP_1) | instskip(NEXT) | instid1(VALU_DEP_1)
	v_dual_add_nc_u32 v3, -1, v2 :: v_dual_add_nc_u32 v4, 1, v2
	v_dual_fma_f32 v12, -v3, v2, v1 :: v_dual_fma_f32 v13, -v4, v2, v1
	s_delay_alu instid0(VALU_DEP_1) | instskip(NEXT) | instid1(VALU_DEP_1)
	v_cmp_ge_f32_e64 s3, 0, v12
	v_cndmask_b32_e64 v2, v2, v3, s3
	s_delay_alu instid0(VALU_DEP_3) | instskip(NEXT) | instid1(VALU_DEP_1)
	v_cmp_lt_f32_e64 s3, 0, v13
	v_cndmask_b32_e64 v2, v2, v4, s3
	s_delay_alu instid0(VALU_DEP_1) | instskip(NEXT) | instid1(VALU_DEP_1)
	v_mul_f32_e32 v3, 0x37800000, v2
	v_cndmask_b32_e32 v2, v2, v3, vcc_lo
	v_cmp_class_f32_e64 vcc_lo, v1, 0x260
	s_delay_alu instid0(VALU_DEP_2) | instskip(NEXT) | instid1(VALU_DEP_1)
	v_cndmask_b32_e32 v2, v2, v1, vcc_lo
	v_add_f32_e32 v1, v2, v2
	s_delay_alu instid0(VALU_DEP_1) | instskip(NEXT) | instid1(VALU_DEP_1)
	v_div_scale_f32 v3, null, v1, v1, v5
	v_rcp_f32_e32 v4, v3
	v_nop
	s_delay_alu instid0(TRANS32_DEP_1) | instskip(NEXT) | instid1(VALU_DEP_1)
	v_fma_f32 v12, -v3, v4, 1.0
	v_fmac_f32_e32 v4, v12, v4
	v_div_scale_f32 v12, vcc_lo, v5, v1, v5
	s_delay_alu instid0(VALU_DEP_1) | instskip(NEXT) | instid1(VALU_DEP_1)
	v_mul_f32_e32 v13, v12, v4
	v_fma_f32 v22, -v3, v13, v12
	s_delay_alu instid0(VALU_DEP_1) | instskip(NEXT) | instid1(VALU_DEP_1)
	v_fmac_f32_e32 v13, v22, v4
	v_fma_f32 v3, -v3, v13, v12
	s_delay_alu instid0(VALU_DEP_1) | instskip(NEXT) | instid1(VALU_DEP_1)
	v_div_fmas_f32 v3, v3, v4, v13
	v_div_fixup_f32 v3, v3, v1, v5
                                        ; implicit-def: $vgpr1
                                        ; implicit-def: $vgpr4_vgpr5
	s_and_not1_saveexec_b32 s24, s24
	s_cbranch_execz .LBB296_132
	s_branch .LBB296_131
.LBB296_130:                            ;   in Loop: Header=BB296_4 Depth=1
	s_and_not1_saveexec_b32 s24, s24
	s_cbranch_execz .LBB296_132
.LBB296_131:                            ;   in Loop: Header=BB296_4 Depth=1
	v_sub_f32_e32 v1, v1, v4
	s_delay_alu instid0(VALU_DEP_1) | instskip(NEXT) | instid1(VALU_DEP_1)
	v_mul_f32_e32 v1, 0.5, v1
	v_mul_f32_e32 v2, 0x4f800000, v1
	v_cmp_gt_f32_e32 vcc_lo, 0xf800000, v1
	s_delay_alu instid0(VALU_DEP_2) | instskip(NEXT) | instid1(VALU_DEP_1)
	v_cndmask_b32_e32 v1, v1, v2, vcc_lo
	v_sqrt_f32_e32 v2, v1
	v_nop
	s_delay_alu instid0(TRANS32_DEP_1) | instskip(NEXT) | instid1(VALU_DEP_1)
	v_dual_add_nc_u32 v3, -1, v2 :: v_dual_add_nc_u32 v4, 1, v2
	v_dual_fma_f32 v12, -v3, v2, v1 :: v_dual_fma_f32 v13, -v4, v2, v1
	s_delay_alu instid0(VALU_DEP_1) | instskip(NEXT) | instid1(VALU_DEP_1)
	v_cmp_ge_f32_e64 s3, 0, v12
	v_cndmask_b32_e64 v2, v2, v3, s3
	s_delay_alu instid0(VALU_DEP_3) | instskip(NEXT) | instid1(VALU_DEP_1)
	v_cmp_lt_f32_e64 s3, 0, v13
	v_cndmask_b32_e64 v2, v2, v4, s3
	s_delay_alu instid0(VALU_DEP_1) | instskip(NEXT) | instid1(VALU_DEP_1)
	v_mul_f32_e32 v3, 0x37800000, v2
	v_cndmask_b32_e32 v2, v2, v3, vcc_lo
	v_cmp_class_f32_e64 vcc_lo, v1, 0x260
	s_delay_alu instid0(VALU_DEP_2) | instskip(SKIP_1) | instid1(VALU_DEP_2)
	v_cndmask_b32_e32 v1, v2, v1, vcc_lo
	v_and_b32_e32 v2, 0x7fffffff, v5
	v_add_f32_e32 v3, v1, v1
	s_delay_alu instid0(VALU_DEP_1) | instskip(SKIP_1) | instid1(VALU_DEP_2)
	v_div_scale_f32 v4, null, v3, v3, v2
	v_div_scale_f32 v2, vcc_lo, v2, v3, v2
	v_rcp_f32_e32 v12, v4
	v_nop
	s_delay_alu instid0(TRANS32_DEP_1) | instskip(NEXT) | instid1(VALU_DEP_1)
	v_fma_f32 v13, -v4, v12, 1.0
	v_fmac_f32_e32 v12, v13, v12
	s_delay_alu instid0(VALU_DEP_1) | instskip(NEXT) | instid1(VALU_DEP_1)
	v_mul_f32_e32 v13, v2, v12
	v_fma_f32 v22, -v4, v13, v2
	s_delay_alu instid0(VALU_DEP_1) | instskip(NEXT) | instid1(VALU_DEP_1)
	v_fmac_f32_e32 v13, v22, v12
	v_fma_f32 v2, -v4, v13, v2
	s_delay_alu instid0(VALU_DEP_1) | instskip(NEXT) | instid1(VALU_DEP_1)
	v_div_fmas_f32 v2, v2, v12, v13
	v_div_fixup_f32 v2, v2, v3, |v5|
	v_bfi_b32 v3, 0x7fffffff, v1, v5
.LBB296_132:                            ;   in Loop: Header=BB296_4 Depth=1
	s_or_b32 exec_lo, exec_lo, s24
                                        ; implicit-def: $vgpr5
                                        ; implicit-def: $vgpr1
	s_and_saveexec_b32 s3, s2
	s_delay_alu instid0(SALU_CYCLE_1)
	s_xor_b32 s2, exec_lo, s3
	s_cbranch_execz .LBB296_134
; %bb.133:                              ;   in Loop: Header=BB296_4 Depth=1
	v_pk_mul_f32 v[4:5], v[2:3], 0.5 op_sel_hi:[1,0]
	s_delay_alu instid0(VALU_DEP_1)
	v_dual_cndmask_b32 v1, v2, v4, s23 :: v_dual_cndmask_b32 v5, v3, v5, s23
                                        ; implicit-def: $vgpr2_vgpr3
	s_and_not1_saveexec_b32 s2, s2
	s_cbranch_execnz .LBB296_135
	s_branch .LBB296_136
.LBB296_134:                            ;   in Loop: Header=BB296_4 Depth=1
	s_and_not1_saveexec_b32 s2, s2
.LBB296_135:                            ;   in Loop: Header=BB296_4 Depth=1
	v_pk_add_f32 v[4:5], v[2:3], v[2:3]
	s_delay_alu instid0(VALU_DEP_1)
	v_mov_b32_e32 v1, v4
.LBB296_136:                            ;   in Loop: Header=BB296_4 Depth=1
	s_or_b32 exec_lo, exec_lo, s2
.LBB296_137:                            ;   in Loop: Header=BB296_4 Depth=1
	s_and_not1_saveexec_b32 s2, s22
	s_cbranch_execz .LBB296_143
; %bb.138:                              ;   in Loop: Header=BB296_4 Depth=1
	v_sub_f32_e32 v2, v5, v5
	s_mov_b32 s3, exec_lo
	s_delay_alu instid0(VALU_DEP_1)
	v_and_b32_e32 v1, 0x7fffffff, v2
	v_cmpx_lt_i32_e32 -1, v4
	s_xor_b32 s3, exec_lo, s3
; %bb.139:                              ;   in Loop: Header=BB296_4 Depth=1
	v_bfi_b32 v5, 0x7fffffff, v2, v5
	v_mov_b32_e32 v1, v4
; %bb.140:                              ;   in Loop: Header=BB296_4 Depth=1
	s_and_not1_saveexec_b32 s3, s3
; %bb.141:                              ;   in Loop: Header=BB296_4 Depth=1
	s_delay_alu instid0(VALU_DEP_2)
	v_bfi_b32 v5, 0x7fffffff, v4, v5
; %bb.142:                              ;   in Loop: Header=BB296_4 Depth=1
	s_or_b32 exec_lo, exec_lo, s3
.LBB296_143:                            ;   in Loop: Header=BB296_4 Depth=1
	s_delay_alu instid0(SALU_CYCLE_1)
	s_or_b32 exec_lo, exec_lo, s2
.LBB296_144:                            ;   in Loop: Header=BB296_4 Depth=1
	s_and_not1_saveexec_b32 s2, s21
	s_cbranch_execz .LBB296_146
; %bb.145:                              ;   in Loop: Header=BB296_4 Depth=1
	v_sub_f32_e32 v1, v5, v5
	s_delay_alu instid0(VALU_DEP_1) | instskip(NEXT) | instid1(VALU_DEP_1)
	v_div_scale_f32 v2, vcc_lo, v1, v1, v1
	v_rcp_f32_e32 v3, v2
	v_nop
	s_delay_alu instid0(TRANS32_DEP_1) | instskip(NEXT) | instid1(VALU_DEP_1)
	v_fma_f32 v5, -v2, v3, 1.0
	v_fmac_f32_e32 v3, v5, v3
	s_delay_alu instid0(VALU_DEP_1) | instskip(NEXT) | instid1(VALU_DEP_1)
	v_mul_f32_e32 v5, v2, v3
	v_fma_f32 v12, -v2, v5, v2
	s_delay_alu instid0(VALU_DEP_1) | instskip(NEXT) | instid1(VALU_DEP_1)
	v_fmac_f32_e32 v5, v12, v3
	v_fma_f32 v2, -v2, v5, v2
	s_delay_alu instid0(VALU_DEP_1) | instskip(NEXT) | instid1(VALU_DEP_1)
	v_div_fmas_f32 v2, v2, v3, v5
	v_div_fixup_f32 v5, v2, v1, v1
	v_mov_b32_e32 v1, v4
.LBB296_146:                            ;   in Loop: Header=BB296_4 Depth=1
	s_or_b32 exec_lo, exec_lo, s2
.LBB296_147:                            ;   in Loop: Header=BB296_4 Depth=1
	s_delay_alu instid0(SALU_CYCLE_1)
	s_or_b32 exec_lo, exec_lo, s20
.LBB296_148:                            ;   in Loop: Header=BB296_4 Depth=1
	s_delay_alu instid0(SALU_CYCLE_1)
	s_or_b32 exec_lo, exec_lo, s19
	v_cmp_gt_f32_e32 vcc_lo, 0, v5
	s_mov_b32 s2, exec_lo
	v_cndmask_b32_e64 v2, v5, -v5, vcc_lo
	v_cmp_gt_f32_e32 vcc_lo, 0, v1
	v_cndmask_b32_e64 v3, v1, -v1, vcc_lo
	s_delay_alu instid0(VALU_DEP_1)
	v_cmpx_ge_f32_e32 v3, v2
	s_xor_b32 s3, exec_lo, s2
	s_cbranch_execz .LBB296_154
; %bb.149:                              ;   in Loop: Header=BB296_4 Depth=1
	v_cmp_neq_f32_e32 vcc_lo, 0, v1
	v_cmp_neq_f32_e64 s2, 0, v5
	s_or_b32 s2, vcc_lo, s2
	s_delay_alu instid0(SALU_CYCLE_1) | instskip(NEXT) | instid1(SALU_CYCLE_1)
	s_and_saveexec_b32 s19, s2
	s_xor_b32 s2, exec_lo, s19
	s_cbranch_execz .LBB296_151
; %bb.150:                              ;   in Loop: Header=BB296_4 Depth=1
	v_div_scale_f32 v2, null, v1, v1, v5
	v_div_scale_f32 v12, vcc_lo, v5, v1, v5
	s_delay_alu instid0(VALU_DEP_2) | instskip(SKIP_1) | instid1(TRANS32_DEP_1)
	v_rcp_f32_e32 v3, v2
	v_nop
	v_fma_f32 v4, -v2, v3, 1.0
	s_delay_alu instid0(VALU_DEP_1) | instskip(NEXT) | instid1(VALU_DEP_1)
	v_fmac_f32_e32 v3, v4, v3
	v_mul_f32_e32 v4, v12, v3
	s_delay_alu instid0(VALU_DEP_1) | instskip(NEXT) | instid1(VALU_DEP_1)
	v_fma_f32 v13, -v2, v4, v12
	v_fmac_f32_e32 v4, v13, v3
	s_delay_alu instid0(VALU_DEP_1) | instskip(NEXT) | instid1(VALU_DEP_1)
	v_fma_f32 v2, -v2, v4, v12
	v_div_fmas_f32 v2, v2, v3, v4
	s_delay_alu instid0(VALU_DEP_1) | instskip(NEXT) | instid1(VALU_DEP_1)
	v_div_fixup_f32 v3, v2, v1, v5
	v_fmac_f32_e32 v1, v5, v3
	s_delay_alu instid0(VALU_DEP_1) | instskip(SKIP_1) | instid1(VALU_DEP_2)
	v_div_scale_f32 v2, null, v1, v1, 1.0
	v_div_scale_f32 v12, vcc_lo, 1.0, v1, 1.0
	v_rcp_f32_e32 v4, v2
	v_nop
	s_delay_alu instid0(TRANS32_DEP_1) | instskip(NEXT) | instid1(VALU_DEP_1)
	v_fma_f32 v5, -v2, v4, 1.0
	v_fmac_f32_e32 v4, v5, v4
	s_delay_alu instid0(VALU_DEP_1) | instskip(NEXT) | instid1(VALU_DEP_1)
	v_mul_f32_e32 v5, v12, v4
	v_fma_f32 v13, -v2, v5, v12
	s_delay_alu instid0(VALU_DEP_1) | instskip(NEXT) | instid1(VALU_DEP_1)
	v_fmac_f32_e32 v5, v13, v4
	v_dual_fma_f32 v2, -v2, v5, v12 :: v_dual_mul_f32 v12, 0, v3
	v_sub_f32_e32 v3, 0, v3
	s_delay_alu instid0(VALU_DEP_2) | instskip(NEXT) | instid1(VALU_DEP_3)
	v_div_fmas_f32 v4, v2, v4, v5
	v_add_f32_e32 v2, 1.0, v12
	s_delay_alu instid0(VALU_DEP_2) | instskip(NEXT) | instid1(VALU_DEP_1)
	v_div_fixup_f32 v4, v4, v1, 1.0
	v_pk_mul_f32 v[12:13], v[2:3], v[4:5] op_sel_hi:[1,0]
                                        ; implicit-def: $vgpr2
                                        ; implicit-def: $vgpr3
.LBB296_151:                            ;   in Loop: Header=BB296_4 Depth=1
	s_and_not1_saveexec_b32 s19, s2
	s_cbranch_execz .LBB296_153
; %bb.152:                              ;   in Loop: Header=BB296_4 Depth=1
	v_div_scale_f32 v1, null, v2, v2, 0
	v_div_scale_f32 v4, null, v3, v3, 1.0
	v_div_scale_f32 v23, vcc_lo, 0, v2, 0
	s_delay_alu instid0(VALU_DEP_3) | instskip(NEXT) | instid1(VALU_DEP_2)
	v_rcp_f32_e32 v5, v1
	v_rcp_f32_e32 v12, v4
	s_delay_alu instid0(TRANS32_DEP_2) | instskip(NEXT) | instid1(TRANS32_DEP_1)
	v_fma_f32 v13, -v1, v5, 1.0
	v_fma_f32 v22, -v4, v12, 1.0
	s_delay_alu instid0(VALU_DEP_1) | instskip(SKIP_1) | instid1(VALU_DEP_1)
	v_dual_fmac_f32 v5, v13, v5 :: v_dual_fmac_f32 v12, v22, v12
	v_div_scale_f32 v13, s2, 1.0, v3, 1.0
	v_dual_mul_f32 v22, v23, v5 :: v_dual_mul_f32 v24, v13, v12
	s_delay_alu instid0(VALU_DEP_1) | instskip(NEXT) | instid1(VALU_DEP_1)
	v_dual_fma_f32 v25, -v1, v22, v23 :: v_dual_fma_f32 v26, -v4, v24, v13
	v_dual_fmac_f32 v22, v25, v5 :: v_dual_fmac_f32 v24, v26, v12
	s_delay_alu instid0(VALU_DEP_1) | instskip(NEXT) | instid1(VALU_DEP_1)
	v_dual_fma_f32 v1, -v1, v22, v23 :: v_dual_fma_f32 v4, -v4, v24, v13
	v_div_fmas_f32 v1, v1, v5, v22
	s_mov_b32 vcc_lo, s2
	s_delay_alu instid0(VALU_DEP_2) | instskip(NEXT) | instid1(VALU_DEP_2)
	v_div_fmas_f32 v4, v4, v12, v24
	v_div_fixup_f32 v13, v1, v2, 0
	s_delay_alu instid0(VALU_DEP_2)
	v_div_fixup_f32 v12, v4, v3, 1.0
.LBB296_153:                            ;   in Loop: Header=BB296_4 Depth=1
	s_or_b32 exec_lo, exec_lo, s19
                                        ; implicit-def: $vgpr5
                                        ; implicit-def: $vgpr1
.LBB296_154:                            ;   in Loop: Header=BB296_4 Depth=1
	s_and_not1_saveexec_b32 s2, s3
	s_cbranch_execz .LBB296_3
; %bb.155:                              ;   in Loop: Header=BB296_4 Depth=1
	v_div_scale_f32 v2, null, v5, v5, v1
	v_div_scale_f32 v12, vcc_lo, v1, v5, v1
	s_delay_alu instid0(VALU_DEP_2) | instskip(SKIP_1) | instid1(TRANS32_DEP_1)
	v_rcp_f32_e32 v3, v2
	v_nop
	v_fma_f32 v4, -v2, v3, 1.0
	s_delay_alu instid0(VALU_DEP_1) | instskip(NEXT) | instid1(VALU_DEP_1)
	v_fmac_f32_e32 v3, v4, v3
	v_mul_f32_e32 v4, v12, v3
	s_delay_alu instid0(VALU_DEP_1) | instskip(NEXT) | instid1(VALU_DEP_1)
	v_fma_f32 v13, -v2, v4, v12
	v_fmac_f32_e32 v4, v13, v3
	s_delay_alu instid0(VALU_DEP_1) | instskip(NEXT) | instid1(VALU_DEP_1)
	v_fma_f32 v2, -v2, v4, v12
	v_div_fmas_f32 v2, v2, v3, v4
	s_delay_alu instid0(VALU_DEP_1) | instskip(NEXT) | instid1(VALU_DEP_1)
	v_div_fixup_f32 v2, v2, v5, v1
	v_fmac_f32_e32 v5, v1, v2
	s_delay_alu instid0(VALU_DEP_1) | instskip(SKIP_1) | instid1(VALU_DEP_2)
	v_div_scale_f32 v1, null, v5, v5, 1.0
	v_div_scale_f32 v12, vcc_lo, 1.0, v5, 1.0
	v_rcp_f32_e32 v3, v1
	v_nop
	s_delay_alu instid0(TRANS32_DEP_1) | instskip(NEXT) | instid1(VALU_DEP_1)
	v_fma_f32 v4, -v1, v3, 1.0
	v_fmac_f32_e32 v3, v4, v3
	s_delay_alu instid0(VALU_DEP_1) | instskip(NEXT) | instid1(VALU_DEP_1)
	v_mul_f32_e32 v4, v12, v3
	v_fma_f32 v13, -v1, v4, v12
	s_delay_alu instid0(VALU_DEP_1) | instskip(NEXT) | instid1(VALU_DEP_1)
	v_fmac_f32_e32 v4, v13, v3
	v_fma_f32 v1, -v1, v4, v12
	s_delay_alu instid0(VALU_DEP_1) | instskip(SKIP_1) | instid1(VALU_DEP_2)
	v_div_fmas_f32 v1, v1, v3, v4
	v_mul_f32_e32 v3, 0, v2
	v_div_fixup_f32 v4, v1, v5, 1.0
	s_delay_alu instid0(VALU_DEP_2) | instskip(NEXT) | instid1(VALU_DEP_1)
	v_pk_add_f32 v[2:3], v[2:3], v[16:17]
	v_pk_mul_f32 v[12:13], v[2:3], v[4:5] op_sel_hi:[1,0]
	s_branch .LBB296_3
.LBB296_156:
	s_or_b32 exec_lo, exec_lo, s15
	s_mov_b32 s2, 0
.LBB296_157:
	s_delay_alu instid0(SALU_CYCLE_1)
	s_and_not1_b32 vcc_lo, exec_lo, s2
	s_cbranch_vccnz .LBB296_329
; %bb.158:
	v_cmp_lt_i64_e64 s2, s[10:11], 1
	s_and_b32 vcc_lo, exec_lo, s2
	s_cbranch_vccnz .LBB296_329
; %bb.159:
	s_load_b32 s0, s[0:1], 0xc5c
	v_min_i64 v[2:3], 0x10000, s[10:11]
	v_min_u64 v[4:5], 0x10000, s[10:11]
	v_dual_mov_b32 v1, 0 :: v_dual_lshlrev_b32 v12, 3, v0
	s_wait_xcnt 0x0
	s_mov_b32 s1, 0
	v_mov_b64_e32 v[28:29], 0xbf80000000000000
	s_mov_b32 s11, s1
	v_dual_mov_b32 v13, v1 :: v_dual_mov_b32 v27, v1
	s_mov_b32 s3, s1
	s_mov_b32 s13, s1
	;; [unrolled: 1-line block ×3, first 2 shown]
	s_delay_alu instid0(VALU_DEP_1) | instskip(SKIP_3) | instid1(SALU_CYCLE_1)
	v_add_nc_u64_e32 v[6:7], s[4:5], v[12:13]
	v_add_nc_u64_e32 v[8:9], s[8:9], v[12:13]
	s_wait_kmcnt 0x0
	s_and_b32 s0, s0, 0xffff
	v_add_nc_u64_e32 v[10:11], s[0:1], v[0:1]
	v_mad_nc_u64_u32 v[22:23], s0, 24, v[12:13]
	s_lshl_b32 s10, s0, 4
	s_lshl_b32 s2, s0, 1
	v_add_nc_u64_e32 v[18:19], s[10:11], v[12:13]
	s_mul_i32 s12, s0, 3
	v_add_nc_u64_e32 v[14:15], s[2:3], v[0:1]
	v_lshlrev_b32_e32 v26, 3, v10
	v_add_nc_u64_e32 v[12:13], s[12:13], v[0:1]
	s_lshl_b32 s10, s0, 2
	s_mov_b64 s[12:13], 0
	v_add_nc_u64_e32 v[16:17], s[4:5], v[18:19]
	v_add_nc_u64_e32 v[18:19], s[8:9], v[18:19]
	;; [unrolled: 1-line block ×6, first 2 shown]
	s_lshl_b32 s8, s0, 5
	s_mov_b32 s9, s1
	s_branch .LBB296_161
.LBB296_160:                            ;   in Loop: Header=BB296_161 Depth=1
	s_wait_xcnt 0x0
	s_or_b32 exec_lo, exec_lo, s0
	s_add_nc_u64 s[12:13], s[12:13], s[10:11]
	v_add_nc_u64_e32 v[6:7], s[8:9], v[6:7]
	v_cmp_ge_i64_e32 vcc_lo, s[12:13], v[2:3]
	v_add_nc_u64_e32 v[8:9], s[8:9], v[8:9]
	v_add_nc_u64_e32 v[20:21], s[8:9], v[20:21]
	v_add_nc_u64_e32 v[22:23], s[8:9], v[22:23]
	v_add_nc_u64_e32 v[16:17], s[8:9], v[16:17]
	v_add_nc_u64_e32 v[18:19], s[8:9], v[18:19]
	v_add_nc_u64_e32 v[24:25], s[8:9], v[24:25]
	v_add_nc_u64_e32 v[26:27], s[8:9], v[26:27]
	s_cbranch_vccnz .LBB296_329
.LBB296_161:                            ; =>This Inner Loop Header: Depth=1
	v_add_nc_u64_e32 v[30:31], s[12:13], v[0:1]
	v_mov_b64_e32 v[38:39], 0
	v_mov_b64_e32 v[36:37], 0
	s_delay_alu instid0(VALU_DEP_3)
	v_cmp_lt_u64_e64 s0, v[30:31], v[4:5]
	s_and_saveexec_b32 s1, s0
	s_cbranch_execz .LBB296_163
; %bb.162:                              ;   in Loop: Header=BB296_161 Depth=1
	v_add_nc_u64_e32 v[30:31], s[6:7], v[6:7]
	global_load_b64 v[36:37], v[30:31], off
.LBB296_163:                            ;   in Loop: Header=BB296_161 Depth=1
	s_wait_xcnt 0x0
	s_or_b32 exec_lo, exec_lo, s1
	v_add_nc_u64_e32 v[30:31], s[12:13], v[10:11]
	s_delay_alu instid0(VALU_DEP_1)
	v_cmp_lt_u64_e64 s1, v[30:31], v[4:5]
	s_and_saveexec_b32 s2, s1
	s_cbranch_execz .LBB296_165
; %bb.164:                              ;   in Loop: Header=BB296_161 Depth=1
	v_add_nc_u64_e32 v[30:31], s[6:7], v[24:25]
	global_load_b64 v[38:39], v[30:31], off
.LBB296_165:                            ;   in Loop: Header=BB296_161 Depth=1
	s_wait_xcnt 0x0
	s_or_b32 exec_lo, exec_lo, s2
	v_add_nc_u64_e32 v[32:33], s[12:13], v[14:15]
	v_mov_b64_e32 v[30:31], 0
	v_mov_b64_e32 v[34:35], 0
	s_delay_alu instid0(VALU_DEP_3)
	v_cmp_lt_u64_e64 s2, v[32:33], v[4:5]
	s_and_saveexec_b32 s3, s2
	s_cbranch_execz .LBB296_167
; %bb.166:                              ;   in Loop: Header=BB296_161 Depth=1
	v_add_nc_u64_e32 v[32:33], s[6:7], v[16:17]
	global_load_b64 v[34:35], v[32:33], off
.LBB296_167:                            ;   in Loop: Header=BB296_161 Depth=1
	s_wait_xcnt 0x0
	s_or_b32 exec_lo, exec_lo, s3
	v_add_nc_u64_e32 v[32:33], s[12:13], v[12:13]
	s_delay_alu instid0(VALU_DEP_1)
	v_cmp_lt_u64_e64 s3, v[32:33], v[4:5]
	s_and_saveexec_b32 s4, s3
	s_cbranch_execz .LBB296_169
; %bb.168:                              ;   in Loop: Header=BB296_161 Depth=1
	v_add_nc_u64_e32 v[30:31], s[6:7], v[20:21]
	global_load_b64 v[30:31], v[30:31], off
.LBB296_169:                            ;   in Loop: Header=BB296_161 Depth=1
	s_wait_xcnt 0x0
	s_or_b32 exec_lo, exec_lo, s4
	s_wait_loadcnt 0x0
	v_cmp_neq_f32_e32 vcc_lo, 0, v36
	v_cmp_neq_f32_e64 s4, 0, v37
	v_mov_b32_e32 v40, 0
	s_or_b32 s4, vcc_lo, s4
	s_delay_alu instid0(SALU_CYCLE_1)
	s_and_saveexec_b32 s15, s4
	s_cbranch_execz .LBB296_198
; %bb.170:                              ;   in Loop: Header=BB296_161 Depth=1
	v_mov_b32_e32 v40, 0x7f800000
	s_mov_b32 s16, exec_lo
	v_cmpx_neq_f32_e64 0x7f800000, |v37|
	s_cbranch_execz .LBB296_197
; %bb.171:                              ;   in Loop: Header=BB296_161 Depth=1
                                        ; implicit-def: $vgpr40
	s_mov_b32 s4, exec_lo
	v_cmpx_o_f32_e32 v36, v36
	s_xor_b32 s17, exec_lo, s4
	s_cbranch_execz .LBB296_194
; %bb.172:                              ;   in Loop: Header=BB296_161 Depth=1
                                        ; implicit-def: $vgpr40
	s_mov_b32 s5, exec_lo
	v_cmpx_neq_f32_e64 0x7f800000, |v36|
	s_xor_b32 s18, exec_lo, s5
	s_cbranch_execz .LBB296_188
; %bb.173:                              ;   in Loop: Header=BB296_161 Depth=1
	v_max_num_f32_e64 v32, |v36|, |v36|
	v_max_num_f32_e64 v33, |v37|, |v37|
                                        ; implicit-def: $sgpr19
	s_delay_alu instid0(VALU_DEP_1) | instskip(NEXT) | instid1(VALU_DEP_1)
	v_max_num_f32_e32 v32, v33, v32
	v_cmp_nle_f32_e64 s4, 0x7ed413cb, v32
	s_and_saveexec_b32 s5, s4
	s_delay_alu instid0(SALU_CYCLE_1)
	s_xor_b32 s5, exec_lo, s5
	s_cbranch_execz .LBB296_177
; %bb.174:                              ;   in Loop: Header=BB296_161 Depth=1
	v_cmp_ge_f32_e64 s19, 0x1000000, |v36|
	v_cmp_ge_f32_e64 s20, 0x1000000, |v37|
	s_and_b32 s21, s20, s19
	s_mov_b32 s19, 0
	s_and_saveexec_b32 s20, s21
; %bb.175:                              ;   in Loop: Header=BB296_161 Depth=1
	v_pk_mul_f32 v[36:37], v[36:37], 4.0 op_sel_hi:[1,0]
	s_mov_b32 s19, exec_lo
; %bb.176:                              ;   in Loop: Header=BB296_161 Depth=1
	s_or_b32 exec_lo, exec_lo, s20
.LBB296_177:                            ;   in Loop: Header=BB296_161 Depth=1
	s_and_not1_saveexec_b32 s5, s5
; %bb.178:                              ;   in Loop: Header=BB296_161 Depth=1
	s_delay_alu instid0(VALU_DEP_1)
	v_pk_mul_f32 v[36:37], v[36:37], s[14:15] op_sel_hi:[1,0]
	s_and_not1_b32 s19, s19, exec_lo
; %bb.179:                              ;   in Loop: Header=BB296_161 Depth=1
	s_or_b32 exec_lo, exec_lo, s5
	s_delay_alu instid0(VALU_DEP_1) | instskip(NEXT) | instid1(VALU_DEP_2)
	v_max_num_f32_e64 v32, |v37|, |v37|
	v_max_num_f32_e64 v33, |v36|, |v36|
	s_delay_alu instid0(VALU_DEP_1) | instskip(NEXT) | instid1(VALU_DEP_1)
	v_max_num_f32_e32 v40, v33, v32
	v_cvt_f64_f32_e32 v[32:33], v40
	s_delay_alu instid0(VALU_DEP_1) | instskip(NEXT) | instid1(VALU_DEP_1)
	v_frexp_exp_i32_f64_e32 v32, v[32:33]
	v_sub_nc_u32_e32 v33, 0, v32
	v_cmp_neq_f32_e64 s5, 0x7f800000, v40
	s_delay_alu instid0(VALU_DEP_2) | instskip(SKIP_1) | instid1(VALU_DEP_2)
	v_ldexp_f32 v41, |v37|, v33
	v_ldexp_f32 v33, |v36|, v33
	v_mul_f32_e32 v41, v41, v41
	s_delay_alu instid0(VALU_DEP_1) | instskip(NEXT) | instid1(VALU_DEP_1)
	v_fmac_f32_e32 v41, v33, v33
	v_sqrt_f32_e32 v33, v41
	v_nop
	s_delay_alu instid0(TRANS32_DEP_1) | instskip(NEXT) | instid1(VALU_DEP_1)
	v_ldexp_f32 v32, v33, v32
	v_cndmask_b32_e64 v40, 0x7f800000, v32, s5
                                        ; implicit-def: $vgpr32_vgpr33
	s_mov_b32 s5, exec_lo
	v_cmpx_le_f32_e32 0, v36
	s_xor_b32 s20, exec_lo, s5
	s_cbranch_execz .LBB296_181
; %bb.180:                              ;   in Loop: Header=BB296_161 Depth=1
	v_add_f32_e32 v32, v36, v40
	s_delay_alu instid0(VALU_DEP_1) | instskip(NEXT) | instid1(VALU_DEP_1)
	v_mul_f32_e32 v32, 0.5, v32
	v_mul_f32_e32 v33, 0x4f800000, v32
	v_cmp_gt_f32_e32 vcc_lo, 0xf800000, v32
	s_delay_alu instid0(VALU_DEP_2) | instskip(NEXT) | instid1(VALU_DEP_1)
	v_cndmask_b32_e32 v32, v32, v33, vcc_lo
	v_sqrt_f32_e32 v33, v32
	v_nop
	s_delay_alu instid0(TRANS32_DEP_1) | instskip(NEXT) | instid1(VALU_DEP_1)
	v_dual_add_nc_u32 v36, -1, v33 :: v_dual_add_nc_u32 v40, 1, v33
	v_fma_f32 v41, -v36, v33, v32
	s_delay_alu instid0(VALU_DEP_2) | instskip(NEXT) | instid1(VALU_DEP_2)
	v_fma_f32 v42, -v40, v33, v32
	v_cmp_ge_f32_e64 s5, 0, v41
	s_delay_alu instid0(VALU_DEP_1) | instskip(NEXT) | instid1(VALU_DEP_3)
	v_cndmask_b32_e64 v33, v33, v36, s5
	v_cmp_lt_f32_e64 s5, 0, v42
	s_delay_alu instid0(VALU_DEP_1) | instskip(NEXT) | instid1(VALU_DEP_1)
	v_cndmask_b32_e64 v33, v33, v40, s5
	v_mul_f32_e32 v36, 0x37800000, v33
	s_delay_alu instid0(VALU_DEP_1) | instskip(SKIP_1) | instid1(VALU_DEP_2)
	v_cndmask_b32_e32 v33, v33, v36, vcc_lo
	v_cmp_class_f32_e64 vcc_lo, v32, 0x260
	v_cndmask_b32_e32 v32, v33, v32, vcc_lo
	s_delay_alu instid0(VALU_DEP_1) | instskip(NEXT) | instid1(VALU_DEP_1)
	v_add_f32_e32 v33, v32, v32
	v_div_scale_f32 v36, null, v33, v33, v37
	s_delay_alu instid0(VALU_DEP_1) | instskip(SKIP_1) | instid1(TRANS32_DEP_1)
	v_rcp_f32_e32 v40, v36
	v_nop
	v_fma_f32 v41, -v36, v40, 1.0
	s_delay_alu instid0(VALU_DEP_1) | instskip(SKIP_1) | instid1(VALU_DEP_1)
	v_fmac_f32_e32 v40, v41, v40
	v_div_scale_f32 v41, vcc_lo, v37, v33, v37
	v_mul_f32_e32 v42, v41, v40
	s_delay_alu instid0(VALU_DEP_1) | instskip(NEXT) | instid1(VALU_DEP_1)
	v_fma_f32 v43, -v36, v42, v41
	v_fmac_f32_e32 v42, v43, v40
	s_delay_alu instid0(VALU_DEP_1) | instskip(NEXT) | instid1(VALU_DEP_1)
	v_fma_f32 v36, -v36, v42, v41
	v_div_fmas_f32 v36, v36, v40, v42
                                        ; implicit-def: $vgpr40
	s_delay_alu instid0(VALU_DEP_1)
	v_div_fixup_f32 v33, v36, v33, v37
                                        ; implicit-def: $vgpr36_vgpr37
	s_and_not1_saveexec_b32 s20, s20
	s_cbranch_execz .LBB296_183
	s_branch .LBB296_182
.LBB296_181:                            ;   in Loop: Header=BB296_161 Depth=1
	s_and_not1_saveexec_b32 s20, s20
	s_cbranch_execz .LBB296_183
.LBB296_182:                            ;   in Loop: Header=BB296_161 Depth=1
	v_sub_f32_e32 v32, v40, v36
	s_delay_alu instid0(VALU_DEP_1) | instskip(NEXT) | instid1(VALU_DEP_1)
	v_mul_f32_e32 v32, 0.5, v32
	v_mul_f32_e32 v33, 0x4f800000, v32
	v_cmp_gt_f32_e32 vcc_lo, 0xf800000, v32
	s_delay_alu instid0(VALU_DEP_2) | instskip(NEXT) | instid1(VALU_DEP_1)
	v_cndmask_b32_e32 v32, v32, v33, vcc_lo
	v_sqrt_f32_e32 v33, v32
	v_nop
	s_delay_alu instid0(TRANS32_DEP_1) | instskip(NEXT) | instid1(VALU_DEP_1)
	v_dual_add_nc_u32 v36, -1, v33 :: v_dual_add_nc_u32 v40, 1, v33
	v_fma_f32 v41, -v36, v33, v32
	s_delay_alu instid0(VALU_DEP_2) | instskip(NEXT) | instid1(VALU_DEP_2)
	v_fma_f32 v42, -v40, v33, v32
	v_cmp_ge_f32_e64 s5, 0, v41
	s_delay_alu instid0(VALU_DEP_1) | instskip(NEXT) | instid1(VALU_DEP_3)
	v_cndmask_b32_e64 v33, v33, v36, s5
	v_cmp_lt_f32_e64 s5, 0, v42
	s_delay_alu instid0(VALU_DEP_1) | instskip(NEXT) | instid1(VALU_DEP_1)
	v_cndmask_b32_e64 v33, v33, v40, s5
	v_mul_f32_e32 v36, 0x37800000, v33
	s_delay_alu instid0(VALU_DEP_1) | instskip(SKIP_1) | instid1(VALU_DEP_2)
	v_cndmask_b32_e32 v33, v33, v36, vcc_lo
	v_cmp_class_f32_e64 vcc_lo, v32, 0x260
	v_cndmask_b32_e32 v33, v33, v32, vcc_lo
	v_and_b32_e32 v32, 0x7fffffff, v37
	s_delay_alu instid0(VALU_DEP_2) | instskip(SKIP_1) | instid1(VALU_DEP_2)
	v_add_f32_e32 v36, v33, v33
	v_bfi_b32 v33, 0x7fffffff, v33, v37
	v_div_scale_f32 v40, null, v36, v36, v32
	v_div_scale_f32 v32, vcc_lo, v32, v36, v32
	s_delay_alu instid0(VALU_DEP_2) | instskip(SKIP_1) | instid1(TRANS32_DEP_1)
	v_rcp_f32_e32 v41, v40
	v_nop
	v_fma_f32 v42, -v40, v41, 1.0
	s_delay_alu instid0(VALU_DEP_1) | instskip(NEXT) | instid1(VALU_DEP_1)
	v_fmac_f32_e32 v41, v42, v41
	v_mul_f32_e32 v42, v32, v41
	s_delay_alu instid0(VALU_DEP_1) | instskip(NEXT) | instid1(VALU_DEP_1)
	v_fma_f32 v43, -v40, v42, v32
	v_fmac_f32_e32 v42, v43, v41
	s_delay_alu instid0(VALU_DEP_1) | instskip(NEXT) | instid1(VALU_DEP_1)
	v_fma_f32 v32, -v40, v42, v32
	v_div_fmas_f32 v32, v32, v41, v42
	s_delay_alu instid0(VALU_DEP_1)
	v_div_fixup_f32 v32, v32, v36, |v37|
.LBB296_183:                            ;   in Loop: Header=BB296_161 Depth=1
	s_or_b32 exec_lo, exec_lo, s20
                                        ; implicit-def: $vgpr37
                                        ; implicit-def: $vgpr40
	s_and_saveexec_b32 s5, s4
	s_delay_alu instid0(SALU_CYCLE_1)
	s_xor_b32 s4, exec_lo, s5
	s_cbranch_execz .LBB296_185
; %bb.184:                              ;   in Loop: Header=BB296_161 Depth=1
	v_pk_mul_f32 v[36:37], v[32:33], 0.5 op_sel_hi:[1,0]
	s_delay_alu instid0(VALU_DEP_1)
	v_dual_cndmask_b32 v40, v32, v36, s19 :: v_dual_cndmask_b32 v37, v33, v37, s19
                                        ; implicit-def: $vgpr32_vgpr33
	s_and_not1_saveexec_b32 s4, s4
	s_cbranch_execnz .LBB296_186
	s_branch .LBB296_187
.LBB296_185:                            ;   in Loop: Header=BB296_161 Depth=1
	s_and_not1_saveexec_b32 s4, s4
.LBB296_186:                            ;   in Loop: Header=BB296_161 Depth=1
	v_pk_add_f32 v[36:37], v[32:33], v[32:33]
	s_delay_alu instid0(VALU_DEP_1)
	v_mov_b32_e32 v40, v36
.LBB296_187:                            ;   in Loop: Header=BB296_161 Depth=1
	s_or_b32 exec_lo, exec_lo, s4
.LBB296_188:                            ;   in Loop: Header=BB296_161 Depth=1
	s_and_not1_saveexec_b32 s4, s18
	s_cbranch_execz .LBB296_218
; %bb.189:                              ;   in Loop: Header=BB296_161 Depth=1
	v_sub_f32_e32 v32, v37, v37
	s_mov_b32 s5, exec_lo
	s_delay_alu instid0(VALU_DEP_1)
	v_and_b32_e32 v40, 0x7fffffff, v32
	v_cmpx_lt_i32_e32 -1, v36
	s_xor_b32 s5, exec_lo, s5
; %bb.190:                              ;   in Loop: Header=BB296_161 Depth=1
	v_bfi_b32 v37, 0x7fffffff, v32, v37
	v_mov_b32_e32 v40, v36
; %bb.191:                              ;   in Loop: Header=BB296_161 Depth=1
	s_and_not1_saveexec_b32 s5, s5
; %bb.192:                              ;   in Loop: Header=BB296_161 Depth=1
	s_delay_alu instid0(VALU_DEP_2)
	v_bfi_b32 v37, 0x7fffffff, v36, v37
; %bb.193:                              ;   in Loop: Header=BB296_161 Depth=1
	s_or_b32 exec_lo, exec_lo, s5
	s_delay_alu instid0(SALU_CYCLE_1)
	s_or_b32 exec_lo, exec_lo, s4
.LBB296_194:                            ;   in Loop: Header=BB296_161 Depth=1
	s_and_not1_saveexec_b32 s4, s17
	s_cbranch_execz .LBB296_196
.LBB296_195:                            ;   in Loop: Header=BB296_161 Depth=1
	v_sub_f32_e32 v32, v37, v37
	s_delay_alu instid0(VALU_DEP_1) | instskip(NEXT) | instid1(VALU_DEP_1)
	v_div_scale_f32 v33, vcc_lo, v32, v32, v32
	v_rcp_f32_e32 v37, v33
	v_nop
	s_delay_alu instid0(TRANS32_DEP_1) | instskip(NEXT) | instid1(VALU_DEP_1)
	v_fma_f32 v40, -v33, v37, 1.0
	v_fmac_f32_e32 v37, v40, v37
	s_delay_alu instid0(VALU_DEP_1) | instskip(NEXT) | instid1(VALU_DEP_1)
	v_mul_f32_e32 v40, v33, v37
	v_fma_f32 v41, -v33, v40, v33
	s_delay_alu instid0(VALU_DEP_1) | instskip(NEXT) | instid1(VALU_DEP_1)
	v_fmac_f32_e32 v40, v41, v37
	v_fma_f32 v33, -v33, v40, v33
	s_delay_alu instid0(VALU_DEP_1) | instskip(SKIP_1) | instid1(VALU_DEP_2)
	v_div_fmas_f32 v33, v33, v37, v40
	v_mov_b32_e32 v40, v36
	v_div_fixup_f32 v37, v33, v32, v32
.LBB296_196:                            ;   in Loop: Header=BB296_161 Depth=1
	s_or_b32 exec_lo, exec_lo, s4
.LBB296_197:                            ;   in Loop: Header=BB296_161 Depth=1
	s_delay_alu instid0(SALU_CYCLE_1)
	s_or_b32 exec_lo, exec_lo, s16
.LBB296_198:                            ;   in Loop: Header=BB296_161 Depth=1
	s_delay_alu instid0(SALU_CYCLE_1) | instskip(NEXT) | instid1(VALU_DEP_1)
	s_or_b32 exec_lo, exec_lo, s15
	v_cmp_gt_f32_e32 vcc_lo, 0, v37
                                        ; implicit-def: $vgpr32_vgpr33
	s_mov_b32 s4, exec_lo
	v_cndmask_b32_e64 v36, v37, -v37, vcc_lo
	v_cmp_gt_f32_e32 vcc_lo, 0, v40
	v_cndmask_b32_e64 v41, v40, -v40, vcc_lo
	s_delay_alu instid0(VALU_DEP_1)
	v_cmpx_ge_f32_e32 v41, v36
	s_xor_b32 s5, exec_lo, s4
	s_cbranch_execz .LBB296_204
; %bb.199:                              ;   in Loop: Header=BB296_161 Depth=1
	v_cmp_neq_f32_e32 vcc_lo, 0, v40
	v_cmp_neq_f32_e64 s4, 0, v37
                                        ; implicit-def: $vgpr32_vgpr33
	s_or_b32 s4, vcc_lo, s4
	s_delay_alu instid0(SALU_CYCLE_1) | instskip(NEXT) | instid1(SALU_CYCLE_1)
	s_and_saveexec_b32 s15, s4
	s_xor_b32 s4, exec_lo, s15
	s_cbranch_execz .LBB296_201
; %bb.200:                              ;   in Loop: Header=BB296_161 Depth=1
	v_div_scale_f32 v32, null, v40, v40, v37
	v_div_scale_f32 v41, vcc_lo, v37, v40, v37
	s_delay_alu instid0(VALU_DEP_2) | instskip(SKIP_1) | instid1(TRANS32_DEP_1)
	v_rcp_f32_e32 v33, v32
	v_nop
	v_fma_f32 v36, -v32, v33, 1.0
	s_delay_alu instid0(VALU_DEP_1) | instskip(NEXT) | instid1(VALU_DEP_1)
	v_fmac_f32_e32 v33, v36, v33
	v_mul_f32_e32 v36, v41, v33
	s_delay_alu instid0(VALU_DEP_1) | instskip(NEXT) | instid1(VALU_DEP_1)
	v_fma_f32 v42, -v32, v36, v41
	v_fmac_f32_e32 v36, v42, v33
	s_delay_alu instid0(VALU_DEP_1) | instskip(NEXT) | instid1(VALU_DEP_1)
	v_fma_f32 v32, -v32, v36, v41
	v_div_fmas_f32 v32, v32, v33, v36
	s_delay_alu instid0(VALU_DEP_1) | instskip(NEXT) | instid1(VALU_DEP_1)
	v_div_fixup_f32 v33, v32, v40, v37
	v_fmac_f32_e32 v40, v37, v33
	s_delay_alu instid0(VALU_DEP_1) | instskip(SKIP_1) | instid1(VALU_DEP_2)
	v_div_scale_f32 v32, null, v40, v40, 1.0
	v_div_scale_f32 v41, vcc_lo, 1.0, v40, 1.0
	v_rcp_f32_e32 v36, v32
	v_nop
	s_delay_alu instid0(TRANS32_DEP_1) | instskip(NEXT) | instid1(VALU_DEP_1)
	v_fma_f32 v37, -v32, v36, 1.0
	v_fmac_f32_e32 v36, v37, v36
	s_delay_alu instid0(VALU_DEP_1) | instskip(NEXT) | instid1(VALU_DEP_1)
	v_mul_f32_e32 v37, v41, v36
	v_fma_f32 v42, -v32, v37, v41
	s_delay_alu instid0(VALU_DEP_1) | instskip(NEXT) | instid1(VALU_DEP_1)
	v_fmac_f32_e32 v37, v42, v36
	v_fma_f32 v32, -v32, v37, v41
	v_dual_mul_f32 v41, 0, v33 :: v_dual_sub_f32 v33, 0, v33
	s_delay_alu instid0(VALU_DEP_2) | instskip(NEXT) | instid1(VALU_DEP_2)
	v_div_fmas_f32 v36, v32, v36, v37
	v_add_f32_e32 v32, 1.0, v41
                                        ; implicit-def: $vgpr41
	s_delay_alu instid0(VALU_DEP_2) | instskip(NEXT) | instid1(VALU_DEP_1)
	v_div_fixup_f32 v36, v36, v40, 1.0
	v_pk_mul_f32 v[32:33], v[32:33], v[36:37] op_sel_hi:[1,0]
                                        ; implicit-def: $vgpr36
.LBB296_201:                            ;   in Loop: Header=BB296_161 Depth=1
	s_and_not1_saveexec_b32 s15, s4
	s_cbranch_execz .LBB296_203
; %bb.202:                              ;   in Loop: Header=BB296_161 Depth=1
	v_div_scale_f32 v32, null, v36, v36, 0
	v_div_scale_f32 v33, null, v41, v41, 1.0
	v_div_scale_f32 v44, vcc_lo, 0, v36, 0
	s_delay_alu instid0(VALU_DEP_3) | instskip(NEXT) | instid1(VALU_DEP_2)
	v_rcp_f32_e32 v37, v32
	v_rcp_f32_e32 v40, v33
	s_delay_alu instid0(TRANS32_DEP_2) | instskip(NEXT) | instid1(TRANS32_DEP_1)
	v_fma_f32 v42, -v32, v37, 1.0
	v_fma_f32 v43, -v33, v40, 1.0
	s_delay_alu instid0(VALU_DEP_1) | instskip(SKIP_1) | instid1(VALU_DEP_1)
	v_dual_fmac_f32 v37, v42, v37 :: v_dual_fmac_f32 v40, v43, v40
	v_div_scale_f32 v42, s4, 1.0, v41, 1.0
	v_dual_mul_f32 v43, v44, v37 :: v_dual_mul_f32 v45, v42, v40
	s_delay_alu instid0(VALU_DEP_1) | instskip(NEXT) | instid1(VALU_DEP_1)
	v_dual_fma_f32 v46, -v32, v43, v44 :: v_dual_fma_f32 v47, -v33, v45, v42
	v_dual_fmac_f32 v43, v46, v37 :: v_dual_fmac_f32 v45, v47, v40
	s_delay_alu instid0(VALU_DEP_1) | instskip(NEXT) | instid1(VALU_DEP_1)
	v_dual_fma_f32 v32, -v32, v43, v44 :: v_dual_fma_f32 v33, -v33, v45, v42
	v_div_fmas_f32 v32, v32, v37, v43
	s_mov_b32 vcc_lo, s4
	s_delay_alu instid0(VALU_DEP_2) | instskip(NEXT) | instid1(VALU_DEP_2)
	v_div_fmas_f32 v37, v33, v40, v45
	v_div_fixup_f32 v33, v32, v36, 0
	s_delay_alu instid0(VALU_DEP_2)
	v_div_fixup_f32 v32, v37, v41, 1.0
.LBB296_203:                            ;   in Loop: Header=BB296_161 Depth=1
	s_or_b32 exec_lo, exec_lo, s15
                                        ; implicit-def: $vgpr37
                                        ; implicit-def: $vgpr40
.LBB296_204:                            ;   in Loop: Header=BB296_161 Depth=1
	s_and_not1_saveexec_b32 s4, s5
	s_cbranch_execz .LBB296_206
; %bb.205:                              ;   in Loop: Header=BB296_161 Depth=1
	v_div_scale_f32 v32, null, v37, v37, v40
	v_div_scale_f32 v41, vcc_lo, v40, v37, v40
	s_delay_alu instid0(VALU_DEP_2) | instskip(SKIP_1) | instid1(TRANS32_DEP_1)
	v_rcp_f32_e32 v33, v32
	v_nop
	v_fma_f32 v36, -v32, v33, 1.0
	s_delay_alu instid0(VALU_DEP_1) | instskip(NEXT) | instid1(VALU_DEP_1)
	v_fmac_f32_e32 v33, v36, v33
	v_mul_f32_e32 v36, v41, v33
	s_delay_alu instid0(VALU_DEP_1) | instskip(NEXT) | instid1(VALU_DEP_1)
	v_fma_f32 v42, -v32, v36, v41
	v_fmac_f32_e32 v36, v42, v33
	s_delay_alu instid0(VALU_DEP_1) | instskip(NEXT) | instid1(VALU_DEP_1)
	v_fma_f32 v32, -v32, v36, v41
	v_div_fmas_f32 v32, v32, v33, v36
	s_delay_alu instid0(VALU_DEP_1) | instskip(NEXT) | instid1(VALU_DEP_1)
	v_div_fixup_f32 v32, v32, v37, v40
	v_fmac_f32_e32 v37, v40, v32
	s_delay_alu instid0(VALU_DEP_1) | instskip(SKIP_1) | instid1(VALU_DEP_2)
	v_div_scale_f32 v33, null, v37, v37, 1.0
	v_div_scale_f32 v41, vcc_lo, 1.0, v37, 1.0
	v_rcp_f32_e32 v36, v33
	v_nop
	s_delay_alu instid0(TRANS32_DEP_1) | instskip(NEXT) | instid1(VALU_DEP_1)
	v_fma_f32 v40, -v33, v36, 1.0
	v_fmac_f32_e32 v36, v40, v36
	s_delay_alu instid0(VALU_DEP_1) | instskip(NEXT) | instid1(VALU_DEP_1)
	v_mul_f32_e32 v40, v41, v36
	v_fma_f32 v42, -v33, v40, v41
	s_delay_alu instid0(VALU_DEP_1) | instskip(NEXT) | instid1(VALU_DEP_1)
	v_fmac_f32_e32 v40, v42, v36
	v_fma_f32 v33, -v33, v40, v41
	s_delay_alu instid0(VALU_DEP_1) | instskip(SKIP_1) | instid1(VALU_DEP_2)
	v_div_fmas_f32 v36, v33, v36, v40
	v_mul_f32_e32 v33, 0, v32
	v_div_fixup_f32 v36, v36, v37, 1.0
	s_delay_alu instid0(VALU_DEP_2) | instskip(NEXT) | instid1(VALU_DEP_1)
	v_pk_add_f32 v[32:33], v[32:33], v[28:29]
	v_pk_mul_f32 v[32:33], v[32:33], v[36:37] op_sel_hi:[1,0]
.LBB296_206:                            ;   in Loop: Header=BB296_161 Depth=1
	s_or_b32 exec_lo, exec_lo, s4
	v_cmp_neq_f32_e32 vcc_lo, 0, v38
	v_cmp_neq_f32_e64 s4, 0, v39
	v_mov_b32_e32 v40, 0
	s_or_b32 s4, vcc_lo, s4
	s_delay_alu instid0(SALU_CYCLE_1)
	s_and_saveexec_b32 s15, s4
	s_cbranch_execz .LBB296_237
; %bb.207:                              ;   in Loop: Header=BB296_161 Depth=1
	v_mov_b32_e32 v40, 0x7f800000
	s_mov_b32 s16, exec_lo
	v_cmpx_neq_f32_e64 0x7f800000, |v39|
	s_cbranch_execz .LBB296_236
; %bb.208:                              ;   in Loop: Header=BB296_161 Depth=1
                                        ; implicit-def: $vgpr40
	s_mov_b32 s4, exec_lo
	v_cmpx_o_f32_e32 v38, v38
	s_xor_b32 s17, exec_lo, s4
	s_cbranch_execz .LBB296_233
; %bb.209:                              ;   in Loop: Header=BB296_161 Depth=1
                                        ; implicit-def: $vgpr40
	s_mov_b32 s5, exec_lo
	v_cmpx_neq_f32_e64 0x7f800000, |v38|
	s_xor_b32 s18, exec_lo, s5
	s_cbranch_execz .LBB296_226
; %bb.210:                              ;   in Loop: Header=BB296_161 Depth=1
	v_max_num_f32_e64 v36, |v38|, |v38|
	v_max_num_f32_e64 v37, |v39|, |v39|
                                        ; implicit-def: $sgpr19
	s_delay_alu instid0(VALU_DEP_1) | instskip(NEXT) | instid1(VALU_DEP_1)
	v_max_num_f32_e32 v36, v37, v36
	v_cmp_nle_f32_e64 s4, 0x7ed413cb, v36
	s_and_saveexec_b32 s5, s4
	s_delay_alu instid0(SALU_CYCLE_1)
	s_xor_b32 s5, exec_lo, s5
	s_cbranch_execz .LBB296_214
; %bb.211:                              ;   in Loop: Header=BB296_161 Depth=1
	v_cmp_ge_f32_e64 s19, 0x1000000, |v38|
	v_cmp_ge_f32_e64 s20, 0x1000000, |v39|
	s_and_b32 s21, s20, s19
	s_mov_b32 s19, 0
	s_and_saveexec_b32 s20, s21
; %bb.212:                              ;   in Loop: Header=BB296_161 Depth=1
	v_pk_mul_f32 v[38:39], v[38:39], 4.0 op_sel_hi:[1,0]
	s_mov_b32 s19, exec_lo
; %bb.213:                              ;   in Loop: Header=BB296_161 Depth=1
	s_or_b32 exec_lo, exec_lo, s20
.LBB296_214:                            ;   in Loop: Header=BB296_161 Depth=1
	s_and_not1_saveexec_b32 s5, s5
; %bb.215:                              ;   in Loop: Header=BB296_161 Depth=1
	s_delay_alu instid0(VALU_DEP_1)
	v_pk_mul_f32 v[38:39], v[38:39], s[14:15] op_sel_hi:[1,0]
	s_and_not1_b32 s19, s19, exec_lo
; %bb.216:                              ;   in Loop: Header=BB296_161 Depth=1
	s_or_b32 exec_lo, exec_lo, s5
	s_delay_alu instid0(VALU_DEP_1) | instskip(NEXT) | instid1(VALU_DEP_2)
	v_max_num_f32_e64 v36, |v39|, |v39|
	v_max_num_f32_e64 v37, |v38|, |v38|
	s_delay_alu instid0(VALU_DEP_1) | instskip(NEXT) | instid1(VALU_DEP_1)
	v_max_num_f32_e32 v40, v37, v36
	v_cvt_f64_f32_e32 v[36:37], v40
	s_delay_alu instid0(VALU_DEP_1) | instskip(NEXT) | instid1(VALU_DEP_1)
	v_frexp_exp_i32_f64_e32 v36, v[36:37]
	v_sub_nc_u32_e32 v37, 0, v36
	v_cmp_neq_f32_e64 s5, 0x7f800000, v40
	s_delay_alu instid0(VALU_DEP_2) | instskip(SKIP_1) | instid1(VALU_DEP_2)
	v_ldexp_f32 v41, |v39|, v37
	v_ldexp_f32 v37, |v38|, v37
	v_mul_f32_e32 v41, v41, v41
	s_delay_alu instid0(VALU_DEP_1) | instskip(NEXT) | instid1(VALU_DEP_1)
	v_fmac_f32_e32 v41, v37, v37
	v_sqrt_f32_e32 v37, v41
	v_nop
	s_delay_alu instid0(TRANS32_DEP_1) | instskip(NEXT) | instid1(VALU_DEP_1)
	v_ldexp_f32 v36, v37, v36
	v_cndmask_b32_e64 v40, 0x7f800000, v36, s5
                                        ; implicit-def: $vgpr36_vgpr37
	s_mov_b32 s5, exec_lo
	v_cmpx_le_f32_e32 0, v38
	s_xor_b32 s20, exec_lo, s5
	s_cbranch_execz .LBB296_219
; %bb.217:                              ;   in Loop: Header=BB296_161 Depth=1
	v_add_f32_e32 v36, v38, v40
	s_delay_alu instid0(VALU_DEP_1) | instskip(NEXT) | instid1(VALU_DEP_1)
	v_mul_f32_e32 v36, 0.5, v36
	v_mul_f32_e32 v37, 0x4f800000, v36
	v_cmp_gt_f32_e32 vcc_lo, 0xf800000, v36
	s_delay_alu instid0(VALU_DEP_2) | instskip(NEXT) | instid1(VALU_DEP_1)
	v_cndmask_b32_e32 v36, v36, v37, vcc_lo
	v_sqrt_f32_e32 v37, v36
	v_nop
	s_delay_alu instid0(TRANS32_DEP_1) | instskip(NEXT) | instid1(VALU_DEP_1)
	v_dual_add_nc_u32 v38, -1, v37 :: v_dual_add_nc_u32 v40, 1, v37
	v_dual_fma_f32 v41, -v38, v37, v36 :: v_dual_fma_f32 v42, -v40, v37, v36
	s_delay_alu instid0(VALU_DEP_1) | instskip(NEXT) | instid1(VALU_DEP_1)
	v_cmp_ge_f32_e64 s5, 0, v41
	v_cndmask_b32_e64 v37, v37, v38, s5
	s_delay_alu instid0(VALU_DEP_3) | instskip(NEXT) | instid1(VALU_DEP_1)
	v_cmp_lt_f32_e64 s5, 0, v42
	v_cndmask_b32_e64 v37, v37, v40, s5
	s_delay_alu instid0(VALU_DEP_1) | instskip(NEXT) | instid1(VALU_DEP_1)
	v_mul_f32_e32 v38, 0x37800000, v37
	v_cndmask_b32_e32 v37, v37, v38, vcc_lo
	v_cmp_class_f32_e64 vcc_lo, v36, 0x260
	s_delay_alu instid0(VALU_DEP_2) | instskip(NEXT) | instid1(VALU_DEP_1)
	v_cndmask_b32_e32 v36, v37, v36, vcc_lo
	v_add_f32_e32 v37, v36, v36
	s_delay_alu instid0(VALU_DEP_1) | instskip(NEXT) | instid1(VALU_DEP_1)
	v_div_scale_f32 v38, null, v37, v37, v39
	v_rcp_f32_e32 v40, v38
	v_nop
	s_delay_alu instid0(TRANS32_DEP_1) | instskip(NEXT) | instid1(VALU_DEP_1)
	v_fma_f32 v41, -v38, v40, 1.0
	v_fmac_f32_e32 v40, v41, v40
	v_div_scale_f32 v41, vcc_lo, v39, v37, v39
	s_delay_alu instid0(VALU_DEP_1) | instskip(NEXT) | instid1(VALU_DEP_1)
	v_mul_f32_e32 v42, v41, v40
	v_fma_f32 v43, -v38, v42, v41
	s_delay_alu instid0(VALU_DEP_1) | instskip(NEXT) | instid1(VALU_DEP_1)
	v_fmac_f32_e32 v42, v43, v40
	v_fma_f32 v38, -v38, v42, v41
	s_delay_alu instid0(VALU_DEP_1) | instskip(NEXT) | instid1(VALU_DEP_1)
	v_div_fmas_f32 v38, v38, v40, v42
                                        ; implicit-def: $vgpr40
	v_div_fixup_f32 v37, v38, v37, v39
                                        ; implicit-def: $vgpr38_vgpr39
	s_and_not1_saveexec_b32 s20, s20
	s_cbranch_execz .LBB296_221
	s_branch .LBB296_220
.LBB296_218:                            ;   in Loop: Header=BB296_161 Depth=1
	s_or_b32 exec_lo, exec_lo, s4
	s_and_not1_saveexec_b32 s4, s17
	s_cbranch_execnz .LBB296_195
	s_branch .LBB296_196
.LBB296_219:                            ;   in Loop: Header=BB296_161 Depth=1
	s_and_not1_saveexec_b32 s20, s20
	s_cbranch_execz .LBB296_221
.LBB296_220:                            ;   in Loop: Header=BB296_161 Depth=1
	v_sub_f32_e32 v36, v40, v38
	s_delay_alu instid0(VALU_DEP_1) | instskip(NEXT) | instid1(VALU_DEP_1)
	v_mul_f32_e32 v36, 0.5, v36
	v_mul_f32_e32 v37, 0x4f800000, v36
	v_cmp_gt_f32_e32 vcc_lo, 0xf800000, v36
	s_delay_alu instid0(VALU_DEP_2) | instskip(NEXT) | instid1(VALU_DEP_1)
	v_cndmask_b32_e32 v36, v36, v37, vcc_lo
	v_sqrt_f32_e32 v37, v36
	v_nop
	s_delay_alu instid0(TRANS32_DEP_1) | instskip(NEXT) | instid1(VALU_DEP_1)
	v_dual_add_nc_u32 v38, -1, v37 :: v_dual_add_nc_u32 v40, 1, v37
	v_dual_fma_f32 v41, -v38, v37, v36 :: v_dual_fma_f32 v42, -v40, v37, v36
	s_delay_alu instid0(VALU_DEP_1) | instskip(NEXT) | instid1(VALU_DEP_1)
	v_cmp_ge_f32_e64 s5, 0, v41
	v_cndmask_b32_e64 v37, v37, v38, s5
	s_delay_alu instid0(VALU_DEP_3) | instskip(NEXT) | instid1(VALU_DEP_1)
	v_cmp_lt_f32_e64 s5, 0, v42
	v_cndmask_b32_e64 v37, v37, v40, s5
	s_delay_alu instid0(VALU_DEP_1) | instskip(NEXT) | instid1(VALU_DEP_1)
	v_mul_f32_e32 v38, 0x37800000, v37
	v_cndmask_b32_e32 v37, v37, v38, vcc_lo
	v_cmp_class_f32_e64 vcc_lo, v36, 0x260
	s_delay_alu instid0(VALU_DEP_2) | instskip(SKIP_1) | instid1(VALU_DEP_2)
	v_cndmask_b32_e32 v37, v37, v36, vcc_lo
	v_and_b32_e32 v36, 0x7fffffff, v39
	v_add_f32_e32 v38, v37, v37
	v_bfi_b32 v37, 0x7fffffff, v37, v39
	s_delay_alu instid0(VALU_DEP_2) | instskip(SKIP_1) | instid1(VALU_DEP_2)
	v_div_scale_f32 v40, null, v38, v38, v36
	v_div_scale_f32 v36, vcc_lo, v36, v38, v36
	v_rcp_f32_e32 v41, v40
	v_nop
	s_delay_alu instid0(TRANS32_DEP_1) | instskip(NEXT) | instid1(VALU_DEP_1)
	v_fma_f32 v42, -v40, v41, 1.0
	v_fmac_f32_e32 v41, v42, v41
	s_delay_alu instid0(VALU_DEP_1) | instskip(NEXT) | instid1(VALU_DEP_1)
	v_mul_f32_e32 v42, v36, v41
	v_fma_f32 v43, -v40, v42, v36
	s_delay_alu instid0(VALU_DEP_1) | instskip(NEXT) | instid1(VALU_DEP_1)
	v_fmac_f32_e32 v42, v43, v41
	v_fma_f32 v36, -v40, v42, v36
	s_delay_alu instid0(VALU_DEP_1) | instskip(NEXT) | instid1(VALU_DEP_1)
	v_div_fmas_f32 v36, v36, v41, v42
	v_div_fixup_f32 v36, v36, v38, |v39|
.LBB296_221:                            ;   in Loop: Header=BB296_161 Depth=1
	s_or_b32 exec_lo, exec_lo, s20
                                        ; implicit-def: $vgpr39
                                        ; implicit-def: $vgpr40
	s_and_saveexec_b32 s5, s4
	s_delay_alu instid0(SALU_CYCLE_1)
	s_xor_b32 s4, exec_lo, s5
	s_cbranch_execz .LBB296_223
; %bb.222:                              ;   in Loop: Header=BB296_161 Depth=1
	v_pk_mul_f32 v[38:39], v[36:37], 0.5 op_sel_hi:[1,0]
	s_delay_alu instid0(VALU_DEP_1)
	v_dual_cndmask_b32 v40, v36, v38, s19 :: v_dual_cndmask_b32 v39, v37, v39, s19
                                        ; implicit-def: $vgpr36_vgpr37
	s_and_not1_saveexec_b32 s4, s4
	s_cbranch_execnz .LBB296_224
	s_branch .LBB296_225
.LBB296_223:                            ;   in Loop: Header=BB296_161 Depth=1
	s_and_not1_saveexec_b32 s4, s4
.LBB296_224:                            ;   in Loop: Header=BB296_161 Depth=1
	v_pk_add_f32 v[38:39], v[36:37], v[36:37]
	s_delay_alu instid0(VALU_DEP_1)
	v_mov_b32_e32 v40, v38
.LBB296_225:                            ;   in Loop: Header=BB296_161 Depth=1
	s_or_b32 exec_lo, exec_lo, s4
.LBB296_226:                            ;   in Loop: Header=BB296_161 Depth=1
	s_and_not1_saveexec_b32 s4, s18
	s_cbranch_execz .LBB296_232
; %bb.227:                              ;   in Loop: Header=BB296_161 Depth=1
	v_sub_f32_e32 v36, v39, v39
	s_mov_b32 s5, exec_lo
	s_delay_alu instid0(VALU_DEP_1)
	v_and_b32_e32 v40, 0x7fffffff, v36
	v_cmpx_lt_i32_e32 -1, v38
	s_xor_b32 s5, exec_lo, s5
; %bb.228:                              ;   in Loop: Header=BB296_161 Depth=1
	v_bfi_b32 v39, 0x7fffffff, v36, v39
	v_mov_b32_e32 v40, v38
; %bb.229:                              ;   in Loop: Header=BB296_161 Depth=1
	s_and_not1_saveexec_b32 s5, s5
; %bb.230:                              ;   in Loop: Header=BB296_161 Depth=1
	s_delay_alu instid0(VALU_DEP_2)
	v_bfi_b32 v39, 0x7fffffff, v38, v39
; %bb.231:                              ;   in Loop: Header=BB296_161 Depth=1
	s_or_b32 exec_lo, exec_lo, s5
.LBB296_232:                            ;   in Loop: Header=BB296_161 Depth=1
	s_delay_alu instid0(SALU_CYCLE_1)
	s_or_b32 exec_lo, exec_lo, s4
.LBB296_233:                            ;   in Loop: Header=BB296_161 Depth=1
	s_and_not1_saveexec_b32 s4, s17
	s_cbranch_execz .LBB296_235
; %bb.234:                              ;   in Loop: Header=BB296_161 Depth=1
	v_sub_f32_e32 v36, v39, v39
	s_delay_alu instid0(VALU_DEP_1) | instskip(NEXT) | instid1(VALU_DEP_1)
	v_div_scale_f32 v37, vcc_lo, v36, v36, v36
	v_rcp_f32_e32 v39, v37
	v_nop
	s_delay_alu instid0(TRANS32_DEP_1) | instskip(NEXT) | instid1(VALU_DEP_1)
	v_fma_f32 v40, -v37, v39, 1.0
	v_fmac_f32_e32 v39, v40, v39
	s_delay_alu instid0(VALU_DEP_1) | instskip(NEXT) | instid1(VALU_DEP_1)
	v_mul_f32_e32 v40, v37, v39
	v_fma_f32 v41, -v37, v40, v37
	s_delay_alu instid0(VALU_DEP_1) | instskip(NEXT) | instid1(VALU_DEP_1)
	v_fmac_f32_e32 v40, v41, v39
	v_fma_f32 v37, -v37, v40, v37
	s_delay_alu instid0(VALU_DEP_1) | instskip(SKIP_1) | instid1(VALU_DEP_2)
	v_div_fmas_f32 v37, v37, v39, v40
	v_mov_b32_e32 v40, v38
	v_div_fixup_f32 v39, v37, v36, v36
.LBB296_235:                            ;   in Loop: Header=BB296_161 Depth=1
	s_or_b32 exec_lo, exec_lo, s4
.LBB296_236:                            ;   in Loop: Header=BB296_161 Depth=1
	s_delay_alu instid0(SALU_CYCLE_1)
	s_or_b32 exec_lo, exec_lo, s16
.LBB296_237:                            ;   in Loop: Header=BB296_161 Depth=1
	s_delay_alu instid0(SALU_CYCLE_1) | instskip(NEXT) | instid1(VALU_DEP_1)
	s_or_b32 exec_lo, exec_lo, s15
	v_cmp_gt_f32_e32 vcc_lo, 0, v39
                                        ; implicit-def: $vgpr36_vgpr37
	s_mov_b32 s4, exec_lo
	v_cndmask_b32_e64 v38, v39, -v39, vcc_lo
	v_cmp_gt_f32_e32 vcc_lo, 0, v40
	v_cndmask_b32_e64 v41, v40, -v40, vcc_lo
	s_delay_alu instid0(VALU_DEP_1)
	v_cmpx_ge_f32_e32 v41, v38
	s_xor_b32 s5, exec_lo, s4
	s_cbranch_execz .LBB296_243
; %bb.238:                              ;   in Loop: Header=BB296_161 Depth=1
	v_cmp_neq_f32_e32 vcc_lo, 0, v40
	v_cmp_neq_f32_e64 s4, 0, v39
                                        ; implicit-def: $vgpr36_vgpr37
	s_or_b32 s4, vcc_lo, s4
	s_delay_alu instid0(SALU_CYCLE_1) | instskip(NEXT) | instid1(SALU_CYCLE_1)
	s_and_saveexec_b32 s15, s4
	s_xor_b32 s4, exec_lo, s15
	s_cbranch_execz .LBB296_240
; %bb.239:                              ;   in Loop: Header=BB296_161 Depth=1
	v_div_scale_f32 v36, null, v40, v40, v39
	v_div_scale_f32 v41, vcc_lo, v39, v40, v39
	s_delay_alu instid0(VALU_DEP_2) | instskip(SKIP_1) | instid1(TRANS32_DEP_1)
	v_rcp_f32_e32 v37, v36
	v_nop
	v_fma_f32 v38, -v36, v37, 1.0
	s_delay_alu instid0(VALU_DEP_1) | instskip(NEXT) | instid1(VALU_DEP_1)
	v_fmac_f32_e32 v37, v38, v37
	v_mul_f32_e32 v38, v41, v37
	s_delay_alu instid0(VALU_DEP_1) | instskip(NEXT) | instid1(VALU_DEP_1)
	v_fma_f32 v42, -v36, v38, v41
	v_fmac_f32_e32 v38, v42, v37
	s_delay_alu instid0(VALU_DEP_1) | instskip(NEXT) | instid1(VALU_DEP_1)
	v_fma_f32 v36, -v36, v38, v41
	v_div_fmas_f32 v36, v36, v37, v38
	s_delay_alu instid0(VALU_DEP_1) | instskip(NEXT) | instid1(VALU_DEP_1)
	v_div_fixup_f32 v37, v36, v40, v39
	v_fmac_f32_e32 v40, v39, v37
	s_delay_alu instid0(VALU_DEP_1) | instskip(SKIP_1) | instid1(VALU_DEP_2)
	v_div_scale_f32 v36, null, v40, v40, 1.0
	v_div_scale_f32 v41, vcc_lo, 1.0, v40, 1.0
	v_rcp_f32_e32 v38, v36
	v_nop
	s_delay_alu instid0(TRANS32_DEP_1) | instskip(NEXT) | instid1(VALU_DEP_1)
	v_fma_f32 v39, -v36, v38, 1.0
	v_fmac_f32_e32 v38, v39, v38
	s_delay_alu instid0(VALU_DEP_1) | instskip(NEXT) | instid1(VALU_DEP_1)
	v_mul_f32_e32 v39, v41, v38
	v_fma_f32 v42, -v36, v39, v41
	s_delay_alu instid0(VALU_DEP_1) | instskip(NEXT) | instid1(VALU_DEP_1)
	v_fmac_f32_e32 v39, v42, v38
	v_dual_fma_f32 v36, -v36, v39, v41 :: v_dual_mul_f32 v41, 0, v37
	v_sub_f32_e32 v37, 0, v37
	s_delay_alu instid0(VALU_DEP_2) | instskip(NEXT) | instid1(VALU_DEP_3)
	v_div_fmas_f32 v38, v36, v38, v39
	v_add_f32_e32 v36, 1.0, v41
                                        ; implicit-def: $vgpr41
	s_delay_alu instid0(VALU_DEP_2) | instskip(NEXT) | instid1(VALU_DEP_1)
	v_div_fixup_f32 v38, v38, v40, 1.0
	v_pk_mul_f32 v[36:37], v[36:37], v[38:39] op_sel_hi:[1,0]
                                        ; implicit-def: $vgpr38
.LBB296_240:                            ;   in Loop: Header=BB296_161 Depth=1
	s_and_not1_saveexec_b32 s15, s4
	s_cbranch_execz .LBB296_242
; %bb.241:                              ;   in Loop: Header=BB296_161 Depth=1
	v_div_scale_f32 v36, null, v38, v38, 0
	v_div_scale_f32 v37, null, v41, v41, 1.0
	v_div_scale_f32 v44, vcc_lo, 0, v38, 0
	s_delay_alu instid0(VALU_DEP_3) | instskip(NEXT) | instid1(VALU_DEP_2)
	v_rcp_f32_e32 v39, v36
	v_rcp_f32_e32 v40, v37
	s_delay_alu instid0(TRANS32_DEP_2) | instskip(NEXT) | instid1(TRANS32_DEP_1)
	v_fma_f32 v42, -v36, v39, 1.0
	v_fma_f32 v43, -v37, v40, 1.0
	s_delay_alu instid0(VALU_DEP_1) | instskip(SKIP_1) | instid1(VALU_DEP_1)
	v_dual_fmac_f32 v39, v42, v39 :: v_dual_fmac_f32 v40, v43, v40
	v_div_scale_f32 v42, s4, 1.0, v41, 1.0
	v_dual_mul_f32 v43, v44, v39 :: v_dual_mul_f32 v45, v42, v40
	s_delay_alu instid0(VALU_DEP_1) | instskip(NEXT) | instid1(VALU_DEP_1)
	v_dual_fma_f32 v46, -v36, v43, v44 :: v_dual_fma_f32 v47, -v37, v45, v42
	v_dual_fmac_f32 v43, v46, v39 :: v_dual_fmac_f32 v45, v47, v40
	s_delay_alu instid0(VALU_DEP_1) | instskip(NEXT) | instid1(VALU_DEP_1)
	v_dual_fma_f32 v36, -v36, v43, v44 :: v_dual_fma_f32 v37, -v37, v45, v42
	v_div_fmas_f32 v36, v36, v39, v43
	s_mov_b32 vcc_lo, s4
	s_delay_alu instid0(VALU_DEP_2) | instskip(NEXT) | instid1(VALU_DEP_2)
	v_div_fmas_f32 v39, v37, v40, v45
	v_div_fixup_f32 v37, v36, v38, 0
	s_delay_alu instid0(VALU_DEP_2)
	v_div_fixup_f32 v36, v39, v41, 1.0
.LBB296_242:                            ;   in Loop: Header=BB296_161 Depth=1
	s_or_b32 exec_lo, exec_lo, s15
                                        ; implicit-def: $vgpr39
                                        ; implicit-def: $vgpr40
.LBB296_243:                            ;   in Loop: Header=BB296_161 Depth=1
	s_and_not1_saveexec_b32 s4, s5
	s_cbranch_execz .LBB296_245
; %bb.244:                              ;   in Loop: Header=BB296_161 Depth=1
	v_div_scale_f32 v36, null, v39, v39, v40
	v_div_scale_f32 v41, vcc_lo, v40, v39, v40
	s_delay_alu instid0(VALU_DEP_2) | instskip(SKIP_1) | instid1(TRANS32_DEP_1)
	v_rcp_f32_e32 v37, v36
	v_nop
	v_fma_f32 v38, -v36, v37, 1.0
	s_delay_alu instid0(VALU_DEP_1) | instskip(NEXT) | instid1(VALU_DEP_1)
	v_fmac_f32_e32 v37, v38, v37
	v_mul_f32_e32 v38, v41, v37
	s_delay_alu instid0(VALU_DEP_1) | instskip(NEXT) | instid1(VALU_DEP_1)
	v_fma_f32 v42, -v36, v38, v41
	v_fmac_f32_e32 v38, v42, v37
	s_delay_alu instid0(VALU_DEP_1) | instskip(NEXT) | instid1(VALU_DEP_1)
	v_fma_f32 v36, -v36, v38, v41
	v_div_fmas_f32 v36, v36, v37, v38
	s_delay_alu instid0(VALU_DEP_1) | instskip(NEXT) | instid1(VALU_DEP_1)
	v_div_fixup_f32 v36, v36, v39, v40
	v_fmac_f32_e32 v39, v40, v36
	s_delay_alu instid0(VALU_DEP_1) | instskip(SKIP_1) | instid1(VALU_DEP_2)
	v_div_scale_f32 v37, null, v39, v39, 1.0
	v_div_scale_f32 v41, vcc_lo, 1.0, v39, 1.0
	v_rcp_f32_e32 v38, v37
	v_nop
	s_delay_alu instid0(TRANS32_DEP_1) | instskip(NEXT) | instid1(VALU_DEP_1)
	v_fma_f32 v40, -v37, v38, 1.0
	v_fmac_f32_e32 v38, v40, v38
	s_delay_alu instid0(VALU_DEP_1) | instskip(NEXT) | instid1(VALU_DEP_1)
	v_mul_f32_e32 v40, v41, v38
	v_fma_f32 v42, -v37, v40, v41
	s_delay_alu instid0(VALU_DEP_1) | instskip(NEXT) | instid1(VALU_DEP_1)
	v_fmac_f32_e32 v40, v42, v38
	v_fma_f32 v37, -v37, v40, v41
	s_delay_alu instid0(VALU_DEP_1) | instskip(SKIP_1) | instid1(VALU_DEP_2)
	v_div_fmas_f32 v38, v37, v38, v40
	v_mul_f32_e32 v37, 0, v36
	v_div_fixup_f32 v38, v38, v39, 1.0
	s_delay_alu instid0(VALU_DEP_2) | instskip(NEXT) | instid1(VALU_DEP_1)
	v_pk_add_f32 v[36:37], v[36:37], v[28:29]
	v_pk_mul_f32 v[36:37], v[36:37], v[38:39] op_sel_hi:[1,0]
.LBB296_245:                            ;   in Loop: Header=BB296_161 Depth=1
	s_or_b32 exec_lo, exec_lo, s4
	v_cmp_neq_f32_e32 vcc_lo, 0, v34
	v_cmp_neq_f32_e64 s4, 0, v35
	v_mov_b32_e32 v40, 0
	s_or_b32 s4, vcc_lo, s4
	s_delay_alu instid0(SALU_CYCLE_1)
	s_and_saveexec_b32 s15, s4
	s_cbranch_execz .LBB296_275
; %bb.246:                              ;   in Loop: Header=BB296_161 Depth=1
	v_mov_b32_e32 v40, 0x7f800000
	s_mov_b32 s16, exec_lo
	v_cmpx_neq_f32_e64 0x7f800000, |v35|
	s_cbranch_execz .LBB296_274
; %bb.247:                              ;   in Loop: Header=BB296_161 Depth=1
                                        ; implicit-def: $vgpr40
	s_mov_b32 s4, exec_lo
	v_cmpx_o_f32_e32 v34, v34
	s_xor_b32 s17, exec_lo, s4
	s_cbranch_execz .LBB296_271
; %bb.248:                              ;   in Loop: Header=BB296_161 Depth=1
                                        ; implicit-def: $vgpr40
	s_mov_b32 s5, exec_lo
	v_cmpx_neq_f32_e64 0x7f800000, |v34|
	s_xor_b32 s18, exec_lo, s5
	s_cbranch_execz .LBB296_264
; %bb.249:                              ;   in Loop: Header=BB296_161 Depth=1
	v_max_num_f32_e64 v38, |v34|, |v34|
	v_max_num_f32_e64 v39, |v35|, |v35|
                                        ; implicit-def: $sgpr19
	s_delay_alu instid0(VALU_DEP_1) | instskip(NEXT) | instid1(VALU_DEP_1)
	v_max_num_f32_e32 v38, v39, v38
	v_cmp_nle_f32_e64 s4, 0x7ed413cb, v38
	s_and_saveexec_b32 s5, s4
	s_delay_alu instid0(SALU_CYCLE_1)
	s_xor_b32 s5, exec_lo, s5
	s_cbranch_execz .LBB296_253
; %bb.250:                              ;   in Loop: Header=BB296_161 Depth=1
	v_cmp_ge_f32_e64 s19, 0x1000000, |v34|
	v_cmp_ge_f32_e64 s20, 0x1000000, |v35|
	s_and_b32 s21, s20, s19
	s_mov_b32 s19, 0
	s_and_saveexec_b32 s20, s21
; %bb.251:                              ;   in Loop: Header=BB296_161 Depth=1
	v_pk_mul_f32 v[34:35], v[34:35], 4.0 op_sel_hi:[1,0]
	s_mov_b32 s19, exec_lo
; %bb.252:                              ;   in Loop: Header=BB296_161 Depth=1
	s_or_b32 exec_lo, exec_lo, s20
.LBB296_253:                            ;   in Loop: Header=BB296_161 Depth=1
	s_and_not1_saveexec_b32 s5, s5
; %bb.254:                              ;   in Loop: Header=BB296_161 Depth=1
	s_delay_alu instid0(VALU_DEP_1)
	v_pk_mul_f32 v[34:35], v[34:35], s[14:15] op_sel_hi:[1,0]
	s_and_not1_b32 s19, s19, exec_lo
; %bb.255:                              ;   in Loop: Header=BB296_161 Depth=1
	s_or_b32 exec_lo, exec_lo, s5
	s_delay_alu instid0(VALU_DEP_1) | instskip(NEXT) | instid1(VALU_DEP_2)
	v_max_num_f32_e64 v38, |v35|, |v35|
	v_max_num_f32_e64 v39, |v34|, |v34|
	s_delay_alu instid0(VALU_DEP_1) | instskip(NEXT) | instid1(VALU_DEP_1)
	v_max_num_f32_e32 v40, v39, v38
	v_cvt_f64_f32_e32 v[38:39], v40
	s_delay_alu instid0(VALU_DEP_1) | instskip(NEXT) | instid1(VALU_DEP_1)
	v_frexp_exp_i32_f64_e32 v38, v[38:39]
	v_sub_nc_u32_e32 v39, 0, v38
	v_cmp_neq_f32_e64 s5, 0x7f800000, v40
	s_delay_alu instid0(VALU_DEP_2) | instskip(SKIP_1) | instid1(VALU_DEP_2)
	v_ldexp_f32 v41, |v35|, v39
	v_ldexp_f32 v39, |v34|, v39
	v_mul_f32_e32 v41, v41, v41
	s_delay_alu instid0(VALU_DEP_1) | instskip(NEXT) | instid1(VALU_DEP_1)
	v_fmac_f32_e32 v41, v39, v39
	v_sqrt_f32_e32 v39, v41
	v_nop
	s_delay_alu instid0(TRANS32_DEP_1) | instskip(NEXT) | instid1(VALU_DEP_1)
	v_ldexp_f32 v38, v39, v38
	v_cndmask_b32_e64 v40, 0x7f800000, v38, s5
                                        ; implicit-def: $vgpr38_vgpr39
	s_mov_b32 s5, exec_lo
	v_cmpx_le_f32_e32 0, v34
	s_xor_b32 s20, exec_lo, s5
	s_cbranch_execz .LBB296_257
; %bb.256:                              ;   in Loop: Header=BB296_161 Depth=1
	v_add_f32_e32 v34, v34, v40
	s_delay_alu instid0(VALU_DEP_1) | instskip(NEXT) | instid1(VALU_DEP_1)
	v_mul_f32_e32 v34, 0.5, v34
	v_mul_f32_e32 v38, 0x4f800000, v34
	v_cmp_gt_f32_e32 vcc_lo, 0xf800000, v34
	s_delay_alu instid0(VALU_DEP_2) | instskip(NEXT) | instid1(VALU_DEP_1)
	v_cndmask_b32_e32 v34, v34, v38, vcc_lo
	v_sqrt_f32_e32 v38, v34
	v_nop
	s_delay_alu instid0(TRANS32_DEP_1) | instskip(NEXT) | instid1(VALU_DEP_1)
	v_dual_add_nc_u32 v39, -1, v38 :: v_dual_add_nc_u32 v40, 1, v38
	v_dual_fma_f32 v41, -v39, v38, v34 :: v_dual_fma_f32 v42, -v40, v38, v34
	s_delay_alu instid0(VALU_DEP_1) | instskip(NEXT) | instid1(VALU_DEP_1)
	v_cmp_ge_f32_e64 s5, 0, v41
	v_cndmask_b32_e64 v38, v38, v39, s5
	s_delay_alu instid0(VALU_DEP_3) | instskip(NEXT) | instid1(VALU_DEP_1)
	v_cmp_lt_f32_e64 s5, 0, v42
	v_cndmask_b32_e64 v38, v38, v40, s5
	s_delay_alu instid0(VALU_DEP_1) | instskip(NEXT) | instid1(VALU_DEP_1)
	v_mul_f32_e32 v39, 0x37800000, v38
	v_cndmask_b32_e32 v38, v38, v39, vcc_lo
	v_cmp_class_f32_e64 vcc_lo, v34, 0x260
	s_delay_alu instid0(VALU_DEP_2) | instskip(NEXT) | instid1(VALU_DEP_1)
	v_cndmask_b32_e32 v38, v38, v34, vcc_lo
	v_add_f32_e32 v34, v38, v38
	s_delay_alu instid0(VALU_DEP_1) | instskip(NEXT) | instid1(VALU_DEP_1)
	v_div_scale_f32 v39, null, v34, v34, v35
	v_rcp_f32_e32 v40, v39
	v_nop
	s_delay_alu instid0(TRANS32_DEP_1) | instskip(NEXT) | instid1(VALU_DEP_1)
	v_fma_f32 v41, -v39, v40, 1.0
	v_fmac_f32_e32 v40, v41, v40
	v_div_scale_f32 v41, vcc_lo, v35, v34, v35
	s_delay_alu instid0(VALU_DEP_1) | instskip(NEXT) | instid1(VALU_DEP_1)
	v_mul_f32_e32 v42, v41, v40
	v_fma_f32 v43, -v39, v42, v41
	s_delay_alu instid0(VALU_DEP_1) | instskip(NEXT) | instid1(VALU_DEP_1)
	v_fmac_f32_e32 v42, v43, v40
	v_fma_f32 v39, -v39, v42, v41
	s_delay_alu instid0(VALU_DEP_1) | instskip(NEXT) | instid1(VALU_DEP_1)
	v_div_fmas_f32 v39, v39, v40, v42
                                        ; implicit-def: $vgpr40
	v_div_fixup_f32 v39, v39, v34, v35
                                        ; implicit-def: $vgpr34_vgpr35
	s_and_not1_saveexec_b32 s20, s20
	s_cbranch_execz .LBB296_259
	s_branch .LBB296_258
.LBB296_257:                            ;   in Loop: Header=BB296_161 Depth=1
	s_and_not1_saveexec_b32 s20, s20
	s_cbranch_execz .LBB296_259
.LBB296_258:                            ;   in Loop: Header=BB296_161 Depth=1
	v_sub_f32_e32 v34, v40, v34
	s_delay_alu instid0(VALU_DEP_1) | instskip(NEXT) | instid1(VALU_DEP_1)
	v_mul_f32_e32 v34, 0.5, v34
	v_mul_f32_e32 v38, 0x4f800000, v34
	v_cmp_gt_f32_e32 vcc_lo, 0xf800000, v34
	s_delay_alu instid0(VALU_DEP_2) | instskip(NEXT) | instid1(VALU_DEP_1)
	v_cndmask_b32_e32 v34, v34, v38, vcc_lo
	v_sqrt_f32_e32 v38, v34
	v_nop
	s_delay_alu instid0(TRANS32_DEP_1) | instskip(NEXT) | instid1(VALU_DEP_1)
	v_dual_add_nc_u32 v39, -1, v38 :: v_dual_add_nc_u32 v40, 1, v38
	v_dual_fma_f32 v41, -v39, v38, v34 :: v_dual_fma_f32 v42, -v40, v38, v34
	s_delay_alu instid0(VALU_DEP_1) | instskip(NEXT) | instid1(VALU_DEP_1)
	v_cmp_ge_f32_e64 s5, 0, v41
	v_cndmask_b32_e64 v38, v38, v39, s5
	s_delay_alu instid0(VALU_DEP_3) | instskip(NEXT) | instid1(VALU_DEP_1)
	v_cmp_lt_f32_e64 s5, 0, v42
	v_cndmask_b32_e64 v38, v38, v40, s5
	s_delay_alu instid0(VALU_DEP_1) | instskip(NEXT) | instid1(VALU_DEP_1)
	v_mul_f32_e32 v39, 0x37800000, v38
	v_cndmask_b32_e32 v38, v38, v39, vcc_lo
	v_cmp_class_f32_e64 vcc_lo, v34, 0x260
	s_delay_alu instid0(VALU_DEP_2) | instskip(SKIP_1) | instid1(VALU_DEP_2)
	v_cndmask_b32_e32 v34, v38, v34, vcc_lo
	v_and_b32_e32 v38, 0x7fffffff, v35
	v_add_f32_e32 v39, v34, v34
	s_delay_alu instid0(VALU_DEP_1) | instskip(SKIP_1) | instid1(VALU_DEP_2)
	v_div_scale_f32 v40, null, v39, v39, v38
	v_div_scale_f32 v38, vcc_lo, v38, v39, v38
	v_rcp_f32_e32 v41, v40
	v_nop
	s_delay_alu instid0(TRANS32_DEP_1) | instskip(NEXT) | instid1(VALU_DEP_1)
	v_fma_f32 v42, -v40, v41, 1.0
	v_fmac_f32_e32 v41, v42, v41
	s_delay_alu instid0(VALU_DEP_1) | instskip(NEXT) | instid1(VALU_DEP_1)
	v_mul_f32_e32 v42, v38, v41
	v_fma_f32 v43, -v40, v42, v38
	s_delay_alu instid0(VALU_DEP_1) | instskip(NEXT) | instid1(VALU_DEP_1)
	v_fmac_f32_e32 v42, v43, v41
	v_fma_f32 v38, -v40, v42, v38
	s_delay_alu instid0(VALU_DEP_1) | instskip(NEXT) | instid1(VALU_DEP_1)
	v_div_fmas_f32 v38, v38, v41, v42
	v_div_fixup_f32 v38, v38, v39, |v35|
	v_bfi_b32 v39, 0x7fffffff, v34, v35
.LBB296_259:                            ;   in Loop: Header=BB296_161 Depth=1
	s_or_b32 exec_lo, exec_lo, s20
                                        ; implicit-def: $vgpr35
                                        ; implicit-def: $vgpr40
	s_and_saveexec_b32 s5, s4
	s_delay_alu instid0(SALU_CYCLE_1)
	s_xor_b32 s4, exec_lo, s5
	s_cbranch_execz .LBB296_261
; %bb.260:                              ;   in Loop: Header=BB296_161 Depth=1
	v_pk_mul_f32 v[34:35], v[38:39], 0.5 op_sel_hi:[1,0]
	s_delay_alu instid0(VALU_DEP_1)
	v_dual_cndmask_b32 v40, v38, v34, s19 :: v_dual_cndmask_b32 v35, v39, v35, s19
                                        ; implicit-def: $vgpr38_vgpr39
	s_and_not1_saveexec_b32 s4, s4
	s_cbranch_execnz .LBB296_262
	s_branch .LBB296_263
.LBB296_261:                            ;   in Loop: Header=BB296_161 Depth=1
	s_and_not1_saveexec_b32 s4, s4
.LBB296_262:                            ;   in Loop: Header=BB296_161 Depth=1
	v_pk_add_f32 v[34:35], v[38:39], v[38:39]
	s_delay_alu instid0(VALU_DEP_1)
	v_mov_b32_e32 v40, v34
.LBB296_263:                            ;   in Loop: Header=BB296_161 Depth=1
	s_or_b32 exec_lo, exec_lo, s4
.LBB296_264:                            ;   in Loop: Header=BB296_161 Depth=1
	s_and_not1_saveexec_b32 s4, s18
	s_cbranch_execz .LBB296_270
; %bb.265:                              ;   in Loop: Header=BB296_161 Depth=1
	v_sub_f32_e32 v38, v35, v35
	s_mov_b32 s5, exec_lo
	s_delay_alu instid0(VALU_DEP_1)
	v_and_b32_e32 v40, 0x7fffffff, v38
	v_cmpx_lt_i32_e32 -1, v34
	s_xor_b32 s5, exec_lo, s5
; %bb.266:                              ;   in Loop: Header=BB296_161 Depth=1
	v_bfi_b32 v35, 0x7fffffff, v38, v35
	v_mov_b32_e32 v40, v34
; %bb.267:                              ;   in Loop: Header=BB296_161 Depth=1
	s_and_not1_saveexec_b32 s5, s5
; %bb.268:                              ;   in Loop: Header=BB296_161 Depth=1
	s_delay_alu instid0(VALU_DEP_2)
	v_bfi_b32 v35, 0x7fffffff, v34, v35
; %bb.269:                              ;   in Loop: Header=BB296_161 Depth=1
	s_or_b32 exec_lo, exec_lo, s5
.LBB296_270:                            ;   in Loop: Header=BB296_161 Depth=1
	s_delay_alu instid0(SALU_CYCLE_1)
	s_or_b32 exec_lo, exec_lo, s4
.LBB296_271:                            ;   in Loop: Header=BB296_161 Depth=1
	s_and_not1_saveexec_b32 s4, s17
	s_cbranch_execz .LBB296_273
; %bb.272:                              ;   in Loop: Header=BB296_161 Depth=1
	v_sub_f32_e32 v35, v35, v35
	s_delay_alu instid0(VALU_DEP_1) | instskip(NEXT) | instid1(VALU_DEP_1)
	v_div_scale_f32 v38, vcc_lo, v35, v35, v35
	v_rcp_f32_e32 v39, v38
	v_nop
	s_delay_alu instid0(TRANS32_DEP_1) | instskip(NEXT) | instid1(VALU_DEP_1)
	v_fma_f32 v40, -v38, v39, 1.0
	v_fmac_f32_e32 v39, v40, v39
	s_delay_alu instid0(VALU_DEP_1) | instskip(NEXT) | instid1(VALU_DEP_1)
	v_mul_f32_e32 v40, v38, v39
	v_fma_f32 v41, -v38, v40, v38
	s_delay_alu instid0(VALU_DEP_1) | instskip(NEXT) | instid1(VALU_DEP_1)
	v_fmac_f32_e32 v40, v41, v39
	v_fma_f32 v38, -v38, v40, v38
	s_delay_alu instid0(VALU_DEP_1) | instskip(SKIP_1) | instid1(VALU_DEP_2)
	v_div_fmas_f32 v38, v38, v39, v40
	v_mov_b32_e32 v40, v34
	v_div_fixup_f32 v35, v38, v35, v35
.LBB296_273:                            ;   in Loop: Header=BB296_161 Depth=1
	s_or_b32 exec_lo, exec_lo, s4
.LBB296_274:                            ;   in Loop: Header=BB296_161 Depth=1
	s_delay_alu instid0(SALU_CYCLE_1)
	s_or_b32 exec_lo, exec_lo, s16
.LBB296_275:                            ;   in Loop: Header=BB296_161 Depth=1
	s_delay_alu instid0(SALU_CYCLE_1) | instskip(NEXT) | instid1(VALU_DEP_1)
	s_or_b32 exec_lo, exec_lo, s15
	v_cmp_gt_f32_e32 vcc_lo, 0, v35
                                        ; implicit-def: $vgpr38_vgpr39
	s_mov_b32 s4, exec_lo
	v_cndmask_b32_e64 v34, v35, -v35, vcc_lo
	v_cmp_gt_f32_e32 vcc_lo, 0, v40
	v_cndmask_b32_e64 v41, v40, -v40, vcc_lo
	s_delay_alu instid0(VALU_DEP_1)
	v_cmpx_ge_f32_e32 v41, v34
	s_xor_b32 s5, exec_lo, s4
	s_cbranch_execz .LBB296_281
; %bb.276:                              ;   in Loop: Header=BB296_161 Depth=1
	v_cmp_neq_f32_e32 vcc_lo, 0, v40
	v_cmp_neq_f32_e64 s4, 0, v35
                                        ; implicit-def: $vgpr38_vgpr39
	s_or_b32 s4, vcc_lo, s4
	s_delay_alu instid0(SALU_CYCLE_1) | instskip(NEXT) | instid1(SALU_CYCLE_1)
	s_and_saveexec_b32 s15, s4
	s_xor_b32 s4, exec_lo, s15
	s_cbranch_execz .LBB296_278
; %bb.277:                              ;   in Loop: Header=BB296_161 Depth=1
	v_div_scale_f32 v34, null, v40, v40, v35
	v_div_scale_f32 v41, vcc_lo, v35, v40, v35
	s_delay_alu instid0(VALU_DEP_2) | instskip(SKIP_1) | instid1(TRANS32_DEP_1)
	v_rcp_f32_e32 v38, v34
	v_nop
	v_fma_f32 v39, -v34, v38, 1.0
	s_delay_alu instid0(VALU_DEP_1) | instskip(NEXT) | instid1(VALU_DEP_1)
	v_fmac_f32_e32 v38, v39, v38
	v_mul_f32_e32 v39, v41, v38
	s_delay_alu instid0(VALU_DEP_1) | instskip(NEXT) | instid1(VALU_DEP_1)
	v_fma_f32 v42, -v34, v39, v41
	v_fmac_f32_e32 v39, v42, v38
	s_delay_alu instid0(VALU_DEP_1) | instskip(NEXT) | instid1(VALU_DEP_1)
	v_fma_f32 v34, -v34, v39, v41
	v_div_fmas_f32 v34, v34, v38, v39
	s_delay_alu instid0(VALU_DEP_1) | instskip(NEXT) | instid1(VALU_DEP_1)
	v_div_fixup_f32 v39, v34, v40, v35
	v_fmac_f32_e32 v40, v35, v39
	s_delay_alu instid0(VALU_DEP_1) | instskip(SKIP_1) | instid1(VALU_DEP_2)
	v_div_scale_f32 v34, null, v40, v40, 1.0
	v_div_scale_f32 v41, vcc_lo, 1.0, v40, 1.0
	v_rcp_f32_e32 v35, v34
	v_nop
	s_delay_alu instid0(TRANS32_DEP_1) | instskip(NEXT) | instid1(VALU_DEP_1)
	v_fma_f32 v38, -v34, v35, 1.0
	v_fmac_f32_e32 v35, v38, v35
	s_delay_alu instid0(VALU_DEP_1) | instskip(NEXT) | instid1(VALU_DEP_1)
	v_mul_f32_e32 v38, v41, v35
	v_fma_f32 v42, -v34, v38, v41
	s_delay_alu instid0(VALU_DEP_1) | instskip(NEXT) | instid1(VALU_DEP_1)
	v_fmac_f32_e32 v38, v42, v35
	v_dual_fma_f32 v34, -v34, v38, v41 :: v_dual_mul_f32 v41, 0, v39
	s_delay_alu instid0(VALU_DEP_1) | instskip(NEXT) | instid1(VALU_DEP_1)
	v_div_fmas_f32 v35, v34, v35, v38
	v_div_fixup_f32 v38, v35, v40, 1.0
	s_delay_alu instid0(VALU_DEP_3) | instskip(NEXT) | instid1(VALU_DEP_1)
	v_dual_sub_f32 v35, 0, v39 :: v_dual_add_f32 v34, 1.0, v41
                                        ; implicit-def: $vgpr41
	v_pk_mul_f32 v[38:39], v[34:35], v[38:39] op_sel_hi:[1,0]
                                        ; implicit-def: $vgpr34
.LBB296_278:                            ;   in Loop: Header=BB296_161 Depth=1
	s_and_not1_saveexec_b32 s15, s4
	s_cbranch_execz .LBB296_280
; %bb.279:                              ;   in Loop: Header=BB296_161 Depth=1
	v_div_scale_f32 v35, null, v34, v34, 0
	v_div_scale_f32 v38, null, v41, v41, 1.0
	v_div_scale_f32 v44, vcc_lo, 0, v34, 0
	s_delay_alu instid0(VALU_DEP_3) | instskip(NEXT) | instid1(VALU_DEP_2)
	v_rcp_f32_e32 v39, v35
	v_rcp_f32_e32 v40, v38
	s_delay_alu instid0(TRANS32_DEP_2) | instskip(NEXT) | instid1(TRANS32_DEP_1)
	v_fma_f32 v42, -v35, v39, 1.0
	v_fma_f32 v43, -v38, v40, 1.0
	s_delay_alu instid0(VALU_DEP_1) | instskip(SKIP_1) | instid1(VALU_DEP_1)
	v_dual_fmac_f32 v39, v42, v39 :: v_dual_fmac_f32 v40, v43, v40
	v_div_scale_f32 v42, s4, 1.0, v41, 1.0
	v_dual_mul_f32 v43, v44, v39 :: v_dual_mul_f32 v45, v42, v40
	s_delay_alu instid0(VALU_DEP_1) | instskip(NEXT) | instid1(VALU_DEP_1)
	v_dual_fma_f32 v46, -v35, v43, v44 :: v_dual_fma_f32 v47, -v38, v45, v42
	v_dual_fmac_f32 v43, v46, v39 :: v_dual_fmac_f32 v45, v47, v40
	s_delay_alu instid0(VALU_DEP_1) | instskip(NEXT) | instid1(VALU_DEP_1)
	v_dual_fma_f32 v35, -v35, v43, v44 :: v_dual_fma_f32 v38, -v38, v45, v42
	v_div_fmas_f32 v35, v35, v39, v43
	s_mov_b32 vcc_lo, s4
	s_delay_alu instid0(VALU_DEP_2) | instskip(NEXT) | instid1(VALU_DEP_2)
	v_div_fmas_f32 v38, v38, v40, v45
	v_div_fixup_f32 v39, v35, v34, 0
	s_delay_alu instid0(VALU_DEP_2)
	v_div_fixup_f32 v38, v38, v41, 1.0
.LBB296_280:                            ;   in Loop: Header=BB296_161 Depth=1
	s_or_b32 exec_lo, exec_lo, s15
                                        ; implicit-def: $vgpr35
                                        ; implicit-def: $vgpr40
.LBB296_281:                            ;   in Loop: Header=BB296_161 Depth=1
	s_and_not1_saveexec_b32 s4, s5
	s_cbranch_execz .LBB296_283
; %bb.282:                              ;   in Loop: Header=BB296_161 Depth=1
	v_div_scale_f32 v34, null, v35, v35, v40
	v_div_scale_f32 v41, vcc_lo, v40, v35, v40
	s_delay_alu instid0(VALU_DEP_2) | instskip(SKIP_1) | instid1(TRANS32_DEP_1)
	v_rcp_f32_e32 v38, v34
	v_nop
	v_fma_f32 v39, -v34, v38, 1.0
	s_delay_alu instid0(VALU_DEP_1) | instskip(NEXT) | instid1(VALU_DEP_1)
	v_fmac_f32_e32 v38, v39, v38
	v_mul_f32_e32 v39, v41, v38
	s_delay_alu instid0(VALU_DEP_1) | instskip(NEXT) | instid1(VALU_DEP_1)
	v_fma_f32 v42, -v34, v39, v41
	v_fmac_f32_e32 v39, v42, v38
	s_delay_alu instid0(VALU_DEP_1) | instskip(NEXT) | instid1(VALU_DEP_1)
	v_fma_f32 v34, -v34, v39, v41
	v_div_fmas_f32 v34, v34, v38, v39
	s_delay_alu instid0(VALU_DEP_1) | instskip(NEXT) | instid1(VALU_DEP_1)
	v_div_fixup_f32 v38, v34, v35, v40
	v_fmac_f32_e32 v35, v40, v38
	s_delay_alu instid0(VALU_DEP_1) | instskip(SKIP_1) | instid1(VALU_DEP_2)
	v_div_scale_f32 v34, null, v35, v35, 1.0
	v_div_scale_f32 v41, vcc_lo, 1.0, v35, 1.0
	v_rcp_f32_e32 v39, v34
	v_nop
	s_delay_alu instid0(TRANS32_DEP_1) | instskip(NEXT) | instid1(VALU_DEP_1)
	v_fma_f32 v40, -v34, v39, 1.0
	v_fmac_f32_e32 v39, v40, v39
	s_delay_alu instid0(VALU_DEP_1) | instskip(NEXT) | instid1(VALU_DEP_1)
	v_mul_f32_e32 v40, v41, v39
	v_fma_f32 v42, -v34, v40, v41
	s_delay_alu instid0(VALU_DEP_1) | instskip(NEXT) | instid1(VALU_DEP_1)
	v_fmac_f32_e32 v40, v42, v39
	v_fma_f32 v34, -v34, v40, v41
	s_delay_alu instid0(VALU_DEP_1) | instskip(SKIP_1) | instid1(VALU_DEP_2)
	v_div_fmas_f32 v34, v34, v39, v40
	v_mul_f32_e32 v39, 0, v38
	v_div_fixup_f32 v34, v34, v35, 1.0
	s_delay_alu instid0(VALU_DEP_2) | instskip(NEXT) | instid1(VALU_DEP_1)
	v_pk_add_f32 v[38:39], v[38:39], v[28:29]
	v_pk_mul_f32 v[38:39], v[38:39], v[34:35] op_sel_hi:[1,0]
.LBB296_283:                            ;   in Loop: Header=BB296_161 Depth=1
	s_or_b32 exec_lo, exec_lo, s4
	v_cmp_neq_f32_e32 vcc_lo, 0, v30
	v_cmp_neq_f32_e64 s4, 0, v31
	v_mov_b32_e32 v40, 0
	s_or_b32 s4, vcc_lo, s4
	s_delay_alu instid0(SALU_CYCLE_1)
	s_and_saveexec_b32 s15, s4
	s_cbranch_execz .LBB296_313
; %bb.284:                              ;   in Loop: Header=BB296_161 Depth=1
	v_mov_b32_e32 v40, 0x7f800000
	s_mov_b32 s16, exec_lo
	v_cmpx_neq_f32_e64 0x7f800000, |v31|
	s_cbranch_execz .LBB296_312
; %bb.285:                              ;   in Loop: Header=BB296_161 Depth=1
                                        ; implicit-def: $vgpr40
	s_mov_b32 s4, exec_lo
	v_cmpx_o_f32_e32 v30, v30
	s_xor_b32 s17, exec_lo, s4
	s_cbranch_execz .LBB296_309
; %bb.286:                              ;   in Loop: Header=BB296_161 Depth=1
                                        ; implicit-def: $vgpr40
	s_mov_b32 s5, exec_lo
	v_cmpx_neq_f32_e64 0x7f800000, |v30|
	s_xor_b32 s18, exec_lo, s5
	s_cbranch_execz .LBB296_302
; %bb.287:                              ;   in Loop: Header=BB296_161 Depth=1
	v_max_num_f32_e64 v34, |v30|, |v30|
	v_max_num_f32_e64 v35, |v31|, |v31|
                                        ; implicit-def: $sgpr19
	s_delay_alu instid0(VALU_DEP_1) | instskip(NEXT) | instid1(VALU_DEP_1)
	v_max_num_f32_e32 v34, v35, v34
	v_cmp_nle_f32_e64 s4, 0x7ed413cb, v34
	s_and_saveexec_b32 s5, s4
	s_delay_alu instid0(SALU_CYCLE_1)
	s_xor_b32 s5, exec_lo, s5
	s_cbranch_execz .LBB296_291
; %bb.288:                              ;   in Loop: Header=BB296_161 Depth=1
	v_cmp_ge_f32_e64 s19, 0x1000000, |v30|
	v_cmp_ge_f32_e64 s20, 0x1000000, |v31|
	s_and_b32 s21, s20, s19
	s_mov_b32 s19, 0
	s_and_saveexec_b32 s20, s21
; %bb.289:                              ;   in Loop: Header=BB296_161 Depth=1
	v_pk_mul_f32 v[30:31], v[30:31], 4.0 op_sel_hi:[1,0]
	s_mov_b32 s19, exec_lo
; %bb.290:                              ;   in Loop: Header=BB296_161 Depth=1
	s_or_b32 exec_lo, exec_lo, s20
.LBB296_291:                            ;   in Loop: Header=BB296_161 Depth=1
	s_and_not1_saveexec_b32 s5, s5
; %bb.292:                              ;   in Loop: Header=BB296_161 Depth=1
	s_delay_alu instid0(VALU_DEP_1)
	v_pk_mul_f32 v[30:31], v[30:31], s[14:15] op_sel_hi:[1,0]
	s_and_not1_b32 s19, s19, exec_lo
; %bb.293:                              ;   in Loop: Header=BB296_161 Depth=1
	s_or_b32 exec_lo, exec_lo, s5
	s_delay_alu instid0(VALU_DEP_1) | instskip(NEXT) | instid1(VALU_DEP_2)
	v_max_num_f32_e64 v34, |v31|, |v31|
	v_max_num_f32_e64 v35, |v30|, |v30|
	s_delay_alu instid0(VALU_DEP_1) | instskip(NEXT) | instid1(VALU_DEP_1)
	v_max_num_f32_e32 v40, v35, v34
	v_cvt_f64_f32_e32 v[34:35], v40
	s_delay_alu instid0(VALU_DEP_1) | instskip(NEXT) | instid1(VALU_DEP_1)
	v_frexp_exp_i32_f64_e32 v34, v[34:35]
	v_sub_nc_u32_e32 v35, 0, v34
	v_cmp_neq_f32_e64 s5, 0x7f800000, v40
	s_delay_alu instid0(VALU_DEP_2) | instskip(SKIP_1) | instid1(VALU_DEP_2)
	v_ldexp_f32 v41, |v31|, v35
	v_ldexp_f32 v35, |v30|, v35
	v_mul_f32_e32 v41, v41, v41
	s_delay_alu instid0(VALU_DEP_1) | instskip(NEXT) | instid1(VALU_DEP_1)
	v_fmac_f32_e32 v41, v35, v35
	v_sqrt_f32_e32 v35, v41
	v_nop
	s_delay_alu instid0(TRANS32_DEP_1) | instskip(NEXT) | instid1(VALU_DEP_1)
	v_ldexp_f32 v34, v35, v34
	v_cndmask_b32_e64 v40, 0x7f800000, v34, s5
                                        ; implicit-def: $vgpr34_vgpr35
	s_mov_b32 s5, exec_lo
	v_cmpx_le_f32_e32 0, v30
	s_xor_b32 s20, exec_lo, s5
	s_cbranch_execz .LBB296_295
; %bb.294:                              ;   in Loop: Header=BB296_161 Depth=1
	v_add_f32_e32 v30, v30, v40
	s_delay_alu instid0(VALU_DEP_1) | instskip(NEXT) | instid1(VALU_DEP_1)
	v_mul_f32_e32 v30, 0.5, v30
	v_mul_f32_e32 v34, 0x4f800000, v30
	v_cmp_gt_f32_e32 vcc_lo, 0xf800000, v30
	s_delay_alu instid0(VALU_DEP_2) | instskip(NEXT) | instid1(VALU_DEP_1)
	v_cndmask_b32_e32 v30, v30, v34, vcc_lo
	v_sqrt_f32_e32 v34, v30
	v_nop
	s_delay_alu instid0(TRANS32_DEP_1) | instskip(NEXT) | instid1(VALU_DEP_1)
	v_dual_add_nc_u32 v35, -1, v34 :: v_dual_add_nc_u32 v40, 1, v34
	v_dual_fma_f32 v41, -v35, v34, v30 :: v_dual_fma_f32 v42, -v40, v34, v30
	s_delay_alu instid0(VALU_DEP_1) | instskip(NEXT) | instid1(VALU_DEP_1)
	v_cmp_ge_f32_e64 s5, 0, v41
	v_cndmask_b32_e64 v34, v34, v35, s5
	s_delay_alu instid0(VALU_DEP_3) | instskip(NEXT) | instid1(VALU_DEP_1)
	v_cmp_lt_f32_e64 s5, 0, v42
	v_cndmask_b32_e64 v34, v34, v40, s5
	s_delay_alu instid0(VALU_DEP_1) | instskip(NEXT) | instid1(VALU_DEP_1)
	v_mul_f32_e32 v35, 0x37800000, v34
	v_cndmask_b32_e32 v34, v34, v35, vcc_lo
	v_cmp_class_f32_e64 vcc_lo, v30, 0x260
	s_delay_alu instid0(VALU_DEP_2) | instskip(NEXT) | instid1(VALU_DEP_1)
	v_cndmask_b32_e32 v34, v34, v30, vcc_lo
	v_add_f32_e32 v30, v34, v34
	s_delay_alu instid0(VALU_DEP_1) | instskip(NEXT) | instid1(VALU_DEP_1)
	v_div_scale_f32 v35, null, v30, v30, v31
	v_rcp_f32_e32 v40, v35
	v_nop
	s_delay_alu instid0(TRANS32_DEP_1) | instskip(NEXT) | instid1(VALU_DEP_1)
	v_fma_f32 v41, -v35, v40, 1.0
	v_fmac_f32_e32 v40, v41, v40
	v_div_scale_f32 v41, vcc_lo, v31, v30, v31
	s_delay_alu instid0(VALU_DEP_1) | instskip(NEXT) | instid1(VALU_DEP_1)
	v_mul_f32_e32 v42, v41, v40
	v_fma_f32 v43, -v35, v42, v41
	s_delay_alu instid0(VALU_DEP_1) | instskip(NEXT) | instid1(VALU_DEP_1)
	v_fmac_f32_e32 v42, v43, v40
	v_fma_f32 v35, -v35, v42, v41
	s_delay_alu instid0(VALU_DEP_1) | instskip(NEXT) | instid1(VALU_DEP_1)
	v_div_fmas_f32 v35, v35, v40, v42
                                        ; implicit-def: $vgpr40
	v_div_fixup_f32 v35, v35, v30, v31
                                        ; implicit-def: $vgpr30_vgpr31
	s_and_not1_saveexec_b32 s20, s20
	s_cbranch_execz .LBB296_297
	s_branch .LBB296_296
.LBB296_295:                            ;   in Loop: Header=BB296_161 Depth=1
	s_and_not1_saveexec_b32 s20, s20
	s_cbranch_execz .LBB296_297
.LBB296_296:                            ;   in Loop: Header=BB296_161 Depth=1
	v_sub_f32_e32 v30, v40, v30
	s_delay_alu instid0(VALU_DEP_1) | instskip(NEXT) | instid1(VALU_DEP_1)
	v_mul_f32_e32 v30, 0.5, v30
	v_mul_f32_e32 v34, 0x4f800000, v30
	v_cmp_gt_f32_e32 vcc_lo, 0xf800000, v30
	s_delay_alu instid0(VALU_DEP_2) | instskip(NEXT) | instid1(VALU_DEP_1)
	v_cndmask_b32_e32 v30, v30, v34, vcc_lo
	v_sqrt_f32_e32 v34, v30
	v_nop
	s_delay_alu instid0(TRANS32_DEP_1) | instskip(NEXT) | instid1(VALU_DEP_1)
	v_dual_add_nc_u32 v35, -1, v34 :: v_dual_add_nc_u32 v40, 1, v34
	v_dual_fma_f32 v41, -v35, v34, v30 :: v_dual_fma_f32 v42, -v40, v34, v30
	s_delay_alu instid0(VALU_DEP_1) | instskip(NEXT) | instid1(VALU_DEP_1)
	v_cmp_ge_f32_e64 s5, 0, v41
	v_cndmask_b32_e64 v34, v34, v35, s5
	s_delay_alu instid0(VALU_DEP_3) | instskip(NEXT) | instid1(VALU_DEP_1)
	v_cmp_lt_f32_e64 s5, 0, v42
	v_cndmask_b32_e64 v34, v34, v40, s5
	s_delay_alu instid0(VALU_DEP_1) | instskip(NEXT) | instid1(VALU_DEP_1)
	v_mul_f32_e32 v35, 0x37800000, v34
	v_cndmask_b32_e32 v34, v34, v35, vcc_lo
	v_cmp_class_f32_e64 vcc_lo, v30, 0x260
	s_delay_alu instid0(VALU_DEP_2) | instskip(SKIP_1) | instid1(VALU_DEP_2)
	v_cndmask_b32_e32 v30, v34, v30, vcc_lo
	v_and_b32_e32 v34, 0x7fffffff, v31
	v_add_f32_e32 v35, v30, v30
	s_delay_alu instid0(VALU_DEP_1) | instskip(SKIP_1) | instid1(VALU_DEP_2)
	v_div_scale_f32 v40, null, v35, v35, v34
	v_div_scale_f32 v34, vcc_lo, v34, v35, v34
	v_rcp_f32_e32 v41, v40
	v_nop
	s_delay_alu instid0(TRANS32_DEP_1) | instskip(NEXT) | instid1(VALU_DEP_1)
	v_fma_f32 v42, -v40, v41, 1.0
	v_fmac_f32_e32 v41, v42, v41
	s_delay_alu instid0(VALU_DEP_1) | instskip(NEXT) | instid1(VALU_DEP_1)
	v_mul_f32_e32 v42, v34, v41
	v_fma_f32 v43, -v40, v42, v34
	s_delay_alu instid0(VALU_DEP_1) | instskip(NEXT) | instid1(VALU_DEP_1)
	v_fmac_f32_e32 v42, v43, v41
	v_fma_f32 v34, -v40, v42, v34
	s_delay_alu instid0(VALU_DEP_1) | instskip(NEXT) | instid1(VALU_DEP_1)
	v_div_fmas_f32 v34, v34, v41, v42
	v_div_fixup_f32 v34, v34, v35, |v31|
	v_bfi_b32 v35, 0x7fffffff, v30, v31
.LBB296_297:                            ;   in Loop: Header=BB296_161 Depth=1
	s_or_b32 exec_lo, exec_lo, s20
                                        ; implicit-def: $vgpr31
                                        ; implicit-def: $vgpr40
	s_and_saveexec_b32 s5, s4
	s_delay_alu instid0(SALU_CYCLE_1)
	s_xor_b32 s4, exec_lo, s5
	s_cbranch_execz .LBB296_299
; %bb.298:                              ;   in Loop: Header=BB296_161 Depth=1
	v_pk_mul_f32 v[30:31], v[34:35], 0.5 op_sel_hi:[1,0]
	s_delay_alu instid0(VALU_DEP_1)
	v_dual_cndmask_b32 v40, v34, v30, s19 :: v_dual_cndmask_b32 v31, v35, v31, s19
                                        ; implicit-def: $vgpr34_vgpr35
	s_and_not1_saveexec_b32 s4, s4
	s_cbranch_execnz .LBB296_300
	s_branch .LBB296_301
.LBB296_299:                            ;   in Loop: Header=BB296_161 Depth=1
	s_and_not1_saveexec_b32 s4, s4
.LBB296_300:                            ;   in Loop: Header=BB296_161 Depth=1
	v_pk_add_f32 v[30:31], v[34:35], v[34:35]
	s_delay_alu instid0(VALU_DEP_1)
	v_mov_b32_e32 v40, v30
.LBB296_301:                            ;   in Loop: Header=BB296_161 Depth=1
	s_or_b32 exec_lo, exec_lo, s4
.LBB296_302:                            ;   in Loop: Header=BB296_161 Depth=1
	s_and_not1_saveexec_b32 s4, s18
	s_cbranch_execz .LBB296_308
; %bb.303:                              ;   in Loop: Header=BB296_161 Depth=1
	v_sub_f32_e32 v34, v31, v31
	s_mov_b32 s5, exec_lo
	s_delay_alu instid0(VALU_DEP_1)
	v_and_b32_e32 v40, 0x7fffffff, v34
	v_cmpx_lt_i32_e32 -1, v30
	s_xor_b32 s5, exec_lo, s5
; %bb.304:                              ;   in Loop: Header=BB296_161 Depth=1
	v_bfi_b32 v31, 0x7fffffff, v34, v31
	v_mov_b32_e32 v40, v30
; %bb.305:                              ;   in Loop: Header=BB296_161 Depth=1
	s_and_not1_saveexec_b32 s5, s5
; %bb.306:                              ;   in Loop: Header=BB296_161 Depth=1
	s_delay_alu instid0(VALU_DEP_2)
	v_bfi_b32 v31, 0x7fffffff, v30, v31
; %bb.307:                              ;   in Loop: Header=BB296_161 Depth=1
	s_or_b32 exec_lo, exec_lo, s5
.LBB296_308:                            ;   in Loop: Header=BB296_161 Depth=1
	s_delay_alu instid0(SALU_CYCLE_1)
	s_or_b32 exec_lo, exec_lo, s4
.LBB296_309:                            ;   in Loop: Header=BB296_161 Depth=1
	s_and_not1_saveexec_b32 s4, s17
	s_cbranch_execz .LBB296_311
; %bb.310:                              ;   in Loop: Header=BB296_161 Depth=1
	v_sub_f32_e32 v31, v31, v31
	s_delay_alu instid0(VALU_DEP_1) | instskip(NEXT) | instid1(VALU_DEP_1)
	v_div_scale_f32 v34, vcc_lo, v31, v31, v31
	v_rcp_f32_e32 v35, v34
	v_nop
	s_delay_alu instid0(TRANS32_DEP_1) | instskip(NEXT) | instid1(VALU_DEP_1)
	v_fma_f32 v40, -v34, v35, 1.0
	v_fmac_f32_e32 v35, v40, v35
	s_delay_alu instid0(VALU_DEP_1) | instskip(NEXT) | instid1(VALU_DEP_1)
	v_mul_f32_e32 v40, v34, v35
	v_fma_f32 v41, -v34, v40, v34
	s_delay_alu instid0(VALU_DEP_1) | instskip(NEXT) | instid1(VALU_DEP_1)
	v_fmac_f32_e32 v40, v41, v35
	v_fma_f32 v34, -v34, v40, v34
	s_delay_alu instid0(VALU_DEP_1) | instskip(SKIP_1) | instid1(VALU_DEP_2)
	v_div_fmas_f32 v34, v34, v35, v40
	v_mov_b32_e32 v40, v30
	v_div_fixup_f32 v31, v34, v31, v31
.LBB296_311:                            ;   in Loop: Header=BB296_161 Depth=1
	s_or_b32 exec_lo, exec_lo, s4
.LBB296_312:                            ;   in Loop: Header=BB296_161 Depth=1
	s_delay_alu instid0(SALU_CYCLE_1)
	s_or_b32 exec_lo, exec_lo, s16
.LBB296_313:                            ;   in Loop: Header=BB296_161 Depth=1
	s_delay_alu instid0(SALU_CYCLE_1) | instskip(NEXT) | instid1(VALU_DEP_1)
	s_or_b32 exec_lo, exec_lo, s15
	v_cmp_gt_f32_e32 vcc_lo, 0, v31
                                        ; implicit-def: $vgpr34_vgpr35
	s_mov_b32 s4, exec_lo
	v_cndmask_b32_e64 v30, v31, -v31, vcc_lo
	v_cmp_gt_f32_e32 vcc_lo, 0, v40
	v_cndmask_b32_e64 v41, v40, -v40, vcc_lo
	s_delay_alu instid0(VALU_DEP_1)
	v_cmpx_ge_f32_e32 v41, v30
	s_xor_b32 s5, exec_lo, s4
	s_cbranch_execz .LBB296_323
; %bb.314:                              ;   in Loop: Header=BB296_161 Depth=1
	v_cmp_neq_f32_e32 vcc_lo, 0, v40
	v_cmp_neq_f32_e64 s4, 0, v31
                                        ; implicit-def: $vgpr34_vgpr35
	s_or_b32 s4, vcc_lo, s4
	s_delay_alu instid0(SALU_CYCLE_1) | instskip(NEXT) | instid1(SALU_CYCLE_1)
	s_and_saveexec_b32 s15, s4
	s_xor_b32 s4, exec_lo, s15
	s_cbranch_execz .LBB296_316
; %bb.315:                              ;   in Loop: Header=BB296_161 Depth=1
	v_div_scale_f32 v30, null, v40, v40, v31
	v_div_scale_f32 v41, vcc_lo, v31, v40, v31
	s_delay_alu instid0(VALU_DEP_2) | instskip(SKIP_1) | instid1(TRANS32_DEP_1)
	v_rcp_f32_e32 v34, v30
	v_nop
	v_fma_f32 v35, -v30, v34, 1.0
	s_delay_alu instid0(VALU_DEP_1) | instskip(NEXT) | instid1(VALU_DEP_1)
	v_fmac_f32_e32 v34, v35, v34
	v_mul_f32_e32 v35, v41, v34
	s_delay_alu instid0(VALU_DEP_1) | instskip(NEXT) | instid1(VALU_DEP_1)
	v_fma_f32 v42, -v30, v35, v41
	v_fmac_f32_e32 v35, v42, v34
	s_delay_alu instid0(VALU_DEP_1) | instskip(NEXT) | instid1(VALU_DEP_1)
	v_fma_f32 v30, -v30, v35, v41
	v_div_fmas_f32 v30, v30, v34, v35
	s_delay_alu instid0(VALU_DEP_1) | instskip(NEXT) | instid1(VALU_DEP_1)
	v_div_fixup_f32 v35, v30, v40, v31
	v_fmac_f32_e32 v40, v31, v35
	s_delay_alu instid0(VALU_DEP_1) | instskip(SKIP_1) | instid1(VALU_DEP_2)
	v_div_scale_f32 v30, null, v40, v40, 1.0
	v_div_scale_f32 v41, vcc_lo, 1.0, v40, 1.0
	v_rcp_f32_e32 v31, v30
	v_nop
	s_delay_alu instid0(TRANS32_DEP_1) | instskip(NEXT) | instid1(VALU_DEP_1)
	v_fma_f32 v34, -v30, v31, 1.0
	v_fmac_f32_e32 v31, v34, v31
	s_delay_alu instid0(VALU_DEP_1) | instskip(NEXT) | instid1(VALU_DEP_1)
	v_mul_f32_e32 v34, v41, v31
	v_fma_f32 v42, -v30, v34, v41
	s_delay_alu instid0(VALU_DEP_1) | instskip(NEXT) | instid1(VALU_DEP_1)
	v_fmac_f32_e32 v34, v42, v31
	v_dual_fma_f32 v30, -v30, v34, v41 :: v_dual_mul_f32 v41, 0, v35
	s_delay_alu instid0(VALU_DEP_1) | instskip(NEXT) | instid1(VALU_DEP_1)
	v_div_fmas_f32 v31, v30, v31, v34
	v_div_fixup_f32 v34, v31, v40, 1.0
	s_delay_alu instid0(VALU_DEP_3) | instskip(NEXT) | instid1(VALU_DEP_1)
	v_dual_sub_f32 v31, 0, v35 :: v_dual_add_f32 v30, 1.0, v41
                                        ; implicit-def: $vgpr41
	v_pk_mul_f32 v[34:35], v[30:31], v[34:35] op_sel_hi:[1,0]
                                        ; implicit-def: $vgpr30
.LBB296_316:                            ;   in Loop: Header=BB296_161 Depth=1
	s_and_not1_saveexec_b32 s15, s4
	s_cbranch_execz .LBB296_318
; %bb.317:                              ;   in Loop: Header=BB296_161 Depth=1
	v_div_scale_f32 v31, null, v30, v30, 0
	v_div_scale_f32 v34, null, v41, v41, 1.0
	v_div_scale_f32 v44, vcc_lo, 0, v30, 0
	s_delay_alu instid0(VALU_DEP_3) | instskip(NEXT) | instid1(VALU_DEP_2)
	v_rcp_f32_e32 v35, v31
	v_rcp_f32_e32 v40, v34
	s_delay_alu instid0(TRANS32_DEP_2) | instskip(NEXT) | instid1(TRANS32_DEP_1)
	v_fma_f32 v42, -v31, v35, 1.0
	v_fma_f32 v43, -v34, v40, 1.0
	s_delay_alu instid0(VALU_DEP_1) | instskip(SKIP_1) | instid1(VALU_DEP_1)
	v_dual_fmac_f32 v35, v42, v35 :: v_dual_fmac_f32 v40, v43, v40
	v_div_scale_f32 v42, s4, 1.0, v41, 1.0
	v_dual_mul_f32 v43, v44, v35 :: v_dual_mul_f32 v45, v42, v40
	s_delay_alu instid0(VALU_DEP_1) | instskip(NEXT) | instid1(VALU_DEP_1)
	v_dual_fma_f32 v46, -v31, v43, v44 :: v_dual_fma_f32 v47, -v34, v45, v42
	v_dual_fmac_f32 v43, v46, v35 :: v_dual_fmac_f32 v45, v47, v40
	s_delay_alu instid0(VALU_DEP_1) | instskip(NEXT) | instid1(VALU_DEP_1)
	v_dual_fma_f32 v31, -v31, v43, v44 :: v_dual_fma_f32 v34, -v34, v45, v42
	v_div_fmas_f32 v31, v31, v35, v43
	s_mov_b32 vcc_lo, s4
	s_delay_alu instid0(VALU_DEP_2) | instskip(NEXT) | instid1(VALU_DEP_2)
	v_div_fmas_f32 v34, v34, v40, v45
	v_div_fixup_f32 v35, v31, v30, 0
	s_delay_alu instid0(VALU_DEP_2)
	v_div_fixup_f32 v34, v34, v41, 1.0
.LBB296_318:                            ;   in Loop: Header=BB296_161 Depth=1
	s_or_b32 exec_lo, exec_lo, s15
                                        ; implicit-def: $vgpr31
                                        ; implicit-def: $vgpr40
	s_and_not1_saveexec_b32 s4, s5
	s_cbranch_execnz .LBB296_324
.LBB296_319:                            ;   in Loop: Header=BB296_161 Depth=1
	s_or_b32 exec_lo, exec_lo, s4
	s_and_saveexec_b32 s4, s0
	s_delay_alu instid0(SALU_CYCLE_1)
	s_xor_b32 s0, exec_lo, s4
	s_cbranch_execz .LBB296_325
.LBB296_320:                            ;   in Loop: Header=BB296_161 Depth=1
	v_add_nc_u64_e32 v[30:31], s[6:7], v[8:9]
	global_store_b64 v[30:31], v[32:33], off
	s_wait_xcnt 0x0
	s_or_b32 exec_lo, exec_lo, s0
	s_and_saveexec_b32 s0, s1
	s_cbranch_execnz .LBB296_326
.LBB296_321:                            ;   in Loop: Header=BB296_161 Depth=1
	s_or_b32 exec_lo, exec_lo, s0
	s_and_saveexec_b32 s0, s2
	s_cbranch_execz .LBB296_327
.LBB296_322:                            ;   in Loop: Header=BB296_161 Depth=1
	v_add_nc_u64_e32 v[30:31], s[6:7], v[18:19]
	global_store_b64 v[30:31], v[38:39], off
	s_wait_xcnt 0x0
	s_or_b32 exec_lo, exec_lo, s0
	s_and_saveexec_b32 s0, s3
	s_cbranch_execz .LBB296_160
	s_branch .LBB296_328
.LBB296_323:                            ;   in Loop: Header=BB296_161 Depth=1
	s_and_not1_saveexec_b32 s4, s5
	s_cbranch_execz .LBB296_319
.LBB296_324:                            ;   in Loop: Header=BB296_161 Depth=1
	v_div_scale_f32 v30, null, v31, v31, v40
	v_div_scale_f32 v41, vcc_lo, v40, v31, v40
	s_delay_alu instid0(VALU_DEP_2) | instskip(SKIP_1) | instid1(TRANS32_DEP_1)
	v_rcp_f32_e32 v34, v30
	v_nop
	v_fma_f32 v35, -v30, v34, 1.0
	s_delay_alu instid0(VALU_DEP_1) | instskip(NEXT) | instid1(VALU_DEP_1)
	v_fmac_f32_e32 v34, v35, v34
	v_mul_f32_e32 v35, v41, v34
	s_delay_alu instid0(VALU_DEP_1) | instskip(NEXT) | instid1(VALU_DEP_1)
	v_fma_f32 v42, -v30, v35, v41
	v_fmac_f32_e32 v35, v42, v34
	s_delay_alu instid0(VALU_DEP_1) | instskip(NEXT) | instid1(VALU_DEP_1)
	v_fma_f32 v30, -v30, v35, v41
	v_div_fmas_f32 v30, v30, v34, v35
	s_delay_alu instid0(VALU_DEP_1) | instskip(NEXT) | instid1(VALU_DEP_1)
	v_div_fixup_f32 v34, v30, v31, v40
	v_fmac_f32_e32 v31, v40, v34
	s_delay_alu instid0(VALU_DEP_1) | instskip(SKIP_1) | instid1(VALU_DEP_2)
	v_div_scale_f32 v30, null, v31, v31, 1.0
	v_div_scale_f32 v41, vcc_lo, 1.0, v31, 1.0
	v_rcp_f32_e32 v35, v30
	v_nop
	s_delay_alu instid0(TRANS32_DEP_1) | instskip(NEXT) | instid1(VALU_DEP_1)
	v_fma_f32 v40, -v30, v35, 1.0
	v_fmac_f32_e32 v35, v40, v35
	s_delay_alu instid0(VALU_DEP_1) | instskip(NEXT) | instid1(VALU_DEP_1)
	v_mul_f32_e32 v40, v41, v35
	v_fma_f32 v42, -v30, v40, v41
	s_delay_alu instid0(VALU_DEP_1) | instskip(NEXT) | instid1(VALU_DEP_1)
	v_fmac_f32_e32 v40, v42, v35
	v_fma_f32 v30, -v30, v40, v41
	s_delay_alu instid0(VALU_DEP_1) | instskip(SKIP_1) | instid1(VALU_DEP_2)
	v_div_fmas_f32 v30, v30, v35, v40
	v_mul_f32_e32 v35, 0, v34
	v_div_fixup_f32 v30, v30, v31, 1.0
	s_delay_alu instid0(VALU_DEP_2) | instskip(NEXT) | instid1(VALU_DEP_1)
	v_pk_add_f32 v[34:35], v[34:35], v[28:29]
	v_pk_mul_f32 v[34:35], v[34:35], v[30:31] op_sel_hi:[1,0]
	s_or_b32 exec_lo, exec_lo, s4
	s_and_saveexec_b32 s4, s0
	s_delay_alu instid0(SALU_CYCLE_1)
	s_xor_b32 s0, exec_lo, s4
	s_cbranch_execnz .LBB296_320
.LBB296_325:                            ;   in Loop: Header=BB296_161 Depth=1
	s_or_b32 exec_lo, exec_lo, s0
	s_and_saveexec_b32 s0, s1
	s_cbranch_execz .LBB296_321
.LBB296_326:                            ;   in Loop: Header=BB296_161 Depth=1
	v_add_nc_u64_e32 v[30:31], s[6:7], v[26:27]
	global_store_b64 v[30:31], v[36:37], off
	s_wait_xcnt 0x0
	s_or_b32 exec_lo, exec_lo, s0
	s_and_saveexec_b32 s0, s2
	s_cbranch_execnz .LBB296_322
.LBB296_327:                            ;   in Loop: Header=BB296_161 Depth=1
	s_or_b32 exec_lo, exec_lo, s0
	s_and_saveexec_b32 s0, s3
	s_cbranch_execz .LBB296_160
.LBB296_328:                            ;   in Loop: Header=BB296_161 Depth=1
	v_add_nc_u64_e32 v[30:31], s[6:7], v[22:23]
	global_store_b64 v[30:31], v[34:35], off
	s_branch .LBB296_160
.LBB296_329:
	s_endpgm
	.section	.rodata,"a",@progbits
	.p2align	6, 0x0
	.amdhsa_kernel _ZN2at6native12_GLOBAL__N_125multi_tensor_apply_kernelINS1_18TensorListMetadataILi2EEENS1_14UnaryOpFunctorIN3c107complexIfEELi2ELi1ELi1EEEJNS0_5RsqrtIS8_EEEEEvT_T0_DpT1_
		.amdhsa_group_segment_fixed_size 0
		.amdhsa_private_segment_fixed_size 0
		.amdhsa_kernarg_size 3408
		.amdhsa_user_sgpr_count 2
		.amdhsa_user_sgpr_dispatch_ptr 0
		.amdhsa_user_sgpr_queue_ptr 0
		.amdhsa_user_sgpr_kernarg_segment_ptr 1
		.amdhsa_user_sgpr_dispatch_id 0
		.amdhsa_user_sgpr_kernarg_preload_length 0
		.amdhsa_user_sgpr_kernarg_preload_offset 0
		.amdhsa_user_sgpr_private_segment_size 0
		.amdhsa_wavefront_size32 1
		.amdhsa_uses_dynamic_stack 0
		.amdhsa_enable_private_segment 0
		.amdhsa_system_sgpr_workgroup_id_x 1
		.amdhsa_system_sgpr_workgroup_id_y 0
		.amdhsa_system_sgpr_workgroup_id_z 0
		.amdhsa_system_sgpr_workgroup_info 0
		.amdhsa_system_vgpr_workitem_id 0
		.amdhsa_next_free_vgpr 48
		.amdhsa_next_free_sgpr 26
		.amdhsa_named_barrier_count 0
		.amdhsa_reserve_vcc 1
		.amdhsa_float_round_mode_32 0
		.amdhsa_float_round_mode_16_64 0
		.amdhsa_float_denorm_mode_32 3
		.amdhsa_float_denorm_mode_16_64 3
		.amdhsa_fp16_overflow 0
		.amdhsa_memory_ordered 1
		.amdhsa_forward_progress 1
		.amdhsa_inst_pref_size 128
		.amdhsa_round_robin_scheduling 0
		.amdhsa_exception_fp_ieee_invalid_op 0
		.amdhsa_exception_fp_denorm_src 0
		.amdhsa_exception_fp_ieee_div_zero 0
		.amdhsa_exception_fp_ieee_overflow 0
		.amdhsa_exception_fp_ieee_underflow 0
		.amdhsa_exception_fp_ieee_inexact 0
		.amdhsa_exception_int_div_zero 0
	.end_amdhsa_kernel
	.section	.text._ZN2at6native12_GLOBAL__N_125multi_tensor_apply_kernelINS1_18TensorListMetadataILi2EEENS1_14UnaryOpFunctorIN3c107complexIfEELi2ELi1ELi1EEEJNS0_5RsqrtIS8_EEEEEvT_T0_DpT1_,"axG",@progbits,_ZN2at6native12_GLOBAL__N_125multi_tensor_apply_kernelINS1_18TensorListMetadataILi2EEENS1_14UnaryOpFunctorIN3c107complexIfEELi2ELi1ELi1EEEJNS0_5RsqrtIS8_EEEEEvT_T0_DpT1_,comdat
.Lfunc_end296:
	.size	_ZN2at6native12_GLOBAL__N_125multi_tensor_apply_kernelINS1_18TensorListMetadataILi2EEENS1_14UnaryOpFunctorIN3c107complexIfEELi2ELi1ELi1EEEJNS0_5RsqrtIS8_EEEEEvT_T0_DpT1_, .Lfunc_end296-_ZN2at6native12_GLOBAL__N_125multi_tensor_apply_kernelINS1_18TensorListMetadataILi2EEENS1_14UnaryOpFunctorIN3c107complexIfEELi2ELi1ELi1EEEJNS0_5RsqrtIS8_EEEEEvT_T0_DpT1_
                                        ; -- End function
	.set _ZN2at6native12_GLOBAL__N_125multi_tensor_apply_kernelINS1_18TensorListMetadataILi2EEENS1_14UnaryOpFunctorIN3c107complexIfEELi2ELi1ELi1EEEJNS0_5RsqrtIS8_EEEEEvT_T0_DpT1_.num_vgpr, 48
	.set _ZN2at6native12_GLOBAL__N_125multi_tensor_apply_kernelINS1_18TensorListMetadataILi2EEENS1_14UnaryOpFunctorIN3c107complexIfEELi2ELi1ELi1EEEJNS0_5RsqrtIS8_EEEEEvT_T0_DpT1_.num_agpr, 0
	.set _ZN2at6native12_GLOBAL__N_125multi_tensor_apply_kernelINS1_18TensorListMetadataILi2EEENS1_14UnaryOpFunctorIN3c107complexIfEELi2ELi1ELi1EEEJNS0_5RsqrtIS8_EEEEEvT_T0_DpT1_.numbered_sgpr, 26
	.set _ZN2at6native12_GLOBAL__N_125multi_tensor_apply_kernelINS1_18TensorListMetadataILi2EEENS1_14UnaryOpFunctorIN3c107complexIfEELi2ELi1ELi1EEEJNS0_5RsqrtIS8_EEEEEvT_T0_DpT1_.num_named_barrier, 0
	.set _ZN2at6native12_GLOBAL__N_125multi_tensor_apply_kernelINS1_18TensorListMetadataILi2EEENS1_14UnaryOpFunctorIN3c107complexIfEELi2ELi1ELi1EEEJNS0_5RsqrtIS8_EEEEEvT_T0_DpT1_.private_seg_size, 0
	.set _ZN2at6native12_GLOBAL__N_125multi_tensor_apply_kernelINS1_18TensorListMetadataILi2EEENS1_14UnaryOpFunctorIN3c107complexIfEELi2ELi1ELi1EEEJNS0_5RsqrtIS8_EEEEEvT_T0_DpT1_.uses_vcc, 1
	.set _ZN2at6native12_GLOBAL__N_125multi_tensor_apply_kernelINS1_18TensorListMetadataILi2EEENS1_14UnaryOpFunctorIN3c107complexIfEELi2ELi1ELi1EEEJNS0_5RsqrtIS8_EEEEEvT_T0_DpT1_.uses_flat_scratch, 0
	.set _ZN2at6native12_GLOBAL__N_125multi_tensor_apply_kernelINS1_18TensorListMetadataILi2EEENS1_14UnaryOpFunctorIN3c107complexIfEELi2ELi1ELi1EEEJNS0_5RsqrtIS8_EEEEEvT_T0_DpT1_.has_dyn_sized_stack, 0
	.set _ZN2at6native12_GLOBAL__N_125multi_tensor_apply_kernelINS1_18TensorListMetadataILi2EEENS1_14UnaryOpFunctorIN3c107complexIfEELi2ELi1ELi1EEEJNS0_5RsqrtIS8_EEEEEvT_T0_DpT1_.has_recursion, 0
	.set _ZN2at6native12_GLOBAL__N_125multi_tensor_apply_kernelINS1_18TensorListMetadataILi2EEENS1_14UnaryOpFunctorIN3c107complexIfEELi2ELi1ELi1EEEJNS0_5RsqrtIS8_EEEEEvT_T0_DpT1_.has_indirect_call, 0
	.section	.AMDGPU.csdata,"",@progbits
; Kernel info:
; codeLenInByte = 16384
; TotalNumSgprs: 28
; NumVgprs: 48
; ScratchSize: 0
; MemoryBound: 0
; FloatMode: 240
; IeeeMode: 1
; LDSByteSize: 0 bytes/workgroup (compile time only)
; SGPRBlocks: 0
; VGPRBlocks: 2
; NumSGPRsForWavesPerEU: 28
; NumVGPRsForWavesPerEU: 48
; NamedBarCnt: 0
; Occupancy: 16
; WaveLimiterHint : 0
; COMPUTE_PGM_RSRC2:SCRATCH_EN: 0
; COMPUTE_PGM_RSRC2:USER_SGPR: 2
; COMPUTE_PGM_RSRC2:TRAP_HANDLER: 0
; COMPUTE_PGM_RSRC2:TGID_X_EN: 1
; COMPUTE_PGM_RSRC2:TGID_Y_EN: 0
; COMPUTE_PGM_RSRC2:TGID_Z_EN: 0
; COMPUTE_PGM_RSRC2:TIDIG_COMP_CNT: 0
	.section	.text._ZN2at6native12_GLOBAL__N_125multi_tensor_apply_kernelINS1_18TensorListMetadataILi2EEENS1_14UnaryOpFunctorIN3c104HalfELi2ELi1ELi1EEEJNS0_5RsqrtIfEEEEEvT_T0_DpT1_,"axG",@progbits,_ZN2at6native12_GLOBAL__N_125multi_tensor_apply_kernelINS1_18TensorListMetadataILi2EEENS1_14UnaryOpFunctorIN3c104HalfELi2ELi1ELi1EEEJNS0_5RsqrtIfEEEEEvT_T0_DpT1_,comdat
	.globl	_ZN2at6native12_GLOBAL__N_125multi_tensor_apply_kernelINS1_18TensorListMetadataILi2EEENS1_14UnaryOpFunctorIN3c104HalfELi2ELi1ELi1EEEJNS0_5RsqrtIfEEEEEvT_T0_DpT1_ ; -- Begin function _ZN2at6native12_GLOBAL__N_125multi_tensor_apply_kernelINS1_18TensorListMetadataILi2EEENS1_14UnaryOpFunctorIN3c104HalfELi2ELi1ELi1EEEJNS0_5RsqrtIfEEEEEvT_T0_DpT1_
	.p2align	8
	.type	_ZN2at6native12_GLOBAL__N_125multi_tensor_apply_kernelINS1_18TensorListMetadataILi2EEENS1_14UnaryOpFunctorIN3c104HalfELi2ELi1ELi1EEEJNS0_5RsqrtIfEEEEEvT_T0_DpT1_,@function
_ZN2at6native12_GLOBAL__N_125multi_tensor_apply_kernelINS1_18TensorListMetadataILi2EEENS1_14UnaryOpFunctorIN3c104HalfELi2ELi1ELi1EEEJNS0_5RsqrtIfEEEEEvT_T0_DpT1_: ; @_ZN2at6native12_GLOBAL__N_125multi_tensor_apply_kernelINS1_18TensorListMetadataILi2EEENS1_14UnaryOpFunctorIN3c104HalfELi2ELi1ELi1EEEJNS0_5RsqrtIfEEEEEvT_T0_DpT1_
; %bb.0:
	s_bfe_u32 s2, ttmp6, 0x4000c
	s_and_b32 s3, ttmp6, 15
	s_add_co_i32 s2, s2, 1
	s_getreg_b32 s4, hwreg(HW_REG_IB_STS2, 6, 4)
	s_mul_i32 s2, ttmp9, s2
	s_delay_alu instid0(SALU_CYCLE_1)
	s_add_co_i32 s3, s3, s2
	s_cmp_eq_u32 s4, 0
	s_cselect_b32 s2, ttmp9, s3
	s_mov_b32 s3, 0
	s_load_u8 s13, s[0:1], s2 offset:0x600
	s_add_nc_u64 s[4:5], s[0:1], s[2:3]
	s_mul_u64 s[6:7], s[2:3], 3
	s_delay_alu instid0(SALU_CYCLE_1)
	s_add_nc_u64 s[4:5], s[4:5], s[6:7]
	s_load_b32 s12, s[4:5], 0x740
	s_wait_kmcnt 0x0
	s_clause 0x2
	s_load_b64 s[8:9], s[0:1], s13 offset:0x0 scale_offset
	s_load_b64 s[10:11], s[0:1], s13 offset:0x200 scale_offset
	;; [unrolled: 1-line block ×3, first 2 shown]
	s_mov_b32 s5, s3
	s_wait_xcnt 0x0
	s_ashr_i32 s13, s12, 31
	s_delay_alu instid0(SALU_CYCLE_1)
	s_lshl_b64 s[6:7], s[12:13], 17
	s_wait_kmcnt 0x0
	s_and_b64 s[18:19], s[10:11], 7
	s_add_nc_u64 s[16:17], s[8:9], s[6:7]
	s_and_b32 s4, s14, 3
	s_and_b32 s2, s16, 7
	s_or_b64 s[4:5], s[18:19], s[4:5]
	s_lshl_b64 s[12:13], s[12:13], 16
	s_or_b64 s[2:3], s[4:5], s[2:3]
	s_sub_nc_u64 s[12:13], s[14:15], s[12:13]
	s_cmp_eq_u64 s[2:3], 0
	s_mov_b32 s2, -1
	s_cbranch_scc0 .LBB297_5
; %bb.1:
	v_min_i64 v[2:3], 0x10000, s[12:13]
	v_dual_mov_b32 v5, 0 :: v_dual_lshlrev_b32 v4, 2, v0
	s_mov_b32 s5, exec_lo
	s_delay_alu instid0(VALU_DEP_1)
	v_cmpx_lt_i64_e64 v[4:5], v[2:3]
	s_cbranch_execz .LBB297_4
; %bb.2:
	s_load_b32 s2, s[0:1], 0xc5c
	v_dual_mov_b32 v1, v5 :: v_dual_lshlrev_b32 v4, 3, v0
	s_mov_b32 s15, 0
	s_delay_alu instid0(SALU_CYCLE_1) | instskip(NEXT) | instid1(VALU_DEP_1)
	s_mov_b32 s17, s15
	v_add_nc_u64_e32 v[4:5], s[6:7], v[4:5]
	s_delay_alu instid0(VALU_DEP_2) | instskip(SKIP_3) | instid1(SALU_CYCLE_1)
	v_mov_b64_e32 v[6:7], v[0:1]
	s_mov_b32 s18, s15
	s_wait_kmcnt 0x0
	s_and_b32 s14, s2, 0xffff
	s_lshl_b32 s16, s14, 3
.LBB297_3:                              ; =>This Inner Loop Header: Depth=1
	s_delay_alu instid0(VALU_DEP_2) | instskip(NEXT) | instid1(VALU_DEP_2)
	v_add_nc_u64_e32 v[8:9], s[8:9], v[4:5]
	v_add_nc_u64_e32 v[6:7], s[14:15], v[6:7]
	global_load_b64 v[8:9], v[8:9], off
	s_wait_loadcnt 0x0
	v_cvt_f32_f16_e32 v1, v8
	s_wait_xcnt 0x0
	v_dual_lshrrev_b32 v8, 16, v8 :: v_dual_lshrrev_b32 v10, 16, v9
	v_cvt_f32_f16_e32 v9, v9
	s_delay_alu instid0(VALU_DEP_3) | instskip(NEXT) | instid1(VALU_DEP_3)
	v_mul_f32_e32 v11, 0x4b800000, v1
	v_cvt_f32_f16_e32 v8, v8
	s_delay_alu instid0(VALU_DEP_4)
	v_cvt_f32_f16_e32 v10, v10
	v_cmp_gt_f32_e64 s2, 0x800000, v1
	v_mul_f32_e32 v12, 0x4b800000, v9
	v_cmp_gt_f32_e32 vcc_lo, 0x800000, v9
	v_mul_f32_e32 v13, 0x4b800000, v8
	v_cmp_gt_f32_e64 s3, 0x800000, v8
	v_cmp_gt_f32_e64 s4, 0x800000, v10
	v_cndmask_b32_e64 v1, v1, v11, s2
	v_mul_f32_e32 v11, 0x4b800000, v10
	s_delay_alu instid0(VALU_DEP_4) | instskip(NEXT) | instid1(VALU_DEP_2)
	v_dual_cndmask_b32 v9, v9, v12, vcc_lo :: v_dual_cndmask_b32 v8, v8, v13, s3
	v_cndmask_b32_e64 v10, v10, v11, s4
	s_delay_alu instid0(VALU_DEP_4) | instskip(NEXT) | instid1(VALU_DEP_2)
	v_rsq_f32_e32 v1, v1
	v_rsq_f32_e32 v11, v9
	s_delay_alu instid0(VALU_DEP_2) | instskip(SKIP_3) | instid1(TRANS32_DEP_3)
	v_rsq_f32_e32 v12, v8
	v_nop
	v_lshlrev_b64_e32 v[8:9], 2, v[6:7]
	v_rsq_f32_e32 v10, v10
	v_dual_mul_f32 v13, 0x45800000, v1 :: v_dual_mul_f32 v14, 0x45800000, v11
	s_delay_alu instid0(TRANS32_DEP_1) | instskip(NEXT) | instid1(VALU_DEP_2)
	v_dual_mul_f32 v16, 0x45800000, v12 :: v_dual_mul_f32 v15, 0x45800000, v10
	v_dual_cndmask_b32 v1, v1, v13, s2 :: v_dual_cndmask_b32 v11, v11, v14, vcc_lo
	s_delay_alu instid0(VALU_DEP_2) | instskip(SKIP_1) | instid1(VALU_DEP_4)
	v_cndmask_b32_e64 v12, v12, v16, s3
	v_cmp_ge_i64_e32 vcc_lo, v[8:9], v[2:3]
	v_cndmask_b32_e64 v10, v10, v15, s4
	v_add_nc_u64_e32 v[8:9], s[10:11], v[4:5]
	v_add_nc_u64_e32 v[4:5], s[16:17], v[4:5]
	s_delay_alu instid0(VALU_DEP_3)
	v_cvt_pk_f16_f32 v11, v11, v10
	v_cvt_pk_f16_f32 v10, v1, v12
	s_or_b32 s18, vcc_lo, s18
	global_store_b64 v[8:9], v[10:11], off
	s_wait_xcnt 0x0
	s_and_not1_b32 exec_lo, exec_lo, s18
	s_cbranch_execnz .LBB297_3
.LBB297_4:
	s_or_b32 exec_lo, exec_lo, s5
	s_mov_b32 s2, 0
.LBB297_5:
	s_delay_alu instid0(SALU_CYCLE_1)
	s_and_not1_b32 vcc_lo, exec_lo, s2
	s_cbranch_vccnz .LBB297_25
; %bb.6:
	v_cmp_lt_i64_e64 s2, s[12:13], 1
	s_and_b32 vcc_lo, exec_lo, s2
	s_cbranch_vccnz .LBB297_25
; %bb.7:
	s_load_b32 s0, s[0:1], 0xc5c
	v_min_i64 v[2:3], 0x10000, s[12:13]
	v_min_u64 v[4:5], 0x10000, s[12:13]
	v_dual_mov_b32 v1, 0 :: v_dual_lshlrev_b32 v10, 1, v0
	s_wait_xcnt 0x0
	s_mov_b32 s1, 0
	s_delay_alu instid0(SALU_CYCLE_1) | instskip(NEXT) | instid1(VALU_DEP_1)
	s_mov_b32 s5, s1
	v_dual_mov_b32 v11, v1 :: v_dual_mov_b32 v27, v1
	s_mov_b32 s3, s1
	s_mov_b32 s13, s1
	s_delay_alu instid0(VALU_DEP_1) | instskip(SKIP_2) | instid1(SALU_CYCLE_1)
	v_add_nc_u64_e32 v[6:7], s[8:9], v[10:11]
	s_wait_kmcnt 0x0
	s_and_b32 s0, s0, 0xffff
	v_add_nc_u64_e32 v[8:9], s[0:1], v[0:1]
	v_mad_nc_u64_u32 v[22:23], s0, 6, v[10:11]
	s_lshl_b32 s4, s0, 2
	s_mul_i32 s12, s0, 3
	v_add_nc_u64_e32 v[18:19], s[4:5], v[10:11]
	s_lshl_b32 s2, s0, 1
	v_add_nc_u64_e32 v[10:11], s[10:11], v[10:11]
	v_lshlrev_b32_e32 v26, 1, v8
	v_add_nc_u64_e32 v[12:13], s[12:13], v[0:1]
	v_add_nc_u64_e32 v[14:15], s[2:3], v[0:1]
	;; [unrolled: 1-line block ×8, first 2 shown]
	s_lshl_b32 s8, s0, 3
	s_mov_b32 s9, s1
	s_mov_b64 s[10:11], 0
	s_branch .LBB297_9
.LBB297_8:                              ;   in Loop: Header=BB297_9 Depth=1
	s_wait_xcnt 0x0
	s_or_b32 exec_lo, exec_lo, s0
	s_add_nc_u64 s[10:11], s[10:11], s[4:5]
	v_add_nc_u64_e32 v[6:7], s[8:9], v[6:7]
	v_cmp_ge_i64_e32 vcc_lo, s[10:11], v[2:3]
	v_add_nc_u64_e32 v[10:11], s[8:9], v[10:11]
	v_add_nc_u64_e32 v[20:21], s[8:9], v[20:21]
	;; [unrolled: 1-line block ×7, first 2 shown]
	s_cbranch_vccnz .LBB297_25
.LBB297_9:                              ; =>This Inner Loop Header: Depth=1
	v_add_nc_u64_e32 v[28:29], s[10:11], v[0:1]
	v_mov_b32_e32 v31, 0
	s_delay_alu instid0(VALU_DEP_2)
	v_cmp_lt_u64_e64 s2, v[28:29], v[4:5]
	s_and_saveexec_b32 s0, s2
	s_cbranch_execz .LBB297_11
; %bb.10:                               ;   in Loop: Header=BB297_9 Depth=1
	v_add_nc_u64_e32 v[28:29], s[6:7], v[6:7]
	global_load_u16 v28, v[28:29], off
	s_wait_loadcnt 0x0
	v_cvt_f32_f16_e32 v31, v28
.LBB297_11:                             ;   in Loop: Header=BB297_9 Depth=1
	s_wait_xcnt 0x0
	s_or_b32 exec_lo, exec_lo, s0
	v_add_nc_u64_e32 v[28:29], s[10:11], v[8:9]
	v_mov_b32_e32 v30, 0
	s_delay_alu instid0(VALU_DEP_2)
	v_cmp_lt_u64_e64 s1, v[28:29], v[4:5]
	v_mov_b32_e32 v28, 0
	s_and_saveexec_b32 s0, s1
	s_cbranch_execz .LBB297_13
; %bb.12:                               ;   in Loop: Header=BB297_9 Depth=1
	v_add_nc_u64_e32 v[32:33], s[6:7], v[24:25]
	global_load_u16 v29, v[32:33], off
	s_wait_loadcnt 0x0
	v_cvt_f32_f16_e32 v30, v29
.LBB297_13:                             ;   in Loop: Header=BB297_9 Depth=1
	s_wait_xcnt 0x0
	s_or_b32 exec_lo, exec_lo, s0
	v_add_nc_u64_e32 v[32:33], s[10:11], v[14:15]
	s_delay_alu instid0(VALU_DEP_1)
	v_cmp_lt_u64_e64 s0, v[32:33], v[4:5]
	s_and_saveexec_b32 s3, s0
	s_cbranch_execz .LBB297_15
; %bb.14:                               ;   in Loop: Header=BB297_9 Depth=1
	v_add_nc_u64_e32 v[28:29], s[6:7], v[16:17]
	global_load_u16 v28, v[28:29], off
	s_wait_loadcnt 0x0
	v_cvt_f32_f16_e32 v28, v28
.LBB297_15:                             ;   in Loop: Header=BB297_9 Depth=1
	s_or_b32 exec_lo, exec_lo, s3
	v_add_nc_u64_e32 v[32:33], s[10:11], v[12:13]
	v_mov_b32_e32 v29, 0
	s_delay_alu instid0(VALU_DEP_2)
	v_cmp_lt_u64_e32 vcc_lo, v[32:33], v[4:5]
	s_and_saveexec_b32 s3, vcc_lo
	s_cbranch_execnz .LBB297_20
; %bb.16:                               ;   in Loop: Header=BB297_9 Depth=1
	s_or_b32 exec_lo, exec_lo, s3
	s_and_saveexec_b32 s3, s2
	s_cbranch_execnz .LBB297_21
.LBB297_17:                             ;   in Loop: Header=BB297_9 Depth=1
	s_or_b32 exec_lo, exec_lo, s3
	s_and_saveexec_b32 s2, s1
	s_cbranch_execnz .LBB297_22
.LBB297_18:                             ;   in Loop: Header=BB297_9 Depth=1
	s_or_b32 exec_lo, exec_lo, s2
	s_and_saveexec_b32 s1, s0
	s_cbranch_execnz .LBB297_23
.LBB297_19:                             ;   in Loop: Header=BB297_9 Depth=1
	s_or_b32 exec_lo, exec_lo, s1
	s_and_saveexec_b32 s0, vcc_lo
	s_cbranch_execz .LBB297_8
	s_branch .LBB297_24
.LBB297_20:                             ;   in Loop: Header=BB297_9 Depth=1
	v_add_nc_u64_e32 v[32:33], s[6:7], v[20:21]
	global_load_u16 v29, v[32:33], off
	s_wait_loadcnt 0x0
	v_cvt_f32_f16_e32 v29, v29
	s_wait_xcnt 0x0
	s_or_b32 exec_lo, exec_lo, s3
	s_and_saveexec_b32 s3, s2
	s_cbranch_execz .LBB297_17
.LBB297_21:                             ;   in Loop: Header=BB297_9 Depth=1
	v_mul_f32_e32 v32, 0x4b800000, v31
	v_cmp_gt_f32_e64 s2, 0x800000, v31
	s_delay_alu instid0(VALU_DEP_1) | instskip(NEXT) | instid1(VALU_DEP_1)
	v_cndmask_b32_e64 v31, v31, v32, s2
	v_rsq_f32_e32 v31, v31
	v_nop
	s_delay_alu instid0(TRANS32_DEP_1) | instskip(NEXT) | instid1(VALU_DEP_1)
	v_mul_f32_e32 v32, 0x45800000, v31
	v_cndmask_b32_e64 v31, v31, v32, s2
	v_add_nc_u64_e32 v[32:33], s[6:7], v[10:11]
	s_delay_alu instid0(VALU_DEP_2)
	v_cvt_f16_f32_e32 v31, v31
	global_store_b16 v[32:33], v31, off
	s_wait_xcnt 0x0
	s_or_b32 exec_lo, exec_lo, s3
	s_and_saveexec_b32 s2, s1
	s_cbranch_execz .LBB297_18
.LBB297_22:                             ;   in Loop: Header=BB297_9 Depth=1
	v_mul_f32_e32 v31, 0x4b800000, v30
	v_cmp_gt_f32_e64 s1, 0x800000, v30
	s_delay_alu instid0(VALU_DEP_1) | instskip(NEXT) | instid1(VALU_DEP_1)
	v_cndmask_b32_e64 v30, v30, v31, s1
	v_rsq_f32_e32 v30, v30
	v_nop
	s_delay_alu instid0(TRANS32_DEP_1) | instskip(NEXT) | instid1(VALU_DEP_1)
	v_mul_f32_e32 v31, 0x45800000, v30
	v_cndmask_b32_e64 v32, v30, v31, s1
	v_add_nc_u64_e32 v[30:31], s[6:7], v[26:27]
	s_delay_alu instid0(VALU_DEP_2)
	v_cvt_f16_f32_e32 v32, v32
	global_store_b16 v[30:31], v32, off
	s_wait_xcnt 0x0
	s_or_b32 exec_lo, exec_lo, s2
	s_and_saveexec_b32 s1, s0
	s_cbranch_execz .LBB297_19
.LBB297_23:                             ;   in Loop: Header=BB297_9 Depth=1
	v_mul_f32_e32 v30, 0x4b800000, v28
	v_cmp_gt_f32_e64 s0, 0x800000, v28
	s_delay_alu instid0(VALU_DEP_1) | instskip(NEXT) | instid1(VALU_DEP_1)
	v_cndmask_b32_e64 v28, v28, v30, s0
	v_rsq_f32_e32 v28, v28
	v_nop
	s_delay_alu instid0(TRANS32_DEP_1) | instskip(NEXT) | instid1(VALU_DEP_1)
	v_mul_f32_e32 v30, 0x45800000, v28
	v_cndmask_b32_e64 v28, v28, v30, s0
	v_add_nc_u64_e32 v[30:31], s[6:7], v[18:19]
	s_delay_alu instid0(VALU_DEP_2)
	v_cvt_f16_f32_e32 v28, v28
	global_store_b16 v[30:31], v28, off
	s_wait_xcnt 0x0
	s_or_b32 exec_lo, exec_lo, s1
	s_and_saveexec_b32 s0, vcc_lo
	s_cbranch_execz .LBB297_8
.LBB297_24:                             ;   in Loop: Header=BB297_9 Depth=1
	v_mul_f32_e32 v28, 0x4b800000, v29
	v_cmp_gt_f32_e32 vcc_lo, 0x800000, v29
	s_delay_alu instid0(VALU_DEP_2) | instskip(NEXT) | instid1(VALU_DEP_1)
	v_cndmask_b32_e32 v28, v29, v28, vcc_lo
	v_rsq_f32_e32 v28, v28
	v_nop
	s_delay_alu instid0(TRANS32_DEP_1) | instskip(NEXT) | instid1(VALU_DEP_1)
	v_mul_f32_e32 v29, 0x45800000, v28
	v_cndmask_b32_e32 v30, v28, v29, vcc_lo
	v_add_nc_u64_e32 v[28:29], s[6:7], v[22:23]
	s_delay_alu instid0(VALU_DEP_2)
	v_cvt_f16_f32_e32 v30, v30
	global_store_b16 v[28:29], v30, off
	s_branch .LBB297_8
.LBB297_25:
	s_endpgm
	.section	.rodata,"a",@progbits
	.p2align	6, 0x0
	.amdhsa_kernel _ZN2at6native12_GLOBAL__N_125multi_tensor_apply_kernelINS1_18TensorListMetadataILi2EEENS1_14UnaryOpFunctorIN3c104HalfELi2ELi1ELi1EEEJNS0_5RsqrtIfEEEEEvT_T0_DpT1_
		.amdhsa_group_segment_fixed_size 0
		.amdhsa_private_segment_fixed_size 0
		.amdhsa_kernarg_size 3408
		.amdhsa_user_sgpr_count 2
		.amdhsa_user_sgpr_dispatch_ptr 0
		.amdhsa_user_sgpr_queue_ptr 0
		.amdhsa_user_sgpr_kernarg_segment_ptr 1
		.amdhsa_user_sgpr_dispatch_id 0
		.amdhsa_user_sgpr_kernarg_preload_length 0
		.amdhsa_user_sgpr_kernarg_preload_offset 0
		.amdhsa_user_sgpr_private_segment_size 0
		.amdhsa_wavefront_size32 1
		.amdhsa_uses_dynamic_stack 0
		.amdhsa_enable_private_segment 0
		.amdhsa_system_sgpr_workgroup_id_x 1
		.amdhsa_system_sgpr_workgroup_id_y 0
		.amdhsa_system_sgpr_workgroup_id_z 0
		.amdhsa_system_sgpr_workgroup_info 0
		.amdhsa_system_vgpr_workitem_id 0
		.amdhsa_next_free_vgpr 34
		.amdhsa_next_free_sgpr 20
		.amdhsa_named_barrier_count 0
		.amdhsa_reserve_vcc 1
		.amdhsa_float_round_mode_32 0
		.amdhsa_float_round_mode_16_64 0
		.amdhsa_float_denorm_mode_32 3
		.amdhsa_float_denorm_mode_16_64 3
		.amdhsa_fp16_overflow 0
		.amdhsa_memory_ordered 1
		.amdhsa_forward_progress 1
		.amdhsa_inst_pref_size 13
		.amdhsa_round_robin_scheduling 0
		.amdhsa_exception_fp_ieee_invalid_op 0
		.amdhsa_exception_fp_denorm_src 0
		.amdhsa_exception_fp_ieee_div_zero 0
		.amdhsa_exception_fp_ieee_overflow 0
		.amdhsa_exception_fp_ieee_underflow 0
		.amdhsa_exception_fp_ieee_inexact 0
		.amdhsa_exception_int_div_zero 0
	.end_amdhsa_kernel
	.section	.text._ZN2at6native12_GLOBAL__N_125multi_tensor_apply_kernelINS1_18TensorListMetadataILi2EEENS1_14UnaryOpFunctorIN3c104HalfELi2ELi1ELi1EEEJNS0_5RsqrtIfEEEEEvT_T0_DpT1_,"axG",@progbits,_ZN2at6native12_GLOBAL__N_125multi_tensor_apply_kernelINS1_18TensorListMetadataILi2EEENS1_14UnaryOpFunctorIN3c104HalfELi2ELi1ELi1EEEJNS0_5RsqrtIfEEEEEvT_T0_DpT1_,comdat
.Lfunc_end297:
	.size	_ZN2at6native12_GLOBAL__N_125multi_tensor_apply_kernelINS1_18TensorListMetadataILi2EEENS1_14UnaryOpFunctorIN3c104HalfELi2ELi1ELi1EEEJNS0_5RsqrtIfEEEEEvT_T0_DpT1_, .Lfunc_end297-_ZN2at6native12_GLOBAL__N_125multi_tensor_apply_kernelINS1_18TensorListMetadataILi2EEENS1_14UnaryOpFunctorIN3c104HalfELi2ELi1ELi1EEEJNS0_5RsqrtIfEEEEEvT_T0_DpT1_
                                        ; -- End function
	.set _ZN2at6native12_GLOBAL__N_125multi_tensor_apply_kernelINS1_18TensorListMetadataILi2EEENS1_14UnaryOpFunctorIN3c104HalfELi2ELi1ELi1EEEJNS0_5RsqrtIfEEEEEvT_T0_DpT1_.num_vgpr, 34
	.set _ZN2at6native12_GLOBAL__N_125multi_tensor_apply_kernelINS1_18TensorListMetadataILi2EEENS1_14UnaryOpFunctorIN3c104HalfELi2ELi1ELi1EEEJNS0_5RsqrtIfEEEEEvT_T0_DpT1_.num_agpr, 0
	.set _ZN2at6native12_GLOBAL__N_125multi_tensor_apply_kernelINS1_18TensorListMetadataILi2EEENS1_14UnaryOpFunctorIN3c104HalfELi2ELi1ELi1EEEJNS0_5RsqrtIfEEEEEvT_T0_DpT1_.numbered_sgpr, 20
	.set _ZN2at6native12_GLOBAL__N_125multi_tensor_apply_kernelINS1_18TensorListMetadataILi2EEENS1_14UnaryOpFunctorIN3c104HalfELi2ELi1ELi1EEEJNS0_5RsqrtIfEEEEEvT_T0_DpT1_.num_named_barrier, 0
	.set _ZN2at6native12_GLOBAL__N_125multi_tensor_apply_kernelINS1_18TensorListMetadataILi2EEENS1_14UnaryOpFunctorIN3c104HalfELi2ELi1ELi1EEEJNS0_5RsqrtIfEEEEEvT_T0_DpT1_.private_seg_size, 0
	.set _ZN2at6native12_GLOBAL__N_125multi_tensor_apply_kernelINS1_18TensorListMetadataILi2EEENS1_14UnaryOpFunctorIN3c104HalfELi2ELi1ELi1EEEJNS0_5RsqrtIfEEEEEvT_T0_DpT1_.uses_vcc, 1
	.set _ZN2at6native12_GLOBAL__N_125multi_tensor_apply_kernelINS1_18TensorListMetadataILi2EEENS1_14UnaryOpFunctorIN3c104HalfELi2ELi1ELi1EEEJNS0_5RsqrtIfEEEEEvT_T0_DpT1_.uses_flat_scratch, 0
	.set _ZN2at6native12_GLOBAL__N_125multi_tensor_apply_kernelINS1_18TensorListMetadataILi2EEENS1_14UnaryOpFunctorIN3c104HalfELi2ELi1ELi1EEEJNS0_5RsqrtIfEEEEEvT_T0_DpT1_.has_dyn_sized_stack, 0
	.set _ZN2at6native12_GLOBAL__N_125multi_tensor_apply_kernelINS1_18TensorListMetadataILi2EEENS1_14UnaryOpFunctorIN3c104HalfELi2ELi1ELi1EEEJNS0_5RsqrtIfEEEEEvT_T0_DpT1_.has_recursion, 0
	.set _ZN2at6native12_GLOBAL__N_125multi_tensor_apply_kernelINS1_18TensorListMetadataILi2EEENS1_14UnaryOpFunctorIN3c104HalfELi2ELi1ELi1EEEJNS0_5RsqrtIfEEEEEvT_T0_DpT1_.has_indirect_call, 0
	.section	.AMDGPU.csdata,"",@progbits
; Kernel info:
; codeLenInByte = 1544
; TotalNumSgprs: 22
; NumVgprs: 34
; ScratchSize: 0
; MemoryBound: 0
; FloatMode: 240
; IeeeMode: 1
; LDSByteSize: 0 bytes/workgroup (compile time only)
; SGPRBlocks: 0
; VGPRBlocks: 2
; NumSGPRsForWavesPerEU: 22
; NumVGPRsForWavesPerEU: 34
; NamedBarCnt: 0
; Occupancy: 16
; WaveLimiterHint : 0
; COMPUTE_PGM_RSRC2:SCRATCH_EN: 0
; COMPUTE_PGM_RSRC2:USER_SGPR: 2
; COMPUTE_PGM_RSRC2:TRAP_HANDLER: 0
; COMPUTE_PGM_RSRC2:TGID_X_EN: 1
; COMPUTE_PGM_RSRC2:TGID_Y_EN: 0
; COMPUTE_PGM_RSRC2:TGID_Z_EN: 0
; COMPUTE_PGM_RSRC2:TIDIG_COMP_CNT: 0
	.section	.text._ZN2at6native12_GLOBAL__N_125multi_tensor_apply_kernelINS1_18TensorListMetadataILi2EEENS1_14UnaryOpFunctorIN3c108BFloat16ELi2ELi1ELi1EEEJNS0_5RsqrtIfEEEEEvT_T0_DpT1_,"axG",@progbits,_ZN2at6native12_GLOBAL__N_125multi_tensor_apply_kernelINS1_18TensorListMetadataILi2EEENS1_14UnaryOpFunctorIN3c108BFloat16ELi2ELi1ELi1EEEJNS0_5RsqrtIfEEEEEvT_T0_DpT1_,comdat
	.globl	_ZN2at6native12_GLOBAL__N_125multi_tensor_apply_kernelINS1_18TensorListMetadataILi2EEENS1_14UnaryOpFunctorIN3c108BFloat16ELi2ELi1ELi1EEEJNS0_5RsqrtIfEEEEEvT_T0_DpT1_ ; -- Begin function _ZN2at6native12_GLOBAL__N_125multi_tensor_apply_kernelINS1_18TensorListMetadataILi2EEENS1_14UnaryOpFunctorIN3c108BFloat16ELi2ELi1ELi1EEEJNS0_5RsqrtIfEEEEEvT_T0_DpT1_
	.p2align	8
	.type	_ZN2at6native12_GLOBAL__N_125multi_tensor_apply_kernelINS1_18TensorListMetadataILi2EEENS1_14UnaryOpFunctorIN3c108BFloat16ELi2ELi1ELi1EEEJNS0_5RsqrtIfEEEEEvT_T0_DpT1_,@function
_ZN2at6native12_GLOBAL__N_125multi_tensor_apply_kernelINS1_18TensorListMetadataILi2EEENS1_14UnaryOpFunctorIN3c108BFloat16ELi2ELi1ELi1EEEJNS0_5RsqrtIfEEEEEvT_T0_DpT1_: ; @_ZN2at6native12_GLOBAL__N_125multi_tensor_apply_kernelINS1_18TensorListMetadataILi2EEENS1_14UnaryOpFunctorIN3c108BFloat16ELi2ELi1ELi1EEEJNS0_5RsqrtIfEEEEEvT_T0_DpT1_
; %bb.0:
	s_bfe_u32 s2, ttmp6, 0x4000c
	s_and_b32 s3, ttmp6, 15
	s_add_co_i32 s2, s2, 1
	s_getreg_b32 s4, hwreg(HW_REG_IB_STS2, 6, 4)
	s_mul_i32 s2, ttmp9, s2
	s_delay_alu instid0(SALU_CYCLE_1)
	s_add_co_i32 s3, s3, s2
	s_cmp_eq_u32 s4, 0
	s_cselect_b32 s2, ttmp9, s3
	s_mov_b32 s3, 0
	s_load_u8 s13, s[0:1], s2 offset:0x600
	s_add_nc_u64 s[4:5], s[0:1], s[2:3]
	s_mul_u64 s[6:7], s[2:3], 3
	s_delay_alu instid0(SALU_CYCLE_1)
	s_add_nc_u64 s[4:5], s[4:5], s[6:7]
	s_load_b32 s12, s[4:5], 0x740
	s_wait_kmcnt 0x0
	s_clause 0x2
	s_load_b64 s[8:9], s[0:1], s13 offset:0x0 scale_offset
	s_load_b64 s[10:11], s[0:1], s13 offset:0x200 scale_offset
	;; [unrolled: 1-line block ×3, first 2 shown]
	s_mov_b32 s5, s3
	s_wait_xcnt 0x0
	s_ashr_i32 s13, s12, 31
	s_delay_alu instid0(SALU_CYCLE_1)
	s_lshl_b64 s[6:7], s[12:13], 17
	s_wait_kmcnt 0x0
	s_and_b64 s[18:19], s[10:11], 7
	s_add_nc_u64 s[16:17], s[8:9], s[6:7]
	s_and_b32 s4, s14, 3
	s_and_b32 s2, s16, 7
	s_or_b64 s[4:5], s[18:19], s[4:5]
	s_lshl_b64 s[12:13], s[12:13], 16
	s_or_b64 s[2:3], s[4:5], s[2:3]
	s_sub_nc_u64 s[12:13], s[14:15], s[12:13]
	s_cmp_eq_u64 s[2:3], 0
	s_mov_b32 s2, -1
	s_cbranch_scc0 .LBB298_5
; %bb.1:
	v_min_i64 v[2:3], 0x10000, s[12:13]
	v_dual_mov_b32 v5, 0 :: v_dual_lshlrev_b32 v4, 2, v0
	s_mov_b32 s5, exec_lo
	s_delay_alu instid0(VALU_DEP_1)
	v_cmpx_lt_i64_e64 v[4:5], v[2:3]
	s_cbranch_execz .LBB298_4
; %bb.2:
	s_load_b32 s2, s[0:1], 0xc5c
	v_dual_mov_b32 v1, v5 :: v_dual_lshlrev_b32 v4, 3, v0
	s_mov_b32 s15, 0
	s_delay_alu instid0(SALU_CYCLE_1) | instskip(NEXT) | instid1(VALU_DEP_1)
	s_mov_b32 s17, s15
	v_add_nc_u64_e32 v[4:5], s[6:7], v[4:5]
	s_delay_alu instid0(VALU_DEP_2) | instskip(SKIP_3) | instid1(SALU_CYCLE_1)
	v_mov_b64_e32 v[6:7], v[0:1]
	s_mov_b32 s18, s15
	s_wait_kmcnt 0x0
	s_and_b32 s14, s2, 0xffff
	s_lshl_b32 s16, s14, 3
.LBB298_3:                              ; =>This Inner Loop Header: Depth=1
	s_delay_alu instid0(VALU_DEP_2) | instskip(NEXT) | instid1(VALU_DEP_2)
	v_add_nc_u64_e32 v[8:9], s[8:9], v[4:5]
	v_add_nc_u64_e32 v[6:7], s[14:15], v[6:7]
	global_load_b64 v[8:9], v[8:9], off
	v_lshlrev_b64_e32 v[10:11], 2, v[6:7]
	s_wait_loadcnt 0x0
	v_and_b32_e32 v12, 0xffff0000, v8
	s_delay_alu instid0(VALU_DEP_1)
	v_mul_f32_e32 v14, 0x4b800000, v12
	v_cmp_gt_f32_e32 vcc_lo, 0x800000, v12
	v_lshlrev_b32_e32 v1, 16, v8
	s_wait_xcnt 0x0
	v_alignbit_b32 v8, v9, v8, 16
	v_and_b32_e32 v9, 0xffff0000, v9
	s_delay_alu instid0(VALU_DEP_2) | instskip(NEXT) | instid1(VALU_DEP_2)
	v_and_b32_e32 v8, 0xffff0000, v8
	v_dual_mul_f32 v15, 0x4b800000, v9 :: v_dual_cndmask_b32 v12, v12, v14
	v_cmp_gt_f32_e64 s3, 0x800000, v1
	v_cmp_gt_f32_e64 s2, 0x800000, v9
	s_delay_alu instid0(VALU_DEP_4) | instskip(NEXT) | instid1(VALU_DEP_4)
	v_cmp_gt_f32_e64 s4, 0x800000, v8
	v_rsq_f32_e32 v12, v12
	v_nop
	s_delay_alu instid0(TRANS32_DEP_1) | instskip(NEXT) | instid1(VALU_DEP_1)
	v_mul_f32_e32 v14, 0x45800000, v12
	v_dual_mul_f32 v13, 0x4b800000, v1 :: v_dual_cndmask_b32 v12, v12, v14
	s_delay_alu instid0(VALU_DEP_1) | instskip(SKIP_1) | instid1(VALU_DEP_3)
	v_cndmask_b32_e64 v1, v1, v13, s3
	v_mul_f32_e32 v13, 0x4b800000, v8
	v_cmp_o_f32_e32 vcc_lo, v12, v12
	s_delay_alu instid0(VALU_DEP_2) | instskip(NEXT) | instid1(VALU_DEP_4)
	v_cndmask_b32_e64 v8, v8, v13, s4
	v_rsq_f32_e32 v1, v1
	s_delay_alu instid0(VALU_DEP_1) | instskip(NEXT) | instid1(TRANS32_DEP_2)
	v_rsq_f32_e32 v8, v8
	v_mul_f32_e32 v13, 0x45800000, v1
	s_delay_alu instid0(VALU_DEP_1) | instskip(NEXT) | instid1(TRANS32_DEP_1)
	v_cndmask_b32_e64 v1, v1, v13, s3
	v_mul_f32_e32 v13, 0x45800000, v8
	v_cndmask_b32_e64 v9, v9, v15, s2
	s_delay_alu instid0(VALU_DEP_3) | instskip(NEXT) | instid1(VALU_DEP_3)
	v_bfe_u32 v14, v1, 16, 1
	v_cndmask_b32_e64 v8, v8, v13, s4
	s_delay_alu instid0(VALU_DEP_3) | instskip(SKIP_1) | instid1(VALU_DEP_3)
	v_rsq_f32_e32 v9, v9
	v_bfe_u32 v13, v12, 16, 1
	v_add3_u32 v14, v1, v14, 0x7fff
	s_delay_alu instid0(VALU_DEP_3) | instskip(NEXT) | instid1(VALU_DEP_3)
	v_bfe_u32 v16, v8, 16, 1
	v_add3_u32 v13, v12, v13, 0x7fff
	s_delay_alu instid0(TRANS32_DEP_1) | instid1(VALU_DEP_3)
	v_dual_mul_f32 v15, 0x45800000, v9 :: v_dual_lshrrev_b32 v14, 16, v14
	s_delay_alu instid0(VALU_DEP_3) | instskip(NEXT) | instid1(VALU_DEP_3)
	v_add3_u32 v16, v8, v16, 0x7fff
	v_and_b32_e32 v13, 0xffff0000, v13
	s_delay_alu instid0(VALU_DEP_3) | instskip(SKIP_1) | instid1(VALU_DEP_3)
	v_cndmask_b32_e64 v9, v9, v15, s2
	v_cmp_o_f32_e64 s2, v1, v1
	v_dual_cndmask_b32 v12, 0x7fc00000, v13 :: v_dual_lshrrev_b32 v1, 16, v16
	s_delay_alu instid0(VALU_DEP_3) | instskip(SKIP_1) | instid1(VALU_DEP_4)
	v_bfe_u32 v15, v9, 16, 1
	v_cmp_o_f32_e32 vcc_lo, v9, v9
	v_cndmask_b32_e64 v13, 0x7fc0, v14, s2
	s_delay_alu instid0(VALU_DEP_3) | instskip(NEXT) | instid1(VALU_DEP_2)
	v_add3_u32 v15, v9, v15, 0x7fff
	v_or_b32_e32 v12, v13, v12
	s_delay_alu instid0(VALU_DEP_2) | instskip(NEXT) | instid1(VALU_DEP_1)
	v_and_b32_e32 v15, 0xffff0000, v15
	v_cndmask_b32_e32 v14, 0x7fc00000, v15, vcc_lo
	v_cmp_o_f32_e32 vcc_lo, v8, v8
	v_add_nc_u64_e32 v[8:9], s[10:11], v[4:5]
	v_add_nc_u64_e32 v[4:5], s[16:17], v[4:5]
	v_cndmask_b32_e32 v1, 0x7fc0, v1, vcc_lo
	v_cmp_ge_i64_e32 vcc_lo, v[10:11], v[2:3]
	v_or3_b32 v10, v12, 0, 0
	s_delay_alu instid0(VALU_DEP_3)
	v_or3_b32 v11, 0, v1, v14
	s_or_b32 s18, vcc_lo, s18
	global_store_b64 v[8:9], v[10:11], off
	s_wait_xcnt 0x0
	s_and_not1_b32 exec_lo, exec_lo, s18
	s_cbranch_execnz .LBB298_3
.LBB298_4:
	s_or_b32 exec_lo, exec_lo, s5
	s_mov_b32 s2, 0
.LBB298_5:
	s_delay_alu instid0(SALU_CYCLE_1)
	s_and_not1_b32 vcc_lo, exec_lo, s2
	s_cbranch_vccnz .LBB298_25
; %bb.6:
	v_cmp_lt_i64_e64 s2, s[12:13], 1
	s_and_b32 vcc_lo, exec_lo, s2
	s_cbranch_vccnz .LBB298_25
; %bb.7:
	s_load_b32 s0, s[0:1], 0xc5c
	v_min_i64 v[2:3], 0x10000, s[12:13]
	v_min_u64 v[4:5], 0x10000, s[12:13]
	v_dual_mov_b32 v1, 0 :: v_dual_lshlrev_b32 v10, 1, v0
	s_wait_xcnt 0x0
	s_mov_b32 s1, 0
	s_delay_alu instid0(SALU_CYCLE_1) | instskip(NEXT) | instid1(VALU_DEP_1)
	s_mov_b32 s5, s1
	v_dual_mov_b32 v11, v1 :: v_dual_mov_b32 v27, v1
	s_mov_b32 s3, s1
	s_mov_b32 s13, s1
	s_delay_alu instid0(VALU_DEP_1) | instskip(SKIP_2) | instid1(SALU_CYCLE_1)
	v_add_nc_u64_e32 v[6:7], s[8:9], v[10:11]
	s_wait_kmcnt 0x0
	s_and_b32 s0, s0, 0xffff
	v_add_nc_u64_e32 v[8:9], s[0:1], v[0:1]
	v_mad_nc_u64_u32 v[22:23], s0, 6, v[10:11]
	s_lshl_b32 s4, s0, 2
	s_mul_i32 s12, s0, 3
	v_add_nc_u64_e32 v[18:19], s[4:5], v[10:11]
	s_lshl_b32 s2, s0, 1
	v_add_nc_u64_e32 v[10:11], s[10:11], v[10:11]
	v_lshlrev_b32_e32 v26, 1, v8
	v_add_nc_u64_e32 v[12:13], s[12:13], v[0:1]
	v_add_nc_u64_e32 v[14:15], s[2:3], v[0:1]
	;; [unrolled: 1-line block ×8, first 2 shown]
	s_lshl_b32 s8, s0, 3
	s_mov_b32 s9, s1
	s_mov_b64 s[10:11], 0
	s_branch .LBB298_9
.LBB298_8:                              ;   in Loop: Header=BB298_9 Depth=1
	s_wait_xcnt 0x0
	s_or_b32 exec_lo, exec_lo, s0
	s_add_nc_u64 s[10:11], s[10:11], s[4:5]
	v_add_nc_u64_e32 v[6:7], s[8:9], v[6:7]
	v_cmp_ge_i64_e32 vcc_lo, s[10:11], v[2:3]
	v_add_nc_u64_e32 v[10:11], s[8:9], v[10:11]
	v_add_nc_u64_e32 v[20:21], s[8:9], v[20:21]
	;; [unrolled: 1-line block ×7, first 2 shown]
	s_cbranch_vccnz .LBB298_25
.LBB298_9:                              ; =>This Inner Loop Header: Depth=1
	v_add_nc_u64_e32 v[28:29], s[10:11], v[0:1]
	v_mov_b32_e32 v31, 0
	s_delay_alu instid0(VALU_DEP_2)
	v_cmp_lt_u64_e64 s2, v[28:29], v[4:5]
	s_and_saveexec_b32 s0, s2
	s_cbranch_execz .LBB298_11
; %bb.10:                               ;   in Loop: Header=BB298_9 Depth=1
	v_add_nc_u64_e32 v[28:29], s[6:7], v[6:7]
	global_load_u16 v28, v[28:29], off
	s_wait_loadcnt 0x0
	v_lshlrev_b32_e32 v31, 16, v28
.LBB298_11:                             ;   in Loop: Header=BB298_9 Depth=1
	s_wait_xcnt 0x0
	s_or_b32 exec_lo, exec_lo, s0
	v_add_nc_u64_e32 v[28:29], s[10:11], v[8:9]
	v_mov_b32_e32 v30, 0
	s_delay_alu instid0(VALU_DEP_2)
	v_cmp_lt_u64_e64 s1, v[28:29], v[4:5]
	v_mov_b32_e32 v28, 0
	s_and_saveexec_b32 s0, s1
	s_cbranch_execz .LBB298_13
; %bb.12:                               ;   in Loop: Header=BB298_9 Depth=1
	v_add_nc_u64_e32 v[32:33], s[6:7], v[24:25]
	global_load_u16 v29, v[32:33], off
	s_wait_loadcnt 0x0
	v_lshlrev_b32_e32 v30, 16, v29
.LBB298_13:                             ;   in Loop: Header=BB298_9 Depth=1
	s_wait_xcnt 0x0
	s_or_b32 exec_lo, exec_lo, s0
	v_add_nc_u64_e32 v[32:33], s[10:11], v[14:15]
	s_delay_alu instid0(VALU_DEP_1)
	v_cmp_lt_u64_e64 s0, v[32:33], v[4:5]
	s_and_saveexec_b32 s3, s0
	s_cbranch_execz .LBB298_15
; %bb.14:                               ;   in Loop: Header=BB298_9 Depth=1
	v_add_nc_u64_e32 v[28:29], s[6:7], v[16:17]
	global_load_u16 v28, v[28:29], off
	s_wait_loadcnt 0x0
	v_lshlrev_b32_e32 v28, 16, v28
.LBB298_15:                             ;   in Loop: Header=BB298_9 Depth=1
	s_or_b32 exec_lo, exec_lo, s3
	v_add_nc_u64_e32 v[32:33], s[10:11], v[12:13]
	v_mov_b32_e32 v29, 0
	s_delay_alu instid0(VALU_DEP_2)
	v_cmp_lt_u64_e32 vcc_lo, v[32:33], v[4:5]
	s_and_saveexec_b32 s3, vcc_lo
	s_cbranch_execnz .LBB298_20
; %bb.16:                               ;   in Loop: Header=BB298_9 Depth=1
	s_or_b32 exec_lo, exec_lo, s3
	s_and_saveexec_b32 s3, s2
	s_cbranch_execnz .LBB298_21
.LBB298_17:                             ;   in Loop: Header=BB298_9 Depth=1
	s_or_b32 exec_lo, exec_lo, s3
	s_and_saveexec_b32 s2, s1
	s_cbranch_execnz .LBB298_22
.LBB298_18:                             ;   in Loop: Header=BB298_9 Depth=1
	s_or_b32 exec_lo, exec_lo, s2
	s_and_saveexec_b32 s1, s0
	s_cbranch_execnz .LBB298_23
.LBB298_19:                             ;   in Loop: Header=BB298_9 Depth=1
	s_or_b32 exec_lo, exec_lo, s1
	s_and_saveexec_b32 s0, vcc_lo
	s_cbranch_execz .LBB298_8
	s_branch .LBB298_24
.LBB298_20:                             ;   in Loop: Header=BB298_9 Depth=1
	v_add_nc_u64_e32 v[32:33], s[6:7], v[20:21]
	global_load_u16 v29, v[32:33], off
	s_wait_loadcnt 0x0
	v_lshlrev_b32_e32 v29, 16, v29
	s_wait_xcnt 0x0
	s_or_b32 exec_lo, exec_lo, s3
	s_and_saveexec_b32 s3, s2
	s_cbranch_execz .LBB298_17
.LBB298_21:                             ;   in Loop: Header=BB298_9 Depth=1
	v_mul_f32_e32 v32, 0x4b800000, v31
	v_cmp_gt_f32_e64 s2, 0x800000, v31
	s_delay_alu instid0(VALU_DEP_1) | instskip(NEXT) | instid1(VALU_DEP_1)
	v_cndmask_b32_e64 v31, v31, v32, s2
	v_rsq_f32_e32 v31, v31
	v_nop
	s_delay_alu instid0(TRANS32_DEP_1) | instskip(NEXT) | instid1(VALU_DEP_1)
	v_mul_f32_e32 v32, 0x45800000, v31
	v_cndmask_b32_e64 v31, v31, v32, s2
	s_delay_alu instid0(VALU_DEP_1) | instskip(SKIP_1) | instid1(VALU_DEP_2)
	v_bfe_u32 v32, v31, 16, 1
	v_cmp_o_f32_e64 s2, v31, v31
	v_add3_u32 v32, v31, v32, 0x7fff
	s_delay_alu instid0(VALU_DEP_1) | instskip(SKIP_1) | instid1(VALU_DEP_2)
	v_lshrrev_b32_e32 v34, 16, v32
	v_add_nc_u64_e32 v[32:33], s[6:7], v[10:11]
	v_cndmask_b32_e64 v31, 0x7fc0, v34, s2
	global_store_b16 v[32:33], v31, off
	s_wait_xcnt 0x0
	s_or_b32 exec_lo, exec_lo, s3
	s_and_saveexec_b32 s2, s1
	s_cbranch_execz .LBB298_18
.LBB298_22:                             ;   in Loop: Header=BB298_9 Depth=1
	v_mul_f32_e32 v31, 0x4b800000, v30
	v_cmp_gt_f32_e64 s1, 0x800000, v30
	s_delay_alu instid0(VALU_DEP_1) | instskip(NEXT) | instid1(VALU_DEP_1)
	v_cndmask_b32_e64 v30, v30, v31, s1
	v_rsq_f32_e32 v30, v30
	v_nop
	s_delay_alu instid0(TRANS32_DEP_1) | instskip(NEXT) | instid1(VALU_DEP_1)
	v_mul_f32_e32 v31, 0x45800000, v30
	v_cndmask_b32_e64 v32, v30, v31, s1
	s_delay_alu instid0(VALU_DEP_1) | instskip(NEXT) | instid1(VALU_DEP_1)
	v_bfe_u32 v30, v32, 16, 1
	v_add3_u32 v30, v32, v30, 0x7fff
	s_delay_alu instid0(VALU_DEP_1) | instskip(SKIP_2) | instid1(VALU_DEP_2)
	v_lshrrev_b32_e32 v33, 16, v30
	v_cmp_o_f32_e64 s1, v32, v32
	v_add_nc_u64_e32 v[30:31], s[6:7], v[26:27]
	v_cndmask_b32_e64 v32, 0x7fc0, v33, s1
	global_store_b16 v[30:31], v32, off
	s_wait_xcnt 0x0
	s_or_b32 exec_lo, exec_lo, s2
	s_and_saveexec_b32 s1, s0
	s_cbranch_execz .LBB298_19
.LBB298_23:                             ;   in Loop: Header=BB298_9 Depth=1
	v_mul_f32_e32 v30, 0x4b800000, v28
	v_cmp_gt_f32_e64 s0, 0x800000, v28
	s_delay_alu instid0(VALU_DEP_1) | instskip(NEXT) | instid1(VALU_DEP_1)
	v_cndmask_b32_e64 v28, v28, v30, s0
	v_rsq_f32_e32 v28, v28
	v_nop
	s_delay_alu instid0(TRANS32_DEP_1) | instskip(NEXT) | instid1(VALU_DEP_1)
	v_mul_f32_e32 v30, 0x45800000, v28
	v_cndmask_b32_e64 v28, v28, v30, s0
	s_delay_alu instid0(VALU_DEP_1) | instskip(SKIP_1) | instid1(VALU_DEP_2)
	v_bfe_u32 v30, v28, 16, 1
	v_cmp_o_f32_e64 s0, v28, v28
	v_add3_u32 v30, v28, v30, 0x7fff
	s_delay_alu instid0(VALU_DEP_1) | instskip(SKIP_1) | instid1(VALU_DEP_2)
	v_lshrrev_b32_e32 v32, 16, v30
	v_add_nc_u64_e32 v[30:31], s[6:7], v[18:19]
	v_cndmask_b32_e64 v28, 0x7fc0, v32, s0
	global_store_b16 v[30:31], v28, off
	s_wait_xcnt 0x0
	s_or_b32 exec_lo, exec_lo, s1
	s_and_saveexec_b32 s0, vcc_lo
	s_cbranch_execz .LBB298_8
.LBB298_24:                             ;   in Loop: Header=BB298_9 Depth=1
	v_mul_f32_e32 v28, 0x4b800000, v29
	v_cmp_gt_f32_e32 vcc_lo, 0x800000, v29
	s_delay_alu instid0(VALU_DEP_2) | instskip(NEXT) | instid1(VALU_DEP_1)
	v_cndmask_b32_e32 v28, v29, v28, vcc_lo
	v_rsq_f32_e32 v28, v28
	v_nop
	s_delay_alu instid0(TRANS32_DEP_1) | instskip(NEXT) | instid1(VALU_DEP_1)
	v_mul_f32_e32 v29, 0x45800000, v28
	v_cndmask_b32_e32 v30, v28, v29, vcc_lo
	s_delay_alu instid0(VALU_DEP_1) | instskip(NEXT) | instid1(VALU_DEP_1)
	v_bfe_u32 v28, v30, 16, 1
	v_add3_u32 v28, v30, v28, 0x7fff
	s_delay_alu instid0(VALU_DEP_1) | instskip(SKIP_2) | instid1(VALU_DEP_3)
	v_lshrrev_b32_e32 v31, 16, v28
	v_cmp_o_f32_e32 vcc_lo, v30, v30
	v_add_nc_u64_e32 v[28:29], s[6:7], v[22:23]
	v_cndmask_b32_e32 v30, 0x7fc0, v31, vcc_lo
	global_store_b16 v[28:29], v30, off
	s_branch .LBB298_8
.LBB298_25:
	s_endpgm
	.section	.rodata,"a",@progbits
	.p2align	6, 0x0
	.amdhsa_kernel _ZN2at6native12_GLOBAL__N_125multi_tensor_apply_kernelINS1_18TensorListMetadataILi2EEENS1_14UnaryOpFunctorIN3c108BFloat16ELi2ELi1ELi1EEEJNS0_5RsqrtIfEEEEEvT_T0_DpT1_
		.amdhsa_group_segment_fixed_size 0
		.amdhsa_private_segment_fixed_size 0
		.amdhsa_kernarg_size 3408
		.amdhsa_user_sgpr_count 2
		.amdhsa_user_sgpr_dispatch_ptr 0
		.amdhsa_user_sgpr_queue_ptr 0
		.amdhsa_user_sgpr_kernarg_segment_ptr 1
		.amdhsa_user_sgpr_dispatch_id 0
		.amdhsa_user_sgpr_kernarg_preload_length 0
		.amdhsa_user_sgpr_kernarg_preload_offset 0
		.amdhsa_user_sgpr_private_segment_size 0
		.amdhsa_wavefront_size32 1
		.amdhsa_uses_dynamic_stack 0
		.amdhsa_enable_private_segment 0
		.amdhsa_system_sgpr_workgroup_id_x 1
		.amdhsa_system_sgpr_workgroup_id_y 0
		.amdhsa_system_sgpr_workgroup_id_z 0
		.amdhsa_system_sgpr_workgroup_info 0
		.amdhsa_system_vgpr_workitem_id 0
		.amdhsa_next_free_vgpr 35
		.amdhsa_next_free_sgpr 20
		.amdhsa_named_barrier_count 0
		.amdhsa_reserve_vcc 1
		.amdhsa_float_round_mode_32 0
		.amdhsa_float_round_mode_16_64 0
		.amdhsa_float_denorm_mode_32 3
		.amdhsa_float_denorm_mode_16_64 3
		.amdhsa_fp16_overflow 0
		.amdhsa_memory_ordered 1
		.amdhsa_forward_progress 1
		.amdhsa_inst_pref_size 16
		.amdhsa_round_robin_scheduling 0
		.amdhsa_exception_fp_ieee_invalid_op 0
		.amdhsa_exception_fp_denorm_src 0
		.amdhsa_exception_fp_ieee_div_zero 0
		.amdhsa_exception_fp_ieee_overflow 0
		.amdhsa_exception_fp_ieee_underflow 0
		.amdhsa_exception_fp_ieee_inexact 0
		.amdhsa_exception_int_div_zero 0
	.end_amdhsa_kernel
	.section	.text._ZN2at6native12_GLOBAL__N_125multi_tensor_apply_kernelINS1_18TensorListMetadataILi2EEENS1_14UnaryOpFunctorIN3c108BFloat16ELi2ELi1ELi1EEEJNS0_5RsqrtIfEEEEEvT_T0_DpT1_,"axG",@progbits,_ZN2at6native12_GLOBAL__N_125multi_tensor_apply_kernelINS1_18TensorListMetadataILi2EEENS1_14UnaryOpFunctorIN3c108BFloat16ELi2ELi1ELi1EEEJNS0_5RsqrtIfEEEEEvT_T0_DpT1_,comdat
.Lfunc_end298:
	.size	_ZN2at6native12_GLOBAL__N_125multi_tensor_apply_kernelINS1_18TensorListMetadataILi2EEENS1_14UnaryOpFunctorIN3c108BFloat16ELi2ELi1ELi1EEEJNS0_5RsqrtIfEEEEEvT_T0_DpT1_, .Lfunc_end298-_ZN2at6native12_GLOBAL__N_125multi_tensor_apply_kernelINS1_18TensorListMetadataILi2EEENS1_14UnaryOpFunctorIN3c108BFloat16ELi2ELi1ELi1EEEJNS0_5RsqrtIfEEEEEvT_T0_DpT1_
                                        ; -- End function
	.set _ZN2at6native12_GLOBAL__N_125multi_tensor_apply_kernelINS1_18TensorListMetadataILi2EEENS1_14UnaryOpFunctorIN3c108BFloat16ELi2ELi1ELi1EEEJNS0_5RsqrtIfEEEEEvT_T0_DpT1_.num_vgpr, 35
	.set _ZN2at6native12_GLOBAL__N_125multi_tensor_apply_kernelINS1_18TensorListMetadataILi2EEENS1_14UnaryOpFunctorIN3c108BFloat16ELi2ELi1ELi1EEEJNS0_5RsqrtIfEEEEEvT_T0_DpT1_.num_agpr, 0
	.set _ZN2at6native12_GLOBAL__N_125multi_tensor_apply_kernelINS1_18TensorListMetadataILi2EEENS1_14UnaryOpFunctorIN3c108BFloat16ELi2ELi1ELi1EEEJNS0_5RsqrtIfEEEEEvT_T0_DpT1_.numbered_sgpr, 20
	.set _ZN2at6native12_GLOBAL__N_125multi_tensor_apply_kernelINS1_18TensorListMetadataILi2EEENS1_14UnaryOpFunctorIN3c108BFloat16ELi2ELi1ELi1EEEJNS0_5RsqrtIfEEEEEvT_T0_DpT1_.num_named_barrier, 0
	.set _ZN2at6native12_GLOBAL__N_125multi_tensor_apply_kernelINS1_18TensorListMetadataILi2EEENS1_14UnaryOpFunctorIN3c108BFloat16ELi2ELi1ELi1EEEJNS0_5RsqrtIfEEEEEvT_T0_DpT1_.private_seg_size, 0
	.set _ZN2at6native12_GLOBAL__N_125multi_tensor_apply_kernelINS1_18TensorListMetadataILi2EEENS1_14UnaryOpFunctorIN3c108BFloat16ELi2ELi1ELi1EEEJNS0_5RsqrtIfEEEEEvT_T0_DpT1_.uses_vcc, 1
	.set _ZN2at6native12_GLOBAL__N_125multi_tensor_apply_kernelINS1_18TensorListMetadataILi2EEENS1_14UnaryOpFunctorIN3c108BFloat16ELi2ELi1ELi1EEEJNS0_5RsqrtIfEEEEEvT_T0_DpT1_.uses_flat_scratch, 0
	.set _ZN2at6native12_GLOBAL__N_125multi_tensor_apply_kernelINS1_18TensorListMetadataILi2EEENS1_14UnaryOpFunctorIN3c108BFloat16ELi2ELi1ELi1EEEJNS0_5RsqrtIfEEEEEvT_T0_DpT1_.has_dyn_sized_stack, 0
	.set _ZN2at6native12_GLOBAL__N_125multi_tensor_apply_kernelINS1_18TensorListMetadataILi2EEENS1_14UnaryOpFunctorIN3c108BFloat16ELi2ELi1ELi1EEEJNS0_5RsqrtIfEEEEEvT_T0_DpT1_.has_recursion, 0
	.set _ZN2at6native12_GLOBAL__N_125multi_tensor_apply_kernelINS1_18TensorListMetadataILi2EEENS1_14UnaryOpFunctorIN3c108BFloat16ELi2ELi1ELi1EEEJNS0_5RsqrtIfEEEEEvT_T0_DpT1_.has_indirect_call, 0
	.section	.AMDGPU.csdata,"",@progbits
; Kernel info:
; codeLenInByte = 1932
; TotalNumSgprs: 22
; NumVgprs: 35
; ScratchSize: 0
; MemoryBound: 0
; FloatMode: 240
; IeeeMode: 1
; LDSByteSize: 0 bytes/workgroup (compile time only)
; SGPRBlocks: 0
; VGPRBlocks: 2
; NumSGPRsForWavesPerEU: 22
; NumVGPRsForWavesPerEU: 35
; NamedBarCnt: 0
; Occupancy: 16
; WaveLimiterHint : 0
; COMPUTE_PGM_RSRC2:SCRATCH_EN: 0
; COMPUTE_PGM_RSRC2:USER_SGPR: 2
; COMPUTE_PGM_RSRC2:TRAP_HANDLER: 0
; COMPUTE_PGM_RSRC2:TGID_X_EN: 1
; COMPUTE_PGM_RSRC2:TGID_Y_EN: 0
; COMPUTE_PGM_RSRC2:TGID_Z_EN: 0
; COMPUTE_PGM_RSRC2:TIDIG_COMP_CNT: 0
	.section	.text._ZN2at6native12_GLOBAL__N_125multi_tensor_apply_kernelINS1_18TensorListMetadataILi1EEENS1_14UnaryOpFunctorIdLi1ELi1ELi0EEEJNS0_5RsqrtIdEEEEEvT_T0_DpT1_,"axG",@progbits,_ZN2at6native12_GLOBAL__N_125multi_tensor_apply_kernelINS1_18TensorListMetadataILi1EEENS1_14UnaryOpFunctorIdLi1ELi1ELi0EEEJNS0_5RsqrtIdEEEEEvT_T0_DpT1_,comdat
	.globl	_ZN2at6native12_GLOBAL__N_125multi_tensor_apply_kernelINS1_18TensorListMetadataILi1EEENS1_14UnaryOpFunctorIdLi1ELi1ELi0EEEJNS0_5RsqrtIdEEEEEvT_T0_DpT1_ ; -- Begin function _ZN2at6native12_GLOBAL__N_125multi_tensor_apply_kernelINS1_18TensorListMetadataILi1EEENS1_14UnaryOpFunctorIdLi1ELi1ELi0EEEJNS0_5RsqrtIdEEEEEvT_T0_DpT1_
	.p2align	8
	.type	_ZN2at6native12_GLOBAL__N_125multi_tensor_apply_kernelINS1_18TensorListMetadataILi1EEENS1_14UnaryOpFunctorIdLi1ELi1ELi0EEEJNS0_5RsqrtIdEEEEEvT_T0_DpT1_,@function
_ZN2at6native12_GLOBAL__N_125multi_tensor_apply_kernelINS1_18TensorListMetadataILi1EEENS1_14UnaryOpFunctorIdLi1ELi1ELi0EEEJNS0_5RsqrtIdEEEEEvT_T0_DpT1_: ; @_ZN2at6native12_GLOBAL__N_125multi_tensor_apply_kernelINS1_18TensorListMetadataILi1EEENS1_14UnaryOpFunctorIdLi1ELi1ELi0EEEJNS0_5RsqrtIdEEEEEvT_T0_DpT1_
; %bb.0:
	s_bfe_u32 s2, ttmp6, 0x4000c
	s_and_b32 s3, ttmp6, 15
	s_add_co_i32 s2, s2, 1
	s_getreg_b32 s4, hwreg(HW_REG_IB_STS2, 6, 4)
	s_mul_i32 s2, ttmp9, s2
	s_delay_alu instid0(SALU_CYCLE_1)
	s_add_co_i32 s3, s3, s2
	s_cmp_eq_u32 s4, 0
	s_cselect_b32 s2, ttmp9, s3
	s_mov_b32 s3, 0
	s_load_u8 s8, s[0:1], s2 offset:0x6e0
	s_add_nc_u64 s[4:5], s[0:1], s[2:3]
	s_mul_u64 s[6:7], s[2:3], 3
	s_delay_alu instid0(SALU_CYCLE_1)
	s_add_nc_u64 s[4:5], s[4:5], s[6:7]
	s_load_b32 s10, s[4:5], 0x820
	s_wait_kmcnt 0x0
	s_clause 0x1
	s_load_b64 s[6:7], s[0:1], s8 offset:0x0 scale_offset
	s_load_b64 s[12:13], s[0:1], s8 offset:0x370 scale_offset
	s_ashr_i32 s11, s10, 31
	s_wait_kmcnt 0x0
	s_and_b64 s[4:5], s[6:7], 31
	s_and_b32 s2, s12, 3
	s_lshl_b64 s[8:9], s[10:11], 19
	s_or_b64 s[2:3], s[4:5], s[2:3]
	s_lshl_b64 s[4:5], s[10:11], 16
	s_cmp_eq_u64 s[2:3], 0
	s_sub_nc_u64 s[10:11], s[12:13], s[4:5]
	s_cbranch_scc1 .LBB299_21
; %bb.1:
	v_cmp_lt_i64_e64 s2, s[10:11], 1
	s_and_b32 vcc_lo, exec_lo, s2
	s_cbranch_vccnz .LBB299_20
; %bb.2:
	s_load_b32 s4, s[0:1], 0xd3c
	v_min_i64 v[2:3], 0x10000, s[10:11]
	v_min_u64 v[4:5], 0x10000, s[10:11]
	v_dual_mov_b32 v1, 0 :: v_dual_lshlrev_b32 v8, 3, v0
	s_mov_b32 s19, 0
	s_add_nc_u64 s[2:3], s[6:7], s[8:9]
	s_mov_b32 s5, s19
	s_delay_alu instid0(VALU_DEP_1)
	v_mov_b32_e32 v15, v1
	s_mov_b32 s17, s19
	s_mov_b32 s13, s19
	;; [unrolled: 1-line block ×3, first 2 shown]
	s_mov_b64 s[20:21], 0
	s_wait_kmcnt 0x0
	s_and_b32 s18, s4, 0xffff
	s_delay_alu instid0(SALU_CYCLE_1)
	v_add_nc_u64_e32 v[6:7], s[18:19], v[0:1]
	v_mov_b32_e32 v9, v1
	s_lshl_b32 s4, s18, 1
	s_mul_i32 s16, s18, 3
	v_add_nc_u64_e32 v[12:13], s[4:5], v[0:1]
	v_add_nc_u64_e32 v[10:11], s[16:17], v[0:1]
	s_lshl_b32 s12, s18, 2
	v_lshlrev_b32_e32 v14, 3, v6
	v_add_nc_u64_e32 v[8:9], s[2:3], v[8:9]
	s_lshl_b32 s14, s18, 5
	s_mul_u64 s[16:17], s[18:19], 24
	s_lshl_b32 s18, s18, 4
	v_add_nc_u64_e32 v[14:15], s[2:3], v[14:15]
	s_branch .LBB299_4
.LBB299_3:                              ;   in Loop: Header=BB299_4 Depth=1
	s_wait_xcnt 0x0
	s_or_b32 exec_lo, exec_lo, s2
	s_add_nc_u64 s[20:21], s[20:21], s[12:13]
	v_add_nc_u64_e32 v[8:9], s[14:15], v[8:9]
	v_cmp_lt_i64_e32 vcc_lo, s[20:21], v[2:3]
	v_add_nc_u64_e32 v[14:15], s[14:15], v[14:15]
	s_cbranch_vccz .LBB299_20
.LBB299_4:                              ; =>This Inner Loop Header: Depth=1
	s_wait_loadcnt 0x0
	v_add_nc_u64_e32 v[16:17], s[20:21], v[0:1]
	v_mov_b64_e32 v[22:23], 0
	v_mov_b64_e32 v[26:27], 0
	s_delay_alu instid0(VALU_DEP_3)
	v_cmp_lt_u64_e64 s4, v[16:17], v[4:5]
	s_and_saveexec_b32 s2, s4
	s_cbranch_execz .LBB299_6
; %bb.5:                                ;   in Loop: Header=BB299_4 Depth=1
	global_load_b64 v[26:27], v[8:9], off
.LBB299_6:                              ;   in Loop: Header=BB299_4 Depth=1
	s_wait_xcnt 0x0
	s_or_b32 exec_lo, exec_lo, s2
	v_add_nc_u64_e32 v[16:17], s[20:21], v[6:7]
	s_delay_alu instid0(VALU_DEP_1)
	v_cmp_lt_u64_e64 s3, v[16:17], v[4:5]
	s_and_saveexec_b32 s2, s3
	s_cbranch_execz .LBB299_8
; %bb.7:                                ;   in Loop: Header=BB299_4 Depth=1
	global_load_b64 v[22:23], v[14:15], off
.LBB299_8:                              ;   in Loop: Header=BB299_4 Depth=1
	s_wait_xcnt 0x0
	s_or_b32 exec_lo, exec_lo, s2
	v_add_nc_u64_e32 v[18:19], s[20:21], v[12:13]
	v_mov_b64_e32 v[16:17], 0
	v_add_nc_u64_e32 v[20:21], s[18:19], v[8:9]
	v_mov_b64_e32 v[24:25], 0
	s_delay_alu instid0(VALU_DEP_4)
	v_cmp_lt_u64_e64 s2, v[18:19], v[4:5]
	s_and_saveexec_b32 s5, s2
	s_cbranch_execz .LBB299_10
; %bb.9:                                ;   in Loop: Header=BB299_4 Depth=1
	global_load_b64 v[24:25], v[20:21], off
.LBB299_10:                             ;   in Loop: Header=BB299_4 Depth=1
	s_wait_xcnt 0x0
	s_or_b32 exec_lo, exec_lo, s5
	v_add_nc_u64_e32 v[18:19], s[20:21], v[10:11]
	s_delay_alu instid0(VALU_DEP_1)
	v_cmp_lt_u64_e32 vcc_lo, v[18:19], v[4:5]
	v_add_nc_u64_e32 v[18:19], s[16:17], v[8:9]
	s_and_saveexec_b32 s5, vcc_lo
	s_cbranch_execnz .LBB299_15
; %bb.11:                               ;   in Loop: Header=BB299_4 Depth=1
	s_or_b32 exec_lo, exec_lo, s5
	s_and_saveexec_b32 s5, s4
	s_cbranch_execnz .LBB299_16
.LBB299_12:                             ;   in Loop: Header=BB299_4 Depth=1
	s_or_b32 exec_lo, exec_lo, s5
	s_and_saveexec_b32 s4, s3
	s_cbranch_execnz .LBB299_17
.LBB299_13:                             ;   in Loop: Header=BB299_4 Depth=1
	s_or_b32 exec_lo, exec_lo, s4
	s_and_saveexec_b32 s3, s2
	s_cbranch_execnz .LBB299_18
.LBB299_14:                             ;   in Loop: Header=BB299_4 Depth=1
	s_or_b32 exec_lo, exec_lo, s3
	s_and_saveexec_b32 s2, vcc_lo
	s_cbranch_execz .LBB299_3
	s_branch .LBB299_19
.LBB299_15:                             ;   in Loop: Header=BB299_4 Depth=1
	global_load_b64 v[16:17], v[18:19], off
	s_wait_xcnt 0x0
	s_or_b32 exec_lo, exec_lo, s5
	s_and_saveexec_b32 s5, s4
	s_cbranch_execz .LBB299_12
.LBB299_16:                             ;   in Loop: Header=BB299_4 Depth=1
	s_wait_loadcnt 0x0
	v_rsq_f64_e32 v[28:29], v[26:27]
	v_nop
	s_delay_alu instid0(TRANS32_DEP_1) | instskip(SKIP_1) | instid1(VALU_DEP_2)
	v_mul_f64_e64 v[26:27], v[28:29], -v[26:27]
	v_cmp_class_f64_e64 s4, v[28:29], 0x180
	v_fma_f64 v[26:27], v[26:27], v[28:29], 1.0
	s_delay_alu instid0(VALU_DEP_1) | instskip(SKIP_1) | instid1(VALU_DEP_1)
	v_mul_f64_e32 v[30:31], v[28:29], v[26:27]
	v_fma_f64 v[26:27], 0x3fd80000, v[26:27], 0.5
	v_fma_f64 v[26:27], v[30:31], v[26:27], v[28:29]
	s_delay_alu instid0(VALU_DEP_1)
	v_dual_cndmask_b32 v27, v29, v27, s4 :: v_dual_cndmask_b32 v26, v28, v26, s4
	global_store_b64 v[8:9], v[26:27], off
	s_wait_xcnt 0x0
	s_or_b32 exec_lo, exec_lo, s5
	s_and_saveexec_b32 s4, s3
	s_cbranch_execz .LBB299_13
.LBB299_17:                             ;   in Loop: Header=BB299_4 Depth=1
	s_wait_loadcnt 0x0
	v_rsq_f64_e32 v[26:27], v[22:23]
	v_nop
	s_delay_alu instid0(TRANS32_DEP_1) | instskip(SKIP_1) | instid1(VALU_DEP_2)
	v_mul_f64_e64 v[22:23], v[26:27], -v[22:23]
	v_cmp_class_f64_e64 s3, v[26:27], 0x180
	v_fma_f64 v[22:23], v[22:23], v[26:27], 1.0
	s_delay_alu instid0(VALU_DEP_1) | instskip(SKIP_1) | instid1(VALU_DEP_1)
	v_mul_f64_e32 v[28:29], v[26:27], v[22:23]
	v_fma_f64 v[22:23], 0x3fd80000, v[22:23], 0.5
	v_fma_f64 v[22:23], v[28:29], v[22:23], v[26:27]
	s_delay_alu instid0(VALU_DEP_1)
	v_dual_cndmask_b32 v23, v27, v23, s3 :: v_dual_cndmask_b32 v22, v26, v22, s3
	global_store_b64 v[14:15], v[22:23], off
	s_wait_xcnt 0x0
	s_or_b32 exec_lo, exec_lo, s4
	s_and_saveexec_b32 s3, s2
	s_cbranch_execz .LBB299_14
.LBB299_18:                             ;   in Loop: Header=BB299_4 Depth=1
	s_wait_loadcnt 0x0
	v_rsq_f64_e32 v[22:23], v[24:25]
	v_nop
	s_delay_alu instid0(TRANS32_DEP_1) | instskip(SKIP_1) | instid1(VALU_DEP_2)
	v_mul_f64_e64 v[24:25], v[22:23], -v[24:25]
	v_cmp_class_f64_e64 s2, v[22:23], 0x180
	v_fma_f64 v[24:25], v[24:25], v[22:23], 1.0
	s_delay_alu instid0(VALU_DEP_1) | instskip(SKIP_1) | instid1(VALU_DEP_1)
	v_mul_f64_e32 v[26:27], v[22:23], v[24:25]
	v_fma_f64 v[24:25], 0x3fd80000, v[24:25], 0.5
	v_fma_f64 v[24:25], v[26:27], v[24:25], v[22:23]
	s_delay_alu instid0(VALU_DEP_1)
	v_dual_cndmask_b32 v23, v23, v25, s2 :: v_dual_cndmask_b32 v22, v22, v24, s2
	global_store_b64 v[20:21], v[22:23], off
	s_wait_xcnt 0x0
	s_or_b32 exec_lo, exec_lo, s3
	s_and_saveexec_b32 s2, vcc_lo
	s_cbranch_execz .LBB299_3
.LBB299_19:                             ;   in Loop: Header=BB299_4 Depth=1
	s_wait_loadcnt 0x0
	v_rsq_f64_e32 v[20:21], v[16:17]
	v_nop
	s_delay_alu instid0(TRANS32_DEP_1) | instskip(SKIP_1) | instid1(VALU_DEP_2)
	v_mul_f64_e64 v[16:17], v[20:21], -v[16:17]
	v_cmp_class_f64_e64 vcc_lo, v[20:21], 0x180
	v_fma_f64 v[16:17], v[16:17], v[20:21], 1.0
	s_delay_alu instid0(VALU_DEP_1) | instskip(SKIP_1) | instid1(VALU_DEP_1)
	v_mul_f64_e32 v[22:23], v[20:21], v[16:17]
	v_fma_f64 v[16:17], 0x3fd80000, v[16:17], 0.5
	v_fma_f64 v[16:17], v[22:23], v[16:17], v[20:21]
	s_delay_alu instid0(VALU_DEP_1)
	v_dual_cndmask_b32 v17, v21, v17 :: v_dual_cndmask_b32 v16, v20, v16
	global_store_b64 v[18:19], v[16:17], off
	s_branch .LBB299_3
.LBB299_20:
	s_cbranch_execz .LBB299_22
	s_branch .LBB299_25
.LBB299_21:
.LBB299_22:
	v_min_i64 v[2:3], 0x10000, s[10:11]
	v_dual_mov_b32 v5, 0 :: v_dual_lshlrev_b32 v4, 2, v0
	s_mov_b32 s2, exec_lo
	s_delay_alu instid0(VALU_DEP_1)
	v_cmpx_lt_i64_e64 v[4:5], v[2:3]
	s_cbranch_execz .LBB299_25
; %bb.23:
	s_load_b32 s2, s[0:1], 0xd3c
	v_dual_mov_b32 v1, v5 :: v_dual_lshlrev_b32 v4, 5, v0
	s_wait_xcnt 0x0
	s_add_nc_u64 s[0:1], s[6:7], s[8:9]
	s_mov_b32 s5, 0
	s_delay_alu instid0(VALU_DEP_1) | instskip(SKIP_2) | instid1(VALU_DEP_1)
	v_add_nc_u64_e32 v[6:7], s[0:1], v[4:5]
	s_mov_b32 s7, s5
	s_mov_b32 s3, s5
	v_add_nc_u64_e32 v[4:5], 16, v[6:7]
	s_wait_kmcnt 0x0
	s_and_b32 s4, s2, 0xffff
	s_delay_alu instid0(SALU_CYCLE_1)
	s_lshl_b32 s6, s4, 5
.LBB299_24:                             ; =>This Inner Loop Header: Depth=1
	s_clause 0x1
	global_load_b128 v[6:9], v[4:5], off offset:-16
	global_load_b128 v[10:13], v[4:5], off
	v_add_nc_u64_e32 v[0:1], s[4:5], v[0:1]
	s_wait_loadcnt 0x1
	v_rsq_f64_e32 v[14:15], v[6:7]
	v_rsq_f64_e32 v[16:17], v[8:9]
	s_wait_loadcnt 0x0
	v_rsq_f64_e32 v[18:19], v[10:11]
	v_rsq_f64_e32 v[20:21], v[12:13]
	v_cmp_class_f64_e64 vcc_lo, v[14:15], 0x180
	s_delay_alu instid0(TRANS32_DEP_3) | instskip(NEXT) | instid1(TRANS32_DEP_2)
	v_mul_f64_e64 v[8:9], v[16:17], -v[8:9]
	v_cmp_class_f64_e64 s1, v[18:19], 0x180
	v_cmp_class_f64_e64 s0, v[16:17], 0x180
	s_delay_alu instid0(TRANS32_DEP_1) | instskip(NEXT) | instid1(VALU_DEP_4)
	v_cmp_class_f64_e64 s2, v[20:21], 0x180
	v_fma_f64 v[8:9], v[8:9], v[16:17], 1.0
	s_delay_alu instid0(VALU_DEP_1) | instskip(SKIP_1) | instid1(VALU_DEP_1)
	v_mul_f64_e32 v[24:25], v[16:17], v[8:9]
	v_fma_f64 v[8:9], 0x3fd80000, v[8:9], 0.5
	v_fma_f64 v[8:9], v[24:25], v[8:9], v[16:17]
	v_mul_f64_e64 v[6:7], v[14:15], -v[6:7]
	s_delay_alu instid0(VALU_DEP_2) | instskip(NEXT) | instid1(VALU_DEP_3)
	v_dual_mul_f64 v[10:11], v[18:19], -v[10:11] :: v_dual_cndmask_b32 v8, v16, v8, s0
	v_cndmask_b32_e64 v9, v17, v9, s0
	s_delay_alu instid0(VALU_DEP_3) | instskip(NEXT) | instid1(VALU_DEP_3)
	v_fma_f64 v[6:7], v[6:7], v[14:15], 1.0
	v_fma_f64 v[10:11], v[10:11], v[18:19], 1.0
	s_delay_alu instid0(VALU_DEP_2) | instskip(SKIP_1) | instid1(VALU_DEP_1)
	v_mul_f64_e32 v[22:23], v[14:15], v[6:7]
	v_fma_f64 v[6:7], 0x3fd80000, v[6:7], 0.5
	v_fma_f64 v[6:7], v[22:23], v[6:7], v[14:15]
	v_mul_f64_e64 v[12:13], v[20:21], -v[12:13]
	v_lshlrev_b64_e32 v[22:23], 2, v[0:1]
	s_delay_alu instid0(VALU_DEP_3) | instskip(NEXT) | instid1(VALU_DEP_3)
	v_cndmask_b32_e32 v6, v14, v6, vcc_lo
	v_fma_f64 v[12:13], v[12:13], v[20:21], 1.0
	v_cndmask_b32_e32 v7, v15, v7, vcc_lo
	s_delay_alu instid0(VALU_DEP_4) | instskip(SKIP_1) | instid1(VALU_DEP_3)
	v_cmp_ge_i64_e32 vcc_lo, v[22:23], v[2:3]
	s_or_b32 s3, vcc_lo, s3
	v_mul_f64_e32 v[28:29], v[20:21], v[12:13]
	v_fma_f64 v[12:13], 0x3fd80000, v[12:13], 0.5
	s_delay_alu instid0(VALU_DEP_1) | instskip(SKIP_2) | instid1(VALU_DEP_3)
	v_fma_f64 v[12:13], v[28:29], v[12:13], v[20:21]
	v_mul_f64_e32 v[26:27], v[18:19], v[10:11]
	v_fma_f64 v[10:11], 0x3fd80000, v[10:11], 0.5
	v_dual_cndmask_b32 v12, v20, v12, s2 :: v_dual_cndmask_b32 v13, v21, v13, s2
	s_delay_alu instid0(VALU_DEP_2) | instskip(NEXT) | instid1(VALU_DEP_1)
	v_fma_f64 v[10:11], v[26:27], v[10:11], v[18:19]
	v_dual_cndmask_b32 v11, v19, v11, s1 :: v_dual_cndmask_b32 v10, v18, v10, s1
	s_clause 0x1
	global_store_b128 v[4:5], v[6:9], off offset:-16
	global_store_b128 v[4:5], v[10:13], off
	s_wait_xcnt 0x0
	v_add_nc_u64_e32 v[4:5], s[6:7], v[4:5]
	s_and_not1_b32 exec_lo, exec_lo, s3
	s_cbranch_execnz .LBB299_24
.LBB299_25:
	s_endpgm
	.section	.rodata,"a",@progbits
	.p2align	6, 0x0
	.amdhsa_kernel _ZN2at6native12_GLOBAL__N_125multi_tensor_apply_kernelINS1_18TensorListMetadataILi1EEENS1_14UnaryOpFunctorIdLi1ELi1ELi0EEEJNS0_5RsqrtIdEEEEEvT_T0_DpT1_
		.amdhsa_group_segment_fixed_size 0
		.amdhsa_private_segment_fixed_size 0
		.amdhsa_kernarg_size 3632
		.amdhsa_user_sgpr_count 2
		.amdhsa_user_sgpr_dispatch_ptr 0
		.amdhsa_user_sgpr_queue_ptr 0
		.amdhsa_user_sgpr_kernarg_segment_ptr 1
		.amdhsa_user_sgpr_dispatch_id 0
		.amdhsa_user_sgpr_kernarg_preload_length 0
		.amdhsa_user_sgpr_kernarg_preload_offset 0
		.amdhsa_user_sgpr_private_segment_size 0
		.amdhsa_wavefront_size32 1
		.amdhsa_uses_dynamic_stack 0
		.amdhsa_enable_private_segment 0
		.amdhsa_system_sgpr_workgroup_id_x 1
		.amdhsa_system_sgpr_workgroup_id_y 0
		.amdhsa_system_sgpr_workgroup_id_z 0
		.amdhsa_system_sgpr_workgroup_info 0
		.amdhsa_system_vgpr_workitem_id 0
		.amdhsa_next_free_vgpr 32
		.amdhsa_next_free_sgpr 22
		.amdhsa_named_barrier_count 0
		.amdhsa_reserve_vcc 1
		.amdhsa_float_round_mode_32 0
		.amdhsa_float_round_mode_16_64 0
		.amdhsa_float_denorm_mode_32 3
		.amdhsa_float_denorm_mode_16_64 3
		.amdhsa_fp16_overflow 0
		.amdhsa_memory_ordered 1
		.amdhsa_forward_progress 1
		.amdhsa_inst_pref_size 13
		.amdhsa_round_robin_scheduling 0
		.amdhsa_exception_fp_ieee_invalid_op 0
		.amdhsa_exception_fp_denorm_src 0
		.amdhsa_exception_fp_ieee_div_zero 0
		.amdhsa_exception_fp_ieee_overflow 0
		.amdhsa_exception_fp_ieee_underflow 0
		.amdhsa_exception_fp_ieee_inexact 0
		.amdhsa_exception_int_div_zero 0
	.end_amdhsa_kernel
	.section	.text._ZN2at6native12_GLOBAL__N_125multi_tensor_apply_kernelINS1_18TensorListMetadataILi1EEENS1_14UnaryOpFunctorIdLi1ELi1ELi0EEEJNS0_5RsqrtIdEEEEEvT_T0_DpT1_,"axG",@progbits,_ZN2at6native12_GLOBAL__N_125multi_tensor_apply_kernelINS1_18TensorListMetadataILi1EEENS1_14UnaryOpFunctorIdLi1ELi1ELi0EEEJNS0_5RsqrtIdEEEEEvT_T0_DpT1_,comdat
.Lfunc_end299:
	.size	_ZN2at6native12_GLOBAL__N_125multi_tensor_apply_kernelINS1_18TensorListMetadataILi1EEENS1_14UnaryOpFunctorIdLi1ELi1ELi0EEEJNS0_5RsqrtIdEEEEEvT_T0_DpT1_, .Lfunc_end299-_ZN2at6native12_GLOBAL__N_125multi_tensor_apply_kernelINS1_18TensorListMetadataILi1EEENS1_14UnaryOpFunctorIdLi1ELi1ELi0EEEJNS0_5RsqrtIdEEEEEvT_T0_DpT1_
                                        ; -- End function
	.set _ZN2at6native12_GLOBAL__N_125multi_tensor_apply_kernelINS1_18TensorListMetadataILi1EEENS1_14UnaryOpFunctorIdLi1ELi1ELi0EEEJNS0_5RsqrtIdEEEEEvT_T0_DpT1_.num_vgpr, 32
	.set _ZN2at6native12_GLOBAL__N_125multi_tensor_apply_kernelINS1_18TensorListMetadataILi1EEENS1_14UnaryOpFunctorIdLi1ELi1ELi0EEEJNS0_5RsqrtIdEEEEEvT_T0_DpT1_.num_agpr, 0
	.set _ZN2at6native12_GLOBAL__N_125multi_tensor_apply_kernelINS1_18TensorListMetadataILi1EEENS1_14UnaryOpFunctorIdLi1ELi1ELi0EEEJNS0_5RsqrtIdEEEEEvT_T0_DpT1_.numbered_sgpr, 22
	.set _ZN2at6native12_GLOBAL__N_125multi_tensor_apply_kernelINS1_18TensorListMetadataILi1EEENS1_14UnaryOpFunctorIdLi1ELi1ELi0EEEJNS0_5RsqrtIdEEEEEvT_T0_DpT1_.num_named_barrier, 0
	.set _ZN2at6native12_GLOBAL__N_125multi_tensor_apply_kernelINS1_18TensorListMetadataILi1EEENS1_14UnaryOpFunctorIdLi1ELi1ELi0EEEJNS0_5RsqrtIdEEEEEvT_T0_DpT1_.private_seg_size, 0
	.set _ZN2at6native12_GLOBAL__N_125multi_tensor_apply_kernelINS1_18TensorListMetadataILi1EEENS1_14UnaryOpFunctorIdLi1ELi1ELi0EEEJNS0_5RsqrtIdEEEEEvT_T0_DpT1_.uses_vcc, 1
	.set _ZN2at6native12_GLOBAL__N_125multi_tensor_apply_kernelINS1_18TensorListMetadataILi1EEENS1_14UnaryOpFunctorIdLi1ELi1ELi0EEEJNS0_5RsqrtIdEEEEEvT_T0_DpT1_.uses_flat_scratch, 0
	.set _ZN2at6native12_GLOBAL__N_125multi_tensor_apply_kernelINS1_18TensorListMetadataILi1EEENS1_14UnaryOpFunctorIdLi1ELi1ELi0EEEJNS0_5RsqrtIdEEEEEvT_T0_DpT1_.has_dyn_sized_stack, 0
	.set _ZN2at6native12_GLOBAL__N_125multi_tensor_apply_kernelINS1_18TensorListMetadataILi1EEENS1_14UnaryOpFunctorIdLi1ELi1ELi0EEEJNS0_5RsqrtIdEEEEEvT_T0_DpT1_.has_recursion, 0
	.set _ZN2at6native12_GLOBAL__N_125multi_tensor_apply_kernelINS1_18TensorListMetadataILi1EEENS1_14UnaryOpFunctorIdLi1ELi1ELi0EEEJNS0_5RsqrtIdEEEEEvT_T0_DpT1_.has_indirect_call, 0
	.section	.AMDGPU.csdata,"",@progbits
; Kernel info:
; codeLenInByte = 1564
; TotalNumSgprs: 24
; NumVgprs: 32
; ScratchSize: 0
; MemoryBound: 0
; FloatMode: 240
; IeeeMode: 1
; LDSByteSize: 0 bytes/workgroup (compile time only)
; SGPRBlocks: 0
; VGPRBlocks: 1
; NumSGPRsForWavesPerEU: 24
; NumVGPRsForWavesPerEU: 32
; NamedBarCnt: 0
; Occupancy: 16
; WaveLimiterHint : 0
; COMPUTE_PGM_RSRC2:SCRATCH_EN: 0
; COMPUTE_PGM_RSRC2:USER_SGPR: 2
; COMPUTE_PGM_RSRC2:TRAP_HANDLER: 0
; COMPUTE_PGM_RSRC2:TGID_X_EN: 1
; COMPUTE_PGM_RSRC2:TGID_Y_EN: 0
; COMPUTE_PGM_RSRC2:TGID_Z_EN: 0
; COMPUTE_PGM_RSRC2:TIDIG_COMP_CNT: 0
	.section	.text._ZN2at6native12_GLOBAL__N_125multi_tensor_apply_kernelINS1_18TensorListMetadataILi1EEENS1_14UnaryOpFunctorIfLi1ELi1ELi0EEEJNS0_5RsqrtIfEEEEEvT_T0_DpT1_,"axG",@progbits,_ZN2at6native12_GLOBAL__N_125multi_tensor_apply_kernelINS1_18TensorListMetadataILi1EEENS1_14UnaryOpFunctorIfLi1ELi1ELi0EEEJNS0_5RsqrtIfEEEEEvT_T0_DpT1_,comdat
	.globl	_ZN2at6native12_GLOBAL__N_125multi_tensor_apply_kernelINS1_18TensorListMetadataILi1EEENS1_14UnaryOpFunctorIfLi1ELi1ELi0EEEJNS0_5RsqrtIfEEEEEvT_T0_DpT1_ ; -- Begin function _ZN2at6native12_GLOBAL__N_125multi_tensor_apply_kernelINS1_18TensorListMetadataILi1EEENS1_14UnaryOpFunctorIfLi1ELi1ELi0EEEJNS0_5RsqrtIfEEEEEvT_T0_DpT1_
	.p2align	8
	.type	_ZN2at6native12_GLOBAL__N_125multi_tensor_apply_kernelINS1_18TensorListMetadataILi1EEENS1_14UnaryOpFunctorIfLi1ELi1ELi0EEEJNS0_5RsqrtIfEEEEEvT_T0_DpT1_,@function
_ZN2at6native12_GLOBAL__N_125multi_tensor_apply_kernelINS1_18TensorListMetadataILi1EEENS1_14UnaryOpFunctorIfLi1ELi1ELi0EEEJNS0_5RsqrtIfEEEEEvT_T0_DpT1_: ; @_ZN2at6native12_GLOBAL__N_125multi_tensor_apply_kernelINS1_18TensorListMetadataILi1EEENS1_14UnaryOpFunctorIfLi1ELi1ELi0EEEJNS0_5RsqrtIfEEEEEvT_T0_DpT1_
; %bb.0:
	s_bfe_u32 s2, ttmp6, 0x4000c
	s_and_b32 s3, ttmp6, 15
	s_add_co_i32 s2, s2, 1
	s_getreg_b32 s4, hwreg(HW_REG_IB_STS2, 6, 4)
	s_mul_i32 s2, ttmp9, s2
	s_delay_alu instid0(SALU_CYCLE_1)
	s_add_co_i32 s3, s3, s2
	s_cmp_eq_u32 s4, 0
	s_cselect_b32 s2, ttmp9, s3
	s_mov_b32 s3, 0
	s_load_u8 s8, s[0:1], s2 offset:0x6e0
	s_add_nc_u64 s[4:5], s[0:1], s[2:3]
	s_mul_u64 s[6:7], s[2:3], 3
	s_delay_alu instid0(SALU_CYCLE_1)
	s_add_nc_u64 s[4:5], s[4:5], s[6:7]
	s_load_b32 s10, s[4:5], 0x820
	s_wait_kmcnt 0x0
	s_clause 0x1
	s_load_b64 s[6:7], s[0:1], s8 offset:0x0 scale_offset
	s_load_b64 s[12:13], s[0:1], s8 offset:0x370 scale_offset
	s_ashr_i32 s11, s10, 31
	s_wait_kmcnt 0x0
	s_and_b64 s[4:5], s[6:7], 15
	s_and_b32 s2, s12, 3
	s_lshl_b64 s[8:9], s[10:11], 18
	s_or_b64 s[2:3], s[4:5], s[2:3]
	s_lshl_b64 s[4:5], s[10:11], 16
	s_cmp_eq_u64 s[2:3], 0
	s_sub_nc_u64 s[10:11], s[12:13], s[4:5]
	s_cbranch_scc1 .LBB300_21
; %bb.1:
	v_cmp_lt_i64_e64 s2, s[10:11], 1
	s_and_b32 vcc_lo, exec_lo, s2
	s_cbranch_vccnz .LBB300_20
; %bb.2:
	s_load_b32 s4, s[0:1], 0xd3c
	v_min_i64 v[2:3], 0x10000, s[10:11]
	v_min_u64 v[4:5], 0x10000, s[10:11]
	v_dual_mov_b32 v1, 0 :: v_dual_lshlrev_b32 v8, 2, v0
	s_mov_b32 s19, 0
	s_add_nc_u64 s[2:3], s[6:7], s[8:9]
	s_mov_b32 s5, s19
	s_delay_alu instid0(VALU_DEP_1)
	v_mov_b32_e32 v15, v1
	s_mov_b32 s17, s19
	s_mov_b32 s13, s19
	s_mov_b32 s15, s19
	s_mov_b64 s[20:21], 0
	s_wait_kmcnt 0x0
	s_and_b32 s18, s4, 0xffff
	s_delay_alu instid0(SALU_CYCLE_1)
	v_add_nc_u64_e32 v[6:7], s[18:19], v[0:1]
	v_mov_b32_e32 v9, v1
	s_lshl_b32 s4, s18, 1
	s_mul_i32 s16, s18, 3
	v_add_nc_u64_e32 v[12:13], s[4:5], v[0:1]
	v_add_nc_u64_e32 v[10:11], s[16:17], v[0:1]
	s_lshl_b32 s12, s18, 2
	v_lshlrev_b32_e32 v14, 2, v6
	v_add_nc_u64_e32 v[8:9], s[2:3], v[8:9]
	s_lshl_b32 s14, s18, 4
	s_mul_u64 s[16:17], s[18:19], 12
	s_lshl_b32 s18, s18, 3
	v_add_nc_u64_e32 v[14:15], s[2:3], v[14:15]
	s_branch .LBB300_4
.LBB300_3:                              ;   in Loop: Header=BB300_4 Depth=1
	s_wait_xcnt 0x0
	s_or_b32 exec_lo, exec_lo, s2
	s_add_nc_u64 s[20:21], s[20:21], s[12:13]
	v_add_nc_u64_e32 v[8:9], s[14:15], v[8:9]
	v_cmp_lt_i64_e32 vcc_lo, s[20:21], v[2:3]
	v_add_nc_u64_e32 v[14:15], s[14:15], v[14:15]
	s_cbranch_vccz .LBB300_20
.LBB300_4:                              ; =>This Inner Loop Header: Depth=1
	v_add_nc_u64_e32 v[16:17], s[20:21], v[0:1]
	s_wait_loadcnt 0x0
	v_mov_b32_e32 v23, 0
	s_delay_alu instid0(VALU_DEP_2)
	v_cmp_lt_u64_e64 s4, v[16:17], v[4:5]
	s_and_saveexec_b32 s2, s4
	s_cbranch_execz .LBB300_6
; %bb.5:                                ;   in Loop: Header=BB300_4 Depth=1
	global_load_b32 v23, v[8:9], off
.LBB300_6:                              ;   in Loop: Header=BB300_4 Depth=1
	s_wait_xcnt 0x0
	s_or_b32 exec_lo, exec_lo, s2
	v_add_nc_u64_e32 v[16:17], s[20:21], v[6:7]
	v_dual_mov_b32 v20, 0 :: v_dual_mov_b32 v22, 0
	s_delay_alu instid0(VALU_DEP_2)
	v_cmp_lt_u64_e64 s3, v[16:17], v[4:5]
	s_and_saveexec_b32 s2, s3
	s_cbranch_execz .LBB300_8
; %bb.7:                                ;   in Loop: Header=BB300_4 Depth=1
	global_load_b32 v22, v[14:15], off
.LBB300_8:                              ;   in Loop: Header=BB300_4 Depth=1
	s_wait_xcnt 0x0
	s_or_b32 exec_lo, exec_lo, s2
	v_add_nc_u64_e32 v[16:17], s[20:21], v[12:13]
	v_add_nc_u64_e32 v[18:19], s[18:19], v[8:9]
	s_delay_alu instid0(VALU_DEP_2)
	v_cmp_lt_u64_e64 s2, v[16:17], v[4:5]
	s_and_saveexec_b32 s5, s2
	s_cbranch_execz .LBB300_10
; %bb.9:                                ;   in Loop: Header=BB300_4 Depth=1
	global_load_b32 v20, v[18:19], off
.LBB300_10:                             ;   in Loop: Header=BB300_4 Depth=1
	s_wait_xcnt 0x0
	s_or_b32 exec_lo, exec_lo, s5
	v_add_nc_u64_e32 v[16:17], s[20:21], v[10:11]
	v_mov_b32_e32 v21, 0
	s_delay_alu instid0(VALU_DEP_2)
	v_cmp_lt_u64_e32 vcc_lo, v[16:17], v[4:5]
	v_add_nc_u64_e32 v[16:17], s[16:17], v[8:9]
	s_and_saveexec_b32 s5, vcc_lo
	s_cbranch_execnz .LBB300_15
; %bb.11:                               ;   in Loop: Header=BB300_4 Depth=1
	s_or_b32 exec_lo, exec_lo, s5
	s_and_saveexec_b32 s5, s4
	s_cbranch_execnz .LBB300_16
.LBB300_12:                             ;   in Loop: Header=BB300_4 Depth=1
	s_or_b32 exec_lo, exec_lo, s5
	s_and_saveexec_b32 s4, s3
	s_cbranch_execnz .LBB300_17
.LBB300_13:                             ;   in Loop: Header=BB300_4 Depth=1
	s_or_b32 exec_lo, exec_lo, s4
	s_and_saveexec_b32 s3, s2
	s_cbranch_execnz .LBB300_18
.LBB300_14:                             ;   in Loop: Header=BB300_4 Depth=1
	s_or_b32 exec_lo, exec_lo, s3
	s_and_saveexec_b32 s2, vcc_lo
	s_cbranch_execz .LBB300_3
	s_branch .LBB300_19
.LBB300_15:                             ;   in Loop: Header=BB300_4 Depth=1
	global_load_b32 v21, v[16:17], off
	s_wait_xcnt 0x0
	s_or_b32 exec_lo, exec_lo, s5
	s_and_saveexec_b32 s5, s4
	s_cbranch_execz .LBB300_12
.LBB300_16:                             ;   in Loop: Header=BB300_4 Depth=1
	s_wait_loadcnt 0x0
	v_mul_f32_e32 v24, 0x4b800000, v23
	v_cmp_gt_f32_e64 s4, 0x800000, v23
	s_delay_alu instid0(VALU_DEP_1) | instskip(NEXT) | instid1(VALU_DEP_1)
	v_cndmask_b32_e64 v23, v23, v24, s4
	v_rsq_f32_e32 v23, v23
	v_nop
	s_delay_alu instid0(TRANS32_DEP_1) | instskip(NEXT) | instid1(VALU_DEP_1)
	v_mul_f32_e32 v24, 0x45800000, v23
	v_cndmask_b32_e64 v23, v23, v24, s4
	global_store_b32 v[8:9], v23, off
	s_wait_xcnt 0x0
	s_or_b32 exec_lo, exec_lo, s5
	s_and_saveexec_b32 s4, s3
	s_cbranch_execz .LBB300_13
.LBB300_17:                             ;   in Loop: Header=BB300_4 Depth=1
	s_wait_loadcnt 0x0
	v_mul_f32_e32 v23, 0x4b800000, v22
	v_cmp_gt_f32_e64 s3, 0x800000, v22
	s_delay_alu instid0(VALU_DEP_1) | instskip(NEXT) | instid1(VALU_DEP_1)
	v_cndmask_b32_e64 v22, v22, v23, s3
	v_rsq_f32_e32 v22, v22
	v_nop
	s_delay_alu instid0(TRANS32_DEP_1) | instskip(NEXT) | instid1(VALU_DEP_1)
	v_mul_f32_e32 v23, 0x45800000, v22
	v_cndmask_b32_e64 v22, v22, v23, s3
	global_store_b32 v[14:15], v22, off
	s_wait_xcnt 0x0
	s_or_b32 exec_lo, exec_lo, s4
	s_and_saveexec_b32 s3, s2
	s_cbranch_execz .LBB300_14
.LBB300_18:                             ;   in Loop: Header=BB300_4 Depth=1
	s_wait_loadcnt 0x0
	v_mul_f32_e32 v22, 0x4b800000, v20
	v_cmp_gt_f32_e64 s2, 0x800000, v20
	s_delay_alu instid0(VALU_DEP_1) | instskip(NEXT) | instid1(VALU_DEP_1)
	v_cndmask_b32_e64 v20, v20, v22, s2
	v_rsq_f32_e32 v20, v20
	v_nop
	s_delay_alu instid0(TRANS32_DEP_1) | instskip(NEXT) | instid1(VALU_DEP_1)
	v_mul_f32_e32 v22, 0x45800000, v20
	v_cndmask_b32_e64 v20, v20, v22, s2
	global_store_b32 v[18:19], v20, off
	s_wait_xcnt 0x0
	s_or_b32 exec_lo, exec_lo, s3
	s_and_saveexec_b32 s2, vcc_lo
	s_cbranch_execz .LBB300_3
.LBB300_19:                             ;   in Loop: Header=BB300_4 Depth=1
	s_wait_loadcnt 0x0
	v_mul_f32_e32 v18, 0x4b800000, v21
	v_cmp_gt_f32_e32 vcc_lo, 0x800000, v21
	s_delay_alu instid0(VALU_DEP_2) | instskip(NEXT) | instid1(VALU_DEP_1)
	v_cndmask_b32_e32 v18, v21, v18, vcc_lo
	v_rsq_f32_e32 v18, v18
	v_nop
	s_delay_alu instid0(TRANS32_DEP_1) | instskip(NEXT) | instid1(VALU_DEP_1)
	v_mul_f32_e32 v19, 0x45800000, v18
	v_cndmask_b32_e32 v18, v18, v19, vcc_lo
	global_store_b32 v[16:17], v18, off
	s_branch .LBB300_3
.LBB300_20:
	s_cbranch_execz .LBB300_22
	s_branch .LBB300_25
.LBB300_21:
.LBB300_22:
	v_min_i64 v[2:3], 0x10000, s[10:11]
	v_dual_mov_b32 v5, 0 :: v_dual_lshlrev_b32 v4, 2, v0
	s_mov_b32 s2, exec_lo
	s_delay_alu instid0(VALU_DEP_1)
	v_cmpx_lt_i64_e64 v[4:5], v[2:3]
	s_cbranch_execz .LBB300_25
; %bb.23:
	s_load_b32 s2, s[0:1], 0xd3c
	v_dual_mov_b32 v1, v5 :: v_dual_lshlrev_b32 v4, 4, v0
	s_wait_xcnt 0x0
	s_add_nc_u64 s[0:1], s[6:7], s[8:9]
	s_mov_b32 s5, 0
	s_mov_b32 s6, 0x45800000
	v_add_nc_u64_e32 v[6:7], s[0:1], v[4:5]
	s_mov_b32 s9, s5
	s_mov_b32 s3, s5
	s_delay_alu instid0(VALU_DEP_1) | instskip(SKIP_2) | instid1(SALU_CYCLE_1)
	v_add_nc_u64_e32 v[4:5], 8, v[6:7]
	s_wait_kmcnt 0x0
	s_and_b32 s4, s2, 0xffff
	s_lshl_b32 s8, s4, 4
.LBB300_24:                             ; =>This Inner Loop Header: Depth=1
	global_load_b128 v[6:9], v[4:5], off offset:-8
	v_add_nc_u64_e32 v[0:1], s[4:5], v[0:1]
	s_delay_alu instid0(VALU_DEP_1)
	v_lshlrev_b64_e32 v[14:15], 2, v[0:1]
	s_wait_loadcnt 0x0
	v_dual_mul_f32 v10, 0x4b800000, v6 :: v_dual_mul_f32 v11, 0x4b800000, v7
	v_dual_mul_f32 v12, 0x4b800000, v8 :: v_dual_mul_f32 v13, 0x4b800000, v9
	v_cmp_gt_f32_e32 vcc_lo, 0x800000, v6
	v_cmp_gt_f32_e64 s0, 0x800000, v7
	v_cmp_gt_f32_e64 s1, 0x800000, v8
	;; [unrolled: 1-line block ×3, first 2 shown]
	s_delay_alu instid0(VALU_DEP_3) | instskip(NEXT) | instid1(VALU_DEP_2)
	v_dual_cndmask_b32 v6, v6, v10, vcc_lo :: v_dual_cndmask_b32 v7, v7, v11, s0
	v_dual_cndmask_b32 v8, v8, v12, s1 :: v_dual_cndmask_b32 v9, v9, v13, s2
	s_delay_alu instid0(VALU_DEP_2) | instskip(NEXT) | instid1(VALU_DEP_2)
	v_rsq_f32_e32 v6, v6
	v_rsq_f32_e32 v7, v7
	s_delay_alu instid0(VALU_DEP_1) | instskip(NEXT) | instid1(VALU_DEP_1)
	v_rsq_f32_e32 v8, v8
	v_rsq_f32_e32 v9, v9
	s_delay_alu instid0(TRANS32_DEP_3) | instskip(NEXT) | instid1(TRANS32_DEP_1)
	v_pk_mul_f32 v[10:11], v[6:7], s[6:7] op_sel_hi:[1,0]
	v_pk_mul_f32 v[12:13], v[8:9], s[6:7] op_sel_hi:[1,0]
	s_delay_alu instid0(VALU_DEP_2) | instskip(NEXT) | instid1(VALU_DEP_2)
	v_dual_cndmask_b32 v7, v7, v11, s0 :: v_dual_cndmask_b32 v6, v6, v10, vcc_lo
	v_dual_cndmask_b32 v9, v9, v13, s2 :: v_dual_cndmask_b32 v8, v8, v12, s1
	v_cmp_ge_i64_e32 vcc_lo, v[14:15], v[2:3]
	global_store_b128 v[4:5], v[6:9], off offset:-8
	s_wait_xcnt 0x0
	v_add_nc_u64_e32 v[4:5], s[8:9], v[4:5]
	s_or_b32 s3, vcc_lo, s3
	s_delay_alu instid0(SALU_CYCLE_1)
	s_and_not1_b32 exec_lo, exec_lo, s3
	s_cbranch_execnz .LBB300_24
.LBB300_25:
	s_endpgm
	.section	.rodata,"a",@progbits
	.p2align	6, 0x0
	.amdhsa_kernel _ZN2at6native12_GLOBAL__N_125multi_tensor_apply_kernelINS1_18TensorListMetadataILi1EEENS1_14UnaryOpFunctorIfLi1ELi1ELi0EEEJNS0_5RsqrtIfEEEEEvT_T0_DpT1_
		.amdhsa_group_segment_fixed_size 0
		.amdhsa_private_segment_fixed_size 0
		.amdhsa_kernarg_size 3632
		.amdhsa_user_sgpr_count 2
		.amdhsa_user_sgpr_dispatch_ptr 0
		.amdhsa_user_sgpr_queue_ptr 0
		.amdhsa_user_sgpr_kernarg_segment_ptr 1
		.amdhsa_user_sgpr_dispatch_id 0
		.amdhsa_user_sgpr_kernarg_preload_length 0
		.amdhsa_user_sgpr_kernarg_preload_offset 0
		.amdhsa_user_sgpr_private_segment_size 0
		.amdhsa_wavefront_size32 1
		.amdhsa_uses_dynamic_stack 0
		.amdhsa_enable_private_segment 0
		.amdhsa_system_sgpr_workgroup_id_x 1
		.amdhsa_system_sgpr_workgroup_id_y 0
		.amdhsa_system_sgpr_workgroup_id_z 0
		.amdhsa_system_sgpr_workgroup_info 0
		.amdhsa_system_vgpr_workitem_id 0
		.amdhsa_next_free_vgpr 25
		.amdhsa_next_free_sgpr 22
		.amdhsa_named_barrier_count 0
		.amdhsa_reserve_vcc 1
		.amdhsa_float_round_mode_32 0
		.amdhsa_float_round_mode_16_64 0
		.amdhsa_float_denorm_mode_32 3
		.amdhsa_float_denorm_mode_16_64 3
		.amdhsa_fp16_overflow 0
		.amdhsa_memory_ordered 1
		.amdhsa_forward_progress 1
		.amdhsa_inst_pref_size 11
		.amdhsa_round_robin_scheduling 0
		.amdhsa_exception_fp_ieee_invalid_op 0
		.amdhsa_exception_fp_denorm_src 0
		.amdhsa_exception_fp_ieee_div_zero 0
		.amdhsa_exception_fp_ieee_overflow 0
		.amdhsa_exception_fp_ieee_underflow 0
		.amdhsa_exception_fp_ieee_inexact 0
		.amdhsa_exception_int_div_zero 0
	.end_amdhsa_kernel
	.section	.text._ZN2at6native12_GLOBAL__N_125multi_tensor_apply_kernelINS1_18TensorListMetadataILi1EEENS1_14UnaryOpFunctorIfLi1ELi1ELi0EEEJNS0_5RsqrtIfEEEEEvT_T0_DpT1_,"axG",@progbits,_ZN2at6native12_GLOBAL__N_125multi_tensor_apply_kernelINS1_18TensorListMetadataILi1EEENS1_14UnaryOpFunctorIfLi1ELi1ELi0EEEJNS0_5RsqrtIfEEEEEvT_T0_DpT1_,comdat
.Lfunc_end300:
	.size	_ZN2at6native12_GLOBAL__N_125multi_tensor_apply_kernelINS1_18TensorListMetadataILi1EEENS1_14UnaryOpFunctorIfLi1ELi1ELi0EEEJNS0_5RsqrtIfEEEEEvT_T0_DpT1_, .Lfunc_end300-_ZN2at6native12_GLOBAL__N_125multi_tensor_apply_kernelINS1_18TensorListMetadataILi1EEENS1_14UnaryOpFunctorIfLi1ELi1ELi0EEEJNS0_5RsqrtIfEEEEEvT_T0_DpT1_
                                        ; -- End function
	.set _ZN2at6native12_GLOBAL__N_125multi_tensor_apply_kernelINS1_18TensorListMetadataILi1EEENS1_14UnaryOpFunctorIfLi1ELi1ELi0EEEJNS0_5RsqrtIfEEEEEvT_T0_DpT1_.num_vgpr, 25
	.set _ZN2at6native12_GLOBAL__N_125multi_tensor_apply_kernelINS1_18TensorListMetadataILi1EEENS1_14UnaryOpFunctorIfLi1ELi1ELi0EEEJNS0_5RsqrtIfEEEEEvT_T0_DpT1_.num_agpr, 0
	.set _ZN2at6native12_GLOBAL__N_125multi_tensor_apply_kernelINS1_18TensorListMetadataILi1EEENS1_14UnaryOpFunctorIfLi1ELi1ELi0EEEJNS0_5RsqrtIfEEEEEvT_T0_DpT1_.numbered_sgpr, 22
	.set _ZN2at6native12_GLOBAL__N_125multi_tensor_apply_kernelINS1_18TensorListMetadataILi1EEENS1_14UnaryOpFunctorIfLi1ELi1ELi0EEEJNS0_5RsqrtIfEEEEEvT_T0_DpT1_.num_named_barrier, 0
	.set _ZN2at6native12_GLOBAL__N_125multi_tensor_apply_kernelINS1_18TensorListMetadataILi1EEENS1_14UnaryOpFunctorIfLi1ELi1ELi0EEEJNS0_5RsqrtIfEEEEEvT_T0_DpT1_.private_seg_size, 0
	.set _ZN2at6native12_GLOBAL__N_125multi_tensor_apply_kernelINS1_18TensorListMetadataILi1EEENS1_14UnaryOpFunctorIfLi1ELi1ELi0EEEJNS0_5RsqrtIfEEEEEvT_T0_DpT1_.uses_vcc, 1
	.set _ZN2at6native12_GLOBAL__N_125multi_tensor_apply_kernelINS1_18TensorListMetadataILi1EEENS1_14UnaryOpFunctorIfLi1ELi1ELi0EEEJNS0_5RsqrtIfEEEEEvT_T0_DpT1_.uses_flat_scratch, 0
	.set _ZN2at6native12_GLOBAL__N_125multi_tensor_apply_kernelINS1_18TensorListMetadataILi1EEENS1_14UnaryOpFunctorIfLi1ELi1ELi0EEEJNS0_5RsqrtIfEEEEEvT_T0_DpT1_.has_dyn_sized_stack, 0
	.set _ZN2at6native12_GLOBAL__N_125multi_tensor_apply_kernelINS1_18TensorListMetadataILi1EEENS1_14UnaryOpFunctorIfLi1ELi1ELi0EEEJNS0_5RsqrtIfEEEEEvT_T0_DpT1_.has_recursion, 0
	.set _ZN2at6native12_GLOBAL__N_125multi_tensor_apply_kernelINS1_18TensorListMetadataILi1EEENS1_14UnaryOpFunctorIfLi1ELi1ELi0EEEJNS0_5RsqrtIfEEEEEvT_T0_DpT1_.has_indirect_call, 0
	.section	.AMDGPU.csdata,"",@progbits
; Kernel info:
; codeLenInByte = 1300
; TotalNumSgprs: 24
; NumVgprs: 25
; ScratchSize: 0
; MemoryBound: 0
; FloatMode: 240
; IeeeMode: 1
; LDSByteSize: 0 bytes/workgroup (compile time only)
; SGPRBlocks: 0
; VGPRBlocks: 1
; NumSGPRsForWavesPerEU: 24
; NumVGPRsForWavesPerEU: 25
; NamedBarCnt: 0
; Occupancy: 16
; WaveLimiterHint : 0
; COMPUTE_PGM_RSRC2:SCRATCH_EN: 0
; COMPUTE_PGM_RSRC2:USER_SGPR: 2
; COMPUTE_PGM_RSRC2:TRAP_HANDLER: 0
; COMPUTE_PGM_RSRC2:TGID_X_EN: 1
; COMPUTE_PGM_RSRC2:TGID_Y_EN: 0
; COMPUTE_PGM_RSRC2:TGID_Z_EN: 0
; COMPUTE_PGM_RSRC2:TIDIG_COMP_CNT: 0
	.section	.text._ZN2at6native12_GLOBAL__N_125multi_tensor_apply_kernelINS1_18TensorListMetadataILi1EEENS1_14UnaryOpFunctorIN3c107complexIdEELi1ELi1ELi0EEEJNS0_5RsqrtIS8_EEEEEvT_T0_DpT1_,"axG",@progbits,_ZN2at6native12_GLOBAL__N_125multi_tensor_apply_kernelINS1_18TensorListMetadataILi1EEENS1_14UnaryOpFunctorIN3c107complexIdEELi1ELi1ELi0EEEJNS0_5RsqrtIS8_EEEEEvT_T0_DpT1_,comdat
	.globl	_ZN2at6native12_GLOBAL__N_125multi_tensor_apply_kernelINS1_18TensorListMetadataILi1EEENS1_14UnaryOpFunctorIN3c107complexIdEELi1ELi1ELi0EEEJNS0_5RsqrtIS8_EEEEEvT_T0_DpT1_ ; -- Begin function _ZN2at6native12_GLOBAL__N_125multi_tensor_apply_kernelINS1_18TensorListMetadataILi1EEENS1_14UnaryOpFunctorIN3c107complexIdEELi1ELi1ELi0EEEJNS0_5RsqrtIS8_EEEEEvT_T0_DpT1_
	.p2align	8
	.type	_ZN2at6native12_GLOBAL__N_125multi_tensor_apply_kernelINS1_18TensorListMetadataILi1EEENS1_14UnaryOpFunctorIN3c107complexIdEELi1ELi1ELi0EEEJNS0_5RsqrtIS8_EEEEEvT_T0_DpT1_,@function
_ZN2at6native12_GLOBAL__N_125multi_tensor_apply_kernelINS1_18TensorListMetadataILi1EEENS1_14UnaryOpFunctorIN3c107complexIdEELi1ELi1ELi0EEEJNS0_5RsqrtIS8_EEEEEvT_T0_DpT1_: ; @_ZN2at6native12_GLOBAL__N_125multi_tensor_apply_kernelINS1_18TensorListMetadataILi1EEENS1_14UnaryOpFunctorIN3c107complexIdEELi1ELi1ELi0EEEJNS0_5RsqrtIS8_EEEEEvT_T0_DpT1_
; %bb.0:
	s_bfe_u32 s2, ttmp6, 0x4000c
	s_and_b32 s3, ttmp6, 15
	s_add_co_i32 s2, s2, 1
	s_getreg_b32 s4, hwreg(HW_REG_IB_STS2, 6, 4)
	s_mul_i32 s2, ttmp9, s2
	s_delay_alu instid0(SALU_CYCLE_1)
	s_add_co_i32 s3, s3, s2
	s_cmp_eq_u32 s4, 0
	s_cselect_b32 s2, ttmp9, s3
	s_mov_b32 s3, 0
	s_load_u8 s10, s[0:1], s2 offset:0x6e0
	s_add_nc_u64 s[4:5], s[0:1], s[2:3]
	s_mul_u64 s[6:7], s[2:3], 3
	s_delay_alu instid0(SALU_CYCLE_1)
	s_add_nc_u64 s[4:5], s[4:5], s[6:7]
	s_load_b32 s6, s[4:5], 0x820
	s_wait_kmcnt 0x0
	s_clause 0x1
	s_load_b64 s[8:9], s[0:1], s10 offset:0x0 scale_offset
	s_load_b64 s[12:13], s[0:1], s10 offset:0x370 scale_offset
	s_ashr_i32 s7, s6, 31
	s_wait_xcnt 0x0
	s_lshl_b64 s[10:11], s[6:7], 20
	s_wait_kmcnt 0x0
	s_and_b32 s2, s12, 3
	s_add_nc_u64 s[14:15], s[8:9], s[10:11]
	s_delay_alu instid0(SALU_CYCLE_1) | instskip(NEXT) | instid1(SALU_CYCLE_1)
	s_and_b64 s[4:5], s[14:15], 63
	s_or_b64 s[2:3], s[4:5], s[2:3]
	s_lshl_b64 s[4:5], s[6:7], 16
	s_cmp_eq_u64 s[2:3], 0
	s_sub_nc_u64 s[12:13], s[12:13], s[4:5]
	s_cbranch_scc1 .LBB301_181
; %bb.1:
	v_cmp_lt_i64_e64 s2, s[12:13], 1
	s_and_b32 vcc_lo, exec_lo, s2
	s_cbranch_vccnz .LBB301_180
; %bb.2:
	s_load_b32 s2, s[0:1], 0xd3c
	v_min_i64 v[24:25], 0x10000, s[12:13]
	v_min_u64 v[26:27], 0x10000, s[12:13]
	v_dual_mov_b32 v1, 0 :: v_dual_lshlrev_b32 v28, 4, v0
	s_mov_b32 s3, 0
	s_mov_b64 s[16:17], 0x7fda827999fcef32
	s_mov_b32 s5, s3
	s_delay_alu instid0(VALU_DEP_1)
	v_dual_mov_b32 v29, v1 :: v_dual_mov_b32 v37, v1
	s_mov_b32 s7, s3
	s_mov_b32 s19, s3
	;; [unrolled: 1-line block ×3, first 2 shown]
	s_mov_b64 s[22:23], 0
	s_wait_kmcnt 0x0
	s_and_b32 s2, s2, 0xffff
	s_delay_alu instid0(SALU_CYCLE_1)
	v_mad_nc_u64_u32 v[30:31], s2, 48, v[28:29]
	s_lshl_b32 s4, s2, 1
	s_mul_i32 s6, s2, 3
	s_lshl_b32 s18, s2, 2
	s_lshl_b32 s20, s2, 6
	v_add_nc_u64_e32 v[32:33], s[2:3], v[0:1]
	s_lshl_b32 s2, s2, 5
	v_add_nc_u64_e32 v[38:39], s[6:7], v[0:1]
	v_add_nc_u64_e32 v[34:35], s[2:3], v[28:29]
	;; [unrolled: 1-line block ×3, first 2 shown]
	s_delay_alu instid0(VALU_DEP_4) | instskip(NEXT) | instid1(VALU_DEP_3)
	v_dual_lshlrev_b32 v36, 4, v32 :: v_dual_bitop2_b32 v30, 8, v30 bitop3:0x54
	v_or_b32_e32 v34, 8, v34
	s_branch .LBB301_4
.LBB301_3:                              ;   in Loop: Header=BB301_4 Depth=1
	s_wait_xcnt 0x0
	s_or_b32 exec_lo, exec_lo, s2
	s_add_nc_u64 s[22:23], s[22:23], s[18:19]
	s_add_nc_u64 s[14:15], s[14:15], s[20:21]
	v_cmp_ge_i64_e32 vcc_lo, s[22:23], v[24:25]
	s_cbranch_vccnz .LBB301_180
.LBB301_4:                              ; =>This Inner Loop Header: Depth=1
	v_add_nc_u64_e32 v[2:3], s[22:23], v[0:1]
	v_mov_b64_e32 v[18:19], 0
	v_add_nc_u64_e32 v[42:43], s[14:15], v[28:29]
	v_mov_b64_e32 v[22:23], 0
	v_mov_b64_e32 v[20:21], 0
	v_cmp_lt_u64_e64 s2, v[2:3], v[26:27]
	s_and_saveexec_b32 s3, s2
	s_cbranch_execz .LBB301_6
; %bb.5:                                ;   in Loop: Header=BB301_4 Depth=1
	global_load_b128 v[20:23], v[42:43], off
.LBB301_6:                              ;   in Loop: Header=BB301_4 Depth=1
	s_wait_xcnt 0x0
	s_or_b32 exec_lo, exec_lo, s3
	v_add_nc_u64_e32 v[2:3], s[22:23], v[32:33]
	v_add_nc_u64_e32 v[44:45], s[14:15], v[36:37]
	v_mov_b64_e32 v[16:17], 0
	s_delay_alu instid0(VALU_DEP_3)
	v_cmp_lt_u64_e64 s3, v[2:3], v[26:27]
	s_and_saveexec_b32 s4, s3
	s_cbranch_execz .LBB301_8
; %bb.7:                                ;   in Loop: Header=BB301_4 Depth=1
	global_load_b128 v[16:19], v[44:45], off
.LBB301_8:                              ;   in Loop: Header=BB301_4 Depth=1
	s_wait_xcnt 0x0
	s_or_b32 exec_lo, exec_lo, s4
	v_add_nc_u64_e32 v[2:3], s[22:23], v[40:41]
	v_mov_b64_e32 v[4:5], 0
	v_add_nc_u64_e32 v[46:47], s[14:15], v[34:35]
	v_mov_b64_e32 v[12:13], 0
	v_mov_b64_e32 v[10:11], 0
	v_cmp_lt_u64_e64 s4, v[2:3], v[26:27]
	s_and_saveexec_b32 s5, s4
	s_cbranch_execz .LBB301_10
; %bb.9:                                ;   in Loop: Header=BB301_4 Depth=1
	global_load_b128 v[10:13], v[46:47], off offset:-8
.LBB301_10:                             ;   in Loop: Header=BB301_4 Depth=1
	s_wait_xcnt 0x0
	s_or_b32 exec_lo, exec_lo, s5
	v_add_nc_u64_e32 v[2:3], s[22:23], v[38:39]
	v_add_nc_u64_e32 v[48:49], s[14:15], v[30:31]
	s_delay_alu instid0(VALU_DEP_2)
	v_cmp_lt_u64_e64 s5, v[2:3], v[26:27]
	v_mov_b64_e32 v[2:3], 0
	s_and_saveexec_b32 s6, s5
	s_cbranch_execz .LBB301_12
; %bb.11:                               ;   in Loop: Header=BB301_4 Depth=1
	global_load_b128 v[2:5], v[48:49], off offset:-8
.LBB301_12:                             ;   in Loop: Header=BB301_4 Depth=1
	s_wait_xcnt 0x0
	s_or_b32 exec_lo, exec_lo, s6
	s_wait_loadcnt 0x0
	v_cmp_neq_f64_e32 vcc_lo, 0, v[20:21]
	v_cmp_neq_f64_e64 s6, 0, v[22:23]
	v_mov_b64_e32 v[14:15], 0
	s_or_b32 s6, vcc_lo, s6
	s_delay_alu instid0(SALU_CYCLE_1)
	s_and_saveexec_b32 s24, s6
	s_cbranch_execz .LBB301_38
; %bb.13:                               ;   in Loop: Header=BB301_4 Depth=1
	v_mov_b64_e32 v[14:15], 0x7ff0000000000000
	s_mov_b32 s25, exec_lo
	v_cmpx_neq_f64_e64 0x7ff00000, |v[22:23]|
	s_cbranch_execz .LBB301_37
; %bb.14:                               ;   in Loop: Header=BB301_4 Depth=1
                                        ; implicit-def: $vgpr14_vgpr15
	s_mov_b32 s6, exec_lo
	v_cmpx_o_f64_e32 v[20:21], v[20:21]
	s_xor_b32 s26, exec_lo, s6
	s_cbranch_execz .LBB301_34
; %bb.15:                               ;   in Loop: Header=BB301_4 Depth=1
                                        ; implicit-def: $vgpr14_vgpr15
	s_mov_b32 s7, exec_lo
	v_cmpx_neq_f64_e64 0x7ff00000, |v[20:21]|
	s_xor_b32 s27, exec_lo, s7
	s_cbranch_execz .LBB301_28
; %bb.16:                               ;   in Loop: Header=BB301_4 Depth=1
	v_max_num_f64_e64 v[6:7], |v[20:21]|, |v[20:21]|
	v_max_num_f64_e64 v[8:9], |v[22:23]|, |v[22:23]|
                                        ; implicit-def: $sgpr28
	s_delay_alu instid0(VALU_DEP_1) | instskip(NEXT) | instid1(VALU_DEP_1)
	v_max_num_f64_e32 v[6:7], v[8:9], v[6:7]
	v_cmp_nle_f64_e64 s6, s[16:17], v[6:7]
	s_and_saveexec_b32 s7, s6
	s_delay_alu instid0(SALU_CYCLE_1)
	s_xor_b32 s7, exec_lo, s7
	s_cbranch_execz .LBB301_20
; %bb.17:                               ;   in Loop: Header=BB301_4 Depth=1
	v_cmp_ge_f64_e64 s28, 0x200000, |v[20:21]|
	v_cmp_ge_f64_e64 s29, 0x200000, |v[22:23]|
	s_and_b32 s30, s29, s28
	s_mov_b32 s28, 0
	s_and_saveexec_b32 s29, s30
	s_cbranch_execz .LBB301_19
; %bb.18:                               ;   in Loop: Header=BB301_4 Depth=1
	v_mul_f64_e32 v[20:21], 4.0, v[20:21]
	v_mul_f64_e32 v[22:23], 4.0, v[22:23]
	s_mov_b32 s28, exec_lo
.LBB301_19:                             ;   in Loop: Header=BB301_4 Depth=1
	s_or_b32 exec_lo, exec_lo, s29
.LBB301_20:                             ;   in Loop: Header=BB301_4 Depth=1
	s_and_not1_saveexec_b32 s7, s7
	s_cbranch_execz .LBB301_22
; %bb.21:                               ;   in Loop: Header=BB301_4 Depth=1
	s_delay_alu instid0(VALU_DEP_2) | instskip(NEXT) | instid1(VALU_DEP_2)
	v_ldexp_f64 v[20:21], v[20:21], -2
	v_ldexp_f64 v[22:23], v[22:23], -2
	s_and_not1_b32 s28, s28, exec_lo
.LBB301_22:                             ;   in Loop: Header=BB301_4 Depth=1
	s_or_b32 exec_lo, exec_lo, s7
	s_delay_alu instid0(VALU_DEP_1) | instskip(NEXT) | instid1(VALU_DEP_3)
	v_max_num_f64_e64 v[6:7], |v[22:23]|, |v[22:23]|
	v_max_num_f64_e64 v[8:9], |v[20:21]|, |v[20:21]|
	v_cmp_class_f64_e64 s29, v[20:21], 0x204
	v_cmp_class_f64_e64 s30, v[22:23], 0x204
	v_cmp_le_f64_e64 s7, 0, v[20:21]
	s_delay_alu instid0(VALU_DEP_4) | instskip(SKIP_1) | instid1(VALU_DEP_1)
	v_max_num_f64_e32 v[6:7], v[8:9], v[6:7]
	s_or_b32 s29, s30, s29
	v_frexp_exp_i32_f64_e32 v52, v[6:7]
	s_delay_alu instid0(VALU_DEP_1) | instskip(NEXT) | instid1(VALU_DEP_1)
	v_sub_nc_u32_e32 v8, 0, v52
	v_ldexp_f64 v[6:7], |v[22:23]|, v8
	v_ldexp_f64 v[8:9], |v[20:21]|, v8
	s_delay_alu instid0(VALU_DEP_2) | instskip(NEXT) | instid1(VALU_DEP_1)
	v_mul_f64_e32 v[6:7], v[6:7], v[6:7]
	v_fmac_f64_e32 v[6:7], v[8:9], v[8:9]
	s_delay_alu instid0(VALU_DEP_1) | instskip(SKIP_1) | instid1(TRANS32_DEP_1)
	v_rsq_f64_e32 v[8:9], v[6:7]
	v_cmp_eq_f64_e32 vcc_lo, 0, v[6:7]
	v_mul_f64_e32 v[14:15], v[6:7], v[8:9]
	v_mul_f64_e32 v[8:9], 0.5, v[8:9]
	s_delay_alu instid0(VALU_DEP_1) | instskip(NEXT) | instid1(VALU_DEP_1)
	v_fma_f64 v[50:51], -v[8:9], v[14:15], 0.5
	v_fmac_f64_e32 v[14:15], v[14:15], v[50:51]
	v_fmac_f64_e32 v[8:9], v[8:9], v[50:51]
	s_delay_alu instid0(VALU_DEP_2) | instskip(NEXT) | instid1(VALU_DEP_1)
	v_fma_f64 v[50:51], -v[14:15], v[14:15], v[6:7]
	v_fmac_f64_e32 v[14:15], v[50:51], v[8:9]
	s_delay_alu instid0(VALU_DEP_1) | instskip(SKIP_1) | instid1(VALU_DEP_2)
	v_dual_cndmask_b32 v7, v15, v7 :: v_dual_cndmask_b32 v6, v14, v6
	v_cmp_o_f64_e32 vcc_lo, v[22:23], v[22:23]
                                        ; implicit-def: $vgpr14_vgpr15
	v_ldexp_f64 v[6:7], v[6:7], v52
	s_delay_alu instid0(VALU_DEP_1) | instskip(NEXT) | instid1(VALU_DEP_2)
	v_cndmask_b32_e32 v6, 0, v6, vcc_lo
	v_cndmask_b32_e32 v7, 0x7ff80000, v7, vcc_lo
	s_delay_alu instid0(VALU_DEP_2) | instskip(NEXT) | instid1(VALU_DEP_2)
	v_cndmask_b32_e64 v6, v6, 0, s29
	v_cndmask_b32_e64 v7, v7, 0x7ff00000, s29
	s_and_saveexec_b32 s29, s7
	s_delay_alu instid0(SALU_CYCLE_1)
	s_xor_b32 s7, exec_lo, s29
	s_cbranch_execnz .LBB301_160
; %bb.23:                               ;   in Loop: Header=BB301_4 Depth=1
	s_and_not1_saveexec_b32 s7, s7
	s_cbranch_execnz .LBB301_161
.LBB301_24:                             ;   in Loop: Header=BB301_4 Depth=1
	s_or_b32 exec_lo, exec_lo, s7
	s_and_saveexec_b32 s7, s6
	s_delay_alu instid0(SALU_CYCLE_1)
	s_xor_b32 s6, exec_lo, s7
	s_cbranch_execnz .LBB301_162
.LBB301_25:                             ;   in Loop: Header=BB301_4 Depth=1
	s_and_not1_saveexec_b32 s6, s6
	s_cbranch_execz .LBB301_27
.LBB301_26:                             ;   in Loop: Header=BB301_4 Depth=1
	s_delay_alu instid0(VALU_DEP_2) | instskip(NEXT) | instid1(VALU_DEP_2)
	v_add_f64_e32 v[14:15], v[14:15], v[14:15]
	v_add_f64_e32 v[22:23], v[22:23], v[22:23]
.LBB301_27:                             ;   in Loop: Header=BB301_4 Depth=1
	s_or_b32 exec_lo, exec_lo, s6
.LBB301_28:                             ;   in Loop: Header=BB301_4 Depth=1
	s_and_not1_saveexec_b32 s6, s27
	s_cbranch_execz .LBB301_159
; %bb.29:                               ;   in Loop: Header=BB301_4 Depth=1
	s_delay_alu instid0(VALU_DEP_1) | instskip(SKIP_1) | instid1(VALU_DEP_1)
	v_add_f64_e64 v[6:7], v[22:23], -v[22:23]
	s_mov_b32 s7, exec_lo
	v_and_b32_e32 v15, 0x7fffffff, v7
	s_delay_alu instid0(VALU_DEP_2)
	v_mov_b32_e32 v14, v6
	v_cmpx_lt_i64_e32 -1, v[20:21]
	s_xor_b32 s7, exec_lo, s7
; %bb.30:                               ;   in Loop: Header=BB301_4 Depth=1
	v_bfi_b32 v7, 0x7fffffff, v7, v23
	v_mov_b64_e32 v[14:15], v[20:21]
	s_delay_alu instid0(VALU_DEP_2)
	v_mov_b64_e32 v[22:23], v[6:7]
; %bb.31:                               ;   in Loop: Header=BB301_4 Depth=1
	s_and_not1_saveexec_b32 s7, s7
; %bb.32:                               ;   in Loop: Header=BB301_4 Depth=1
	s_delay_alu instid0(VALU_DEP_1) | instskip(NEXT) | instid1(VALU_DEP_1)
	v_bfi_b32 v21, 0x7fffffff, v21, v23
	v_mov_b64_e32 v[22:23], v[20:21]
; %bb.33:                               ;   in Loop: Header=BB301_4 Depth=1
	s_or_b32 exec_lo, exec_lo, s7
	s_delay_alu instid0(SALU_CYCLE_1)
	s_or_b32 exec_lo, exec_lo, s6
.LBB301_34:                             ;   in Loop: Header=BB301_4 Depth=1
	s_and_not1_saveexec_b32 s6, s26
	s_cbranch_execz .LBB301_36
.LBB301_35:                             ;   in Loop: Header=BB301_4 Depth=1
	s_delay_alu instid0(VALU_DEP_1) | instskip(NEXT) | instid1(VALU_DEP_1)
	v_add_f64_e64 v[6:7], v[22:23], -v[22:23]
	v_div_scale_f64 v[8:9], vcc_lo, v[6:7], v[6:7], v[6:7]
	s_delay_alu instid0(VALU_DEP_1) | instskip(SKIP_1) | instid1(TRANS32_DEP_1)
	v_rcp_f64_e32 v[14:15], v[8:9]
	v_nop
	v_fma_f64 v[22:23], -v[8:9], v[14:15], 1.0
	s_delay_alu instid0(VALU_DEP_1) | instskip(NEXT) | instid1(VALU_DEP_1)
	v_fmac_f64_e32 v[14:15], v[14:15], v[22:23]
	v_fma_f64 v[22:23], -v[8:9], v[14:15], 1.0
	s_delay_alu instid0(VALU_DEP_1) | instskip(NEXT) | instid1(VALU_DEP_1)
	v_fmac_f64_e32 v[14:15], v[14:15], v[22:23]
	v_mul_f64_e32 v[22:23], v[8:9], v[14:15]
	s_delay_alu instid0(VALU_DEP_1) | instskip(NEXT) | instid1(VALU_DEP_1)
	v_fma_f64 v[8:9], -v[8:9], v[22:23], v[8:9]
	v_div_fmas_f64 v[8:9], v[8:9], v[14:15], v[22:23]
	v_mov_b64_e32 v[14:15], v[20:21]
	s_delay_alu instid0(VALU_DEP_2)
	v_div_fixup_f64 v[22:23], v[8:9], v[6:7], v[6:7]
.LBB301_36:                             ;   in Loop: Header=BB301_4 Depth=1
	s_or_b32 exec_lo, exec_lo, s6
.LBB301_37:                             ;   in Loop: Header=BB301_4 Depth=1
	s_delay_alu instid0(SALU_CYCLE_1)
	s_or_b32 exec_lo, exec_lo, s25
.LBB301_38:                             ;   in Loop: Header=BB301_4 Depth=1
	s_delay_alu instid0(SALU_CYCLE_1) | instskip(NEXT) | instid1(VALU_DEP_1)
	s_or_b32 exec_lo, exec_lo, s24
	v_cmp_gt_f64_e32 vcc_lo, 0, v[14:15]
	v_xor_b32_e32 v6, 0x80000000, v15
	v_mov_b32_e32 v20, v14
	s_delay_alu instid0(VALU_DEP_4) | instskip(SKIP_1) | instid1(VALU_DEP_3)
	v_xor_b32_e32 v7, 0x80000000, v23
	s_mov_b32 s6, exec_lo
	v_dual_mov_b32 v50, v22 :: v_dual_cndmask_b32 v21, v15, v6
	v_cmp_gt_f64_e32 vcc_lo, 0, v[22:23]
	s_delay_alu instid0(VALU_DEP_3) | instskip(NEXT) | instid1(VALU_DEP_1)
	v_cndmask_b32_e32 v51, v23, v7, vcc_lo
                                        ; implicit-def: $vgpr8_vgpr9
	v_cmpx_ge_f64_e32 v[20:21], v[50:51]
	s_xor_b32 s7, exec_lo, s6
	s_cbranch_execz .LBB301_44
; %bb.39:                               ;   in Loop: Header=BB301_4 Depth=1
	v_cmp_neq_f64_e32 vcc_lo, 0, v[14:15]
	v_cmp_neq_f64_e64 s6, 0, v[22:23]
                                        ; implicit-def: $vgpr8_vgpr9
	s_or_b32 s6, vcc_lo, s6
	s_delay_alu instid0(SALU_CYCLE_1) | instskip(NEXT) | instid1(SALU_CYCLE_1)
	s_and_saveexec_b32 s24, s6
	s_xor_b32 s6, exec_lo, s24
	s_cbranch_execz .LBB301_41
; %bb.40:                               ;   in Loop: Header=BB301_4 Depth=1
	v_div_scale_f64 v[6:7], null, v[14:15], v[14:15], v[22:23]
	v_div_scale_f64 v[50:51], vcc_lo, v[22:23], v[14:15], v[22:23]
	s_delay_alu instid0(VALU_DEP_2) | instskip(SKIP_1) | instid1(TRANS32_DEP_1)
	v_rcp_f64_e32 v[8:9], v[6:7]
	v_nop
	v_fma_f64 v[20:21], -v[6:7], v[8:9], 1.0
	s_delay_alu instid0(VALU_DEP_1) | instskip(NEXT) | instid1(VALU_DEP_1)
	v_fmac_f64_e32 v[8:9], v[8:9], v[20:21]
	v_fma_f64 v[20:21], -v[6:7], v[8:9], 1.0
	s_delay_alu instid0(VALU_DEP_1) | instskip(NEXT) | instid1(VALU_DEP_1)
	v_fmac_f64_e32 v[8:9], v[8:9], v[20:21]
	v_mul_f64_e32 v[20:21], v[50:51], v[8:9]
	s_delay_alu instid0(VALU_DEP_1) | instskip(NEXT) | instid1(VALU_DEP_1)
	v_fma_f64 v[6:7], -v[6:7], v[20:21], v[50:51]
	v_div_fmas_f64 v[6:7], v[6:7], v[8:9], v[20:21]
	s_delay_alu instid0(VALU_DEP_1) | instskip(NEXT) | instid1(VALU_DEP_1)
	v_div_fixup_f64 v[6:7], v[6:7], v[14:15], v[22:23]
	v_fmac_f64_e32 v[14:15], v[22:23], v[6:7]
	s_delay_alu instid0(VALU_DEP_1) | instskip(SKIP_1) | instid1(VALU_DEP_2)
	v_div_scale_f64 v[8:9], null, v[14:15], v[14:15], 1.0
	v_div_scale_f64 v[50:51], vcc_lo, 1.0, v[14:15], 1.0
	v_rcp_f64_e32 v[20:21], v[8:9]
	v_nop
	s_delay_alu instid0(TRANS32_DEP_1) | instskip(NEXT) | instid1(VALU_DEP_1)
	v_fma_f64 v[22:23], -v[8:9], v[20:21], 1.0
	v_fmac_f64_e32 v[20:21], v[20:21], v[22:23]
	s_delay_alu instid0(VALU_DEP_1) | instskip(NEXT) | instid1(VALU_DEP_1)
	v_fma_f64 v[22:23], -v[8:9], v[20:21], 1.0
	v_fmac_f64_e32 v[20:21], v[20:21], v[22:23]
	s_delay_alu instid0(VALU_DEP_1) | instskip(NEXT) | instid1(VALU_DEP_1)
	v_mul_f64_e32 v[22:23], v[50:51], v[20:21]
	v_fma_f64 v[8:9], -v[8:9], v[22:23], v[50:51]
                                        ; implicit-def: $vgpr50_vgpr51
	s_delay_alu instid0(VALU_DEP_1) | instskip(SKIP_1) | instid1(VALU_DEP_2)
	v_div_fmas_f64 v[8:9], v[8:9], v[20:21], v[22:23]
	v_fma_f64 v[20:21], v[6:7], 0, 1.0
	v_div_fixup_f64 v[8:9], v[8:9], v[14:15], 1.0
	v_add_f64_e64 v[14:15], -v[6:7], 0
	s_delay_alu instid0(VALU_DEP_2) | instskip(NEXT) | instid1(VALU_DEP_2)
	v_mul_f64_e32 v[6:7], v[20:21], v[8:9]
	v_mul_f64_e32 v[8:9], v[14:15], v[8:9]
                                        ; implicit-def: $vgpr20_vgpr21
.LBB301_41:                             ;   in Loop: Header=BB301_4 Depth=1
	s_and_not1_saveexec_b32 s24, s6
	s_cbranch_execz .LBB301_43
; %bb.42:                               ;   in Loop: Header=BB301_4 Depth=1
	v_div_scale_f64 v[6:7], null, v[20:21], v[20:21], 1.0
	v_div_scale_f64 v[8:9], null, v[50:51], v[50:51], 0
	v_div_scale_f64 v[56:57], vcc_lo, 1.0, v[20:21], 1.0
	s_delay_alu instid0(VALU_DEP_3) | instskip(NEXT) | instid1(VALU_DEP_2)
	v_rcp_f64_e32 v[14:15], v[6:7]
	v_rcp_f64_e32 v[22:23], v[8:9]
	s_delay_alu instid0(TRANS32_DEP_2) | instskip(NEXT) | instid1(TRANS32_DEP_1)
	v_fma_f64 v[52:53], -v[6:7], v[14:15], 1.0
	v_fma_f64 v[54:55], -v[8:9], v[22:23], 1.0
	s_delay_alu instid0(VALU_DEP_2) | instskip(NEXT) | instid1(VALU_DEP_2)
	v_fmac_f64_e32 v[14:15], v[14:15], v[52:53]
	v_fmac_f64_e32 v[22:23], v[22:23], v[54:55]
	s_delay_alu instid0(VALU_DEP_2) | instskip(NEXT) | instid1(VALU_DEP_2)
	v_fma_f64 v[52:53], -v[6:7], v[14:15], 1.0
	v_fma_f64 v[54:55], -v[8:9], v[22:23], 1.0
	s_delay_alu instid0(VALU_DEP_2) | instskip(SKIP_1) | instid1(VALU_DEP_3)
	v_fmac_f64_e32 v[14:15], v[14:15], v[52:53]
	v_div_scale_f64 v[52:53], s6, 0, v[50:51], 0
	v_fmac_f64_e32 v[22:23], v[22:23], v[54:55]
	s_delay_alu instid0(VALU_DEP_3) | instskip(NEXT) | instid1(VALU_DEP_2)
	v_mul_f64_e32 v[54:55], v[56:57], v[14:15]
	v_mul_f64_e32 v[58:59], v[52:53], v[22:23]
	s_delay_alu instid0(VALU_DEP_2) | instskip(NEXT) | instid1(VALU_DEP_2)
	v_fma_f64 v[6:7], -v[6:7], v[54:55], v[56:57]
	v_fma_f64 v[8:9], -v[8:9], v[58:59], v[52:53]
	s_delay_alu instid0(VALU_DEP_2) | instskip(SKIP_1) | instid1(VALU_DEP_2)
	v_div_fmas_f64 v[6:7], v[6:7], v[14:15], v[54:55]
	s_mov_b32 vcc_lo, s6
	v_div_fmas_f64 v[8:9], v[8:9], v[22:23], v[58:59]
	s_delay_alu instid0(VALU_DEP_2) | instskip(NEXT) | instid1(VALU_DEP_2)
	v_div_fixup_f64 v[6:7], v[6:7], v[20:21], 1.0
	v_div_fixup_f64 v[8:9], v[8:9], v[50:51], 0
.LBB301_43:                             ;   in Loop: Header=BB301_4 Depth=1
	s_or_b32 exec_lo, exec_lo, s24
                                        ; implicit-def: $vgpr22_vgpr23
                                        ; implicit-def: $vgpr14_vgpr15
.LBB301_44:                             ;   in Loop: Header=BB301_4 Depth=1
	s_and_not1_saveexec_b32 s6, s7
	s_cbranch_execz .LBB301_46
; %bb.45:                               ;   in Loop: Header=BB301_4 Depth=1
	v_div_scale_f64 v[6:7], null, v[22:23], v[22:23], v[14:15]
	v_div_scale_f64 v[50:51], vcc_lo, v[14:15], v[22:23], v[14:15]
	s_delay_alu instid0(VALU_DEP_2) | instskip(SKIP_1) | instid1(TRANS32_DEP_1)
	v_rcp_f64_e32 v[8:9], v[6:7]
	v_nop
	v_fma_f64 v[20:21], -v[6:7], v[8:9], 1.0
	s_delay_alu instid0(VALU_DEP_1) | instskip(NEXT) | instid1(VALU_DEP_1)
	v_fmac_f64_e32 v[8:9], v[8:9], v[20:21]
	v_fma_f64 v[20:21], -v[6:7], v[8:9], 1.0
	s_delay_alu instid0(VALU_DEP_1) | instskip(NEXT) | instid1(VALU_DEP_1)
	v_fmac_f64_e32 v[8:9], v[8:9], v[20:21]
	v_mul_f64_e32 v[20:21], v[50:51], v[8:9]
	s_delay_alu instid0(VALU_DEP_1) | instskip(NEXT) | instid1(VALU_DEP_1)
	v_fma_f64 v[6:7], -v[6:7], v[20:21], v[50:51]
	v_div_fmas_f64 v[6:7], v[6:7], v[8:9], v[20:21]
	s_delay_alu instid0(VALU_DEP_1) | instskip(NEXT) | instid1(VALU_DEP_1)
	v_div_fixup_f64 v[6:7], v[6:7], v[22:23], v[14:15]
	v_fmac_f64_e32 v[22:23], v[14:15], v[6:7]
	s_delay_alu instid0(VALU_DEP_1) | instskip(SKIP_1) | instid1(VALU_DEP_2)
	v_div_scale_f64 v[8:9], null, v[22:23], v[22:23], 1.0
	v_div_scale_f64 v[50:51], vcc_lo, 1.0, v[22:23], 1.0
	v_rcp_f64_e32 v[14:15], v[8:9]
	v_nop
	s_delay_alu instid0(TRANS32_DEP_1) | instskip(NEXT) | instid1(VALU_DEP_1)
	v_fma_f64 v[20:21], -v[8:9], v[14:15], 1.0
	v_fmac_f64_e32 v[14:15], v[14:15], v[20:21]
	s_delay_alu instid0(VALU_DEP_1) | instskip(NEXT) | instid1(VALU_DEP_1)
	v_fma_f64 v[20:21], -v[8:9], v[14:15], 1.0
	v_fmac_f64_e32 v[14:15], v[14:15], v[20:21]
	s_delay_alu instid0(VALU_DEP_1) | instskip(NEXT) | instid1(VALU_DEP_1)
	v_mul_f64_e32 v[20:21], v[50:51], v[14:15]
	v_fma_f64 v[8:9], -v[8:9], v[20:21], v[50:51]
	s_delay_alu instid0(VALU_DEP_1) | instskip(SKIP_2) | instid1(VALU_DEP_3)
	v_div_fmas_f64 v[8:9], v[8:9], v[14:15], v[20:21]
	v_add_f64_e32 v[14:15], 0, v[6:7]
	v_fma_f64 v[20:21], v[6:7], 0, -1.0
	v_div_fixup_f64 v[8:9], v[8:9], v[22:23], 1.0
	s_delay_alu instid0(VALU_DEP_1) | instskip(NEXT) | instid1(VALU_DEP_3)
	v_mul_f64_e32 v[6:7], v[14:15], v[8:9]
	v_mul_f64_e32 v[8:9], v[20:21], v[8:9]
.LBB301_46:                             ;   in Loop: Header=BB301_4 Depth=1
	s_or_b32 exec_lo, exec_lo, s6
	v_cmp_neq_f64_e32 vcc_lo, 0, v[16:17]
	v_cmp_neq_f64_e64 s6, 0, v[18:19]
	v_mov_b64_e32 v[20:21], 0
	s_or_b32 s6, vcc_lo, s6
	s_delay_alu instid0(SALU_CYCLE_1)
	s_and_saveexec_b32 s24, s6
	s_cbranch_execz .LBB301_73
; %bb.47:                               ;   in Loop: Header=BB301_4 Depth=1
	v_mov_b64_e32 v[20:21], 0x7ff0000000000000
	s_mov_b32 s25, exec_lo
	v_cmpx_neq_f64_e64 0x7ff00000, |v[18:19]|
	s_cbranch_execz .LBB301_72
; %bb.48:                               ;   in Loop: Header=BB301_4 Depth=1
                                        ; implicit-def: $vgpr20_vgpr21
	s_mov_b32 s6, exec_lo
	v_cmpx_o_f64_e32 v[16:17], v[16:17]
	s_xor_b32 s26, exec_lo, s6
	s_cbranch_execz .LBB301_69
; %bb.49:                               ;   in Loop: Header=BB301_4 Depth=1
                                        ; implicit-def: $vgpr20_vgpr21
	s_mov_b32 s7, exec_lo
	v_cmpx_neq_f64_e64 0x7ff00000, |v[16:17]|
	s_xor_b32 s27, exec_lo, s7
	s_cbranch_execz .LBB301_62
; %bb.50:                               ;   in Loop: Header=BB301_4 Depth=1
	v_max_num_f64_e64 v[14:15], |v[16:17]|, |v[16:17]|
	v_max_num_f64_e64 v[20:21], |v[18:19]|, |v[18:19]|
                                        ; implicit-def: $sgpr28
	s_delay_alu instid0(VALU_DEP_1) | instskip(NEXT) | instid1(VALU_DEP_1)
	v_max_num_f64_e32 v[14:15], v[20:21], v[14:15]
	v_cmp_nle_f64_e64 s6, s[16:17], v[14:15]
	s_and_saveexec_b32 s7, s6
	s_delay_alu instid0(SALU_CYCLE_1)
	s_xor_b32 s7, exec_lo, s7
	s_cbranch_execz .LBB301_54
; %bb.51:                               ;   in Loop: Header=BB301_4 Depth=1
	v_cmp_ge_f64_e64 s28, 0x200000, |v[16:17]|
	v_cmp_ge_f64_e64 s29, 0x200000, |v[18:19]|
	s_and_b32 s30, s29, s28
	s_mov_b32 s28, 0
	s_and_saveexec_b32 s29, s30
	s_cbranch_execz .LBB301_53
; %bb.52:                               ;   in Loop: Header=BB301_4 Depth=1
	v_mul_f64_e32 v[16:17], 4.0, v[16:17]
	v_mul_f64_e32 v[18:19], 4.0, v[18:19]
	s_mov_b32 s28, exec_lo
.LBB301_53:                             ;   in Loop: Header=BB301_4 Depth=1
	s_or_b32 exec_lo, exec_lo, s29
.LBB301_54:                             ;   in Loop: Header=BB301_4 Depth=1
	s_and_not1_saveexec_b32 s7, s7
	s_cbranch_execz .LBB301_56
; %bb.55:                               ;   in Loop: Header=BB301_4 Depth=1
	s_delay_alu instid0(VALU_DEP_2) | instskip(NEXT) | instid1(VALU_DEP_2)
	v_ldexp_f64 v[16:17], v[16:17], -2
	v_ldexp_f64 v[18:19], v[18:19], -2
	s_and_not1_b32 s28, s28, exec_lo
.LBB301_56:                             ;   in Loop: Header=BB301_4 Depth=1
	s_or_b32 exec_lo, exec_lo, s7
	s_delay_alu instid0(VALU_DEP_1) | instskip(NEXT) | instid1(VALU_DEP_3)
	v_max_num_f64_e64 v[14:15], |v[18:19]|, |v[18:19]|
	v_max_num_f64_e64 v[20:21], |v[16:17]|, |v[16:17]|
	v_cmp_class_f64_e64 s29, v[16:17], 0x204
	v_cmp_class_f64_e64 s30, v[18:19], 0x204
	v_cmp_le_f64_e64 s7, 0, v[16:17]
	s_delay_alu instid0(VALU_DEP_4) | instskip(SKIP_1) | instid1(VALU_DEP_1)
	v_max_num_f64_e32 v[14:15], v[20:21], v[14:15]
	s_or_b32 s29, s30, s29
	v_frexp_exp_i32_f64_e32 v52, v[14:15]
	s_delay_alu instid0(VALU_DEP_1) | instskip(NEXT) | instid1(VALU_DEP_1)
	v_sub_nc_u32_e32 v20, 0, v52
	v_ldexp_f64 v[14:15], |v[18:19]|, v20
	v_ldexp_f64 v[20:21], |v[16:17]|, v20
	s_delay_alu instid0(VALU_DEP_2) | instskip(NEXT) | instid1(VALU_DEP_1)
	v_mul_f64_e32 v[14:15], v[14:15], v[14:15]
	v_fmac_f64_e32 v[14:15], v[20:21], v[20:21]
	s_delay_alu instid0(VALU_DEP_1) | instskip(SKIP_1) | instid1(TRANS32_DEP_1)
	v_rsq_f64_e32 v[20:21], v[14:15]
	v_cmp_eq_f64_e32 vcc_lo, 0, v[14:15]
	v_mul_f64_e32 v[22:23], v[14:15], v[20:21]
	v_mul_f64_e32 v[20:21], 0.5, v[20:21]
	s_delay_alu instid0(VALU_DEP_1) | instskip(NEXT) | instid1(VALU_DEP_1)
	v_fma_f64 v[50:51], -v[20:21], v[22:23], 0.5
	v_fmac_f64_e32 v[22:23], v[22:23], v[50:51]
	v_fmac_f64_e32 v[20:21], v[20:21], v[50:51]
	s_delay_alu instid0(VALU_DEP_2) | instskip(NEXT) | instid1(VALU_DEP_1)
	v_fma_f64 v[50:51], -v[22:23], v[22:23], v[14:15]
	v_fmac_f64_e32 v[22:23], v[50:51], v[20:21]
                                        ; implicit-def: $vgpr20_vgpr21
	s_delay_alu instid0(VALU_DEP_1) | instskip(SKIP_1) | instid1(VALU_DEP_2)
	v_dual_cndmask_b32 v15, v23, v15 :: v_dual_cndmask_b32 v14, v22, v14
	v_cmp_o_f64_e32 vcc_lo, v[18:19], v[18:19]
	v_ldexp_f64 v[14:15], v[14:15], v52
	s_delay_alu instid0(VALU_DEP_1) | instskip(NEXT) | instid1(VALU_DEP_2)
	v_cndmask_b32_e32 v14, 0, v14, vcc_lo
	v_cndmask_b32_e32 v15, 0x7ff80000, v15, vcc_lo
	s_delay_alu instid0(VALU_DEP_2) | instskip(NEXT) | instid1(VALU_DEP_2)
	v_cndmask_b32_e64 v14, v14, 0, s29
	v_cndmask_b32_e64 v15, v15, 0x7ff00000, s29
	s_and_saveexec_b32 s29, s7
	s_delay_alu instid0(SALU_CYCLE_1)
	s_xor_b32 s7, exec_lo, s29
	s_cbranch_execnz .LBB301_165
; %bb.57:                               ;   in Loop: Header=BB301_4 Depth=1
	s_and_not1_saveexec_b32 s7, s7
	s_cbranch_execnz .LBB301_166
.LBB301_58:                             ;   in Loop: Header=BB301_4 Depth=1
	s_or_b32 exec_lo, exec_lo, s7
	s_and_saveexec_b32 s7, s6
	s_delay_alu instid0(SALU_CYCLE_1)
	s_xor_b32 s6, exec_lo, s7
	s_cbranch_execnz .LBB301_167
.LBB301_59:                             ;   in Loop: Header=BB301_4 Depth=1
	s_and_not1_saveexec_b32 s6, s6
	s_cbranch_execz .LBB301_61
.LBB301_60:                             ;   in Loop: Header=BB301_4 Depth=1
	s_delay_alu instid0(VALU_DEP_2) | instskip(NEXT) | instid1(VALU_DEP_2)
	v_add_f64_e32 v[20:21], v[20:21], v[20:21]
	v_add_f64_e32 v[18:19], v[18:19], v[18:19]
.LBB301_61:                             ;   in Loop: Header=BB301_4 Depth=1
	s_or_b32 exec_lo, exec_lo, s6
.LBB301_62:                             ;   in Loop: Header=BB301_4 Depth=1
	s_and_not1_saveexec_b32 s6, s27
	s_cbranch_execz .LBB301_68
; %bb.63:                               ;   in Loop: Header=BB301_4 Depth=1
	s_delay_alu instid0(VALU_DEP_1) | instskip(SKIP_1) | instid1(VALU_DEP_1)
	v_add_f64_e64 v[14:15], v[18:19], -v[18:19]
	s_mov_b32 s7, exec_lo
	v_and_b32_e32 v21, 0x7fffffff, v15
	s_delay_alu instid0(VALU_DEP_2)
	v_mov_b32_e32 v20, v14
	v_cmpx_lt_i64_e32 -1, v[16:17]
	s_xor_b32 s7, exec_lo, s7
; %bb.64:                               ;   in Loop: Header=BB301_4 Depth=1
	v_bfi_b32 v15, 0x7fffffff, v15, v19
	v_mov_b64_e32 v[20:21], v[16:17]
	s_delay_alu instid0(VALU_DEP_2)
	v_mov_b64_e32 v[18:19], v[14:15]
; %bb.65:                               ;   in Loop: Header=BB301_4 Depth=1
	s_and_not1_saveexec_b32 s7, s7
; %bb.66:                               ;   in Loop: Header=BB301_4 Depth=1
	s_delay_alu instid0(VALU_DEP_1) | instskip(NEXT) | instid1(VALU_DEP_1)
	v_bfi_b32 v17, 0x7fffffff, v17, v19
	v_mov_b64_e32 v[18:19], v[16:17]
; %bb.67:                               ;   in Loop: Header=BB301_4 Depth=1
	s_or_b32 exec_lo, exec_lo, s7
.LBB301_68:                             ;   in Loop: Header=BB301_4 Depth=1
	s_delay_alu instid0(SALU_CYCLE_1)
	s_or_b32 exec_lo, exec_lo, s6
.LBB301_69:                             ;   in Loop: Header=BB301_4 Depth=1
	s_and_not1_saveexec_b32 s6, s26
	s_cbranch_execz .LBB301_71
; %bb.70:                               ;   in Loop: Header=BB301_4 Depth=1
	s_delay_alu instid0(VALU_DEP_1) | instskip(NEXT) | instid1(VALU_DEP_1)
	v_add_f64_e64 v[14:15], v[18:19], -v[18:19]
	v_div_scale_f64 v[18:19], vcc_lo, v[14:15], v[14:15], v[14:15]
	s_delay_alu instid0(VALU_DEP_1) | instskip(SKIP_1) | instid1(TRANS32_DEP_1)
	v_rcp_f64_e32 v[20:21], v[18:19]
	v_nop
	v_fma_f64 v[22:23], -v[18:19], v[20:21], 1.0
	s_delay_alu instid0(VALU_DEP_1) | instskip(NEXT) | instid1(VALU_DEP_1)
	v_fmac_f64_e32 v[20:21], v[20:21], v[22:23]
	v_fma_f64 v[22:23], -v[18:19], v[20:21], 1.0
	s_delay_alu instid0(VALU_DEP_1) | instskip(NEXT) | instid1(VALU_DEP_1)
	v_fmac_f64_e32 v[20:21], v[20:21], v[22:23]
	v_mul_f64_e32 v[22:23], v[18:19], v[20:21]
	s_delay_alu instid0(VALU_DEP_1) | instskip(NEXT) | instid1(VALU_DEP_1)
	v_fma_f64 v[18:19], -v[18:19], v[22:23], v[18:19]
	v_div_fmas_f64 v[18:19], v[18:19], v[20:21], v[22:23]
	v_mov_b64_e32 v[20:21], v[16:17]
	s_delay_alu instid0(VALU_DEP_2)
	v_div_fixup_f64 v[18:19], v[18:19], v[14:15], v[14:15]
.LBB301_71:                             ;   in Loop: Header=BB301_4 Depth=1
	s_or_b32 exec_lo, exec_lo, s6
.LBB301_72:                             ;   in Loop: Header=BB301_4 Depth=1
	s_delay_alu instid0(SALU_CYCLE_1)
	s_or_b32 exec_lo, exec_lo, s25
.LBB301_73:                             ;   in Loop: Header=BB301_4 Depth=1
	s_delay_alu instid0(SALU_CYCLE_1) | instskip(NEXT) | instid1(VALU_DEP_1)
	s_or_b32 exec_lo, exec_lo, s24
	v_cmp_gt_f64_e32 vcc_lo, 0, v[20:21]
	v_xor_b32_e32 v14, 0x80000000, v21
	v_mov_b32_e32 v22, v20
	s_delay_alu instid0(VALU_DEP_4) | instskip(SKIP_1) | instid1(VALU_DEP_3)
	v_xor_b32_e32 v15, 0x80000000, v19
	s_mov_b32 s6, exec_lo
	v_dual_mov_b32 v50, v18 :: v_dual_cndmask_b32 v23, v21, v14
	v_cmp_gt_f64_e32 vcc_lo, 0, v[18:19]
	s_delay_alu instid0(VALU_DEP_3) | instskip(NEXT) | instid1(VALU_DEP_1)
	v_cndmask_b32_e32 v51, v19, v15, vcc_lo
                                        ; implicit-def: $vgpr16_vgpr17
	v_cmpx_ge_f64_e32 v[22:23], v[50:51]
	s_xor_b32 s7, exec_lo, s6
	s_cbranch_execz .LBB301_79
; %bb.74:                               ;   in Loop: Header=BB301_4 Depth=1
	v_cmp_neq_f64_e32 vcc_lo, 0, v[20:21]
	v_cmp_neq_f64_e64 s6, 0, v[18:19]
                                        ; implicit-def: $vgpr16_vgpr17
	s_or_b32 s6, vcc_lo, s6
	s_delay_alu instid0(SALU_CYCLE_1) | instskip(NEXT) | instid1(SALU_CYCLE_1)
	s_and_saveexec_b32 s24, s6
	s_xor_b32 s6, exec_lo, s24
	s_cbranch_execz .LBB301_76
; %bb.75:                               ;   in Loop: Header=BB301_4 Depth=1
	v_div_scale_f64 v[14:15], null, v[20:21], v[20:21], v[18:19]
	v_div_scale_f64 v[50:51], vcc_lo, v[18:19], v[20:21], v[18:19]
	s_delay_alu instid0(VALU_DEP_2) | instskip(SKIP_1) | instid1(TRANS32_DEP_1)
	v_rcp_f64_e32 v[16:17], v[14:15]
	v_nop
	v_fma_f64 v[22:23], -v[14:15], v[16:17], 1.0
	s_delay_alu instid0(VALU_DEP_1) | instskip(NEXT) | instid1(VALU_DEP_1)
	v_fmac_f64_e32 v[16:17], v[16:17], v[22:23]
	v_fma_f64 v[22:23], -v[14:15], v[16:17], 1.0
	s_delay_alu instid0(VALU_DEP_1) | instskip(NEXT) | instid1(VALU_DEP_1)
	v_fmac_f64_e32 v[16:17], v[16:17], v[22:23]
	v_mul_f64_e32 v[22:23], v[50:51], v[16:17]
	s_delay_alu instid0(VALU_DEP_1) | instskip(NEXT) | instid1(VALU_DEP_1)
	v_fma_f64 v[14:15], -v[14:15], v[22:23], v[50:51]
	v_div_fmas_f64 v[14:15], v[14:15], v[16:17], v[22:23]
	s_delay_alu instid0(VALU_DEP_1) | instskip(NEXT) | instid1(VALU_DEP_1)
	v_div_fixup_f64 v[14:15], v[14:15], v[20:21], v[18:19]
	v_fmac_f64_e32 v[20:21], v[18:19], v[14:15]
	s_delay_alu instid0(VALU_DEP_1) | instskip(SKIP_1) | instid1(VALU_DEP_2)
	v_div_scale_f64 v[16:17], null, v[20:21], v[20:21], 1.0
	v_div_scale_f64 v[50:51], vcc_lo, 1.0, v[20:21], 1.0
	v_rcp_f64_e32 v[18:19], v[16:17]
	v_nop
	s_delay_alu instid0(TRANS32_DEP_1) | instskip(NEXT) | instid1(VALU_DEP_1)
	v_fma_f64 v[22:23], -v[16:17], v[18:19], 1.0
	v_fmac_f64_e32 v[18:19], v[18:19], v[22:23]
	s_delay_alu instid0(VALU_DEP_1) | instskip(NEXT) | instid1(VALU_DEP_1)
	v_fma_f64 v[22:23], -v[16:17], v[18:19], 1.0
	v_fmac_f64_e32 v[18:19], v[18:19], v[22:23]
	s_delay_alu instid0(VALU_DEP_1) | instskip(NEXT) | instid1(VALU_DEP_1)
	v_mul_f64_e32 v[22:23], v[50:51], v[18:19]
	v_fma_f64 v[16:17], -v[16:17], v[22:23], v[50:51]
                                        ; implicit-def: $vgpr50_vgpr51
	s_delay_alu instid0(VALU_DEP_1) | instskip(SKIP_1) | instid1(VALU_DEP_2)
	v_div_fmas_f64 v[16:17], v[16:17], v[18:19], v[22:23]
	v_fma_f64 v[18:19], v[14:15], 0, 1.0
                                        ; implicit-def: $vgpr22_vgpr23
	v_div_fixup_f64 v[16:17], v[16:17], v[20:21], 1.0
	v_add_f64_e64 v[20:21], -v[14:15], 0
	s_delay_alu instid0(VALU_DEP_2) | instskip(NEXT) | instid1(VALU_DEP_2)
	v_mul_f64_e32 v[14:15], v[18:19], v[16:17]
	v_mul_f64_e32 v[16:17], v[20:21], v[16:17]
.LBB301_76:                             ;   in Loop: Header=BB301_4 Depth=1
	s_and_not1_saveexec_b32 s24, s6
	s_cbranch_execz .LBB301_78
; %bb.77:                               ;   in Loop: Header=BB301_4 Depth=1
	v_div_scale_f64 v[14:15], null, v[22:23], v[22:23], 1.0
	v_div_scale_f64 v[16:17], null, v[50:51], v[50:51], 0
	v_div_scale_f64 v[56:57], vcc_lo, 1.0, v[22:23], 1.0
	s_delay_alu instid0(VALU_DEP_3) | instskip(NEXT) | instid1(VALU_DEP_2)
	v_rcp_f64_e32 v[18:19], v[14:15]
	v_rcp_f64_e32 v[20:21], v[16:17]
	s_delay_alu instid0(TRANS32_DEP_2) | instskip(NEXT) | instid1(TRANS32_DEP_1)
	v_fma_f64 v[52:53], -v[14:15], v[18:19], 1.0
	v_fma_f64 v[54:55], -v[16:17], v[20:21], 1.0
	s_delay_alu instid0(VALU_DEP_2) | instskip(NEXT) | instid1(VALU_DEP_2)
	v_fmac_f64_e32 v[18:19], v[18:19], v[52:53]
	v_fmac_f64_e32 v[20:21], v[20:21], v[54:55]
	s_delay_alu instid0(VALU_DEP_2) | instskip(NEXT) | instid1(VALU_DEP_2)
	v_fma_f64 v[52:53], -v[14:15], v[18:19], 1.0
	v_fma_f64 v[54:55], -v[16:17], v[20:21], 1.0
	s_delay_alu instid0(VALU_DEP_2) | instskip(SKIP_1) | instid1(VALU_DEP_3)
	v_fmac_f64_e32 v[18:19], v[18:19], v[52:53]
	v_div_scale_f64 v[52:53], s6, 0, v[50:51], 0
	v_fmac_f64_e32 v[20:21], v[20:21], v[54:55]
	s_delay_alu instid0(VALU_DEP_3) | instskip(NEXT) | instid1(VALU_DEP_2)
	v_mul_f64_e32 v[54:55], v[56:57], v[18:19]
	v_mul_f64_e32 v[58:59], v[52:53], v[20:21]
	s_delay_alu instid0(VALU_DEP_2) | instskip(NEXT) | instid1(VALU_DEP_2)
	v_fma_f64 v[14:15], -v[14:15], v[54:55], v[56:57]
	v_fma_f64 v[16:17], -v[16:17], v[58:59], v[52:53]
	s_delay_alu instid0(VALU_DEP_2) | instskip(SKIP_1) | instid1(VALU_DEP_2)
	v_div_fmas_f64 v[14:15], v[14:15], v[18:19], v[54:55]
	s_mov_b32 vcc_lo, s6
	v_div_fmas_f64 v[16:17], v[16:17], v[20:21], v[58:59]
	s_delay_alu instid0(VALU_DEP_2) | instskip(NEXT) | instid1(VALU_DEP_2)
	v_div_fixup_f64 v[14:15], v[14:15], v[22:23], 1.0
	v_div_fixup_f64 v[16:17], v[16:17], v[50:51], 0
.LBB301_78:                             ;   in Loop: Header=BB301_4 Depth=1
	s_or_b32 exec_lo, exec_lo, s24
                                        ; implicit-def: $vgpr18_vgpr19
                                        ; implicit-def: $vgpr20_vgpr21
.LBB301_79:                             ;   in Loop: Header=BB301_4 Depth=1
	s_and_not1_saveexec_b32 s6, s7
	s_cbranch_execz .LBB301_81
; %bb.80:                               ;   in Loop: Header=BB301_4 Depth=1
	v_div_scale_f64 v[14:15], null, v[18:19], v[18:19], v[20:21]
	v_div_scale_f64 v[50:51], vcc_lo, v[20:21], v[18:19], v[20:21]
	s_delay_alu instid0(VALU_DEP_2) | instskip(SKIP_1) | instid1(TRANS32_DEP_1)
	v_rcp_f64_e32 v[16:17], v[14:15]
	v_nop
	v_fma_f64 v[22:23], -v[14:15], v[16:17], 1.0
	s_delay_alu instid0(VALU_DEP_1) | instskip(NEXT) | instid1(VALU_DEP_1)
	v_fmac_f64_e32 v[16:17], v[16:17], v[22:23]
	v_fma_f64 v[22:23], -v[14:15], v[16:17], 1.0
	s_delay_alu instid0(VALU_DEP_1) | instskip(NEXT) | instid1(VALU_DEP_1)
	v_fmac_f64_e32 v[16:17], v[16:17], v[22:23]
	v_mul_f64_e32 v[22:23], v[50:51], v[16:17]
	s_delay_alu instid0(VALU_DEP_1) | instskip(NEXT) | instid1(VALU_DEP_1)
	v_fma_f64 v[14:15], -v[14:15], v[22:23], v[50:51]
	v_div_fmas_f64 v[14:15], v[14:15], v[16:17], v[22:23]
	s_delay_alu instid0(VALU_DEP_1) | instskip(NEXT) | instid1(VALU_DEP_1)
	v_div_fixup_f64 v[14:15], v[14:15], v[18:19], v[20:21]
	v_fmac_f64_e32 v[18:19], v[20:21], v[14:15]
	s_delay_alu instid0(VALU_DEP_1) | instskip(SKIP_1) | instid1(VALU_DEP_2)
	v_div_scale_f64 v[16:17], null, v[18:19], v[18:19], 1.0
	v_div_scale_f64 v[50:51], vcc_lo, 1.0, v[18:19], 1.0
	v_rcp_f64_e32 v[20:21], v[16:17]
	v_nop
	s_delay_alu instid0(TRANS32_DEP_1) | instskip(NEXT) | instid1(VALU_DEP_1)
	v_fma_f64 v[22:23], -v[16:17], v[20:21], 1.0
	v_fmac_f64_e32 v[20:21], v[20:21], v[22:23]
	s_delay_alu instid0(VALU_DEP_1) | instskip(NEXT) | instid1(VALU_DEP_1)
	v_fma_f64 v[22:23], -v[16:17], v[20:21], 1.0
	v_fmac_f64_e32 v[20:21], v[20:21], v[22:23]
	s_delay_alu instid0(VALU_DEP_1) | instskip(NEXT) | instid1(VALU_DEP_1)
	v_mul_f64_e32 v[22:23], v[50:51], v[20:21]
	v_fma_f64 v[16:17], -v[16:17], v[22:23], v[50:51]
	s_delay_alu instid0(VALU_DEP_1) | instskip(SKIP_1) | instid1(VALU_DEP_2)
	v_div_fmas_f64 v[16:17], v[16:17], v[20:21], v[22:23]
	v_add_f64_e32 v[20:21], 0, v[14:15]
	v_div_fixup_f64 v[16:17], v[16:17], v[18:19], 1.0
	v_fma_f64 v[18:19], v[14:15], 0, -1.0
	s_delay_alu instid0(VALU_DEP_2) | instskip(NEXT) | instid1(VALU_DEP_2)
	v_mul_f64_e32 v[14:15], v[20:21], v[16:17]
	v_mul_f64_e32 v[16:17], v[18:19], v[16:17]
.LBB301_81:                             ;   in Loop: Header=BB301_4 Depth=1
	s_or_b32 exec_lo, exec_lo, s6
	v_cmp_neq_f64_e32 vcc_lo, 0, v[10:11]
	v_cmp_neq_f64_e64 s6, 0, v[12:13]
	v_mov_b64_e32 v[22:23], 0
	s_or_b32 s6, vcc_lo, s6
	s_delay_alu instid0(SALU_CYCLE_1)
	s_and_saveexec_b32 s24, s6
	s_cbranch_execz .LBB301_108
; %bb.82:                               ;   in Loop: Header=BB301_4 Depth=1
	v_mov_b64_e32 v[22:23], 0x7ff0000000000000
	s_mov_b32 s25, exec_lo
	v_cmpx_neq_f64_e64 0x7ff00000, |v[12:13]|
	s_cbranch_execz .LBB301_107
; %bb.83:                               ;   in Loop: Header=BB301_4 Depth=1
                                        ; implicit-def: $vgpr22_vgpr23
	s_mov_b32 s6, exec_lo
	v_cmpx_o_f64_e32 v[10:11], v[10:11]
	s_xor_b32 s26, exec_lo, s6
	s_cbranch_execz .LBB301_104
; %bb.84:                               ;   in Loop: Header=BB301_4 Depth=1
                                        ; implicit-def: $vgpr22_vgpr23
	s_mov_b32 s7, exec_lo
	v_cmpx_neq_f64_e64 0x7ff00000, |v[10:11]|
	s_xor_b32 s27, exec_lo, s7
	s_cbranch_execz .LBB301_97
; %bb.85:                               ;   in Loop: Header=BB301_4 Depth=1
	v_max_num_f64_e64 v[18:19], |v[10:11]|, |v[10:11]|
	v_max_num_f64_e64 v[20:21], |v[12:13]|, |v[12:13]|
                                        ; implicit-def: $sgpr28
	s_delay_alu instid0(VALU_DEP_1) | instskip(NEXT) | instid1(VALU_DEP_1)
	v_max_num_f64_e32 v[18:19], v[20:21], v[18:19]
	v_cmp_nle_f64_e64 s6, s[16:17], v[18:19]
	s_and_saveexec_b32 s7, s6
	s_delay_alu instid0(SALU_CYCLE_1)
	s_xor_b32 s7, exec_lo, s7
	s_cbranch_execz .LBB301_89
; %bb.86:                               ;   in Loop: Header=BB301_4 Depth=1
	v_cmp_ge_f64_e64 s28, 0x200000, |v[10:11]|
	v_cmp_ge_f64_e64 s29, 0x200000, |v[12:13]|
	s_and_b32 s30, s29, s28
	s_mov_b32 s28, 0
	s_and_saveexec_b32 s29, s30
	s_cbranch_execz .LBB301_88
; %bb.87:                               ;   in Loop: Header=BB301_4 Depth=1
	v_mul_f64_e32 v[10:11], 4.0, v[10:11]
	v_mul_f64_e32 v[12:13], 4.0, v[12:13]
	s_mov_b32 s28, exec_lo
.LBB301_88:                             ;   in Loop: Header=BB301_4 Depth=1
	s_or_b32 exec_lo, exec_lo, s29
.LBB301_89:                             ;   in Loop: Header=BB301_4 Depth=1
	s_and_not1_saveexec_b32 s7, s7
	s_cbranch_execz .LBB301_91
; %bb.90:                               ;   in Loop: Header=BB301_4 Depth=1
	s_delay_alu instid0(VALU_DEP_2) | instskip(NEXT) | instid1(VALU_DEP_2)
	v_ldexp_f64 v[10:11], v[10:11], -2
	v_ldexp_f64 v[12:13], v[12:13], -2
	s_and_not1_b32 s28, s28, exec_lo
.LBB301_91:                             ;   in Loop: Header=BB301_4 Depth=1
	s_or_b32 exec_lo, exec_lo, s7
	s_delay_alu instid0(VALU_DEP_1) | instskip(NEXT) | instid1(VALU_DEP_3)
	v_max_num_f64_e64 v[18:19], |v[12:13]|, |v[12:13]|
	v_max_num_f64_e64 v[20:21], |v[10:11]|, |v[10:11]|
	v_cmp_class_f64_e64 s29, v[10:11], 0x204
	v_cmp_class_f64_e64 s30, v[12:13], 0x204
	v_cmp_le_f64_e64 s7, 0, v[10:11]
	s_delay_alu instid0(VALU_DEP_4) | instskip(SKIP_1) | instid1(VALU_DEP_1)
	v_max_num_f64_e32 v[18:19], v[20:21], v[18:19]
	s_or_b32 s29, s30, s29
	v_frexp_exp_i32_f64_e32 v52, v[18:19]
	s_delay_alu instid0(VALU_DEP_1) | instskip(NEXT) | instid1(VALU_DEP_1)
	v_sub_nc_u32_e32 v20, 0, v52
	v_ldexp_f64 v[18:19], |v[12:13]|, v20
	v_ldexp_f64 v[20:21], |v[10:11]|, v20
	s_delay_alu instid0(VALU_DEP_2) | instskip(NEXT) | instid1(VALU_DEP_1)
	v_mul_f64_e32 v[18:19], v[18:19], v[18:19]
	v_fmac_f64_e32 v[18:19], v[20:21], v[20:21]
	s_delay_alu instid0(VALU_DEP_1) | instskip(SKIP_1) | instid1(TRANS32_DEP_1)
	v_rsq_f64_e32 v[20:21], v[18:19]
	v_cmp_eq_f64_e32 vcc_lo, 0, v[18:19]
	v_mul_f64_e32 v[22:23], v[18:19], v[20:21]
	v_mul_f64_e32 v[20:21], 0.5, v[20:21]
	s_delay_alu instid0(VALU_DEP_1) | instskip(NEXT) | instid1(VALU_DEP_1)
	v_fma_f64 v[50:51], -v[20:21], v[22:23], 0.5
	v_fmac_f64_e32 v[22:23], v[22:23], v[50:51]
	v_fmac_f64_e32 v[20:21], v[20:21], v[50:51]
	s_delay_alu instid0(VALU_DEP_2) | instskip(NEXT) | instid1(VALU_DEP_1)
	v_fma_f64 v[50:51], -v[22:23], v[22:23], v[18:19]
	v_fmac_f64_e32 v[22:23], v[50:51], v[20:21]
	s_delay_alu instid0(VALU_DEP_1) | instskip(SKIP_1) | instid1(VALU_DEP_2)
	v_dual_cndmask_b32 v19, v23, v19 :: v_dual_cndmask_b32 v18, v22, v18
	v_cmp_o_f64_e32 vcc_lo, v[12:13], v[12:13]
                                        ; implicit-def: $vgpr22_vgpr23
	v_ldexp_f64 v[18:19], v[18:19], v52
	s_delay_alu instid0(VALU_DEP_1) | instskip(NEXT) | instid1(VALU_DEP_2)
	v_cndmask_b32_e32 v18, 0, v18, vcc_lo
	v_cndmask_b32_e32 v19, 0x7ff80000, v19, vcc_lo
	s_delay_alu instid0(VALU_DEP_2) | instskip(NEXT) | instid1(VALU_DEP_2)
	v_cndmask_b32_e64 v18, v18, 0, s29
	v_cndmask_b32_e64 v19, v19, 0x7ff00000, s29
	s_and_saveexec_b32 s29, s7
	s_delay_alu instid0(SALU_CYCLE_1)
	s_xor_b32 s7, exec_lo, s29
	s_cbranch_execnz .LBB301_170
; %bb.92:                               ;   in Loop: Header=BB301_4 Depth=1
	s_and_not1_saveexec_b32 s7, s7
	s_cbranch_execnz .LBB301_171
.LBB301_93:                             ;   in Loop: Header=BB301_4 Depth=1
	s_or_b32 exec_lo, exec_lo, s7
	s_and_saveexec_b32 s7, s6
	s_delay_alu instid0(SALU_CYCLE_1)
	s_xor_b32 s6, exec_lo, s7
	s_cbranch_execnz .LBB301_172
.LBB301_94:                             ;   in Loop: Header=BB301_4 Depth=1
	s_and_not1_saveexec_b32 s6, s6
	s_cbranch_execz .LBB301_96
.LBB301_95:                             ;   in Loop: Header=BB301_4 Depth=1
	s_delay_alu instid0(VALU_DEP_2) | instskip(NEXT) | instid1(VALU_DEP_2)
	v_add_f64_e32 v[22:23], v[22:23], v[22:23]
	v_add_f64_e32 v[12:13], v[12:13], v[12:13]
.LBB301_96:                             ;   in Loop: Header=BB301_4 Depth=1
	s_or_b32 exec_lo, exec_lo, s6
.LBB301_97:                             ;   in Loop: Header=BB301_4 Depth=1
	s_and_not1_saveexec_b32 s6, s27
	s_cbranch_execz .LBB301_103
; %bb.98:                               ;   in Loop: Header=BB301_4 Depth=1
	s_delay_alu instid0(VALU_DEP_1) | instskip(SKIP_1) | instid1(VALU_DEP_1)
	v_add_f64_e64 v[18:19], v[12:13], -v[12:13]
	s_mov_b32 s7, exec_lo
	v_and_b32_e32 v23, 0x7fffffff, v19
	s_delay_alu instid0(VALU_DEP_2)
	v_mov_b32_e32 v22, v18
	v_cmpx_lt_i64_e32 -1, v[10:11]
	s_xor_b32 s7, exec_lo, s7
; %bb.99:                               ;   in Loop: Header=BB301_4 Depth=1
	v_bfi_b32 v19, 0x7fffffff, v19, v13
	v_mov_b64_e32 v[22:23], v[10:11]
	s_delay_alu instid0(VALU_DEP_2)
	v_mov_b64_e32 v[12:13], v[18:19]
; %bb.100:                              ;   in Loop: Header=BB301_4 Depth=1
	s_and_not1_saveexec_b32 s7, s7
; %bb.101:                              ;   in Loop: Header=BB301_4 Depth=1
	s_delay_alu instid0(VALU_DEP_1) | instskip(NEXT) | instid1(VALU_DEP_1)
	v_bfi_b32 v11, 0x7fffffff, v11, v13
	v_mov_b64_e32 v[12:13], v[10:11]
; %bb.102:                              ;   in Loop: Header=BB301_4 Depth=1
	s_or_b32 exec_lo, exec_lo, s7
.LBB301_103:                            ;   in Loop: Header=BB301_4 Depth=1
	s_delay_alu instid0(SALU_CYCLE_1)
	s_or_b32 exec_lo, exec_lo, s6
.LBB301_104:                            ;   in Loop: Header=BB301_4 Depth=1
	s_and_not1_saveexec_b32 s6, s26
	s_cbranch_execz .LBB301_106
; %bb.105:                              ;   in Loop: Header=BB301_4 Depth=1
	s_delay_alu instid0(VALU_DEP_1) | instskip(NEXT) | instid1(VALU_DEP_1)
	v_add_f64_e64 v[12:13], v[12:13], -v[12:13]
	v_div_scale_f64 v[18:19], vcc_lo, v[12:13], v[12:13], v[12:13]
	s_delay_alu instid0(VALU_DEP_1) | instskip(SKIP_1) | instid1(TRANS32_DEP_1)
	v_rcp_f64_e32 v[20:21], v[18:19]
	v_nop
	v_fma_f64 v[22:23], -v[18:19], v[20:21], 1.0
	s_delay_alu instid0(VALU_DEP_1) | instskip(NEXT) | instid1(VALU_DEP_1)
	v_fmac_f64_e32 v[20:21], v[20:21], v[22:23]
	v_fma_f64 v[22:23], -v[18:19], v[20:21], 1.0
	s_delay_alu instid0(VALU_DEP_1) | instskip(NEXT) | instid1(VALU_DEP_1)
	v_fmac_f64_e32 v[20:21], v[20:21], v[22:23]
	v_mul_f64_e32 v[22:23], v[18:19], v[20:21]
	s_delay_alu instid0(VALU_DEP_1) | instskip(NEXT) | instid1(VALU_DEP_1)
	v_fma_f64 v[18:19], -v[18:19], v[22:23], v[18:19]
	v_div_fmas_f64 v[18:19], v[18:19], v[20:21], v[22:23]
	v_mov_b64_e32 v[22:23], v[10:11]
	s_delay_alu instid0(VALU_DEP_2)
	v_div_fixup_f64 v[12:13], v[18:19], v[12:13], v[12:13]
.LBB301_106:                            ;   in Loop: Header=BB301_4 Depth=1
	s_or_b32 exec_lo, exec_lo, s6
.LBB301_107:                            ;   in Loop: Header=BB301_4 Depth=1
	s_delay_alu instid0(SALU_CYCLE_1)
	s_or_b32 exec_lo, exec_lo, s25
.LBB301_108:                            ;   in Loop: Header=BB301_4 Depth=1
	s_delay_alu instid0(SALU_CYCLE_1) | instskip(NEXT) | instid1(VALU_DEP_1)
	s_or_b32 exec_lo, exec_lo, s24
	v_cmp_gt_f64_e32 vcc_lo, 0, v[22:23]
	v_xor_b32_e32 v11, 0x80000000, v23
	v_mov_b32_e32 v10, v22
	s_delay_alu instid0(VALU_DEP_4) | instskip(SKIP_1) | instid1(VALU_DEP_3)
	v_xor_b32_e32 v18, 0x80000000, v13
	s_mov_b32 s6, exec_lo
	v_dual_mov_b32 v50, v12 :: v_dual_cndmask_b32 v11, v23, v11
	v_cmp_gt_f64_e32 vcc_lo, 0, v[12:13]
	s_delay_alu instid0(VALU_DEP_3) | instskip(NEXT) | instid1(VALU_DEP_1)
	v_cndmask_b32_e32 v51, v13, v18, vcc_lo
                                        ; implicit-def: $vgpr20_vgpr21
	v_cmpx_ge_f64_e32 v[10:11], v[50:51]
	s_xor_b32 s7, exec_lo, s6
	s_cbranch_execz .LBB301_114
; %bb.109:                              ;   in Loop: Header=BB301_4 Depth=1
	v_cmp_neq_f64_e32 vcc_lo, 0, v[22:23]
	v_cmp_neq_f64_e64 s6, 0, v[12:13]
                                        ; implicit-def: $vgpr20_vgpr21
	s_or_b32 s6, vcc_lo, s6
	s_delay_alu instid0(SALU_CYCLE_1) | instskip(NEXT) | instid1(SALU_CYCLE_1)
	s_and_saveexec_b32 s24, s6
	s_xor_b32 s6, exec_lo, s24
	s_cbranch_execz .LBB301_111
; %bb.110:                              ;   in Loop: Header=BB301_4 Depth=1
	v_div_scale_f64 v[10:11], null, v[22:23], v[22:23], v[12:13]
	v_div_scale_f64 v[50:51], vcc_lo, v[12:13], v[22:23], v[12:13]
	s_delay_alu instid0(VALU_DEP_2) | instskip(SKIP_1) | instid1(TRANS32_DEP_1)
	v_rcp_f64_e32 v[18:19], v[10:11]
	v_nop
	v_fma_f64 v[20:21], -v[10:11], v[18:19], 1.0
	s_delay_alu instid0(VALU_DEP_1) | instskip(NEXT) | instid1(VALU_DEP_1)
	v_fmac_f64_e32 v[18:19], v[18:19], v[20:21]
	v_fma_f64 v[20:21], -v[10:11], v[18:19], 1.0
	s_delay_alu instid0(VALU_DEP_1) | instskip(NEXT) | instid1(VALU_DEP_1)
	v_fmac_f64_e32 v[18:19], v[18:19], v[20:21]
	v_mul_f64_e32 v[20:21], v[50:51], v[18:19]
	s_delay_alu instid0(VALU_DEP_1) | instskip(NEXT) | instid1(VALU_DEP_1)
	v_fma_f64 v[10:11], -v[10:11], v[20:21], v[50:51]
	v_div_fmas_f64 v[10:11], v[10:11], v[18:19], v[20:21]
	s_delay_alu instid0(VALU_DEP_1) | instskip(NEXT) | instid1(VALU_DEP_1)
	v_div_fixup_f64 v[10:11], v[10:11], v[22:23], v[12:13]
	v_fmac_f64_e32 v[22:23], v[12:13], v[10:11]
	s_delay_alu instid0(VALU_DEP_1) | instskip(SKIP_1) | instid1(VALU_DEP_2)
	v_div_scale_f64 v[12:13], null, v[22:23], v[22:23], 1.0
	v_div_scale_f64 v[50:51], vcc_lo, 1.0, v[22:23], 1.0
	v_rcp_f64_e32 v[18:19], v[12:13]
	v_nop
	s_delay_alu instid0(TRANS32_DEP_1) | instskip(NEXT) | instid1(VALU_DEP_1)
	v_fma_f64 v[20:21], -v[12:13], v[18:19], 1.0
	v_fmac_f64_e32 v[18:19], v[18:19], v[20:21]
	s_delay_alu instid0(VALU_DEP_1) | instskip(NEXT) | instid1(VALU_DEP_1)
	v_fma_f64 v[20:21], -v[12:13], v[18:19], 1.0
	v_fmac_f64_e32 v[18:19], v[18:19], v[20:21]
	s_delay_alu instid0(VALU_DEP_1) | instskip(NEXT) | instid1(VALU_DEP_1)
	v_mul_f64_e32 v[20:21], v[50:51], v[18:19]
	v_fma_f64 v[12:13], -v[12:13], v[20:21], v[50:51]
                                        ; implicit-def: $vgpr50_vgpr51
	s_delay_alu instid0(VALU_DEP_1) | instskip(SKIP_2) | instid1(VALU_DEP_3)
	v_div_fmas_f64 v[12:13], v[12:13], v[18:19], v[20:21]
	v_fma_f64 v[18:19], v[10:11], 0, 1.0
	v_add_f64_e64 v[10:11], -v[10:11], 0
	v_div_fixup_f64 v[12:13], v[12:13], v[22:23], 1.0
	s_delay_alu instid0(VALU_DEP_1) | instskip(NEXT) | instid1(VALU_DEP_3)
	v_mul_f64_e32 v[18:19], v[18:19], v[12:13]
	v_mul_f64_e32 v[20:21], v[10:11], v[12:13]
                                        ; implicit-def: $vgpr10_vgpr11
.LBB301_111:                            ;   in Loop: Header=BB301_4 Depth=1
	s_and_not1_saveexec_b32 s24, s6
	s_cbranch_execz .LBB301_113
; %bb.112:                              ;   in Loop: Header=BB301_4 Depth=1
	v_div_scale_f64 v[12:13], null, v[10:11], v[10:11], 1.0
	v_div_scale_f64 v[18:19], null, v[50:51], v[50:51], 0
	v_div_scale_f64 v[56:57], vcc_lo, 1.0, v[10:11], 1.0
	s_delay_alu instid0(VALU_DEP_3) | instskip(NEXT) | instid1(VALU_DEP_2)
	v_rcp_f64_e32 v[20:21], v[12:13]
	v_rcp_f64_e32 v[22:23], v[18:19]
	s_delay_alu instid0(TRANS32_DEP_2) | instskip(NEXT) | instid1(TRANS32_DEP_1)
	v_fma_f64 v[52:53], -v[12:13], v[20:21], 1.0
	v_fma_f64 v[54:55], -v[18:19], v[22:23], 1.0
	s_delay_alu instid0(VALU_DEP_2) | instskip(NEXT) | instid1(VALU_DEP_2)
	v_fmac_f64_e32 v[20:21], v[20:21], v[52:53]
	v_fmac_f64_e32 v[22:23], v[22:23], v[54:55]
	s_delay_alu instid0(VALU_DEP_2) | instskip(NEXT) | instid1(VALU_DEP_2)
	v_fma_f64 v[52:53], -v[12:13], v[20:21], 1.0
	v_fma_f64 v[54:55], -v[18:19], v[22:23], 1.0
	s_delay_alu instid0(VALU_DEP_2) | instskip(SKIP_1) | instid1(VALU_DEP_3)
	v_fmac_f64_e32 v[20:21], v[20:21], v[52:53]
	v_div_scale_f64 v[52:53], s6, 0, v[50:51], 0
	v_fmac_f64_e32 v[22:23], v[22:23], v[54:55]
	s_delay_alu instid0(VALU_DEP_3) | instskip(NEXT) | instid1(VALU_DEP_2)
	v_mul_f64_e32 v[54:55], v[56:57], v[20:21]
	v_mul_f64_e32 v[58:59], v[52:53], v[22:23]
	s_delay_alu instid0(VALU_DEP_2) | instskip(NEXT) | instid1(VALU_DEP_2)
	v_fma_f64 v[12:13], -v[12:13], v[54:55], v[56:57]
	v_fma_f64 v[18:19], -v[18:19], v[58:59], v[52:53]
	s_delay_alu instid0(VALU_DEP_2) | instskip(SKIP_1) | instid1(VALU_DEP_2)
	v_div_fmas_f64 v[12:13], v[12:13], v[20:21], v[54:55]
	s_mov_b32 vcc_lo, s6
	v_div_fmas_f64 v[20:21], v[18:19], v[22:23], v[58:59]
	s_delay_alu instid0(VALU_DEP_2) | instskip(NEXT) | instid1(VALU_DEP_2)
	v_div_fixup_f64 v[18:19], v[12:13], v[10:11], 1.0
	v_div_fixup_f64 v[20:21], v[20:21], v[50:51], 0
.LBB301_113:                            ;   in Loop: Header=BB301_4 Depth=1
	s_or_b32 exec_lo, exec_lo, s24
                                        ; implicit-def: $vgpr12_vgpr13
                                        ; implicit-def: $vgpr22_vgpr23
.LBB301_114:                            ;   in Loop: Header=BB301_4 Depth=1
	s_and_not1_saveexec_b32 s6, s7
	s_cbranch_execz .LBB301_116
; %bb.115:                              ;   in Loop: Header=BB301_4 Depth=1
	v_div_scale_f64 v[10:11], null, v[12:13], v[12:13], v[22:23]
	v_div_scale_f64 v[50:51], vcc_lo, v[22:23], v[12:13], v[22:23]
	s_delay_alu instid0(VALU_DEP_2) | instskip(SKIP_1) | instid1(TRANS32_DEP_1)
	v_rcp_f64_e32 v[18:19], v[10:11]
	v_nop
	v_fma_f64 v[20:21], -v[10:11], v[18:19], 1.0
	s_delay_alu instid0(VALU_DEP_1) | instskip(NEXT) | instid1(VALU_DEP_1)
	v_fmac_f64_e32 v[18:19], v[18:19], v[20:21]
	v_fma_f64 v[20:21], -v[10:11], v[18:19], 1.0
	s_delay_alu instid0(VALU_DEP_1) | instskip(NEXT) | instid1(VALU_DEP_1)
	v_fmac_f64_e32 v[18:19], v[18:19], v[20:21]
	v_mul_f64_e32 v[20:21], v[50:51], v[18:19]
	s_delay_alu instid0(VALU_DEP_1) | instskip(NEXT) | instid1(VALU_DEP_1)
	v_fma_f64 v[10:11], -v[10:11], v[20:21], v[50:51]
	v_div_fmas_f64 v[10:11], v[10:11], v[18:19], v[20:21]
	s_delay_alu instid0(VALU_DEP_1) | instskip(NEXT) | instid1(VALU_DEP_1)
	v_div_fixup_f64 v[10:11], v[10:11], v[12:13], v[22:23]
	v_fmac_f64_e32 v[12:13], v[22:23], v[10:11]
	s_delay_alu instid0(VALU_DEP_1) | instskip(SKIP_1) | instid1(VALU_DEP_2)
	v_div_scale_f64 v[18:19], null, v[12:13], v[12:13], 1.0
	v_div_scale_f64 v[50:51], vcc_lo, 1.0, v[12:13], 1.0
	v_rcp_f64_e32 v[20:21], v[18:19]
	v_nop
	s_delay_alu instid0(TRANS32_DEP_1) | instskip(NEXT) | instid1(VALU_DEP_1)
	v_fma_f64 v[22:23], -v[18:19], v[20:21], 1.0
	v_fmac_f64_e32 v[20:21], v[20:21], v[22:23]
	s_delay_alu instid0(VALU_DEP_1) | instskip(NEXT) | instid1(VALU_DEP_1)
	v_fma_f64 v[22:23], -v[18:19], v[20:21], 1.0
	v_fmac_f64_e32 v[20:21], v[20:21], v[22:23]
	s_delay_alu instid0(VALU_DEP_1) | instskip(NEXT) | instid1(VALU_DEP_1)
	v_mul_f64_e32 v[22:23], v[50:51], v[20:21]
	v_fma_f64 v[18:19], -v[18:19], v[22:23], v[50:51]
	s_delay_alu instid0(VALU_DEP_1) | instskip(SKIP_2) | instid1(VALU_DEP_3)
	v_div_fmas_f64 v[18:19], v[18:19], v[20:21], v[22:23]
	v_add_f64_e32 v[20:21], 0, v[10:11]
	v_fma_f64 v[10:11], v[10:11], 0, -1.0
	v_div_fixup_f64 v[12:13], v[18:19], v[12:13], 1.0
	s_delay_alu instid0(VALU_DEP_1) | instskip(NEXT) | instid1(VALU_DEP_3)
	v_mul_f64_e32 v[18:19], v[20:21], v[12:13]
	v_mul_f64_e32 v[20:21], v[10:11], v[12:13]
.LBB301_116:                            ;   in Loop: Header=BB301_4 Depth=1
	s_or_b32 exec_lo, exec_lo, s6
	v_cmp_neq_f64_e32 vcc_lo, 0, v[2:3]
	v_cmp_neq_f64_e64 s6, 0, v[4:5]
	v_mov_b64_e32 v[22:23], 0
	s_or_b32 s6, vcc_lo, s6
	s_delay_alu instid0(SALU_CYCLE_1)
	s_and_saveexec_b32 s24, s6
	s_cbranch_execz .LBB301_143
; %bb.117:                              ;   in Loop: Header=BB301_4 Depth=1
	v_mov_b64_e32 v[22:23], 0x7ff0000000000000
	s_mov_b32 s25, exec_lo
	v_cmpx_neq_f64_e64 0x7ff00000, |v[4:5]|
	s_cbranch_execz .LBB301_142
; %bb.118:                              ;   in Loop: Header=BB301_4 Depth=1
                                        ; implicit-def: $vgpr22_vgpr23
	s_mov_b32 s6, exec_lo
	v_cmpx_o_f64_e32 v[2:3], v[2:3]
	s_xor_b32 s26, exec_lo, s6
	s_cbranch_execz .LBB301_139
; %bb.119:                              ;   in Loop: Header=BB301_4 Depth=1
                                        ; implicit-def: $vgpr22_vgpr23
	s_mov_b32 s7, exec_lo
	v_cmpx_neq_f64_e64 0x7ff00000, |v[2:3]|
	s_xor_b32 s27, exec_lo, s7
	s_cbranch_execz .LBB301_132
; %bb.120:                              ;   in Loop: Header=BB301_4 Depth=1
	v_max_num_f64_e64 v[10:11], |v[2:3]|, |v[2:3]|
	v_max_num_f64_e64 v[12:13], |v[4:5]|, |v[4:5]|
                                        ; implicit-def: $sgpr28
	s_delay_alu instid0(VALU_DEP_1) | instskip(NEXT) | instid1(VALU_DEP_1)
	v_max_num_f64_e32 v[10:11], v[12:13], v[10:11]
	v_cmp_nle_f64_e64 s6, s[16:17], v[10:11]
	s_and_saveexec_b32 s7, s6
	s_delay_alu instid0(SALU_CYCLE_1)
	s_xor_b32 s7, exec_lo, s7
	s_cbranch_execz .LBB301_124
; %bb.121:                              ;   in Loop: Header=BB301_4 Depth=1
	v_cmp_ge_f64_e64 s28, 0x200000, |v[2:3]|
	v_cmp_ge_f64_e64 s29, 0x200000, |v[4:5]|
	s_and_b32 s30, s29, s28
	s_mov_b32 s28, 0
	s_and_saveexec_b32 s29, s30
	s_cbranch_execz .LBB301_123
; %bb.122:                              ;   in Loop: Header=BB301_4 Depth=1
	v_mul_f64_e32 v[2:3], 4.0, v[2:3]
	v_mul_f64_e32 v[4:5], 4.0, v[4:5]
	s_mov_b32 s28, exec_lo
.LBB301_123:                            ;   in Loop: Header=BB301_4 Depth=1
	s_or_b32 exec_lo, exec_lo, s29
.LBB301_124:                            ;   in Loop: Header=BB301_4 Depth=1
	s_and_not1_saveexec_b32 s7, s7
	s_cbranch_execz .LBB301_126
; %bb.125:                              ;   in Loop: Header=BB301_4 Depth=1
	s_delay_alu instid0(VALU_DEP_2) | instskip(NEXT) | instid1(VALU_DEP_2)
	v_ldexp_f64 v[2:3], v[2:3], -2
	v_ldexp_f64 v[4:5], v[4:5], -2
	s_and_not1_b32 s28, s28, exec_lo
.LBB301_126:                            ;   in Loop: Header=BB301_4 Depth=1
	s_or_b32 exec_lo, exec_lo, s7
	s_delay_alu instid0(VALU_DEP_1) | instskip(NEXT) | instid1(VALU_DEP_3)
	v_max_num_f64_e64 v[10:11], |v[4:5]|, |v[4:5]|
	v_max_num_f64_e64 v[12:13], |v[2:3]|, |v[2:3]|
	v_cmp_class_f64_e64 s29, v[2:3], 0x204
	v_cmp_class_f64_e64 s30, v[4:5], 0x204
	v_cmp_le_f64_e64 s7, 0, v[2:3]
	s_delay_alu instid0(VALU_DEP_4) | instskip(SKIP_1) | instid1(VALU_DEP_1)
	v_max_num_f64_e32 v[10:11], v[12:13], v[10:11]
	s_or_b32 s29, s30, s29
	v_frexp_exp_i32_f64_e32 v52, v[10:11]
	s_delay_alu instid0(VALU_DEP_1) | instskip(NEXT) | instid1(VALU_DEP_1)
	v_sub_nc_u32_e32 v12, 0, v52
	v_ldexp_f64 v[10:11], |v[4:5]|, v12
	v_ldexp_f64 v[12:13], |v[2:3]|, v12
	s_delay_alu instid0(VALU_DEP_2) | instskip(NEXT) | instid1(VALU_DEP_1)
	v_mul_f64_e32 v[10:11], v[10:11], v[10:11]
	v_fmac_f64_e32 v[10:11], v[12:13], v[12:13]
	s_delay_alu instid0(VALU_DEP_1) | instskip(SKIP_1) | instid1(TRANS32_DEP_1)
	v_rsq_f64_e32 v[12:13], v[10:11]
	v_cmp_eq_f64_e32 vcc_lo, 0, v[10:11]
	v_mul_f64_e32 v[22:23], v[10:11], v[12:13]
	v_mul_f64_e32 v[12:13], 0.5, v[12:13]
	s_delay_alu instid0(VALU_DEP_1) | instskip(NEXT) | instid1(VALU_DEP_1)
	v_fma_f64 v[50:51], -v[12:13], v[22:23], 0.5
	v_fmac_f64_e32 v[22:23], v[22:23], v[50:51]
	v_fmac_f64_e32 v[12:13], v[12:13], v[50:51]
	s_delay_alu instid0(VALU_DEP_2) | instskip(NEXT) | instid1(VALU_DEP_1)
	v_fma_f64 v[50:51], -v[22:23], v[22:23], v[10:11]
	v_fmac_f64_e32 v[22:23], v[50:51], v[12:13]
	s_delay_alu instid0(VALU_DEP_1) | instskip(SKIP_1) | instid1(VALU_DEP_2)
	v_dual_cndmask_b32 v11, v23, v11 :: v_dual_cndmask_b32 v10, v22, v10
	v_cmp_o_f64_e32 vcc_lo, v[4:5], v[4:5]
                                        ; implicit-def: $vgpr22_vgpr23
	v_ldexp_f64 v[10:11], v[10:11], v52
	s_delay_alu instid0(VALU_DEP_1) | instskip(NEXT) | instid1(VALU_DEP_2)
	v_cndmask_b32_e32 v10, 0, v10, vcc_lo
	v_cndmask_b32_e32 v11, 0x7ff80000, v11, vcc_lo
	s_delay_alu instid0(VALU_DEP_2) | instskip(NEXT) | instid1(VALU_DEP_2)
	v_cndmask_b32_e64 v10, v10, 0, s29
	v_cndmask_b32_e64 v11, v11, 0x7ff00000, s29
	s_and_saveexec_b32 s29, s7
	s_delay_alu instid0(SALU_CYCLE_1)
	s_xor_b32 s7, exec_lo, s29
	s_cbranch_execnz .LBB301_175
; %bb.127:                              ;   in Loop: Header=BB301_4 Depth=1
	s_and_not1_saveexec_b32 s7, s7
	s_cbranch_execnz .LBB301_176
.LBB301_128:                            ;   in Loop: Header=BB301_4 Depth=1
	s_or_b32 exec_lo, exec_lo, s7
	s_and_saveexec_b32 s7, s6
	s_delay_alu instid0(SALU_CYCLE_1)
	s_xor_b32 s6, exec_lo, s7
	s_cbranch_execnz .LBB301_177
.LBB301_129:                            ;   in Loop: Header=BB301_4 Depth=1
	s_and_not1_saveexec_b32 s6, s6
	s_cbranch_execz .LBB301_131
.LBB301_130:                            ;   in Loop: Header=BB301_4 Depth=1
	s_delay_alu instid0(VALU_DEP_2) | instskip(NEXT) | instid1(VALU_DEP_2)
	v_add_f64_e32 v[22:23], v[22:23], v[22:23]
	v_add_f64_e32 v[4:5], v[4:5], v[4:5]
.LBB301_131:                            ;   in Loop: Header=BB301_4 Depth=1
	s_or_b32 exec_lo, exec_lo, s6
.LBB301_132:                            ;   in Loop: Header=BB301_4 Depth=1
	s_and_not1_saveexec_b32 s6, s27
	s_cbranch_execz .LBB301_138
; %bb.133:                              ;   in Loop: Header=BB301_4 Depth=1
	s_delay_alu instid0(VALU_DEP_1) | instskip(SKIP_1) | instid1(VALU_DEP_1)
	v_add_f64_e64 v[10:11], v[4:5], -v[4:5]
	s_mov_b32 s7, exec_lo
	v_and_b32_e32 v23, 0x7fffffff, v11
	s_delay_alu instid0(VALU_DEP_2)
	v_mov_b32_e32 v22, v10
	v_cmpx_lt_i64_e32 -1, v[2:3]
	s_xor_b32 s7, exec_lo, s7
; %bb.134:                              ;   in Loop: Header=BB301_4 Depth=1
	v_bfi_b32 v11, 0x7fffffff, v11, v5
	v_mov_b64_e32 v[22:23], v[2:3]
	s_delay_alu instid0(VALU_DEP_2)
	v_mov_b64_e32 v[4:5], v[10:11]
; %bb.135:                              ;   in Loop: Header=BB301_4 Depth=1
	s_and_not1_saveexec_b32 s7, s7
; %bb.136:                              ;   in Loop: Header=BB301_4 Depth=1
	s_delay_alu instid0(VALU_DEP_1) | instskip(NEXT) | instid1(VALU_DEP_1)
	v_bfi_b32 v3, 0x7fffffff, v3, v5
	v_mov_b64_e32 v[4:5], v[2:3]
; %bb.137:                              ;   in Loop: Header=BB301_4 Depth=1
	s_or_b32 exec_lo, exec_lo, s7
.LBB301_138:                            ;   in Loop: Header=BB301_4 Depth=1
	s_delay_alu instid0(SALU_CYCLE_1)
	s_or_b32 exec_lo, exec_lo, s6
.LBB301_139:                            ;   in Loop: Header=BB301_4 Depth=1
	s_and_not1_saveexec_b32 s6, s26
	s_cbranch_execz .LBB301_141
; %bb.140:                              ;   in Loop: Header=BB301_4 Depth=1
	s_delay_alu instid0(VALU_DEP_1) | instskip(NEXT) | instid1(VALU_DEP_1)
	v_add_f64_e64 v[4:5], v[4:5], -v[4:5]
	v_div_scale_f64 v[10:11], vcc_lo, v[4:5], v[4:5], v[4:5]
	s_delay_alu instid0(VALU_DEP_1) | instskip(SKIP_1) | instid1(TRANS32_DEP_1)
	v_rcp_f64_e32 v[12:13], v[10:11]
	v_nop
	v_fma_f64 v[22:23], -v[10:11], v[12:13], 1.0
	s_delay_alu instid0(VALU_DEP_1) | instskip(NEXT) | instid1(VALU_DEP_1)
	v_fmac_f64_e32 v[12:13], v[12:13], v[22:23]
	v_fma_f64 v[22:23], -v[10:11], v[12:13], 1.0
	s_delay_alu instid0(VALU_DEP_1) | instskip(NEXT) | instid1(VALU_DEP_1)
	v_fmac_f64_e32 v[12:13], v[12:13], v[22:23]
	v_mul_f64_e32 v[22:23], v[10:11], v[12:13]
	s_delay_alu instid0(VALU_DEP_1) | instskip(NEXT) | instid1(VALU_DEP_1)
	v_fma_f64 v[10:11], -v[10:11], v[22:23], v[10:11]
	v_div_fmas_f64 v[10:11], v[10:11], v[12:13], v[22:23]
	v_mov_b64_e32 v[22:23], v[2:3]
	s_delay_alu instid0(VALU_DEP_2)
	v_div_fixup_f64 v[4:5], v[10:11], v[4:5], v[4:5]
.LBB301_141:                            ;   in Loop: Header=BB301_4 Depth=1
	s_or_b32 exec_lo, exec_lo, s6
.LBB301_142:                            ;   in Loop: Header=BB301_4 Depth=1
	s_delay_alu instid0(SALU_CYCLE_1)
	s_or_b32 exec_lo, exec_lo, s25
.LBB301_143:                            ;   in Loop: Header=BB301_4 Depth=1
	s_delay_alu instid0(SALU_CYCLE_1) | instskip(NEXT) | instid1(VALU_DEP_1)
	s_or_b32 exec_lo, exec_lo, s24
	v_cmp_gt_f64_e32 vcc_lo, 0, v[22:23]
	v_xor_b32_e32 v3, 0x80000000, v23
	v_mov_b32_e32 v2, v22
	s_delay_alu instid0(VALU_DEP_4) | instskip(SKIP_1) | instid1(VALU_DEP_3)
	v_xor_b32_e32 v10, 0x80000000, v5
	s_mov_b32 s6, exec_lo
	v_dual_mov_b32 v50, v4 :: v_dual_cndmask_b32 v3, v23, v3
	v_cmp_gt_f64_e32 vcc_lo, 0, v[4:5]
	s_delay_alu instid0(VALU_DEP_3) | instskip(NEXT) | instid1(VALU_DEP_1)
	v_cndmask_b32_e32 v51, v5, v10, vcc_lo
                                        ; implicit-def: $vgpr12_vgpr13
	v_cmpx_ge_f64_e32 v[2:3], v[50:51]
	s_xor_b32 s7, exec_lo, s6
	s_cbranch_execnz .LBB301_149
; %bb.144:                              ;   in Loop: Header=BB301_4 Depth=1
	s_and_not1_saveexec_b32 s6, s7
	s_cbranch_execnz .LBB301_154
.LBB301_145:                            ;   in Loop: Header=BB301_4 Depth=1
	s_or_b32 exec_lo, exec_lo, s6
	s_and_saveexec_b32 s6, s2
	s_delay_alu instid0(SALU_CYCLE_1)
	s_xor_b32 s2, exec_lo, s6
	s_cbranch_execnz .LBB301_155
.LBB301_146:                            ;   in Loop: Header=BB301_4 Depth=1
	s_or_b32 exec_lo, exec_lo, s2
	s_and_saveexec_b32 s2, s3
	s_cbranch_execnz .LBB301_156
.LBB301_147:                            ;   in Loop: Header=BB301_4 Depth=1
	s_or_b32 exec_lo, exec_lo, s2
	s_and_saveexec_b32 s2, s4
	s_cbranch_execnz .LBB301_157
.LBB301_148:                            ;   in Loop: Header=BB301_4 Depth=1
	s_or_b32 exec_lo, exec_lo, s2
	s_and_saveexec_b32 s2, s5
	s_cbranch_execz .LBB301_3
	s_branch .LBB301_158
.LBB301_149:                            ;   in Loop: Header=BB301_4 Depth=1
	v_cmp_neq_f64_e32 vcc_lo, 0, v[22:23]
	v_cmp_neq_f64_e64 s6, 0, v[4:5]
                                        ; implicit-def: $vgpr12_vgpr13
	s_or_b32 s6, vcc_lo, s6
	s_delay_alu instid0(SALU_CYCLE_1) | instskip(NEXT) | instid1(SALU_CYCLE_1)
	s_and_saveexec_b32 s24, s6
	s_xor_b32 s6, exec_lo, s24
	s_cbranch_execz .LBB301_151
; %bb.150:                              ;   in Loop: Header=BB301_4 Depth=1
	v_div_scale_f64 v[2:3], null, v[22:23], v[22:23], v[4:5]
	v_div_scale_f64 v[50:51], vcc_lo, v[4:5], v[22:23], v[4:5]
	s_delay_alu instid0(VALU_DEP_2) | instskip(SKIP_1) | instid1(TRANS32_DEP_1)
	v_rcp_f64_e32 v[10:11], v[2:3]
	v_nop
	v_fma_f64 v[12:13], -v[2:3], v[10:11], 1.0
	s_delay_alu instid0(VALU_DEP_1) | instskip(NEXT) | instid1(VALU_DEP_1)
	v_fmac_f64_e32 v[10:11], v[10:11], v[12:13]
	v_fma_f64 v[12:13], -v[2:3], v[10:11], 1.0
	s_delay_alu instid0(VALU_DEP_1) | instskip(NEXT) | instid1(VALU_DEP_1)
	v_fmac_f64_e32 v[10:11], v[10:11], v[12:13]
	v_mul_f64_e32 v[12:13], v[50:51], v[10:11]
	s_delay_alu instid0(VALU_DEP_1) | instskip(NEXT) | instid1(VALU_DEP_1)
	v_fma_f64 v[2:3], -v[2:3], v[12:13], v[50:51]
	v_div_fmas_f64 v[2:3], v[2:3], v[10:11], v[12:13]
	s_delay_alu instid0(VALU_DEP_1) | instskip(NEXT) | instid1(VALU_DEP_1)
	v_div_fixup_f64 v[2:3], v[2:3], v[22:23], v[4:5]
	v_fmac_f64_e32 v[22:23], v[4:5], v[2:3]
	s_delay_alu instid0(VALU_DEP_1) | instskip(SKIP_1) | instid1(VALU_DEP_2)
	v_div_scale_f64 v[4:5], null, v[22:23], v[22:23], 1.0
	v_div_scale_f64 v[50:51], vcc_lo, 1.0, v[22:23], 1.0
	v_rcp_f64_e32 v[10:11], v[4:5]
	v_nop
	s_delay_alu instid0(TRANS32_DEP_1) | instskip(NEXT) | instid1(VALU_DEP_1)
	v_fma_f64 v[12:13], -v[4:5], v[10:11], 1.0
	v_fmac_f64_e32 v[10:11], v[10:11], v[12:13]
	s_delay_alu instid0(VALU_DEP_1) | instskip(NEXT) | instid1(VALU_DEP_1)
	v_fma_f64 v[12:13], -v[4:5], v[10:11], 1.0
	v_fmac_f64_e32 v[10:11], v[10:11], v[12:13]
	s_delay_alu instid0(VALU_DEP_1) | instskip(NEXT) | instid1(VALU_DEP_1)
	v_mul_f64_e32 v[12:13], v[50:51], v[10:11]
	v_fma_f64 v[4:5], -v[4:5], v[12:13], v[50:51]
                                        ; implicit-def: $vgpr50_vgpr51
	s_delay_alu instid0(VALU_DEP_1) | instskip(SKIP_2) | instid1(VALU_DEP_3)
	v_div_fmas_f64 v[4:5], v[4:5], v[10:11], v[12:13]
	v_fma_f64 v[10:11], v[2:3], 0, 1.0
	v_add_f64_e64 v[2:3], -v[2:3], 0
	v_div_fixup_f64 v[4:5], v[4:5], v[22:23], 1.0
	s_delay_alu instid0(VALU_DEP_1) | instskip(NEXT) | instid1(VALU_DEP_3)
	v_mul_f64_e32 v[10:11], v[10:11], v[4:5]
	v_mul_f64_e32 v[12:13], v[2:3], v[4:5]
                                        ; implicit-def: $vgpr2_vgpr3
.LBB301_151:                            ;   in Loop: Header=BB301_4 Depth=1
	s_and_not1_saveexec_b32 s24, s6
	s_cbranch_execz .LBB301_153
; %bb.152:                              ;   in Loop: Header=BB301_4 Depth=1
	v_div_scale_f64 v[4:5], null, v[2:3], v[2:3], 1.0
	v_div_scale_f64 v[10:11], null, v[50:51], v[50:51], 0
	v_div_scale_f64 v[56:57], vcc_lo, 1.0, v[2:3], 1.0
	s_delay_alu instid0(VALU_DEP_3) | instskip(NEXT) | instid1(VALU_DEP_2)
	v_rcp_f64_e32 v[12:13], v[4:5]
	v_rcp_f64_e32 v[22:23], v[10:11]
	s_delay_alu instid0(TRANS32_DEP_2) | instskip(NEXT) | instid1(TRANS32_DEP_1)
	v_fma_f64 v[52:53], -v[4:5], v[12:13], 1.0
	v_fma_f64 v[54:55], -v[10:11], v[22:23], 1.0
	s_delay_alu instid0(VALU_DEP_2) | instskip(NEXT) | instid1(VALU_DEP_2)
	v_fmac_f64_e32 v[12:13], v[12:13], v[52:53]
	v_fmac_f64_e32 v[22:23], v[22:23], v[54:55]
	s_delay_alu instid0(VALU_DEP_2) | instskip(NEXT) | instid1(VALU_DEP_2)
	v_fma_f64 v[52:53], -v[4:5], v[12:13], 1.0
	v_fma_f64 v[54:55], -v[10:11], v[22:23], 1.0
	s_delay_alu instid0(VALU_DEP_2) | instskip(SKIP_1) | instid1(VALU_DEP_3)
	v_fmac_f64_e32 v[12:13], v[12:13], v[52:53]
	v_div_scale_f64 v[52:53], s6, 0, v[50:51], 0
	v_fmac_f64_e32 v[22:23], v[22:23], v[54:55]
	s_delay_alu instid0(VALU_DEP_3) | instskip(NEXT) | instid1(VALU_DEP_2)
	v_mul_f64_e32 v[54:55], v[56:57], v[12:13]
	v_mul_f64_e32 v[58:59], v[52:53], v[22:23]
	s_delay_alu instid0(VALU_DEP_2) | instskip(NEXT) | instid1(VALU_DEP_2)
	v_fma_f64 v[4:5], -v[4:5], v[54:55], v[56:57]
	v_fma_f64 v[10:11], -v[10:11], v[58:59], v[52:53]
	s_delay_alu instid0(VALU_DEP_2) | instskip(SKIP_1) | instid1(VALU_DEP_2)
	v_div_fmas_f64 v[4:5], v[4:5], v[12:13], v[54:55]
	s_mov_b32 vcc_lo, s6
	v_div_fmas_f64 v[12:13], v[10:11], v[22:23], v[58:59]
	s_delay_alu instid0(VALU_DEP_2) | instskip(NEXT) | instid1(VALU_DEP_2)
	v_div_fixup_f64 v[10:11], v[4:5], v[2:3], 1.0
	v_div_fixup_f64 v[12:13], v[12:13], v[50:51], 0
.LBB301_153:                            ;   in Loop: Header=BB301_4 Depth=1
	s_or_b32 exec_lo, exec_lo, s24
                                        ; implicit-def: $vgpr4_vgpr5
                                        ; implicit-def: $vgpr22_vgpr23
	s_and_not1_saveexec_b32 s6, s7
	s_cbranch_execz .LBB301_145
.LBB301_154:                            ;   in Loop: Header=BB301_4 Depth=1
	v_div_scale_f64 v[2:3], null, v[4:5], v[4:5], v[22:23]
	v_div_scale_f64 v[50:51], vcc_lo, v[22:23], v[4:5], v[22:23]
	s_delay_alu instid0(VALU_DEP_2) | instskip(SKIP_1) | instid1(TRANS32_DEP_1)
	v_rcp_f64_e32 v[10:11], v[2:3]
	v_nop
	v_fma_f64 v[12:13], -v[2:3], v[10:11], 1.0
	s_delay_alu instid0(VALU_DEP_1) | instskip(NEXT) | instid1(VALU_DEP_1)
	v_fmac_f64_e32 v[10:11], v[10:11], v[12:13]
	v_fma_f64 v[12:13], -v[2:3], v[10:11], 1.0
	s_delay_alu instid0(VALU_DEP_1) | instskip(NEXT) | instid1(VALU_DEP_1)
	v_fmac_f64_e32 v[10:11], v[10:11], v[12:13]
	v_mul_f64_e32 v[12:13], v[50:51], v[10:11]
	s_delay_alu instid0(VALU_DEP_1) | instskip(NEXT) | instid1(VALU_DEP_1)
	v_fma_f64 v[2:3], -v[2:3], v[12:13], v[50:51]
	v_div_fmas_f64 v[2:3], v[2:3], v[10:11], v[12:13]
	s_delay_alu instid0(VALU_DEP_1) | instskip(NEXT) | instid1(VALU_DEP_1)
	v_div_fixup_f64 v[2:3], v[2:3], v[4:5], v[22:23]
	v_fmac_f64_e32 v[4:5], v[22:23], v[2:3]
	s_delay_alu instid0(VALU_DEP_1) | instskip(SKIP_1) | instid1(VALU_DEP_2)
	v_div_scale_f64 v[10:11], null, v[4:5], v[4:5], 1.0
	v_div_scale_f64 v[50:51], vcc_lo, 1.0, v[4:5], 1.0
	v_rcp_f64_e32 v[12:13], v[10:11]
	v_nop
	s_delay_alu instid0(TRANS32_DEP_1) | instskip(NEXT) | instid1(VALU_DEP_1)
	v_fma_f64 v[22:23], -v[10:11], v[12:13], 1.0
	v_fmac_f64_e32 v[12:13], v[12:13], v[22:23]
	s_delay_alu instid0(VALU_DEP_1) | instskip(NEXT) | instid1(VALU_DEP_1)
	v_fma_f64 v[22:23], -v[10:11], v[12:13], 1.0
	v_fmac_f64_e32 v[12:13], v[12:13], v[22:23]
	s_delay_alu instid0(VALU_DEP_1) | instskip(NEXT) | instid1(VALU_DEP_1)
	v_mul_f64_e32 v[22:23], v[50:51], v[12:13]
	v_fma_f64 v[10:11], -v[10:11], v[22:23], v[50:51]
	s_delay_alu instid0(VALU_DEP_1) | instskip(SKIP_2) | instid1(VALU_DEP_3)
	v_div_fmas_f64 v[10:11], v[10:11], v[12:13], v[22:23]
	v_add_f64_e32 v[12:13], 0, v[2:3]
	v_fma_f64 v[2:3], v[2:3], 0, -1.0
	v_div_fixup_f64 v[4:5], v[10:11], v[4:5], 1.0
	s_delay_alu instid0(VALU_DEP_1) | instskip(NEXT) | instid1(VALU_DEP_3)
	v_mul_f64_e32 v[10:11], v[12:13], v[4:5]
	v_mul_f64_e32 v[12:13], v[2:3], v[4:5]
	s_or_b32 exec_lo, exec_lo, s6
	s_and_saveexec_b32 s6, s2
	s_delay_alu instid0(SALU_CYCLE_1)
	s_xor_b32 s2, exec_lo, s6
	s_cbranch_execz .LBB301_146
.LBB301_155:                            ;   in Loop: Header=BB301_4 Depth=1
	global_store_b128 v[42:43], v[6:9], off
	s_wait_xcnt 0x0
	s_or_b32 exec_lo, exec_lo, s2
	s_and_saveexec_b32 s2, s3
	s_cbranch_execz .LBB301_147
.LBB301_156:                            ;   in Loop: Header=BB301_4 Depth=1
	global_store_b128 v[44:45], v[14:17], off
	s_wait_xcnt 0x0
	s_or_b32 exec_lo, exec_lo, s2
	s_and_saveexec_b32 s2, s4
	s_cbranch_execz .LBB301_148
.LBB301_157:                            ;   in Loop: Header=BB301_4 Depth=1
	global_store_b128 v[46:47], v[18:21], off offset:-8
	s_wait_xcnt 0x0
	s_or_b32 exec_lo, exec_lo, s2
	s_and_saveexec_b32 s2, s5
	s_cbranch_execz .LBB301_3
.LBB301_158:                            ;   in Loop: Header=BB301_4 Depth=1
	global_store_b128 v[48:49], v[10:13], off offset:-8
	s_branch .LBB301_3
.LBB301_159:                            ;   in Loop: Header=BB301_4 Depth=1
	s_or_b32 exec_lo, exec_lo, s6
	s_and_not1_saveexec_b32 s6, s26
	s_cbranch_execnz .LBB301_35
	s_branch .LBB301_36
.LBB301_160:                            ;   in Loop: Header=BB301_4 Depth=1
	s_delay_alu instid0(VALU_DEP_1) | instskip(NEXT) | instid1(VALU_DEP_1)
	v_add_f64_e32 v[6:7], v[20:21], v[6:7]
	v_mul_f64_e32 v[6:7], 0.5, v[6:7]
	s_delay_alu instid0(VALU_DEP_1) | instskip(SKIP_1) | instid1(VALU_DEP_1)
	v_cmp_gt_f64_e32 vcc_lo, 0x10000000, v[6:7]
	v_cndmask_b32_e64 v8, 0, 0x100, vcc_lo
	v_ldexp_f64 v[6:7], v[6:7], v8
	s_delay_alu instid0(VALU_DEP_1) | instskip(SKIP_1) | instid1(TRANS32_DEP_1)
	v_rsq_f64_e32 v[8:9], v[6:7]
	v_nop
	v_mul_f64_e32 v[14:15], v[6:7], v[8:9]
	v_mul_f64_e32 v[8:9], 0.5, v[8:9]
	s_delay_alu instid0(VALU_DEP_1) | instskip(NEXT) | instid1(VALU_DEP_1)
	v_fma_f64 v[20:21], -v[8:9], v[14:15], 0.5
	v_fmac_f64_e32 v[14:15], v[14:15], v[20:21]
	v_fmac_f64_e32 v[8:9], v[8:9], v[20:21]
	s_delay_alu instid0(VALU_DEP_2) | instskip(NEXT) | instid1(VALU_DEP_1)
	v_fma_f64 v[20:21], -v[14:15], v[14:15], v[6:7]
	v_fmac_f64_e32 v[14:15], v[20:21], v[8:9]
	s_delay_alu instid0(VALU_DEP_1) | instskip(NEXT) | instid1(VALU_DEP_1)
	v_fma_f64 v[20:21], -v[14:15], v[14:15], v[6:7]
	v_fmac_f64_e32 v[14:15], v[20:21], v[8:9]
	v_cndmask_b32_e64 v8, 0, 0xffffff80, vcc_lo
	v_cmp_class_f64_e64 vcc_lo, v[6:7], 0x260
	s_delay_alu instid0(VALU_DEP_2) | instskip(NEXT) | instid1(VALU_DEP_1)
	v_ldexp_f64 v[8:9], v[14:15], v8
	v_dual_cndmask_b32 v15, v9, v7 :: v_dual_cndmask_b32 v14, v8, v6
	s_delay_alu instid0(VALU_DEP_1) | instskip(NEXT) | instid1(VALU_DEP_1)
	v_add_f64_e32 v[6:7], v[14:15], v[14:15]
	v_div_scale_f64 v[8:9], null, v[6:7], v[6:7], v[22:23]
	s_delay_alu instid0(VALU_DEP_1) | instskip(SKIP_1) | instid1(TRANS32_DEP_1)
	v_rcp_f64_e32 v[20:21], v[8:9]
	v_nop
	v_fma_f64 v[50:51], -v[8:9], v[20:21], 1.0
	s_delay_alu instid0(VALU_DEP_1) | instskip(NEXT) | instid1(VALU_DEP_1)
	v_fmac_f64_e32 v[20:21], v[20:21], v[50:51]
	v_fma_f64 v[50:51], -v[8:9], v[20:21], 1.0
	s_delay_alu instid0(VALU_DEP_1) | instskip(SKIP_1) | instid1(VALU_DEP_1)
	v_fmac_f64_e32 v[20:21], v[20:21], v[50:51]
	v_div_scale_f64 v[50:51], vcc_lo, v[22:23], v[6:7], v[22:23]
	v_mul_f64_e32 v[52:53], v[50:51], v[20:21]
	s_delay_alu instid0(VALU_DEP_1) | instskip(NEXT) | instid1(VALU_DEP_1)
	v_fma_f64 v[8:9], -v[8:9], v[52:53], v[50:51]
	v_div_fmas_f64 v[8:9], v[8:9], v[20:21], v[52:53]
	s_delay_alu instid0(VALU_DEP_1)
	v_div_fixup_f64 v[22:23], v[8:9], v[6:7], v[22:23]
                                        ; implicit-def: $vgpr6_vgpr7
	s_and_not1_saveexec_b32 s7, s7
	s_cbranch_execz .LBB301_24
.LBB301_161:                            ;   in Loop: Header=BB301_4 Depth=1
	v_add_f64_e64 v[6:7], v[6:7], -v[20:21]
	s_delay_alu instid0(VALU_DEP_1) | instskip(NEXT) | instid1(VALU_DEP_1)
	v_mul_f64_e32 v[6:7], 0.5, v[6:7]
	v_cmp_gt_f64_e32 vcc_lo, 0x10000000, v[6:7]
	v_cndmask_b32_e64 v8, 0, 0x100, vcc_lo
	s_delay_alu instid0(VALU_DEP_1) | instskip(NEXT) | instid1(VALU_DEP_1)
	v_ldexp_f64 v[6:7], v[6:7], v8
	v_rsq_f64_e32 v[8:9], v[6:7]
	v_nop
	s_delay_alu instid0(TRANS32_DEP_1) | instskip(SKIP_1) | instid1(VALU_DEP_1)
	v_mul_f64_e32 v[14:15], v[6:7], v[8:9]
	v_mul_f64_e32 v[8:9], 0.5, v[8:9]
	v_fma_f64 v[20:21], -v[8:9], v[14:15], 0.5
	s_delay_alu instid0(VALU_DEP_1) | instskip(SKIP_1) | instid1(VALU_DEP_2)
	v_fmac_f64_e32 v[14:15], v[14:15], v[20:21]
	v_fmac_f64_e32 v[8:9], v[8:9], v[20:21]
	v_fma_f64 v[20:21], -v[14:15], v[14:15], v[6:7]
	s_delay_alu instid0(VALU_DEP_1) | instskip(NEXT) | instid1(VALU_DEP_1)
	v_fmac_f64_e32 v[14:15], v[20:21], v[8:9]
	v_fma_f64 v[20:21], -v[14:15], v[14:15], v[6:7]
	s_delay_alu instid0(VALU_DEP_1) | instskip(SKIP_2) | instid1(VALU_DEP_2)
	v_fmac_f64_e32 v[14:15], v[20:21], v[8:9]
	v_cndmask_b32_e64 v8, 0, 0xffffff80, vcc_lo
	v_cmp_class_f64_e64 vcc_lo, v[6:7], 0x260
	v_ldexp_f64 v[8:9], v[14:15], v8
	v_and_b32_e32 v15, 0x7fffffff, v23
	s_delay_alu instid0(VALU_DEP_2) | instskip(NEXT) | instid1(VALU_DEP_3)
	v_dual_mov_b32 v14, v22 :: v_dual_cndmask_b32 v7, v9, v7
	v_cndmask_b32_e32 v6, v8, v6, vcc_lo
	s_delay_alu instid0(VALU_DEP_1) | instskip(SKIP_1) | instid1(VALU_DEP_2)
	v_add_f64_e32 v[8:9], v[6:7], v[6:7]
	v_bfi_b32 v7, 0x7fffffff, v7, v23
	v_div_scale_f64 v[20:21], null, v[8:9], v[8:9], v[14:15]
	v_div_scale_f64 v[14:15], vcc_lo, v[14:15], v[8:9], v[14:15]
	s_delay_alu instid0(VALU_DEP_2) | instskip(SKIP_1) | instid1(TRANS32_DEP_1)
	v_rcp_f64_e32 v[50:51], v[20:21]
	v_nop
	v_fma_f64 v[52:53], -v[20:21], v[50:51], 1.0
	s_delay_alu instid0(VALU_DEP_1) | instskip(NEXT) | instid1(VALU_DEP_1)
	v_fmac_f64_e32 v[50:51], v[50:51], v[52:53]
	v_fma_f64 v[52:53], -v[20:21], v[50:51], 1.0
	s_delay_alu instid0(VALU_DEP_1) | instskip(NEXT) | instid1(VALU_DEP_1)
	v_fmac_f64_e32 v[50:51], v[50:51], v[52:53]
	v_mul_f64_e32 v[52:53], v[14:15], v[50:51]
	s_delay_alu instid0(VALU_DEP_1) | instskip(NEXT) | instid1(VALU_DEP_1)
	v_fma_f64 v[14:15], -v[20:21], v[52:53], v[14:15]
	v_div_fmas_f64 v[14:15], v[14:15], v[50:51], v[52:53]
	s_delay_alu instid0(VALU_DEP_1) | instskip(SKIP_3) | instid1(SALU_CYCLE_1)
	v_div_fixup_f64 v[14:15], v[14:15], v[8:9], |v[22:23]|
	v_mov_b64_e32 v[22:23], v[6:7]
	s_or_b32 exec_lo, exec_lo, s7
	s_and_saveexec_b32 s7, s6
	s_xor_b32 s6, exec_lo, s7
	s_cbranch_execz .LBB301_25
.LBB301_162:                            ;   in Loop: Header=BB301_4 Depth=1
	s_and_saveexec_b32 s7, s28
	s_cbranch_execz .LBB301_164
; %bb.163:                              ;   in Loop: Header=BB301_4 Depth=1
	s_delay_alu instid0(VALU_DEP_2) | instskip(NEXT) | instid1(VALU_DEP_2)
	v_mul_f64_e32 v[14:15], 0.5, v[14:15]
	v_mul_f64_e32 v[22:23], 0.5, v[22:23]
.LBB301_164:                            ;   in Loop: Header=BB301_4 Depth=1
	s_or_b32 exec_lo, exec_lo, s7
	s_and_not1_saveexec_b32 s6, s6
	s_cbranch_execnz .LBB301_26
	s_branch .LBB301_27
.LBB301_165:                            ;   in Loop: Header=BB301_4 Depth=1
	s_delay_alu instid0(VALU_DEP_1) | instskip(NEXT) | instid1(VALU_DEP_1)
	v_add_f64_e32 v[14:15], v[16:17], v[14:15]
	v_mul_f64_e32 v[14:15], 0.5, v[14:15]
	s_delay_alu instid0(VALU_DEP_1) | instskip(SKIP_1) | instid1(VALU_DEP_1)
	v_cmp_gt_f64_e32 vcc_lo, 0x10000000, v[14:15]
	v_cndmask_b32_e64 v16, 0, 0x100, vcc_lo
	v_ldexp_f64 v[14:15], v[14:15], v16
	s_delay_alu instid0(VALU_DEP_1) | instskip(SKIP_1) | instid1(TRANS32_DEP_1)
	v_rsq_f64_e32 v[16:17], v[14:15]
	v_nop
	v_mul_f64_e32 v[20:21], v[14:15], v[16:17]
	v_mul_f64_e32 v[16:17], 0.5, v[16:17]
	s_delay_alu instid0(VALU_DEP_1) | instskip(NEXT) | instid1(VALU_DEP_1)
	v_fma_f64 v[22:23], -v[16:17], v[20:21], 0.5
	v_fmac_f64_e32 v[20:21], v[20:21], v[22:23]
	v_fmac_f64_e32 v[16:17], v[16:17], v[22:23]
	s_delay_alu instid0(VALU_DEP_2) | instskip(NEXT) | instid1(VALU_DEP_1)
	v_fma_f64 v[22:23], -v[20:21], v[20:21], v[14:15]
	v_fmac_f64_e32 v[20:21], v[22:23], v[16:17]
	s_delay_alu instid0(VALU_DEP_1) | instskip(NEXT) | instid1(VALU_DEP_1)
	v_fma_f64 v[22:23], -v[20:21], v[20:21], v[14:15]
	v_fmac_f64_e32 v[20:21], v[22:23], v[16:17]
	v_cndmask_b32_e64 v16, 0, 0xffffff80, vcc_lo
	v_cmp_class_f64_e64 vcc_lo, v[14:15], 0x260
	s_delay_alu instid0(VALU_DEP_2) | instskip(NEXT) | instid1(VALU_DEP_1)
	v_ldexp_f64 v[16:17], v[20:21], v16
	v_dual_cndmask_b32 v21, v17, v15 :: v_dual_cndmask_b32 v20, v16, v14
	s_delay_alu instid0(VALU_DEP_1) | instskip(NEXT) | instid1(VALU_DEP_1)
	v_add_f64_e32 v[14:15], v[20:21], v[20:21]
	v_div_scale_f64 v[16:17], null, v[14:15], v[14:15], v[18:19]
	s_delay_alu instid0(VALU_DEP_1) | instskip(SKIP_1) | instid1(TRANS32_DEP_1)
	v_rcp_f64_e32 v[22:23], v[16:17]
	v_nop
	v_fma_f64 v[50:51], -v[16:17], v[22:23], 1.0
	s_delay_alu instid0(VALU_DEP_1) | instskip(NEXT) | instid1(VALU_DEP_1)
	v_fmac_f64_e32 v[22:23], v[22:23], v[50:51]
	v_fma_f64 v[50:51], -v[16:17], v[22:23], 1.0
	s_delay_alu instid0(VALU_DEP_1) | instskip(SKIP_1) | instid1(VALU_DEP_1)
	v_fmac_f64_e32 v[22:23], v[22:23], v[50:51]
	v_div_scale_f64 v[50:51], vcc_lo, v[18:19], v[14:15], v[18:19]
	v_mul_f64_e32 v[52:53], v[50:51], v[22:23]
	s_delay_alu instid0(VALU_DEP_1) | instskip(NEXT) | instid1(VALU_DEP_1)
	v_fma_f64 v[16:17], -v[16:17], v[52:53], v[50:51]
	v_div_fmas_f64 v[16:17], v[16:17], v[22:23], v[52:53]
	s_delay_alu instid0(VALU_DEP_1)
	v_div_fixup_f64 v[18:19], v[16:17], v[14:15], v[18:19]
                                        ; implicit-def: $vgpr14_vgpr15
	s_and_not1_saveexec_b32 s7, s7
	s_cbranch_execz .LBB301_58
.LBB301_166:                            ;   in Loop: Header=BB301_4 Depth=1
	v_add_f64_e64 v[14:15], v[14:15], -v[16:17]
	s_delay_alu instid0(VALU_DEP_1) | instskip(NEXT) | instid1(VALU_DEP_1)
	v_mul_f64_e32 v[14:15], 0.5, v[14:15]
	v_cmp_gt_f64_e32 vcc_lo, 0x10000000, v[14:15]
	v_cndmask_b32_e64 v16, 0, 0x100, vcc_lo
	s_delay_alu instid0(VALU_DEP_1) | instskip(NEXT) | instid1(VALU_DEP_1)
	v_ldexp_f64 v[14:15], v[14:15], v16
	v_rsq_f64_e32 v[16:17], v[14:15]
	v_nop
	s_delay_alu instid0(TRANS32_DEP_1) | instskip(SKIP_1) | instid1(VALU_DEP_1)
	v_mul_f64_e32 v[20:21], v[14:15], v[16:17]
	v_mul_f64_e32 v[16:17], 0.5, v[16:17]
	v_fma_f64 v[22:23], -v[16:17], v[20:21], 0.5
	s_delay_alu instid0(VALU_DEP_1) | instskip(SKIP_1) | instid1(VALU_DEP_2)
	v_fmac_f64_e32 v[20:21], v[20:21], v[22:23]
	v_fmac_f64_e32 v[16:17], v[16:17], v[22:23]
	v_fma_f64 v[22:23], -v[20:21], v[20:21], v[14:15]
	s_delay_alu instid0(VALU_DEP_1) | instskip(NEXT) | instid1(VALU_DEP_1)
	v_fmac_f64_e32 v[20:21], v[22:23], v[16:17]
	v_fma_f64 v[22:23], -v[20:21], v[20:21], v[14:15]
	s_delay_alu instid0(VALU_DEP_1) | instskip(SKIP_2) | instid1(VALU_DEP_2)
	v_fmac_f64_e32 v[20:21], v[22:23], v[16:17]
	v_cndmask_b32_e64 v16, 0, 0xffffff80, vcc_lo
	v_cmp_class_f64_e64 vcc_lo, v[14:15], 0x260
	v_ldexp_f64 v[16:17], v[20:21], v16
	v_and_b32_e32 v21, 0x7fffffff, v19
	s_delay_alu instid0(VALU_DEP_2) | instskip(NEXT) | instid1(VALU_DEP_3)
	v_dual_mov_b32 v20, v18 :: v_dual_cndmask_b32 v15, v17, v15
	v_cndmask_b32_e32 v14, v16, v14, vcc_lo
	s_delay_alu instid0(VALU_DEP_1) | instskip(SKIP_1) | instid1(VALU_DEP_2)
	v_add_f64_e32 v[16:17], v[14:15], v[14:15]
	v_bfi_b32 v15, 0x7fffffff, v15, v19
	v_div_scale_f64 v[22:23], null, v[16:17], v[16:17], v[20:21]
	v_div_scale_f64 v[20:21], vcc_lo, v[20:21], v[16:17], v[20:21]
	s_delay_alu instid0(VALU_DEP_2) | instskip(SKIP_1) | instid1(TRANS32_DEP_1)
	v_rcp_f64_e32 v[50:51], v[22:23]
	v_nop
	v_fma_f64 v[52:53], -v[22:23], v[50:51], 1.0
	s_delay_alu instid0(VALU_DEP_1) | instskip(NEXT) | instid1(VALU_DEP_1)
	v_fmac_f64_e32 v[50:51], v[50:51], v[52:53]
	v_fma_f64 v[52:53], -v[22:23], v[50:51], 1.0
	s_delay_alu instid0(VALU_DEP_1) | instskip(NEXT) | instid1(VALU_DEP_1)
	v_fmac_f64_e32 v[50:51], v[50:51], v[52:53]
	v_mul_f64_e32 v[52:53], v[20:21], v[50:51]
	s_delay_alu instid0(VALU_DEP_1) | instskip(NEXT) | instid1(VALU_DEP_1)
	v_fma_f64 v[20:21], -v[22:23], v[52:53], v[20:21]
	v_div_fmas_f64 v[20:21], v[20:21], v[50:51], v[52:53]
	s_delay_alu instid0(VALU_DEP_1) | instskip(SKIP_3) | instid1(SALU_CYCLE_1)
	v_div_fixup_f64 v[20:21], v[20:21], v[16:17], |v[18:19]|
	v_mov_b64_e32 v[18:19], v[14:15]
	s_or_b32 exec_lo, exec_lo, s7
	s_and_saveexec_b32 s7, s6
	s_xor_b32 s6, exec_lo, s7
	s_cbranch_execz .LBB301_59
.LBB301_167:                            ;   in Loop: Header=BB301_4 Depth=1
	s_and_saveexec_b32 s7, s28
	s_cbranch_execz .LBB301_169
; %bb.168:                              ;   in Loop: Header=BB301_4 Depth=1
	s_delay_alu instid0(VALU_DEP_2) | instskip(NEXT) | instid1(VALU_DEP_2)
	v_mul_f64_e32 v[20:21], 0.5, v[20:21]
	v_mul_f64_e32 v[18:19], 0.5, v[18:19]
.LBB301_169:                            ;   in Loop: Header=BB301_4 Depth=1
	s_or_b32 exec_lo, exec_lo, s7
	s_and_not1_saveexec_b32 s6, s6
	s_cbranch_execnz .LBB301_60
	s_branch .LBB301_61
.LBB301_170:                            ;   in Loop: Header=BB301_4 Depth=1
	s_delay_alu instid0(VALU_DEP_1) | instskip(NEXT) | instid1(VALU_DEP_1)
	v_add_f64_e32 v[10:11], v[10:11], v[18:19]
	v_mul_f64_e32 v[10:11], 0.5, v[10:11]
	s_delay_alu instid0(VALU_DEP_1) | instskip(SKIP_1) | instid1(VALU_DEP_1)
	v_cmp_gt_f64_e32 vcc_lo, 0x10000000, v[10:11]
	v_cndmask_b32_e64 v18, 0, 0x100, vcc_lo
	v_ldexp_f64 v[10:11], v[10:11], v18
	s_delay_alu instid0(VALU_DEP_1) | instskip(SKIP_1) | instid1(TRANS32_DEP_1)
	v_rsq_f64_e32 v[18:19], v[10:11]
	v_nop
	v_mul_f64_e32 v[20:21], v[10:11], v[18:19]
	v_mul_f64_e32 v[18:19], 0.5, v[18:19]
	s_delay_alu instid0(VALU_DEP_1) | instskip(NEXT) | instid1(VALU_DEP_1)
	v_fma_f64 v[22:23], -v[18:19], v[20:21], 0.5
	v_fmac_f64_e32 v[20:21], v[20:21], v[22:23]
	v_fmac_f64_e32 v[18:19], v[18:19], v[22:23]
	s_delay_alu instid0(VALU_DEP_2) | instskip(NEXT) | instid1(VALU_DEP_1)
	v_fma_f64 v[22:23], -v[20:21], v[20:21], v[10:11]
	v_fmac_f64_e32 v[20:21], v[22:23], v[18:19]
	s_delay_alu instid0(VALU_DEP_1) | instskip(NEXT) | instid1(VALU_DEP_1)
	v_fma_f64 v[22:23], -v[20:21], v[20:21], v[10:11]
	v_fmac_f64_e32 v[20:21], v[22:23], v[18:19]
	v_cndmask_b32_e64 v18, 0, 0xffffff80, vcc_lo
	v_cmp_class_f64_e64 vcc_lo, v[10:11], 0x260
	s_delay_alu instid0(VALU_DEP_2) | instskip(NEXT) | instid1(VALU_DEP_1)
	v_ldexp_f64 v[18:19], v[20:21], v18
	v_dual_cndmask_b32 v23, v19, v11 :: v_dual_cndmask_b32 v22, v18, v10
	s_delay_alu instid0(VALU_DEP_1) | instskip(NEXT) | instid1(VALU_DEP_1)
	v_add_f64_e32 v[10:11], v[22:23], v[22:23]
	v_div_scale_f64 v[18:19], null, v[10:11], v[10:11], v[12:13]
	s_delay_alu instid0(VALU_DEP_1) | instskip(SKIP_1) | instid1(TRANS32_DEP_1)
	v_rcp_f64_e32 v[20:21], v[18:19]
	v_nop
	v_fma_f64 v[50:51], -v[18:19], v[20:21], 1.0
	s_delay_alu instid0(VALU_DEP_1) | instskip(NEXT) | instid1(VALU_DEP_1)
	v_fmac_f64_e32 v[20:21], v[20:21], v[50:51]
	v_fma_f64 v[50:51], -v[18:19], v[20:21], 1.0
	s_delay_alu instid0(VALU_DEP_1) | instskip(SKIP_1) | instid1(VALU_DEP_1)
	v_fmac_f64_e32 v[20:21], v[20:21], v[50:51]
	v_div_scale_f64 v[50:51], vcc_lo, v[12:13], v[10:11], v[12:13]
	v_mul_f64_e32 v[52:53], v[50:51], v[20:21]
	s_delay_alu instid0(VALU_DEP_1) | instskip(NEXT) | instid1(VALU_DEP_1)
	v_fma_f64 v[18:19], -v[18:19], v[52:53], v[50:51]
	v_div_fmas_f64 v[18:19], v[18:19], v[20:21], v[52:53]
	s_delay_alu instid0(VALU_DEP_1)
	v_div_fixup_f64 v[12:13], v[18:19], v[10:11], v[12:13]
                                        ; implicit-def: $vgpr18_vgpr19
	s_and_not1_saveexec_b32 s7, s7
	s_cbranch_execz .LBB301_93
.LBB301_171:                            ;   in Loop: Header=BB301_4 Depth=1
	v_add_f64_e64 v[10:11], v[18:19], -v[10:11]
	s_delay_alu instid0(VALU_DEP_1) | instskip(NEXT) | instid1(VALU_DEP_1)
	v_mul_f64_e32 v[10:11], 0.5, v[10:11]
	v_cmp_gt_f64_e32 vcc_lo, 0x10000000, v[10:11]
	v_cndmask_b32_e64 v18, 0, 0x100, vcc_lo
	s_delay_alu instid0(VALU_DEP_1) | instskip(NEXT) | instid1(VALU_DEP_1)
	v_ldexp_f64 v[10:11], v[10:11], v18
	v_rsq_f64_e32 v[18:19], v[10:11]
	v_nop
	s_delay_alu instid0(TRANS32_DEP_1) | instskip(SKIP_1) | instid1(VALU_DEP_1)
	v_mul_f64_e32 v[20:21], v[10:11], v[18:19]
	v_mul_f64_e32 v[18:19], 0.5, v[18:19]
	v_fma_f64 v[22:23], -v[18:19], v[20:21], 0.5
	s_delay_alu instid0(VALU_DEP_1) | instskip(SKIP_1) | instid1(VALU_DEP_2)
	v_fmac_f64_e32 v[20:21], v[20:21], v[22:23]
	v_fmac_f64_e32 v[18:19], v[18:19], v[22:23]
	v_fma_f64 v[22:23], -v[20:21], v[20:21], v[10:11]
	s_delay_alu instid0(VALU_DEP_1) | instskip(NEXT) | instid1(VALU_DEP_1)
	v_fmac_f64_e32 v[20:21], v[22:23], v[18:19]
	v_fma_f64 v[22:23], -v[20:21], v[20:21], v[10:11]
	s_delay_alu instid0(VALU_DEP_1) | instskip(SKIP_2) | instid1(VALU_DEP_2)
	v_fmac_f64_e32 v[20:21], v[22:23], v[18:19]
	v_cndmask_b32_e64 v18, 0, 0xffffff80, vcc_lo
	v_cmp_class_f64_e64 vcc_lo, v[10:11], 0x260
	v_ldexp_f64 v[18:19], v[20:21], v18
	v_and_b32_e32 v21, 0x7fffffff, v13
	s_delay_alu instid0(VALU_DEP_2) | instskip(NEXT) | instid1(VALU_DEP_3)
	v_dual_mov_b32 v20, v12 :: v_dual_cndmask_b32 v11, v19, v11
	v_cndmask_b32_e32 v10, v18, v10, vcc_lo
	s_delay_alu instid0(VALU_DEP_1) | instskip(SKIP_1) | instid1(VALU_DEP_2)
	v_add_f64_e32 v[18:19], v[10:11], v[10:11]
	v_bfi_b32 v11, 0x7fffffff, v11, v13
	v_div_scale_f64 v[22:23], null, v[18:19], v[18:19], v[20:21]
	v_div_scale_f64 v[20:21], vcc_lo, v[20:21], v[18:19], v[20:21]
	s_delay_alu instid0(VALU_DEP_2) | instskip(SKIP_1) | instid1(TRANS32_DEP_1)
	v_rcp_f64_e32 v[50:51], v[22:23]
	v_nop
	v_fma_f64 v[52:53], -v[22:23], v[50:51], 1.0
	s_delay_alu instid0(VALU_DEP_1) | instskip(NEXT) | instid1(VALU_DEP_1)
	v_fmac_f64_e32 v[50:51], v[50:51], v[52:53]
	v_fma_f64 v[52:53], -v[22:23], v[50:51], 1.0
	s_delay_alu instid0(VALU_DEP_1) | instskip(NEXT) | instid1(VALU_DEP_1)
	v_fmac_f64_e32 v[50:51], v[50:51], v[52:53]
	v_mul_f64_e32 v[52:53], v[20:21], v[50:51]
	s_delay_alu instid0(VALU_DEP_1) | instskip(NEXT) | instid1(VALU_DEP_1)
	v_fma_f64 v[20:21], -v[22:23], v[52:53], v[20:21]
	v_div_fmas_f64 v[20:21], v[20:21], v[50:51], v[52:53]
	s_delay_alu instid0(VALU_DEP_1) | instskip(SKIP_3) | instid1(SALU_CYCLE_1)
	v_div_fixup_f64 v[22:23], v[20:21], v[18:19], |v[12:13]|
	v_mov_b64_e32 v[12:13], v[10:11]
	s_or_b32 exec_lo, exec_lo, s7
	s_and_saveexec_b32 s7, s6
	s_xor_b32 s6, exec_lo, s7
	s_cbranch_execz .LBB301_94
.LBB301_172:                            ;   in Loop: Header=BB301_4 Depth=1
	s_and_saveexec_b32 s7, s28
	s_cbranch_execz .LBB301_174
; %bb.173:                              ;   in Loop: Header=BB301_4 Depth=1
	s_delay_alu instid0(VALU_DEP_2) | instskip(NEXT) | instid1(VALU_DEP_2)
	v_mul_f64_e32 v[22:23], 0.5, v[22:23]
	v_mul_f64_e32 v[12:13], 0.5, v[12:13]
.LBB301_174:                            ;   in Loop: Header=BB301_4 Depth=1
	s_or_b32 exec_lo, exec_lo, s7
	s_and_not1_saveexec_b32 s6, s6
	s_cbranch_execnz .LBB301_95
	s_branch .LBB301_96
.LBB301_175:                            ;   in Loop: Header=BB301_4 Depth=1
	s_delay_alu instid0(VALU_DEP_1) | instskip(NEXT) | instid1(VALU_DEP_1)
	v_add_f64_e32 v[2:3], v[2:3], v[10:11]
	v_mul_f64_e32 v[2:3], 0.5, v[2:3]
	s_delay_alu instid0(VALU_DEP_1) | instskip(SKIP_1) | instid1(VALU_DEP_1)
	v_cmp_gt_f64_e32 vcc_lo, 0x10000000, v[2:3]
	v_cndmask_b32_e64 v10, 0, 0x100, vcc_lo
	v_ldexp_f64 v[2:3], v[2:3], v10
	s_delay_alu instid0(VALU_DEP_1) | instskip(SKIP_1) | instid1(TRANS32_DEP_1)
	v_rsq_f64_e32 v[10:11], v[2:3]
	v_nop
	v_mul_f64_e32 v[12:13], v[2:3], v[10:11]
	v_mul_f64_e32 v[10:11], 0.5, v[10:11]
	s_delay_alu instid0(VALU_DEP_1) | instskip(NEXT) | instid1(VALU_DEP_1)
	v_fma_f64 v[22:23], -v[10:11], v[12:13], 0.5
	v_fmac_f64_e32 v[12:13], v[12:13], v[22:23]
	v_fmac_f64_e32 v[10:11], v[10:11], v[22:23]
	s_delay_alu instid0(VALU_DEP_2) | instskip(NEXT) | instid1(VALU_DEP_1)
	v_fma_f64 v[22:23], -v[12:13], v[12:13], v[2:3]
	v_fmac_f64_e32 v[12:13], v[22:23], v[10:11]
	s_delay_alu instid0(VALU_DEP_1) | instskip(NEXT) | instid1(VALU_DEP_1)
	v_fma_f64 v[22:23], -v[12:13], v[12:13], v[2:3]
	v_fmac_f64_e32 v[12:13], v[22:23], v[10:11]
	v_cndmask_b32_e64 v10, 0, 0xffffff80, vcc_lo
	v_cmp_class_f64_e64 vcc_lo, v[2:3], 0x260
	s_delay_alu instid0(VALU_DEP_2) | instskip(NEXT) | instid1(VALU_DEP_1)
	v_ldexp_f64 v[10:11], v[12:13], v10
	v_dual_cndmask_b32 v23, v11, v3 :: v_dual_cndmask_b32 v22, v10, v2
	s_delay_alu instid0(VALU_DEP_1) | instskip(NEXT) | instid1(VALU_DEP_1)
	v_add_f64_e32 v[2:3], v[22:23], v[22:23]
	v_div_scale_f64 v[10:11], null, v[2:3], v[2:3], v[4:5]
	s_delay_alu instid0(VALU_DEP_1) | instskip(SKIP_1) | instid1(TRANS32_DEP_1)
	v_rcp_f64_e32 v[12:13], v[10:11]
	v_nop
	v_fma_f64 v[50:51], -v[10:11], v[12:13], 1.0
	s_delay_alu instid0(VALU_DEP_1) | instskip(NEXT) | instid1(VALU_DEP_1)
	v_fmac_f64_e32 v[12:13], v[12:13], v[50:51]
	v_fma_f64 v[50:51], -v[10:11], v[12:13], 1.0
	s_delay_alu instid0(VALU_DEP_1) | instskip(SKIP_1) | instid1(VALU_DEP_1)
	v_fmac_f64_e32 v[12:13], v[12:13], v[50:51]
	v_div_scale_f64 v[50:51], vcc_lo, v[4:5], v[2:3], v[4:5]
	v_mul_f64_e32 v[52:53], v[50:51], v[12:13]
	s_delay_alu instid0(VALU_DEP_1) | instskip(NEXT) | instid1(VALU_DEP_1)
	v_fma_f64 v[10:11], -v[10:11], v[52:53], v[50:51]
	v_div_fmas_f64 v[10:11], v[10:11], v[12:13], v[52:53]
	s_delay_alu instid0(VALU_DEP_1)
	v_div_fixup_f64 v[4:5], v[10:11], v[2:3], v[4:5]
                                        ; implicit-def: $vgpr10_vgpr11
	s_and_not1_saveexec_b32 s7, s7
	s_cbranch_execz .LBB301_128
.LBB301_176:                            ;   in Loop: Header=BB301_4 Depth=1
	v_add_f64_e64 v[2:3], v[10:11], -v[2:3]
	s_delay_alu instid0(VALU_DEP_1) | instskip(NEXT) | instid1(VALU_DEP_1)
	v_mul_f64_e32 v[2:3], 0.5, v[2:3]
	v_cmp_gt_f64_e32 vcc_lo, 0x10000000, v[2:3]
	v_cndmask_b32_e64 v10, 0, 0x100, vcc_lo
	s_delay_alu instid0(VALU_DEP_1) | instskip(NEXT) | instid1(VALU_DEP_1)
	v_ldexp_f64 v[2:3], v[2:3], v10
	v_rsq_f64_e32 v[10:11], v[2:3]
	v_nop
	s_delay_alu instid0(TRANS32_DEP_1) | instskip(SKIP_1) | instid1(VALU_DEP_1)
	v_mul_f64_e32 v[12:13], v[2:3], v[10:11]
	v_mul_f64_e32 v[10:11], 0.5, v[10:11]
	v_fma_f64 v[22:23], -v[10:11], v[12:13], 0.5
	s_delay_alu instid0(VALU_DEP_1) | instskip(SKIP_1) | instid1(VALU_DEP_2)
	v_fmac_f64_e32 v[12:13], v[12:13], v[22:23]
	v_fmac_f64_e32 v[10:11], v[10:11], v[22:23]
	v_fma_f64 v[22:23], -v[12:13], v[12:13], v[2:3]
	s_delay_alu instid0(VALU_DEP_1) | instskip(NEXT) | instid1(VALU_DEP_1)
	v_fmac_f64_e32 v[12:13], v[22:23], v[10:11]
	v_fma_f64 v[22:23], -v[12:13], v[12:13], v[2:3]
	s_delay_alu instid0(VALU_DEP_1) | instskip(SKIP_2) | instid1(VALU_DEP_2)
	v_fmac_f64_e32 v[12:13], v[22:23], v[10:11]
	v_cndmask_b32_e64 v10, 0, 0xffffff80, vcc_lo
	v_cmp_class_f64_e64 vcc_lo, v[2:3], 0x260
	v_ldexp_f64 v[10:11], v[12:13], v10
	v_and_b32_e32 v13, 0x7fffffff, v5
	s_delay_alu instid0(VALU_DEP_2) | instskip(NEXT) | instid1(VALU_DEP_3)
	v_dual_mov_b32 v12, v4 :: v_dual_cndmask_b32 v3, v11, v3
	v_cndmask_b32_e32 v2, v10, v2, vcc_lo
	s_delay_alu instid0(VALU_DEP_1) | instskip(SKIP_1) | instid1(VALU_DEP_2)
	v_add_f64_e32 v[10:11], v[2:3], v[2:3]
	v_bfi_b32 v3, 0x7fffffff, v3, v5
	v_div_scale_f64 v[22:23], null, v[10:11], v[10:11], v[12:13]
	v_div_scale_f64 v[12:13], vcc_lo, v[12:13], v[10:11], v[12:13]
	s_delay_alu instid0(VALU_DEP_2) | instskip(SKIP_1) | instid1(TRANS32_DEP_1)
	v_rcp_f64_e32 v[50:51], v[22:23]
	v_nop
	v_fma_f64 v[52:53], -v[22:23], v[50:51], 1.0
	s_delay_alu instid0(VALU_DEP_1) | instskip(NEXT) | instid1(VALU_DEP_1)
	v_fmac_f64_e32 v[50:51], v[50:51], v[52:53]
	v_fma_f64 v[52:53], -v[22:23], v[50:51], 1.0
	s_delay_alu instid0(VALU_DEP_1) | instskip(NEXT) | instid1(VALU_DEP_1)
	v_fmac_f64_e32 v[50:51], v[50:51], v[52:53]
	v_mul_f64_e32 v[52:53], v[12:13], v[50:51]
	s_delay_alu instid0(VALU_DEP_1) | instskip(NEXT) | instid1(VALU_DEP_1)
	v_fma_f64 v[12:13], -v[22:23], v[52:53], v[12:13]
	v_div_fmas_f64 v[12:13], v[12:13], v[50:51], v[52:53]
	s_delay_alu instid0(VALU_DEP_1) | instskip(SKIP_3) | instid1(SALU_CYCLE_1)
	v_div_fixup_f64 v[22:23], v[12:13], v[10:11], |v[4:5]|
	v_mov_b64_e32 v[4:5], v[2:3]
	s_or_b32 exec_lo, exec_lo, s7
	s_and_saveexec_b32 s7, s6
	s_xor_b32 s6, exec_lo, s7
	s_cbranch_execz .LBB301_129
.LBB301_177:                            ;   in Loop: Header=BB301_4 Depth=1
	s_and_saveexec_b32 s7, s28
	s_cbranch_execz .LBB301_179
; %bb.178:                              ;   in Loop: Header=BB301_4 Depth=1
	s_delay_alu instid0(VALU_DEP_2) | instskip(NEXT) | instid1(VALU_DEP_2)
	v_mul_f64_e32 v[22:23], 0.5, v[22:23]
	v_mul_f64_e32 v[4:5], 0.5, v[4:5]
.LBB301_179:                            ;   in Loop: Header=BB301_4 Depth=1
	s_or_b32 exec_lo, exec_lo, s7
	s_and_not1_saveexec_b32 s6, s6
	s_cbranch_execnz .LBB301_130
	s_branch .LBB301_131
.LBB301_180:
	s_cbranch_execz .LBB301_182
	s_branch .LBB301_345
.LBB301_181:
.LBB301_182:
	v_min_i64 v[24:25], 0x10000, s[12:13]
	v_dual_mov_b32 v3, 0 :: v_dual_lshlrev_b32 v2, 2, v0
	s_mov_b32 s2, exec_lo
	s_delay_alu instid0(VALU_DEP_1)
	v_cmpx_lt_i64_e64 v[2:3], v[24:25]
	s_cbranch_execz .LBB301_345
; %bb.183:
	s_load_b32 s4, s[0:1], 0xd3c
	v_dual_mov_b32 v1, v3 :: v_dual_lshlrev_b32 v2, 6, v0
	s_wait_xcnt 0x0
	s_add_nc_u64 s[0:1], s[8:9], s[10:11]
	s_mov_b32 s5, 0
	s_mov_b64 s[2:3], 0x7fda827999fcef32
	v_add_nc_u64_e32 v[26:27], s[0:1], v[2:3]
	s_mov_b32 s7, s5
	s_mov_b32 s8, s5
	s_wait_kmcnt 0x0
	s_and_b32 s4, s4, 0xffff
	s_delay_alu instid0(SALU_CYCLE_1)
	s_lshl_b32 s6, s4, 6
	s_branch .LBB301_185
.LBB301_184:                            ;   in Loop: Header=BB301_185 Depth=1
	s_or_b32 exec_lo, exec_lo, s0
	v_add_nc_u64_e32 v[0:1], s[4:5], v[0:1]
	s_clause 0x3
	global_store_b128 v[26:27], v[6:9], off
	global_store_b128 v[26:27], v[14:17], off offset:16
	global_store_b128 v[26:27], v[18:21], off offset:32
	;; [unrolled: 1-line block ×3, first 2 shown]
	s_wait_xcnt 0x0
	v_add_nc_u64_e32 v[26:27], s[6:7], v[26:27]
	v_lshlrev_b64_e32 v[2:3], 2, v[0:1]
	s_delay_alu instid0(VALU_DEP_1) | instskip(SKIP_1) | instid1(SALU_CYCLE_1)
	v_cmp_ge_i64_e32 vcc_lo, v[2:3], v[24:25]
	s_or_b32 s8, vcc_lo, s8
	s_and_not1_b32 exec_lo, exec_lo, s8
	s_cbranch_execz .LBB301_345
.LBB301_185:                            ; =>This Inner Loop Header: Depth=1
	s_clause 0x3
	global_load_b128 v[20:23], v[26:27], off
	global_load_b128 v[16:19], v[26:27], off offset:16
	global_load_b128 v[2:5], v[26:27], off offset:48
	;; [unrolled: 1-line block ×3, first 2 shown]
	v_mov_b64_e32 v[14:15], 0
	s_wait_loadcnt 0x3
	v_cmp_neq_f64_e32 vcc_lo, 0, v[20:21]
	v_cmp_neq_f64_e64 s0, 0, v[22:23]
	s_or_b32 s0, vcc_lo, s0
	s_wait_xcnt 0x0
	s_and_saveexec_b32 s9, s0
	s_cbranch_execz .LBB301_211
; %bb.186:                              ;   in Loop: Header=BB301_185 Depth=1
	v_mov_b64_e32 v[14:15], 0x7ff0000000000000
	s_mov_b32 s10, exec_lo
	v_cmpx_neq_f64_e64 0x7ff00000, |v[22:23]|
	s_cbranch_execz .LBB301_210
; %bb.187:                              ;   in Loop: Header=BB301_185 Depth=1
                                        ; implicit-def: $vgpr14_vgpr15
	s_mov_b32 s0, exec_lo
	v_cmpx_o_f64_e32 v[20:21], v[20:21]
	s_xor_b32 s11, exec_lo, s0
	s_cbranch_execz .LBB301_207
; %bb.188:                              ;   in Loop: Header=BB301_185 Depth=1
                                        ; implicit-def: $vgpr14_vgpr15
	s_mov_b32 s1, exec_lo
	v_cmpx_neq_f64_e64 0x7ff00000, |v[20:21]|
	s_xor_b32 s12, exec_lo, s1
	s_cbranch_execz .LBB301_201
; %bb.189:                              ;   in Loop: Header=BB301_185 Depth=1
	v_max_num_f64_e64 v[6:7], |v[22:23]|, |v[22:23]|
	v_max_num_f64_e64 v[8:9], |v[20:21]|, |v[20:21]|
                                        ; implicit-def: $sgpr13
	s_delay_alu instid0(VALU_DEP_1) | instskip(NEXT) | instid1(VALU_DEP_1)
	v_max_num_f64_e32 v[6:7], v[8:9], v[6:7]
	v_cmp_nle_f64_e64 s0, s[2:3], v[6:7]
	s_and_saveexec_b32 s1, s0
	s_delay_alu instid0(SALU_CYCLE_1)
	s_xor_b32 s1, exec_lo, s1
	s_cbranch_execz .LBB301_193
; %bb.190:                              ;   in Loop: Header=BB301_185 Depth=1
	v_cmp_ge_f64_e64 s13, 0x200000, |v[20:21]|
	v_cmp_ge_f64_e64 s14, 0x200000, |v[22:23]|
	s_and_b32 s15, s13, s14
	s_mov_b32 s13, 0
	s_and_saveexec_b32 s14, s15
	s_cbranch_execz .LBB301_192
; %bb.191:                              ;   in Loop: Header=BB301_185 Depth=1
	v_mul_f64_e32 v[20:21], 4.0, v[20:21]
	v_mul_f64_e32 v[22:23], 4.0, v[22:23]
	s_mov_b32 s13, exec_lo
.LBB301_192:                            ;   in Loop: Header=BB301_185 Depth=1
	s_or_b32 exec_lo, exec_lo, s14
.LBB301_193:                            ;   in Loop: Header=BB301_185 Depth=1
	s_and_not1_saveexec_b32 s1, s1
	s_cbranch_execz .LBB301_195
; %bb.194:                              ;   in Loop: Header=BB301_185 Depth=1
	s_delay_alu instid0(VALU_DEP_2) | instskip(NEXT) | instid1(VALU_DEP_2)
	v_ldexp_f64 v[20:21], v[20:21], -2
	v_ldexp_f64 v[22:23], v[22:23], -2
	s_and_not1_b32 s13, s13, exec_lo
.LBB301_195:                            ;   in Loop: Header=BB301_185 Depth=1
	s_or_b32 exec_lo, exec_lo, s1
	s_delay_alu instid0(VALU_DEP_1) | instskip(NEXT) | instid1(VALU_DEP_3)
	v_max_num_f64_e64 v[6:7], |v[22:23]|, |v[22:23]|
	v_max_num_f64_e64 v[8:9], |v[20:21]|, |v[20:21]|
	v_cmp_class_f64_e64 s14, v[20:21], 0x204
	v_cmp_class_f64_e64 s15, v[22:23], 0x204
	v_cmp_le_f64_e64 s1, 0, v[20:21]
	s_delay_alu instid0(VALU_DEP_4) | instskip(SKIP_1) | instid1(VALU_DEP_1)
	v_max_num_f64_e32 v[6:7], v[8:9], v[6:7]
	s_or_b32 s14, s15, s14
	v_frexp_exp_i32_f64_e32 v30, v[6:7]
	s_delay_alu instid0(VALU_DEP_1) | instskip(NEXT) | instid1(VALU_DEP_1)
	v_sub_nc_u32_e32 v8, 0, v30
	v_ldexp_f64 v[6:7], |v[22:23]|, v8
	v_ldexp_f64 v[8:9], |v[20:21]|, v8
	s_delay_alu instid0(VALU_DEP_2) | instskip(NEXT) | instid1(VALU_DEP_1)
	v_mul_f64_e32 v[6:7], v[6:7], v[6:7]
	v_fmac_f64_e32 v[6:7], v[8:9], v[8:9]
	s_delay_alu instid0(VALU_DEP_1) | instskip(SKIP_1) | instid1(TRANS32_DEP_1)
	v_rsq_f64_e32 v[8:9], v[6:7]
	v_cmp_eq_f64_e32 vcc_lo, 0, v[6:7]
	v_mul_f64_e32 v[14:15], v[6:7], v[8:9]
	v_mul_f64_e32 v[8:9], 0.5, v[8:9]
	s_delay_alu instid0(VALU_DEP_1) | instskip(NEXT) | instid1(VALU_DEP_1)
	v_fma_f64 v[28:29], -v[8:9], v[14:15], 0.5
	v_fmac_f64_e32 v[14:15], v[14:15], v[28:29]
	v_fmac_f64_e32 v[8:9], v[8:9], v[28:29]
	s_delay_alu instid0(VALU_DEP_2) | instskip(NEXT) | instid1(VALU_DEP_1)
	v_fma_f64 v[28:29], -v[14:15], v[14:15], v[6:7]
	v_fmac_f64_e32 v[14:15], v[28:29], v[8:9]
	s_delay_alu instid0(VALU_DEP_1) | instskip(SKIP_1) | instid1(VALU_DEP_2)
	v_dual_cndmask_b32 v7, v15, v7 :: v_dual_cndmask_b32 v6, v14, v6
	v_cmp_o_f64_e32 vcc_lo, v[22:23], v[22:23]
                                        ; implicit-def: $vgpr14_vgpr15
	v_ldexp_f64 v[6:7], v[6:7], v30
	s_delay_alu instid0(VALU_DEP_1) | instskip(NEXT) | instid1(VALU_DEP_2)
	v_cndmask_b32_e32 v6, 0, v6, vcc_lo
	v_cndmask_b32_e32 v7, 0x7ff80000, v7, vcc_lo
	s_delay_alu instid0(VALU_DEP_2) | instskip(NEXT) | instid1(VALU_DEP_2)
	v_cndmask_b32_e64 v6, v6, 0, s14
	v_cndmask_b32_e64 v7, v7, 0x7ff00000, s14
	s_and_saveexec_b32 s14, s1
	s_delay_alu instid0(SALU_CYCLE_1)
	s_xor_b32 s1, exec_lo, s14
	s_cbranch_execnz .LBB301_325
; %bb.196:                              ;   in Loop: Header=BB301_185 Depth=1
	s_and_not1_saveexec_b32 s1, s1
	s_cbranch_execnz .LBB301_326
.LBB301_197:                            ;   in Loop: Header=BB301_185 Depth=1
	s_or_b32 exec_lo, exec_lo, s1
	s_and_saveexec_b32 s1, s0
	s_delay_alu instid0(SALU_CYCLE_1)
	s_xor_b32 s0, exec_lo, s1
	s_cbranch_execnz .LBB301_327
.LBB301_198:                            ;   in Loop: Header=BB301_185 Depth=1
	s_and_not1_saveexec_b32 s0, s0
	s_cbranch_execz .LBB301_200
.LBB301_199:                            ;   in Loop: Header=BB301_185 Depth=1
	s_delay_alu instid0(VALU_DEP_2) | instskip(NEXT) | instid1(VALU_DEP_2)
	v_add_f64_e32 v[14:15], v[14:15], v[14:15]
	v_add_f64_e32 v[22:23], v[22:23], v[22:23]
.LBB301_200:                            ;   in Loop: Header=BB301_185 Depth=1
	s_or_b32 exec_lo, exec_lo, s0
.LBB301_201:                            ;   in Loop: Header=BB301_185 Depth=1
	s_and_not1_saveexec_b32 s0, s12
	s_cbranch_execz .LBB301_324
; %bb.202:                              ;   in Loop: Header=BB301_185 Depth=1
	s_delay_alu instid0(VALU_DEP_1) | instskip(SKIP_1) | instid1(VALU_DEP_1)
	v_add_f64_e64 v[6:7], v[22:23], -v[22:23]
	s_mov_b32 s1, exec_lo
	v_and_b32_e32 v15, 0x7fffffff, v7
	s_delay_alu instid0(VALU_DEP_2)
	v_mov_b32_e32 v14, v6
	v_cmpx_lt_i64_e32 -1, v[20:21]
	s_xor_b32 s1, exec_lo, s1
; %bb.203:                              ;   in Loop: Header=BB301_185 Depth=1
	v_bfi_b32 v7, 0x7fffffff, v7, v23
	v_mov_b64_e32 v[14:15], v[20:21]
	s_delay_alu instid0(VALU_DEP_2)
	v_mov_b64_e32 v[22:23], v[6:7]
; %bb.204:                              ;   in Loop: Header=BB301_185 Depth=1
	s_and_not1_saveexec_b32 s1, s1
; %bb.205:                              ;   in Loop: Header=BB301_185 Depth=1
	s_delay_alu instid0(VALU_DEP_1) | instskip(NEXT) | instid1(VALU_DEP_1)
	v_bfi_b32 v21, 0x7fffffff, v21, v23
	v_mov_b64_e32 v[22:23], v[20:21]
; %bb.206:                              ;   in Loop: Header=BB301_185 Depth=1
	s_or_b32 exec_lo, exec_lo, s1
	s_delay_alu instid0(SALU_CYCLE_1)
	s_or_b32 exec_lo, exec_lo, s0
.LBB301_207:                            ;   in Loop: Header=BB301_185 Depth=1
	s_and_not1_saveexec_b32 s0, s11
	s_cbranch_execz .LBB301_209
.LBB301_208:                            ;   in Loop: Header=BB301_185 Depth=1
	s_delay_alu instid0(VALU_DEP_1) | instskip(NEXT) | instid1(VALU_DEP_1)
	v_add_f64_e64 v[6:7], v[22:23], -v[22:23]
	v_div_scale_f64 v[8:9], vcc_lo, v[6:7], v[6:7], v[6:7]
	s_delay_alu instid0(VALU_DEP_1) | instskip(SKIP_1) | instid1(TRANS32_DEP_1)
	v_rcp_f64_e32 v[14:15], v[8:9]
	v_nop
	v_fma_f64 v[22:23], -v[8:9], v[14:15], 1.0
	s_delay_alu instid0(VALU_DEP_1) | instskip(NEXT) | instid1(VALU_DEP_1)
	v_fmac_f64_e32 v[14:15], v[14:15], v[22:23]
	v_fma_f64 v[22:23], -v[8:9], v[14:15], 1.0
	s_delay_alu instid0(VALU_DEP_1) | instskip(NEXT) | instid1(VALU_DEP_1)
	v_fmac_f64_e32 v[14:15], v[14:15], v[22:23]
	v_mul_f64_e32 v[22:23], v[8:9], v[14:15]
	s_delay_alu instid0(VALU_DEP_1) | instskip(NEXT) | instid1(VALU_DEP_1)
	v_fma_f64 v[8:9], -v[8:9], v[22:23], v[8:9]
	v_div_fmas_f64 v[8:9], v[8:9], v[14:15], v[22:23]
	v_mov_b64_e32 v[14:15], v[20:21]
	s_delay_alu instid0(VALU_DEP_2)
	v_div_fixup_f64 v[22:23], v[8:9], v[6:7], v[6:7]
.LBB301_209:                            ;   in Loop: Header=BB301_185 Depth=1
	s_or_b32 exec_lo, exec_lo, s0
.LBB301_210:                            ;   in Loop: Header=BB301_185 Depth=1
	s_delay_alu instid0(SALU_CYCLE_1)
	s_or_b32 exec_lo, exec_lo, s10
.LBB301_211:                            ;   in Loop: Header=BB301_185 Depth=1
	s_delay_alu instid0(SALU_CYCLE_1) | instskip(NEXT) | instid1(VALU_DEP_2)
	s_or_b32 exec_lo, exec_lo, s9
	v_cmp_gt_f64_e32 vcc_lo, 0, v[14:15]
	v_xor_b32_e32 v6, 0x80000000, v15
	v_mov_b32_e32 v20, v14
	s_delay_alu instid0(VALU_DEP_4) | instskip(SKIP_1) | instid1(VALU_DEP_3)
	v_xor_b32_e32 v7, 0x80000000, v23
	s_mov_b32 s0, exec_lo
	v_dual_mov_b32 v28, v22 :: v_dual_cndmask_b32 v21, v15, v6
	v_cmp_gt_f64_e32 vcc_lo, 0, v[22:23]
	s_delay_alu instid0(VALU_DEP_3) | instskip(NEXT) | instid1(VALU_DEP_1)
	v_cndmask_b32_e32 v29, v23, v7, vcc_lo
                                        ; implicit-def: $vgpr8_vgpr9
	v_cmpx_ge_f64_e32 v[20:21], v[28:29]
	s_xor_b32 s1, exec_lo, s0
	s_cbranch_execz .LBB301_217
; %bb.212:                              ;   in Loop: Header=BB301_185 Depth=1
	v_cmp_neq_f64_e32 vcc_lo, 0, v[14:15]
	v_cmp_neq_f64_e64 s0, 0, v[22:23]
                                        ; implicit-def: $vgpr8_vgpr9
	s_or_b32 s0, vcc_lo, s0
	s_delay_alu instid0(SALU_CYCLE_1) | instskip(NEXT) | instid1(SALU_CYCLE_1)
	s_and_saveexec_b32 s9, s0
	s_xor_b32 s0, exec_lo, s9
	s_cbranch_execz .LBB301_214
; %bb.213:                              ;   in Loop: Header=BB301_185 Depth=1
	v_div_scale_f64 v[6:7], null, v[14:15], v[14:15], v[22:23]
	v_div_scale_f64 v[28:29], vcc_lo, v[22:23], v[14:15], v[22:23]
	s_delay_alu instid0(VALU_DEP_2) | instskip(SKIP_1) | instid1(TRANS32_DEP_1)
	v_rcp_f64_e32 v[8:9], v[6:7]
	v_nop
	v_fma_f64 v[20:21], -v[6:7], v[8:9], 1.0
	s_delay_alu instid0(VALU_DEP_1) | instskip(NEXT) | instid1(VALU_DEP_1)
	v_fmac_f64_e32 v[8:9], v[8:9], v[20:21]
	v_fma_f64 v[20:21], -v[6:7], v[8:9], 1.0
	s_delay_alu instid0(VALU_DEP_1) | instskip(NEXT) | instid1(VALU_DEP_1)
	v_fmac_f64_e32 v[8:9], v[8:9], v[20:21]
	v_mul_f64_e32 v[20:21], v[28:29], v[8:9]
	s_delay_alu instid0(VALU_DEP_1) | instskip(NEXT) | instid1(VALU_DEP_1)
	v_fma_f64 v[6:7], -v[6:7], v[20:21], v[28:29]
	v_div_fmas_f64 v[6:7], v[6:7], v[8:9], v[20:21]
	s_delay_alu instid0(VALU_DEP_1) | instskip(NEXT) | instid1(VALU_DEP_1)
	v_div_fixup_f64 v[6:7], v[6:7], v[14:15], v[22:23]
	v_fmac_f64_e32 v[14:15], v[22:23], v[6:7]
	s_delay_alu instid0(VALU_DEP_1) | instskip(SKIP_1) | instid1(VALU_DEP_2)
	v_div_scale_f64 v[8:9], null, v[14:15], v[14:15], 1.0
	v_div_scale_f64 v[28:29], vcc_lo, 1.0, v[14:15], 1.0
	v_rcp_f64_e32 v[20:21], v[8:9]
	v_nop
	s_delay_alu instid0(TRANS32_DEP_1) | instskip(NEXT) | instid1(VALU_DEP_1)
	v_fma_f64 v[22:23], -v[8:9], v[20:21], 1.0
	v_fmac_f64_e32 v[20:21], v[20:21], v[22:23]
	s_delay_alu instid0(VALU_DEP_1) | instskip(NEXT) | instid1(VALU_DEP_1)
	v_fma_f64 v[22:23], -v[8:9], v[20:21], 1.0
	v_fmac_f64_e32 v[20:21], v[20:21], v[22:23]
	s_delay_alu instid0(VALU_DEP_1) | instskip(NEXT) | instid1(VALU_DEP_1)
	v_mul_f64_e32 v[22:23], v[28:29], v[20:21]
	v_fma_f64 v[8:9], -v[8:9], v[22:23], v[28:29]
                                        ; implicit-def: $vgpr28_vgpr29
	s_delay_alu instid0(VALU_DEP_1) | instskip(SKIP_1) | instid1(VALU_DEP_2)
	v_div_fmas_f64 v[8:9], v[8:9], v[20:21], v[22:23]
	v_fma_f64 v[20:21], v[6:7], 0, 1.0
	v_div_fixup_f64 v[8:9], v[8:9], v[14:15], 1.0
	v_add_f64_e64 v[14:15], -v[6:7], 0
	s_delay_alu instid0(VALU_DEP_2) | instskip(NEXT) | instid1(VALU_DEP_2)
	v_mul_f64_e32 v[6:7], v[20:21], v[8:9]
	v_mul_f64_e32 v[8:9], v[14:15], v[8:9]
                                        ; implicit-def: $vgpr20_vgpr21
.LBB301_214:                            ;   in Loop: Header=BB301_185 Depth=1
	s_and_not1_saveexec_b32 s9, s0
	s_cbranch_execz .LBB301_216
; %bb.215:                              ;   in Loop: Header=BB301_185 Depth=1
	v_div_scale_f64 v[6:7], null, v[20:21], v[20:21], 1.0
	v_div_scale_f64 v[8:9], null, v[28:29], v[28:29], 0
	v_div_scale_f64 v[34:35], vcc_lo, 1.0, v[20:21], 1.0
	s_delay_alu instid0(VALU_DEP_3) | instskip(NEXT) | instid1(VALU_DEP_2)
	v_rcp_f64_e32 v[14:15], v[6:7]
	v_rcp_f64_e32 v[22:23], v[8:9]
	s_delay_alu instid0(TRANS32_DEP_2) | instskip(NEXT) | instid1(TRANS32_DEP_1)
	v_fma_f64 v[30:31], -v[6:7], v[14:15], 1.0
	v_fma_f64 v[32:33], -v[8:9], v[22:23], 1.0
	s_delay_alu instid0(VALU_DEP_2) | instskip(NEXT) | instid1(VALU_DEP_2)
	v_fmac_f64_e32 v[14:15], v[14:15], v[30:31]
	v_fmac_f64_e32 v[22:23], v[22:23], v[32:33]
	s_delay_alu instid0(VALU_DEP_2) | instskip(NEXT) | instid1(VALU_DEP_2)
	v_fma_f64 v[30:31], -v[6:7], v[14:15], 1.0
	v_fma_f64 v[32:33], -v[8:9], v[22:23], 1.0
	s_delay_alu instid0(VALU_DEP_2) | instskip(SKIP_1) | instid1(VALU_DEP_3)
	v_fmac_f64_e32 v[14:15], v[14:15], v[30:31]
	v_div_scale_f64 v[30:31], s0, 0, v[28:29], 0
	v_fmac_f64_e32 v[22:23], v[22:23], v[32:33]
	s_delay_alu instid0(VALU_DEP_3) | instskip(NEXT) | instid1(VALU_DEP_2)
	v_mul_f64_e32 v[32:33], v[34:35], v[14:15]
	v_mul_f64_e32 v[36:37], v[30:31], v[22:23]
	s_delay_alu instid0(VALU_DEP_2) | instskip(NEXT) | instid1(VALU_DEP_2)
	v_fma_f64 v[6:7], -v[6:7], v[32:33], v[34:35]
	v_fma_f64 v[8:9], -v[8:9], v[36:37], v[30:31]
	s_delay_alu instid0(VALU_DEP_2) | instskip(SKIP_1) | instid1(VALU_DEP_2)
	v_div_fmas_f64 v[6:7], v[6:7], v[14:15], v[32:33]
	s_mov_b32 vcc_lo, s0
	v_div_fmas_f64 v[8:9], v[8:9], v[22:23], v[36:37]
	s_delay_alu instid0(VALU_DEP_2) | instskip(NEXT) | instid1(VALU_DEP_2)
	v_div_fixup_f64 v[6:7], v[6:7], v[20:21], 1.0
	v_div_fixup_f64 v[8:9], v[8:9], v[28:29], 0
.LBB301_216:                            ;   in Loop: Header=BB301_185 Depth=1
	s_or_b32 exec_lo, exec_lo, s9
                                        ; implicit-def: $vgpr22_vgpr23
                                        ; implicit-def: $vgpr14_vgpr15
.LBB301_217:                            ;   in Loop: Header=BB301_185 Depth=1
	s_and_not1_saveexec_b32 s0, s1
	s_cbranch_execz .LBB301_219
; %bb.218:                              ;   in Loop: Header=BB301_185 Depth=1
	v_div_scale_f64 v[6:7], null, v[22:23], v[22:23], v[14:15]
	v_div_scale_f64 v[28:29], vcc_lo, v[14:15], v[22:23], v[14:15]
	s_delay_alu instid0(VALU_DEP_2) | instskip(SKIP_1) | instid1(TRANS32_DEP_1)
	v_rcp_f64_e32 v[8:9], v[6:7]
	v_nop
	v_fma_f64 v[20:21], -v[6:7], v[8:9], 1.0
	s_delay_alu instid0(VALU_DEP_1) | instskip(NEXT) | instid1(VALU_DEP_1)
	v_fmac_f64_e32 v[8:9], v[8:9], v[20:21]
	v_fma_f64 v[20:21], -v[6:7], v[8:9], 1.0
	s_delay_alu instid0(VALU_DEP_1) | instskip(NEXT) | instid1(VALU_DEP_1)
	v_fmac_f64_e32 v[8:9], v[8:9], v[20:21]
	v_mul_f64_e32 v[20:21], v[28:29], v[8:9]
	s_delay_alu instid0(VALU_DEP_1) | instskip(NEXT) | instid1(VALU_DEP_1)
	v_fma_f64 v[6:7], -v[6:7], v[20:21], v[28:29]
	v_div_fmas_f64 v[6:7], v[6:7], v[8:9], v[20:21]
	s_delay_alu instid0(VALU_DEP_1) | instskip(NEXT) | instid1(VALU_DEP_1)
	v_div_fixup_f64 v[6:7], v[6:7], v[22:23], v[14:15]
	v_fmac_f64_e32 v[22:23], v[14:15], v[6:7]
	s_delay_alu instid0(VALU_DEP_1) | instskip(SKIP_1) | instid1(VALU_DEP_2)
	v_div_scale_f64 v[8:9], null, v[22:23], v[22:23], 1.0
	v_div_scale_f64 v[28:29], vcc_lo, 1.0, v[22:23], 1.0
	v_rcp_f64_e32 v[14:15], v[8:9]
	v_nop
	s_delay_alu instid0(TRANS32_DEP_1) | instskip(NEXT) | instid1(VALU_DEP_1)
	v_fma_f64 v[20:21], -v[8:9], v[14:15], 1.0
	v_fmac_f64_e32 v[14:15], v[14:15], v[20:21]
	s_delay_alu instid0(VALU_DEP_1) | instskip(NEXT) | instid1(VALU_DEP_1)
	v_fma_f64 v[20:21], -v[8:9], v[14:15], 1.0
	v_fmac_f64_e32 v[14:15], v[14:15], v[20:21]
	s_delay_alu instid0(VALU_DEP_1) | instskip(NEXT) | instid1(VALU_DEP_1)
	v_mul_f64_e32 v[20:21], v[28:29], v[14:15]
	v_fma_f64 v[8:9], -v[8:9], v[20:21], v[28:29]
	s_delay_alu instid0(VALU_DEP_1) | instskip(SKIP_2) | instid1(VALU_DEP_3)
	v_div_fmas_f64 v[8:9], v[8:9], v[14:15], v[20:21]
	v_add_f64_e32 v[14:15], 0, v[6:7]
	v_fma_f64 v[20:21], v[6:7], 0, -1.0
	v_div_fixup_f64 v[8:9], v[8:9], v[22:23], 1.0
	s_delay_alu instid0(VALU_DEP_1) | instskip(NEXT) | instid1(VALU_DEP_3)
	v_mul_f64_e32 v[6:7], v[14:15], v[8:9]
	v_mul_f64_e32 v[8:9], v[20:21], v[8:9]
.LBB301_219:                            ;   in Loop: Header=BB301_185 Depth=1
	s_or_b32 exec_lo, exec_lo, s0
	s_wait_loadcnt 0x2
	v_cmp_neq_f64_e32 vcc_lo, 0, v[16:17]
	v_cmp_neq_f64_e64 s0, 0, v[18:19]
	v_mov_b64_e32 v[20:21], 0
	s_or_b32 s0, vcc_lo, s0
	s_delay_alu instid0(SALU_CYCLE_1)
	s_and_saveexec_b32 s9, s0
	s_cbranch_execz .LBB301_246
; %bb.220:                              ;   in Loop: Header=BB301_185 Depth=1
	v_mov_b64_e32 v[20:21], 0x7ff0000000000000
	s_mov_b32 s10, exec_lo
	v_cmpx_neq_f64_e64 0x7ff00000, |v[18:19]|
	s_cbranch_execz .LBB301_245
; %bb.221:                              ;   in Loop: Header=BB301_185 Depth=1
                                        ; implicit-def: $vgpr20_vgpr21
	s_mov_b32 s0, exec_lo
	v_cmpx_o_f64_e32 v[16:17], v[16:17]
	s_xor_b32 s11, exec_lo, s0
	s_cbranch_execz .LBB301_242
; %bb.222:                              ;   in Loop: Header=BB301_185 Depth=1
                                        ; implicit-def: $vgpr20_vgpr21
	s_mov_b32 s1, exec_lo
	v_cmpx_neq_f64_e64 0x7ff00000, |v[16:17]|
	s_xor_b32 s12, exec_lo, s1
	s_cbranch_execz .LBB301_235
; %bb.223:                              ;   in Loop: Header=BB301_185 Depth=1
	v_max_num_f64_e64 v[14:15], |v[18:19]|, |v[18:19]|
	v_max_num_f64_e64 v[20:21], |v[16:17]|, |v[16:17]|
                                        ; implicit-def: $sgpr13
	s_delay_alu instid0(VALU_DEP_1) | instskip(NEXT) | instid1(VALU_DEP_1)
	v_max_num_f64_e32 v[14:15], v[20:21], v[14:15]
	v_cmp_nle_f64_e64 s0, s[2:3], v[14:15]
	s_and_saveexec_b32 s1, s0
	s_delay_alu instid0(SALU_CYCLE_1)
	s_xor_b32 s1, exec_lo, s1
	s_cbranch_execz .LBB301_227
; %bb.224:                              ;   in Loop: Header=BB301_185 Depth=1
	v_cmp_ge_f64_e64 s13, 0x200000, |v[16:17]|
	v_cmp_ge_f64_e64 s14, 0x200000, |v[18:19]|
	s_and_b32 s15, s13, s14
	s_mov_b32 s13, 0
	s_and_saveexec_b32 s14, s15
	s_cbranch_execz .LBB301_226
; %bb.225:                              ;   in Loop: Header=BB301_185 Depth=1
	v_mul_f64_e32 v[16:17], 4.0, v[16:17]
	v_mul_f64_e32 v[18:19], 4.0, v[18:19]
	s_mov_b32 s13, exec_lo
.LBB301_226:                            ;   in Loop: Header=BB301_185 Depth=1
	s_or_b32 exec_lo, exec_lo, s14
.LBB301_227:                            ;   in Loop: Header=BB301_185 Depth=1
	s_and_not1_saveexec_b32 s1, s1
	s_cbranch_execz .LBB301_229
; %bb.228:                              ;   in Loop: Header=BB301_185 Depth=1
	s_delay_alu instid0(VALU_DEP_2) | instskip(NEXT) | instid1(VALU_DEP_2)
	v_ldexp_f64 v[16:17], v[16:17], -2
	v_ldexp_f64 v[18:19], v[18:19], -2
	s_and_not1_b32 s13, s13, exec_lo
.LBB301_229:                            ;   in Loop: Header=BB301_185 Depth=1
	s_or_b32 exec_lo, exec_lo, s1
	s_delay_alu instid0(VALU_DEP_1) | instskip(NEXT) | instid1(VALU_DEP_3)
	v_max_num_f64_e64 v[14:15], |v[18:19]|, |v[18:19]|
	v_max_num_f64_e64 v[20:21], |v[16:17]|, |v[16:17]|
	v_cmp_class_f64_e64 s14, v[16:17], 0x204
	v_cmp_class_f64_e64 s15, v[18:19], 0x204
	v_cmp_le_f64_e64 s1, 0, v[16:17]
	s_delay_alu instid0(VALU_DEP_4) | instskip(SKIP_1) | instid1(VALU_DEP_1)
	v_max_num_f64_e32 v[14:15], v[20:21], v[14:15]
	s_or_b32 s14, s15, s14
	v_frexp_exp_i32_f64_e32 v30, v[14:15]
	s_delay_alu instid0(VALU_DEP_1) | instskip(NEXT) | instid1(VALU_DEP_1)
	v_sub_nc_u32_e32 v20, 0, v30
	v_ldexp_f64 v[14:15], |v[18:19]|, v20
	v_ldexp_f64 v[20:21], |v[16:17]|, v20
	s_delay_alu instid0(VALU_DEP_2) | instskip(NEXT) | instid1(VALU_DEP_1)
	v_mul_f64_e32 v[14:15], v[14:15], v[14:15]
	v_fmac_f64_e32 v[14:15], v[20:21], v[20:21]
	s_delay_alu instid0(VALU_DEP_1) | instskip(SKIP_1) | instid1(TRANS32_DEP_1)
	v_rsq_f64_e32 v[20:21], v[14:15]
	v_cmp_eq_f64_e32 vcc_lo, 0, v[14:15]
	v_mul_f64_e32 v[22:23], v[14:15], v[20:21]
	v_mul_f64_e32 v[20:21], 0.5, v[20:21]
	s_delay_alu instid0(VALU_DEP_1) | instskip(NEXT) | instid1(VALU_DEP_1)
	v_fma_f64 v[28:29], -v[20:21], v[22:23], 0.5
	v_fmac_f64_e32 v[22:23], v[22:23], v[28:29]
	v_fmac_f64_e32 v[20:21], v[20:21], v[28:29]
	s_delay_alu instid0(VALU_DEP_2) | instskip(NEXT) | instid1(VALU_DEP_1)
	v_fma_f64 v[28:29], -v[22:23], v[22:23], v[14:15]
	v_fmac_f64_e32 v[22:23], v[28:29], v[20:21]
                                        ; implicit-def: $vgpr20_vgpr21
	s_delay_alu instid0(VALU_DEP_1) | instskip(SKIP_1) | instid1(VALU_DEP_2)
	v_dual_cndmask_b32 v15, v23, v15 :: v_dual_cndmask_b32 v14, v22, v14
	v_cmp_o_f64_e32 vcc_lo, v[18:19], v[18:19]
	v_ldexp_f64 v[14:15], v[14:15], v30
	s_delay_alu instid0(VALU_DEP_1) | instskip(NEXT) | instid1(VALU_DEP_2)
	v_cndmask_b32_e32 v14, 0, v14, vcc_lo
	v_cndmask_b32_e32 v15, 0x7ff80000, v15, vcc_lo
	s_delay_alu instid0(VALU_DEP_2) | instskip(NEXT) | instid1(VALU_DEP_2)
	v_cndmask_b32_e64 v14, v14, 0, s14
	v_cndmask_b32_e64 v15, v15, 0x7ff00000, s14
	s_and_saveexec_b32 s14, s1
	s_delay_alu instid0(SALU_CYCLE_1)
	s_xor_b32 s1, exec_lo, s14
	s_cbranch_execnz .LBB301_330
; %bb.230:                              ;   in Loop: Header=BB301_185 Depth=1
	s_and_not1_saveexec_b32 s1, s1
	s_cbranch_execnz .LBB301_331
.LBB301_231:                            ;   in Loop: Header=BB301_185 Depth=1
	s_or_b32 exec_lo, exec_lo, s1
	s_and_saveexec_b32 s1, s0
	s_delay_alu instid0(SALU_CYCLE_1)
	s_xor_b32 s0, exec_lo, s1
	s_cbranch_execnz .LBB301_332
.LBB301_232:                            ;   in Loop: Header=BB301_185 Depth=1
	s_and_not1_saveexec_b32 s0, s0
	s_cbranch_execz .LBB301_234
.LBB301_233:                            ;   in Loop: Header=BB301_185 Depth=1
	s_delay_alu instid0(VALU_DEP_2) | instskip(NEXT) | instid1(VALU_DEP_2)
	v_add_f64_e32 v[20:21], v[20:21], v[20:21]
	v_add_f64_e32 v[18:19], v[18:19], v[18:19]
.LBB301_234:                            ;   in Loop: Header=BB301_185 Depth=1
	s_or_b32 exec_lo, exec_lo, s0
.LBB301_235:                            ;   in Loop: Header=BB301_185 Depth=1
	s_and_not1_saveexec_b32 s0, s12
	s_cbranch_execz .LBB301_241
; %bb.236:                              ;   in Loop: Header=BB301_185 Depth=1
	s_delay_alu instid0(VALU_DEP_1) | instskip(SKIP_1) | instid1(VALU_DEP_1)
	v_add_f64_e64 v[14:15], v[18:19], -v[18:19]
	s_mov_b32 s1, exec_lo
	v_and_b32_e32 v21, 0x7fffffff, v15
	s_delay_alu instid0(VALU_DEP_2)
	v_mov_b32_e32 v20, v14
	v_cmpx_lt_i64_e32 -1, v[16:17]
	s_xor_b32 s1, exec_lo, s1
; %bb.237:                              ;   in Loop: Header=BB301_185 Depth=1
	v_bfi_b32 v15, 0x7fffffff, v15, v19
	v_mov_b64_e32 v[20:21], v[16:17]
	s_delay_alu instid0(VALU_DEP_2)
	v_mov_b64_e32 v[18:19], v[14:15]
; %bb.238:                              ;   in Loop: Header=BB301_185 Depth=1
	s_and_not1_saveexec_b32 s1, s1
; %bb.239:                              ;   in Loop: Header=BB301_185 Depth=1
	s_delay_alu instid0(VALU_DEP_1) | instskip(NEXT) | instid1(VALU_DEP_1)
	v_bfi_b32 v17, 0x7fffffff, v17, v19
	v_mov_b64_e32 v[18:19], v[16:17]
; %bb.240:                              ;   in Loop: Header=BB301_185 Depth=1
	s_or_b32 exec_lo, exec_lo, s1
.LBB301_241:                            ;   in Loop: Header=BB301_185 Depth=1
	s_delay_alu instid0(SALU_CYCLE_1)
	s_or_b32 exec_lo, exec_lo, s0
.LBB301_242:                            ;   in Loop: Header=BB301_185 Depth=1
	s_and_not1_saveexec_b32 s0, s11
	s_cbranch_execz .LBB301_244
; %bb.243:                              ;   in Loop: Header=BB301_185 Depth=1
	s_delay_alu instid0(VALU_DEP_1) | instskip(NEXT) | instid1(VALU_DEP_1)
	v_add_f64_e64 v[14:15], v[18:19], -v[18:19]
	v_div_scale_f64 v[18:19], vcc_lo, v[14:15], v[14:15], v[14:15]
	s_delay_alu instid0(VALU_DEP_1) | instskip(SKIP_1) | instid1(TRANS32_DEP_1)
	v_rcp_f64_e32 v[20:21], v[18:19]
	v_nop
	v_fma_f64 v[22:23], -v[18:19], v[20:21], 1.0
	s_delay_alu instid0(VALU_DEP_1) | instskip(NEXT) | instid1(VALU_DEP_1)
	v_fmac_f64_e32 v[20:21], v[20:21], v[22:23]
	v_fma_f64 v[22:23], -v[18:19], v[20:21], 1.0
	s_delay_alu instid0(VALU_DEP_1) | instskip(NEXT) | instid1(VALU_DEP_1)
	v_fmac_f64_e32 v[20:21], v[20:21], v[22:23]
	v_mul_f64_e32 v[22:23], v[18:19], v[20:21]
	s_delay_alu instid0(VALU_DEP_1) | instskip(NEXT) | instid1(VALU_DEP_1)
	v_fma_f64 v[18:19], -v[18:19], v[22:23], v[18:19]
	v_div_fmas_f64 v[18:19], v[18:19], v[20:21], v[22:23]
	v_mov_b64_e32 v[20:21], v[16:17]
	s_delay_alu instid0(VALU_DEP_2)
	v_div_fixup_f64 v[18:19], v[18:19], v[14:15], v[14:15]
.LBB301_244:                            ;   in Loop: Header=BB301_185 Depth=1
	s_or_b32 exec_lo, exec_lo, s0
.LBB301_245:                            ;   in Loop: Header=BB301_185 Depth=1
	s_delay_alu instid0(SALU_CYCLE_1)
	s_or_b32 exec_lo, exec_lo, s10
.LBB301_246:                            ;   in Loop: Header=BB301_185 Depth=1
	s_delay_alu instid0(SALU_CYCLE_1) | instskip(NEXT) | instid1(VALU_DEP_1)
	s_or_b32 exec_lo, exec_lo, s9
	v_cmp_gt_f64_e32 vcc_lo, 0, v[20:21]
	v_xor_b32_e32 v14, 0x80000000, v21
	v_mov_b32_e32 v22, v20
	s_delay_alu instid0(VALU_DEP_4) | instskip(SKIP_1) | instid1(VALU_DEP_3)
	v_xor_b32_e32 v15, 0x80000000, v19
	s_mov_b32 s0, exec_lo
	v_dual_mov_b32 v28, v18 :: v_dual_cndmask_b32 v23, v21, v14
	v_cmp_gt_f64_e32 vcc_lo, 0, v[18:19]
	s_delay_alu instid0(VALU_DEP_3) | instskip(NEXT) | instid1(VALU_DEP_1)
	v_cndmask_b32_e32 v29, v19, v15, vcc_lo
                                        ; implicit-def: $vgpr16_vgpr17
	v_cmpx_ge_f64_e32 v[22:23], v[28:29]
	s_xor_b32 s1, exec_lo, s0
	s_cbranch_execz .LBB301_252
; %bb.247:                              ;   in Loop: Header=BB301_185 Depth=1
	v_cmp_neq_f64_e32 vcc_lo, 0, v[20:21]
	v_cmp_neq_f64_e64 s0, 0, v[18:19]
                                        ; implicit-def: $vgpr16_vgpr17
	s_or_b32 s0, vcc_lo, s0
	s_delay_alu instid0(SALU_CYCLE_1) | instskip(NEXT) | instid1(SALU_CYCLE_1)
	s_and_saveexec_b32 s9, s0
	s_xor_b32 s0, exec_lo, s9
	s_cbranch_execz .LBB301_249
; %bb.248:                              ;   in Loop: Header=BB301_185 Depth=1
	v_div_scale_f64 v[14:15], null, v[20:21], v[20:21], v[18:19]
	v_div_scale_f64 v[28:29], vcc_lo, v[18:19], v[20:21], v[18:19]
	s_delay_alu instid0(VALU_DEP_2) | instskip(SKIP_1) | instid1(TRANS32_DEP_1)
	v_rcp_f64_e32 v[16:17], v[14:15]
	v_nop
	v_fma_f64 v[22:23], -v[14:15], v[16:17], 1.0
	s_delay_alu instid0(VALU_DEP_1) | instskip(NEXT) | instid1(VALU_DEP_1)
	v_fmac_f64_e32 v[16:17], v[16:17], v[22:23]
	v_fma_f64 v[22:23], -v[14:15], v[16:17], 1.0
	s_delay_alu instid0(VALU_DEP_1) | instskip(NEXT) | instid1(VALU_DEP_1)
	v_fmac_f64_e32 v[16:17], v[16:17], v[22:23]
	v_mul_f64_e32 v[22:23], v[28:29], v[16:17]
	s_delay_alu instid0(VALU_DEP_1) | instskip(NEXT) | instid1(VALU_DEP_1)
	v_fma_f64 v[14:15], -v[14:15], v[22:23], v[28:29]
	v_div_fmas_f64 v[14:15], v[14:15], v[16:17], v[22:23]
	s_delay_alu instid0(VALU_DEP_1) | instskip(NEXT) | instid1(VALU_DEP_1)
	v_div_fixup_f64 v[14:15], v[14:15], v[20:21], v[18:19]
	v_fmac_f64_e32 v[20:21], v[18:19], v[14:15]
	s_delay_alu instid0(VALU_DEP_1) | instskip(SKIP_1) | instid1(VALU_DEP_2)
	v_div_scale_f64 v[16:17], null, v[20:21], v[20:21], 1.0
	v_div_scale_f64 v[28:29], vcc_lo, 1.0, v[20:21], 1.0
	v_rcp_f64_e32 v[18:19], v[16:17]
	v_nop
	s_delay_alu instid0(TRANS32_DEP_1) | instskip(NEXT) | instid1(VALU_DEP_1)
	v_fma_f64 v[22:23], -v[16:17], v[18:19], 1.0
	v_fmac_f64_e32 v[18:19], v[18:19], v[22:23]
	s_delay_alu instid0(VALU_DEP_1) | instskip(NEXT) | instid1(VALU_DEP_1)
	v_fma_f64 v[22:23], -v[16:17], v[18:19], 1.0
	v_fmac_f64_e32 v[18:19], v[18:19], v[22:23]
	s_delay_alu instid0(VALU_DEP_1) | instskip(NEXT) | instid1(VALU_DEP_1)
	v_mul_f64_e32 v[22:23], v[28:29], v[18:19]
	v_fma_f64 v[16:17], -v[16:17], v[22:23], v[28:29]
                                        ; implicit-def: $vgpr28_vgpr29
	s_delay_alu instid0(VALU_DEP_1) | instskip(SKIP_1) | instid1(VALU_DEP_2)
	v_div_fmas_f64 v[16:17], v[16:17], v[18:19], v[22:23]
	v_fma_f64 v[18:19], v[14:15], 0, 1.0
                                        ; implicit-def: $vgpr22_vgpr23
	v_div_fixup_f64 v[16:17], v[16:17], v[20:21], 1.0
	v_add_f64_e64 v[20:21], -v[14:15], 0
	s_delay_alu instid0(VALU_DEP_2) | instskip(NEXT) | instid1(VALU_DEP_2)
	v_mul_f64_e32 v[14:15], v[18:19], v[16:17]
	v_mul_f64_e32 v[16:17], v[20:21], v[16:17]
.LBB301_249:                            ;   in Loop: Header=BB301_185 Depth=1
	s_and_not1_saveexec_b32 s9, s0
	s_cbranch_execz .LBB301_251
; %bb.250:                              ;   in Loop: Header=BB301_185 Depth=1
	v_div_scale_f64 v[14:15], null, v[22:23], v[22:23], 1.0
	v_div_scale_f64 v[16:17], null, v[28:29], v[28:29], 0
	v_div_scale_f64 v[34:35], vcc_lo, 1.0, v[22:23], 1.0
	s_delay_alu instid0(VALU_DEP_3) | instskip(NEXT) | instid1(VALU_DEP_2)
	v_rcp_f64_e32 v[18:19], v[14:15]
	v_rcp_f64_e32 v[20:21], v[16:17]
	s_delay_alu instid0(TRANS32_DEP_2) | instskip(NEXT) | instid1(TRANS32_DEP_1)
	v_fma_f64 v[30:31], -v[14:15], v[18:19], 1.0
	v_fma_f64 v[32:33], -v[16:17], v[20:21], 1.0
	s_delay_alu instid0(VALU_DEP_2) | instskip(NEXT) | instid1(VALU_DEP_2)
	v_fmac_f64_e32 v[18:19], v[18:19], v[30:31]
	v_fmac_f64_e32 v[20:21], v[20:21], v[32:33]
	s_delay_alu instid0(VALU_DEP_2) | instskip(NEXT) | instid1(VALU_DEP_2)
	v_fma_f64 v[30:31], -v[14:15], v[18:19], 1.0
	v_fma_f64 v[32:33], -v[16:17], v[20:21], 1.0
	s_delay_alu instid0(VALU_DEP_2) | instskip(SKIP_1) | instid1(VALU_DEP_3)
	v_fmac_f64_e32 v[18:19], v[18:19], v[30:31]
	v_div_scale_f64 v[30:31], s0, 0, v[28:29], 0
	v_fmac_f64_e32 v[20:21], v[20:21], v[32:33]
	s_delay_alu instid0(VALU_DEP_3) | instskip(NEXT) | instid1(VALU_DEP_2)
	v_mul_f64_e32 v[32:33], v[34:35], v[18:19]
	v_mul_f64_e32 v[36:37], v[30:31], v[20:21]
	s_delay_alu instid0(VALU_DEP_2) | instskip(NEXT) | instid1(VALU_DEP_2)
	v_fma_f64 v[14:15], -v[14:15], v[32:33], v[34:35]
	v_fma_f64 v[16:17], -v[16:17], v[36:37], v[30:31]
	s_delay_alu instid0(VALU_DEP_2) | instskip(SKIP_1) | instid1(VALU_DEP_2)
	v_div_fmas_f64 v[14:15], v[14:15], v[18:19], v[32:33]
	s_mov_b32 vcc_lo, s0
	v_div_fmas_f64 v[16:17], v[16:17], v[20:21], v[36:37]
	s_delay_alu instid0(VALU_DEP_2) | instskip(NEXT) | instid1(VALU_DEP_2)
	v_div_fixup_f64 v[14:15], v[14:15], v[22:23], 1.0
	v_div_fixup_f64 v[16:17], v[16:17], v[28:29], 0
.LBB301_251:                            ;   in Loop: Header=BB301_185 Depth=1
	s_or_b32 exec_lo, exec_lo, s9
                                        ; implicit-def: $vgpr18_vgpr19
                                        ; implicit-def: $vgpr20_vgpr21
.LBB301_252:                            ;   in Loop: Header=BB301_185 Depth=1
	s_and_not1_saveexec_b32 s0, s1
	s_cbranch_execz .LBB301_254
; %bb.253:                              ;   in Loop: Header=BB301_185 Depth=1
	v_div_scale_f64 v[14:15], null, v[18:19], v[18:19], v[20:21]
	v_div_scale_f64 v[28:29], vcc_lo, v[20:21], v[18:19], v[20:21]
	s_delay_alu instid0(VALU_DEP_2) | instskip(SKIP_1) | instid1(TRANS32_DEP_1)
	v_rcp_f64_e32 v[16:17], v[14:15]
	v_nop
	v_fma_f64 v[22:23], -v[14:15], v[16:17], 1.0
	s_delay_alu instid0(VALU_DEP_1) | instskip(NEXT) | instid1(VALU_DEP_1)
	v_fmac_f64_e32 v[16:17], v[16:17], v[22:23]
	v_fma_f64 v[22:23], -v[14:15], v[16:17], 1.0
	s_delay_alu instid0(VALU_DEP_1) | instskip(NEXT) | instid1(VALU_DEP_1)
	v_fmac_f64_e32 v[16:17], v[16:17], v[22:23]
	v_mul_f64_e32 v[22:23], v[28:29], v[16:17]
	s_delay_alu instid0(VALU_DEP_1) | instskip(NEXT) | instid1(VALU_DEP_1)
	v_fma_f64 v[14:15], -v[14:15], v[22:23], v[28:29]
	v_div_fmas_f64 v[14:15], v[14:15], v[16:17], v[22:23]
	s_delay_alu instid0(VALU_DEP_1) | instskip(NEXT) | instid1(VALU_DEP_1)
	v_div_fixup_f64 v[14:15], v[14:15], v[18:19], v[20:21]
	v_fmac_f64_e32 v[18:19], v[20:21], v[14:15]
	s_delay_alu instid0(VALU_DEP_1) | instskip(SKIP_1) | instid1(VALU_DEP_2)
	v_div_scale_f64 v[16:17], null, v[18:19], v[18:19], 1.0
	v_div_scale_f64 v[28:29], vcc_lo, 1.0, v[18:19], 1.0
	v_rcp_f64_e32 v[20:21], v[16:17]
	v_nop
	s_delay_alu instid0(TRANS32_DEP_1) | instskip(NEXT) | instid1(VALU_DEP_1)
	v_fma_f64 v[22:23], -v[16:17], v[20:21], 1.0
	v_fmac_f64_e32 v[20:21], v[20:21], v[22:23]
	s_delay_alu instid0(VALU_DEP_1) | instskip(NEXT) | instid1(VALU_DEP_1)
	v_fma_f64 v[22:23], -v[16:17], v[20:21], 1.0
	v_fmac_f64_e32 v[20:21], v[20:21], v[22:23]
	s_delay_alu instid0(VALU_DEP_1) | instskip(NEXT) | instid1(VALU_DEP_1)
	v_mul_f64_e32 v[22:23], v[28:29], v[20:21]
	v_fma_f64 v[16:17], -v[16:17], v[22:23], v[28:29]
	s_delay_alu instid0(VALU_DEP_1) | instskip(SKIP_1) | instid1(VALU_DEP_2)
	v_div_fmas_f64 v[16:17], v[16:17], v[20:21], v[22:23]
	v_add_f64_e32 v[20:21], 0, v[14:15]
	v_div_fixup_f64 v[16:17], v[16:17], v[18:19], 1.0
	v_fma_f64 v[18:19], v[14:15], 0, -1.0
	s_delay_alu instid0(VALU_DEP_2) | instskip(NEXT) | instid1(VALU_DEP_2)
	v_mul_f64_e32 v[14:15], v[20:21], v[16:17]
	v_mul_f64_e32 v[16:17], v[18:19], v[16:17]
.LBB301_254:                            ;   in Loop: Header=BB301_185 Depth=1
	s_or_b32 exec_lo, exec_lo, s0
	s_wait_loadcnt 0x0
	v_cmp_neq_f64_e32 vcc_lo, 0, v[10:11]
	v_cmp_neq_f64_e64 s0, 0, v[12:13]
	v_mov_b64_e32 v[22:23], 0
	s_or_b32 s0, vcc_lo, s0
	s_delay_alu instid0(SALU_CYCLE_1)
	s_and_saveexec_b32 s9, s0
	s_cbranch_execz .LBB301_281
; %bb.255:                              ;   in Loop: Header=BB301_185 Depth=1
	v_mov_b64_e32 v[22:23], 0x7ff0000000000000
	s_mov_b32 s10, exec_lo
	v_cmpx_neq_f64_e64 0x7ff00000, |v[12:13]|
	s_cbranch_execz .LBB301_280
; %bb.256:                              ;   in Loop: Header=BB301_185 Depth=1
                                        ; implicit-def: $vgpr22_vgpr23
	s_mov_b32 s0, exec_lo
	v_cmpx_o_f64_e32 v[10:11], v[10:11]
	s_xor_b32 s11, exec_lo, s0
	s_cbranch_execz .LBB301_277
; %bb.257:                              ;   in Loop: Header=BB301_185 Depth=1
                                        ; implicit-def: $vgpr22_vgpr23
	s_mov_b32 s1, exec_lo
	v_cmpx_neq_f64_e64 0x7ff00000, |v[10:11]|
	s_xor_b32 s12, exec_lo, s1
	s_cbranch_execz .LBB301_270
; %bb.258:                              ;   in Loop: Header=BB301_185 Depth=1
	v_max_num_f64_e64 v[18:19], |v[12:13]|, |v[12:13]|
	v_max_num_f64_e64 v[20:21], |v[10:11]|, |v[10:11]|
                                        ; implicit-def: $sgpr13
	s_delay_alu instid0(VALU_DEP_1) | instskip(NEXT) | instid1(VALU_DEP_1)
	v_max_num_f64_e32 v[18:19], v[20:21], v[18:19]
	v_cmp_nle_f64_e64 s0, s[2:3], v[18:19]
	s_and_saveexec_b32 s1, s0
	s_delay_alu instid0(SALU_CYCLE_1)
	s_xor_b32 s1, exec_lo, s1
	s_cbranch_execz .LBB301_262
; %bb.259:                              ;   in Loop: Header=BB301_185 Depth=1
	v_cmp_ge_f64_e64 s13, 0x200000, |v[10:11]|
	v_cmp_ge_f64_e64 s14, 0x200000, |v[12:13]|
	s_and_b32 s15, s13, s14
	s_mov_b32 s13, 0
	s_and_saveexec_b32 s14, s15
	s_cbranch_execz .LBB301_261
; %bb.260:                              ;   in Loop: Header=BB301_185 Depth=1
	v_mul_f64_e32 v[10:11], 4.0, v[10:11]
	v_mul_f64_e32 v[12:13], 4.0, v[12:13]
	s_mov_b32 s13, exec_lo
.LBB301_261:                            ;   in Loop: Header=BB301_185 Depth=1
	s_or_b32 exec_lo, exec_lo, s14
.LBB301_262:                            ;   in Loop: Header=BB301_185 Depth=1
	s_and_not1_saveexec_b32 s1, s1
	s_cbranch_execz .LBB301_264
; %bb.263:                              ;   in Loop: Header=BB301_185 Depth=1
	s_delay_alu instid0(VALU_DEP_2) | instskip(NEXT) | instid1(VALU_DEP_2)
	v_ldexp_f64 v[10:11], v[10:11], -2
	v_ldexp_f64 v[12:13], v[12:13], -2
	s_and_not1_b32 s13, s13, exec_lo
.LBB301_264:                            ;   in Loop: Header=BB301_185 Depth=1
	s_or_b32 exec_lo, exec_lo, s1
	s_delay_alu instid0(VALU_DEP_1) | instskip(NEXT) | instid1(VALU_DEP_3)
	v_max_num_f64_e64 v[18:19], |v[12:13]|, |v[12:13]|
	v_max_num_f64_e64 v[20:21], |v[10:11]|, |v[10:11]|
	v_cmp_class_f64_e64 s14, v[10:11], 0x204
	v_cmp_class_f64_e64 s15, v[12:13], 0x204
	v_cmp_le_f64_e64 s1, 0, v[10:11]
	s_delay_alu instid0(VALU_DEP_4) | instskip(SKIP_1) | instid1(VALU_DEP_1)
	v_max_num_f64_e32 v[18:19], v[20:21], v[18:19]
	s_or_b32 s14, s15, s14
	v_frexp_exp_i32_f64_e32 v30, v[18:19]
	s_delay_alu instid0(VALU_DEP_1) | instskip(NEXT) | instid1(VALU_DEP_1)
	v_sub_nc_u32_e32 v20, 0, v30
	v_ldexp_f64 v[18:19], |v[12:13]|, v20
	v_ldexp_f64 v[20:21], |v[10:11]|, v20
	s_delay_alu instid0(VALU_DEP_2) | instskip(NEXT) | instid1(VALU_DEP_1)
	v_mul_f64_e32 v[18:19], v[18:19], v[18:19]
	v_fmac_f64_e32 v[18:19], v[20:21], v[20:21]
	s_delay_alu instid0(VALU_DEP_1) | instskip(SKIP_1) | instid1(TRANS32_DEP_1)
	v_rsq_f64_e32 v[20:21], v[18:19]
	v_cmp_eq_f64_e32 vcc_lo, 0, v[18:19]
	v_mul_f64_e32 v[22:23], v[18:19], v[20:21]
	v_mul_f64_e32 v[20:21], 0.5, v[20:21]
	s_delay_alu instid0(VALU_DEP_1) | instskip(NEXT) | instid1(VALU_DEP_1)
	v_fma_f64 v[28:29], -v[20:21], v[22:23], 0.5
	v_fmac_f64_e32 v[22:23], v[22:23], v[28:29]
	v_fmac_f64_e32 v[20:21], v[20:21], v[28:29]
	s_delay_alu instid0(VALU_DEP_2) | instskip(NEXT) | instid1(VALU_DEP_1)
	v_fma_f64 v[28:29], -v[22:23], v[22:23], v[18:19]
	v_fmac_f64_e32 v[22:23], v[28:29], v[20:21]
	s_delay_alu instid0(VALU_DEP_1) | instskip(SKIP_1) | instid1(VALU_DEP_2)
	v_dual_cndmask_b32 v19, v23, v19 :: v_dual_cndmask_b32 v18, v22, v18
	v_cmp_o_f64_e32 vcc_lo, v[12:13], v[12:13]
                                        ; implicit-def: $vgpr22_vgpr23
	v_ldexp_f64 v[18:19], v[18:19], v30
	s_delay_alu instid0(VALU_DEP_1) | instskip(NEXT) | instid1(VALU_DEP_2)
	v_cndmask_b32_e32 v18, 0, v18, vcc_lo
	v_cndmask_b32_e32 v19, 0x7ff80000, v19, vcc_lo
	s_delay_alu instid0(VALU_DEP_2) | instskip(NEXT) | instid1(VALU_DEP_2)
	v_cndmask_b32_e64 v18, v18, 0, s14
	v_cndmask_b32_e64 v19, v19, 0x7ff00000, s14
	s_and_saveexec_b32 s14, s1
	s_delay_alu instid0(SALU_CYCLE_1)
	s_xor_b32 s1, exec_lo, s14
	s_cbranch_execnz .LBB301_335
; %bb.265:                              ;   in Loop: Header=BB301_185 Depth=1
	s_and_not1_saveexec_b32 s1, s1
	s_cbranch_execnz .LBB301_336
.LBB301_266:                            ;   in Loop: Header=BB301_185 Depth=1
	s_or_b32 exec_lo, exec_lo, s1
	s_and_saveexec_b32 s1, s0
	s_delay_alu instid0(SALU_CYCLE_1)
	s_xor_b32 s0, exec_lo, s1
	s_cbranch_execnz .LBB301_337
.LBB301_267:                            ;   in Loop: Header=BB301_185 Depth=1
	s_and_not1_saveexec_b32 s0, s0
	s_cbranch_execz .LBB301_269
.LBB301_268:                            ;   in Loop: Header=BB301_185 Depth=1
	s_delay_alu instid0(VALU_DEP_2) | instskip(NEXT) | instid1(VALU_DEP_2)
	v_add_f64_e32 v[22:23], v[22:23], v[22:23]
	v_add_f64_e32 v[12:13], v[12:13], v[12:13]
.LBB301_269:                            ;   in Loop: Header=BB301_185 Depth=1
	s_or_b32 exec_lo, exec_lo, s0
.LBB301_270:                            ;   in Loop: Header=BB301_185 Depth=1
	s_and_not1_saveexec_b32 s0, s12
	s_cbranch_execz .LBB301_276
; %bb.271:                              ;   in Loop: Header=BB301_185 Depth=1
	s_delay_alu instid0(VALU_DEP_1) | instskip(SKIP_1) | instid1(VALU_DEP_1)
	v_add_f64_e64 v[18:19], v[12:13], -v[12:13]
	s_mov_b32 s1, exec_lo
	v_and_b32_e32 v23, 0x7fffffff, v19
	s_delay_alu instid0(VALU_DEP_2)
	v_mov_b32_e32 v22, v18
	v_cmpx_lt_i64_e32 -1, v[10:11]
	s_xor_b32 s1, exec_lo, s1
; %bb.272:                              ;   in Loop: Header=BB301_185 Depth=1
	v_bfi_b32 v19, 0x7fffffff, v19, v13
	v_mov_b64_e32 v[22:23], v[10:11]
	s_delay_alu instid0(VALU_DEP_2)
	v_mov_b64_e32 v[12:13], v[18:19]
; %bb.273:                              ;   in Loop: Header=BB301_185 Depth=1
	s_and_not1_saveexec_b32 s1, s1
; %bb.274:                              ;   in Loop: Header=BB301_185 Depth=1
	s_delay_alu instid0(VALU_DEP_1) | instskip(NEXT) | instid1(VALU_DEP_1)
	v_bfi_b32 v11, 0x7fffffff, v11, v13
	v_mov_b64_e32 v[12:13], v[10:11]
; %bb.275:                              ;   in Loop: Header=BB301_185 Depth=1
	s_or_b32 exec_lo, exec_lo, s1
.LBB301_276:                            ;   in Loop: Header=BB301_185 Depth=1
	s_delay_alu instid0(SALU_CYCLE_1)
	s_or_b32 exec_lo, exec_lo, s0
.LBB301_277:                            ;   in Loop: Header=BB301_185 Depth=1
	s_and_not1_saveexec_b32 s0, s11
	s_cbranch_execz .LBB301_279
; %bb.278:                              ;   in Loop: Header=BB301_185 Depth=1
	s_delay_alu instid0(VALU_DEP_1) | instskip(NEXT) | instid1(VALU_DEP_1)
	v_add_f64_e64 v[12:13], v[12:13], -v[12:13]
	v_div_scale_f64 v[18:19], vcc_lo, v[12:13], v[12:13], v[12:13]
	s_delay_alu instid0(VALU_DEP_1) | instskip(SKIP_1) | instid1(TRANS32_DEP_1)
	v_rcp_f64_e32 v[20:21], v[18:19]
	v_nop
	v_fma_f64 v[22:23], -v[18:19], v[20:21], 1.0
	s_delay_alu instid0(VALU_DEP_1) | instskip(NEXT) | instid1(VALU_DEP_1)
	v_fmac_f64_e32 v[20:21], v[20:21], v[22:23]
	v_fma_f64 v[22:23], -v[18:19], v[20:21], 1.0
	s_delay_alu instid0(VALU_DEP_1) | instskip(NEXT) | instid1(VALU_DEP_1)
	v_fmac_f64_e32 v[20:21], v[20:21], v[22:23]
	v_mul_f64_e32 v[22:23], v[18:19], v[20:21]
	s_delay_alu instid0(VALU_DEP_1) | instskip(NEXT) | instid1(VALU_DEP_1)
	v_fma_f64 v[18:19], -v[18:19], v[22:23], v[18:19]
	v_div_fmas_f64 v[18:19], v[18:19], v[20:21], v[22:23]
	v_mov_b64_e32 v[22:23], v[10:11]
	s_delay_alu instid0(VALU_DEP_2)
	v_div_fixup_f64 v[12:13], v[18:19], v[12:13], v[12:13]
.LBB301_279:                            ;   in Loop: Header=BB301_185 Depth=1
	s_or_b32 exec_lo, exec_lo, s0
.LBB301_280:                            ;   in Loop: Header=BB301_185 Depth=1
	s_delay_alu instid0(SALU_CYCLE_1)
	s_or_b32 exec_lo, exec_lo, s10
.LBB301_281:                            ;   in Loop: Header=BB301_185 Depth=1
	s_delay_alu instid0(SALU_CYCLE_1) | instskip(NEXT) | instid1(VALU_DEP_1)
	s_or_b32 exec_lo, exec_lo, s9
	v_cmp_gt_f64_e32 vcc_lo, 0, v[22:23]
	v_xor_b32_e32 v11, 0x80000000, v23
	v_mov_b32_e32 v10, v22
	s_delay_alu instid0(VALU_DEP_4) | instskip(SKIP_1) | instid1(VALU_DEP_3)
	v_xor_b32_e32 v18, 0x80000000, v13
	s_mov_b32 s0, exec_lo
	v_dual_mov_b32 v28, v12 :: v_dual_cndmask_b32 v11, v23, v11
	v_cmp_gt_f64_e32 vcc_lo, 0, v[12:13]
	s_delay_alu instid0(VALU_DEP_3) | instskip(NEXT) | instid1(VALU_DEP_1)
	v_cndmask_b32_e32 v29, v13, v18, vcc_lo
                                        ; implicit-def: $vgpr20_vgpr21
	v_cmpx_ge_f64_e32 v[10:11], v[28:29]
	s_xor_b32 s1, exec_lo, s0
	s_cbranch_execz .LBB301_287
; %bb.282:                              ;   in Loop: Header=BB301_185 Depth=1
	v_cmp_neq_f64_e32 vcc_lo, 0, v[22:23]
	v_cmp_neq_f64_e64 s0, 0, v[12:13]
                                        ; implicit-def: $vgpr20_vgpr21
	s_or_b32 s0, vcc_lo, s0
	s_delay_alu instid0(SALU_CYCLE_1) | instskip(NEXT) | instid1(SALU_CYCLE_1)
	s_and_saveexec_b32 s9, s0
	s_xor_b32 s0, exec_lo, s9
	s_cbranch_execz .LBB301_284
; %bb.283:                              ;   in Loop: Header=BB301_185 Depth=1
	v_div_scale_f64 v[10:11], null, v[22:23], v[22:23], v[12:13]
	v_div_scale_f64 v[28:29], vcc_lo, v[12:13], v[22:23], v[12:13]
	s_delay_alu instid0(VALU_DEP_2) | instskip(SKIP_1) | instid1(TRANS32_DEP_1)
	v_rcp_f64_e32 v[18:19], v[10:11]
	v_nop
	v_fma_f64 v[20:21], -v[10:11], v[18:19], 1.0
	s_delay_alu instid0(VALU_DEP_1) | instskip(NEXT) | instid1(VALU_DEP_1)
	v_fmac_f64_e32 v[18:19], v[18:19], v[20:21]
	v_fma_f64 v[20:21], -v[10:11], v[18:19], 1.0
	s_delay_alu instid0(VALU_DEP_1) | instskip(NEXT) | instid1(VALU_DEP_1)
	v_fmac_f64_e32 v[18:19], v[18:19], v[20:21]
	v_mul_f64_e32 v[20:21], v[28:29], v[18:19]
	s_delay_alu instid0(VALU_DEP_1) | instskip(NEXT) | instid1(VALU_DEP_1)
	v_fma_f64 v[10:11], -v[10:11], v[20:21], v[28:29]
	v_div_fmas_f64 v[10:11], v[10:11], v[18:19], v[20:21]
	s_delay_alu instid0(VALU_DEP_1) | instskip(NEXT) | instid1(VALU_DEP_1)
	v_div_fixup_f64 v[10:11], v[10:11], v[22:23], v[12:13]
	v_fmac_f64_e32 v[22:23], v[12:13], v[10:11]
	s_delay_alu instid0(VALU_DEP_1) | instskip(SKIP_1) | instid1(VALU_DEP_2)
	v_div_scale_f64 v[12:13], null, v[22:23], v[22:23], 1.0
	v_div_scale_f64 v[28:29], vcc_lo, 1.0, v[22:23], 1.0
	v_rcp_f64_e32 v[18:19], v[12:13]
	v_nop
	s_delay_alu instid0(TRANS32_DEP_1) | instskip(NEXT) | instid1(VALU_DEP_1)
	v_fma_f64 v[20:21], -v[12:13], v[18:19], 1.0
	v_fmac_f64_e32 v[18:19], v[18:19], v[20:21]
	s_delay_alu instid0(VALU_DEP_1) | instskip(NEXT) | instid1(VALU_DEP_1)
	v_fma_f64 v[20:21], -v[12:13], v[18:19], 1.0
	v_fmac_f64_e32 v[18:19], v[18:19], v[20:21]
	s_delay_alu instid0(VALU_DEP_1) | instskip(NEXT) | instid1(VALU_DEP_1)
	v_mul_f64_e32 v[20:21], v[28:29], v[18:19]
	v_fma_f64 v[12:13], -v[12:13], v[20:21], v[28:29]
                                        ; implicit-def: $vgpr28_vgpr29
	s_delay_alu instid0(VALU_DEP_1) | instskip(SKIP_2) | instid1(VALU_DEP_3)
	v_div_fmas_f64 v[12:13], v[12:13], v[18:19], v[20:21]
	v_fma_f64 v[18:19], v[10:11], 0, 1.0
	v_add_f64_e64 v[10:11], -v[10:11], 0
	v_div_fixup_f64 v[12:13], v[12:13], v[22:23], 1.0
	s_delay_alu instid0(VALU_DEP_1) | instskip(NEXT) | instid1(VALU_DEP_3)
	v_mul_f64_e32 v[18:19], v[18:19], v[12:13]
	v_mul_f64_e32 v[20:21], v[10:11], v[12:13]
                                        ; implicit-def: $vgpr10_vgpr11
.LBB301_284:                            ;   in Loop: Header=BB301_185 Depth=1
	s_and_not1_saveexec_b32 s9, s0
	s_cbranch_execz .LBB301_286
; %bb.285:                              ;   in Loop: Header=BB301_185 Depth=1
	v_div_scale_f64 v[12:13], null, v[10:11], v[10:11], 1.0
	v_div_scale_f64 v[18:19], null, v[28:29], v[28:29], 0
	v_div_scale_f64 v[34:35], vcc_lo, 1.0, v[10:11], 1.0
	s_delay_alu instid0(VALU_DEP_3) | instskip(NEXT) | instid1(VALU_DEP_2)
	v_rcp_f64_e32 v[20:21], v[12:13]
	v_rcp_f64_e32 v[22:23], v[18:19]
	s_delay_alu instid0(TRANS32_DEP_2) | instskip(NEXT) | instid1(TRANS32_DEP_1)
	v_fma_f64 v[30:31], -v[12:13], v[20:21], 1.0
	v_fma_f64 v[32:33], -v[18:19], v[22:23], 1.0
	s_delay_alu instid0(VALU_DEP_2) | instskip(NEXT) | instid1(VALU_DEP_2)
	v_fmac_f64_e32 v[20:21], v[20:21], v[30:31]
	v_fmac_f64_e32 v[22:23], v[22:23], v[32:33]
	s_delay_alu instid0(VALU_DEP_2) | instskip(NEXT) | instid1(VALU_DEP_2)
	v_fma_f64 v[30:31], -v[12:13], v[20:21], 1.0
	v_fma_f64 v[32:33], -v[18:19], v[22:23], 1.0
	s_delay_alu instid0(VALU_DEP_2) | instskip(SKIP_1) | instid1(VALU_DEP_3)
	v_fmac_f64_e32 v[20:21], v[20:21], v[30:31]
	v_div_scale_f64 v[30:31], s0, 0, v[28:29], 0
	v_fmac_f64_e32 v[22:23], v[22:23], v[32:33]
	s_delay_alu instid0(VALU_DEP_3) | instskip(NEXT) | instid1(VALU_DEP_2)
	v_mul_f64_e32 v[32:33], v[34:35], v[20:21]
	v_mul_f64_e32 v[36:37], v[30:31], v[22:23]
	s_delay_alu instid0(VALU_DEP_2) | instskip(NEXT) | instid1(VALU_DEP_2)
	v_fma_f64 v[12:13], -v[12:13], v[32:33], v[34:35]
	v_fma_f64 v[18:19], -v[18:19], v[36:37], v[30:31]
	s_delay_alu instid0(VALU_DEP_2) | instskip(SKIP_1) | instid1(VALU_DEP_2)
	v_div_fmas_f64 v[12:13], v[12:13], v[20:21], v[32:33]
	s_mov_b32 vcc_lo, s0
	v_div_fmas_f64 v[20:21], v[18:19], v[22:23], v[36:37]
	s_delay_alu instid0(VALU_DEP_2) | instskip(NEXT) | instid1(VALU_DEP_2)
	v_div_fixup_f64 v[18:19], v[12:13], v[10:11], 1.0
	v_div_fixup_f64 v[20:21], v[20:21], v[28:29], 0
.LBB301_286:                            ;   in Loop: Header=BB301_185 Depth=1
	s_or_b32 exec_lo, exec_lo, s9
                                        ; implicit-def: $vgpr12_vgpr13
                                        ; implicit-def: $vgpr22_vgpr23
.LBB301_287:                            ;   in Loop: Header=BB301_185 Depth=1
	s_and_not1_saveexec_b32 s0, s1
	s_cbranch_execz .LBB301_289
; %bb.288:                              ;   in Loop: Header=BB301_185 Depth=1
	v_div_scale_f64 v[10:11], null, v[12:13], v[12:13], v[22:23]
	v_div_scale_f64 v[28:29], vcc_lo, v[22:23], v[12:13], v[22:23]
	s_delay_alu instid0(VALU_DEP_2) | instskip(SKIP_1) | instid1(TRANS32_DEP_1)
	v_rcp_f64_e32 v[18:19], v[10:11]
	v_nop
	v_fma_f64 v[20:21], -v[10:11], v[18:19], 1.0
	s_delay_alu instid0(VALU_DEP_1) | instskip(NEXT) | instid1(VALU_DEP_1)
	v_fmac_f64_e32 v[18:19], v[18:19], v[20:21]
	v_fma_f64 v[20:21], -v[10:11], v[18:19], 1.0
	s_delay_alu instid0(VALU_DEP_1) | instskip(NEXT) | instid1(VALU_DEP_1)
	v_fmac_f64_e32 v[18:19], v[18:19], v[20:21]
	v_mul_f64_e32 v[20:21], v[28:29], v[18:19]
	s_delay_alu instid0(VALU_DEP_1) | instskip(NEXT) | instid1(VALU_DEP_1)
	v_fma_f64 v[10:11], -v[10:11], v[20:21], v[28:29]
	v_div_fmas_f64 v[10:11], v[10:11], v[18:19], v[20:21]
	s_delay_alu instid0(VALU_DEP_1) | instskip(NEXT) | instid1(VALU_DEP_1)
	v_div_fixup_f64 v[10:11], v[10:11], v[12:13], v[22:23]
	v_fmac_f64_e32 v[12:13], v[22:23], v[10:11]
	s_delay_alu instid0(VALU_DEP_1) | instskip(SKIP_1) | instid1(VALU_DEP_2)
	v_div_scale_f64 v[18:19], null, v[12:13], v[12:13], 1.0
	v_div_scale_f64 v[28:29], vcc_lo, 1.0, v[12:13], 1.0
	v_rcp_f64_e32 v[20:21], v[18:19]
	v_nop
	s_delay_alu instid0(TRANS32_DEP_1) | instskip(NEXT) | instid1(VALU_DEP_1)
	v_fma_f64 v[22:23], -v[18:19], v[20:21], 1.0
	v_fmac_f64_e32 v[20:21], v[20:21], v[22:23]
	s_delay_alu instid0(VALU_DEP_1) | instskip(NEXT) | instid1(VALU_DEP_1)
	v_fma_f64 v[22:23], -v[18:19], v[20:21], 1.0
	v_fmac_f64_e32 v[20:21], v[20:21], v[22:23]
	s_delay_alu instid0(VALU_DEP_1) | instskip(NEXT) | instid1(VALU_DEP_1)
	v_mul_f64_e32 v[22:23], v[28:29], v[20:21]
	v_fma_f64 v[18:19], -v[18:19], v[22:23], v[28:29]
	s_delay_alu instid0(VALU_DEP_1) | instskip(SKIP_2) | instid1(VALU_DEP_3)
	v_div_fmas_f64 v[18:19], v[18:19], v[20:21], v[22:23]
	v_add_f64_e32 v[20:21], 0, v[10:11]
	v_fma_f64 v[10:11], v[10:11], 0, -1.0
	v_div_fixup_f64 v[12:13], v[18:19], v[12:13], 1.0
	s_delay_alu instid0(VALU_DEP_1) | instskip(NEXT) | instid1(VALU_DEP_3)
	v_mul_f64_e32 v[18:19], v[20:21], v[12:13]
	v_mul_f64_e32 v[20:21], v[10:11], v[12:13]
.LBB301_289:                            ;   in Loop: Header=BB301_185 Depth=1
	s_or_b32 exec_lo, exec_lo, s0
	v_cmp_neq_f64_e32 vcc_lo, 0, v[2:3]
	v_cmp_neq_f64_e64 s0, 0, v[4:5]
	v_mov_b64_e32 v[22:23], 0
	s_or_b32 s0, vcc_lo, s0
	s_delay_alu instid0(SALU_CYCLE_1)
	s_and_saveexec_b32 s9, s0
	s_cbranch_execz .LBB301_316
; %bb.290:                              ;   in Loop: Header=BB301_185 Depth=1
	v_mov_b64_e32 v[22:23], 0x7ff0000000000000
	s_mov_b32 s10, exec_lo
	v_cmpx_neq_f64_e64 0x7ff00000, |v[4:5]|
	s_cbranch_execz .LBB301_315
; %bb.291:                              ;   in Loop: Header=BB301_185 Depth=1
                                        ; implicit-def: $vgpr22_vgpr23
	s_mov_b32 s0, exec_lo
	v_cmpx_o_f64_e32 v[2:3], v[2:3]
	s_xor_b32 s11, exec_lo, s0
	s_cbranch_execz .LBB301_312
; %bb.292:                              ;   in Loop: Header=BB301_185 Depth=1
                                        ; implicit-def: $vgpr22_vgpr23
	s_mov_b32 s1, exec_lo
	v_cmpx_neq_f64_e64 0x7ff00000, |v[2:3]|
	s_xor_b32 s12, exec_lo, s1
	s_cbranch_execz .LBB301_305
; %bb.293:                              ;   in Loop: Header=BB301_185 Depth=1
	v_max_num_f64_e64 v[10:11], |v[4:5]|, |v[4:5]|
	v_max_num_f64_e64 v[12:13], |v[2:3]|, |v[2:3]|
                                        ; implicit-def: $sgpr13
	s_delay_alu instid0(VALU_DEP_1) | instskip(NEXT) | instid1(VALU_DEP_1)
	v_max_num_f64_e32 v[10:11], v[12:13], v[10:11]
	v_cmp_nle_f64_e64 s0, s[2:3], v[10:11]
	s_and_saveexec_b32 s1, s0
	s_delay_alu instid0(SALU_CYCLE_1)
	s_xor_b32 s1, exec_lo, s1
	s_cbranch_execz .LBB301_297
; %bb.294:                              ;   in Loop: Header=BB301_185 Depth=1
	v_cmp_ge_f64_e64 s13, 0x200000, |v[2:3]|
	v_cmp_ge_f64_e64 s14, 0x200000, |v[4:5]|
	s_and_b32 s15, s13, s14
	s_mov_b32 s13, 0
	s_and_saveexec_b32 s14, s15
	s_cbranch_execz .LBB301_296
; %bb.295:                              ;   in Loop: Header=BB301_185 Depth=1
	v_mul_f64_e32 v[2:3], 4.0, v[2:3]
	v_mul_f64_e32 v[4:5], 4.0, v[4:5]
	s_mov_b32 s13, exec_lo
.LBB301_296:                            ;   in Loop: Header=BB301_185 Depth=1
	s_or_b32 exec_lo, exec_lo, s14
.LBB301_297:                            ;   in Loop: Header=BB301_185 Depth=1
	s_and_not1_saveexec_b32 s1, s1
	s_cbranch_execz .LBB301_299
; %bb.298:                              ;   in Loop: Header=BB301_185 Depth=1
	s_delay_alu instid0(VALU_DEP_2) | instskip(NEXT) | instid1(VALU_DEP_2)
	v_ldexp_f64 v[2:3], v[2:3], -2
	v_ldexp_f64 v[4:5], v[4:5], -2
	s_and_not1_b32 s13, s13, exec_lo
.LBB301_299:                            ;   in Loop: Header=BB301_185 Depth=1
	s_or_b32 exec_lo, exec_lo, s1
	s_delay_alu instid0(VALU_DEP_1) | instskip(NEXT) | instid1(VALU_DEP_3)
	v_max_num_f64_e64 v[10:11], |v[4:5]|, |v[4:5]|
	v_max_num_f64_e64 v[12:13], |v[2:3]|, |v[2:3]|
	v_cmp_class_f64_e64 s14, v[2:3], 0x204
	v_cmp_class_f64_e64 s15, v[4:5], 0x204
	v_cmp_le_f64_e64 s1, 0, v[2:3]
	s_delay_alu instid0(VALU_DEP_4) | instskip(SKIP_1) | instid1(VALU_DEP_1)
	v_max_num_f64_e32 v[10:11], v[12:13], v[10:11]
	s_or_b32 s14, s15, s14
	v_frexp_exp_i32_f64_e32 v30, v[10:11]
	s_delay_alu instid0(VALU_DEP_1) | instskip(NEXT) | instid1(VALU_DEP_1)
	v_sub_nc_u32_e32 v12, 0, v30
	v_ldexp_f64 v[10:11], |v[4:5]|, v12
	v_ldexp_f64 v[12:13], |v[2:3]|, v12
	s_delay_alu instid0(VALU_DEP_2) | instskip(NEXT) | instid1(VALU_DEP_1)
	v_mul_f64_e32 v[10:11], v[10:11], v[10:11]
	v_fmac_f64_e32 v[10:11], v[12:13], v[12:13]
	s_delay_alu instid0(VALU_DEP_1) | instskip(SKIP_1) | instid1(TRANS32_DEP_1)
	v_rsq_f64_e32 v[12:13], v[10:11]
	v_cmp_eq_f64_e32 vcc_lo, 0, v[10:11]
	v_mul_f64_e32 v[22:23], v[10:11], v[12:13]
	v_mul_f64_e32 v[12:13], 0.5, v[12:13]
	s_delay_alu instid0(VALU_DEP_1) | instskip(NEXT) | instid1(VALU_DEP_1)
	v_fma_f64 v[28:29], -v[12:13], v[22:23], 0.5
	v_fmac_f64_e32 v[22:23], v[22:23], v[28:29]
	v_fmac_f64_e32 v[12:13], v[12:13], v[28:29]
	s_delay_alu instid0(VALU_DEP_2) | instskip(NEXT) | instid1(VALU_DEP_1)
	v_fma_f64 v[28:29], -v[22:23], v[22:23], v[10:11]
	v_fmac_f64_e32 v[22:23], v[28:29], v[12:13]
	s_delay_alu instid0(VALU_DEP_1) | instskip(SKIP_1) | instid1(VALU_DEP_2)
	v_dual_cndmask_b32 v11, v23, v11 :: v_dual_cndmask_b32 v10, v22, v10
	v_cmp_o_f64_e32 vcc_lo, v[4:5], v[4:5]
                                        ; implicit-def: $vgpr22_vgpr23
	v_ldexp_f64 v[10:11], v[10:11], v30
	s_delay_alu instid0(VALU_DEP_1) | instskip(NEXT) | instid1(VALU_DEP_2)
	v_cndmask_b32_e32 v10, 0, v10, vcc_lo
	v_cndmask_b32_e32 v11, 0x7ff80000, v11, vcc_lo
	s_delay_alu instid0(VALU_DEP_2) | instskip(NEXT) | instid1(VALU_DEP_2)
	v_cndmask_b32_e64 v10, v10, 0, s14
	v_cndmask_b32_e64 v11, v11, 0x7ff00000, s14
	s_and_saveexec_b32 s14, s1
	s_delay_alu instid0(SALU_CYCLE_1)
	s_xor_b32 s1, exec_lo, s14
	s_cbranch_execnz .LBB301_340
; %bb.300:                              ;   in Loop: Header=BB301_185 Depth=1
	s_and_not1_saveexec_b32 s1, s1
	s_cbranch_execnz .LBB301_341
.LBB301_301:                            ;   in Loop: Header=BB301_185 Depth=1
	s_or_b32 exec_lo, exec_lo, s1
	s_and_saveexec_b32 s1, s0
	s_delay_alu instid0(SALU_CYCLE_1)
	s_xor_b32 s0, exec_lo, s1
	s_cbranch_execnz .LBB301_342
.LBB301_302:                            ;   in Loop: Header=BB301_185 Depth=1
	s_and_not1_saveexec_b32 s0, s0
	s_cbranch_execz .LBB301_304
.LBB301_303:                            ;   in Loop: Header=BB301_185 Depth=1
	s_delay_alu instid0(VALU_DEP_2) | instskip(NEXT) | instid1(VALU_DEP_2)
	v_add_f64_e32 v[22:23], v[22:23], v[22:23]
	v_add_f64_e32 v[4:5], v[4:5], v[4:5]
.LBB301_304:                            ;   in Loop: Header=BB301_185 Depth=1
	s_or_b32 exec_lo, exec_lo, s0
.LBB301_305:                            ;   in Loop: Header=BB301_185 Depth=1
	s_and_not1_saveexec_b32 s0, s12
	s_cbranch_execz .LBB301_311
; %bb.306:                              ;   in Loop: Header=BB301_185 Depth=1
	s_delay_alu instid0(VALU_DEP_1) | instskip(SKIP_1) | instid1(VALU_DEP_1)
	v_add_f64_e64 v[10:11], v[4:5], -v[4:5]
	s_mov_b32 s1, exec_lo
	v_and_b32_e32 v23, 0x7fffffff, v11
	s_delay_alu instid0(VALU_DEP_2)
	v_mov_b32_e32 v22, v10
	v_cmpx_lt_i64_e32 -1, v[2:3]
	s_xor_b32 s1, exec_lo, s1
; %bb.307:                              ;   in Loop: Header=BB301_185 Depth=1
	v_bfi_b32 v11, 0x7fffffff, v11, v5
	v_mov_b64_e32 v[22:23], v[2:3]
	s_delay_alu instid0(VALU_DEP_2)
	v_mov_b64_e32 v[4:5], v[10:11]
; %bb.308:                              ;   in Loop: Header=BB301_185 Depth=1
	s_and_not1_saveexec_b32 s1, s1
; %bb.309:                              ;   in Loop: Header=BB301_185 Depth=1
	s_delay_alu instid0(VALU_DEP_1) | instskip(NEXT) | instid1(VALU_DEP_1)
	v_bfi_b32 v3, 0x7fffffff, v3, v5
	v_mov_b64_e32 v[4:5], v[2:3]
; %bb.310:                              ;   in Loop: Header=BB301_185 Depth=1
	s_or_b32 exec_lo, exec_lo, s1
.LBB301_311:                            ;   in Loop: Header=BB301_185 Depth=1
	s_delay_alu instid0(SALU_CYCLE_1)
	s_or_b32 exec_lo, exec_lo, s0
.LBB301_312:                            ;   in Loop: Header=BB301_185 Depth=1
	s_and_not1_saveexec_b32 s0, s11
	s_cbranch_execz .LBB301_314
; %bb.313:                              ;   in Loop: Header=BB301_185 Depth=1
	s_delay_alu instid0(VALU_DEP_1) | instskip(NEXT) | instid1(VALU_DEP_1)
	v_add_f64_e64 v[4:5], v[4:5], -v[4:5]
	v_div_scale_f64 v[10:11], vcc_lo, v[4:5], v[4:5], v[4:5]
	s_delay_alu instid0(VALU_DEP_1) | instskip(SKIP_1) | instid1(TRANS32_DEP_1)
	v_rcp_f64_e32 v[12:13], v[10:11]
	v_nop
	v_fma_f64 v[22:23], -v[10:11], v[12:13], 1.0
	s_delay_alu instid0(VALU_DEP_1) | instskip(NEXT) | instid1(VALU_DEP_1)
	v_fmac_f64_e32 v[12:13], v[12:13], v[22:23]
	v_fma_f64 v[22:23], -v[10:11], v[12:13], 1.0
	s_delay_alu instid0(VALU_DEP_1) | instskip(NEXT) | instid1(VALU_DEP_1)
	v_fmac_f64_e32 v[12:13], v[12:13], v[22:23]
	v_mul_f64_e32 v[22:23], v[10:11], v[12:13]
	s_delay_alu instid0(VALU_DEP_1) | instskip(NEXT) | instid1(VALU_DEP_1)
	v_fma_f64 v[10:11], -v[10:11], v[22:23], v[10:11]
	v_div_fmas_f64 v[10:11], v[10:11], v[12:13], v[22:23]
	v_mov_b64_e32 v[22:23], v[2:3]
	s_delay_alu instid0(VALU_DEP_2)
	v_div_fixup_f64 v[4:5], v[10:11], v[4:5], v[4:5]
.LBB301_314:                            ;   in Loop: Header=BB301_185 Depth=1
	s_or_b32 exec_lo, exec_lo, s0
.LBB301_315:                            ;   in Loop: Header=BB301_185 Depth=1
	s_delay_alu instid0(SALU_CYCLE_1)
	s_or_b32 exec_lo, exec_lo, s10
.LBB301_316:                            ;   in Loop: Header=BB301_185 Depth=1
	s_delay_alu instid0(SALU_CYCLE_1) | instskip(NEXT) | instid1(VALU_DEP_1)
	s_or_b32 exec_lo, exec_lo, s9
	v_cmp_gt_f64_e32 vcc_lo, 0, v[22:23]
	v_xor_b32_e32 v3, 0x80000000, v23
	v_mov_b32_e32 v2, v22
	s_delay_alu instid0(VALU_DEP_4) | instskip(SKIP_1) | instid1(VALU_DEP_3)
	v_xor_b32_e32 v10, 0x80000000, v5
	s_mov_b32 s0, exec_lo
	v_dual_mov_b32 v28, v4 :: v_dual_cndmask_b32 v3, v23, v3
	v_cmp_gt_f64_e32 vcc_lo, 0, v[4:5]
	s_delay_alu instid0(VALU_DEP_3) | instskip(NEXT) | instid1(VALU_DEP_1)
	v_cndmask_b32_e32 v29, v5, v10, vcc_lo
                                        ; implicit-def: $vgpr12_vgpr13
	v_cmpx_ge_f64_e32 v[2:3], v[28:29]
	s_xor_b32 s1, exec_lo, s0
	s_cbranch_execz .LBB301_322
; %bb.317:                              ;   in Loop: Header=BB301_185 Depth=1
	v_cmp_neq_f64_e32 vcc_lo, 0, v[22:23]
	v_cmp_neq_f64_e64 s0, 0, v[4:5]
                                        ; implicit-def: $vgpr12_vgpr13
	s_or_b32 s0, vcc_lo, s0
	s_delay_alu instid0(SALU_CYCLE_1) | instskip(NEXT) | instid1(SALU_CYCLE_1)
	s_and_saveexec_b32 s9, s0
	s_xor_b32 s0, exec_lo, s9
	s_cbranch_execz .LBB301_319
; %bb.318:                              ;   in Loop: Header=BB301_185 Depth=1
	v_div_scale_f64 v[2:3], null, v[22:23], v[22:23], v[4:5]
	v_div_scale_f64 v[28:29], vcc_lo, v[4:5], v[22:23], v[4:5]
	s_delay_alu instid0(VALU_DEP_2) | instskip(SKIP_1) | instid1(TRANS32_DEP_1)
	v_rcp_f64_e32 v[10:11], v[2:3]
	v_nop
	v_fma_f64 v[12:13], -v[2:3], v[10:11], 1.0
	s_delay_alu instid0(VALU_DEP_1) | instskip(NEXT) | instid1(VALU_DEP_1)
	v_fmac_f64_e32 v[10:11], v[10:11], v[12:13]
	v_fma_f64 v[12:13], -v[2:3], v[10:11], 1.0
	s_delay_alu instid0(VALU_DEP_1) | instskip(NEXT) | instid1(VALU_DEP_1)
	v_fmac_f64_e32 v[10:11], v[10:11], v[12:13]
	v_mul_f64_e32 v[12:13], v[28:29], v[10:11]
	s_delay_alu instid0(VALU_DEP_1) | instskip(NEXT) | instid1(VALU_DEP_1)
	v_fma_f64 v[2:3], -v[2:3], v[12:13], v[28:29]
	v_div_fmas_f64 v[2:3], v[2:3], v[10:11], v[12:13]
	s_delay_alu instid0(VALU_DEP_1) | instskip(NEXT) | instid1(VALU_DEP_1)
	v_div_fixup_f64 v[2:3], v[2:3], v[22:23], v[4:5]
	v_fmac_f64_e32 v[22:23], v[4:5], v[2:3]
	s_delay_alu instid0(VALU_DEP_1) | instskip(SKIP_1) | instid1(VALU_DEP_2)
	v_div_scale_f64 v[4:5], null, v[22:23], v[22:23], 1.0
	v_div_scale_f64 v[28:29], vcc_lo, 1.0, v[22:23], 1.0
	v_rcp_f64_e32 v[10:11], v[4:5]
	v_nop
	s_delay_alu instid0(TRANS32_DEP_1) | instskip(NEXT) | instid1(VALU_DEP_1)
	v_fma_f64 v[12:13], -v[4:5], v[10:11], 1.0
	v_fmac_f64_e32 v[10:11], v[10:11], v[12:13]
	s_delay_alu instid0(VALU_DEP_1) | instskip(NEXT) | instid1(VALU_DEP_1)
	v_fma_f64 v[12:13], -v[4:5], v[10:11], 1.0
	v_fmac_f64_e32 v[10:11], v[10:11], v[12:13]
	s_delay_alu instid0(VALU_DEP_1) | instskip(NEXT) | instid1(VALU_DEP_1)
	v_mul_f64_e32 v[12:13], v[28:29], v[10:11]
	v_fma_f64 v[4:5], -v[4:5], v[12:13], v[28:29]
                                        ; implicit-def: $vgpr28_vgpr29
	s_delay_alu instid0(VALU_DEP_1) | instskip(SKIP_2) | instid1(VALU_DEP_3)
	v_div_fmas_f64 v[4:5], v[4:5], v[10:11], v[12:13]
	v_fma_f64 v[10:11], v[2:3], 0, 1.0
	v_add_f64_e64 v[2:3], -v[2:3], 0
	v_div_fixup_f64 v[4:5], v[4:5], v[22:23], 1.0
	s_delay_alu instid0(VALU_DEP_1) | instskip(NEXT) | instid1(VALU_DEP_3)
	v_mul_f64_e32 v[10:11], v[10:11], v[4:5]
	v_mul_f64_e32 v[12:13], v[2:3], v[4:5]
                                        ; implicit-def: $vgpr2_vgpr3
.LBB301_319:                            ;   in Loop: Header=BB301_185 Depth=1
	s_and_not1_saveexec_b32 s9, s0
	s_cbranch_execz .LBB301_321
; %bb.320:                              ;   in Loop: Header=BB301_185 Depth=1
	v_div_scale_f64 v[4:5], null, v[2:3], v[2:3], 1.0
	v_div_scale_f64 v[10:11], null, v[28:29], v[28:29], 0
	v_div_scale_f64 v[34:35], vcc_lo, 1.0, v[2:3], 1.0
	s_delay_alu instid0(VALU_DEP_3) | instskip(NEXT) | instid1(VALU_DEP_2)
	v_rcp_f64_e32 v[12:13], v[4:5]
	v_rcp_f64_e32 v[22:23], v[10:11]
	s_delay_alu instid0(TRANS32_DEP_2) | instskip(NEXT) | instid1(TRANS32_DEP_1)
	v_fma_f64 v[30:31], -v[4:5], v[12:13], 1.0
	v_fma_f64 v[32:33], -v[10:11], v[22:23], 1.0
	s_delay_alu instid0(VALU_DEP_2) | instskip(NEXT) | instid1(VALU_DEP_2)
	v_fmac_f64_e32 v[12:13], v[12:13], v[30:31]
	v_fmac_f64_e32 v[22:23], v[22:23], v[32:33]
	s_delay_alu instid0(VALU_DEP_2) | instskip(NEXT) | instid1(VALU_DEP_2)
	v_fma_f64 v[30:31], -v[4:5], v[12:13], 1.0
	v_fma_f64 v[32:33], -v[10:11], v[22:23], 1.0
	s_delay_alu instid0(VALU_DEP_2) | instskip(SKIP_1) | instid1(VALU_DEP_3)
	v_fmac_f64_e32 v[12:13], v[12:13], v[30:31]
	v_div_scale_f64 v[30:31], s0, 0, v[28:29], 0
	v_fmac_f64_e32 v[22:23], v[22:23], v[32:33]
	s_delay_alu instid0(VALU_DEP_3) | instskip(NEXT) | instid1(VALU_DEP_2)
	v_mul_f64_e32 v[32:33], v[34:35], v[12:13]
	v_mul_f64_e32 v[36:37], v[30:31], v[22:23]
	s_delay_alu instid0(VALU_DEP_2) | instskip(NEXT) | instid1(VALU_DEP_2)
	v_fma_f64 v[4:5], -v[4:5], v[32:33], v[34:35]
	v_fma_f64 v[10:11], -v[10:11], v[36:37], v[30:31]
	s_delay_alu instid0(VALU_DEP_2) | instskip(SKIP_1) | instid1(VALU_DEP_2)
	v_div_fmas_f64 v[4:5], v[4:5], v[12:13], v[32:33]
	s_mov_b32 vcc_lo, s0
	v_div_fmas_f64 v[12:13], v[10:11], v[22:23], v[36:37]
	s_delay_alu instid0(VALU_DEP_2) | instskip(NEXT) | instid1(VALU_DEP_2)
	v_div_fixup_f64 v[10:11], v[4:5], v[2:3], 1.0
	v_div_fixup_f64 v[12:13], v[12:13], v[28:29], 0
.LBB301_321:                            ;   in Loop: Header=BB301_185 Depth=1
	s_or_b32 exec_lo, exec_lo, s9
                                        ; implicit-def: $vgpr4_vgpr5
                                        ; implicit-def: $vgpr22_vgpr23
.LBB301_322:                            ;   in Loop: Header=BB301_185 Depth=1
	s_and_not1_saveexec_b32 s0, s1
	s_cbranch_execz .LBB301_184
; %bb.323:                              ;   in Loop: Header=BB301_185 Depth=1
	v_div_scale_f64 v[2:3], null, v[4:5], v[4:5], v[22:23]
	v_div_scale_f64 v[28:29], vcc_lo, v[22:23], v[4:5], v[22:23]
	s_delay_alu instid0(VALU_DEP_2) | instskip(SKIP_1) | instid1(TRANS32_DEP_1)
	v_rcp_f64_e32 v[10:11], v[2:3]
	v_nop
	v_fma_f64 v[12:13], -v[2:3], v[10:11], 1.0
	s_delay_alu instid0(VALU_DEP_1) | instskip(NEXT) | instid1(VALU_DEP_1)
	v_fmac_f64_e32 v[10:11], v[10:11], v[12:13]
	v_fma_f64 v[12:13], -v[2:3], v[10:11], 1.0
	s_delay_alu instid0(VALU_DEP_1) | instskip(NEXT) | instid1(VALU_DEP_1)
	v_fmac_f64_e32 v[10:11], v[10:11], v[12:13]
	v_mul_f64_e32 v[12:13], v[28:29], v[10:11]
	s_delay_alu instid0(VALU_DEP_1) | instskip(NEXT) | instid1(VALU_DEP_1)
	v_fma_f64 v[2:3], -v[2:3], v[12:13], v[28:29]
	v_div_fmas_f64 v[2:3], v[2:3], v[10:11], v[12:13]
	s_delay_alu instid0(VALU_DEP_1) | instskip(NEXT) | instid1(VALU_DEP_1)
	v_div_fixup_f64 v[2:3], v[2:3], v[4:5], v[22:23]
	v_fmac_f64_e32 v[4:5], v[22:23], v[2:3]
	s_delay_alu instid0(VALU_DEP_1) | instskip(SKIP_1) | instid1(VALU_DEP_2)
	v_div_scale_f64 v[10:11], null, v[4:5], v[4:5], 1.0
	v_div_scale_f64 v[28:29], vcc_lo, 1.0, v[4:5], 1.0
	v_rcp_f64_e32 v[12:13], v[10:11]
	v_nop
	s_delay_alu instid0(TRANS32_DEP_1) | instskip(NEXT) | instid1(VALU_DEP_1)
	v_fma_f64 v[22:23], -v[10:11], v[12:13], 1.0
	v_fmac_f64_e32 v[12:13], v[12:13], v[22:23]
	s_delay_alu instid0(VALU_DEP_1) | instskip(NEXT) | instid1(VALU_DEP_1)
	v_fma_f64 v[22:23], -v[10:11], v[12:13], 1.0
	v_fmac_f64_e32 v[12:13], v[12:13], v[22:23]
	s_delay_alu instid0(VALU_DEP_1) | instskip(NEXT) | instid1(VALU_DEP_1)
	v_mul_f64_e32 v[22:23], v[28:29], v[12:13]
	v_fma_f64 v[10:11], -v[10:11], v[22:23], v[28:29]
	s_delay_alu instid0(VALU_DEP_1) | instskip(SKIP_2) | instid1(VALU_DEP_3)
	v_div_fmas_f64 v[10:11], v[10:11], v[12:13], v[22:23]
	v_add_f64_e32 v[12:13], 0, v[2:3]
	v_fma_f64 v[2:3], v[2:3], 0, -1.0
	v_div_fixup_f64 v[4:5], v[10:11], v[4:5], 1.0
	s_delay_alu instid0(VALU_DEP_1) | instskip(NEXT) | instid1(VALU_DEP_3)
	v_mul_f64_e32 v[10:11], v[12:13], v[4:5]
	v_mul_f64_e32 v[12:13], v[2:3], v[4:5]
	s_branch .LBB301_184
.LBB301_324:                            ;   in Loop: Header=BB301_185 Depth=1
	s_or_b32 exec_lo, exec_lo, s0
	s_and_not1_saveexec_b32 s0, s11
	s_cbranch_execnz .LBB301_208
	s_branch .LBB301_209
.LBB301_325:                            ;   in Loop: Header=BB301_185 Depth=1
	s_delay_alu instid0(VALU_DEP_1) | instskip(NEXT) | instid1(VALU_DEP_1)
	v_add_f64_e32 v[6:7], v[20:21], v[6:7]
	v_mul_f64_e32 v[6:7], 0.5, v[6:7]
	s_delay_alu instid0(VALU_DEP_1) | instskip(SKIP_1) | instid1(VALU_DEP_1)
	v_cmp_gt_f64_e32 vcc_lo, 0x10000000, v[6:7]
	v_cndmask_b32_e64 v8, 0, 0x100, vcc_lo
	v_ldexp_f64 v[6:7], v[6:7], v8
	s_delay_alu instid0(VALU_DEP_1) | instskip(SKIP_1) | instid1(TRANS32_DEP_1)
	v_rsq_f64_e32 v[8:9], v[6:7]
	v_nop
	v_mul_f64_e32 v[14:15], v[6:7], v[8:9]
	v_mul_f64_e32 v[8:9], 0.5, v[8:9]
	s_delay_alu instid0(VALU_DEP_1) | instskip(NEXT) | instid1(VALU_DEP_1)
	v_fma_f64 v[20:21], -v[8:9], v[14:15], 0.5
	v_fmac_f64_e32 v[14:15], v[14:15], v[20:21]
	v_fmac_f64_e32 v[8:9], v[8:9], v[20:21]
	s_delay_alu instid0(VALU_DEP_2) | instskip(NEXT) | instid1(VALU_DEP_1)
	v_fma_f64 v[20:21], -v[14:15], v[14:15], v[6:7]
	v_fmac_f64_e32 v[14:15], v[20:21], v[8:9]
	s_delay_alu instid0(VALU_DEP_1) | instskip(NEXT) | instid1(VALU_DEP_1)
	v_fma_f64 v[20:21], -v[14:15], v[14:15], v[6:7]
	v_fmac_f64_e32 v[14:15], v[20:21], v[8:9]
	v_cndmask_b32_e64 v8, 0, 0xffffff80, vcc_lo
	v_cmp_class_f64_e64 vcc_lo, v[6:7], 0x260
	s_delay_alu instid0(VALU_DEP_2) | instskip(NEXT) | instid1(VALU_DEP_1)
	v_ldexp_f64 v[8:9], v[14:15], v8
	v_dual_cndmask_b32 v15, v9, v7 :: v_dual_cndmask_b32 v14, v8, v6
	s_delay_alu instid0(VALU_DEP_1) | instskip(NEXT) | instid1(VALU_DEP_1)
	v_add_f64_e32 v[6:7], v[14:15], v[14:15]
	v_div_scale_f64 v[8:9], null, v[6:7], v[6:7], v[22:23]
	s_delay_alu instid0(VALU_DEP_1) | instskip(SKIP_1) | instid1(TRANS32_DEP_1)
	v_rcp_f64_e32 v[20:21], v[8:9]
	v_nop
	v_fma_f64 v[28:29], -v[8:9], v[20:21], 1.0
	s_delay_alu instid0(VALU_DEP_1) | instskip(NEXT) | instid1(VALU_DEP_1)
	v_fmac_f64_e32 v[20:21], v[20:21], v[28:29]
	v_fma_f64 v[28:29], -v[8:9], v[20:21], 1.0
	s_delay_alu instid0(VALU_DEP_1) | instskip(SKIP_1) | instid1(VALU_DEP_1)
	v_fmac_f64_e32 v[20:21], v[20:21], v[28:29]
	v_div_scale_f64 v[28:29], vcc_lo, v[22:23], v[6:7], v[22:23]
	v_mul_f64_e32 v[30:31], v[28:29], v[20:21]
	s_delay_alu instid0(VALU_DEP_1) | instskip(NEXT) | instid1(VALU_DEP_1)
	v_fma_f64 v[8:9], -v[8:9], v[30:31], v[28:29]
	v_div_fmas_f64 v[8:9], v[8:9], v[20:21], v[30:31]
	s_delay_alu instid0(VALU_DEP_1)
	v_div_fixup_f64 v[22:23], v[8:9], v[6:7], v[22:23]
                                        ; implicit-def: $vgpr6_vgpr7
	s_and_not1_saveexec_b32 s1, s1
	s_cbranch_execz .LBB301_197
.LBB301_326:                            ;   in Loop: Header=BB301_185 Depth=1
	v_add_f64_e64 v[6:7], v[6:7], -v[20:21]
	s_delay_alu instid0(VALU_DEP_1) | instskip(NEXT) | instid1(VALU_DEP_1)
	v_mul_f64_e32 v[6:7], 0.5, v[6:7]
	v_cmp_gt_f64_e32 vcc_lo, 0x10000000, v[6:7]
	v_cndmask_b32_e64 v8, 0, 0x100, vcc_lo
	s_delay_alu instid0(VALU_DEP_1) | instskip(NEXT) | instid1(VALU_DEP_1)
	v_ldexp_f64 v[6:7], v[6:7], v8
	v_rsq_f64_e32 v[8:9], v[6:7]
	v_nop
	s_delay_alu instid0(TRANS32_DEP_1) | instskip(SKIP_1) | instid1(VALU_DEP_1)
	v_mul_f64_e32 v[14:15], v[6:7], v[8:9]
	v_mul_f64_e32 v[8:9], 0.5, v[8:9]
	v_fma_f64 v[20:21], -v[8:9], v[14:15], 0.5
	s_delay_alu instid0(VALU_DEP_1) | instskip(SKIP_1) | instid1(VALU_DEP_2)
	v_fmac_f64_e32 v[14:15], v[14:15], v[20:21]
	v_fmac_f64_e32 v[8:9], v[8:9], v[20:21]
	v_fma_f64 v[20:21], -v[14:15], v[14:15], v[6:7]
	s_delay_alu instid0(VALU_DEP_1) | instskip(NEXT) | instid1(VALU_DEP_1)
	v_fmac_f64_e32 v[14:15], v[20:21], v[8:9]
	v_fma_f64 v[20:21], -v[14:15], v[14:15], v[6:7]
	s_delay_alu instid0(VALU_DEP_1) | instskip(SKIP_2) | instid1(VALU_DEP_2)
	v_fmac_f64_e32 v[14:15], v[20:21], v[8:9]
	v_cndmask_b32_e64 v8, 0, 0xffffff80, vcc_lo
	v_cmp_class_f64_e64 vcc_lo, v[6:7], 0x260
	v_ldexp_f64 v[8:9], v[14:15], v8
	v_and_b32_e32 v15, 0x7fffffff, v23
	s_delay_alu instid0(VALU_DEP_2) | instskip(NEXT) | instid1(VALU_DEP_3)
	v_dual_mov_b32 v14, v22 :: v_dual_cndmask_b32 v7, v9, v7
	v_cndmask_b32_e32 v6, v8, v6, vcc_lo
	s_delay_alu instid0(VALU_DEP_1) | instskip(SKIP_1) | instid1(VALU_DEP_2)
	v_add_f64_e32 v[8:9], v[6:7], v[6:7]
	v_bfi_b32 v7, 0x7fffffff, v7, v23
	v_div_scale_f64 v[20:21], null, v[8:9], v[8:9], v[14:15]
	v_div_scale_f64 v[14:15], vcc_lo, v[14:15], v[8:9], v[14:15]
	s_delay_alu instid0(VALU_DEP_2) | instskip(SKIP_1) | instid1(TRANS32_DEP_1)
	v_rcp_f64_e32 v[28:29], v[20:21]
	v_nop
	v_fma_f64 v[30:31], -v[20:21], v[28:29], 1.0
	s_delay_alu instid0(VALU_DEP_1) | instskip(NEXT) | instid1(VALU_DEP_1)
	v_fmac_f64_e32 v[28:29], v[28:29], v[30:31]
	v_fma_f64 v[30:31], -v[20:21], v[28:29], 1.0
	s_delay_alu instid0(VALU_DEP_1) | instskip(NEXT) | instid1(VALU_DEP_1)
	v_fmac_f64_e32 v[28:29], v[28:29], v[30:31]
	v_mul_f64_e32 v[30:31], v[14:15], v[28:29]
	s_delay_alu instid0(VALU_DEP_1) | instskip(NEXT) | instid1(VALU_DEP_1)
	v_fma_f64 v[14:15], -v[20:21], v[30:31], v[14:15]
	v_div_fmas_f64 v[14:15], v[14:15], v[28:29], v[30:31]
	s_delay_alu instid0(VALU_DEP_1) | instskip(SKIP_3) | instid1(SALU_CYCLE_1)
	v_div_fixup_f64 v[14:15], v[14:15], v[8:9], |v[22:23]|
	v_mov_b64_e32 v[22:23], v[6:7]
	s_or_b32 exec_lo, exec_lo, s1
	s_and_saveexec_b32 s1, s0
	s_xor_b32 s0, exec_lo, s1
	s_cbranch_execz .LBB301_198
.LBB301_327:                            ;   in Loop: Header=BB301_185 Depth=1
	s_and_saveexec_b32 s1, s13
	s_cbranch_execz .LBB301_329
; %bb.328:                              ;   in Loop: Header=BB301_185 Depth=1
	s_delay_alu instid0(VALU_DEP_2) | instskip(NEXT) | instid1(VALU_DEP_2)
	v_mul_f64_e32 v[14:15], 0.5, v[14:15]
	v_mul_f64_e32 v[22:23], 0.5, v[22:23]
.LBB301_329:                            ;   in Loop: Header=BB301_185 Depth=1
	s_or_b32 exec_lo, exec_lo, s1
	s_and_not1_saveexec_b32 s0, s0
	s_cbranch_execnz .LBB301_199
	s_branch .LBB301_200
.LBB301_330:                            ;   in Loop: Header=BB301_185 Depth=1
	s_delay_alu instid0(VALU_DEP_1) | instskip(NEXT) | instid1(VALU_DEP_1)
	v_add_f64_e32 v[14:15], v[16:17], v[14:15]
	v_mul_f64_e32 v[14:15], 0.5, v[14:15]
	s_delay_alu instid0(VALU_DEP_1) | instskip(SKIP_1) | instid1(VALU_DEP_1)
	v_cmp_gt_f64_e32 vcc_lo, 0x10000000, v[14:15]
	v_cndmask_b32_e64 v16, 0, 0x100, vcc_lo
	v_ldexp_f64 v[14:15], v[14:15], v16
	s_delay_alu instid0(VALU_DEP_1) | instskip(SKIP_1) | instid1(TRANS32_DEP_1)
	v_rsq_f64_e32 v[16:17], v[14:15]
	v_nop
	v_mul_f64_e32 v[20:21], v[14:15], v[16:17]
	v_mul_f64_e32 v[16:17], 0.5, v[16:17]
	s_delay_alu instid0(VALU_DEP_1) | instskip(NEXT) | instid1(VALU_DEP_1)
	v_fma_f64 v[22:23], -v[16:17], v[20:21], 0.5
	v_fmac_f64_e32 v[20:21], v[20:21], v[22:23]
	v_fmac_f64_e32 v[16:17], v[16:17], v[22:23]
	s_delay_alu instid0(VALU_DEP_2) | instskip(NEXT) | instid1(VALU_DEP_1)
	v_fma_f64 v[22:23], -v[20:21], v[20:21], v[14:15]
	v_fmac_f64_e32 v[20:21], v[22:23], v[16:17]
	s_delay_alu instid0(VALU_DEP_1) | instskip(NEXT) | instid1(VALU_DEP_1)
	v_fma_f64 v[22:23], -v[20:21], v[20:21], v[14:15]
	v_fmac_f64_e32 v[20:21], v[22:23], v[16:17]
	v_cndmask_b32_e64 v16, 0, 0xffffff80, vcc_lo
	v_cmp_class_f64_e64 vcc_lo, v[14:15], 0x260
	s_delay_alu instid0(VALU_DEP_2) | instskip(NEXT) | instid1(VALU_DEP_1)
	v_ldexp_f64 v[16:17], v[20:21], v16
	v_dual_cndmask_b32 v21, v17, v15 :: v_dual_cndmask_b32 v20, v16, v14
	s_delay_alu instid0(VALU_DEP_1) | instskip(NEXT) | instid1(VALU_DEP_1)
	v_add_f64_e32 v[14:15], v[20:21], v[20:21]
	v_div_scale_f64 v[16:17], null, v[14:15], v[14:15], v[18:19]
	s_delay_alu instid0(VALU_DEP_1) | instskip(SKIP_1) | instid1(TRANS32_DEP_1)
	v_rcp_f64_e32 v[22:23], v[16:17]
	v_nop
	v_fma_f64 v[28:29], -v[16:17], v[22:23], 1.0
	s_delay_alu instid0(VALU_DEP_1) | instskip(NEXT) | instid1(VALU_DEP_1)
	v_fmac_f64_e32 v[22:23], v[22:23], v[28:29]
	v_fma_f64 v[28:29], -v[16:17], v[22:23], 1.0
	s_delay_alu instid0(VALU_DEP_1) | instskip(SKIP_1) | instid1(VALU_DEP_1)
	v_fmac_f64_e32 v[22:23], v[22:23], v[28:29]
	v_div_scale_f64 v[28:29], vcc_lo, v[18:19], v[14:15], v[18:19]
	v_mul_f64_e32 v[30:31], v[28:29], v[22:23]
	s_delay_alu instid0(VALU_DEP_1) | instskip(NEXT) | instid1(VALU_DEP_1)
	v_fma_f64 v[16:17], -v[16:17], v[30:31], v[28:29]
	v_div_fmas_f64 v[16:17], v[16:17], v[22:23], v[30:31]
	s_delay_alu instid0(VALU_DEP_1)
	v_div_fixup_f64 v[18:19], v[16:17], v[14:15], v[18:19]
                                        ; implicit-def: $vgpr14_vgpr15
	s_and_not1_saveexec_b32 s1, s1
	s_cbranch_execz .LBB301_231
.LBB301_331:                            ;   in Loop: Header=BB301_185 Depth=1
	v_add_f64_e64 v[14:15], v[14:15], -v[16:17]
	s_delay_alu instid0(VALU_DEP_1) | instskip(NEXT) | instid1(VALU_DEP_1)
	v_mul_f64_e32 v[14:15], 0.5, v[14:15]
	v_cmp_gt_f64_e32 vcc_lo, 0x10000000, v[14:15]
	v_cndmask_b32_e64 v16, 0, 0x100, vcc_lo
	s_delay_alu instid0(VALU_DEP_1) | instskip(NEXT) | instid1(VALU_DEP_1)
	v_ldexp_f64 v[14:15], v[14:15], v16
	v_rsq_f64_e32 v[16:17], v[14:15]
	v_nop
	s_delay_alu instid0(TRANS32_DEP_1) | instskip(SKIP_1) | instid1(VALU_DEP_1)
	v_mul_f64_e32 v[20:21], v[14:15], v[16:17]
	v_mul_f64_e32 v[16:17], 0.5, v[16:17]
	v_fma_f64 v[22:23], -v[16:17], v[20:21], 0.5
	s_delay_alu instid0(VALU_DEP_1) | instskip(SKIP_1) | instid1(VALU_DEP_2)
	v_fmac_f64_e32 v[20:21], v[20:21], v[22:23]
	v_fmac_f64_e32 v[16:17], v[16:17], v[22:23]
	v_fma_f64 v[22:23], -v[20:21], v[20:21], v[14:15]
	s_delay_alu instid0(VALU_DEP_1) | instskip(NEXT) | instid1(VALU_DEP_1)
	v_fmac_f64_e32 v[20:21], v[22:23], v[16:17]
	v_fma_f64 v[22:23], -v[20:21], v[20:21], v[14:15]
	s_delay_alu instid0(VALU_DEP_1) | instskip(SKIP_2) | instid1(VALU_DEP_2)
	v_fmac_f64_e32 v[20:21], v[22:23], v[16:17]
	v_cndmask_b32_e64 v16, 0, 0xffffff80, vcc_lo
	v_cmp_class_f64_e64 vcc_lo, v[14:15], 0x260
	v_ldexp_f64 v[16:17], v[20:21], v16
	v_and_b32_e32 v21, 0x7fffffff, v19
	s_delay_alu instid0(VALU_DEP_2) | instskip(NEXT) | instid1(VALU_DEP_3)
	v_dual_mov_b32 v20, v18 :: v_dual_cndmask_b32 v15, v17, v15
	v_cndmask_b32_e32 v14, v16, v14, vcc_lo
	s_delay_alu instid0(VALU_DEP_1) | instskip(SKIP_1) | instid1(VALU_DEP_2)
	v_add_f64_e32 v[16:17], v[14:15], v[14:15]
	v_bfi_b32 v15, 0x7fffffff, v15, v19
	v_div_scale_f64 v[22:23], null, v[16:17], v[16:17], v[20:21]
	v_div_scale_f64 v[20:21], vcc_lo, v[20:21], v[16:17], v[20:21]
	s_delay_alu instid0(VALU_DEP_2) | instskip(SKIP_1) | instid1(TRANS32_DEP_1)
	v_rcp_f64_e32 v[28:29], v[22:23]
	v_nop
	v_fma_f64 v[30:31], -v[22:23], v[28:29], 1.0
	s_delay_alu instid0(VALU_DEP_1) | instskip(NEXT) | instid1(VALU_DEP_1)
	v_fmac_f64_e32 v[28:29], v[28:29], v[30:31]
	v_fma_f64 v[30:31], -v[22:23], v[28:29], 1.0
	s_delay_alu instid0(VALU_DEP_1) | instskip(NEXT) | instid1(VALU_DEP_1)
	v_fmac_f64_e32 v[28:29], v[28:29], v[30:31]
	v_mul_f64_e32 v[30:31], v[20:21], v[28:29]
	s_delay_alu instid0(VALU_DEP_1) | instskip(NEXT) | instid1(VALU_DEP_1)
	v_fma_f64 v[20:21], -v[22:23], v[30:31], v[20:21]
	v_div_fmas_f64 v[20:21], v[20:21], v[28:29], v[30:31]
	s_delay_alu instid0(VALU_DEP_1) | instskip(SKIP_3) | instid1(SALU_CYCLE_1)
	v_div_fixup_f64 v[20:21], v[20:21], v[16:17], |v[18:19]|
	v_mov_b64_e32 v[18:19], v[14:15]
	s_or_b32 exec_lo, exec_lo, s1
	s_and_saveexec_b32 s1, s0
	s_xor_b32 s0, exec_lo, s1
	s_cbranch_execz .LBB301_232
.LBB301_332:                            ;   in Loop: Header=BB301_185 Depth=1
	s_and_saveexec_b32 s1, s13
	s_cbranch_execz .LBB301_334
; %bb.333:                              ;   in Loop: Header=BB301_185 Depth=1
	s_delay_alu instid0(VALU_DEP_2) | instskip(NEXT) | instid1(VALU_DEP_2)
	v_mul_f64_e32 v[20:21], 0.5, v[20:21]
	v_mul_f64_e32 v[18:19], 0.5, v[18:19]
.LBB301_334:                            ;   in Loop: Header=BB301_185 Depth=1
	s_or_b32 exec_lo, exec_lo, s1
	s_and_not1_saveexec_b32 s0, s0
	s_cbranch_execnz .LBB301_233
	s_branch .LBB301_234
.LBB301_335:                            ;   in Loop: Header=BB301_185 Depth=1
	s_delay_alu instid0(VALU_DEP_1) | instskip(NEXT) | instid1(VALU_DEP_1)
	v_add_f64_e32 v[10:11], v[10:11], v[18:19]
	v_mul_f64_e32 v[10:11], 0.5, v[10:11]
	s_delay_alu instid0(VALU_DEP_1) | instskip(SKIP_1) | instid1(VALU_DEP_1)
	v_cmp_gt_f64_e32 vcc_lo, 0x10000000, v[10:11]
	v_cndmask_b32_e64 v18, 0, 0x100, vcc_lo
	v_ldexp_f64 v[10:11], v[10:11], v18
	s_delay_alu instid0(VALU_DEP_1) | instskip(SKIP_1) | instid1(TRANS32_DEP_1)
	v_rsq_f64_e32 v[18:19], v[10:11]
	v_nop
	v_mul_f64_e32 v[20:21], v[10:11], v[18:19]
	v_mul_f64_e32 v[18:19], 0.5, v[18:19]
	s_delay_alu instid0(VALU_DEP_1) | instskip(NEXT) | instid1(VALU_DEP_1)
	v_fma_f64 v[22:23], -v[18:19], v[20:21], 0.5
	v_fmac_f64_e32 v[20:21], v[20:21], v[22:23]
	v_fmac_f64_e32 v[18:19], v[18:19], v[22:23]
	s_delay_alu instid0(VALU_DEP_2) | instskip(NEXT) | instid1(VALU_DEP_1)
	v_fma_f64 v[22:23], -v[20:21], v[20:21], v[10:11]
	v_fmac_f64_e32 v[20:21], v[22:23], v[18:19]
	s_delay_alu instid0(VALU_DEP_1) | instskip(NEXT) | instid1(VALU_DEP_1)
	v_fma_f64 v[22:23], -v[20:21], v[20:21], v[10:11]
	v_fmac_f64_e32 v[20:21], v[22:23], v[18:19]
	v_cndmask_b32_e64 v18, 0, 0xffffff80, vcc_lo
	v_cmp_class_f64_e64 vcc_lo, v[10:11], 0x260
	s_delay_alu instid0(VALU_DEP_2) | instskip(NEXT) | instid1(VALU_DEP_1)
	v_ldexp_f64 v[18:19], v[20:21], v18
	v_dual_cndmask_b32 v23, v19, v11 :: v_dual_cndmask_b32 v22, v18, v10
	s_delay_alu instid0(VALU_DEP_1) | instskip(NEXT) | instid1(VALU_DEP_1)
	v_add_f64_e32 v[10:11], v[22:23], v[22:23]
	v_div_scale_f64 v[18:19], null, v[10:11], v[10:11], v[12:13]
	s_delay_alu instid0(VALU_DEP_1) | instskip(SKIP_1) | instid1(TRANS32_DEP_1)
	v_rcp_f64_e32 v[20:21], v[18:19]
	v_nop
	v_fma_f64 v[28:29], -v[18:19], v[20:21], 1.0
	s_delay_alu instid0(VALU_DEP_1) | instskip(NEXT) | instid1(VALU_DEP_1)
	v_fmac_f64_e32 v[20:21], v[20:21], v[28:29]
	v_fma_f64 v[28:29], -v[18:19], v[20:21], 1.0
	s_delay_alu instid0(VALU_DEP_1) | instskip(SKIP_1) | instid1(VALU_DEP_1)
	v_fmac_f64_e32 v[20:21], v[20:21], v[28:29]
	v_div_scale_f64 v[28:29], vcc_lo, v[12:13], v[10:11], v[12:13]
	v_mul_f64_e32 v[30:31], v[28:29], v[20:21]
	s_delay_alu instid0(VALU_DEP_1) | instskip(NEXT) | instid1(VALU_DEP_1)
	v_fma_f64 v[18:19], -v[18:19], v[30:31], v[28:29]
	v_div_fmas_f64 v[18:19], v[18:19], v[20:21], v[30:31]
	s_delay_alu instid0(VALU_DEP_1)
	v_div_fixup_f64 v[12:13], v[18:19], v[10:11], v[12:13]
                                        ; implicit-def: $vgpr18_vgpr19
	s_and_not1_saveexec_b32 s1, s1
	s_cbranch_execz .LBB301_266
.LBB301_336:                            ;   in Loop: Header=BB301_185 Depth=1
	v_add_f64_e64 v[10:11], v[18:19], -v[10:11]
	s_delay_alu instid0(VALU_DEP_1) | instskip(NEXT) | instid1(VALU_DEP_1)
	v_mul_f64_e32 v[10:11], 0.5, v[10:11]
	v_cmp_gt_f64_e32 vcc_lo, 0x10000000, v[10:11]
	v_cndmask_b32_e64 v18, 0, 0x100, vcc_lo
	s_delay_alu instid0(VALU_DEP_1) | instskip(NEXT) | instid1(VALU_DEP_1)
	v_ldexp_f64 v[10:11], v[10:11], v18
	v_rsq_f64_e32 v[18:19], v[10:11]
	v_nop
	s_delay_alu instid0(TRANS32_DEP_1) | instskip(SKIP_1) | instid1(VALU_DEP_1)
	v_mul_f64_e32 v[20:21], v[10:11], v[18:19]
	v_mul_f64_e32 v[18:19], 0.5, v[18:19]
	v_fma_f64 v[22:23], -v[18:19], v[20:21], 0.5
	s_delay_alu instid0(VALU_DEP_1) | instskip(SKIP_1) | instid1(VALU_DEP_2)
	v_fmac_f64_e32 v[20:21], v[20:21], v[22:23]
	v_fmac_f64_e32 v[18:19], v[18:19], v[22:23]
	v_fma_f64 v[22:23], -v[20:21], v[20:21], v[10:11]
	s_delay_alu instid0(VALU_DEP_1) | instskip(NEXT) | instid1(VALU_DEP_1)
	v_fmac_f64_e32 v[20:21], v[22:23], v[18:19]
	v_fma_f64 v[22:23], -v[20:21], v[20:21], v[10:11]
	s_delay_alu instid0(VALU_DEP_1) | instskip(SKIP_2) | instid1(VALU_DEP_2)
	v_fmac_f64_e32 v[20:21], v[22:23], v[18:19]
	v_cndmask_b32_e64 v18, 0, 0xffffff80, vcc_lo
	v_cmp_class_f64_e64 vcc_lo, v[10:11], 0x260
	v_ldexp_f64 v[18:19], v[20:21], v18
	v_and_b32_e32 v21, 0x7fffffff, v13
	s_delay_alu instid0(VALU_DEP_2) | instskip(NEXT) | instid1(VALU_DEP_3)
	v_dual_mov_b32 v20, v12 :: v_dual_cndmask_b32 v11, v19, v11
	v_cndmask_b32_e32 v10, v18, v10, vcc_lo
	s_delay_alu instid0(VALU_DEP_1) | instskip(SKIP_1) | instid1(VALU_DEP_2)
	v_add_f64_e32 v[18:19], v[10:11], v[10:11]
	v_bfi_b32 v11, 0x7fffffff, v11, v13
	v_div_scale_f64 v[22:23], null, v[18:19], v[18:19], v[20:21]
	v_div_scale_f64 v[20:21], vcc_lo, v[20:21], v[18:19], v[20:21]
	s_delay_alu instid0(VALU_DEP_2) | instskip(SKIP_1) | instid1(TRANS32_DEP_1)
	v_rcp_f64_e32 v[28:29], v[22:23]
	v_nop
	v_fma_f64 v[30:31], -v[22:23], v[28:29], 1.0
	s_delay_alu instid0(VALU_DEP_1) | instskip(NEXT) | instid1(VALU_DEP_1)
	v_fmac_f64_e32 v[28:29], v[28:29], v[30:31]
	v_fma_f64 v[30:31], -v[22:23], v[28:29], 1.0
	s_delay_alu instid0(VALU_DEP_1) | instskip(NEXT) | instid1(VALU_DEP_1)
	v_fmac_f64_e32 v[28:29], v[28:29], v[30:31]
	v_mul_f64_e32 v[30:31], v[20:21], v[28:29]
	s_delay_alu instid0(VALU_DEP_1) | instskip(NEXT) | instid1(VALU_DEP_1)
	v_fma_f64 v[20:21], -v[22:23], v[30:31], v[20:21]
	v_div_fmas_f64 v[20:21], v[20:21], v[28:29], v[30:31]
	s_delay_alu instid0(VALU_DEP_1) | instskip(SKIP_3) | instid1(SALU_CYCLE_1)
	v_div_fixup_f64 v[22:23], v[20:21], v[18:19], |v[12:13]|
	v_mov_b64_e32 v[12:13], v[10:11]
	s_or_b32 exec_lo, exec_lo, s1
	s_and_saveexec_b32 s1, s0
	s_xor_b32 s0, exec_lo, s1
	s_cbranch_execz .LBB301_267
.LBB301_337:                            ;   in Loop: Header=BB301_185 Depth=1
	s_and_saveexec_b32 s1, s13
	s_cbranch_execz .LBB301_339
; %bb.338:                              ;   in Loop: Header=BB301_185 Depth=1
	s_delay_alu instid0(VALU_DEP_2) | instskip(NEXT) | instid1(VALU_DEP_2)
	v_mul_f64_e32 v[22:23], 0.5, v[22:23]
	v_mul_f64_e32 v[12:13], 0.5, v[12:13]
.LBB301_339:                            ;   in Loop: Header=BB301_185 Depth=1
	s_or_b32 exec_lo, exec_lo, s1
	s_and_not1_saveexec_b32 s0, s0
	s_cbranch_execnz .LBB301_268
	s_branch .LBB301_269
.LBB301_340:                            ;   in Loop: Header=BB301_185 Depth=1
	s_delay_alu instid0(VALU_DEP_1) | instskip(NEXT) | instid1(VALU_DEP_1)
	v_add_f64_e32 v[2:3], v[2:3], v[10:11]
	v_mul_f64_e32 v[2:3], 0.5, v[2:3]
	s_delay_alu instid0(VALU_DEP_1) | instskip(SKIP_1) | instid1(VALU_DEP_1)
	v_cmp_gt_f64_e32 vcc_lo, 0x10000000, v[2:3]
	v_cndmask_b32_e64 v10, 0, 0x100, vcc_lo
	v_ldexp_f64 v[2:3], v[2:3], v10
	s_delay_alu instid0(VALU_DEP_1) | instskip(SKIP_1) | instid1(TRANS32_DEP_1)
	v_rsq_f64_e32 v[10:11], v[2:3]
	v_nop
	v_mul_f64_e32 v[12:13], v[2:3], v[10:11]
	v_mul_f64_e32 v[10:11], 0.5, v[10:11]
	s_delay_alu instid0(VALU_DEP_1) | instskip(NEXT) | instid1(VALU_DEP_1)
	v_fma_f64 v[22:23], -v[10:11], v[12:13], 0.5
	v_fmac_f64_e32 v[12:13], v[12:13], v[22:23]
	v_fmac_f64_e32 v[10:11], v[10:11], v[22:23]
	s_delay_alu instid0(VALU_DEP_2) | instskip(NEXT) | instid1(VALU_DEP_1)
	v_fma_f64 v[22:23], -v[12:13], v[12:13], v[2:3]
	v_fmac_f64_e32 v[12:13], v[22:23], v[10:11]
	s_delay_alu instid0(VALU_DEP_1) | instskip(NEXT) | instid1(VALU_DEP_1)
	v_fma_f64 v[22:23], -v[12:13], v[12:13], v[2:3]
	v_fmac_f64_e32 v[12:13], v[22:23], v[10:11]
	v_cndmask_b32_e64 v10, 0, 0xffffff80, vcc_lo
	v_cmp_class_f64_e64 vcc_lo, v[2:3], 0x260
	s_delay_alu instid0(VALU_DEP_2) | instskip(NEXT) | instid1(VALU_DEP_1)
	v_ldexp_f64 v[10:11], v[12:13], v10
	v_dual_cndmask_b32 v23, v11, v3 :: v_dual_cndmask_b32 v22, v10, v2
	s_delay_alu instid0(VALU_DEP_1) | instskip(NEXT) | instid1(VALU_DEP_1)
	v_add_f64_e32 v[2:3], v[22:23], v[22:23]
	v_div_scale_f64 v[10:11], null, v[2:3], v[2:3], v[4:5]
	s_delay_alu instid0(VALU_DEP_1) | instskip(SKIP_1) | instid1(TRANS32_DEP_1)
	v_rcp_f64_e32 v[12:13], v[10:11]
	v_nop
	v_fma_f64 v[28:29], -v[10:11], v[12:13], 1.0
	s_delay_alu instid0(VALU_DEP_1) | instskip(NEXT) | instid1(VALU_DEP_1)
	v_fmac_f64_e32 v[12:13], v[12:13], v[28:29]
	v_fma_f64 v[28:29], -v[10:11], v[12:13], 1.0
	s_delay_alu instid0(VALU_DEP_1) | instskip(SKIP_1) | instid1(VALU_DEP_1)
	v_fmac_f64_e32 v[12:13], v[12:13], v[28:29]
	v_div_scale_f64 v[28:29], vcc_lo, v[4:5], v[2:3], v[4:5]
	v_mul_f64_e32 v[30:31], v[28:29], v[12:13]
	s_delay_alu instid0(VALU_DEP_1) | instskip(NEXT) | instid1(VALU_DEP_1)
	v_fma_f64 v[10:11], -v[10:11], v[30:31], v[28:29]
	v_div_fmas_f64 v[10:11], v[10:11], v[12:13], v[30:31]
	s_delay_alu instid0(VALU_DEP_1)
	v_div_fixup_f64 v[4:5], v[10:11], v[2:3], v[4:5]
                                        ; implicit-def: $vgpr10_vgpr11
	s_and_not1_saveexec_b32 s1, s1
	s_cbranch_execz .LBB301_301
.LBB301_341:                            ;   in Loop: Header=BB301_185 Depth=1
	v_add_f64_e64 v[2:3], v[10:11], -v[2:3]
	s_delay_alu instid0(VALU_DEP_1) | instskip(NEXT) | instid1(VALU_DEP_1)
	v_mul_f64_e32 v[2:3], 0.5, v[2:3]
	v_cmp_gt_f64_e32 vcc_lo, 0x10000000, v[2:3]
	v_cndmask_b32_e64 v10, 0, 0x100, vcc_lo
	s_delay_alu instid0(VALU_DEP_1) | instskip(NEXT) | instid1(VALU_DEP_1)
	v_ldexp_f64 v[2:3], v[2:3], v10
	v_rsq_f64_e32 v[10:11], v[2:3]
	v_nop
	s_delay_alu instid0(TRANS32_DEP_1) | instskip(SKIP_1) | instid1(VALU_DEP_1)
	v_mul_f64_e32 v[12:13], v[2:3], v[10:11]
	v_mul_f64_e32 v[10:11], 0.5, v[10:11]
	v_fma_f64 v[22:23], -v[10:11], v[12:13], 0.5
	s_delay_alu instid0(VALU_DEP_1) | instskip(SKIP_1) | instid1(VALU_DEP_2)
	v_fmac_f64_e32 v[12:13], v[12:13], v[22:23]
	v_fmac_f64_e32 v[10:11], v[10:11], v[22:23]
	v_fma_f64 v[22:23], -v[12:13], v[12:13], v[2:3]
	s_delay_alu instid0(VALU_DEP_1) | instskip(NEXT) | instid1(VALU_DEP_1)
	v_fmac_f64_e32 v[12:13], v[22:23], v[10:11]
	v_fma_f64 v[22:23], -v[12:13], v[12:13], v[2:3]
	s_delay_alu instid0(VALU_DEP_1) | instskip(SKIP_2) | instid1(VALU_DEP_2)
	v_fmac_f64_e32 v[12:13], v[22:23], v[10:11]
	v_cndmask_b32_e64 v10, 0, 0xffffff80, vcc_lo
	v_cmp_class_f64_e64 vcc_lo, v[2:3], 0x260
	v_ldexp_f64 v[10:11], v[12:13], v10
	v_and_b32_e32 v13, 0x7fffffff, v5
	s_delay_alu instid0(VALU_DEP_2) | instskip(NEXT) | instid1(VALU_DEP_3)
	v_dual_mov_b32 v12, v4 :: v_dual_cndmask_b32 v3, v11, v3
	v_cndmask_b32_e32 v2, v10, v2, vcc_lo
	s_delay_alu instid0(VALU_DEP_1) | instskip(SKIP_1) | instid1(VALU_DEP_2)
	v_add_f64_e32 v[10:11], v[2:3], v[2:3]
	v_bfi_b32 v3, 0x7fffffff, v3, v5
	v_div_scale_f64 v[22:23], null, v[10:11], v[10:11], v[12:13]
	v_div_scale_f64 v[12:13], vcc_lo, v[12:13], v[10:11], v[12:13]
	s_delay_alu instid0(VALU_DEP_2) | instskip(SKIP_1) | instid1(TRANS32_DEP_1)
	v_rcp_f64_e32 v[28:29], v[22:23]
	v_nop
	v_fma_f64 v[30:31], -v[22:23], v[28:29], 1.0
	s_delay_alu instid0(VALU_DEP_1) | instskip(NEXT) | instid1(VALU_DEP_1)
	v_fmac_f64_e32 v[28:29], v[28:29], v[30:31]
	v_fma_f64 v[30:31], -v[22:23], v[28:29], 1.0
	s_delay_alu instid0(VALU_DEP_1) | instskip(NEXT) | instid1(VALU_DEP_1)
	v_fmac_f64_e32 v[28:29], v[28:29], v[30:31]
	v_mul_f64_e32 v[30:31], v[12:13], v[28:29]
	s_delay_alu instid0(VALU_DEP_1) | instskip(NEXT) | instid1(VALU_DEP_1)
	v_fma_f64 v[12:13], -v[22:23], v[30:31], v[12:13]
	v_div_fmas_f64 v[12:13], v[12:13], v[28:29], v[30:31]
	s_delay_alu instid0(VALU_DEP_1) | instskip(SKIP_3) | instid1(SALU_CYCLE_1)
	v_div_fixup_f64 v[22:23], v[12:13], v[10:11], |v[4:5]|
	v_mov_b64_e32 v[4:5], v[2:3]
	s_or_b32 exec_lo, exec_lo, s1
	s_and_saveexec_b32 s1, s0
	s_xor_b32 s0, exec_lo, s1
	s_cbranch_execz .LBB301_302
.LBB301_342:                            ;   in Loop: Header=BB301_185 Depth=1
	s_and_saveexec_b32 s1, s13
	s_cbranch_execz .LBB301_344
; %bb.343:                              ;   in Loop: Header=BB301_185 Depth=1
	s_delay_alu instid0(VALU_DEP_2) | instskip(NEXT) | instid1(VALU_DEP_2)
	v_mul_f64_e32 v[22:23], 0.5, v[22:23]
	v_mul_f64_e32 v[4:5], 0.5, v[4:5]
.LBB301_344:                            ;   in Loop: Header=BB301_185 Depth=1
	s_or_b32 exec_lo, exec_lo, s1
	s_and_not1_saveexec_b32 s0, s0
	s_cbranch_execnz .LBB301_303
	s_branch .LBB301_304
.LBB301_345:
	s_endpgm
	.section	.rodata,"a",@progbits
	.p2align	6, 0x0
	.amdhsa_kernel _ZN2at6native12_GLOBAL__N_125multi_tensor_apply_kernelINS1_18TensorListMetadataILi1EEENS1_14UnaryOpFunctorIN3c107complexIdEELi1ELi1ELi0EEEJNS0_5RsqrtIS8_EEEEEvT_T0_DpT1_
		.amdhsa_group_segment_fixed_size 0
		.amdhsa_private_segment_fixed_size 0
		.amdhsa_kernarg_size 3632
		.amdhsa_user_sgpr_count 2
		.amdhsa_user_sgpr_dispatch_ptr 0
		.amdhsa_user_sgpr_queue_ptr 0
		.amdhsa_user_sgpr_kernarg_segment_ptr 1
		.amdhsa_user_sgpr_dispatch_id 0
		.amdhsa_user_sgpr_kernarg_preload_length 0
		.amdhsa_user_sgpr_kernarg_preload_offset 0
		.amdhsa_user_sgpr_private_segment_size 0
		.amdhsa_wavefront_size32 1
		.amdhsa_uses_dynamic_stack 0
		.amdhsa_enable_private_segment 0
		.amdhsa_system_sgpr_workgroup_id_x 1
		.amdhsa_system_sgpr_workgroup_id_y 0
		.amdhsa_system_sgpr_workgroup_id_z 0
		.amdhsa_system_sgpr_workgroup_info 0
		.amdhsa_system_vgpr_workitem_id 0
		.amdhsa_next_free_vgpr 60
		.amdhsa_next_free_sgpr 31
		.amdhsa_named_barrier_count 0
		.amdhsa_reserve_vcc 1
		.amdhsa_float_round_mode_32 0
		.amdhsa_float_round_mode_16_64 0
		.amdhsa_float_denorm_mode_32 3
		.amdhsa_float_denorm_mode_16_64 3
		.amdhsa_fp16_overflow 0
		.amdhsa_memory_ordered 1
		.amdhsa_forward_progress 1
		.amdhsa_inst_pref_size 143
		.amdhsa_round_robin_scheduling 0
		.amdhsa_exception_fp_ieee_invalid_op 0
		.amdhsa_exception_fp_denorm_src 0
		.amdhsa_exception_fp_ieee_div_zero 0
		.amdhsa_exception_fp_ieee_overflow 0
		.amdhsa_exception_fp_ieee_underflow 0
		.amdhsa_exception_fp_ieee_inexact 0
		.amdhsa_exception_int_div_zero 0
	.end_amdhsa_kernel
	.section	.text._ZN2at6native12_GLOBAL__N_125multi_tensor_apply_kernelINS1_18TensorListMetadataILi1EEENS1_14UnaryOpFunctorIN3c107complexIdEELi1ELi1ELi0EEEJNS0_5RsqrtIS8_EEEEEvT_T0_DpT1_,"axG",@progbits,_ZN2at6native12_GLOBAL__N_125multi_tensor_apply_kernelINS1_18TensorListMetadataILi1EEENS1_14UnaryOpFunctorIN3c107complexIdEELi1ELi1ELi0EEEJNS0_5RsqrtIS8_EEEEEvT_T0_DpT1_,comdat
.Lfunc_end301:
	.size	_ZN2at6native12_GLOBAL__N_125multi_tensor_apply_kernelINS1_18TensorListMetadataILi1EEENS1_14UnaryOpFunctorIN3c107complexIdEELi1ELi1ELi0EEEJNS0_5RsqrtIS8_EEEEEvT_T0_DpT1_, .Lfunc_end301-_ZN2at6native12_GLOBAL__N_125multi_tensor_apply_kernelINS1_18TensorListMetadataILi1EEENS1_14UnaryOpFunctorIN3c107complexIdEELi1ELi1ELi0EEEJNS0_5RsqrtIS8_EEEEEvT_T0_DpT1_
                                        ; -- End function
	.set _ZN2at6native12_GLOBAL__N_125multi_tensor_apply_kernelINS1_18TensorListMetadataILi1EEENS1_14UnaryOpFunctorIN3c107complexIdEELi1ELi1ELi0EEEJNS0_5RsqrtIS8_EEEEEvT_T0_DpT1_.num_vgpr, 60
	.set _ZN2at6native12_GLOBAL__N_125multi_tensor_apply_kernelINS1_18TensorListMetadataILi1EEENS1_14UnaryOpFunctorIN3c107complexIdEELi1ELi1ELi0EEEJNS0_5RsqrtIS8_EEEEEvT_T0_DpT1_.num_agpr, 0
	.set _ZN2at6native12_GLOBAL__N_125multi_tensor_apply_kernelINS1_18TensorListMetadataILi1EEENS1_14UnaryOpFunctorIN3c107complexIdEELi1ELi1ELi0EEEJNS0_5RsqrtIS8_EEEEEvT_T0_DpT1_.numbered_sgpr, 31
	.set _ZN2at6native12_GLOBAL__N_125multi_tensor_apply_kernelINS1_18TensorListMetadataILi1EEENS1_14UnaryOpFunctorIN3c107complexIdEELi1ELi1ELi0EEEJNS0_5RsqrtIS8_EEEEEvT_T0_DpT1_.num_named_barrier, 0
	.set _ZN2at6native12_GLOBAL__N_125multi_tensor_apply_kernelINS1_18TensorListMetadataILi1EEENS1_14UnaryOpFunctorIN3c107complexIdEELi1ELi1ELi0EEEJNS0_5RsqrtIS8_EEEEEvT_T0_DpT1_.private_seg_size, 0
	.set _ZN2at6native12_GLOBAL__N_125multi_tensor_apply_kernelINS1_18TensorListMetadataILi1EEENS1_14UnaryOpFunctorIN3c107complexIdEELi1ELi1ELi0EEEJNS0_5RsqrtIS8_EEEEEvT_T0_DpT1_.uses_vcc, 1
	.set _ZN2at6native12_GLOBAL__N_125multi_tensor_apply_kernelINS1_18TensorListMetadataILi1EEENS1_14UnaryOpFunctorIN3c107complexIdEELi1ELi1ELi0EEEJNS0_5RsqrtIS8_EEEEEvT_T0_DpT1_.uses_flat_scratch, 0
	.set _ZN2at6native12_GLOBAL__N_125multi_tensor_apply_kernelINS1_18TensorListMetadataILi1EEENS1_14UnaryOpFunctorIN3c107complexIdEELi1ELi1ELi0EEEJNS0_5RsqrtIS8_EEEEEvT_T0_DpT1_.has_dyn_sized_stack, 0
	.set _ZN2at6native12_GLOBAL__N_125multi_tensor_apply_kernelINS1_18TensorListMetadataILi1EEENS1_14UnaryOpFunctorIN3c107complexIdEELi1ELi1ELi0EEEJNS0_5RsqrtIS8_EEEEEvT_T0_DpT1_.has_recursion, 0
	.set _ZN2at6native12_GLOBAL__N_125multi_tensor_apply_kernelINS1_18TensorListMetadataILi1EEENS1_14UnaryOpFunctorIN3c107complexIdEELi1ELi1ELi0EEEJNS0_5RsqrtIS8_EEEEEvT_T0_DpT1_.has_indirect_call, 0
	.section	.AMDGPU.csdata,"",@progbits
; Kernel info:
; codeLenInByte = 18240
; TotalNumSgprs: 33
; NumVgprs: 60
; ScratchSize: 0
; MemoryBound: 1
; FloatMode: 240
; IeeeMode: 1
; LDSByteSize: 0 bytes/workgroup (compile time only)
; SGPRBlocks: 0
; VGPRBlocks: 3
; NumSGPRsForWavesPerEU: 33
; NumVGPRsForWavesPerEU: 60
; NamedBarCnt: 0
; Occupancy: 16
; WaveLimiterHint : 0
; COMPUTE_PGM_RSRC2:SCRATCH_EN: 0
; COMPUTE_PGM_RSRC2:USER_SGPR: 2
; COMPUTE_PGM_RSRC2:TRAP_HANDLER: 0
; COMPUTE_PGM_RSRC2:TGID_X_EN: 1
; COMPUTE_PGM_RSRC2:TGID_Y_EN: 0
; COMPUTE_PGM_RSRC2:TGID_Z_EN: 0
; COMPUTE_PGM_RSRC2:TIDIG_COMP_CNT: 0
	.section	.text._ZN2at6native12_GLOBAL__N_125multi_tensor_apply_kernelINS1_18TensorListMetadataILi1EEENS1_14UnaryOpFunctorIN3c107complexIfEELi1ELi1ELi0EEEJNS0_5RsqrtIS8_EEEEEvT_T0_DpT1_,"axG",@progbits,_ZN2at6native12_GLOBAL__N_125multi_tensor_apply_kernelINS1_18TensorListMetadataILi1EEENS1_14UnaryOpFunctorIN3c107complexIfEELi1ELi1ELi0EEEJNS0_5RsqrtIS8_EEEEEvT_T0_DpT1_,comdat
	.globl	_ZN2at6native12_GLOBAL__N_125multi_tensor_apply_kernelINS1_18TensorListMetadataILi1EEENS1_14UnaryOpFunctorIN3c107complexIfEELi1ELi1ELi0EEEJNS0_5RsqrtIS8_EEEEEvT_T0_DpT1_ ; -- Begin function _ZN2at6native12_GLOBAL__N_125multi_tensor_apply_kernelINS1_18TensorListMetadataILi1EEENS1_14UnaryOpFunctorIN3c107complexIfEELi1ELi1ELi0EEEJNS0_5RsqrtIS8_EEEEEvT_T0_DpT1_
	.p2align	8
	.type	_ZN2at6native12_GLOBAL__N_125multi_tensor_apply_kernelINS1_18TensorListMetadataILi1EEENS1_14UnaryOpFunctorIN3c107complexIfEELi1ELi1ELi0EEEJNS0_5RsqrtIS8_EEEEEvT_T0_DpT1_,@function
_ZN2at6native12_GLOBAL__N_125multi_tensor_apply_kernelINS1_18TensorListMetadataILi1EEENS1_14UnaryOpFunctorIN3c107complexIfEELi1ELi1ELi0EEEJNS0_5RsqrtIS8_EEEEEvT_T0_DpT1_: ; @_ZN2at6native12_GLOBAL__N_125multi_tensor_apply_kernelINS1_18TensorListMetadataILi1EEENS1_14UnaryOpFunctorIN3c107complexIfEELi1ELi1ELi0EEEJNS0_5RsqrtIS8_EEEEEvT_T0_DpT1_
; %bb.0:
	s_bfe_u32 s2, ttmp6, 0x4000c
	s_and_b32 s3, ttmp6, 15
	s_add_co_i32 s2, s2, 1
	s_getreg_b32 s4, hwreg(HW_REG_IB_STS2, 6, 4)
	s_mul_i32 s2, ttmp9, s2
	s_delay_alu instid0(SALU_CYCLE_1)
	s_add_co_i32 s3, s3, s2
	s_cmp_eq_u32 s4, 0
	s_cselect_b32 s2, ttmp9, s3
	s_mov_b32 s3, 0
	s_load_u8 s10, s[0:1], s2 offset:0x6e0
	s_add_nc_u64 s[4:5], s[0:1], s[2:3]
	s_mul_u64 s[6:7], s[2:3], 3
	s_delay_alu instid0(SALU_CYCLE_1)
	s_add_nc_u64 s[4:5], s[4:5], s[6:7]
	s_load_b32 s6, s[4:5], 0x820
	s_wait_kmcnt 0x0
	s_clause 0x1
	s_load_b64 s[8:9], s[0:1], s10 offset:0x0 scale_offset
	s_load_b64 s[12:13], s[0:1], s10 offset:0x370 scale_offset
	s_ashr_i32 s7, s6, 31
	s_wait_kmcnt 0x0
	s_and_b64 s[4:5], s[8:9], 31
	s_and_b32 s2, s12, 3
	s_lshl_b64 s[10:11], s[6:7], 19
	s_or_b64 s[2:3], s[4:5], s[2:3]
	s_lshl_b64 s[4:5], s[6:7], 16
	s_cmp_eq_u64 s[2:3], 0
	s_sub_nc_u64 s[12:13], s[12:13], s[4:5]
	s_cbranch_scc1 .LBB302_173
; %bb.1:
	v_cmp_lt_i64_e64 s2, s[12:13], 1
	s_and_b32 vcc_lo, exec_lo, s2
	s_cbranch_vccnz .LBB302_172
; %bb.2:
	s_load_b32 s4, s[0:1], 0xd3c
	v_min_i64 v[2:3], 0x10000, s[12:13]
	v_min_u64 v[4:5], 0x10000, s[12:13]
	v_dual_mov_b32 v1, 0 :: v_dual_lshlrev_b32 v8, 3, v0
	s_mov_b32 s21, 0
	s_add_nc_u64 s[2:3], s[8:9], s[10:11]
	s_mov_b32 s5, s21
	s_delay_alu instid0(VALU_DEP_1) | instskip(SKIP_3) | instid1(VALU_DEP_2)
	v_dual_mov_b32 v9, v1 :: v_dual_mov_b32 v15, v1
	s_mov_b32 s7, s21
	v_mov_b64_e32 v[16:17], 0xbf80000000000000
	s_mov_b32 s15, s21
	v_add_nc_u64_e32 v[8:9], s[2:3], v[8:9]
	s_mov_b32 s17, s21
	s_mov_b64 s[22:23], 0
	s_mov_b32 s24, 0x3e800000
	s_wait_kmcnt 0x0
	s_and_b32 s20, s4, 0xffff
	s_delay_alu instid0(SALU_CYCLE_1)
	v_add_nc_u64_e32 v[6:7], s[20:21], v[0:1]
	s_lshl_b32 s4, s20, 1
	s_mul_i32 s6, s20, 3
	v_add_nc_u64_e32 v[12:13], s[4:5], v[0:1]
	v_add_nc_u64_e32 v[10:11], s[6:7], v[0:1]
	s_lshl_b32 s14, s20, 2
	s_lshl_b32 s16, s20, 5
	v_lshlrev_b32_e32 v14, 3, v6
	s_mul_u64 s[18:19], s[20:21], 24
	s_lshl_b32 s20, s20, 4
	s_delay_alu instid0(VALU_DEP_1)
	v_add_nc_u64_e32 v[14:15], s[2:3], v[14:15]
	s_branch .LBB302_4
.LBB302_3:                              ;   in Loop: Header=BB302_4 Depth=1
	s_wait_xcnt 0x0
	s_or_b32 exec_lo, exec_lo, s2
	s_add_nc_u64 s[22:23], s[22:23], s[14:15]
	v_add_nc_u64_e32 v[8:9], s[16:17], v[8:9]
	v_cmp_ge_i64_e32 vcc_lo, s[22:23], v[2:3]
	v_add_nc_u64_e32 v[14:15], s[16:17], v[14:15]
	s_cbranch_vccnz .LBB302_172
.LBB302_4:                              ; =>This Inner Loop Header: Depth=1
	v_add_nc_u64_e32 v[18:19], s[22:23], v[0:1]
	v_mov_b64_e32 v[30:31], 0
	v_mov_b64_e32 v[28:29], 0
	s_delay_alu instid0(VALU_DEP_3)
	v_cmp_lt_u64_e64 s2, v[18:19], v[4:5]
	s_and_saveexec_b32 s3, s2
	s_cbranch_execz .LBB302_6
; %bb.5:                                ;   in Loop: Header=BB302_4 Depth=1
	global_load_b64 v[28:29], v[8:9], off
.LBB302_6:                              ;   in Loop: Header=BB302_4 Depth=1
	s_wait_xcnt 0x0
	s_or_b32 exec_lo, exec_lo, s3
	v_add_nc_u64_e32 v[18:19], s[22:23], v[6:7]
	s_delay_alu instid0(VALU_DEP_1)
	v_cmp_lt_u64_e64 s3, v[18:19], v[4:5]
	s_and_saveexec_b32 s4, s3
	s_cbranch_execz .LBB302_8
; %bb.7:                                ;   in Loop: Header=BB302_4 Depth=1
	global_load_b64 v[30:31], v[14:15], off
.LBB302_8:                              ;   in Loop: Header=BB302_4 Depth=1
	s_wait_xcnt 0x0
	s_or_b32 exec_lo, exec_lo, s4
	v_add_nc_u64_e32 v[20:21], s[22:23], v[12:13]
	v_mov_b64_e32 v[22:23], 0
	v_add_nc_u64_e32 v[18:19], s[20:21], v[8:9]
	v_mov_b64_e32 v[26:27], 0
	s_delay_alu instid0(VALU_DEP_4)
	v_cmp_lt_u64_e64 s4, v[20:21], v[4:5]
	s_and_saveexec_b32 s5, s4
	s_cbranch_execz .LBB302_10
; %bb.9:                                ;   in Loop: Header=BB302_4 Depth=1
	global_load_b64 v[26:27], v[18:19], off
.LBB302_10:                             ;   in Loop: Header=BB302_4 Depth=1
	s_wait_xcnt 0x0
	s_or_b32 exec_lo, exec_lo, s5
	v_add_nc_u64_e32 v[20:21], s[22:23], v[10:11]
	s_delay_alu instid0(VALU_DEP_1)
	v_cmp_lt_u64_e64 s5, v[20:21], v[4:5]
	v_add_nc_u64_e32 v[20:21], s[18:19], v[8:9]
	s_and_saveexec_b32 s6, s5
	s_cbranch_execz .LBB302_12
; %bb.11:                               ;   in Loop: Header=BB302_4 Depth=1
	global_load_b64 v[22:23], v[20:21], off
.LBB302_12:                             ;   in Loop: Header=BB302_4 Depth=1
	s_wait_xcnt 0x0
	s_or_b32 exec_lo, exec_lo, s6
	s_wait_loadcnt 0x0
	v_cmp_neq_f32_e32 vcc_lo, 0, v28
	v_cmp_neq_f32_e64 s6, 0, v29
	v_mov_b32_e32 v32, 0
	s_or_b32 s6, vcc_lo, s6
	s_delay_alu instid0(SALU_CYCLE_1)
	s_and_saveexec_b32 s25, s6
	s_cbranch_execz .LBB302_41
; %bb.13:                               ;   in Loop: Header=BB302_4 Depth=1
	v_mov_b32_e32 v32, 0x7f800000
	s_mov_b32 s26, exec_lo
	v_cmpx_neq_f32_e64 0x7f800000, |v29|
	s_cbranch_execz .LBB302_40
; %bb.14:                               ;   in Loop: Header=BB302_4 Depth=1
                                        ; implicit-def: $vgpr32
	s_mov_b32 s6, exec_lo
	v_cmpx_o_f32_e32 v28, v28
	s_xor_b32 s27, exec_lo, s6
	s_cbranch_execz .LBB302_37
; %bb.15:                               ;   in Loop: Header=BB302_4 Depth=1
                                        ; implicit-def: $vgpr32
	s_mov_b32 s7, exec_lo
	v_cmpx_neq_f32_e64 0x7f800000, |v28|
	s_xor_b32 s28, exec_lo, s7
	s_cbranch_execz .LBB302_31
; %bb.16:                               ;   in Loop: Header=BB302_4 Depth=1
	v_max_num_f32_e64 v24, |v28|, |v28|
	v_max_num_f32_e64 v25, |v29|, |v29|
                                        ; implicit-def: $sgpr29
	s_delay_alu instid0(VALU_DEP_1) | instskip(NEXT) | instid1(VALU_DEP_1)
	v_max_num_f32_e32 v24, v25, v24
	v_cmp_nle_f32_e64 s6, 0x7ed413cb, v24
	s_and_saveexec_b32 s7, s6
	s_delay_alu instid0(SALU_CYCLE_1)
	s_xor_b32 s7, exec_lo, s7
	s_cbranch_execz .LBB302_20
; %bb.17:                               ;   in Loop: Header=BB302_4 Depth=1
	v_cmp_ge_f32_e64 s29, 0x1000000, |v28|
	v_cmp_ge_f32_e64 s30, 0x1000000, |v29|
	s_and_b32 s31, s30, s29
	s_mov_b32 s29, 0
	s_and_saveexec_b32 s30, s31
; %bb.18:                               ;   in Loop: Header=BB302_4 Depth=1
	v_pk_mul_f32 v[28:29], v[28:29], 4.0 op_sel_hi:[1,0]
	s_mov_b32 s29, exec_lo
; %bb.19:                               ;   in Loop: Header=BB302_4 Depth=1
	s_or_b32 exec_lo, exec_lo, s30
.LBB302_20:                             ;   in Loop: Header=BB302_4 Depth=1
	s_and_not1_saveexec_b32 s7, s7
; %bb.21:                               ;   in Loop: Header=BB302_4 Depth=1
	s_delay_alu instid0(VALU_DEP_1)
	v_pk_mul_f32 v[28:29], v[28:29], s[24:25] op_sel_hi:[1,0]
	s_and_not1_b32 s29, s29, exec_lo
; %bb.22:                               ;   in Loop: Header=BB302_4 Depth=1
	s_or_b32 exec_lo, exec_lo, s7
	s_delay_alu instid0(VALU_DEP_1) | instskip(NEXT) | instid1(VALU_DEP_2)
	v_max_num_f32_e64 v24, |v29|, |v29|
	v_max_num_f32_e64 v25, |v28|, |v28|
	s_delay_alu instid0(VALU_DEP_1) | instskip(NEXT) | instid1(VALU_DEP_1)
	v_max_num_f32_e32 v32, v25, v24
	v_cvt_f64_f32_e32 v[24:25], v32
	s_delay_alu instid0(VALU_DEP_1) | instskip(NEXT) | instid1(VALU_DEP_1)
	v_frexp_exp_i32_f64_e32 v24, v[24:25]
	v_sub_nc_u32_e32 v25, 0, v24
	v_cmp_neq_f32_e64 s7, 0x7f800000, v32
	s_delay_alu instid0(VALU_DEP_2) | instskip(SKIP_1) | instid1(VALU_DEP_2)
	v_ldexp_f32 v33, |v29|, v25
	v_ldexp_f32 v25, |v28|, v25
	v_mul_f32_e32 v33, v33, v33
	s_delay_alu instid0(VALU_DEP_1) | instskip(NEXT) | instid1(VALU_DEP_1)
	v_fmac_f32_e32 v33, v25, v25
	v_sqrt_f32_e32 v25, v33
	v_nop
	s_delay_alu instid0(TRANS32_DEP_1) | instskip(NEXT) | instid1(VALU_DEP_1)
	v_ldexp_f32 v24, v25, v24
	v_cndmask_b32_e64 v32, 0x7f800000, v24, s7
                                        ; implicit-def: $vgpr24_vgpr25
	s_mov_b32 s7, exec_lo
	v_cmpx_le_f32_e32 0, v28
	s_xor_b32 s30, exec_lo, s7
	s_cbranch_execz .LBB302_24
; %bb.23:                               ;   in Loop: Header=BB302_4 Depth=1
	v_add_f32_e32 v24, v28, v32
	s_delay_alu instid0(VALU_DEP_1) | instskip(NEXT) | instid1(VALU_DEP_1)
	v_mul_f32_e32 v24, 0.5, v24
	v_mul_f32_e32 v25, 0x4f800000, v24
	v_cmp_gt_f32_e32 vcc_lo, 0xf800000, v24
	s_delay_alu instid0(VALU_DEP_2) | instskip(NEXT) | instid1(VALU_DEP_1)
	v_cndmask_b32_e32 v24, v24, v25, vcc_lo
	v_sqrt_f32_e32 v25, v24
	v_nop
	s_delay_alu instid0(TRANS32_DEP_1) | instskip(NEXT) | instid1(VALU_DEP_1)
	v_dual_add_nc_u32 v28, -1, v25 :: v_dual_add_nc_u32 v32, 1, v25
	v_fma_f32 v33, -v28, v25, v24
	s_delay_alu instid0(VALU_DEP_2) | instskip(NEXT) | instid1(VALU_DEP_2)
	v_fma_f32 v34, -v32, v25, v24
	v_cmp_ge_f32_e64 s7, 0, v33
	s_delay_alu instid0(VALU_DEP_1) | instskip(NEXT) | instid1(VALU_DEP_3)
	v_cndmask_b32_e64 v25, v25, v28, s7
	v_cmp_lt_f32_e64 s7, 0, v34
	s_delay_alu instid0(VALU_DEP_1) | instskip(NEXT) | instid1(VALU_DEP_1)
	v_cndmask_b32_e64 v25, v25, v32, s7
	v_mul_f32_e32 v28, 0x37800000, v25
	s_delay_alu instid0(VALU_DEP_1) | instskip(SKIP_1) | instid1(VALU_DEP_2)
	v_cndmask_b32_e32 v25, v25, v28, vcc_lo
	v_cmp_class_f32_e64 vcc_lo, v24, 0x260
	v_cndmask_b32_e32 v24, v25, v24, vcc_lo
	s_delay_alu instid0(VALU_DEP_1) | instskip(NEXT) | instid1(VALU_DEP_1)
	v_add_f32_e32 v25, v24, v24
	v_div_scale_f32 v28, null, v25, v25, v29
	s_delay_alu instid0(VALU_DEP_1) | instskip(SKIP_1) | instid1(TRANS32_DEP_1)
	v_rcp_f32_e32 v32, v28
	v_nop
	v_fma_f32 v33, -v28, v32, 1.0
	s_delay_alu instid0(VALU_DEP_1) | instskip(SKIP_1) | instid1(VALU_DEP_1)
	v_fmac_f32_e32 v32, v33, v32
	v_div_scale_f32 v33, vcc_lo, v29, v25, v29
	v_mul_f32_e32 v34, v33, v32
	s_delay_alu instid0(VALU_DEP_1) | instskip(NEXT) | instid1(VALU_DEP_1)
	v_fma_f32 v35, -v28, v34, v33
	v_fmac_f32_e32 v34, v35, v32
	s_delay_alu instid0(VALU_DEP_1) | instskip(NEXT) | instid1(VALU_DEP_1)
	v_fma_f32 v28, -v28, v34, v33
	v_div_fmas_f32 v28, v28, v32, v34
                                        ; implicit-def: $vgpr32
	s_delay_alu instid0(VALU_DEP_1)
	v_div_fixup_f32 v25, v28, v25, v29
                                        ; implicit-def: $vgpr28_vgpr29
	s_and_not1_saveexec_b32 s30, s30
	s_cbranch_execz .LBB302_26
	s_branch .LBB302_25
.LBB302_24:                             ;   in Loop: Header=BB302_4 Depth=1
	s_and_not1_saveexec_b32 s30, s30
	s_cbranch_execz .LBB302_26
.LBB302_25:                             ;   in Loop: Header=BB302_4 Depth=1
	v_sub_f32_e32 v24, v32, v28
	s_delay_alu instid0(VALU_DEP_1) | instskip(NEXT) | instid1(VALU_DEP_1)
	v_mul_f32_e32 v24, 0.5, v24
	v_mul_f32_e32 v25, 0x4f800000, v24
	v_cmp_gt_f32_e32 vcc_lo, 0xf800000, v24
	s_delay_alu instid0(VALU_DEP_2) | instskip(NEXT) | instid1(VALU_DEP_1)
	v_cndmask_b32_e32 v24, v24, v25, vcc_lo
	v_sqrt_f32_e32 v25, v24
	v_nop
	s_delay_alu instid0(TRANS32_DEP_1) | instskip(NEXT) | instid1(VALU_DEP_1)
	v_dual_add_nc_u32 v28, -1, v25 :: v_dual_add_nc_u32 v32, 1, v25
	v_fma_f32 v33, -v28, v25, v24
	s_delay_alu instid0(VALU_DEP_2) | instskip(NEXT) | instid1(VALU_DEP_2)
	v_fma_f32 v34, -v32, v25, v24
	v_cmp_ge_f32_e64 s7, 0, v33
	s_delay_alu instid0(VALU_DEP_1) | instskip(NEXT) | instid1(VALU_DEP_3)
	v_cndmask_b32_e64 v25, v25, v28, s7
	v_cmp_lt_f32_e64 s7, 0, v34
	s_delay_alu instid0(VALU_DEP_1) | instskip(NEXT) | instid1(VALU_DEP_1)
	v_cndmask_b32_e64 v25, v25, v32, s7
	v_mul_f32_e32 v28, 0x37800000, v25
	s_delay_alu instid0(VALU_DEP_1) | instskip(SKIP_1) | instid1(VALU_DEP_2)
	v_cndmask_b32_e32 v25, v25, v28, vcc_lo
	v_cmp_class_f32_e64 vcc_lo, v24, 0x260
	v_cndmask_b32_e32 v25, v25, v24, vcc_lo
	v_and_b32_e32 v24, 0x7fffffff, v29
	s_delay_alu instid0(VALU_DEP_2) | instskip(SKIP_1) | instid1(VALU_DEP_2)
	v_add_f32_e32 v28, v25, v25
	v_bfi_b32 v25, 0x7fffffff, v25, v29
	v_div_scale_f32 v32, null, v28, v28, v24
	v_div_scale_f32 v24, vcc_lo, v24, v28, v24
	s_delay_alu instid0(VALU_DEP_2) | instskip(SKIP_1) | instid1(TRANS32_DEP_1)
	v_rcp_f32_e32 v33, v32
	v_nop
	v_fma_f32 v34, -v32, v33, 1.0
	s_delay_alu instid0(VALU_DEP_1) | instskip(NEXT) | instid1(VALU_DEP_1)
	v_fmac_f32_e32 v33, v34, v33
	v_mul_f32_e32 v34, v24, v33
	s_delay_alu instid0(VALU_DEP_1) | instskip(NEXT) | instid1(VALU_DEP_1)
	v_fma_f32 v35, -v32, v34, v24
	v_fmac_f32_e32 v34, v35, v33
	s_delay_alu instid0(VALU_DEP_1) | instskip(NEXT) | instid1(VALU_DEP_1)
	v_fma_f32 v24, -v32, v34, v24
	v_div_fmas_f32 v24, v24, v33, v34
	s_delay_alu instid0(VALU_DEP_1)
	v_div_fixup_f32 v24, v24, v28, |v29|
.LBB302_26:                             ;   in Loop: Header=BB302_4 Depth=1
	s_or_b32 exec_lo, exec_lo, s30
                                        ; implicit-def: $vgpr29
                                        ; implicit-def: $vgpr32
	s_and_saveexec_b32 s7, s6
	s_delay_alu instid0(SALU_CYCLE_1)
	s_xor_b32 s6, exec_lo, s7
	s_cbranch_execz .LBB302_28
; %bb.27:                               ;   in Loop: Header=BB302_4 Depth=1
	v_pk_mul_f32 v[28:29], v[24:25], 0.5 op_sel_hi:[1,0]
	s_delay_alu instid0(VALU_DEP_1)
	v_dual_cndmask_b32 v32, v24, v28, s29 :: v_dual_cndmask_b32 v29, v25, v29, s29
                                        ; implicit-def: $vgpr24_vgpr25
	s_and_not1_saveexec_b32 s6, s6
	s_cbranch_execnz .LBB302_29
	s_branch .LBB302_30
.LBB302_28:                             ;   in Loop: Header=BB302_4 Depth=1
	s_and_not1_saveexec_b32 s6, s6
.LBB302_29:                             ;   in Loop: Header=BB302_4 Depth=1
	v_pk_add_f32 v[28:29], v[24:25], v[24:25]
	s_delay_alu instid0(VALU_DEP_1)
	v_mov_b32_e32 v32, v28
.LBB302_30:                             ;   in Loop: Header=BB302_4 Depth=1
	s_or_b32 exec_lo, exec_lo, s6
.LBB302_31:                             ;   in Loop: Header=BB302_4 Depth=1
	s_and_not1_saveexec_b32 s6, s28
	s_cbranch_execz .LBB302_61
; %bb.32:                               ;   in Loop: Header=BB302_4 Depth=1
	v_sub_f32_e32 v24, v29, v29
	s_mov_b32 s7, exec_lo
	s_delay_alu instid0(VALU_DEP_1)
	v_and_b32_e32 v32, 0x7fffffff, v24
	v_cmpx_lt_i32_e32 -1, v28
	s_xor_b32 s7, exec_lo, s7
; %bb.33:                               ;   in Loop: Header=BB302_4 Depth=1
	v_bfi_b32 v29, 0x7fffffff, v24, v29
	v_mov_b32_e32 v32, v28
; %bb.34:                               ;   in Loop: Header=BB302_4 Depth=1
	s_and_not1_saveexec_b32 s7, s7
; %bb.35:                               ;   in Loop: Header=BB302_4 Depth=1
	s_delay_alu instid0(VALU_DEP_2)
	v_bfi_b32 v29, 0x7fffffff, v28, v29
; %bb.36:                               ;   in Loop: Header=BB302_4 Depth=1
	s_or_b32 exec_lo, exec_lo, s7
	s_delay_alu instid0(SALU_CYCLE_1)
	s_or_b32 exec_lo, exec_lo, s6
.LBB302_37:                             ;   in Loop: Header=BB302_4 Depth=1
	s_and_not1_saveexec_b32 s6, s27
	s_cbranch_execz .LBB302_39
.LBB302_38:                             ;   in Loop: Header=BB302_4 Depth=1
	v_sub_f32_e32 v24, v29, v29
	s_delay_alu instid0(VALU_DEP_1) | instskip(NEXT) | instid1(VALU_DEP_1)
	v_div_scale_f32 v25, vcc_lo, v24, v24, v24
	v_rcp_f32_e32 v29, v25
	v_nop
	s_delay_alu instid0(TRANS32_DEP_1) | instskip(NEXT) | instid1(VALU_DEP_1)
	v_fma_f32 v32, -v25, v29, 1.0
	v_fmac_f32_e32 v29, v32, v29
	s_delay_alu instid0(VALU_DEP_1) | instskip(NEXT) | instid1(VALU_DEP_1)
	v_mul_f32_e32 v32, v25, v29
	v_fma_f32 v33, -v25, v32, v25
	s_delay_alu instid0(VALU_DEP_1) | instskip(NEXT) | instid1(VALU_DEP_1)
	v_fmac_f32_e32 v32, v33, v29
	v_fma_f32 v25, -v25, v32, v25
	s_delay_alu instid0(VALU_DEP_1) | instskip(SKIP_1) | instid1(VALU_DEP_2)
	v_div_fmas_f32 v25, v25, v29, v32
	v_mov_b32_e32 v32, v28
	v_div_fixup_f32 v29, v25, v24, v24
.LBB302_39:                             ;   in Loop: Header=BB302_4 Depth=1
	s_or_b32 exec_lo, exec_lo, s6
.LBB302_40:                             ;   in Loop: Header=BB302_4 Depth=1
	s_delay_alu instid0(SALU_CYCLE_1)
	s_or_b32 exec_lo, exec_lo, s26
.LBB302_41:                             ;   in Loop: Header=BB302_4 Depth=1
	s_delay_alu instid0(SALU_CYCLE_1) | instskip(NEXT) | instid1(VALU_DEP_1)
	s_or_b32 exec_lo, exec_lo, s25
	v_cmp_gt_f32_e32 vcc_lo, 0, v29
                                        ; implicit-def: $vgpr24_vgpr25
	s_mov_b32 s6, exec_lo
	v_cndmask_b32_e64 v28, v29, -v29, vcc_lo
	v_cmp_gt_f32_e32 vcc_lo, 0, v32
	v_cndmask_b32_e64 v33, v32, -v32, vcc_lo
	s_delay_alu instid0(VALU_DEP_1)
	v_cmpx_ge_f32_e32 v33, v28
	s_xor_b32 s7, exec_lo, s6
	s_cbranch_execz .LBB302_47
; %bb.42:                               ;   in Loop: Header=BB302_4 Depth=1
	v_cmp_neq_f32_e32 vcc_lo, 0, v32
	v_cmp_neq_f32_e64 s6, 0, v29
                                        ; implicit-def: $vgpr24_vgpr25
	s_or_b32 s6, vcc_lo, s6
	s_delay_alu instid0(SALU_CYCLE_1) | instskip(NEXT) | instid1(SALU_CYCLE_1)
	s_and_saveexec_b32 s25, s6
	s_xor_b32 s6, exec_lo, s25
	s_cbranch_execz .LBB302_44
; %bb.43:                               ;   in Loop: Header=BB302_4 Depth=1
	v_div_scale_f32 v24, null, v32, v32, v29
	v_div_scale_f32 v33, vcc_lo, v29, v32, v29
	s_delay_alu instid0(VALU_DEP_2) | instskip(SKIP_1) | instid1(TRANS32_DEP_1)
	v_rcp_f32_e32 v25, v24
	v_nop
	v_fma_f32 v28, -v24, v25, 1.0
	s_delay_alu instid0(VALU_DEP_1) | instskip(NEXT) | instid1(VALU_DEP_1)
	v_fmac_f32_e32 v25, v28, v25
	v_mul_f32_e32 v28, v33, v25
	s_delay_alu instid0(VALU_DEP_1) | instskip(NEXT) | instid1(VALU_DEP_1)
	v_fma_f32 v34, -v24, v28, v33
	v_fmac_f32_e32 v28, v34, v25
	s_delay_alu instid0(VALU_DEP_1) | instskip(NEXT) | instid1(VALU_DEP_1)
	v_fma_f32 v24, -v24, v28, v33
	v_div_fmas_f32 v24, v24, v25, v28
	s_delay_alu instid0(VALU_DEP_1) | instskip(NEXT) | instid1(VALU_DEP_1)
	v_div_fixup_f32 v25, v24, v32, v29
	v_fmac_f32_e32 v32, v29, v25
	s_delay_alu instid0(VALU_DEP_1) | instskip(SKIP_1) | instid1(VALU_DEP_2)
	v_div_scale_f32 v24, null, v32, v32, 1.0
	v_div_scale_f32 v33, vcc_lo, 1.0, v32, 1.0
	v_rcp_f32_e32 v28, v24
	v_nop
	s_delay_alu instid0(TRANS32_DEP_1) | instskip(NEXT) | instid1(VALU_DEP_1)
	v_fma_f32 v29, -v24, v28, 1.0
	v_fmac_f32_e32 v28, v29, v28
	s_delay_alu instid0(VALU_DEP_1) | instskip(NEXT) | instid1(VALU_DEP_1)
	v_mul_f32_e32 v29, v33, v28
	v_fma_f32 v34, -v24, v29, v33
	s_delay_alu instid0(VALU_DEP_1) | instskip(NEXT) | instid1(VALU_DEP_1)
	v_fmac_f32_e32 v29, v34, v28
	v_fma_f32 v24, -v24, v29, v33
	v_dual_mul_f32 v33, 0, v25 :: v_dual_sub_f32 v25, 0, v25
	s_delay_alu instid0(VALU_DEP_2) | instskip(NEXT) | instid1(VALU_DEP_2)
	v_div_fmas_f32 v28, v24, v28, v29
	v_add_f32_e32 v24, 1.0, v33
                                        ; implicit-def: $vgpr33
	s_delay_alu instid0(VALU_DEP_2) | instskip(NEXT) | instid1(VALU_DEP_1)
	v_div_fixup_f32 v28, v28, v32, 1.0
	v_pk_mul_f32 v[24:25], v[24:25], v[28:29] op_sel_hi:[1,0]
                                        ; implicit-def: $vgpr28
.LBB302_44:                             ;   in Loop: Header=BB302_4 Depth=1
	s_and_not1_saveexec_b32 s25, s6
	s_cbranch_execz .LBB302_46
; %bb.45:                               ;   in Loop: Header=BB302_4 Depth=1
	v_div_scale_f32 v24, null, v28, v28, 0
	v_div_scale_f32 v25, null, v33, v33, 1.0
	v_div_scale_f32 v36, vcc_lo, 0, v28, 0
	s_delay_alu instid0(VALU_DEP_3) | instskip(NEXT) | instid1(VALU_DEP_2)
	v_rcp_f32_e32 v29, v24
	v_rcp_f32_e32 v32, v25
	s_delay_alu instid0(TRANS32_DEP_2) | instskip(NEXT) | instid1(TRANS32_DEP_1)
	v_fma_f32 v34, -v24, v29, 1.0
	v_fma_f32 v35, -v25, v32, 1.0
	s_delay_alu instid0(VALU_DEP_1) | instskip(SKIP_1) | instid1(VALU_DEP_1)
	v_dual_fmac_f32 v29, v34, v29 :: v_dual_fmac_f32 v32, v35, v32
	v_div_scale_f32 v34, s6, 1.0, v33, 1.0
	v_dual_mul_f32 v35, v36, v29 :: v_dual_mul_f32 v37, v34, v32
	s_delay_alu instid0(VALU_DEP_1) | instskip(NEXT) | instid1(VALU_DEP_1)
	v_dual_fma_f32 v38, -v24, v35, v36 :: v_dual_fma_f32 v39, -v25, v37, v34
	v_dual_fmac_f32 v35, v38, v29 :: v_dual_fmac_f32 v37, v39, v32
	s_delay_alu instid0(VALU_DEP_1) | instskip(NEXT) | instid1(VALU_DEP_1)
	v_dual_fma_f32 v24, -v24, v35, v36 :: v_dual_fma_f32 v25, -v25, v37, v34
	v_div_fmas_f32 v24, v24, v29, v35
	s_mov_b32 vcc_lo, s6
	s_delay_alu instid0(VALU_DEP_2) | instskip(NEXT) | instid1(VALU_DEP_2)
	v_div_fmas_f32 v29, v25, v32, v37
	v_div_fixup_f32 v25, v24, v28, 0
	s_delay_alu instid0(VALU_DEP_2)
	v_div_fixup_f32 v24, v29, v33, 1.0
.LBB302_46:                             ;   in Loop: Header=BB302_4 Depth=1
	s_or_b32 exec_lo, exec_lo, s25
                                        ; implicit-def: $vgpr29
                                        ; implicit-def: $vgpr32
.LBB302_47:                             ;   in Loop: Header=BB302_4 Depth=1
	s_and_not1_saveexec_b32 s6, s7
	s_cbranch_execz .LBB302_49
; %bb.48:                               ;   in Loop: Header=BB302_4 Depth=1
	v_div_scale_f32 v24, null, v29, v29, v32
	v_div_scale_f32 v33, vcc_lo, v32, v29, v32
	s_delay_alu instid0(VALU_DEP_2) | instskip(SKIP_1) | instid1(TRANS32_DEP_1)
	v_rcp_f32_e32 v25, v24
	v_nop
	v_fma_f32 v28, -v24, v25, 1.0
	s_delay_alu instid0(VALU_DEP_1) | instskip(NEXT) | instid1(VALU_DEP_1)
	v_fmac_f32_e32 v25, v28, v25
	v_mul_f32_e32 v28, v33, v25
	s_delay_alu instid0(VALU_DEP_1) | instskip(NEXT) | instid1(VALU_DEP_1)
	v_fma_f32 v34, -v24, v28, v33
	v_fmac_f32_e32 v28, v34, v25
	s_delay_alu instid0(VALU_DEP_1) | instskip(NEXT) | instid1(VALU_DEP_1)
	v_fma_f32 v24, -v24, v28, v33
	v_div_fmas_f32 v24, v24, v25, v28
	s_delay_alu instid0(VALU_DEP_1) | instskip(NEXT) | instid1(VALU_DEP_1)
	v_div_fixup_f32 v24, v24, v29, v32
	v_fmac_f32_e32 v29, v32, v24
	s_delay_alu instid0(VALU_DEP_1) | instskip(SKIP_1) | instid1(VALU_DEP_2)
	v_div_scale_f32 v25, null, v29, v29, 1.0
	v_div_scale_f32 v33, vcc_lo, 1.0, v29, 1.0
	v_rcp_f32_e32 v28, v25
	v_nop
	s_delay_alu instid0(TRANS32_DEP_1) | instskip(NEXT) | instid1(VALU_DEP_1)
	v_fma_f32 v32, -v25, v28, 1.0
	v_fmac_f32_e32 v28, v32, v28
	s_delay_alu instid0(VALU_DEP_1) | instskip(NEXT) | instid1(VALU_DEP_1)
	v_mul_f32_e32 v32, v33, v28
	v_fma_f32 v34, -v25, v32, v33
	s_delay_alu instid0(VALU_DEP_1) | instskip(NEXT) | instid1(VALU_DEP_1)
	v_fmac_f32_e32 v32, v34, v28
	v_fma_f32 v25, -v25, v32, v33
	s_delay_alu instid0(VALU_DEP_1) | instskip(SKIP_1) | instid1(VALU_DEP_2)
	v_div_fmas_f32 v28, v25, v28, v32
	v_mul_f32_e32 v25, 0, v24
	v_div_fixup_f32 v28, v28, v29, 1.0
	s_delay_alu instid0(VALU_DEP_2) | instskip(NEXT) | instid1(VALU_DEP_1)
	v_pk_add_f32 v[24:25], v[24:25], v[16:17]
	v_pk_mul_f32 v[24:25], v[24:25], v[28:29] op_sel_hi:[1,0]
.LBB302_49:                             ;   in Loop: Header=BB302_4 Depth=1
	s_or_b32 exec_lo, exec_lo, s6
	v_cmp_neq_f32_e32 vcc_lo, 0, v30
	v_cmp_neq_f32_e64 s6, 0, v31
	v_mov_b32_e32 v32, 0
	s_or_b32 s6, vcc_lo, s6
	s_delay_alu instid0(SALU_CYCLE_1)
	s_and_saveexec_b32 s25, s6
	s_cbranch_execz .LBB302_80
; %bb.50:                               ;   in Loop: Header=BB302_4 Depth=1
	v_mov_b32_e32 v32, 0x7f800000
	s_mov_b32 s26, exec_lo
	v_cmpx_neq_f32_e64 0x7f800000, |v31|
	s_cbranch_execz .LBB302_79
; %bb.51:                               ;   in Loop: Header=BB302_4 Depth=1
                                        ; implicit-def: $vgpr32
	s_mov_b32 s6, exec_lo
	v_cmpx_o_f32_e32 v30, v30
	s_xor_b32 s27, exec_lo, s6
	s_cbranch_execz .LBB302_76
; %bb.52:                               ;   in Loop: Header=BB302_4 Depth=1
                                        ; implicit-def: $vgpr32
	s_mov_b32 s7, exec_lo
	v_cmpx_neq_f32_e64 0x7f800000, |v30|
	s_xor_b32 s28, exec_lo, s7
	s_cbranch_execz .LBB302_69
; %bb.53:                               ;   in Loop: Header=BB302_4 Depth=1
	v_max_num_f32_e64 v28, |v30|, |v30|
	v_max_num_f32_e64 v29, |v31|, |v31|
                                        ; implicit-def: $sgpr29
	s_delay_alu instid0(VALU_DEP_1) | instskip(NEXT) | instid1(VALU_DEP_1)
	v_max_num_f32_e32 v28, v29, v28
	v_cmp_nle_f32_e64 s6, 0x7ed413cb, v28
	s_and_saveexec_b32 s7, s6
	s_delay_alu instid0(SALU_CYCLE_1)
	s_xor_b32 s7, exec_lo, s7
	s_cbranch_execz .LBB302_57
; %bb.54:                               ;   in Loop: Header=BB302_4 Depth=1
	v_cmp_ge_f32_e64 s29, 0x1000000, |v30|
	v_cmp_ge_f32_e64 s30, 0x1000000, |v31|
	s_and_b32 s31, s30, s29
	s_mov_b32 s29, 0
	s_and_saveexec_b32 s30, s31
; %bb.55:                               ;   in Loop: Header=BB302_4 Depth=1
	v_pk_mul_f32 v[30:31], v[30:31], 4.0 op_sel_hi:[1,0]
	s_mov_b32 s29, exec_lo
; %bb.56:                               ;   in Loop: Header=BB302_4 Depth=1
	s_or_b32 exec_lo, exec_lo, s30
.LBB302_57:                             ;   in Loop: Header=BB302_4 Depth=1
	s_and_not1_saveexec_b32 s7, s7
; %bb.58:                               ;   in Loop: Header=BB302_4 Depth=1
	s_delay_alu instid0(VALU_DEP_1)
	v_pk_mul_f32 v[30:31], v[30:31], s[24:25] op_sel_hi:[1,0]
	s_and_not1_b32 s29, s29, exec_lo
; %bb.59:                               ;   in Loop: Header=BB302_4 Depth=1
	s_or_b32 exec_lo, exec_lo, s7
	s_delay_alu instid0(VALU_DEP_1) | instskip(NEXT) | instid1(VALU_DEP_2)
	v_max_num_f32_e64 v28, |v31|, |v31|
	v_max_num_f32_e64 v29, |v30|, |v30|
	s_delay_alu instid0(VALU_DEP_1) | instskip(NEXT) | instid1(VALU_DEP_1)
	v_max_num_f32_e32 v32, v29, v28
	v_cvt_f64_f32_e32 v[28:29], v32
	s_delay_alu instid0(VALU_DEP_1) | instskip(NEXT) | instid1(VALU_DEP_1)
	v_frexp_exp_i32_f64_e32 v28, v[28:29]
	v_sub_nc_u32_e32 v29, 0, v28
	v_cmp_neq_f32_e64 s7, 0x7f800000, v32
	s_delay_alu instid0(VALU_DEP_2) | instskip(SKIP_1) | instid1(VALU_DEP_2)
	v_ldexp_f32 v33, |v31|, v29
	v_ldexp_f32 v29, |v30|, v29
	v_mul_f32_e32 v33, v33, v33
	s_delay_alu instid0(VALU_DEP_1) | instskip(NEXT) | instid1(VALU_DEP_1)
	v_fmac_f32_e32 v33, v29, v29
	v_sqrt_f32_e32 v29, v33
	v_nop
	s_delay_alu instid0(TRANS32_DEP_1) | instskip(NEXT) | instid1(VALU_DEP_1)
	v_ldexp_f32 v28, v29, v28
	v_cndmask_b32_e64 v32, 0x7f800000, v28, s7
                                        ; implicit-def: $vgpr28_vgpr29
	s_mov_b32 s7, exec_lo
	v_cmpx_le_f32_e32 0, v30
	s_xor_b32 s30, exec_lo, s7
	s_cbranch_execz .LBB302_62
; %bb.60:                               ;   in Loop: Header=BB302_4 Depth=1
	v_add_f32_e32 v28, v30, v32
	s_delay_alu instid0(VALU_DEP_1) | instskip(NEXT) | instid1(VALU_DEP_1)
	v_mul_f32_e32 v28, 0.5, v28
	v_mul_f32_e32 v29, 0x4f800000, v28
	v_cmp_gt_f32_e32 vcc_lo, 0xf800000, v28
	s_delay_alu instid0(VALU_DEP_2) | instskip(NEXT) | instid1(VALU_DEP_1)
	v_cndmask_b32_e32 v28, v28, v29, vcc_lo
	v_sqrt_f32_e32 v29, v28
	v_nop
	s_delay_alu instid0(TRANS32_DEP_1) | instskip(NEXT) | instid1(VALU_DEP_1)
	v_dual_add_nc_u32 v30, -1, v29 :: v_dual_add_nc_u32 v32, 1, v29
	v_dual_fma_f32 v33, -v30, v29, v28 :: v_dual_fma_f32 v34, -v32, v29, v28
	s_delay_alu instid0(VALU_DEP_1) | instskip(NEXT) | instid1(VALU_DEP_1)
	v_cmp_ge_f32_e64 s7, 0, v33
	v_cndmask_b32_e64 v29, v29, v30, s7
	s_delay_alu instid0(VALU_DEP_3) | instskip(NEXT) | instid1(VALU_DEP_1)
	v_cmp_lt_f32_e64 s7, 0, v34
	v_cndmask_b32_e64 v29, v29, v32, s7
	s_delay_alu instid0(VALU_DEP_1) | instskip(NEXT) | instid1(VALU_DEP_1)
	v_mul_f32_e32 v30, 0x37800000, v29
	v_cndmask_b32_e32 v29, v29, v30, vcc_lo
	v_cmp_class_f32_e64 vcc_lo, v28, 0x260
	s_delay_alu instid0(VALU_DEP_2) | instskip(NEXT) | instid1(VALU_DEP_1)
	v_cndmask_b32_e32 v28, v29, v28, vcc_lo
	v_add_f32_e32 v29, v28, v28
	s_delay_alu instid0(VALU_DEP_1) | instskip(NEXT) | instid1(VALU_DEP_1)
	v_div_scale_f32 v30, null, v29, v29, v31
	v_rcp_f32_e32 v32, v30
	v_nop
	s_delay_alu instid0(TRANS32_DEP_1) | instskip(NEXT) | instid1(VALU_DEP_1)
	v_fma_f32 v33, -v30, v32, 1.0
	v_fmac_f32_e32 v32, v33, v32
	v_div_scale_f32 v33, vcc_lo, v31, v29, v31
	s_delay_alu instid0(VALU_DEP_1) | instskip(NEXT) | instid1(VALU_DEP_1)
	v_mul_f32_e32 v34, v33, v32
	v_fma_f32 v35, -v30, v34, v33
	s_delay_alu instid0(VALU_DEP_1) | instskip(NEXT) | instid1(VALU_DEP_1)
	v_fmac_f32_e32 v34, v35, v32
	v_fma_f32 v30, -v30, v34, v33
	s_delay_alu instid0(VALU_DEP_1) | instskip(NEXT) | instid1(VALU_DEP_1)
	v_div_fmas_f32 v30, v30, v32, v34
                                        ; implicit-def: $vgpr32
	v_div_fixup_f32 v29, v30, v29, v31
                                        ; implicit-def: $vgpr30_vgpr31
	s_and_not1_saveexec_b32 s30, s30
	s_cbranch_execz .LBB302_64
	s_branch .LBB302_63
.LBB302_61:                             ;   in Loop: Header=BB302_4 Depth=1
	s_or_b32 exec_lo, exec_lo, s6
	s_and_not1_saveexec_b32 s6, s27
	s_cbranch_execnz .LBB302_38
	s_branch .LBB302_39
.LBB302_62:                             ;   in Loop: Header=BB302_4 Depth=1
	s_and_not1_saveexec_b32 s30, s30
	s_cbranch_execz .LBB302_64
.LBB302_63:                             ;   in Loop: Header=BB302_4 Depth=1
	v_sub_f32_e32 v28, v32, v30
	s_delay_alu instid0(VALU_DEP_1) | instskip(NEXT) | instid1(VALU_DEP_1)
	v_mul_f32_e32 v28, 0.5, v28
	v_mul_f32_e32 v29, 0x4f800000, v28
	v_cmp_gt_f32_e32 vcc_lo, 0xf800000, v28
	s_delay_alu instid0(VALU_DEP_2) | instskip(NEXT) | instid1(VALU_DEP_1)
	v_cndmask_b32_e32 v28, v28, v29, vcc_lo
	v_sqrt_f32_e32 v29, v28
	v_nop
	s_delay_alu instid0(TRANS32_DEP_1) | instskip(NEXT) | instid1(VALU_DEP_1)
	v_dual_add_nc_u32 v30, -1, v29 :: v_dual_add_nc_u32 v32, 1, v29
	v_dual_fma_f32 v33, -v30, v29, v28 :: v_dual_fma_f32 v34, -v32, v29, v28
	s_delay_alu instid0(VALU_DEP_1) | instskip(NEXT) | instid1(VALU_DEP_1)
	v_cmp_ge_f32_e64 s7, 0, v33
	v_cndmask_b32_e64 v29, v29, v30, s7
	s_delay_alu instid0(VALU_DEP_3) | instskip(NEXT) | instid1(VALU_DEP_1)
	v_cmp_lt_f32_e64 s7, 0, v34
	v_cndmask_b32_e64 v29, v29, v32, s7
	s_delay_alu instid0(VALU_DEP_1) | instskip(NEXT) | instid1(VALU_DEP_1)
	v_mul_f32_e32 v30, 0x37800000, v29
	v_cndmask_b32_e32 v29, v29, v30, vcc_lo
	v_cmp_class_f32_e64 vcc_lo, v28, 0x260
	s_delay_alu instid0(VALU_DEP_2) | instskip(SKIP_1) | instid1(VALU_DEP_2)
	v_cndmask_b32_e32 v29, v29, v28, vcc_lo
	v_and_b32_e32 v28, 0x7fffffff, v31
	v_add_f32_e32 v30, v29, v29
	v_bfi_b32 v29, 0x7fffffff, v29, v31
	s_delay_alu instid0(VALU_DEP_2) | instskip(SKIP_1) | instid1(VALU_DEP_2)
	v_div_scale_f32 v32, null, v30, v30, v28
	v_div_scale_f32 v28, vcc_lo, v28, v30, v28
	v_rcp_f32_e32 v33, v32
	v_nop
	s_delay_alu instid0(TRANS32_DEP_1) | instskip(NEXT) | instid1(VALU_DEP_1)
	v_fma_f32 v34, -v32, v33, 1.0
	v_fmac_f32_e32 v33, v34, v33
	s_delay_alu instid0(VALU_DEP_1) | instskip(NEXT) | instid1(VALU_DEP_1)
	v_mul_f32_e32 v34, v28, v33
	v_fma_f32 v35, -v32, v34, v28
	s_delay_alu instid0(VALU_DEP_1) | instskip(NEXT) | instid1(VALU_DEP_1)
	v_fmac_f32_e32 v34, v35, v33
	v_fma_f32 v28, -v32, v34, v28
	s_delay_alu instid0(VALU_DEP_1) | instskip(NEXT) | instid1(VALU_DEP_1)
	v_div_fmas_f32 v28, v28, v33, v34
	v_div_fixup_f32 v28, v28, v30, |v31|
.LBB302_64:                             ;   in Loop: Header=BB302_4 Depth=1
	s_or_b32 exec_lo, exec_lo, s30
                                        ; implicit-def: $vgpr31
                                        ; implicit-def: $vgpr32
	s_and_saveexec_b32 s7, s6
	s_delay_alu instid0(SALU_CYCLE_1)
	s_xor_b32 s6, exec_lo, s7
	s_cbranch_execz .LBB302_66
; %bb.65:                               ;   in Loop: Header=BB302_4 Depth=1
	v_pk_mul_f32 v[30:31], v[28:29], 0.5 op_sel_hi:[1,0]
	s_delay_alu instid0(VALU_DEP_1)
	v_dual_cndmask_b32 v32, v28, v30, s29 :: v_dual_cndmask_b32 v31, v29, v31, s29
                                        ; implicit-def: $vgpr28_vgpr29
	s_and_not1_saveexec_b32 s6, s6
	s_cbranch_execnz .LBB302_67
	s_branch .LBB302_68
.LBB302_66:                             ;   in Loop: Header=BB302_4 Depth=1
	s_and_not1_saveexec_b32 s6, s6
.LBB302_67:                             ;   in Loop: Header=BB302_4 Depth=1
	v_pk_add_f32 v[30:31], v[28:29], v[28:29]
	s_delay_alu instid0(VALU_DEP_1)
	v_mov_b32_e32 v32, v30
.LBB302_68:                             ;   in Loop: Header=BB302_4 Depth=1
	s_or_b32 exec_lo, exec_lo, s6
.LBB302_69:                             ;   in Loop: Header=BB302_4 Depth=1
	s_and_not1_saveexec_b32 s6, s28
	s_cbranch_execz .LBB302_75
; %bb.70:                               ;   in Loop: Header=BB302_4 Depth=1
	v_sub_f32_e32 v28, v31, v31
	s_mov_b32 s7, exec_lo
	s_delay_alu instid0(VALU_DEP_1)
	v_and_b32_e32 v32, 0x7fffffff, v28
	v_cmpx_lt_i32_e32 -1, v30
	s_xor_b32 s7, exec_lo, s7
; %bb.71:                               ;   in Loop: Header=BB302_4 Depth=1
	v_bfi_b32 v31, 0x7fffffff, v28, v31
	v_mov_b32_e32 v32, v30
; %bb.72:                               ;   in Loop: Header=BB302_4 Depth=1
	s_and_not1_saveexec_b32 s7, s7
; %bb.73:                               ;   in Loop: Header=BB302_4 Depth=1
	s_delay_alu instid0(VALU_DEP_2)
	v_bfi_b32 v31, 0x7fffffff, v30, v31
; %bb.74:                               ;   in Loop: Header=BB302_4 Depth=1
	s_or_b32 exec_lo, exec_lo, s7
.LBB302_75:                             ;   in Loop: Header=BB302_4 Depth=1
	s_delay_alu instid0(SALU_CYCLE_1)
	s_or_b32 exec_lo, exec_lo, s6
.LBB302_76:                             ;   in Loop: Header=BB302_4 Depth=1
	s_and_not1_saveexec_b32 s6, s27
	s_cbranch_execz .LBB302_78
; %bb.77:                               ;   in Loop: Header=BB302_4 Depth=1
	v_sub_f32_e32 v28, v31, v31
	s_delay_alu instid0(VALU_DEP_1) | instskip(NEXT) | instid1(VALU_DEP_1)
	v_div_scale_f32 v29, vcc_lo, v28, v28, v28
	v_rcp_f32_e32 v31, v29
	v_nop
	s_delay_alu instid0(TRANS32_DEP_1) | instskip(NEXT) | instid1(VALU_DEP_1)
	v_fma_f32 v32, -v29, v31, 1.0
	v_fmac_f32_e32 v31, v32, v31
	s_delay_alu instid0(VALU_DEP_1) | instskip(NEXT) | instid1(VALU_DEP_1)
	v_mul_f32_e32 v32, v29, v31
	v_fma_f32 v33, -v29, v32, v29
	s_delay_alu instid0(VALU_DEP_1) | instskip(NEXT) | instid1(VALU_DEP_1)
	v_fmac_f32_e32 v32, v33, v31
	v_fma_f32 v29, -v29, v32, v29
	s_delay_alu instid0(VALU_DEP_1) | instskip(SKIP_1) | instid1(VALU_DEP_2)
	v_div_fmas_f32 v29, v29, v31, v32
	v_mov_b32_e32 v32, v30
	v_div_fixup_f32 v31, v29, v28, v28
.LBB302_78:                             ;   in Loop: Header=BB302_4 Depth=1
	s_or_b32 exec_lo, exec_lo, s6
.LBB302_79:                             ;   in Loop: Header=BB302_4 Depth=1
	s_delay_alu instid0(SALU_CYCLE_1)
	s_or_b32 exec_lo, exec_lo, s26
.LBB302_80:                             ;   in Loop: Header=BB302_4 Depth=1
	s_delay_alu instid0(SALU_CYCLE_1) | instskip(NEXT) | instid1(VALU_DEP_1)
	s_or_b32 exec_lo, exec_lo, s25
	v_cmp_gt_f32_e32 vcc_lo, 0, v31
                                        ; implicit-def: $vgpr28_vgpr29
	s_mov_b32 s6, exec_lo
	v_cndmask_b32_e64 v30, v31, -v31, vcc_lo
	v_cmp_gt_f32_e32 vcc_lo, 0, v32
	v_cndmask_b32_e64 v33, v32, -v32, vcc_lo
	s_delay_alu instid0(VALU_DEP_1)
	v_cmpx_ge_f32_e32 v33, v30
	s_xor_b32 s7, exec_lo, s6
	s_cbranch_execz .LBB302_86
; %bb.81:                               ;   in Loop: Header=BB302_4 Depth=1
	v_cmp_neq_f32_e32 vcc_lo, 0, v32
	v_cmp_neq_f32_e64 s6, 0, v31
                                        ; implicit-def: $vgpr28_vgpr29
	s_or_b32 s6, vcc_lo, s6
	s_delay_alu instid0(SALU_CYCLE_1) | instskip(NEXT) | instid1(SALU_CYCLE_1)
	s_and_saveexec_b32 s25, s6
	s_xor_b32 s6, exec_lo, s25
	s_cbranch_execz .LBB302_83
; %bb.82:                               ;   in Loop: Header=BB302_4 Depth=1
	v_div_scale_f32 v28, null, v32, v32, v31
	v_div_scale_f32 v33, vcc_lo, v31, v32, v31
	s_delay_alu instid0(VALU_DEP_2) | instskip(SKIP_1) | instid1(TRANS32_DEP_1)
	v_rcp_f32_e32 v29, v28
	v_nop
	v_fma_f32 v30, -v28, v29, 1.0
	s_delay_alu instid0(VALU_DEP_1) | instskip(NEXT) | instid1(VALU_DEP_1)
	v_fmac_f32_e32 v29, v30, v29
	v_mul_f32_e32 v30, v33, v29
	s_delay_alu instid0(VALU_DEP_1) | instskip(NEXT) | instid1(VALU_DEP_1)
	v_fma_f32 v34, -v28, v30, v33
	v_fmac_f32_e32 v30, v34, v29
	s_delay_alu instid0(VALU_DEP_1) | instskip(NEXT) | instid1(VALU_DEP_1)
	v_fma_f32 v28, -v28, v30, v33
	v_div_fmas_f32 v28, v28, v29, v30
	s_delay_alu instid0(VALU_DEP_1) | instskip(NEXT) | instid1(VALU_DEP_1)
	v_div_fixup_f32 v29, v28, v32, v31
	v_fmac_f32_e32 v32, v31, v29
	s_delay_alu instid0(VALU_DEP_1) | instskip(SKIP_1) | instid1(VALU_DEP_2)
	v_div_scale_f32 v28, null, v32, v32, 1.0
	v_div_scale_f32 v33, vcc_lo, 1.0, v32, 1.0
	v_rcp_f32_e32 v30, v28
	v_nop
	s_delay_alu instid0(TRANS32_DEP_1) | instskip(NEXT) | instid1(VALU_DEP_1)
	v_fma_f32 v31, -v28, v30, 1.0
	v_fmac_f32_e32 v30, v31, v30
	s_delay_alu instid0(VALU_DEP_1) | instskip(NEXT) | instid1(VALU_DEP_1)
	v_mul_f32_e32 v31, v33, v30
	v_fma_f32 v34, -v28, v31, v33
	s_delay_alu instid0(VALU_DEP_1) | instskip(NEXT) | instid1(VALU_DEP_1)
	v_fmac_f32_e32 v31, v34, v30
	v_dual_fma_f32 v28, -v28, v31, v33 :: v_dual_mul_f32 v33, 0, v29
	v_sub_f32_e32 v29, 0, v29
	s_delay_alu instid0(VALU_DEP_2) | instskip(NEXT) | instid1(VALU_DEP_3)
	v_div_fmas_f32 v30, v28, v30, v31
	v_add_f32_e32 v28, 1.0, v33
                                        ; implicit-def: $vgpr33
	s_delay_alu instid0(VALU_DEP_2) | instskip(NEXT) | instid1(VALU_DEP_1)
	v_div_fixup_f32 v30, v30, v32, 1.0
	v_pk_mul_f32 v[28:29], v[28:29], v[30:31] op_sel_hi:[1,0]
                                        ; implicit-def: $vgpr30
.LBB302_83:                             ;   in Loop: Header=BB302_4 Depth=1
	s_and_not1_saveexec_b32 s25, s6
	s_cbranch_execz .LBB302_85
; %bb.84:                               ;   in Loop: Header=BB302_4 Depth=1
	v_div_scale_f32 v28, null, v30, v30, 0
	v_div_scale_f32 v29, null, v33, v33, 1.0
	v_div_scale_f32 v36, vcc_lo, 0, v30, 0
	s_delay_alu instid0(VALU_DEP_3) | instskip(NEXT) | instid1(VALU_DEP_2)
	v_rcp_f32_e32 v31, v28
	v_rcp_f32_e32 v32, v29
	s_delay_alu instid0(TRANS32_DEP_2) | instskip(NEXT) | instid1(TRANS32_DEP_1)
	v_fma_f32 v34, -v28, v31, 1.0
	v_fma_f32 v35, -v29, v32, 1.0
	s_delay_alu instid0(VALU_DEP_1) | instskip(SKIP_1) | instid1(VALU_DEP_1)
	v_dual_fmac_f32 v31, v34, v31 :: v_dual_fmac_f32 v32, v35, v32
	v_div_scale_f32 v34, s6, 1.0, v33, 1.0
	v_dual_mul_f32 v35, v36, v31 :: v_dual_mul_f32 v37, v34, v32
	s_delay_alu instid0(VALU_DEP_1) | instskip(NEXT) | instid1(VALU_DEP_1)
	v_dual_fma_f32 v38, -v28, v35, v36 :: v_dual_fma_f32 v39, -v29, v37, v34
	v_dual_fmac_f32 v35, v38, v31 :: v_dual_fmac_f32 v37, v39, v32
	s_delay_alu instid0(VALU_DEP_1) | instskip(NEXT) | instid1(VALU_DEP_1)
	v_dual_fma_f32 v28, -v28, v35, v36 :: v_dual_fma_f32 v29, -v29, v37, v34
	v_div_fmas_f32 v28, v28, v31, v35
	s_mov_b32 vcc_lo, s6
	s_delay_alu instid0(VALU_DEP_2) | instskip(NEXT) | instid1(VALU_DEP_2)
	v_div_fmas_f32 v31, v29, v32, v37
	v_div_fixup_f32 v29, v28, v30, 0
	s_delay_alu instid0(VALU_DEP_2)
	v_div_fixup_f32 v28, v31, v33, 1.0
.LBB302_85:                             ;   in Loop: Header=BB302_4 Depth=1
	s_or_b32 exec_lo, exec_lo, s25
                                        ; implicit-def: $vgpr31
                                        ; implicit-def: $vgpr32
.LBB302_86:                             ;   in Loop: Header=BB302_4 Depth=1
	s_and_not1_saveexec_b32 s6, s7
	s_cbranch_execz .LBB302_88
; %bb.87:                               ;   in Loop: Header=BB302_4 Depth=1
	v_div_scale_f32 v28, null, v31, v31, v32
	v_div_scale_f32 v33, vcc_lo, v32, v31, v32
	s_delay_alu instid0(VALU_DEP_2) | instskip(SKIP_1) | instid1(TRANS32_DEP_1)
	v_rcp_f32_e32 v29, v28
	v_nop
	v_fma_f32 v30, -v28, v29, 1.0
	s_delay_alu instid0(VALU_DEP_1) | instskip(NEXT) | instid1(VALU_DEP_1)
	v_fmac_f32_e32 v29, v30, v29
	v_mul_f32_e32 v30, v33, v29
	s_delay_alu instid0(VALU_DEP_1) | instskip(NEXT) | instid1(VALU_DEP_1)
	v_fma_f32 v34, -v28, v30, v33
	v_fmac_f32_e32 v30, v34, v29
	s_delay_alu instid0(VALU_DEP_1) | instskip(NEXT) | instid1(VALU_DEP_1)
	v_fma_f32 v28, -v28, v30, v33
	v_div_fmas_f32 v28, v28, v29, v30
	s_delay_alu instid0(VALU_DEP_1) | instskip(NEXT) | instid1(VALU_DEP_1)
	v_div_fixup_f32 v28, v28, v31, v32
	v_fmac_f32_e32 v31, v32, v28
	s_delay_alu instid0(VALU_DEP_1) | instskip(SKIP_1) | instid1(VALU_DEP_2)
	v_div_scale_f32 v29, null, v31, v31, 1.0
	v_div_scale_f32 v33, vcc_lo, 1.0, v31, 1.0
	v_rcp_f32_e32 v30, v29
	v_nop
	s_delay_alu instid0(TRANS32_DEP_1) | instskip(NEXT) | instid1(VALU_DEP_1)
	v_fma_f32 v32, -v29, v30, 1.0
	v_fmac_f32_e32 v30, v32, v30
	s_delay_alu instid0(VALU_DEP_1) | instskip(NEXT) | instid1(VALU_DEP_1)
	v_mul_f32_e32 v32, v33, v30
	v_fma_f32 v34, -v29, v32, v33
	s_delay_alu instid0(VALU_DEP_1) | instskip(NEXT) | instid1(VALU_DEP_1)
	v_fmac_f32_e32 v32, v34, v30
	v_fma_f32 v29, -v29, v32, v33
	s_delay_alu instid0(VALU_DEP_1) | instskip(SKIP_1) | instid1(VALU_DEP_2)
	v_div_fmas_f32 v30, v29, v30, v32
	v_mul_f32_e32 v29, 0, v28
	v_div_fixup_f32 v30, v30, v31, 1.0
	s_delay_alu instid0(VALU_DEP_2) | instskip(NEXT) | instid1(VALU_DEP_1)
	v_pk_add_f32 v[28:29], v[28:29], v[16:17]
	v_pk_mul_f32 v[28:29], v[28:29], v[30:31] op_sel_hi:[1,0]
.LBB302_88:                             ;   in Loop: Header=BB302_4 Depth=1
	s_or_b32 exec_lo, exec_lo, s6
	v_cmp_neq_f32_e32 vcc_lo, 0, v26
	v_cmp_neq_f32_e64 s6, 0, v27
	v_mov_b32_e32 v32, 0
	s_or_b32 s6, vcc_lo, s6
	s_delay_alu instid0(SALU_CYCLE_1)
	s_and_saveexec_b32 s25, s6
	s_cbranch_execz .LBB302_118
; %bb.89:                               ;   in Loop: Header=BB302_4 Depth=1
	v_mov_b32_e32 v32, 0x7f800000
	s_mov_b32 s26, exec_lo
	v_cmpx_neq_f32_e64 0x7f800000, |v27|
	s_cbranch_execz .LBB302_117
; %bb.90:                               ;   in Loop: Header=BB302_4 Depth=1
                                        ; implicit-def: $vgpr32
	s_mov_b32 s6, exec_lo
	v_cmpx_o_f32_e32 v26, v26
	s_xor_b32 s27, exec_lo, s6
	s_cbranch_execz .LBB302_114
; %bb.91:                               ;   in Loop: Header=BB302_4 Depth=1
                                        ; implicit-def: $vgpr32
	s_mov_b32 s7, exec_lo
	v_cmpx_neq_f32_e64 0x7f800000, |v26|
	s_xor_b32 s28, exec_lo, s7
	s_cbranch_execz .LBB302_107
; %bb.92:                               ;   in Loop: Header=BB302_4 Depth=1
	v_max_num_f32_e64 v30, |v26|, |v26|
	v_max_num_f32_e64 v31, |v27|, |v27|
                                        ; implicit-def: $sgpr29
	s_delay_alu instid0(VALU_DEP_1) | instskip(NEXT) | instid1(VALU_DEP_1)
	v_max_num_f32_e32 v30, v31, v30
	v_cmp_nle_f32_e64 s6, 0x7ed413cb, v30
	s_and_saveexec_b32 s7, s6
	s_delay_alu instid0(SALU_CYCLE_1)
	s_xor_b32 s7, exec_lo, s7
	s_cbranch_execz .LBB302_96
; %bb.93:                               ;   in Loop: Header=BB302_4 Depth=1
	v_cmp_ge_f32_e64 s29, 0x1000000, |v26|
	v_cmp_ge_f32_e64 s30, 0x1000000, |v27|
	s_and_b32 s31, s30, s29
	s_mov_b32 s29, 0
	s_and_saveexec_b32 s30, s31
; %bb.94:                               ;   in Loop: Header=BB302_4 Depth=1
	v_pk_mul_f32 v[26:27], v[26:27], 4.0 op_sel_hi:[1,0]
	s_mov_b32 s29, exec_lo
; %bb.95:                               ;   in Loop: Header=BB302_4 Depth=1
	s_or_b32 exec_lo, exec_lo, s30
.LBB302_96:                             ;   in Loop: Header=BB302_4 Depth=1
	s_and_not1_saveexec_b32 s7, s7
; %bb.97:                               ;   in Loop: Header=BB302_4 Depth=1
	s_delay_alu instid0(VALU_DEP_1)
	v_pk_mul_f32 v[26:27], v[26:27], s[24:25] op_sel_hi:[1,0]
	s_and_not1_b32 s29, s29, exec_lo
; %bb.98:                               ;   in Loop: Header=BB302_4 Depth=1
	s_or_b32 exec_lo, exec_lo, s7
	s_delay_alu instid0(VALU_DEP_1) | instskip(NEXT) | instid1(VALU_DEP_2)
	v_max_num_f32_e64 v30, |v27|, |v27|
	v_max_num_f32_e64 v31, |v26|, |v26|
	s_delay_alu instid0(VALU_DEP_1) | instskip(NEXT) | instid1(VALU_DEP_1)
	v_max_num_f32_e32 v32, v31, v30
	v_cvt_f64_f32_e32 v[30:31], v32
	s_delay_alu instid0(VALU_DEP_1) | instskip(NEXT) | instid1(VALU_DEP_1)
	v_frexp_exp_i32_f64_e32 v30, v[30:31]
	v_sub_nc_u32_e32 v31, 0, v30
	v_cmp_neq_f32_e64 s7, 0x7f800000, v32
	s_delay_alu instid0(VALU_DEP_2) | instskip(SKIP_1) | instid1(VALU_DEP_2)
	v_ldexp_f32 v33, |v27|, v31
	v_ldexp_f32 v31, |v26|, v31
	v_mul_f32_e32 v33, v33, v33
	s_delay_alu instid0(VALU_DEP_1) | instskip(NEXT) | instid1(VALU_DEP_1)
	v_fmac_f32_e32 v33, v31, v31
	v_sqrt_f32_e32 v31, v33
	v_nop
	s_delay_alu instid0(TRANS32_DEP_1) | instskip(NEXT) | instid1(VALU_DEP_1)
	v_ldexp_f32 v30, v31, v30
	v_cndmask_b32_e64 v32, 0x7f800000, v30, s7
                                        ; implicit-def: $vgpr30_vgpr31
	s_mov_b32 s7, exec_lo
	v_cmpx_le_f32_e32 0, v26
	s_xor_b32 s30, exec_lo, s7
	s_cbranch_execz .LBB302_100
; %bb.99:                               ;   in Loop: Header=BB302_4 Depth=1
	v_add_f32_e32 v26, v26, v32
	s_delay_alu instid0(VALU_DEP_1) | instskip(NEXT) | instid1(VALU_DEP_1)
	v_mul_f32_e32 v26, 0.5, v26
	v_mul_f32_e32 v30, 0x4f800000, v26
	v_cmp_gt_f32_e32 vcc_lo, 0xf800000, v26
	s_delay_alu instid0(VALU_DEP_2) | instskip(NEXT) | instid1(VALU_DEP_1)
	v_cndmask_b32_e32 v26, v26, v30, vcc_lo
	v_sqrt_f32_e32 v30, v26
	v_nop
	s_delay_alu instid0(TRANS32_DEP_1) | instskip(NEXT) | instid1(VALU_DEP_1)
	v_dual_add_nc_u32 v31, -1, v30 :: v_dual_add_nc_u32 v32, 1, v30
	v_dual_fma_f32 v33, -v31, v30, v26 :: v_dual_fma_f32 v34, -v32, v30, v26
	s_delay_alu instid0(VALU_DEP_1) | instskip(NEXT) | instid1(VALU_DEP_1)
	v_cmp_ge_f32_e64 s7, 0, v33
	v_cndmask_b32_e64 v30, v30, v31, s7
	s_delay_alu instid0(VALU_DEP_3) | instskip(NEXT) | instid1(VALU_DEP_1)
	v_cmp_lt_f32_e64 s7, 0, v34
	v_cndmask_b32_e64 v30, v30, v32, s7
	s_delay_alu instid0(VALU_DEP_1) | instskip(NEXT) | instid1(VALU_DEP_1)
	v_mul_f32_e32 v31, 0x37800000, v30
	v_cndmask_b32_e32 v30, v30, v31, vcc_lo
	v_cmp_class_f32_e64 vcc_lo, v26, 0x260
	s_delay_alu instid0(VALU_DEP_2) | instskip(NEXT) | instid1(VALU_DEP_1)
	v_cndmask_b32_e32 v30, v30, v26, vcc_lo
	v_add_f32_e32 v26, v30, v30
	s_delay_alu instid0(VALU_DEP_1) | instskip(NEXT) | instid1(VALU_DEP_1)
	v_div_scale_f32 v31, null, v26, v26, v27
	v_rcp_f32_e32 v32, v31
	v_nop
	s_delay_alu instid0(TRANS32_DEP_1) | instskip(NEXT) | instid1(VALU_DEP_1)
	v_fma_f32 v33, -v31, v32, 1.0
	v_fmac_f32_e32 v32, v33, v32
	v_div_scale_f32 v33, vcc_lo, v27, v26, v27
	s_delay_alu instid0(VALU_DEP_1) | instskip(NEXT) | instid1(VALU_DEP_1)
	v_mul_f32_e32 v34, v33, v32
	v_fma_f32 v35, -v31, v34, v33
	s_delay_alu instid0(VALU_DEP_1) | instskip(NEXT) | instid1(VALU_DEP_1)
	v_fmac_f32_e32 v34, v35, v32
	v_fma_f32 v31, -v31, v34, v33
	s_delay_alu instid0(VALU_DEP_1) | instskip(NEXT) | instid1(VALU_DEP_1)
	v_div_fmas_f32 v31, v31, v32, v34
                                        ; implicit-def: $vgpr32
	v_div_fixup_f32 v31, v31, v26, v27
                                        ; implicit-def: $vgpr26_vgpr27
	s_and_not1_saveexec_b32 s30, s30
	s_cbranch_execz .LBB302_102
	s_branch .LBB302_101
.LBB302_100:                            ;   in Loop: Header=BB302_4 Depth=1
	s_and_not1_saveexec_b32 s30, s30
	s_cbranch_execz .LBB302_102
.LBB302_101:                            ;   in Loop: Header=BB302_4 Depth=1
	v_sub_f32_e32 v26, v32, v26
	s_delay_alu instid0(VALU_DEP_1) | instskip(NEXT) | instid1(VALU_DEP_1)
	v_mul_f32_e32 v26, 0.5, v26
	v_mul_f32_e32 v30, 0x4f800000, v26
	v_cmp_gt_f32_e32 vcc_lo, 0xf800000, v26
	s_delay_alu instid0(VALU_DEP_2) | instskip(NEXT) | instid1(VALU_DEP_1)
	v_cndmask_b32_e32 v26, v26, v30, vcc_lo
	v_sqrt_f32_e32 v30, v26
	v_nop
	s_delay_alu instid0(TRANS32_DEP_1) | instskip(NEXT) | instid1(VALU_DEP_1)
	v_dual_add_nc_u32 v31, -1, v30 :: v_dual_add_nc_u32 v32, 1, v30
	v_dual_fma_f32 v33, -v31, v30, v26 :: v_dual_fma_f32 v34, -v32, v30, v26
	s_delay_alu instid0(VALU_DEP_1) | instskip(NEXT) | instid1(VALU_DEP_1)
	v_cmp_ge_f32_e64 s7, 0, v33
	v_cndmask_b32_e64 v30, v30, v31, s7
	s_delay_alu instid0(VALU_DEP_3) | instskip(NEXT) | instid1(VALU_DEP_1)
	v_cmp_lt_f32_e64 s7, 0, v34
	v_cndmask_b32_e64 v30, v30, v32, s7
	s_delay_alu instid0(VALU_DEP_1) | instskip(NEXT) | instid1(VALU_DEP_1)
	v_mul_f32_e32 v31, 0x37800000, v30
	v_cndmask_b32_e32 v30, v30, v31, vcc_lo
	v_cmp_class_f32_e64 vcc_lo, v26, 0x260
	s_delay_alu instid0(VALU_DEP_2) | instskip(SKIP_1) | instid1(VALU_DEP_2)
	v_cndmask_b32_e32 v26, v30, v26, vcc_lo
	v_and_b32_e32 v30, 0x7fffffff, v27
	v_add_f32_e32 v31, v26, v26
	s_delay_alu instid0(VALU_DEP_1) | instskip(SKIP_1) | instid1(VALU_DEP_2)
	v_div_scale_f32 v32, null, v31, v31, v30
	v_div_scale_f32 v30, vcc_lo, v30, v31, v30
	v_rcp_f32_e32 v33, v32
	v_nop
	s_delay_alu instid0(TRANS32_DEP_1) | instskip(NEXT) | instid1(VALU_DEP_1)
	v_fma_f32 v34, -v32, v33, 1.0
	v_fmac_f32_e32 v33, v34, v33
	s_delay_alu instid0(VALU_DEP_1) | instskip(NEXT) | instid1(VALU_DEP_1)
	v_mul_f32_e32 v34, v30, v33
	v_fma_f32 v35, -v32, v34, v30
	s_delay_alu instid0(VALU_DEP_1) | instskip(NEXT) | instid1(VALU_DEP_1)
	v_fmac_f32_e32 v34, v35, v33
	v_fma_f32 v30, -v32, v34, v30
	s_delay_alu instid0(VALU_DEP_1) | instskip(NEXT) | instid1(VALU_DEP_1)
	v_div_fmas_f32 v30, v30, v33, v34
	v_div_fixup_f32 v30, v30, v31, |v27|
	v_bfi_b32 v31, 0x7fffffff, v26, v27
.LBB302_102:                            ;   in Loop: Header=BB302_4 Depth=1
	s_or_b32 exec_lo, exec_lo, s30
                                        ; implicit-def: $vgpr27
                                        ; implicit-def: $vgpr32
	s_and_saveexec_b32 s7, s6
	s_delay_alu instid0(SALU_CYCLE_1)
	s_xor_b32 s6, exec_lo, s7
	s_cbranch_execz .LBB302_104
; %bb.103:                              ;   in Loop: Header=BB302_4 Depth=1
	v_pk_mul_f32 v[26:27], v[30:31], 0.5 op_sel_hi:[1,0]
	s_delay_alu instid0(VALU_DEP_1)
	v_dual_cndmask_b32 v32, v30, v26, s29 :: v_dual_cndmask_b32 v27, v31, v27, s29
                                        ; implicit-def: $vgpr30_vgpr31
	s_and_not1_saveexec_b32 s6, s6
	s_cbranch_execnz .LBB302_105
	s_branch .LBB302_106
.LBB302_104:                            ;   in Loop: Header=BB302_4 Depth=1
	s_and_not1_saveexec_b32 s6, s6
.LBB302_105:                            ;   in Loop: Header=BB302_4 Depth=1
	v_pk_add_f32 v[26:27], v[30:31], v[30:31]
	s_delay_alu instid0(VALU_DEP_1)
	v_mov_b32_e32 v32, v26
.LBB302_106:                            ;   in Loop: Header=BB302_4 Depth=1
	s_or_b32 exec_lo, exec_lo, s6
.LBB302_107:                            ;   in Loop: Header=BB302_4 Depth=1
	s_and_not1_saveexec_b32 s6, s28
	s_cbranch_execz .LBB302_113
; %bb.108:                              ;   in Loop: Header=BB302_4 Depth=1
	v_sub_f32_e32 v30, v27, v27
	s_mov_b32 s7, exec_lo
	s_delay_alu instid0(VALU_DEP_1)
	v_and_b32_e32 v32, 0x7fffffff, v30
	v_cmpx_lt_i32_e32 -1, v26
	s_xor_b32 s7, exec_lo, s7
; %bb.109:                              ;   in Loop: Header=BB302_4 Depth=1
	v_bfi_b32 v27, 0x7fffffff, v30, v27
	v_mov_b32_e32 v32, v26
; %bb.110:                              ;   in Loop: Header=BB302_4 Depth=1
	s_and_not1_saveexec_b32 s7, s7
; %bb.111:                              ;   in Loop: Header=BB302_4 Depth=1
	s_delay_alu instid0(VALU_DEP_2)
	v_bfi_b32 v27, 0x7fffffff, v26, v27
; %bb.112:                              ;   in Loop: Header=BB302_4 Depth=1
	s_or_b32 exec_lo, exec_lo, s7
.LBB302_113:                            ;   in Loop: Header=BB302_4 Depth=1
	s_delay_alu instid0(SALU_CYCLE_1)
	s_or_b32 exec_lo, exec_lo, s6
.LBB302_114:                            ;   in Loop: Header=BB302_4 Depth=1
	s_and_not1_saveexec_b32 s6, s27
	s_cbranch_execz .LBB302_116
; %bb.115:                              ;   in Loop: Header=BB302_4 Depth=1
	v_sub_f32_e32 v27, v27, v27
	s_delay_alu instid0(VALU_DEP_1) | instskip(NEXT) | instid1(VALU_DEP_1)
	v_div_scale_f32 v30, vcc_lo, v27, v27, v27
	v_rcp_f32_e32 v31, v30
	v_nop
	s_delay_alu instid0(TRANS32_DEP_1) | instskip(NEXT) | instid1(VALU_DEP_1)
	v_fma_f32 v32, -v30, v31, 1.0
	v_fmac_f32_e32 v31, v32, v31
	s_delay_alu instid0(VALU_DEP_1) | instskip(NEXT) | instid1(VALU_DEP_1)
	v_mul_f32_e32 v32, v30, v31
	v_fma_f32 v33, -v30, v32, v30
	s_delay_alu instid0(VALU_DEP_1) | instskip(NEXT) | instid1(VALU_DEP_1)
	v_fmac_f32_e32 v32, v33, v31
	v_fma_f32 v30, -v30, v32, v30
	s_delay_alu instid0(VALU_DEP_1) | instskip(SKIP_1) | instid1(VALU_DEP_2)
	v_div_fmas_f32 v30, v30, v31, v32
	v_mov_b32_e32 v32, v26
	v_div_fixup_f32 v27, v30, v27, v27
.LBB302_116:                            ;   in Loop: Header=BB302_4 Depth=1
	s_or_b32 exec_lo, exec_lo, s6
.LBB302_117:                            ;   in Loop: Header=BB302_4 Depth=1
	s_delay_alu instid0(SALU_CYCLE_1)
	s_or_b32 exec_lo, exec_lo, s26
.LBB302_118:                            ;   in Loop: Header=BB302_4 Depth=1
	s_delay_alu instid0(SALU_CYCLE_1) | instskip(NEXT) | instid1(VALU_DEP_1)
	s_or_b32 exec_lo, exec_lo, s25
	v_cmp_gt_f32_e32 vcc_lo, 0, v27
                                        ; implicit-def: $vgpr30_vgpr31
	s_mov_b32 s6, exec_lo
	v_cndmask_b32_e64 v26, v27, -v27, vcc_lo
	v_cmp_gt_f32_e32 vcc_lo, 0, v32
	v_cndmask_b32_e64 v33, v32, -v32, vcc_lo
	s_delay_alu instid0(VALU_DEP_1)
	v_cmpx_ge_f32_e32 v33, v26
	s_xor_b32 s7, exec_lo, s6
	s_cbranch_execz .LBB302_124
; %bb.119:                              ;   in Loop: Header=BB302_4 Depth=1
	v_cmp_neq_f32_e32 vcc_lo, 0, v32
	v_cmp_neq_f32_e64 s6, 0, v27
                                        ; implicit-def: $vgpr30_vgpr31
	s_or_b32 s6, vcc_lo, s6
	s_delay_alu instid0(SALU_CYCLE_1) | instskip(NEXT) | instid1(SALU_CYCLE_1)
	s_and_saveexec_b32 s25, s6
	s_xor_b32 s6, exec_lo, s25
	s_cbranch_execz .LBB302_121
; %bb.120:                              ;   in Loop: Header=BB302_4 Depth=1
	v_div_scale_f32 v26, null, v32, v32, v27
	v_div_scale_f32 v33, vcc_lo, v27, v32, v27
	s_delay_alu instid0(VALU_DEP_2) | instskip(SKIP_1) | instid1(TRANS32_DEP_1)
	v_rcp_f32_e32 v30, v26
	v_nop
	v_fma_f32 v31, -v26, v30, 1.0
	s_delay_alu instid0(VALU_DEP_1) | instskip(NEXT) | instid1(VALU_DEP_1)
	v_fmac_f32_e32 v30, v31, v30
	v_mul_f32_e32 v31, v33, v30
	s_delay_alu instid0(VALU_DEP_1) | instskip(NEXT) | instid1(VALU_DEP_1)
	v_fma_f32 v34, -v26, v31, v33
	v_fmac_f32_e32 v31, v34, v30
	s_delay_alu instid0(VALU_DEP_1) | instskip(NEXT) | instid1(VALU_DEP_1)
	v_fma_f32 v26, -v26, v31, v33
	v_div_fmas_f32 v26, v26, v30, v31
	s_delay_alu instid0(VALU_DEP_1) | instskip(NEXT) | instid1(VALU_DEP_1)
	v_div_fixup_f32 v31, v26, v32, v27
	v_fmac_f32_e32 v32, v27, v31
	s_delay_alu instid0(VALU_DEP_1) | instskip(SKIP_1) | instid1(VALU_DEP_2)
	v_div_scale_f32 v26, null, v32, v32, 1.0
	v_div_scale_f32 v33, vcc_lo, 1.0, v32, 1.0
	v_rcp_f32_e32 v27, v26
	v_nop
	s_delay_alu instid0(TRANS32_DEP_1) | instskip(NEXT) | instid1(VALU_DEP_1)
	v_fma_f32 v30, -v26, v27, 1.0
	v_fmac_f32_e32 v27, v30, v27
	s_delay_alu instid0(VALU_DEP_1) | instskip(NEXT) | instid1(VALU_DEP_1)
	v_mul_f32_e32 v30, v33, v27
	v_fma_f32 v34, -v26, v30, v33
	s_delay_alu instid0(VALU_DEP_1) | instskip(NEXT) | instid1(VALU_DEP_1)
	v_fmac_f32_e32 v30, v34, v27
	v_dual_fma_f32 v26, -v26, v30, v33 :: v_dual_mul_f32 v33, 0, v31
	s_delay_alu instid0(VALU_DEP_1) | instskip(NEXT) | instid1(VALU_DEP_1)
	v_div_fmas_f32 v27, v26, v27, v30
	v_div_fixup_f32 v30, v27, v32, 1.0
	s_delay_alu instid0(VALU_DEP_3) | instskip(NEXT) | instid1(VALU_DEP_1)
	v_dual_sub_f32 v27, 0, v31 :: v_dual_add_f32 v26, 1.0, v33
                                        ; implicit-def: $vgpr33
	v_pk_mul_f32 v[30:31], v[26:27], v[30:31] op_sel_hi:[1,0]
                                        ; implicit-def: $vgpr26
.LBB302_121:                            ;   in Loop: Header=BB302_4 Depth=1
	s_and_not1_saveexec_b32 s25, s6
	s_cbranch_execz .LBB302_123
; %bb.122:                              ;   in Loop: Header=BB302_4 Depth=1
	v_div_scale_f32 v27, null, v26, v26, 0
	v_div_scale_f32 v30, null, v33, v33, 1.0
	v_div_scale_f32 v36, vcc_lo, 0, v26, 0
	s_delay_alu instid0(VALU_DEP_3) | instskip(NEXT) | instid1(VALU_DEP_2)
	v_rcp_f32_e32 v31, v27
	v_rcp_f32_e32 v32, v30
	s_delay_alu instid0(TRANS32_DEP_2) | instskip(NEXT) | instid1(TRANS32_DEP_1)
	v_fma_f32 v34, -v27, v31, 1.0
	v_fma_f32 v35, -v30, v32, 1.0
	s_delay_alu instid0(VALU_DEP_1) | instskip(SKIP_1) | instid1(VALU_DEP_1)
	v_dual_fmac_f32 v31, v34, v31 :: v_dual_fmac_f32 v32, v35, v32
	v_div_scale_f32 v34, s6, 1.0, v33, 1.0
	v_dual_mul_f32 v35, v36, v31 :: v_dual_mul_f32 v37, v34, v32
	s_delay_alu instid0(VALU_DEP_1) | instskip(NEXT) | instid1(VALU_DEP_1)
	v_dual_fma_f32 v38, -v27, v35, v36 :: v_dual_fma_f32 v39, -v30, v37, v34
	v_dual_fmac_f32 v35, v38, v31 :: v_dual_fmac_f32 v37, v39, v32
	s_delay_alu instid0(VALU_DEP_1) | instskip(NEXT) | instid1(VALU_DEP_1)
	v_dual_fma_f32 v27, -v27, v35, v36 :: v_dual_fma_f32 v30, -v30, v37, v34
	v_div_fmas_f32 v27, v27, v31, v35
	s_mov_b32 vcc_lo, s6
	s_delay_alu instid0(VALU_DEP_2) | instskip(NEXT) | instid1(VALU_DEP_2)
	v_div_fmas_f32 v30, v30, v32, v37
	v_div_fixup_f32 v31, v27, v26, 0
	s_delay_alu instid0(VALU_DEP_2)
	v_div_fixup_f32 v30, v30, v33, 1.0
.LBB302_123:                            ;   in Loop: Header=BB302_4 Depth=1
	s_or_b32 exec_lo, exec_lo, s25
                                        ; implicit-def: $vgpr27
                                        ; implicit-def: $vgpr32
.LBB302_124:                            ;   in Loop: Header=BB302_4 Depth=1
	s_and_not1_saveexec_b32 s6, s7
	s_cbranch_execz .LBB302_126
; %bb.125:                              ;   in Loop: Header=BB302_4 Depth=1
	v_div_scale_f32 v26, null, v27, v27, v32
	v_div_scale_f32 v33, vcc_lo, v32, v27, v32
	s_delay_alu instid0(VALU_DEP_2) | instskip(SKIP_1) | instid1(TRANS32_DEP_1)
	v_rcp_f32_e32 v30, v26
	v_nop
	v_fma_f32 v31, -v26, v30, 1.0
	s_delay_alu instid0(VALU_DEP_1) | instskip(NEXT) | instid1(VALU_DEP_1)
	v_fmac_f32_e32 v30, v31, v30
	v_mul_f32_e32 v31, v33, v30
	s_delay_alu instid0(VALU_DEP_1) | instskip(NEXT) | instid1(VALU_DEP_1)
	v_fma_f32 v34, -v26, v31, v33
	v_fmac_f32_e32 v31, v34, v30
	s_delay_alu instid0(VALU_DEP_1) | instskip(NEXT) | instid1(VALU_DEP_1)
	v_fma_f32 v26, -v26, v31, v33
	v_div_fmas_f32 v26, v26, v30, v31
	s_delay_alu instid0(VALU_DEP_1) | instskip(NEXT) | instid1(VALU_DEP_1)
	v_div_fixup_f32 v30, v26, v27, v32
	v_fmac_f32_e32 v27, v32, v30
	s_delay_alu instid0(VALU_DEP_1) | instskip(SKIP_1) | instid1(VALU_DEP_2)
	v_div_scale_f32 v26, null, v27, v27, 1.0
	v_div_scale_f32 v33, vcc_lo, 1.0, v27, 1.0
	v_rcp_f32_e32 v31, v26
	v_nop
	s_delay_alu instid0(TRANS32_DEP_1) | instskip(NEXT) | instid1(VALU_DEP_1)
	v_fma_f32 v32, -v26, v31, 1.0
	v_fmac_f32_e32 v31, v32, v31
	s_delay_alu instid0(VALU_DEP_1) | instskip(NEXT) | instid1(VALU_DEP_1)
	v_mul_f32_e32 v32, v33, v31
	v_fma_f32 v34, -v26, v32, v33
	s_delay_alu instid0(VALU_DEP_1) | instskip(NEXT) | instid1(VALU_DEP_1)
	v_fmac_f32_e32 v32, v34, v31
	v_fma_f32 v26, -v26, v32, v33
	s_delay_alu instid0(VALU_DEP_1) | instskip(SKIP_1) | instid1(VALU_DEP_2)
	v_div_fmas_f32 v26, v26, v31, v32
	v_mul_f32_e32 v31, 0, v30
	v_div_fixup_f32 v26, v26, v27, 1.0
	s_delay_alu instid0(VALU_DEP_2) | instskip(NEXT) | instid1(VALU_DEP_1)
	v_pk_add_f32 v[30:31], v[30:31], v[16:17]
	v_pk_mul_f32 v[30:31], v[30:31], v[26:27] op_sel_hi:[1,0]
.LBB302_126:                            ;   in Loop: Header=BB302_4 Depth=1
	s_or_b32 exec_lo, exec_lo, s6
	v_cmp_neq_f32_e32 vcc_lo, 0, v22
	v_cmp_neq_f32_e64 s6, 0, v23
	v_mov_b32_e32 v32, 0
	s_or_b32 s6, vcc_lo, s6
	s_delay_alu instid0(SALU_CYCLE_1)
	s_and_saveexec_b32 s25, s6
	s_cbranch_execz .LBB302_156
; %bb.127:                              ;   in Loop: Header=BB302_4 Depth=1
	v_mov_b32_e32 v32, 0x7f800000
	s_mov_b32 s26, exec_lo
	v_cmpx_neq_f32_e64 0x7f800000, |v23|
	s_cbranch_execz .LBB302_155
; %bb.128:                              ;   in Loop: Header=BB302_4 Depth=1
                                        ; implicit-def: $vgpr32
	s_mov_b32 s6, exec_lo
	v_cmpx_o_f32_e32 v22, v22
	s_xor_b32 s27, exec_lo, s6
	s_cbranch_execz .LBB302_152
; %bb.129:                              ;   in Loop: Header=BB302_4 Depth=1
                                        ; implicit-def: $vgpr32
	s_mov_b32 s7, exec_lo
	v_cmpx_neq_f32_e64 0x7f800000, |v22|
	s_xor_b32 s28, exec_lo, s7
	s_cbranch_execz .LBB302_145
; %bb.130:                              ;   in Loop: Header=BB302_4 Depth=1
	v_max_num_f32_e64 v26, |v22|, |v22|
	v_max_num_f32_e64 v27, |v23|, |v23|
                                        ; implicit-def: $sgpr29
	s_delay_alu instid0(VALU_DEP_1) | instskip(NEXT) | instid1(VALU_DEP_1)
	v_max_num_f32_e32 v26, v27, v26
	v_cmp_nle_f32_e64 s6, 0x7ed413cb, v26
	s_and_saveexec_b32 s7, s6
	s_delay_alu instid0(SALU_CYCLE_1)
	s_xor_b32 s7, exec_lo, s7
	s_cbranch_execz .LBB302_134
; %bb.131:                              ;   in Loop: Header=BB302_4 Depth=1
	v_cmp_ge_f32_e64 s29, 0x1000000, |v22|
	v_cmp_ge_f32_e64 s30, 0x1000000, |v23|
	s_and_b32 s31, s30, s29
	s_mov_b32 s29, 0
	s_and_saveexec_b32 s30, s31
; %bb.132:                              ;   in Loop: Header=BB302_4 Depth=1
	v_pk_mul_f32 v[22:23], v[22:23], 4.0 op_sel_hi:[1,0]
	s_mov_b32 s29, exec_lo
; %bb.133:                              ;   in Loop: Header=BB302_4 Depth=1
	s_or_b32 exec_lo, exec_lo, s30
.LBB302_134:                            ;   in Loop: Header=BB302_4 Depth=1
	s_and_not1_saveexec_b32 s7, s7
; %bb.135:                              ;   in Loop: Header=BB302_4 Depth=1
	s_delay_alu instid0(VALU_DEP_1)
	v_pk_mul_f32 v[22:23], v[22:23], s[24:25] op_sel_hi:[1,0]
	s_and_not1_b32 s29, s29, exec_lo
; %bb.136:                              ;   in Loop: Header=BB302_4 Depth=1
	s_or_b32 exec_lo, exec_lo, s7
	s_delay_alu instid0(VALU_DEP_1) | instskip(NEXT) | instid1(VALU_DEP_2)
	v_max_num_f32_e64 v26, |v23|, |v23|
	v_max_num_f32_e64 v27, |v22|, |v22|
	s_delay_alu instid0(VALU_DEP_1) | instskip(NEXT) | instid1(VALU_DEP_1)
	v_max_num_f32_e32 v32, v27, v26
	v_cvt_f64_f32_e32 v[26:27], v32
	s_delay_alu instid0(VALU_DEP_1) | instskip(NEXT) | instid1(VALU_DEP_1)
	v_frexp_exp_i32_f64_e32 v26, v[26:27]
	v_sub_nc_u32_e32 v27, 0, v26
	v_cmp_neq_f32_e64 s7, 0x7f800000, v32
	s_delay_alu instid0(VALU_DEP_2) | instskip(SKIP_1) | instid1(VALU_DEP_2)
	v_ldexp_f32 v33, |v23|, v27
	v_ldexp_f32 v27, |v22|, v27
	v_mul_f32_e32 v33, v33, v33
	s_delay_alu instid0(VALU_DEP_1) | instskip(NEXT) | instid1(VALU_DEP_1)
	v_fmac_f32_e32 v33, v27, v27
	v_sqrt_f32_e32 v27, v33
	v_nop
	s_delay_alu instid0(TRANS32_DEP_1) | instskip(NEXT) | instid1(VALU_DEP_1)
	v_ldexp_f32 v26, v27, v26
	v_cndmask_b32_e64 v32, 0x7f800000, v26, s7
                                        ; implicit-def: $vgpr26_vgpr27
	s_mov_b32 s7, exec_lo
	v_cmpx_le_f32_e32 0, v22
	s_xor_b32 s30, exec_lo, s7
	s_cbranch_execz .LBB302_138
; %bb.137:                              ;   in Loop: Header=BB302_4 Depth=1
	v_add_f32_e32 v22, v22, v32
	s_delay_alu instid0(VALU_DEP_1) | instskip(NEXT) | instid1(VALU_DEP_1)
	v_mul_f32_e32 v22, 0.5, v22
	v_mul_f32_e32 v26, 0x4f800000, v22
	v_cmp_gt_f32_e32 vcc_lo, 0xf800000, v22
	s_delay_alu instid0(VALU_DEP_2) | instskip(NEXT) | instid1(VALU_DEP_1)
	v_cndmask_b32_e32 v22, v22, v26, vcc_lo
	v_sqrt_f32_e32 v26, v22
	v_nop
	s_delay_alu instid0(TRANS32_DEP_1) | instskip(NEXT) | instid1(VALU_DEP_1)
	v_dual_add_nc_u32 v27, -1, v26 :: v_dual_add_nc_u32 v32, 1, v26
	v_dual_fma_f32 v33, -v27, v26, v22 :: v_dual_fma_f32 v34, -v32, v26, v22
	s_delay_alu instid0(VALU_DEP_1) | instskip(NEXT) | instid1(VALU_DEP_1)
	v_cmp_ge_f32_e64 s7, 0, v33
	v_cndmask_b32_e64 v26, v26, v27, s7
	s_delay_alu instid0(VALU_DEP_3) | instskip(NEXT) | instid1(VALU_DEP_1)
	v_cmp_lt_f32_e64 s7, 0, v34
	v_cndmask_b32_e64 v26, v26, v32, s7
	s_delay_alu instid0(VALU_DEP_1) | instskip(NEXT) | instid1(VALU_DEP_1)
	v_mul_f32_e32 v27, 0x37800000, v26
	v_cndmask_b32_e32 v26, v26, v27, vcc_lo
	v_cmp_class_f32_e64 vcc_lo, v22, 0x260
	s_delay_alu instid0(VALU_DEP_2) | instskip(NEXT) | instid1(VALU_DEP_1)
	v_cndmask_b32_e32 v26, v26, v22, vcc_lo
	v_add_f32_e32 v22, v26, v26
	s_delay_alu instid0(VALU_DEP_1) | instskip(NEXT) | instid1(VALU_DEP_1)
	v_div_scale_f32 v27, null, v22, v22, v23
	v_rcp_f32_e32 v32, v27
	v_nop
	s_delay_alu instid0(TRANS32_DEP_1) | instskip(NEXT) | instid1(VALU_DEP_1)
	v_fma_f32 v33, -v27, v32, 1.0
	v_fmac_f32_e32 v32, v33, v32
	v_div_scale_f32 v33, vcc_lo, v23, v22, v23
	s_delay_alu instid0(VALU_DEP_1) | instskip(NEXT) | instid1(VALU_DEP_1)
	v_mul_f32_e32 v34, v33, v32
	v_fma_f32 v35, -v27, v34, v33
	s_delay_alu instid0(VALU_DEP_1) | instskip(NEXT) | instid1(VALU_DEP_1)
	v_fmac_f32_e32 v34, v35, v32
	v_fma_f32 v27, -v27, v34, v33
	s_delay_alu instid0(VALU_DEP_1) | instskip(NEXT) | instid1(VALU_DEP_1)
	v_div_fmas_f32 v27, v27, v32, v34
                                        ; implicit-def: $vgpr32
	v_div_fixup_f32 v27, v27, v22, v23
                                        ; implicit-def: $vgpr22_vgpr23
	s_and_not1_saveexec_b32 s30, s30
	s_cbranch_execz .LBB302_140
	s_branch .LBB302_139
.LBB302_138:                            ;   in Loop: Header=BB302_4 Depth=1
	s_and_not1_saveexec_b32 s30, s30
	s_cbranch_execz .LBB302_140
.LBB302_139:                            ;   in Loop: Header=BB302_4 Depth=1
	v_sub_f32_e32 v22, v32, v22
	s_delay_alu instid0(VALU_DEP_1) | instskip(NEXT) | instid1(VALU_DEP_1)
	v_mul_f32_e32 v22, 0.5, v22
	v_mul_f32_e32 v26, 0x4f800000, v22
	v_cmp_gt_f32_e32 vcc_lo, 0xf800000, v22
	s_delay_alu instid0(VALU_DEP_2) | instskip(NEXT) | instid1(VALU_DEP_1)
	v_cndmask_b32_e32 v22, v22, v26, vcc_lo
	v_sqrt_f32_e32 v26, v22
	v_nop
	s_delay_alu instid0(TRANS32_DEP_1) | instskip(NEXT) | instid1(VALU_DEP_1)
	v_dual_add_nc_u32 v27, -1, v26 :: v_dual_add_nc_u32 v32, 1, v26
	v_dual_fma_f32 v33, -v27, v26, v22 :: v_dual_fma_f32 v34, -v32, v26, v22
	s_delay_alu instid0(VALU_DEP_1) | instskip(NEXT) | instid1(VALU_DEP_1)
	v_cmp_ge_f32_e64 s7, 0, v33
	v_cndmask_b32_e64 v26, v26, v27, s7
	s_delay_alu instid0(VALU_DEP_3) | instskip(NEXT) | instid1(VALU_DEP_1)
	v_cmp_lt_f32_e64 s7, 0, v34
	v_cndmask_b32_e64 v26, v26, v32, s7
	s_delay_alu instid0(VALU_DEP_1) | instskip(NEXT) | instid1(VALU_DEP_1)
	v_mul_f32_e32 v27, 0x37800000, v26
	v_cndmask_b32_e32 v26, v26, v27, vcc_lo
	v_cmp_class_f32_e64 vcc_lo, v22, 0x260
	s_delay_alu instid0(VALU_DEP_2) | instskip(SKIP_1) | instid1(VALU_DEP_2)
	v_cndmask_b32_e32 v22, v26, v22, vcc_lo
	v_and_b32_e32 v26, 0x7fffffff, v23
	v_add_f32_e32 v27, v22, v22
	s_delay_alu instid0(VALU_DEP_1) | instskip(SKIP_1) | instid1(VALU_DEP_2)
	v_div_scale_f32 v32, null, v27, v27, v26
	v_div_scale_f32 v26, vcc_lo, v26, v27, v26
	v_rcp_f32_e32 v33, v32
	v_nop
	s_delay_alu instid0(TRANS32_DEP_1) | instskip(NEXT) | instid1(VALU_DEP_1)
	v_fma_f32 v34, -v32, v33, 1.0
	v_fmac_f32_e32 v33, v34, v33
	s_delay_alu instid0(VALU_DEP_1) | instskip(NEXT) | instid1(VALU_DEP_1)
	v_mul_f32_e32 v34, v26, v33
	v_fma_f32 v35, -v32, v34, v26
	s_delay_alu instid0(VALU_DEP_1) | instskip(NEXT) | instid1(VALU_DEP_1)
	v_fmac_f32_e32 v34, v35, v33
	v_fma_f32 v26, -v32, v34, v26
	s_delay_alu instid0(VALU_DEP_1) | instskip(NEXT) | instid1(VALU_DEP_1)
	v_div_fmas_f32 v26, v26, v33, v34
	v_div_fixup_f32 v26, v26, v27, |v23|
	v_bfi_b32 v27, 0x7fffffff, v22, v23
.LBB302_140:                            ;   in Loop: Header=BB302_4 Depth=1
	s_or_b32 exec_lo, exec_lo, s30
                                        ; implicit-def: $vgpr23
                                        ; implicit-def: $vgpr32
	s_and_saveexec_b32 s7, s6
	s_delay_alu instid0(SALU_CYCLE_1)
	s_xor_b32 s6, exec_lo, s7
	s_cbranch_execz .LBB302_142
; %bb.141:                              ;   in Loop: Header=BB302_4 Depth=1
	v_pk_mul_f32 v[22:23], v[26:27], 0.5 op_sel_hi:[1,0]
	s_delay_alu instid0(VALU_DEP_1)
	v_dual_cndmask_b32 v32, v26, v22, s29 :: v_dual_cndmask_b32 v23, v27, v23, s29
                                        ; implicit-def: $vgpr26_vgpr27
	s_and_not1_saveexec_b32 s6, s6
	s_cbranch_execnz .LBB302_143
	s_branch .LBB302_144
.LBB302_142:                            ;   in Loop: Header=BB302_4 Depth=1
	s_and_not1_saveexec_b32 s6, s6
.LBB302_143:                            ;   in Loop: Header=BB302_4 Depth=1
	v_pk_add_f32 v[22:23], v[26:27], v[26:27]
	s_delay_alu instid0(VALU_DEP_1)
	v_mov_b32_e32 v32, v22
.LBB302_144:                            ;   in Loop: Header=BB302_4 Depth=1
	s_or_b32 exec_lo, exec_lo, s6
.LBB302_145:                            ;   in Loop: Header=BB302_4 Depth=1
	s_and_not1_saveexec_b32 s6, s28
	s_cbranch_execz .LBB302_151
; %bb.146:                              ;   in Loop: Header=BB302_4 Depth=1
	v_sub_f32_e32 v26, v23, v23
	s_mov_b32 s7, exec_lo
	s_delay_alu instid0(VALU_DEP_1)
	v_and_b32_e32 v32, 0x7fffffff, v26
	v_cmpx_lt_i32_e32 -1, v22
	s_xor_b32 s7, exec_lo, s7
; %bb.147:                              ;   in Loop: Header=BB302_4 Depth=1
	v_bfi_b32 v23, 0x7fffffff, v26, v23
	v_mov_b32_e32 v32, v22
; %bb.148:                              ;   in Loop: Header=BB302_4 Depth=1
	s_and_not1_saveexec_b32 s7, s7
; %bb.149:                              ;   in Loop: Header=BB302_4 Depth=1
	s_delay_alu instid0(VALU_DEP_2)
	v_bfi_b32 v23, 0x7fffffff, v22, v23
; %bb.150:                              ;   in Loop: Header=BB302_4 Depth=1
	s_or_b32 exec_lo, exec_lo, s7
.LBB302_151:                            ;   in Loop: Header=BB302_4 Depth=1
	s_delay_alu instid0(SALU_CYCLE_1)
	s_or_b32 exec_lo, exec_lo, s6
.LBB302_152:                            ;   in Loop: Header=BB302_4 Depth=1
	s_and_not1_saveexec_b32 s6, s27
	s_cbranch_execz .LBB302_154
; %bb.153:                              ;   in Loop: Header=BB302_4 Depth=1
	v_sub_f32_e32 v23, v23, v23
	s_delay_alu instid0(VALU_DEP_1) | instskip(NEXT) | instid1(VALU_DEP_1)
	v_div_scale_f32 v26, vcc_lo, v23, v23, v23
	v_rcp_f32_e32 v27, v26
	v_nop
	s_delay_alu instid0(TRANS32_DEP_1) | instskip(NEXT) | instid1(VALU_DEP_1)
	v_fma_f32 v32, -v26, v27, 1.0
	v_fmac_f32_e32 v27, v32, v27
	s_delay_alu instid0(VALU_DEP_1) | instskip(NEXT) | instid1(VALU_DEP_1)
	v_mul_f32_e32 v32, v26, v27
	v_fma_f32 v33, -v26, v32, v26
	s_delay_alu instid0(VALU_DEP_1) | instskip(NEXT) | instid1(VALU_DEP_1)
	v_fmac_f32_e32 v32, v33, v27
	v_fma_f32 v26, -v26, v32, v26
	s_delay_alu instid0(VALU_DEP_1) | instskip(SKIP_1) | instid1(VALU_DEP_2)
	v_div_fmas_f32 v26, v26, v27, v32
	v_mov_b32_e32 v32, v22
	v_div_fixup_f32 v23, v26, v23, v23
.LBB302_154:                            ;   in Loop: Header=BB302_4 Depth=1
	s_or_b32 exec_lo, exec_lo, s6
.LBB302_155:                            ;   in Loop: Header=BB302_4 Depth=1
	s_delay_alu instid0(SALU_CYCLE_1)
	s_or_b32 exec_lo, exec_lo, s26
.LBB302_156:                            ;   in Loop: Header=BB302_4 Depth=1
	s_delay_alu instid0(SALU_CYCLE_1) | instskip(NEXT) | instid1(VALU_DEP_1)
	s_or_b32 exec_lo, exec_lo, s25
	v_cmp_gt_f32_e32 vcc_lo, 0, v23
                                        ; implicit-def: $vgpr26_vgpr27
	s_mov_b32 s6, exec_lo
	v_cndmask_b32_e64 v22, v23, -v23, vcc_lo
	v_cmp_gt_f32_e32 vcc_lo, 0, v32
	v_cndmask_b32_e64 v33, v32, -v32, vcc_lo
	s_delay_alu instid0(VALU_DEP_1)
	v_cmpx_ge_f32_e32 v33, v22
	s_xor_b32 s7, exec_lo, s6
	s_cbranch_execz .LBB302_166
; %bb.157:                              ;   in Loop: Header=BB302_4 Depth=1
	v_cmp_neq_f32_e32 vcc_lo, 0, v32
	v_cmp_neq_f32_e64 s6, 0, v23
                                        ; implicit-def: $vgpr26_vgpr27
	s_or_b32 s6, vcc_lo, s6
	s_delay_alu instid0(SALU_CYCLE_1) | instskip(NEXT) | instid1(SALU_CYCLE_1)
	s_and_saveexec_b32 s25, s6
	s_xor_b32 s6, exec_lo, s25
	s_cbranch_execz .LBB302_159
; %bb.158:                              ;   in Loop: Header=BB302_4 Depth=1
	v_div_scale_f32 v22, null, v32, v32, v23
	v_div_scale_f32 v33, vcc_lo, v23, v32, v23
	s_delay_alu instid0(VALU_DEP_2) | instskip(SKIP_1) | instid1(TRANS32_DEP_1)
	v_rcp_f32_e32 v26, v22
	v_nop
	v_fma_f32 v27, -v22, v26, 1.0
	s_delay_alu instid0(VALU_DEP_1) | instskip(NEXT) | instid1(VALU_DEP_1)
	v_fmac_f32_e32 v26, v27, v26
	v_mul_f32_e32 v27, v33, v26
	s_delay_alu instid0(VALU_DEP_1) | instskip(NEXT) | instid1(VALU_DEP_1)
	v_fma_f32 v34, -v22, v27, v33
	v_fmac_f32_e32 v27, v34, v26
	s_delay_alu instid0(VALU_DEP_1) | instskip(NEXT) | instid1(VALU_DEP_1)
	v_fma_f32 v22, -v22, v27, v33
	v_div_fmas_f32 v22, v22, v26, v27
	s_delay_alu instid0(VALU_DEP_1) | instskip(NEXT) | instid1(VALU_DEP_1)
	v_div_fixup_f32 v27, v22, v32, v23
	v_fmac_f32_e32 v32, v23, v27
	s_delay_alu instid0(VALU_DEP_1) | instskip(SKIP_1) | instid1(VALU_DEP_2)
	v_div_scale_f32 v22, null, v32, v32, 1.0
	v_div_scale_f32 v33, vcc_lo, 1.0, v32, 1.0
	v_rcp_f32_e32 v23, v22
	v_nop
	s_delay_alu instid0(TRANS32_DEP_1) | instskip(NEXT) | instid1(VALU_DEP_1)
	v_fma_f32 v26, -v22, v23, 1.0
	v_fmac_f32_e32 v23, v26, v23
	s_delay_alu instid0(VALU_DEP_1) | instskip(NEXT) | instid1(VALU_DEP_1)
	v_mul_f32_e32 v26, v33, v23
	v_fma_f32 v34, -v22, v26, v33
	s_delay_alu instid0(VALU_DEP_1) | instskip(NEXT) | instid1(VALU_DEP_1)
	v_fmac_f32_e32 v26, v34, v23
	v_dual_fma_f32 v22, -v22, v26, v33 :: v_dual_mul_f32 v33, 0, v27
	s_delay_alu instid0(VALU_DEP_1) | instskip(NEXT) | instid1(VALU_DEP_1)
	v_div_fmas_f32 v23, v22, v23, v26
	v_div_fixup_f32 v26, v23, v32, 1.0
	s_delay_alu instid0(VALU_DEP_3) | instskip(NEXT) | instid1(VALU_DEP_1)
	v_dual_sub_f32 v23, 0, v27 :: v_dual_add_f32 v22, 1.0, v33
                                        ; implicit-def: $vgpr33
	v_pk_mul_f32 v[26:27], v[22:23], v[26:27] op_sel_hi:[1,0]
                                        ; implicit-def: $vgpr22
.LBB302_159:                            ;   in Loop: Header=BB302_4 Depth=1
	s_and_not1_saveexec_b32 s25, s6
	s_cbranch_execz .LBB302_161
; %bb.160:                              ;   in Loop: Header=BB302_4 Depth=1
	v_div_scale_f32 v23, null, v22, v22, 0
	v_div_scale_f32 v26, null, v33, v33, 1.0
	v_div_scale_f32 v36, vcc_lo, 0, v22, 0
	s_delay_alu instid0(VALU_DEP_3) | instskip(NEXT) | instid1(VALU_DEP_2)
	v_rcp_f32_e32 v27, v23
	v_rcp_f32_e32 v32, v26
	s_delay_alu instid0(TRANS32_DEP_2) | instskip(NEXT) | instid1(TRANS32_DEP_1)
	v_fma_f32 v34, -v23, v27, 1.0
	v_fma_f32 v35, -v26, v32, 1.0
	s_delay_alu instid0(VALU_DEP_1) | instskip(SKIP_1) | instid1(VALU_DEP_1)
	v_dual_fmac_f32 v27, v34, v27 :: v_dual_fmac_f32 v32, v35, v32
	v_div_scale_f32 v34, s6, 1.0, v33, 1.0
	v_dual_mul_f32 v35, v36, v27 :: v_dual_mul_f32 v37, v34, v32
	s_delay_alu instid0(VALU_DEP_1) | instskip(NEXT) | instid1(VALU_DEP_1)
	v_dual_fma_f32 v38, -v23, v35, v36 :: v_dual_fma_f32 v39, -v26, v37, v34
	v_dual_fmac_f32 v35, v38, v27 :: v_dual_fmac_f32 v37, v39, v32
	s_delay_alu instid0(VALU_DEP_1) | instskip(NEXT) | instid1(VALU_DEP_1)
	v_dual_fma_f32 v23, -v23, v35, v36 :: v_dual_fma_f32 v26, -v26, v37, v34
	v_div_fmas_f32 v23, v23, v27, v35
	s_mov_b32 vcc_lo, s6
	s_delay_alu instid0(VALU_DEP_2) | instskip(NEXT) | instid1(VALU_DEP_2)
	v_div_fmas_f32 v26, v26, v32, v37
	v_div_fixup_f32 v27, v23, v22, 0
	s_delay_alu instid0(VALU_DEP_2)
	v_div_fixup_f32 v26, v26, v33, 1.0
.LBB302_161:                            ;   in Loop: Header=BB302_4 Depth=1
	s_or_b32 exec_lo, exec_lo, s25
                                        ; implicit-def: $vgpr23
                                        ; implicit-def: $vgpr32
	s_and_not1_saveexec_b32 s6, s7
	s_cbranch_execnz .LBB302_167
.LBB302_162:                            ;   in Loop: Header=BB302_4 Depth=1
	s_or_b32 exec_lo, exec_lo, s6
	s_and_saveexec_b32 s6, s2
	s_delay_alu instid0(SALU_CYCLE_1)
	s_xor_b32 s2, exec_lo, s6
	s_cbranch_execz .LBB302_168
.LBB302_163:                            ;   in Loop: Header=BB302_4 Depth=1
	global_store_b64 v[8:9], v[24:25], off
	s_wait_xcnt 0x0
	s_or_b32 exec_lo, exec_lo, s2
	s_and_saveexec_b32 s2, s3
	s_cbranch_execnz .LBB302_169
.LBB302_164:                            ;   in Loop: Header=BB302_4 Depth=1
	s_or_b32 exec_lo, exec_lo, s2
	s_and_saveexec_b32 s2, s4
	s_cbranch_execz .LBB302_170
.LBB302_165:                            ;   in Loop: Header=BB302_4 Depth=1
	global_store_b64 v[18:19], v[30:31], off
	s_wait_xcnt 0x0
	s_or_b32 exec_lo, exec_lo, s2
	s_and_saveexec_b32 s2, s5
	s_cbranch_execz .LBB302_3
	s_branch .LBB302_171
.LBB302_166:                            ;   in Loop: Header=BB302_4 Depth=1
	s_and_not1_saveexec_b32 s6, s7
	s_cbranch_execz .LBB302_162
.LBB302_167:                            ;   in Loop: Header=BB302_4 Depth=1
	v_div_scale_f32 v22, null, v23, v23, v32
	v_div_scale_f32 v33, vcc_lo, v32, v23, v32
	s_delay_alu instid0(VALU_DEP_2) | instskip(SKIP_1) | instid1(TRANS32_DEP_1)
	v_rcp_f32_e32 v26, v22
	v_nop
	v_fma_f32 v27, -v22, v26, 1.0
	s_delay_alu instid0(VALU_DEP_1) | instskip(NEXT) | instid1(VALU_DEP_1)
	v_fmac_f32_e32 v26, v27, v26
	v_mul_f32_e32 v27, v33, v26
	s_delay_alu instid0(VALU_DEP_1) | instskip(NEXT) | instid1(VALU_DEP_1)
	v_fma_f32 v34, -v22, v27, v33
	v_fmac_f32_e32 v27, v34, v26
	s_delay_alu instid0(VALU_DEP_1) | instskip(NEXT) | instid1(VALU_DEP_1)
	v_fma_f32 v22, -v22, v27, v33
	v_div_fmas_f32 v22, v22, v26, v27
	s_delay_alu instid0(VALU_DEP_1) | instskip(NEXT) | instid1(VALU_DEP_1)
	v_div_fixup_f32 v26, v22, v23, v32
	v_fmac_f32_e32 v23, v32, v26
	s_delay_alu instid0(VALU_DEP_1) | instskip(SKIP_1) | instid1(VALU_DEP_2)
	v_div_scale_f32 v22, null, v23, v23, 1.0
	v_div_scale_f32 v33, vcc_lo, 1.0, v23, 1.0
	v_rcp_f32_e32 v27, v22
	v_nop
	s_delay_alu instid0(TRANS32_DEP_1) | instskip(NEXT) | instid1(VALU_DEP_1)
	v_fma_f32 v32, -v22, v27, 1.0
	v_fmac_f32_e32 v27, v32, v27
	s_delay_alu instid0(VALU_DEP_1) | instskip(NEXT) | instid1(VALU_DEP_1)
	v_mul_f32_e32 v32, v33, v27
	v_fma_f32 v34, -v22, v32, v33
	s_delay_alu instid0(VALU_DEP_1) | instskip(NEXT) | instid1(VALU_DEP_1)
	v_fmac_f32_e32 v32, v34, v27
	v_fma_f32 v22, -v22, v32, v33
	s_delay_alu instid0(VALU_DEP_1) | instskip(SKIP_1) | instid1(VALU_DEP_2)
	v_div_fmas_f32 v22, v22, v27, v32
	v_mul_f32_e32 v27, 0, v26
	v_div_fixup_f32 v22, v22, v23, 1.0
	s_delay_alu instid0(VALU_DEP_2) | instskip(NEXT) | instid1(VALU_DEP_1)
	v_pk_add_f32 v[26:27], v[26:27], v[16:17]
	v_pk_mul_f32 v[26:27], v[26:27], v[22:23] op_sel_hi:[1,0]
	s_or_b32 exec_lo, exec_lo, s6
	s_and_saveexec_b32 s6, s2
	s_delay_alu instid0(SALU_CYCLE_1)
	s_xor_b32 s2, exec_lo, s6
	s_cbranch_execnz .LBB302_163
.LBB302_168:                            ;   in Loop: Header=BB302_4 Depth=1
	s_or_b32 exec_lo, exec_lo, s2
	s_and_saveexec_b32 s2, s3
	s_cbranch_execz .LBB302_164
.LBB302_169:                            ;   in Loop: Header=BB302_4 Depth=1
	global_store_b64 v[14:15], v[28:29], off
	s_wait_xcnt 0x0
	s_or_b32 exec_lo, exec_lo, s2
	s_and_saveexec_b32 s2, s4
	s_cbranch_execnz .LBB302_165
.LBB302_170:                            ;   in Loop: Header=BB302_4 Depth=1
	s_or_b32 exec_lo, exec_lo, s2
	s_and_saveexec_b32 s2, s5
	s_cbranch_execz .LBB302_3
.LBB302_171:                            ;   in Loop: Header=BB302_4 Depth=1
	global_store_b64 v[20:21], v[26:27], off
	s_branch .LBB302_3
.LBB302_172:
	s_cbranch_execz .LBB302_174
	s_branch .LBB302_329
.LBB302_173:
.LBB302_174:
	v_min_i64 v[14:15], 0x10000, s[12:13]
	v_dual_mov_b32 v3, 0 :: v_dual_lshlrev_b32 v2, 2, v0
	s_mov_b32 s2, exec_lo
	s_delay_alu instid0(VALU_DEP_1)
	v_cmpx_lt_i64_e64 v[2:3], v[14:15]
	s_cbranch_execz .LBB302_329
; %bb.175:
	s_load_b32 s2, s[0:1], 0xd3c
	v_dual_mov_b32 v1, v3 :: v_dual_lshlrev_b32 v2, 5, v0
	s_wait_xcnt 0x0
	s_add_nc_u64 s[0:1], s[8:9], s[10:11]
	v_mov_b64_e32 v[16:17], 0xbf80000000000000
	s_mov_b32 s3, 0
	v_add_nc_u64_e32 v[4:5], s[0:1], v[2:3]
	s_mov_b32 s4, 0x3e800000
	s_mov_b32 s7, s3
	;; [unrolled: 1-line block ×3, first 2 shown]
	s_delay_alu instid0(VALU_DEP_1) | instskip(SKIP_2) | instid1(SALU_CYCLE_1)
	v_add_nc_u64_e32 v[18:19], 16, v[4:5]
	s_wait_kmcnt 0x0
	s_and_b32 s2, s2, 0xffff
	s_lshl_b32 s6, s2, 5
	s_branch .LBB302_177
.LBB302_176:                            ;   in Loop: Header=BB302_177 Depth=1
	s_or_b32 exec_lo, exec_lo, s0
	v_add_nc_u64_e32 v[0:1], s[2:3], v[0:1]
	s_clause 0x1
	global_store_b128 v[18:19], v[6:9], off offset:-16
	global_store_b128 v[18:19], v[10:13], off
	s_wait_xcnt 0x0
	v_add_nc_u64_e32 v[18:19], s[6:7], v[18:19]
	v_lshlrev_b64_e32 v[2:3], 2, v[0:1]
	s_delay_alu instid0(VALU_DEP_1) | instskip(SKIP_1) | instid1(SALU_CYCLE_1)
	v_cmp_ge_i64_e32 vcc_lo, v[2:3], v[14:15]
	s_or_b32 s5, vcc_lo, s5
	s_and_not1_b32 exec_lo, exec_lo, s5
	s_cbranch_execz .LBB302_329
.LBB302_177:                            ; =>This Inner Loop Header: Depth=1
	s_clause 0x1
	global_load_b128 v[8:11], v[18:19], off offset:-16
	global_load_b128 v[2:5], v[18:19], off
	v_mov_b32_e32 v12, 0
	s_wait_loadcnt 0x1
	v_cmp_neq_f32_e32 vcc_lo, 0, v8
	v_cmp_neq_f32_e64 s0, 0, v9
	s_or_b32 s0, vcc_lo, s0
	s_wait_xcnt 0x0
	s_and_saveexec_b32 s8, s0
	s_cbranch_execz .LBB302_206
; %bb.178:                              ;   in Loop: Header=BB302_177 Depth=1
	v_mov_b32_e32 v12, 0x7f800000
	s_mov_b32 s9, exec_lo
	v_cmpx_neq_f32_e64 0x7f800000, |v9|
	s_cbranch_execz .LBB302_205
; %bb.179:                              ;   in Loop: Header=BB302_177 Depth=1
                                        ; implicit-def: $vgpr13
	s_mov_b32 s0, exec_lo
	v_cmpx_o_f32_e32 v8, v8
	s_xor_b32 s10, exec_lo, s0
	s_cbranch_execz .LBB302_202
; %bb.180:                              ;   in Loop: Header=BB302_177 Depth=1
                                        ; implicit-def: $vgpr13
	s_mov_b32 s1, exec_lo
	v_cmpx_neq_f32_e64 0x7f800000, |v8|
	s_xor_b32 s11, exec_lo, s1
	s_cbranch_execz .LBB302_196
; %bb.181:                              ;   in Loop: Header=BB302_177 Depth=1
	v_max_num_f32_e64 v6, |v9|, |v9|
	v_max_num_f32_e64 v7, |v8|, |v8|
                                        ; implicit-def: $sgpr12
	s_delay_alu instid0(VALU_DEP_1) | instskip(NEXT) | instid1(VALU_DEP_1)
	v_max_num_f32_e32 v6, v7, v6
	v_cmp_nle_f32_e64 s0, 0x7ed413cb, v6
                                        ; implicit-def: $vgpr6_vgpr7
	s_and_saveexec_b32 s1, s0
	s_delay_alu instid0(SALU_CYCLE_1)
	s_xor_b32 s1, exec_lo, s1
	s_cbranch_execz .LBB302_185
; %bb.182:                              ;   in Loop: Header=BB302_177 Depth=1
	v_cmp_ge_f32_e64 s12, 0x1000000, |v8|
	v_cmp_ge_f32_e64 s13, 0x1000000, |v9|
	v_mov_b64_e32 v[6:7], v[8:9]
	s_and_b32 s14, s12, s13
	s_mov_b32 s12, 0
	s_and_saveexec_b32 s13, s14
; %bb.183:                              ;   in Loop: Header=BB302_177 Depth=1
	v_pk_mul_f32 v[6:7], v[8:9], 4.0 op_sel_hi:[1,0]
	s_mov_b32 s12, exec_lo
; %bb.184:                              ;   in Loop: Header=BB302_177 Depth=1
	s_or_b32 exec_lo, exec_lo, s13
.LBB302_185:                            ;   in Loop: Header=BB302_177 Depth=1
	s_and_not1_saveexec_b32 s1, s1
; %bb.186:                              ;   in Loop: Header=BB302_177 Depth=1
	v_pk_mul_f32 v[6:7], v[8:9], s[4:5] op_sel_hi:[1,0]
	s_and_not1_b32 s12, s12, exec_lo
; %bb.187:                              ;   in Loop: Header=BB302_177 Depth=1
	s_or_b32 exec_lo, exec_lo, s1
	s_delay_alu instid0(VALU_DEP_1) | instskip(NEXT) | instid1(VALU_DEP_2)
	v_max_num_f32_e64 v12, |v7|, |v7|
	v_max_num_f32_e64 v13, |v6|, |v6|
	s_delay_alu instid0(VALU_DEP_1) | instskip(NEXT) | instid1(VALU_DEP_1)
	v_max_num_f32_e32 v20, v13, v12
	v_cvt_f64_f32_e32 v[12:13], v20
	s_delay_alu instid0(VALU_DEP_1) | instskip(NEXT) | instid1(VALU_DEP_1)
	v_frexp_exp_i32_f64_e32 v12, v[12:13]
	v_sub_nc_u32_e32 v13, 0, v12
	v_cmp_neq_f32_e64 s1, 0x7f800000, v20
	s_delay_alu instid0(VALU_DEP_2) | instskip(SKIP_1) | instid1(VALU_DEP_2)
	v_ldexp_f32 v21, |v7|, v13
	v_ldexp_f32 v13, |v6|, v13
	v_mul_f32_e32 v21, v21, v21
	s_delay_alu instid0(VALU_DEP_1) | instskip(NEXT) | instid1(VALU_DEP_1)
	v_fmac_f32_e32 v21, v13, v13
	v_sqrt_f32_e32 v13, v21
                                        ; implicit-def: $vgpr20_vgpr21
	v_nop
	s_delay_alu instid0(TRANS32_DEP_1) | instskip(NEXT) | instid1(VALU_DEP_1)
	v_ldexp_f32 v12, v13, v12
	v_cndmask_b32_e64 v12, 0x7f800000, v12, s1
	s_mov_b32 s1, exec_lo
	v_cmpx_le_f32_e32 0, v6
	s_xor_b32 s13, exec_lo, s1
	s_cbranch_execz .LBB302_189
; %bb.188:                              ;   in Loop: Header=BB302_177 Depth=1
	v_add_f32_e32 v6, v6, v12
	s_delay_alu instid0(VALU_DEP_1) | instskip(NEXT) | instid1(VALU_DEP_1)
	v_mul_f32_e32 v6, 0.5, v6
	v_mul_f32_e32 v12, 0x4f800000, v6
	v_cmp_gt_f32_e32 vcc_lo, 0xf800000, v6
	s_delay_alu instid0(VALU_DEP_2) | instskip(NEXT) | instid1(VALU_DEP_1)
	v_cndmask_b32_e32 v6, v6, v12, vcc_lo
	v_sqrt_f32_e32 v12, v6
	v_nop
	s_delay_alu instid0(TRANS32_DEP_1) | instskip(NEXT) | instid1(VALU_DEP_1)
	v_dual_add_nc_u32 v13, -1, v12 :: v_dual_add_nc_u32 v20, 1, v12
	v_dual_fma_f32 v21, -v13, v12, v6 :: v_dual_fma_f32 v22, -v20, v12, v6
	s_delay_alu instid0(VALU_DEP_1) | instskip(NEXT) | instid1(VALU_DEP_1)
	v_cmp_ge_f32_e64 s1, 0, v21
	v_cndmask_b32_e64 v12, v12, v13, s1
	s_delay_alu instid0(VALU_DEP_3) | instskip(NEXT) | instid1(VALU_DEP_1)
	v_cmp_lt_f32_e64 s1, 0, v22
	v_cndmask_b32_e64 v12, v12, v20, s1
	s_delay_alu instid0(VALU_DEP_1) | instskip(NEXT) | instid1(VALU_DEP_1)
	v_mul_f32_e32 v13, 0x37800000, v12
	v_cndmask_b32_e32 v12, v12, v13, vcc_lo
	v_cmp_class_f32_e64 vcc_lo, v6, 0x260
	s_delay_alu instid0(VALU_DEP_2) | instskip(NEXT) | instid1(VALU_DEP_1)
	v_cndmask_b32_e32 v20, v12, v6, vcc_lo
	v_add_f32_e32 v6, v20, v20
	s_delay_alu instid0(VALU_DEP_1) | instskip(NEXT) | instid1(VALU_DEP_1)
	v_div_scale_f32 v12, null, v6, v6, v7
	v_rcp_f32_e32 v13, v12
	v_nop
	s_delay_alu instid0(TRANS32_DEP_1) | instskip(NEXT) | instid1(VALU_DEP_1)
	v_fma_f32 v21, -v12, v13, 1.0
	v_fmac_f32_e32 v13, v21, v13
	v_div_scale_f32 v21, vcc_lo, v7, v6, v7
	s_delay_alu instid0(VALU_DEP_1) | instskip(NEXT) | instid1(VALU_DEP_1)
	v_mul_f32_e32 v22, v21, v13
	v_fma_f32 v23, -v12, v22, v21
	s_delay_alu instid0(VALU_DEP_1) | instskip(NEXT) | instid1(VALU_DEP_1)
	v_fmac_f32_e32 v22, v23, v13
	v_fma_f32 v12, -v12, v22, v21
	s_delay_alu instid0(VALU_DEP_1) | instskip(NEXT) | instid1(VALU_DEP_1)
	v_div_fmas_f32 v12, v12, v13, v22
	v_div_fixup_f32 v21, v12, v6, v7
                                        ; implicit-def: $vgpr12
                                        ; implicit-def: $vgpr6_vgpr7
	s_and_not1_saveexec_b32 s13, s13
	s_cbranch_execz .LBB302_191
	s_branch .LBB302_190
.LBB302_189:                            ;   in Loop: Header=BB302_177 Depth=1
	s_and_not1_saveexec_b32 s13, s13
	s_cbranch_execz .LBB302_191
.LBB302_190:                            ;   in Loop: Header=BB302_177 Depth=1
	v_sub_f32_e32 v6, v12, v6
	s_delay_alu instid0(VALU_DEP_1) | instskip(NEXT) | instid1(VALU_DEP_1)
	v_mul_f32_e32 v6, 0.5, v6
	v_mul_f32_e32 v12, 0x4f800000, v6
	v_cmp_gt_f32_e32 vcc_lo, 0xf800000, v6
	s_delay_alu instid0(VALU_DEP_2) | instskip(NEXT) | instid1(VALU_DEP_1)
	v_cndmask_b32_e32 v6, v6, v12, vcc_lo
	v_sqrt_f32_e32 v12, v6
	v_nop
	s_delay_alu instid0(TRANS32_DEP_1) | instskip(NEXT) | instid1(VALU_DEP_1)
	v_dual_add_nc_u32 v13, -1, v12 :: v_dual_add_nc_u32 v20, 1, v12
	v_dual_fma_f32 v21, -v13, v12, v6 :: v_dual_fma_f32 v22, -v20, v12, v6
	s_delay_alu instid0(VALU_DEP_1) | instskip(NEXT) | instid1(VALU_DEP_1)
	v_cmp_ge_f32_e64 s1, 0, v21
	v_cndmask_b32_e64 v12, v12, v13, s1
	s_delay_alu instid0(VALU_DEP_3) | instskip(NEXT) | instid1(VALU_DEP_1)
	v_cmp_lt_f32_e64 s1, 0, v22
	v_cndmask_b32_e64 v12, v12, v20, s1
	s_delay_alu instid0(VALU_DEP_1) | instskip(NEXT) | instid1(VALU_DEP_1)
	v_mul_f32_e32 v13, 0x37800000, v12
	v_cndmask_b32_e32 v12, v12, v13, vcc_lo
	v_cmp_class_f32_e64 vcc_lo, v6, 0x260
	s_delay_alu instid0(VALU_DEP_2) | instskip(SKIP_1) | instid1(VALU_DEP_2)
	v_cndmask_b32_e32 v6, v12, v6, vcc_lo
	v_and_b32_e32 v12, 0x7fffffff, v7
	v_add_f32_e32 v13, v6, v6
	s_delay_alu instid0(VALU_DEP_1) | instskip(SKIP_1) | instid1(VALU_DEP_2)
	v_div_scale_f32 v20, null, v13, v13, v12
	v_div_scale_f32 v12, vcc_lo, v12, v13, v12
	v_rcp_f32_e32 v21, v20
	v_nop
	s_delay_alu instid0(TRANS32_DEP_1) | instskip(NEXT) | instid1(VALU_DEP_1)
	v_fma_f32 v22, -v20, v21, 1.0
	v_fmac_f32_e32 v21, v22, v21
	s_delay_alu instid0(VALU_DEP_1) | instskip(NEXT) | instid1(VALU_DEP_1)
	v_mul_f32_e32 v22, v12, v21
	v_fma_f32 v23, -v20, v22, v12
	s_delay_alu instid0(VALU_DEP_1) | instskip(NEXT) | instid1(VALU_DEP_1)
	v_fmac_f32_e32 v22, v23, v21
	v_fma_f32 v12, -v20, v22, v12
	s_delay_alu instid0(VALU_DEP_1) | instskip(SKIP_1) | instid1(VALU_DEP_2)
	v_div_fmas_f32 v12, v12, v21, v22
	v_bfi_b32 v21, 0x7fffffff, v6, v7
	v_div_fixup_f32 v20, v12, v13, |v7|
.LBB302_191:                            ;   in Loop: Header=BB302_177 Depth=1
	s_or_b32 exec_lo, exec_lo, s13
                                        ; implicit-def: $vgpr13
	s_and_saveexec_b32 s1, s0
	s_delay_alu instid0(SALU_CYCLE_1)
	s_xor_b32 s0, exec_lo, s1
	s_cbranch_execz .LBB302_193
; %bb.192:                              ;   in Loop: Header=BB302_177 Depth=1
	v_pk_mul_f32 v[6:7], v[20:21], 0.5 op_sel_hi:[1,0]
	s_delay_alu instid0(VALU_DEP_1)
	v_dual_cndmask_b32 v12, v20, v6, s12 :: v_dual_cndmask_b32 v13, v21, v7, s12
                                        ; implicit-def: $vgpr20_vgpr21
	s_and_not1_saveexec_b32 s0, s0
	s_cbranch_execnz .LBB302_194
	s_branch .LBB302_195
.LBB302_193:                            ;   in Loop: Header=BB302_177 Depth=1
	s_and_not1_saveexec_b32 s0, s0
.LBB302_194:                            ;   in Loop: Header=BB302_177 Depth=1
	v_pk_add_f32 v[12:13], v[20:21], v[20:21]
.LBB302_195:                            ;   in Loop: Header=BB302_177 Depth=1
	s_or_b32 exec_lo, exec_lo, s0
.LBB302_196:                            ;   in Loop: Header=BB302_177 Depth=1
	s_and_not1_saveexec_b32 s0, s11
	s_cbranch_execz .LBB302_226
; %bb.197:                              ;   in Loop: Header=BB302_177 Depth=1
	v_sub_f32_e32 v6, v9, v9
	s_mov_b32 s1, exec_lo
	s_delay_alu instid0(VALU_DEP_1)
	v_and_b32_e32 v12, 0x7fffffff, v6
	v_cmpx_lt_i32_e32 -1, v8
	s_xor_b32 s1, exec_lo, s1
; %bb.198:                              ;   in Loop: Header=BB302_177 Depth=1
	v_bfi_b32 v13, 0x7fffffff, v6, v9
	v_mov_b32_e32 v12, v8
; %bb.199:                              ;   in Loop: Header=BB302_177 Depth=1
	s_and_not1_saveexec_b32 s1, s1
; %bb.200:                              ;   in Loop: Header=BB302_177 Depth=1
	v_bfi_b32 v13, 0x7fffffff, v8, v9
; %bb.201:                              ;   in Loop: Header=BB302_177 Depth=1
	s_or_b32 exec_lo, exec_lo, s1
	s_delay_alu instid0(SALU_CYCLE_1)
	s_or_b32 exec_lo, exec_lo, s0
.LBB302_202:                            ;   in Loop: Header=BB302_177 Depth=1
	s_and_not1_saveexec_b32 s0, s10
	s_cbranch_execz .LBB302_204
.LBB302_203:                            ;   in Loop: Header=BB302_177 Depth=1
	v_sub_f32_e32 v6, v9, v9
	s_delay_alu instid0(VALU_DEP_1) | instskip(NEXT) | instid1(VALU_DEP_1)
	v_div_scale_f32 v7, vcc_lo, v6, v6, v6
	v_rcp_f32_e32 v9, v7
	v_nop
	s_delay_alu instid0(TRANS32_DEP_1) | instskip(NEXT) | instid1(VALU_DEP_1)
	v_fma_f32 v12, -v7, v9, 1.0
	v_fmac_f32_e32 v9, v12, v9
	s_delay_alu instid0(VALU_DEP_1) | instskip(NEXT) | instid1(VALU_DEP_1)
	v_mul_f32_e32 v12, v7, v9
	v_fma_f32 v13, -v7, v12, v7
	s_delay_alu instid0(VALU_DEP_1) | instskip(NEXT) | instid1(VALU_DEP_1)
	v_fmac_f32_e32 v12, v13, v9
	v_fma_f32 v7, -v7, v12, v7
	s_delay_alu instid0(VALU_DEP_1) | instskip(SKIP_1) | instid1(VALU_DEP_2)
	v_div_fmas_f32 v7, v7, v9, v12
	v_mov_b32_e32 v12, v8
	v_div_fixup_f32 v13, v7, v6, v6
.LBB302_204:                            ;   in Loop: Header=BB302_177 Depth=1
	s_or_b32 exec_lo, exec_lo, s0
	s_delay_alu instid0(VALU_DEP_1)
	v_mov_b32_e32 v9, v13
.LBB302_205:                            ;   in Loop: Header=BB302_177 Depth=1
	s_or_b32 exec_lo, exec_lo, s9
.LBB302_206:                            ;   in Loop: Header=BB302_177 Depth=1
	s_delay_alu instid0(SALU_CYCLE_1) | instskip(NEXT) | instid1(VALU_DEP_1)
	s_or_b32 exec_lo, exec_lo, s8
	v_cmp_gt_f32_e32 vcc_lo, 0, v9
                                        ; implicit-def: $vgpr6_vgpr7
	s_mov_b32 s0, exec_lo
	v_cndmask_b32_e64 v8, v9, -v9, vcc_lo
	v_cmp_gt_f32_e32 vcc_lo, 0, v12
	v_cndmask_b32_e64 v13, v12, -v12, vcc_lo
	s_delay_alu instid0(VALU_DEP_1)
	v_cmpx_ge_f32_e32 v13, v8
	s_xor_b32 s1, exec_lo, s0
	s_cbranch_execz .LBB302_212
; %bb.207:                              ;   in Loop: Header=BB302_177 Depth=1
	v_cmp_neq_f32_e32 vcc_lo, 0, v12
	v_cmp_neq_f32_e64 s0, 0, v9
                                        ; implicit-def: $vgpr6_vgpr7
	s_or_b32 s0, vcc_lo, s0
	s_delay_alu instid0(SALU_CYCLE_1) | instskip(NEXT) | instid1(SALU_CYCLE_1)
	s_and_saveexec_b32 s8, s0
	s_xor_b32 s0, exec_lo, s8
	s_cbranch_execz .LBB302_209
; %bb.208:                              ;   in Loop: Header=BB302_177 Depth=1
	v_div_scale_f32 v6, null, v12, v12, v9
	v_div_scale_f32 v13, vcc_lo, v9, v12, v9
	s_delay_alu instid0(VALU_DEP_2) | instskip(SKIP_1) | instid1(TRANS32_DEP_1)
	v_rcp_f32_e32 v7, v6
	v_nop
	v_fma_f32 v8, -v6, v7, 1.0
	s_delay_alu instid0(VALU_DEP_1) | instskip(NEXT) | instid1(VALU_DEP_1)
	v_fmac_f32_e32 v7, v8, v7
	v_mul_f32_e32 v8, v13, v7
	s_delay_alu instid0(VALU_DEP_1) | instskip(NEXT) | instid1(VALU_DEP_1)
	v_fma_f32 v20, -v6, v8, v13
	v_fmac_f32_e32 v8, v20, v7
	s_delay_alu instid0(VALU_DEP_1) | instskip(NEXT) | instid1(VALU_DEP_1)
	v_fma_f32 v6, -v6, v8, v13
	v_div_fmas_f32 v6, v6, v7, v8
	s_delay_alu instid0(VALU_DEP_1) | instskip(NEXT) | instid1(VALU_DEP_1)
	v_div_fixup_f32 v7, v6, v12, v9
	v_fmac_f32_e32 v12, v9, v7
	s_delay_alu instid0(VALU_DEP_1) | instskip(SKIP_1) | instid1(VALU_DEP_2)
	v_div_scale_f32 v6, null, v12, v12, 1.0
	v_div_scale_f32 v13, vcc_lo, 1.0, v12, 1.0
	v_rcp_f32_e32 v8, v6
	v_nop
	s_delay_alu instid0(TRANS32_DEP_1) | instskip(NEXT) | instid1(VALU_DEP_1)
	v_fma_f32 v9, -v6, v8, 1.0
	v_fmac_f32_e32 v8, v9, v8
	s_delay_alu instid0(VALU_DEP_1) | instskip(NEXT) | instid1(VALU_DEP_1)
	v_mul_f32_e32 v9, v13, v8
	v_fma_f32 v20, -v6, v9, v13
	s_delay_alu instid0(VALU_DEP_1) | instskip(NEXT) | instid1(VALU_DEP_1)
	v_fmac_f32_e32 v9, v20, v8
	v_dual_fma_f32 v6, -v6, v9, v13 :: v_dual_mul_f32 v13, 0, v7
	v_sub_f32_e32 v7, 0, v7
	s_delay_alu instid0(VALU_DEP_2) | instskip(NEXT) | instid1(VALU_DEP_3)
	v_div_fmas_f32 v8, v6, v8, v9
	v_add_f32_e32 v6, 1.0, v13
                                        ; implicit-def: $vgpr13
	s_delay_alu instid0(VALU_DEP_2) | instskip(NEXT) | instid1(VALU_DEP_1)
	v_div_fixup_f32 v8, v8, v12, 1.0
	v_pk_mul_f32 v[6:7], v[6:7], v[8:9] op_sel_hi:[1,0]
                                        ; implicit-def: $vgpr8
.LBB302_209:                            ;   in Loop: Header=BB302_177 Depth=1
	s_and_not1_saveexec_b32 s8, s0
	s_cbranch_execz .LBB302_211
; %bb.210:                              ;   in Loop: Header=BB302_177 Depth=1
	v_div_scale_f32 v6, null, v8, v8, 0
	v_div_scale_f32 v7, null, v13, v13, 1.0
	v_div_scale_f32 v22, vcc_lo, 0, v8, 0
	s_delay_alu instid0(VALU_DEP_3) | instskip(NEXT) | instid1(VALU_DEP_2)
	v_rcp_f32_e32 v9, v6
	v_rcp_f32_e32 v12, v7
	s_delay_alu instid0(TRANS32_DEP_2) | instskip(NEXT) | instid1(TRANS32_DEP_1)
	v_fma_f32 v20, -v6, v9, 1.0
	v_fma_f32 v21, -v7, v12, 1.0
	s_delay_alu instid0(VALU_DEP_1) | instskip(SKIP_1) | instid1(VALU_DEP_1)
	v_dual_fmac_f32 v9, v20, v9 :: v_dual_fmac_f32 v12, v21, v12
	v_div_scale_f32 v20, s0, 1.0, v13, 1.0
	v_dual_mul_f32 v21, v22, v9 :: v_dual_mul_f32 v23, v20, v12
	s_delay_alu instid0(VALU_DEP_1) | instskip(NEXT) | instid1(VALU_DEP_1)
	v_dual_fma_f32 v24, -v6, v21, v22 :: v_dual_fma_f32 v25, -v7, v23, v20
	v_dual_fmac_f32 v21, v24, v9 :: v_dual_fmac_f32 v23, v25, v12
	s_delay_alu instid0(VALU_DEP_1) | instskip(NEXT) | instid1(VALU_DEP_1)
	v_dual_fma_f32 v6, -v6, v21, v22 :: v_dual_fma_f32 v7, -v7, v23, v20
	v_div_fmas_f32 v6, v6, v9, v21
	s_mov_b32 vcc_lo, s0
	s_delay_alu instid0(VALU_DEP_2) | instskip(NEXT) | instid1(VALU_DEP_2)
	v_div_fmas_f32 v9, v7, v12, v23
	v_div_fixup_f32 v7, v6, v8, 0
	s_delay_alu instid0(VALU_DEP_2)
	v_div_fixup_f32 v6, v9, v13, 1.0
.LBB302_211:                            ;   in Loop: Header=BB302_177 Depth=1
	s_or_b32 exec_lo, exec_lo, s8
                                        ; implicit-def: $vgpr12
.LBB302_212:                            ;   in Loop: Header=BB302_177 Depth=1
	s_and_not1_saveexec_b32 s0, s1
	s_cbranch_execz .LBB302_214
; %bb.213:                              ;   in Loop: Header=BB302_177 Depth=1
	v_div_scale_f32 v6, null, v9, v9, v12
	v_div_scale_f32 v13, vcc_lo, v12, v9, v12
	s_delay_alu instid0(VALU_DEP_2) | instskip(SKIP_1) | instid1(TRANS32_DEP_1)
	v_rcp_f32_e32 v7, v6
	v_nop
	v_fma_f32 v8, -v6, v7, 1.0
	s_delay_alu instid0(VALU_DEP_1) | instskip(NEXT) | instid1(VALU_DEP_1)
	v_fmac_f32_e32 v7, v8, v7
	v_mul_f32_e32 v8, v13, v7
	s_delay_alu instid0(VALU_DEP_1) | instskip(NEXT) | instid1(VALU_DEP_1)
	v_fma_f32 v20, -v6, v8, v13
	v_fmac_f32_e32 v8, v20, v7
	s_delay_alu instid0(VALU_DEP_1) | instskip(NEXT) | instid1(VALU_DEP_1)
	v_fma_f32 v6, -v6, v8, v13
	v_div_fmas_f32 v6, v6, v7, v8
	s_delay_alu instid0(VALU_DEP_1) | instskip(NEXT) | instid1(VALU_DEP_1)
	v_div_fixup_f32 v6, v6, v9, v12
	v_fmac_f32_e32 v9, v12, v6
	s_delay_alu instid0(VALU_DEP_1) | instskip(SKIP_1) | instid1(VALU_DEP_2)
	v_div_scale_f32 v7, null, v9, v9, 1.0
	v_div_scale_f32 v13, vcc_lo, 1.0, v9, 1.0
	v_rcp_f32_e32 v8, v7
	v_nop
	s_delay_alu instid0(TRANS32_DEP_1) | instskip(NEXT) | instid1(VALU_DEP_1)
	v_fma_f32 v12, -v7, v8, 1.0
	v_fmac_f32_e32 v8, v12, v8
	s_delay_alu instid0(VALU_DEP_1) | instskip(NEXT) | instid1(VALU_DEP_1)
	v_mul_f32_e32 v12, v13, v8
	v_fma_f32 v20, -v7, v12, v13
	s_delay_alu instid0(VALU_DEP_1) | instskip(NEXT) | instid1(VALU_DEP_1)
	v_fmac_f32_e32 v12, v20, v8
	v_fma_f32 v7, -v7, v12, v13
	s_delay_alu instid0(VALU_DEP_1) | instskip(SKIP_1) | instid1(VALU_DEP_2)
	v_div_fmas_f32 v8, v7, v8, v12
	v_mul_f32_e32 v7, 0, v6
	v_div_fixup_f32 v8, v8, v9, 1.0
	s_delay_alu instid0(VALU_DEP_2) | instskip(NEXT) | instid1(VALU_DEP_1)
	v_pk_add_f32 v[6:7], v[6:7], v[16:17]
	v_pk_mul_f32 v[6:7], v[6:7], v[8:9] op_sel_hi:[1,0]
.LBB302_214:                            ;   in Loop: Header=BB302_177 Depth=1
	s_or_b32 exec_lo, exec_lo, s0
	v_cmp_neq_f32_e32 vcc_lo, 0, v10
	v_cmp_neq_f32_e64 s0, 0, v11
	v_mov_b32_e32 v12, 0
	s_or_b32 s0, vcc_lo, s0
	s_delay_alu instid0(SALU_CYCLE_1)
	s_and_saveexec_b32 s8, s0
	s_cbranch_execz .LBB302_245
; %bb.215:                              ;   in Loop: Header=BB302_177 Depth=1
	v_mov_b32_e32 v12, 0x7f800000
	s_mov_b32 s9, exec_lo
	v_cmpx_neq_f32_e64 0x7f800000, |v11|
	s_cbranch_execz .LBB302_244
; %bb.216:                              ;   in Loop: Header=BB302_177 Depth=1
                                        ; implicit-def: $vgpr12
	s_mov_b32 s0, exec_lo
	v_cmpx_o_f32_e32 v10, v10
	s_xor_b32 s10, exec_lo, s0
	s_cbranch_execz .LBB302_241
; %bb.217:                              ;   in Loop: Header=BB302_177 Depth=1
                                        ; implicit-def: $vgpr12
	s_mov_b32 s1, exec_lo
	v_cmpx_neq_f32_e64 0x7f800000, |v10|
	s_xor_b32 s11, exec_lo, s1
	s_cbranch_execz .LBB302_234
; %bb.218:                              ;   in Loop: Header=BB302_177 Depth=1
	v_max_num_f32_e64 v8, |v11|, |v11|
	v_max_num_f32_e64 v9, |v10|, |v10|
                                        ; implicit-def: $sgpr12
	s_delay_alu instid0(VALU_DEP_1) | instskip(NEXT) | instid1(VALU_DEP_1)
	v_max_num_f32_e32 v8, v9, v8
	v_cmp_nle_f32_e64 s0, 0x7ed413cb, v8
	s_and_saveexec_b32 s1, s0
	s_delay_alu instid0(SALU_CYCLE_1)
	s_xor_b32 s1, exec_lo, s1
	s_cbranch_execz .LBB302_222
; %bb.219:                              ;   in Loop: Header=BB302_177 Depth=1
	v_cmp_ge_f32_e64 s12, 0x1000000, |v10|
	v_cmp_ge_f32_e64 s13, 0x1000000, |v11|
	s_and_b32 s14, s12, s13
	s_mov_b32 s12, 0
	s_and_saveexec_b32 s13, s14
; %bb.220:                              ;   in Loop: Header=BB302_177 Depth=1
	v_pk_mul_f32 v[10:11], v[10:11], 4.0 op_sel_hi:[1,0]
	s_mov_b32 s12, exec_lo
; %bb.221:                              ;   in Loop: Header=BB302_177 Depth=1
	s_or_b32 exec_lo, exec_lo, s13
.LBB302_222:                            ;   in Loop: Header=BB302_177 Depth=1
	s_and_not1_saveexec_b32 s1, s1
; %bb.223:                              ;   in Loop: Header=BB302_177 Depth=1
	s_delay_alu instid0(VALU_DEP_1)
	v_pk_mul_f32 v[10:11], v[10:11], s[4:5] op_sel_hi:[1,0]
	s_and_not1_b32 s12, s12, exec_lo
; %bb.224:                              ;   in Loop: Header=BB302_177 Depth=1
	s_or_b32 exec_lo, exec_lo, s1
	s_delay_alu instid0(VALU_DEP_1) | instskip(NEXT) | instid1(VALU_DEP_2)
	v_max_num_f32_e64 v8, |v11|, |v11|
	v_max_num_f32_e64 v9, |v10|, |v10|
	s_delay_alu instid0(VALU_DEP_1) | instskip(NEXT) | instid1(VALU_DEP_1)
	v_max_num_f32_e32 v12, v9, v8
	v_cvt_f64_f32_e32 v[8:9], v12
	s_delay_alu instid0(VALU_DEP_1) | instskip(NEXT) | instid1(VALU_DEP_1)
	v_frexp_exp_i32_f64_e32 v8, v[8:9]
	v_sub_nc_u32_e32 v9, 0, v8
	v_cmp_neq_f32_e64 s1, 0x7f800000, v12
	s_delay_alu instid0(VALU_DEP_2) | instskip(SKIP_1) | instid1(VALU_DEP_2)
	v_ldexp_f32 v13, |v11|, v9
	v_ldexp_f32 v9, |v10|, v9
	v_mul_f32_e32 v13, v13, v13
	s_delay_alu instid0(VALU_DEP_1) | instskip(NEXT) | instid1(VALU_DEP_1)
	v_fmac_f32_e32 v13, v9, v9
	v_sqrt_f32_e32 v9, v13
	v_nop
	s_delay_alu instid0(TRANS32_DEP_1) | instskip(NEXT) | instid1(VALU_DEP_1)
	v_ldexp_f32 v8, v9, v8
	v_cndmask_b32_e64 v12, 0x7f800000, v8, s1
                                        ; implicit-def: $vgpr8_vgpr9
	s_mov_b32 s1, exec_lo
	v_cmpx_le_f32_e32 0, v10
	s_xor_b32 s13, exec_lo, s1
	s_cbranch_execz .LBB302_227
; %bb.225:                              ;   in Loop: Header=BB302_177 Depth=1
	v_add_f32_e32 v8, v10, v12
	s_delay_alu instid0(VALU_DEP_1) | instskip(NEXT) | instid1(VALU_DEP_1)
	v_mul_f32_e32 v8, 0.5, v8
	v_mul_f32_e32 v9, 0x4f800000, v8
	v_cmp_gt_f32_e32 vcc_lo, 0xf800000, v8
	s_delay_alu instid0(VALU_DEP_2) | instskip(NEXT) | instid1(VALU_DEP_1)
	v_cndmask_b32_e32 v8, v8, v9, vcc_lo
	v_sqrt_f32_e32 v9, v8
	v_nop
	s_delay_alu instid0(TRANS32_DEP_1) | instskip(NEXT) | instid1(VALU_DEP_1)
	v_dual_add_nc_u32 v10, -1, v9 :: v_dual_add_nc_u32 v12, 1, v9
	v_dual_fma_f32 v13, -v10, v9, v8 :: v_dual_fma_f32 v20, -v12, v9, v8
	s_delay_alu instid0(VALU_DEP_1) | instskip(NEXT) | instid1(VALU_DEP_1)
	v_cmp_ge_f32_e64 s1, 0, v13
	v_cndmask_b32_e64 v9, v9, v10, s1
	s_delay_alu instid0(VALU_DEP_3) | instskip(NEXT) | instid1(VALU_DEP_1)
	v_cmp_lt_f32_e64 s1, 0, v20
	v_cndmask_b32_e64 v9, v9, v12, s1
	s_delay_alu instid0(VALU_DEP_1) | instskip(NEXT) | instid1(VALU_DEP_1)
	v_mul_f32_e32 v10, 0x37800000, v9
	v_cndmask_b32_e32 v9, v9, v10, vcc_lo
	v_cmp_class_f32_e64 vcc_lo, v8, 0x260
	s_delay_alu instid0(VALU_DEP_2) | instskip(NEXT) | instid1(VALU_DEP_1)
	v_cndmask_b32_e32 v8, v9, v8, vcc_lo
	v_add_f32_e32 v9, v8, v8
	s_delay_alu instid0(VALU_DEP_1) | instskip(NEXT) | instid1(VALU_DEP_1)
	v_div_scale_f32 v10, null, v9, v9, v11
	v_rcp_f32_e32 v12, v10
	v_nop
	s_delay_alu instid0(TRANS32_DEP_1) | instskip(NEXT) | instid1(VALU_DEP_1)
	v_fma_f32 v13, -v10, v12, 1.0
	v_fmac_f32_e32 v12, v13, v12
	v_div_scale_f32 v13, vcc_lo, v11, v9, v11
	s_delay_alu instid0(VALU_DEP_1) | instskip(NEXT) | instid1(VALU_DEP_1)
	v_mul_f32_e32 v20, v13, v12
	v_fma_f32 v21, -v10, v20, v13
	s_delay_alu instid0(VALU_DEP_1) | instskip(NEXT) | instid1(VALU_DEP_1)
	v_fmac_f32_e32 v20, v21, v12
	v_fma_f32 v10, -v10, v20, v13
	s_delay_alu instid0(VALU_DEP_1) | instskip(NEXT) | instid1(VALU_DEP_1)
	v_div_fmas_f32 v10, v10, v12, v20
                                        ; implicit-def: $vgpr12
	v_div_fixup_f32 v9, v10, v9, v11
                                        ; implicit-def: $vgpr10_vgpr11
	s_and_not1_saveexec_b32 s13, s13
	s_cbranch_execz .LBB302_229
	s_branch .LBB302_228
.LBB302_226:                            ;   in Loop: Header=BB302_177 Depth=1
	s_or_b32 exec_lo, exec_lo, s0
	s_and_not1_saveexec_b32 s0, s10
	s_cbranch_execnz .LBB302_203
	s_branch .LBB302_204
.LBB302_227:                            ;   in Loop: Header=BB302_177 Depth=1
	s_and_not1_saveexec_b32 s13, s13
	s_cbranch_execz .LBB302_229
.LBB302_228:                            ;   in Loop: Header=BB302_177 Depth=1
	v_sub_f32_e32 v8, v12, v10
	s_delay_alu instid0(VALU_DEP_1) | instskip(NEXT) | instid1(VALU_DEP_1)
	v_mul_f32_e32 v8, 0.5, v8
	v_mul_f32_e32 v9, 0x4f800000, v8
	v_cmp_gt_f32_e32 vcc_lo, 0xf800000, v8
	s_delay_alu instid0(VALU_DEP_2) | instskip(NEXT) | instid1(VALU_DEP_1)
	v_cndmask_b32_e32 v8, v8, v9, vcc_lo
	v_sqrt_f32_e32 v9, v8
	v_nop
	s_delay_alu instid0(TRANS32_DEP_1) | instskip(NEXT) | instid1(VALU_DEP_1)
	v_dual_add_nc_u32 v10, -1, v9 :: v_dual_add_nc_u32 v12, 1, v9
	v_dual_fma_f32 v13, -v10, v9, v8 :: v_dual_fma_f32 v20, -v12, v9, v8
	s_delay_alu instid0(VALU_DEP_1) | instskip(NEXT) | instid1(VALU_DEP_1)
	v_cmp_ge_f32_e64 s1, 0, v13
	v_cndmask_b32_e64 v9, v9, v10, s1
	s_delay_alu instid0(VALU_DEP_3) | instskip(NEXT) | instid1(VALU_DEP_1)
	v_cmp_lt_f32_e64 s1, 0, v20
	v_cndmask_b32_e64 v9, v9, v12, s1
	s_delay_alu instid0(VALU_DEP_1) | instskip(NEXT) | instid1(VALU_DEP_1)
	v_mul_f32_e32 v10, 0x37800000, v9
	v_cndmask_b32_e32 v9, v9, v10, vcc_lo
	v_cmp_class_f32_e64 vcc_lo, v8, 0x260
	s_delay_alu instid0(VALU_DEP_2) | instskip(SKIP_1) | instid1(VALU_DEP_2)
	v_cndmask_b32_e32 v9, v9, v8, vcc_lo
	v_and_b32_e32 v8, 0x7fffffff, v11
	v_add_f32_e32 v10, v9, v9
	v_bfi_b32 v9, 0x7fffffff, v9, v11
	s_delay_alu instid0(VALU_DEP_2) | instskip(SKIP_1) | instid1(VALU_DEP_2)
	v_div_scale_f32 v12, null, v10, v10, v8
	v_div_scale_f32 v8, vcc_lo, v8, v10, v8
	v_rcp_f32_e32 v13, v12
	v_nop
	s_delay_alu instid0(TRANS32_DEP_1) | instskip(NEXT) | instid1(VALU_DEP_1)
	v_fma_f32 v20, -v12, v13, 1.0
	v_fmac_f32_e32 v13, v20, v13
	s_delay_alu instid0(VALU_DEP_1) | instskip(NEXT) | instid1(VALU_DEP_1)
	v_mul_f32_e32 v20, v8, v13
	v_fma_f32 v21, -v12, v20, v8
	s_delay_alu instid0(VALU_DEP_1) | instskip(NEXT) | instid1(VALU_DEP_1)
	v_fmac_f32_e32 v20, v21, v13
	v_fma_f32 v8, -v12, v20, v8
	s_delay_alu instid0(VALU_DEP_1) | instskip(NEXT) | instid1(VALU_DEP_1)
	v_div_fmas_f32 v8, v8, v13, v20
	v_div_fixup_f32 v8, v8, v10, |v11|
.LBB302_229:                            ;   in Loop: Header=BB302_177 Depth=1
	s_or_b32 exec_lo, exec_lo, s13
                                        ; implicit-def: $vgpr11
                                        ; implicit-def: $vgpr12
	s_and_saveexec_b32 s1, s0
	s_delay_alu instid0(SALU_CYCLE_1)
	s_xor_b32 s0, exec_lo, s1
	s_cbranch_execz .LBB302_231
; %bb.230:                              ;   in Loop: Header=BB302_177 Depth=1
	v_pk_mul_f32 v[10:11], v[8:9], 0.5 op_sel_hi:[1,0]
	s_delay_alu instid0(VALU_DEP_1)
	v_dual_cndmask_b32 v12, v8, v10, s12 :: v_dual_cndmask_b32 v11, v9, v11, s12
                                        ; implicit-def: $vgpr8_vgpr9
	s_and_not1_saveexec_b32 s0, s0
	s_cbranch_execnz .LBB302_232
	s_branch .LBB302_233
.LBB302_231:                            ;   in Loop: Header=BB302_177 Depth=1
	s_and_not1_saveexec_b32 s0, s0
.LBB302_232:                            ;   in Loop: Header=BB302_177 Depth=1
	v_pk_add_f32 v[10:11], v[8:9], v[8:9]
	s_delay_alu instid0(VALU_DEP_1)
	v_mov_b32_e32 v12, v10
.LBB302_233:                            ;   in Loop: Header=BB302_177 Depth=1
	s_or_b32 exec_lo, exec_lo, s0
.LBB302_234:                            ;   in Loop: Header=BB302_177 Depth=1
	s_and_not1_saveexec_b32 s0, s11
	s_cbranch_execz .LBB302_240
; %bb.235:                              ;   in Loop: Header=BB302_177 Depth=1
	v_sub_f32_e32 v8, v11, v11
	s_mov_b32 s1, exec_lo
	s_delay_alu instid0(VALU_DEP_1)
	v_and_b32_e32 v12, 0x7fffffff, v8
	v_cmpx_lt_i32_e32 -1, v10
	s_xor_b32 s1, exec_lo, s1
; %bb.236:                              ;   in Loop: Header=BB302_177 Depth=1
	v_bfi_b32 v11, 0x7fffffff, v8, v11
	v_mov_b32_e32 v12, v10
; %bb.237:                              ;   in Loop: Header=BB302_177 Depth=1
	s_and_not1_saveexec_b32 s1, s1
; %bb.238:                              ;   in Loop: Header=BB302_177 Depth=1
	s_delay_alu instid0(VALU_DEP_2)
	v_bfi_b32 v11, 0x7fffffff, v10, v11
; %bb.239:                              ;   in Loop: Header=BB302_177 Depth=1
	s_or_b32 exec_lo, exec_lo, s1
.LBB302_240:                            ;   in Loop: Header=BB302_177 Depth=1
	s_delay_alu instid0(SALU_CYCLE_1)
	s_or_b32 exec_lo, exec_lo, s0
.LBB302_241:                            ;   in Loop: Header=BB302_177 Depth=1
	s_and_not1_saveexec_b32 s0, s10
	s_cbranch_execz .LBB302_243
; %bb.242:                              ;   in Loop: Header=BB302_177 Depth=1
	v_sub_f32_e32 v8, v11, v11
	s_delay_alu instid0(VALU_DEP_1) | instskip(NEXT) | instid1(VALU_DEP_1)
	v_div_scale_f32 v9, vcc_lo, v8, v8, v8
	v_rcp_f32_e32 v11, v9
	v_nop
	s_delay_alu instid0(TRANS32_DEP_1) | instskip(NEXT) | instid1(VALU_DEP_1)
	v_fma_f32 v12, -v9, v11, 1.0
	v_fmac_f32_e32 v11, v12, v11
	s_delay_alu instid0(VALU_DEP_1) | instskip(NEXT) | instid1(VALU_DEP_1)
	v_mul_f32_e32 v12, v9, v11
	v_fma_f32 v13, -v9, v12, v9
	s_delay_alu instid0(VALU_DEP_1) | instskip(NEXT) | instid1(VALU_DEP_1)
	v_fmac_f32_e32 v12, v13, v11
	v_fma_f32 v9, -v9, v12, v9
	s_delay_alu instid0(VALU_DEP_1) | instskip(SKIP_1) | instid1(VALU_DEP_2)
	v_div_fmas_f32 v9, v9, v11, v12
	v_mov_b32_e32 v12, v10
	v_div_fixup_f32 v11, v9, v8, v8
.LBB302_243:                            ;   in Loop: Header=BB302_177 Depth=1
	s_or_b32 exec_lo, exec_lo, s0
.LBB302_244:                            ;   in Loop: Header=BB302_177 Depth=1
	s_delay_alu instid0(SALU_CYCLE_1)
	s_or_b32 exec_lo, exec_lo, s9
.LBB302_245:                            ;   in Loop: Header=BB302_177 Depth=1
	s_delay_alu instid0(SALU_CYCLE_1) | instskip(NEXT) | instid1(VALU_DEP_1)
	s_or_b32 exec_lo, exec_lo, s8
	v_cmp_gt_f32_e32 vcc_lo, 0, v11
	s_mov_b32 s0, exec_lo
	v_cndmask_b32_e64 v10, v11, -v11, vcc_lo
	v_cmp_gt_f32_e32 vcc_lo, 0, v12
	v_cndmask_b32_e64 v13, v12, -v12, vcc_lo
	s_delay_alu instid0(VALU_DEP_1)
	v_cmpx_ge_f32_e32 v13, v10
	s_xor_b32 s1, exec_lo, s0
	s_cbranch_execz .LBB302_251
; %bb.246:                              ;   in Loop: Header=BB302_177 Depth=1
	v_cmp_neq_f32_e32 vcc_lo, 0, v12
	v_cmp_neq_f32_e64 s0, 0, v11
	s_or_b32 s0, vcc_lo, s0
	s_delay_alu instid0(SALU_CYCLE_1) | instskip(NEXT) | instid1(SALU_CYCLE_1)
	s_and_saveexec_b32 s8, s0
	s_xor_b32 s0, exec_lo, s8
	s_cbranch_execz .LBB302_248
; %bb.247:                              ;   in Loop: Header=BB302_177 Depth=1
	v_div_scale_f32 v8, null, v12, v12, v11
	v_div_scale_f32 v13, vcc_lo, v11, v12, v11
	s_delay_alu instid0(VALU_DEP_2) | instskip(SKIP_1) | instid1(TRANS32_DEP_1)
	v_rcp_f32_e32 v9, v8
	v_nop
	v_fma_f32 v10, -v8, v9, 1.0
	s_delay_alu instid0(VALU_DEP_1) | instskip(NEXT) | instid1(VALU_DEP_1)
	v_fmac_f32_e32 v9, v10, v9
	v_mul_f32_e32 v10, v13, v9
	s_delay_alu instid0(VALU_DEP_1) | instskip(NEXT) | instid1(VALU_DEP_1)
	v_fma_f32 v20, -v8, v10, v13
	v_fmac_f32_e32 v10, v20, v9
	s_delay_alu instid0(VALU_DEP_1) | instskip(NEXT) | instid1(VALU_DEP_1)
	v_fma_f32 v8, -v8, v10, v13
	v_div_fmas_f32 v8, v8, v9, v10
	s_delay_alu instid0(VALU_DEP_1) | instskip(NEXT) | instid1(VALU_DEP_1)
	v_div_fixup_f32 v9, v8, v12, v11
	v_fmac_f32_e32 v12, v11, v9
	s_delay_alu instid0(VALU_DEP_1) | instskip(SKIP_1) | instid1(VALU_DEP_2)
	v_div_scale_f32 v8, null, v12, v12, 1.0
	v_div_scale_f32 v13, vcc_lo, 1.0, v12, 1.0
	v_rcp_f32_e32 v10, v8
	v_nop
	s_delay_alu instid0(TRANS32_DEP_1) | instskip(NEXT) | instid1(VALU_DEP_1)
	v_fma_f32 v11, -v8, v10, 1.0
	v_fmac_f32_e32 v10, v11, v10
	s_delay_alu instid0(VALU_DEP_1) | instskip(NEXT) | instid1(VALU_DEP_1)
	v_mul_f32_e32 v11, v13, v10
	v_fma_f32 v20, -v8, v11, v13
	s_delay_alu instid0(VALU_DEP_1) | instskip(NEXT) | instid1(VALU_DEP_1)
	v_fmac_f32_e32 v11, v20, v10
	v_dual_fma_f32 v8, -v8, v11, v13 :: v_dual_mul_f32 v13, 0, v9
	v_sub_f32_e32 v9, 0, v9
	s_delay_alu instid0(VALU_DEP_2) | instskip(NEXT) | instid1(VALU_DEP_3)
	v_div_fmas_f32 v10, v8, v10, v11
	v_add_f32_e32 v8, 1.0, v13
                                        ; implicit-def: $vgpr13
	s_delay_alu instid0(VALU_DEP_2) | instskip(NEXT) | instid1(VALU_DEP_1)
	v_div_fixup_f32 v10, v10, v12, 1.0
	v_pk_mul_f32 v[8:9], v[8:9], v[10:11] op_sel_hi:[1,0]
                                        ; implicit-def: $vgpr10
.LBB302_248:                            ;   in Loop: Header=BB302_177 Depth=1
	s_and_not1_saveexec_b32 s8, s0
	s_cbranch_execz .LBB302_250
; %bb.249:                              ;   in Loop: Header=BB302_177 Depth=1
	v_div_scale_f32 v8, null, v10, v10, 0
	v_div_scale_f32 v9, null, v13, v13, 1.0
	v_div_scale_f32 v22, vcc_lo, 0, v10, 0
	s_delay_alu instid0(VALU_DEP_3) | instskip(NEXT) | instid1(VALU_DEP_2)
	v_rcp_f32_e32 v11, v8
	v_rcp_f32_e32 v12, v9
	s_delay_alu instid0(TRANS32_DEP_2) | instskip(NEXT) | instid1(TRANS32_DEP_1)
	v_fma_f32 v20, -v8, v11, 1.0
	v_fma_f32 v21, -v9, v12, 1.0
	s_delay_alu instid0(VALU_DEP_1) | instskip(SKIP_1) | instid1(VALU_DEP_1)
	v_dual_fmac_f32 v11, v20, v11 :: v_dual_fmac_f32 v12, v21, v12
	v_div_scale_f32 v20, s0, 1.0, v13, 1.0
	v_dual_mul_f32 v21, v22, v11 :: v_dual_mul_f32 v23, v20, v12
	s_delay_alu instid0(VALU_DEP_1) | instskip(NEXT) | instid1(VALU_DEP_1)
	v_dual_fma_f32 v24, -v8, v21, v22 :: v_dual_fma_f32 v25, -v9, v23, v20
	v_dual_fmac_f32 v21, v24, v11 :: v_dual_fmac_f32 v23, v25, v12
	s_delay_alu instid0(VALU_DEP_1) | instskip(NEXT) | instid1(VALU_DEP_1)
	v_dual_fma_f32 v8, -v8, v21, v22 :: v_dual_fma_f32 v9, -v9, v23, v20
	v_div_fmas_f32 v8, v8, v11, v21
	s_mov_b32 vcc_lo, s0
	s_delay_alu instid0(VALU_DEP_2) | instskip(NEXT) | instid1(VALU_DEP_2)
	v_div_fmas_f32 v11, v9, v12, v23
	v_div_fixup_f32 v9, v8, v10, 0
	s_delay_alu instid0(VALU_DEP_2)
	v_div_fixup_f32 v8, v11, v13, 1.0
.LBB302_250:                            ;   in Loop: Header=BB302_177 Depth=1
	s_or_b32 exec_lo, exec_lo, s8
                                        ; implicit-def: $vgpr11
                                        ; implicit-def: $vgpr12
.LBB302_251:                            ;   in Loop: Header=BB302_177 Depth=1
	s_and_not1_saveexec_b32 s0, s1
	s_cbranch_execz .LBB302_253
; %bb.252:                              ;   in Loop: Header=BB302_177 Depth=1
	v_div_scale_f32 v8, null, v11, v11, v12
	v_div_scale_f32 v13, vcc_lo, v12, v11, v12
	s_delay_alu instid0(VALU_DEP_2) | instskip(SKIP_1) | instid1(TRANS32_DEP_1)
	v_rcp_f32_e32 v9, v8
	v_nop
	v_fma_f32 v10, -v8, v9, 1.0
	s_delay_alu instid0(VALU_DEP_1) | instskip(NEXT) | instid1(VALU_DEP_1)
	v_fmac_f32_e32 v9, v10, v9
	v_mul_f32_e32 v10, v13, v9
	s_delay_alu instid0(VALU_DEP_1) | instskip(NEXT) | instid1(VALU_DEP_1)
	v_fma_f32 v20, -v8, v10, v13
	v_fmac_f32_e32 v10, v20, v9
	s_delay_alu instid0(VALU_DEP_1) | instskip(NEXT) | instid1(VALU_DEP_1)
	v_fma_f32 v8, -v8, v10, v13
	v_div_fmas_f32 v8, v8, v9, v10
	s_delay_alu instid0(VALU_DEP_1) | instskip(NEXT) | instid1(VALU_DEP_1)
	v_div_fixup_f32 v8, v8, v11, v12
	v_fmac_f32_e32 v11, v12, v8
	s_delay_alu instid0(VALU_DEP_1) | instskip(SKIP_1) | instid1(VALU_DEP_2)
	v_div_scale_f32 v9, null, v11, v11, 1.0
	v_div_scale_f32 v13, vcc_lo, 1.0, v11, 1.0
	v_rcp_f32_e32 v10, v9
	v_nop
	s_delay_alu instid0(TRANS32_DEP_1) | instskip(NEXT) | instid1(VALU_DEP_1)
	v_fma_f32 v12, -v9, v10, 1.0
	v_fmac_f32_e32 v10, v12, v10
	s_delay_alu instid0(VALU_DEP_1) | instskip(NEXT) | instid1(VALU_DEP_1)
	v_mul_f32_e32 v12, v13, v10
	v_fma_f32 v20, -v9, v12, v13
	s_delay_alu instid0(VALU_DEP_1) | instskip(NEXT) | instid1(VALU_DEP_1)
	v_fmac_f32_e32 v12, v20, v10
	v_fma_f32 v9, -v9, v12, v13
	s_delay_alu instid0(VALU_DEP_1) | instskip(SKIP_1) | instid1(VALU_DEP_2)
	v_div_fmas_f32 v10, v9, v10, v12
	v_mul_f32_e32 v9, 0, v8
	v_div_fixup_f32 v10, v10, v11, 1.0
	s_delay_alu instid0(VALU_DEP_2) | instskip(NEXT) | instid1(VALU_DEP_1)
	v_pk_add_f32 v[8:9], v[8:9], v[16:17]
	v_pk_mul_f32 v[8:9], v[8:9], v[10:11] op_sel_hi:[1,0]
.LBB302_253:                            ;   in Loop: Header=BB302_177 Depth=1
	s_or_b32 exec_lo, exec_lo, s0
	s_wait_loadcnt 0x0
	v_cmp_neq_f32_e32 vcc_lo, 0, v2
	v_cmp_neq_f32_e64 s0, 0, v3
	v_mov_b32_e32 v12, 0
	s_or_b32 s0, vcc_lo, s0
	s_delay_alu instid0(SALU_CYCLE_1)
	s_and_saveexec_b32 s8, s0
	s_cbranch_execz .LBB302_283
; %bb.254:                              ;   in Loop: Header=BB302_177 Depth=1
	v_mov_b32_e32 v12, 0x7f800000
	s_mov_b32 s9, exec_lo
	v_cmpx_neq_f32_e64 0x7f800000, |v3|
	s_cbranch_execz .LBB302_282
; %bb.255:                              ;   in Loop: Header=BB302_177 Depth=1
                                        ; implicit-def: $vgpr13
	s_mov_b32 s0, exec_lo
	v_cmpx_o_f32_e32 v2, v2
	s_xor_b32 s10, exec_lo, s0
	s_cbranch_execz .LBB302_279
; %bb.256:                              ;   in Loop: Header=BB302_177 Depth=1
                                        ; implicit-def: $vgpr13
	s_mov_b32 s1, exec_lo
	v_cmpx_neq_f32_e64 0x7f800000, |v2|
	s_xor_b32 s11, exec_lo, s1
	s_cbranch_execz .LBB302_272
; %bb.257:                              ;   in Loop: Header=BB302_177 Depth=1
	v_max_num_f32_e64 v10, |v3|, |v3|
	v_max_num_f32_e64 v11, |v2|, |v2|
                                        ; implicit-def: $sgpr12
	s_delay_alu instid0(VALU_DEP_1) | instskip(NEXT) | instid1(VALU_DEP_1)
	v_max_num_f32_e32 v10, v11, v10
	v_cmp_nle_f32_e64 s0, 0x7ed413cb, v10
                                        ; implicit-def: $vgpr10_vgpr11
	s_and_saveexec_b32 s1, s0
	s_delay_alu instid0(SALU_CYCLE_1)
	s_xor_b32 s1, exec_lo, s1
	s_cbranch_execz .LBB302_261
; %bb.258:                              ;   in Loop: Header=BB302_177 Depth=1
	v_cmp_ge_f32_e64 s12, 0x1000000, |v2|
	v_cmp_ge_f32_e64 s13, 0x1000000, |v3|
	v_mov_b64_e32 v[10:11], v[2:3]
	s_and_b32 s14, s12, s13
	s_mov_b32 s12, 0
	s_and_saveexec_b32 s13, s14
; %bb.259:                              ;   in Loop: Header=BB302_177 Depth=1
	v_pk_mul_f32 v[10:11], v[2:3], 4.0 op_sel_hi:[1,0]
	s_mov_b32 s12, exec_lo
; %bb.260:                              ;   in Loop: Header=BB302_177 Depth=1
	s_or_b32 exec_lo, exec_lo, s13
.LBB302_261:                            ;   in Loop: Header=BB302_177 Depth=1
	s_and_not1_saveexec_b32 s1, s1
; %bb.262:                              ;   in Loop: Header=BB302_177 Depth=1
	v_pk_mul_f32 v[10:11], v[2:3], s[4:5] op_sel_hi:[1,0]
	s_and_not1_b32 s12, s12, exec_lo
; %bb.263:                              ;   in Loop: Header=BB302_177 Depth=1
	s_or_b32 exec_lo, exec_lo, s1
	s_delay_alu instid0(VALU_DEP_1) | instskip(NEXT) | instid1(VALU_DEP_2)
	v_max_num_f32_e64 v12, |v11|, |v11|
	v_max_num_f32_e64 v13, |v10|, |v10|
	s_delay_alu instid0(VALU_DEP_1) | instskip(NEXT) | instid1(VALU_DEP_1)
	v_max_num_f32_e32 v20, v13, v12
	v_cvt_f64_f32_e32 v[12:13], v20
	s_delay_alu instid0(VALU_DEP_1) | instskip(NEXT) | instid1(VALU_DEP_1)
	v_frexp_exp_i32_f64_e32 v12, v[12:13]
	v_sub_nc_u32_e32 v13, 0, v12
	v_cmp_neq_f32_e64 s1, 0x7f800000, v20
	s_delay_alu instid0(VALU_DEP_2) | instskip(SKIP_1) | instid1(VALU_DEP_2)
	v_ldexp_f32 v21, |v11|, v13
	v_ldexp_f32 v13, |v10|, v13
	v_mul_f32_e32 v21, v21, v21
	s_delay_alu instid0(VALU_DEP_1) | instskip(NEXT) | instid1(VALU_DEP_1)
	v_fmac_f32_e32 v21, v13, v13
	v_sqrt_f32_e32 v13, v21
                                        ; implicit-def: $vgpr20_vgpr21
	v_nop
	s_delay_alu instid0(TRANS32_DEP_1) | instskip(NEXT) | instid1(VALU_DEP_1)
	v_ldexp_f32 v12, v13, v12
	v_cndmask_b32_e64 v12, 0x7f800000, v12, s1
	s_mov_b32 s1, exec_lo
	v_cmpx_le_f32_e32 0, v10
	s_xor_b32 s13, exec_lo, s1
	s_cbranch_execz .LBB302_265
; %bb.264:                              ;   in Loop: Header=BB302_177 Depth=1
	v_add_f32_e32 v10, v10, v12
	s_delay_alu instid0(VALU_DEP_1) | instskip(NEXT) | instid1(VALU_DEP_1)
	v_mul_f32_e32 v10, 0.5, v10
	v_mul_f32_e32 v12, 0x4f800000, v10
	v_cmp_gt_f32_e32 vcc_lo, 0xf800000, v10
	s_delay_alu instid0(VALU_DEP_2) | instskip(NEXT) | instid1(VALU_DEP_1)
	v_cndmask_b32_e32 v10, v10, v12, vcc_lo
	v_sqrt_f32_e32 v12, v10
	v_nop
	s_delay_alu instid0(TRANS32_DEP_1) | instskip(NEXT) | instid1(VALU_DEP_1)
	v_dual_add_nc_u32 v13, -1, v12 :: v_dual_add_nc_u32 v20, 1, v12
	v_dual_fma_f32 v21, -v13, v12, v10 :: v_dual_fma_f32 v22, -v20, v12, v10
	s_delay_alu instid0(VALU_DEP_1) | instskip(NEXT) | instid1(VALU_DEP_1)
	v_cmp_ge_f32_e64 s1, 0, v21
	v_cndmask_b32_e64 v12, v12, v13, s1
	s_delay_alu instid0(VALU_DEP_3) | instskip(NEXT) | instid1(VALU_DEP_1)
	v_cmp_lt_f32_e64 s1, 0, v22
	v_cndmask_b32_e64 v12, v12, v20, s1
	s_delay_alu instid0(VALU_DEP_1) | instskip(NEXT) | instid1(VALU_DEP_1)
	v_mul_f32_e32 v13, 0x37800000, v12
	v_cndmask_b32_e32 v12, v12, v13, vcc_lo
	v_cmp_class_f32_e64 vcc_lo, v10, 0x260
	s_delay_alu instid0(VALU_DEP_2) | instskip(NEXT) | instid1(VALU_DEP_1)
	v_cndmask_b32_e32 v20, v12, v10, vcc_lo
	v_add_f32_e32 v10, v20, v20
	s_delay_alu instid0(VALU_DEP_1) | instskip(NEXT) | instid1(VALU_DEP_1)
	v_div_scale_f32 v12, null, v10, v10, v11
	v_rcp_f32_e32 v13, v12
	v_nop
	s_delay_alu instid0(TRANS32_DEP_1) | instskip(NEXT) | instid1(VALU_DEP_1)
	v_fma_f32 v21, -v12, v13, 1.0
	v_fmac_f32_e32 v13, v21, v13
	v_div_scale_f32 v21, vcc_lo, v11, v10, v11
	s_delay_alu instid0(VALU_DEP_1) | instskip(NEXT) | instid1(VALU_DEP_1)
	v_mul_f32_e32 v22, v21, v13
	v_fma_f32 v23, -v12, v22, v21
	s_delay_alu instid0(VALU_DEP_1) | instskip(NEXT) | instid1(VALU_DEP_1)
	v_fmac_f32_e32 v22, v23, v13
	v_fma_f32 v12, -v12, v22, v21
	s_delay_alu instid0(VALU_DEP_1) | instskip(NEXT) | instid1(VALU_DEP_1)
	v_div_fmas_f32 v12, v12, v13, v22
	v_div_fixup_f32 v21, v12, v10, v11
                                        ; implicit-def: $vgpr12
                                        ; implicit-def: $vgpr10_vgpr11
	s_and_not1_saveexec_b32 s13, s13
	s_cbranch_execz .LBB302_267
	s_branch .LBB302_266
.LBB302_265:                            ;   in Loop: Header=BB302_177 Depth=1
	s_and_not1_saveexec_b32 s13, s13
	s_cbranch_execz .LBB302_267
.LBB302_266:                            ;   in Loop: Header=BB302_177 Depth=1
	v_sub_f32_e32 v10, v12, v10
	s_delay_alu instid0(VALU_DEP_1) | instskip(NEXT) | instid1(VALU_DEP_1)
	v_mul_f32_e32 v10, 0.5, v10
	v_mul_f32_e32 v12, 0x4f800000, v10
	v_cmp_gt_f32_e32 vcc_lo, 0xf800000, v10
	s_delay_alu instid0(VALU_DEP_2) | instskip(NEXT) | instid1(VALU_DEP_1)
	v_cndmask_b32_e32 v10, v10, v12, vcc_lo
	v_sqrt_f32_e32 v12, v10
	v_nop
	s_delay_alu instid0(TRANS32_DEP_1) | instskip(NEXT) | instid1(VALU_DEP_1)
	v_dual_add_nc_u32 v13, -1, v12 :: v_dual_add_nc_u32 v20, 1, v12
	v_dual_fma_f32 v21, -v13, v12, v10 :: v_dual_fma_f32 v22, -v20, v12, v10
	s_delay_alu instid0(VALU_DEP_1) | instskip(NEXT) | instid1(VALU_DEP_1)
	v_cmp_ge_f32_e64 s1, 0, v21
	v_cndmask_b32_e64 v12, v12, v13, s1
	s_delay_alu instid0(VALU_DEP_3) | instskip(NEXT) | instid1(VALU_DEP_1)
	v_cmp_lt_f32_e64 s1, 0, v22
	v_cndmask_b32_e64 v12, v12, v20, s1
	s_delay_alu instid0(VALU_DEP_1) | instskip(NEXT) | instid1(VALU_DEP_1)
	v_mul_f32_e32 v13, 0x37800000, v12
	v_cndmask_b32_e32 v12, v12, v13, vcc_lo
	v_cmp_class_f32_e64 vcc_lo, v10, 0x260
	s_delay_alu instid0(VALU_DEP_2) | instskip(SKIP_1) | instid1(VALU_DEP_2)
	v_cndmask_b32_e32 v10, v12, v10, vcc_lo
	v_and_b32_e32 v12, 0x7fffffff, v11
	v_add_f32_e32 v13, v10, v10
	s_delay_alu instid0(VALU_DEP_1) | instskip(SKIP_1) | instid1(VALU_DEP_2)
	v_div_scale_f32 v20, null, v13, v13, v12
	v_div_scale_f32 v12, vcc_lo, v12, v13, v12
	v_rcp_f32_e32 v21, v20
	v_nop
	s_delay_alu instid0(TRANS32_DEP_1) | instskip(NEXT) | instid1(VALU_DEP_1)
	v_fma_f32 v22, -v20, v21, 1.0
	v_fmac_f32_e32 v21, v22, v21
	s_delay_alu instid0(VALU_DEP_1) | instskip(NEXT) | instid1(VALU_DEP_1)
	v_mul_f32_e32 v22, v12, v21
	v_fma_f32 v23, -v20, v22, v12
	s_delay_alu instid0(VALU_DEP_1) | instskip(NEXT) | instid1(VALU_DEP_1)
	v_fmac_f32_e32 v22, v23, v21
	v_fma_f32 v12, -v20, v22, v12
	s_delay_alu instid0(VALU_DEP_1) | instskip(SKIP_1) | instid1(VALU_DEP_2)
	v_div_fmas_f32 v12, v12, v21, v22
	v_bfi_b32 v21, 0x7fffffff, v10, v11
	v_div_fixup_f32 v20, v12, v13, |v11|
.LBB302_267:                            ;   in Loop: Header=BB302_177 Depth=1
	s_or_b32 exec_lo, exec_lo, s13
                                        ; implicit-def: $vgpr13
	s_and_saveexec_b32 s1, s0
	s_delay_alu instid0(SALU_CYCLE_1)
	s_xor_b32 s0, exec_lo, s1
	s_cbranch_execz .LBB302_269
; %bb.268:                              ;   in Loop: Header=BB302_177 Depth=1
	v_pk_mul_f32 v[10:11], v[20:21], 0.5 op_sel_hi:[1,0]
	s_delay_alu instid0(VALU_DEP_1)
	v_dual_cndmask_b32 v12, v20, v10, s12 :: v_dual_cndmask_b32 v13, v21, v11, s12
                                        ; implicit-def: $vgpr20_vgpr21
	s_and_not1_saveexec_b32 s0, s0
	s_cbranch_execnz .LBB302_270
	s_branch .LBB302_271
.LBB302_269:                            ;   in Loop: Header=BB302_177 Depth=1
	s_and_not1_saveexec_b32 s0, s0
.LBB302_270:                            ;   in Loop: Header=BB302_177 Depth=1
	v_pk_add_f32 v[12:13], v[20:21], v[20:21]
.LBB302_271:                            ;   in Loop: Header=BB302_177 Depth=1
	s_or_b32 exec_lo, exec_lo, s0
.LBB302_272:                            ;   in Loop: Header=BB302_177 Depth=1
	s_and_not1_saveexec_b32 s0, s11
	s_cbranch_execz .LBB302_278
; %bb.273:                              ;   in Loop: Header=BB302_177 Depth=1
	v_sub_f32_e32 v10, v3, v3
	s_mov_b32 s1, exec_lo
	s_delay_alu instid0(VALU_DEP_1)
	v_and_b32_e32 v12, 0x7fffffff, v10
	v_cmpx_lt_i32_e32 -1, v2
	s_xor_b32 s1, exec_lo, s1
; %bb.274:                              ;   in Loop: Header=BB302_177 Depth=1
	v_bfi_b32 v13, 0x7fffffff, v10, v3
	v_mov_b32_e32 v12, v2
; %bb.275:                              ;   in Loop: Header=BB302_177 Depth=1
	s_and_not1_saveexec_b32 s1, s1
; %bb.276:                              ;   in Loop: Header=BB302_177 Depth=1
	v_bfi_b32 v13, 0x7fffffff, v2, v3
; %bb.277:                              ;   in Loop: Header=BB302_177 Depth=1
	s_or_b32 exec_lo, exec_lo, s1
.LBB302_278:                            ;   in Loop: Header=BB302_177 Depth=1
	s_delay_alu instid0(SALU_CYCLE_1)
	s_or_b32 exec_lo, exec_lo, s0
.LBB302_279:                            ;   in Loop: Header=BB302_177 Depth=1
	s_and_not1_saveexec_b32 s0, s10
	s_cbranch_execz .LBB302_281
; %bb.280:                              ;   in Loop: Header=BB302_177 Depth=1
	v_sub_f32_e32 v3, v3, v3
	s_delay_alu instid0(VALU_DEP_1) | instskip(NEXT) | instid1(VALU_DEP_1)
	v_div_scale_f32 v10, vcc_lo, v3, v3, v3
	v_rcp_f32_e32 v11, v10
	v_nop
	s_delay_alu instid0(TRANS32_DEP_1) | instskip(NEXT) | instid1(VALU_DEP_1)
	v_fma_f32 v12, -v10, v11, 1.0
	v_fmac_f32_e32 v11, v12, v11
	s_delay_alu instid0(VALU_DEP_1) | instskip(NEXT) | instid1(VALU_DEP_1)
	v_mul_f32_e32 v12, v10, v11
	v_fma_f32 v13, -v10, v12, v10
	s_delay_alu instid0(VALU_DEP_1) | instskip(NEXT) | instid1(VALU_DEP_1)
	v_fmac_f32_e32 v12, v13, v11
	v_fma_f32 v10, -v10, v12, v10
	s_delay_alu instid0(VALU_DEP_1) | instskip(SKIP_1) | instid1(VALU_DEP_2)
	v_div_fmas_f32 v10, v10, v11, v12
	v_mov_b32_e32 v12, v2
	v_div_fixup_f32 v13, v10, v3, v3
.LBB302_281:                            ;   in Loop: Header=BB302_177 Depth=1
	s_or_b32 exec_lo, exec_lo, s0
	s_delay_alu instid0(VALU_DEP_1)
	v_mov_b32_e32 v3, v13
.LBB302_282:                            ;   in Loop: Header=BB302_177 Depth=1
	s_or_b32 exec_lo, exec_lo, s9
.LBB302_283:                            ;   in Loop: Header=BB302_177 Depth=1
	s_delay_alu instid0(SALU_CYCLE_1) | instskip(NEXT) | instid1(VALU_DEP_1)
	s_or_b32 exec_lo, exec_lo, s8
	v_cmp_gt_f32_e32 vcc_lo, 0, v3
                                        ; implicit-def: $vgpr10_vgpr11
	s_mov_b32 s0, exec_lo
	v_cndmask_b32_e64 v2, v3, -v3, vcc_lo
	v_cmp_gt_f32_e32 vcc_lo, 0, v12
	v_cndmask_b32_e64 v13, v12, -v12, vcc_lo
	s_delay_alu instid0(VALU_DEP_1)
	v_cmpx_ge_f32_e32 v13, v2
	s_xor_b32 s1, exec_lo, s0
	s_cbranch_execz .LBB302_289
; %bb.284:                              ;   in Loop: Header=BB302_177 Depth=1
	v_cmp_neq_f32_e32 vcc_lo, 0, v12
	v_cmp_neq_f32_e64 s0, 0, v3
                                        ; implicit-def: $vgpr10_vgpr11
	s_or_b32 s0, vcc_lo, s0
	s_delay_alu instid0(SALU_CYCLE_1) | instskip(NEXT) | instid1(SALU_CYCLE_1)
	s_and_saveexec_b32 s8, s0
	s_xor_b32 s0, exec_lo, s8
	s_cbranch_execz .LBB302_286
; %bb.285:                              ;   in Loop: Header=BB302_177 Depth=1
	v_div_scale_f32 v2, null, v12, v12, v3
	v_div_scale_f32 v13, vcc_lo, v3, v12, v3
	s_delay_alu instid0(VALU_DEP_2) | instskip(SKIP_1) | instid1(TRANS32_DEP_1)
	v_rcp_f32_e32 v10, v2
	v_nop
	v_fma_f32 v11, -v2, v10, 1.0
	s_delay_alu instid0(VALU_DEP_1) | instskip(NEXT) | instid1(VALU_DEP_1)
	v_fmac_f32_e32 v10, v11, v10
	v_mul_f32_e32 v11, v13, v10
	s_delay_alu instid0(VALU_DEP_1) | instskip(NEXT) | instid1(VALU_DEP_1)
	v_fma_f32 v20, -v2, v11, v13
	v_fmac_f32_e32 v11, v20, v10
	s_delay_alu instid0(VALU_DEP_1) | instskip(NEXT) | instid1(VALU_DEP_1)
	v_fma_f32 v2, -v2, v11, v13
	v_div_fmas_f32 v2, v2, v10, v11
	s_delay_alu instid0(VALU_DEP_1) | instskip(NEXT) | instid1(VALU_DEP_1)
	v_div_fixup_f32 v11, v2, v12, v3
	v_fmac_f32_e32 v12, v3, v11
	s_delay_alu instid0(VALU_DEP_1) | instskip(SKIP_1) | instid1(VALU_DEP_2)
	v_div_scale_f32 v2, null, v12, v12, 1.0
	v_div_scale_f32 v13, vcc_lo, 1.0, v12, 1.0
	v_rcp_f32_e32 v3, v2
	v_nop
	s_delay_alu instid0(TRANS32_DEP_1) | instskip(NEXT) | instid1(VALU_DEP_1)
	v_fma_f32 v10, -v2, v3, 1.0
	v_fmac_f32_e32 v3, v10, v3
	s_delay_alu instid0(VALU_DEP_1) | instskip(NEXT) | instid1(VALU_DEP_1)
	v_mul_f32_e32 v10, v13, v3
	v_fma_f32 v20, -v2, v10, v13
	s_delay_alu instid0(VALU_DEP_1) | instskip(NEXT) | instid1(VALU_DEP_1)
	v_fmac_f32_e32 v10, v20, v3
	v_dual_fma_f32 v2, -v2, v10, v13 :: v_dual_mul_f32 v13, 0, v11
	s_delay_alu instid0(VALU_DEP_1) | instskip(NEXT) | instid1(VALU_DEP_1)
	v_div_fmas_f32 v3, v2, v3, v10
	v_div_fixup_f32 v10, v3, v12, 1.0
	s_delay_alu instid0(VALU_DEP_3) | instskip(NEXT) | instid1(VALU_DEP_1)
	v_dual_sub_f32 v3, 0, v11 :: v_dual_add_f32 v2, 1.0, v13
                                        ; implicit-def: $vgpr13
	v_pk_mul_f32 v[10:11], v[2:3], v[10:11] op_sel_hi:[1,0]
                                        ; implicit-def: $vgpr2
.LBB302_286:                            ;   in Loop: Header=BB302_177 Depth=1
	s_and_not1_saveexec_b32 s8, s0
	s_cbranch_execz .LBB302_288
; %bb.287:                              ;   in Loop: Header=BB302_177 Depth=1
	v_div_scale_f32 v3, null, v2, v2, 0
	v_div_scale_f32 v10, null, v13, v13, 1.0
	v_div_scale_f32 v22, vcc_lo, 0, v2, 0
	s_delay_alu instid0(VALU_DEP_3) | instskip(NEXT) | instid1(VALU_DEP_2)
	v_rcp_f32_e32 v11, v3
	v_rcp_f32_e32 v12, v10
	s_delay_alu instid0(TRANS32_DEP_2) | instskip(NEXT) | instid1(TRANS32_DEP_1)
	v_fma_f32 v20, -v3, v11, 1.0
	v_fma_f32 v21, -v10, v12, 1.0
	s_delay_alu instid0(VALU_DEP_1) | instskip(SKIP_1) | instid1(VALU_DEP_1)
	v_dual_fmac_f32 v11, v20, v11 :: v_dual_fmac_f32 v12, v21, v12
	v_div_scale_f32 v20, s0, 1.0, v13, 1.0
	v_dual_mul_f32 v21, v22, v11 :: v_dual_mul_f32 v23, v20, v12
	s_delay_alu instid0(VALU_DEP_1) | instskip(NEXT) | instid1(VALU_DEP_1)
	v_dual_fma_f32 v24, -v3, v21, v22 :: v_dual_fma_f32 v25, -v10, v23, v20
	v_dual_fmac_f32 v21, v24, v11 :: v_dual_fmac_f32 v23, v25, v12
	s_delay_alu instid0(VALU_DEP_1) | instskip(NEXT) | instid1(VALU_DEP_1)
	v_dual_fma_f32 v3, -v3, v21, v22 :: v_dual_fma_f32 v10, -v10, v23, v20
	v_div_fmas_f32 v3, v3, v11, v21
	s_mov_b32 vcc_lo, s0
	s_delay_alu instid0(VALU_DEP_2) | instskip(NEXT) | instid1(VALU_DEP_2)
	v_div_fmas_f32 v10, v10, v12, v23
	v_div_fixup_f32 v11, v3, v2, 0
	s_delay_alu instid0(VALU_DEP_2)
	v_div_fixup_f32 v10, v10, v13, 1.0
.LBB302_288:                            ;   in Loop: Header=BB302_177 Depth=1
	s_or_b32 exec_lo, exec_lo, s8
                                        ; implicit-def: $vgpr12
.LBB302_289:                            ;   in Loop: Header=BB302_177 Depth=1
	s_and_not1_saveexec_b32 s0, s1
	s_cbranch_execz .LBB302_291
; %bb.290:                              ;   in Loop: Header=BB302_177 Depth=1
	v_div_scale_f32 v2, null, v3, v3, v12
	v_div_scale_f32 v13, vcc_lo, v12, v3, v12
	s_delay_alu instid0(VALU_DEP_2) | instskip(SKIP_1) | instid1(TRANS32_DEP_1)
	v_rcp_f32_e32 v10, v2
	v_nop
	v_fma_f32 v11, -v2, v10, 1.0
	s_delay_alu instid0(VALU_DEP_1) | instskip(NEXT) | instid1(VALU_DEP_1)
	v_fmac_f32_e32 v10, v11, v10
	v_mul_f32_e32 v11, v13, v10
	s_delay_alu instid0(VALU_DEP_1) | instskip(NEXT) | instid1(VALU_DEP_1)
	v_fma_f32 v20, -v2, v11, v13
	v_fmac_f32_e32 v11, v20, v10
	s_delay_alu instid0(VALU_DEP_1) | instskip(NEXT) | instid1(VALU_DEP_1)
	v_fma_f32 v2, -v2, v11, v13
	v_div_fmas_f32 v2, v2, v10, v11
	s_delay_alu instid0(VALU_DEP_1) | instskip(NEXT) | instid1(VALU_DEP_1)
	v_div_fixup_f32 v10, v2, v3, v12
	v_fmac_f32_e32 v3, v12, v10
	s_delay_alu instid0(VALU_DEP_1) | instskip(SKIP_1) | instid1(VALU_DEP_2)
	v_div_scale_f32 v2, null, v3, v3, 1.0
	v_div_scale_f32 v13, vcc_lo, 1.0, v3, 1.0
	v_rcp_f32_e32 v11, v2
	v_nop
	s_delay_alu instid0(TRANS32_DEP_1) | instskip(NEXT) | instid1(VALU_DEP_1)
	v_fma_f32 v12, -v2, v11, 1.0
	v_fmac_f32_e32 v11, v12, v11
	s_delay_alu instid0(VALU_DEP_1) | instskip(NEXT) | instid1(VALU_DEP_1)
	v_mul_f32_e32 v12, v13, v11
	v_fma_f32 v20, -v2, v12, v13
	s_delay_alu instid0(VALU_DEP_1) | instskip(NEXT) | instid1(VALU_DEP_1)
	v_fmac_f32_e32 v12, v20, v11
	v_fma_f32 v2, -v2, v12, v13
	s_delay_alu instid0(VALU_DEP_1) | instskip(SKIP_1) | instid1(VALU_DEP_2)
	v_div_fmas_f32 v2, v2, v11, v12
	v_mul_f32_e32 v11, 0, v10
	v_div_fixup_f32 v2, v2, v3, 1.0
	s_delay_alu instid0(VALU_DEP_2) | instskip(NEXT) | instid1(VALU_DEP_1)
	v_pk_add_f32 v[10:11], v[10:11], v[16:17]
	v_pk_mul_f32 v[10:11], v[10:11], v[2:3] op_sel_hi:[1,0]
.LBB302_291:                            ;   in Loop: Header=BB302_177 Depth=1
	s_or_b32 exec_lo, exec_lo, s0
	v_cmp_neq_f32_e32 vcc_lo, 0, v4
	v_cmp_neq_f32_e64 s0, 0, v5
	v_mov_b32_e32 v20, 0
	s_or_b32 s0, vcc_lo, s0
	s_delay_alu instid0(SALU_CYCLE_1)
	s_and_saveexec_b32 s8, s0
	s_cbranch_execz .LBB302_321
; %bb.292:                              ;   in Loop: Header=BB302_177 Depth=1
	v_mov_b32_e32 v20, 0x7f800000
	s_mov_b32 s9, exec_lo
	v_cmpx_neq_f32_e64 0x7f800000, |v5|
	s_cbranch_execz .LBB302_320
; %bb.293:                              ;   in Loop: Header=BB302_177 Depth=1
                                        ; implicit-def: $vgpr20
	s_mov_b32 s0, exec_lo
	v_cmpx_o_f32_e32 v4, v4
	s_xor_b32 s10, exec_lo, s0
	s_cbranch_execz .LBB302_317
; %bb.294:                              ;   in Loop: Header=BB302_177 Depth=1
                                        ; implicit-def: $vgpr20
	s_mov_b32 s1, exec_lo
	v_cmpx_neq_f32_e64 0x7f800000, |v4|
	s_xor_b32 s11, exec_lo, s1
	s_cbranch_execz .LBB302_310
; %bb.295:                              ;   in Loop: Header=BB302_177 Depth=1
	v_max_num_f32_e64 v2, |v5|, |v5|
	v_max_num_f32_e64 v3, |v4|, |v4|
                                        ; implicit-def: $sgpr12
	s_delay_alu instid0(VALU_DEP_1) | instskip(NEXT) | instid1(VALU_DEP_1)
	v_max_num_f32_e32 v2, v3, v2
	v_cmp_nle_f32_e64 s0, 0x7ed413cb, v2
	s_and_saveexec_b32 s1, s0
	s_delay_alu instid0(SALU_CYCLE_1)
	s_xor_b32 s1, exec_lo, s1
	s_cbranch_execz .LBB302_299
; %bb.296:                              ;   in Loop: Header=BB302_177 Depth=1
	v_cmp_ge_f32_e64 s12, 0x1000000, |v4|
	v_cmp_ge_f32_e64 s13, 0x1000000, |v5|
	s_and_b32 s14, s12, s13
	s_mov_b32 s12, 0
	s_and_saveexec_b32 s13, s14
; %bb.297:                              ;   in Loop: Header=BB302_177 Depth=1
	v_pk_mul_f32 v[4:5], v[4:5], 4.0 op_sel_hi:[1,0]
	s_mov_b32 s12, exec_lo
; %bb.298:                              ;   in Loop: Header=BB302_177 Depth=1
	s_or_b32 exec_lo, exec_lo, s13
.LBB302_299:                            ;   in Loop: Header=BB302_177 Depth=1
	s_and_not1_saveexec_b32 s1, s1
; %bb.300:                              ;   in Loop: Header=BB302_177 Depth=1
	s_delay_alu instid0(VALU_DEP_1)
	v_pk_mul_f32 v[4:5], v[4:5], s[4:5] op_sel_hi:[1,0]
	s_and_not1_b32 s12, s12, exec_lo
; %bb.301:                              ;   in Loop: Header=BB302_177 Depth=1
	s_or_b32 exec_lo, exec_lo, s1
	s_delay_alu instid0(VALU_DEP_1) | instskip(NEXT) | instid1(VALU_DEP_2)
	v_max_num_f32_e64 v2, |v5|, |v5|
	v_max_num_f32_e64 v3, |v4|, |v4|
	s_delay_alu instid0(VALU_DEP_1) | instskip(NEXT) | instid1(VALU_DEP_1)
	v_max_num_f32_e32 v12, v3, v2
	v_cvt_f64_f32_e32 v[2:3], v12
	s_delay_alu instid0(VALU_DEP_1) | instskip(NEXT) | instid1(VALU_DEP_1)
	v_frexp_exp_i32_f64_e32 v2, v[2:3]
	v_sub_nc_u32_e32 v3, 0, v2
	v_cmp_neq_f32_e64 s1, 0x7f800000, v12
	s_delay_alu instid0(VALU_DEP_2) | instskip(SKIP_1) | instid1(VALU_DEP_2)
	v_ldexp_f32 v13, |v5|, v3
	v_ldexp_f32 v3, |v4|, v3
	v_mul_f32_e32 v13, v13, v13
	s_delay_alu instid0(VALU_DEP_1) | instskip(NEXT) | instid1(VALU_DEP_1)
	v_fmac_f32_e32 v13, v3, v3
	v_sqrt_f32_e32 v3, v13
	v_nop
	s_delay_alu instid0(TRANS32_DEP_1) | instskip(NEXT) | instid1(VALU_DEP_1)
	v_ldexp_f32 v2, v3, v2
	v_cndmask_b32_e64 v12, 0x7f800000, v2, s1
                                        ; implicit-def: $vgpr2_vgpr3
	s_mov_b32 s1, exec_lo
	v_cmpx_le_f32_e32 0, v4
	s_xor_b32 s13, exec_lo, s1
	s_cbranch_execz .LBB302_303
; %bb.302:                              ;   in Loop: Header=BB302_177 Depth=1
	v_add_f32_e32 v2, v4, v12
	s_delay_alu instid0(VALU_DEP_1) | instskip(NEXT) | instid1(VALU_DEP_1)
	v_mul_f32_e32 v2, 0.5, v2
	v_mul_f32_e32 v3, 0x4f800000, v2
	v_cmp_gt_f32_e32 vcc_lo, 0xf800000, v2
	s_delay_alu instid0(VALU_DEP_2) | instskip(NEXT) | instid1(VALU_DEP_1)
	v_cndmask_b32_e32 v2, v2, v3, vcc_lo
	v_sqrt_f32_e32 v3, v2
	v_nop
	s_delay_alu instid0(TRANS32_DEP_1) | instskip(NEXT) | instid1(VALU_DEP_1)
	v_dual_add_nc_u32 v4, -1, v3 :: v_dual_add_nc_u32 v12, 1, v3
	v_fma_f32 v13, -v4, v3, v2
	s_delay_alu instid0(VALU_DEP_2) | instskip(NEXT) | instid1(VALU_DEP_2)
	v_fma_f32 v20, -v12, v3, v2
	v_cmp_ge_f32_e64 s1, 0, v13
	s_delay_alu instid0(VALU_DEP_1) | instskip(NEXT) | instid1(VALU_DEP_3)
	v_cndmask_b32_e64 v3, v3, v4, s1
	v_cmp_lt_f32_e64 s1, 0, v20
	s_delay_alu instid0(VALU_DEP_1) | instskip(NEXT) | instid1(VALU_DEP_1)
	v_cndmask_b32_e64 v3, v3, v12, s1
	v_mul_f32_e32 v4, 0x37800000, v3
	s_delay_alu instid0(VALU_DEP_1) | instskip(SKIP_1) | instid1(VALU_DEP_2)
	v_cndmask_b32_e32 v3, v3, v4, vcc_lo
	v_cmp_class_f32_e64 vcc_lo, v2, 0x260
	v_cndmask_b32_e32 v2, v3, v2, vcc_lo
	s_delay_alu instid0(VALU_DEP_1) | instskip(NEXT) | instid1(VALU_DEP_1)
	v_add_f32_e32 v3, v2, v2
	v_div_scale_f32 v4, null, v3, v3, v5
	s_delay_alu instid0(VALU_DEP_1) | instskip(SKIP_1) | instid1(TRANS32_DEP_1)
	v_rcp_f32_e32 v12, v4
	v_nop
	v_fma_f32 v13, -v4, v12, 1.0
	s_delay_alu instid0(VALU_DEP_1) | instskip(SKIP_1) | instid1(VALU_DEP_1)
	v_fmac_f32_e32 v12, v13, v12
	v_div_scale_f32 v13, vcc_lo, v5, v3, v5
	v_mul_f32_e32 v20, v13, v12
	s_delay_alu instid0(VALU_DEP_1) | instskip(NEXT) | instid1(VALU_DEP_1)
	v_fma_f32 v21, -v4, v20, v13
	v_fmac_f32_e32 v20, v21, v12
	s_delay_alu instid0(VALU_DEP_1) | instskip(NEXT) | instid1(VALU_DEP_1)
	v_fma_f32 v4, -v4, v20, v13
	v_div_fmas_f32 v4, v4, v12, v20
                                        ; implicit-def: $vgpr12
	s_delay_alu instid0(VALU_DEP_1)
	v_div_fixup_f32 v3, v4, v3, v5
                                        ; implicit-def: $vgpr4_vgpr5
	s_and_not1_saveexec_b32 s13, s13
	s_cbranch_execz .LBB302_305
	s_branch .LBB302_304
.LBB302_303:                            ;   in Loop: Header=BB302_177 Depth=1
	s_and_not1_saveexec_b32 s13, s13
	s_cbranch_execz .LBB302_305
.LBB302_304:                            ;   in Loop: Header=BB302_177 Depth=1
	v_sub_f32_e32 v2, v12, v4
	s_delay_alu instid0(VALU_DEP_1) | instskip(NEXT) | instid1(VALU_DEP_1)
	v_mul_f32_e32 v2, 0.5, v2
	v_mul_f32_e32 v3, 0x4f800000, v2
	v_cmp_gt_f32_e32 vcc_lo, 0xf800000, v2
	s_delay_alu instid0(VALU_DEP_2) | instskip(NEXT) | instid1(VALU_DEP_1)
	v_cndmask_b32_e32 v2, v2, v3, vcc_lo
	v_sqrt_f32_e32 v3, v2
	v_nop
	s_delay_alu instid0(TRANS32_DEP_1) | instskip(NEXT) | instid1(VALU_DEP_1)
	v_dual_add_nc_u32 v4, -1, v3 :: v_dual_add_nc_u32 v12, 1, v3
	v_fma_f32 v13, -v4, v3, v2
	s_delay_alu instid0(VALU_DEP_2) | instskip(NEXT) | instid1(VALU_DEP_2)
	v_fma_f32 v20, -v12, v3, v2
	v_cmp_ge_f32_e64 s1, 0, v13
	s_delay_alu instid0(VALU_DEP_1) | instskip(NEXT) | instid1(VALU_DEP_3)
	v_cndmask_b32_e64 v3, v3, v4, s1
	v_cmp_lt_f32_e64 s1, 0, v20
	s_delay_alu instid0(VALU_DEP_1) | instskip(NEXT) | instid1(VALU_DEP_1)
	v_cndmask_b32_e64 v3, v3, v12, s1
	v_mul_f32_e32 v4, 0x37800000, v3
	s_delay_alu instid0(VALU_DEP_1) | instskip(SKIP_1) | instid1(VALU_DEP_2)
	v_cndmask_b32_e32 v3, v3, v4, vcc_lo
	v_cmp_class_f32_e64 vcc_lo, v2, 0x260
	v_cndmask_b32_e32 v3, v3, v2, vcc_lo
	v_and_b32_e32 v2, 0x7fffffff, v5
	s_delay_alu instid0(VALU_DEP_2) | instskip(SKIP_1) | instid1(VALU_DEP_2)
	v_add_f32_e32 v4, v3, v3
	v_bfi_b32 v3, 0x7fffffff, v3, v5
	v_div_scale_f32 v12, null, v4, v4, v2
	s_delay_alu instid0(VALU_DEP_1) | instskip(SKIP_1) | instid1(TRANS32_DEP_1)
	v_rcp_f32_e32 v13, v12
	v_nop
	v_fma_f32 v20, -v12, v13, 1.0
	s_delay_alu instid0(VALU_DEP_1) | instskip(SKIP_1) | instid1(VALU_DEP_1)
	v_fmac_f32_e32 v13, v20, v13
	v_div_scale_f32 v2, vcc_lo, v2, v4, v2
	v_mul_f32_e32 v20, v2, v13
	s_delay_alu instid0(VALU_DEP_1) | instskip(NEXT) | instid1(VALU_DEP_1)
	v_fma_f32 v21, -v12, v20, v2
	v_fmac_f32_e32 v20, v21, v13
	s_delay_alu instid0(VALU_DEP_1) | instskip(NEXT) | instid1(VALU_DEP_1)
	v_fma_f32 v2, -v12, v20, v2
	v_div_fmas_f32 v2, v2, v13, v20
	s_delay_alu instid0(VALU_DEP_1)
	v_div_fixup_f32 v2, v2, v4, |v5|
.LBB302_305:                            ;   in Loop: Header=BB302_177 Depth=1
	s_or_b32 exec_lo, exec_lo, s13
                                        ; implicit-def: $vgpr5
                                        ; implicit-def: $vgpr20
	s_and_saveexec_b32 s1, s0
	s_delay_alu instid0(SALU_CYCLE_1)
	s_xor_b32 s0, exec_lo, s1
	s_cbranch_execz .LBB302_307
; %bb.306:                              ;   in Loop: Header=BB302_177 Depth=1
	v_pk_mul_f32 v[4:5], v[2:3], 0.5 op_sel_hi:[1,0]
	s_delay_alu instid0(VALU_DEP_1)
	v_dual_cndmask_b32 v20, v2, v4, s12 :: v_dual_cndmask_b32 v5, v3, v5, s12
                                        ; implicit-def: $vgpr2_vgpr3
	s_and_not1_saveexec_b32 s0, s0
	s_cbranch_execnz .LBB302_308
	s_branch .LBB302_309
.LBB302_307:                            ;   in Loop: Header=BB302_177 Depth=1
	s_and_not1_saveexec_b32 s0, s0
.LBB302_308:                            ;   in Loop: Header=BB302_177 Depth=1
	v_pk_add_f32 v[4:5], v[2:3], v[2:3]
	s_delay_alu instid0(VALU_DEP_1)
	v_mov_b32_e32 v20, v4
.LBB302_309:                            ;   in Loop: Header=BB302_177 Depth=1
	s_or_b32 exec_lo, exec_lo, s0
.LBB302_310:                            ;   in Loop: Header=BB302_177 Depth=1
	s_and_not1_saveexec_b32 s0, s11
	s_cbranch_execz .LBB302_316
; %bb.311:                              ;   in Loop: Header=BB302_177 Depth=1
	v_sub_f32_e32 v2, v5, v5
	s_mov_b32 s1, exec_lo
	s_delay_alu instid0(VALU_DEP_1)
	v_and_b32_e32 v20, 0x7fffffff, v2
	v_cmpx_lt_i32_e32 -1, v4
	s_xor_b32 s1, exec_lo, s1
; %bb.312:                              ;   in Loop: Header=BB302_177 Depth=1
	v_bfi_b32 v5, 0x7fffffff, v2, v5
	v_mov_b32_e32 v20, v4
; %bb.313:                              ;   in Loop: Header=BB302_177 Depth=1
	s_and_not1_saveexec_b32 s1, s1
; %bb.314:                              ;   in Loop: Header=BB302_177 Depth=1
	s_delay_alu instid0(VALU_DEP_2)
	v_bfi_b32 v5, 0x7fffffff, v4, v5
; %bb.315:                              ;   in Loop: Header=BB302_177 Depth=1
	s_or_b32 exec_lo, exec_lo, s1
.LBB302_316:                            ;   in Loop: Header=BB302_177 Depth=1
	s_delay_alu instid0(SALU_CYCLE_1)
	s_or_b32 exec_lo, exec_lo, s0
.LBB302_317:                            ;   in Loop: Header=BB302_177 Depth=1
	s_and_not1_saveexec_b32 s0, s10
	s_cbranch_execz .LBB302_319
; %bb.318:                              ;   in Loop: Header=BB302_177 Depth=1
	v_dual_sub_f32 v2, v5, v5 :: v_dual_mov_b32 v20, v4
	s_delay_alu instid0(VALU_DEP_1) | instskip(NEXT) | instid1(VALU_DEP_1)
	v_div_scale_f32 v3, vcc_lo, v2, v2, v2
	v_rcp_f32_e32 v5, v3
	v_nop
	s_delay_alu instid0(TRANS32_DEP_1) | instskip(NEXT) | instid1(VALU_DEP_1)
	v_fma_f32 v12, -v3, v5, 1.0
	v_fmac_f32_e32 v5, v12, v5
	s_delay_alu instid0(VALU_DEP_1) | instskip(NEXT) | instid1(VALU_DEP_1)
	v_mul_f32_e32 v12, v3, v5
	v_fma_f32 v13, -v3, v12, v3
	s_delay_alu instid0(VALU_DEP_1) | instskip(NEXT) | instid1(VALU_DEP_1)
	v_fmac_f32_e32 v12, v13, v5
	v_fma_f32 v3, -v3, v12, v3
	s_delay_alu instid0(VALU_DEP_1) | instskip(NEXT) | instid1(VALU_DEP_1)
	v_div_fmas_f32 v3, v3, v5, v12
	v_div_fixup_f32 v5, v3, v2, v2
.LBB302_319:                            ;   in Loop: Header=BB302_177 Depth=1
	s_or_b32 exec_lo, exec_lo, s0
.LBB302_320:                            ;   in Loop: Header=BB302_177 Depth=1
	s_delay_alu instid0(SALU_CYCLE_1)
	s_or_b32 exec_lo, exec_lo, s9
.LBB302_321:                            ;   in Loop: Header=BB302_177 Depth=1
	s_delay_alu instid0(SALU_CYCLE_1) | instskip(NEXT) | instid1(VALU_DEP_1)
	s_or_b32 exec_lo, exec_lo, s8
	v_cmp_gt_f32_e32 vcc_lo, 0, v5
	s_mov_b32 s0, exec_lo
	v_cndmask_b32_e64 v2, v5, -v5, vcc_lo
	v_cmp_gt_f32_e32 vcc_lo, 0, v20
	v_cndmask_b32_e64 v3, v20, -v20, vcc_lo
	s_delay_alu instid0(VALU_DEP_1)
	v_cmpx_ge_f32_e32 v3, v2
	s_xor_b32 s1, exec_lo, s0
	s_cbranch_execz .LBB302_327
; %bb.322:                              ;   in Loop: Header=BB302_177 Depth=1
	v_cmp_neq_f32_e32 vcc_lo, 0, v20
	v_cmp_neq_f32_e64 s0, 0, v5
	s_or_b32 s0, vcc_lo, s0
	s_delay_alu instid0(SALU_CYCLE_1) | instskip(NEXT) | instid1(SALU_CYCLE_1)
	s_and_saveexec_b32 s8, s0
	s_xor_b32 s0, exec_lo, s8
	s_cbranch_execz .LBB302_324
; %bb.323:                              ;   in Loop: Header=BB302_177 Depth=1
	v_div_scale_f32 v2, null, v20, v20, v5
	v_div_scale_f32 v12, vcc_lo, v5, v20, v5
	s_delay_alu instid0(VALU_DEP_2) | instskip(SKIP_1) | instid1(TRANS32_DEP_1)
	v_rcp_f32_e32 v3, v2
	v_nop
	v_fma_f32 v4, -v2, v3, 1.0
	s_delay_alu instid0(VALU_DEP_1) | instskip(NEXT) | instid1(VALU_DEP_1)
	v_fmac_f32_e32 v3, v4, v3
	v_mul_f32_e32 v4, v12, v3
	s_delay_alu instid0(VALU_DEP_1) | instskip(NEXT) | instid1(VALU_DEP_1)
	v_fma_f32 v13, -v2, v4, v12
	v_fmac_f32_e32 v4, v13, v3
	s_delay_alu instid0(VALU_DEP_1) | instskip(NEXT) | instid1(VALU_DEP_1)
	v_fma_f32 v2, -v2, v4, v12
	v_div_fmas_f32 v2, v2, v3, v4
	s_delay_alu instid0(VALU_DEP_1) | instskip(NEXT) | instid1(VALU_DEP_1)
	v_div_fixup_f32 v3, v2, v20, v5
	v_fmac_f32_e32 v20, v5, v3
	s_delay_alu instid0(VALU_DEP_1) | instskip(SKIP_1) | instid1(VALU_DEP_2)
	v_div_scale_f32 v2, null, v20, v20, 1.0
	v_div_scale_f32 v12, vcc_lo, 1.0, v20, 1.0
	v_rcp_f32_e32 v4, v2
	v_nop
	s_delay_alu instid0(TRANS32_DEP_1) | instskip(NEXT) | instid1(VALU_DEP_1)
	v_fma_f32 v5, -v2, v4, 1.0
	v_fmac_f32_e32 v4, v5, v4
	s_delay_alu instid0(VALU_DEP_1) | instskip(NEXT) | instid1(VALU_DEP_1)
	v_mul_f32_e32 v5, v12, v4
	v_fma_f32 v13, -v2, v5, v12
	s_delay_alu instid0(VALU_DEP_1) | instskip(NEXT) | instid1(VALU_DEP_1)
	v_fmac_f32_e32 v5, v13, v4
	v_dual_fma_f32 v2, -v2, v5, v12 :: v_dual_mul_f32 v12, 0, v3
	v_sub_f32_e32 v3, 0, v3
	s_delay_alu instid0(VALU_DEP_2) | instskip(NEXT) | instid1(VALU_DEP_3)
	v_div_fmas_f32 v4, v2, v4, v5
	v_add_f32_e32 v2, 1.0, v12
	s_delay_alu instid0(VALU_DEP_2) | instskip(NEXT) | instid1(VALU_DEP_1)
	v_div_fixup_f32 v4, v4, v20, 1.0
	v_pk_mul_f32 v[12:13], v[2:3], v[4:5] op_sel_hi:[1,0]
                                        ; implicit-def: $vgpr2
                                        ; implicit-def: $vgpr3
.LBB302_324:                            ;   in Loop: Header=BB302_177 Depth=1
	s_and_not1_saveexec_b32 s8, s0
	s_cbranch_execz .LBB302_326
; %bb.325:                              ;   in Loop: Header=BB302_177 Depth=1
	v_div_scale_f32 v4, null, v2, v2, 0
	v_div_scale_f32 v5, null, v3, v3, 1.0
	v_div_scale_f32 v22, vcc_lo, 0, v2, 0
	s_delay_alu instid0(VALU_DEP_3) | instskip(NEXT) | instid1(VALU_DEP_2)
	v_rcp_f32_e32 v12, v4
	v_rcp_f32_e32 v13, v5
	s_delay_alu instid0(TRANS32_DEP_2) | instskip(NEXT) | instid1(TRANS32_DEP_1)
	v_fma_f32 v20, -v4, v12, 1.0
	v_fma_f32 v21, -v5, v13, 1.0
	s_delay_alu instid0(VALU_DEP_1) | instskip(SKIP_1) | instid1(VALU_DEP_1)
	v_dual_fmac_f32 v12, v20, v12 :: v_dual_fmac_f32 v13, v21, v13
	v_div_scale_f32 v20, s0, 1.0, v3, 1.0
	v_dual_mul_f32 v21, v22, v12 :: v_dual_mul_f32 v23, v20, v13
	s_delay_alu instid0(VALU_DEP_1) | instskip(NEXT) | instid1(VALU_DEP_1)
	v_dual_fma_f32 v24, -v4, v21, v22 :: v_dual_fma_f32 v25, -v5, v23, v20
	v_dual_fmac_f32 v21, v24, v12 :: v_dual_fmac_f32 v23, v25, v13
	s_delay_alu instid0(VALU_DEP_1) | instskip(NEXT) | instid1(VALU_DEP_1)
	v_dual_fma_f32 v4, -v4, v21, v22 :: v_dual_fma_f32 v5, -v5, v23, v20
	v_div_fmas_f32 v4, v4, v12, v21
	s_mov_b32 vcc_lo, s0
	s_delay_alu instid0(VALU_DEP_2) | instskip(NEXT) | instid1(VALU_DEP_2)
	v_div_fmas_f32 v5, v5, v13, v23
	v_div_fixup_f32 v13, v4, v2, 0
	s_delay_alu instid0(VALU_DEP_2)
	v_div_fixup_f32 v12, v5, v3, 1.0
.LBB302_326:                            ;   in Loop: Header=BB302_177 Depth=1
	s_or_b32 exec_lo, exec_lo, s8
                                        ; implicit-def: $vgpr5
                                        ; implicit-def: $vgpr20
.LBB302_327:                            ;   in Loop: Header=BB302_177 Depth=1
	s_and_not1_saveexec_b32 s0, s1
	s_cbranch_execz .LBB302_176
; %bb.328:                              ;   in Loop: Header=BB302_177 Depth=1
	v_div_scale_f32 v2, null, v5, v5, v20
	v_div_scale_f32 v12, vcc_lo, v20, v5, v20
	s_delay_alu instid0(VALU_DEP_2) | instskip(SKIP_1) | instid1(TRANS32_DEP_1)
	v_rcp_f32_e32 v3, v2
	v_nop
	v_fma_f32 v4, -v2, v3, 1.0
	s_delay_alu instid0(VALU_DEP_1) | instskip(NEXT) | instid1(VALU_DEP_1)
	v_fmac_f32_e32 v3, v4, v3
	v_mul_f32_e32 v4, v12, v3
	s_delay_alu instid0(VALU_DEP_1) | instskip(NEXT) | instid1(VALU_DEP_1)
	v_fma_f32 v13, -v2, v4, v12
	v_fmac_f32_e32 v4, v13, v3
	s_delay_alu instid0(VALU_DEP_1) | instskip(NEXT) | instid1(VALU_DEP_1)
	v_fma_f32 v2, -v2, v4, v12
	v_div_fmas_f32 v2, v2, v3, v4
	s_delay_alu instid0(VALU_DEP_1) | instskip(NEXT) | instid1(VALU_DEP_1)
	v_div_fixup_f32 v2, v2, v5, v20
	v_fmac_f32_e32 v5, v20, v2
	s_delay_alu instid0(VALU_DEP_1) | instskip(SKIP_1) | instid1(VALU_DEP_2)
	v_div_scale_f32 v3, null, v5, v5, 1.0
	v_div_scale_f32 v13, vcc_lo, 1.0, v5, 1.0
	v_rcp_f32_e32 v4, v3
	v_nop
	s_delay_alu instid0(TRANS32_DEP_1) | instskip(NEXT) | instid1(VALU_DEP_1)
	v_fma_f32 v12, -v3, v4, 1.0
	v_fmac_f32_e32 v4, v12, v4
	s_delay_alu instid0(VALU_DEP_1) | instskip(NEXT) | instid1(VALU_DEP_1)
	v_mul_f32_e32 v12, v13, v4
	v_fma_f32 v20, -v3, v12, v13
	s_delay_alu instid0(VALU_DEP_1) | instskip(NEXT) | instid1(VALU_DEP_1)
	v_fmac_f32_e32 v12, v20, v4
	v_fma_f32 v3, -v3, v12, v13
	s_delay_alu instid0(VALU_DEP_1) | instskip(SKIP_1) | instid1(VALU_DEP_2)
	v_div_fmas_f32 v4, v3, v4, v12
	v_mul_f32_e32 v3, 0, v2
	v_div_fixup_f32 v4, v4, v5, 1.0
	s_delay_alu instid0(VALU_DEP_2) | instskip(NEXT) | instid1(VALU_DEP_1)
	v_pk_add_f32 v[2:3], v[2:3], v[16:17]
	v_pk_mul_f32 v[12:13], v[2:3], v[4:5] op_sel_hi:[1,0]
	s_branch .LBB302_176
.LBB302_329:
	s_endpgm
	.section	.rodata,"a",@progbits
	.p2align	6, 0x0
	.amdhsa_kernel _ZN2at6native12_GLOBAL__N_125multi_tensor_apply_kernelINS1_18TensorListMetadataILi1EEENS1_14UnaryOpFunctorIN3c107complexIfEELi1ELi1ELi0EEEJNS0_5RsqrtIS8_EEEEEvT_T0_DpT1_
		.amdhsa_group_segment_fixed_size 0
		.amdhsa_private_segment_fixed_size 0
		.amdhsa_kernarg_size 3632
		.amdhsa_user_sgpr_count 2
		.amdhsa_user_sgpr_dispatch_ptr 0
		.amdhsa_user_sgpr_queue_ptr 0
		.amdhsa_user_sgpr_kernarg_segment_ptr 1
		.amdhsa_user_sgpr_dispatch_id 0
		.amdhsa_user_sgpr_kernarg_preload_length 0
		.amdhsa_user_sgpr_kernarg_preload_offset 0
		.amdhsa_user_sgpr_private_segment_size 0
		.amdhsa_wavefront_size32 1
		.amdhsa_uses_dynamic_stack 0
		.amdhsa_enable_private_segment 0
		.amdhsa_system_sgpr_workgroup_id_x 1
		.amdhsa_system_sgpr_workgroup_id_y 0
		.amdhsa_system_sgpr_workgroup_id_z 0
		.amdhsa_system_sgpr_workgroup_info 0
		.amdhsa_system_vgpr_workitem_id 0
		.amdhsa_next_free_vgpr 40
		.amdhsa_next_free_sgpr 32
		.amdhsa_named_barrier_count 0
		.amdhsa_reserve_vcc 1
		.amdhsa_float_round_mode_32 0
		.amdhsa_float_round_mode_16_64 0
		.amdhsa_float_denorm_mode_32 3
		.amdhsa_float_denorm_mode_16_64 3
		.amdhsa_fp16_overflow 0
		.amdhsa_memory_ordered 1
		.amdhsa_forward_progress 1
		.amdhsa_inst_pref_size 128
		.amdhsa_round_robin_scheduling 0
		.amdhsa_exception_fp_ieee_invalid_op 0
		.amdhsa_exception_fp_denorm_src 0
		.amdhsa_exception_fp_ieee_div_zero 0
		.amdhsa_exception_fp_ieee_overflow 0
		.amdhsa_exception_fp_ieee_underflow 0
		.amdhsa_exception_fp_ieee_inexact 0
		.amdhsa_exception_int_div_zero 0
	.end_amdhsa_kernel
	.section	.text._ZN2at6native12_GLOBAL__N_125multi_tensor_apply_kernelINS1_18TensorListMetadataILi1EEENS1_14UnaryOpFunctorIN3c107complexIfEELi1ELi1ELi0EEEJNS0_5RsqrtIS8_EEEEEvT_T0_DpT1_,"axG",@progbits,_ZN2at6native12_GLOBAL__N_125multi_tensor_apply_kernelINS1_18TensorListMetadataILi1EEENS1_14UnaryOpFunctorIN3c107complexIfEELi1ELi1ELi0EEEJNS0_5RsqrtIS8_EEEEEvT_T0_DpT1_,comdat
.Lfunc_end302:
	.size	_ZN2at6native12_GLOBAL__N_125multi_tensor_apply_kernelINS1_18TensorListMetadataILi1EEENS1_14UnaryOpFunctorIN3c107complexIfEELi1ELi1ELi0EEEJNS0_5RsqrtIS8_EEEEEvT_T0_DpT1_, .Lfunc_end302-_ZN2at6native12_GLOBAL__N_125multi_tensor_apply_kernelINS1_18TensorListMetadataILi1EEENS1_14UnaryOpFunctorIN3c107complexIfEELi1ELi1ELi0EEEJNS0_5RsqrtIS8_EEEEEvT_T0_DpT1_
                                        ; -- End function
	.set _ZN2at6native12_GLOBAL__N_125multi_tensor_apply_kernelINS1_18TensorListMetadataILi1EEENS1_14UnaryOpFunctorIN3c107complexIfEELi1ELi1ELi0EEEJNS0_5RsqrtIS8_EEEEEvT_T0_DpT1_.num_vgpr, 40
	.set _ZN2at6native12_GLOBAL__N_125multi_tensor_apply_kernelINS1_18TensorListMetadataILi1EEENS1_14UnaryOpFunctorIN3c107complexIfEELi1ELi1ELi0EEEJNS0_5RsqrtIS8_EEEEEvT_T0_DpT1_.num_agpr, 0
	.set _ZN2at6native12_GLOBAL__N_125multi_tensor_apply_kernelINS1_18TensorListMetadataILi1EEENS1_14UnaryOpFunctorIN3c107complexIfEELi1ELi1ELi0EEEJNS0_5RsqrtIS8_EEEEEvT_T0_DpT1_.numbered_sgpr, 32
	.set _ZN2at6native12_GLOBAL__N_125multi_tensor_apply_kernelINS1_18TensorListMetadataILi1EEENS1_14UnaryOpFunctorIN3c107complexIfEELi1ELi1ELi0EEEJNS0_5RsqrtIS8_EEEEEvT_T0_DpT1_.num_named_barrier, 0
	.set _ZN2at6native12_GLOBAL__N_125multi_tensor_apply_kernelINS1_18TensorListMetadataILi1EEENS1_14UnaryOpFunctorIN3c107complexIfEELi1ELi1ELi0EEEJNS0_5RsqrtIS8_EEEEEvT_T0_DpT1_.private_seg_size, 0
	.set _ZN2at6native12_GLOBAL__N_125multi_tensor_apply_kernelINS1_18TensorListMetadataILi1EEENS1_14UnaryOpFunctorIN3c107complexIfEELi1ELi1ELi0EEEJNS0_5RsqrtIS8_EEEEEvT_T0_DpT1_.uses_vcc, 1
	.set _ZN2at6native12_GLOBAL__N_125multi_tensor_apply_kernelINS1_18TensorListMetadataILi1EEENS1_14UnaryOpFunctorIN3c107complexIfEELi1ELi1ELi0EEEJNS0_5RsqrtIS8_EEEEEvT_T0_DpT1_.uses_flat_scratch, 0
	.set _ZN2at6native12_GLOBAL__N_125multi_tensor_apply_kernelINS1_18TensorListMetadataILi1EEENS1_14UnaryOpFunctorIN3c107complexIfEELi1ELi1ELi0EEEJNS0_5RsqrtIS8_EEEEEvT_T0_DpT1_.has_dyn_sized_stack, 0
	.set _ZN2at6native12_GLOBAL__N_125multi_tensor_apply_kernelINS1_18TensorListMetadataILi1EEENS1_14UnaryOpFunctorIN3c107complexIfEELi1ELi1ELi0EEEJNS0_5RsqrtIS8_EEEEEvT_T0_DpT1_.has_recursion, 0
	.set _ZN2at6native12_GLOBAL__N_125multi_tensor_apply_kernelINS1_18TensorListMetadataILi1EEENS1_14UnaryOpFunctorIN3c107complexIfEELi1ELi1ELi0EEEJNS0_5RsqrtIS8_EEEEEvT_T0_DpT1_.has_indirect_call, 0
	.section	.AMDGPU.csdata,"",@progbits
; Kernel info:
; codeLenInByte = 16280
; TotalNumSgprs: 34
; NumVgprs: 40
; ScratchSize: 0
; MemoryBound: 0
; FloatMode: 240
; IeeeMode: 1
; LDSByteSize: 0 bytes/workgroup (compile time only)
; SGPRBlocks: 0
; VGPRBlocks: 2
; NumSGPRsForWavesPerEU: 34
; NumVGPRsForWavesPerEU: 40
; NamedBarCnt: 0
; Occupancy: 16
; WaveLimiterHint : 0
; COMPUTE_PGM_RSRC2:SCRATCH_EN: 0
; COMPUTE_PGM_RSRC2:USER_SGPR: 2
; COMPUTE_PGM_RSRC2:TRAP_HANDLER: 0
; COMPUTE_PGM_RSRC2:TGID_X_EN: 1
; COMPUTE_PGM_RSRC2:TGID_Y_EN: 0
; COMPUTE_PGM_RSRC2:TGID_Z_EN: 0
; COMPUTE_PGM_RSRC2:TIDIG_COMP_CNT: 0
	.section	.text._ZN2at6native12_GLOBAL__N_125multi_tensor_apply_kernelINS1_18TensorListMetadataILi1EEENS1_14UnaryOpFunctorIN3c104HalfELi1ELi1ELi0EEEJNS0_5RsqrtIfEEEEEvT_T0_DpT1_,"axG",@progbits,_ZN2at6native12_GLOBAL__N_125multi_tensor_apply_kernelINS1_18TensorListMetadataILi1EEENS1_14UnaryOpFunctorIN3c104HalfELi1ELi1ELi0EEEJNS0_5RsqrtIfEEEEEvT_T0_DpT1_,comdat
	.globl	_ZN2at6native12_GLOBAL__N_125multi_tensor_apply_kernelINS1_18TensorListMetadataILi1EEENS1_14UnaryOpFunctorIN3c104HalfELi1ELi1ELi0EEEJNS0_5RsqrtIfEEEEEvT_T0_DpT1_ ; -- Begin function _ZN2at6native12_GLOBAL__N_125multi_tensor_apply_kernelINS1_18TensorListMetadataILi1EEENS1_14UnaryOpFunctorIN3c104HalfELi1ELi1ELi0EEEJNS0_5RsqrtIfEEEEEvT_T0_DpT1_
	.p2align	8
	.type	_ZN2at6native12_GLOBAL__N_125multi_tensor_apply_kernelINS1_18TensorListMetadataILi1EEENS1_14UnaryOpFunctorIN3c104HalfELi1ELi1ELi0EEEJNS0_5RsqrtIfEEEEEvT_T0_DpT1_,@function
_ZN2at6native12_GLOBAL__N_125multi_tensor_apply_kernelINS1_18TensorListMetadataILi1EEENS1_14UnaryOpFunctorIN3c104HalfELi1ELi1ELi0EEEJNS0_5RsqrtIfEEEEEvT_T0_DpT1_: ; @_ZN2at6native12_GLOBAL__N_125multi_tensor_apply_kernelINS1_18TensorListMetadataILi1EEENS1_14UnaryOpFunctorIN3c104HalfELi1ELi1ELi0EEEJNS0_5RsqrtIfEEEEEvT_T0_DpT1_
; %bb.0:
	s_bfe_u32 s2, ttmp6, 0x4000c
	s_and_b32 s3, ttmp6, 15
	s_add_co_i32 s2, s2, 1
	s_getreg_b32 s4, hwreg(HW_REG_IB_STS2, 6, 4)
	s_mul_i32 s2, ttmp9, s2
	s_delay_alu instid0(SALU_CYCLE_1)
	s_add_co_i32 s3, s3, s2
	s_cmp_eq_u32 s4, 0
	s_cselect_b32 s2, ttmp9, s3
	s_mov_b32 s3, 0
	s_load_u8 s8, s[0:1], s2 offset:0x6e0
	s_add_nc_u64 s[4:5], s[0:1], s[2:3]
	s_mul_u64 s[6:7], s[2:3], 3
	s_delay_alu instid0(SALU_CYCLE_1)
	s_add_nc_u64 s[4:5], s[4:5], s[6:7]
	s_load_b32 s10, s[4:5], 0x820
	s_wait_kmcnt 0x0
	s_clause 0x1
	s_load_b64 s[6:7], s[0:1], s8 offset:0x0 scale_offset
	s_load_b64 s[12:13], s[0:1], s8 offset:0x370 scale_offset
	s_ashr_i32 s11, s10, 31
	s_wait_kmcnt 0x0
	s_and_b64 s[4:5], s[6:7], 7
	s_and_b32 s2, s12, 3
	s_lshl_b64 s[8:9], s[10:11], 17
	s_or_b64 s[2:3], s[4:5], s[2:3]
	s_lshl_b64 s[4:5], s[10:11], 16
	s_cmp_eq_u64 s[2:3], 0
	s_sub_nc_u64 s[10:11], s[12:13], s[4:5]
	s_cbranch_scc1 .LBB303_21
; %bb.1:
	v_cmp_lt_i64_e64 s2, s[10:11], 1
	s_and_b32 vcc_lo, exec_lo, s2
	s_cbranch_vccnz .LBB303_20
; %bb.2:
	s_load_b32 s2, s[0:1], 0xd3c
	v_min_i64 v[2:3], 0x10000, s[10:11]
	v_min_u64 v[4:5], 0x10000, s[10:11]
	v_dual_mov_b32 v1, 0 :: v_dual_lshlrev_b32 v8, 1, v0
	s_mov_b32 s3, 0
	s_add_nc_u64 s[4:5], s[6:7], s[8:9]
	s_mov_b32 s15, s3
	s_delay_alu instid0(VALU_DEP_1)
	v_mov_b32_e32 v15, v1
	s_mov_b32 s17, s3
	s_mov_b32 s13, s3
	s_mov_b64 s[18:19], 0
	s_wait_kmcnt 0x0
	s_and_b32 s2, s2, 0xffff
	s_delay_alu instid0(SALU_CYCLE_1)
	v_add_nc_u64_e32 v[6:7], s[2:3], v[0:1]
	v_mov_b32_e32 v9, v1
	s_lshl_b32 s14, s2, 1
	s_mul_i32 s16, s2, 3
	v_add_nc_u64_e32 v[12:13], s[14:15], v[0:1]
	v_add_nc_u64_e32 v[10:11], s[16:17], v[0:1]
	s_lshl_b32 s12, s2, 2
	v_lshlrev_b32_e32 v14, 1, v6
	v_add_nc_u64_e32 v[8:9], s[4:5], v[8:9]
	s_lshl_b32 s14, s2, 3
	s_mul_u64 s[16:17], s[2:3], 6
	s_delay_alu instid0(VALU_DEP_2)
	v_add_nc_u64_e32 v[14:15], s[4:5], v[14:15]
	s_branch .LBB303_4
.LBB303_3:                              ;   in Loop: Header=BB303_4 Depth=1
	s_wait_xcnt 0x0
	s_or_b32 exec_lo, exec_lo, s2
	s_add_nc_u64 s[18:19], s[18:19], s[12:13]
	v_add_nc_u64_e32 v[8:9], s[14:15], v[8:9]
	v_cmp_lt_i64_e32 vcc_lo, s[18:19], v[2:3]
	v_add_nc_u64_e32 v[14:15], s[14:15], v[14:15]
	s_cbranch_vccz .LBB303_20
.LBB303_4:                              ; =>This Inner Loop Header: Depth=1
	v_add_nc_u64_e32 v[16:17], s[18:19], v[0:1]
	v_mov_b32_e32 v23, 0
	s_delay_alu instid0(VALU_DEP_2)
	v_cmp_lt_u64_e64 s4, v[16:17], v[4:5]
	s_and_saveexec_b32 s2, s4
	s_cbranch_execz .LBB303_6
; %bb.5:                                ;   in Loop: Header=BB303_4 Depth=1
	global_load_u16 v16, v[8:9], off
	s_wait_loadcnt 0x0
	v_cvt_f32_f16_e32 v23, v16
.LBB303_6:                              ;   in Loop: Header=BB303_4 Depth=1
	s_wait_xcnt 0x0
	s_or_b32 exec_lo, exec_lo, s2
	v_add_nc_u64_e32 v[16:17], s[18:19], v[6:7]
	v_dual_mov_b32 v20, 0 :: v_dual_mov_b32 v22, 0
	s_delay_alu instid0(VALU_DEP_2)
	v_cmp_lt_u64_e64 s3, v[16:17], v[4:5]
	s_and_saveexec_b32 s2, s3
	s_cbranch_execz .LBB303_8
; %bb.7:                                ;   in Loop: Header=BB303_4 Depth=1
	global_load_u16 v16, v[14:15], off
	s_wait_loadcnt 0x0
	v_cvt_f32_f16_e32 v22, v16
.LBB303_8:                              ;   in Loop: Header=BB303_4 Depth=1
	s_wait_xcnt 0x0
	s_or_b32 exec_lo, exec_lo, s2
	v_add_nc_u64_e32 v[16:17], s[18:19], v[12:13]
	v_add_nc_u64_e32 v[18:19], s[12:13], v[8:9]
	s_delay_alu instid0(VALU_DEP_2)
	v_cmp_lt_u64_e64 s2, v[16:17], v[4:5]
	s_and_saveexec_b32 s5, s2
	s_cbranch_execz .LBB303_10
; %bb.9:                                ;   in Loop: Header=BB303_4 Depth=1
	global_load_u16 v16, v[18:19], off
	s_wait_loadcnt 0x0
	v_cvt_f32_f16_e32 v20, v16
.LBB303_10:                             ;   in Loop: Header=BB303_4 Depth=1
	s_wait_xcnt 0x0
	s_or_b32 exec_lo, exec_lo, s5
	v_add_nc_u64_e32 v[16:17], s[18:19], v[10:11]
	v_mov_b32_e32 v21, 0
	s_delay_alu instid0(VALU_DEP_2)
	v_cmp_lt_u64_e32 vcc_lo, v[16:17], v[4:5]
	v_add_nc_u64_e32 v[16:17], s[16:17], v[8:9]
	s_and_saveexec_b32 s5, vcc_lo
	s_cbranch_execnz .LBB303_15
; %bb.11:                               ;   in Loop: Header=BB303_4 Depth=1
	s_or_b32 exec_lo, exec_lo, s5
	s_and_saveexec_b32 s5, s4
	s_cbranch_execnz .LBB303_16
.LBB303_12:                             ;   in Loop: Header=BB303_4 Depth=1
	s_or_b32 exec_lo, exec_lo, s5
	s_and_saveexec_b32 s4, s3
	s_cbranch_execnz .LBB303_17
.LBB303_13:                             ;   in Loop: Header=BB303_4 Depth=1
	s_or_b32 exec_lo, exec_lo, s4
	s_and_saveexec_b32 s3, s2
	s_cbranch_execnz .LBB303_18
.LBB303_14:                             ;   in Loop: Header=BB303_4 Depth=1
	s_or_b32 exec_lo, exec_lo, s3
	s_and_saveexec_b32 s2, vcc_lo
	s_cbranch_execz .LBB303_3
	s_branch .LBB303_19
.LBB303_15:                             ;   in Loop: Header=BB303_4 Depth=1
	global_load_u16 v21, v[16:17], off
	s_wait_loadcnt 0x0
	v_cvt_f32_f16_e32 v21, v21
	s_wait_xcnt 0x0
	s_or_b32 exec_lo, exec_lo, s5
	s_and_saveexec_b32 s5, s4
	s_cbranch_execz .LBB303_12
.LBB303_16:                             ;   in Loop: Header=BB303_4 Depth=1
	v_mul_f32_e32 v24, 0x4b800000, v23
	v_cmp_gt_f32_e64 s4, 0x800000, v23
	s_delay_alu instid0(VALU_DEP_1) | instskip(NEXT) | instid1(VALU_DEP_1)
	v_cndmask_b32_e64 v23, v23, v24, s4
	v_rsq_f32_e32 v23, v23
	v_nop
	s_delay_alu instid0(TRANS32_DEP_1) | instskip(NEXT) | instid1(VALU_DEP_1)
	v_mul_f32_e32 v24, 0x45800000, v23
	v_cndmask_b32_e64 v23, v23, v24, s4
	s_delay_alu instid0(VALU_DEP_1)
	v_cvt_f16_f32_e32 v23, v23
	global_store_b16 v[8:9], v23, off
	s_wait_xcnt 0x0
	s_or_b32 exec_lo, exec_lo, s5
	s_and_saveexec_b32 s4, s3
	s_cbranch_execz .LBB303_13
.LBB303_17:                             ;   in Loop: Header=BB303_4 Depth=1
	v_mul_f32_e32 v23, 0x4b800000, v22
	v_cmp_gt_f32_e64 s3, 0x800000, v22
	s_delay_alu instid0(VALU_DEP_1) | instskip(NEXT) | instid1(VALU_DEP_1)
	v_cndmask_b32_e64 v22, v22, v23, s3
	v_rsq_f32_e32 v22, v22
	v_nop
	s_delay_alu instid0(TRANS32_DEP_1) | instskip(NEXT) | instid1(VALU_DEP_1)
	v_mul_f32_e32 v23, 0x45800000, v22
	v_cndmask_b32_e64 v22, v22, v23, s3
	s_delay_alu instid0(VALU_DEP_1)
	v_cvt_f16_f32_e32 v22, v22
	global_store_b16 v[14:15], v22, off
	s_wait_xcnt 0x0
	s_or_b32 exec_lo, exec_lo, s4
	s_and_saveexec_b32 s3, s2
	s_cbranch_execz .LBB303_14
.LBB303_18:                             ;   in Loop: Header=BB303_4 Depth=1
	v_mul_f32_e32 v22, 0x4b800000, v20
	v_cmp_gt_f32_e64 s2, 0x800000, v20
	s_delay_alu instid0(VALU_DEP_1) | instskip(NEXT) | instid1(VALU_DEP_1)
	v_cndmask_b32_e64 v20, v20, v22, s2
	v_rsq_f32_e32 v20, v20
	v_nop
	s_delay_alu instid0(TRANS32_DEP_1) | instskip(NEXT) | instid1(VALU_DEP_1)
	v_mul_f32_e32 v22, 0x45800000, v20
	v_cndmask_b32_e64 v20, v20, v22, s2
	s_delay_alu instid0(VALU_DEP_1)
	v_cvt_f16_f32_e32 v20, v20
	global_store_b16 v[18:19], v20, off
	s_wait_xcnt 0x0
	s_or_b32 exec_lo, exec_lo, s3
	s_and_saveexec_b32 s2, vcc_lo
	s_cbranch_execz .LBB303_3
.LBB303_19:                             ;   in Loop: Header=BB303_4 Depth=1
	v_mul_f32_e32 v18, 0x4b800000, v21
	v_cmp_gt_f32_e32 vcc_lo, 0x800000, v21
	s_delay_alu instid0(VALU_DEP_2) | instskip(NEXT) | instid1(VALU_DEP_1)
	v_cndmask_b32_e32 v18, v21, v18, vcc_lo
	v_rsq_f32_e32 v18, v18
	v_nop
	s_delay_alu instid0(TRANS32_DEP_1) | instskip(NEXT) | instid1(VALU_DEP_1)
	v_mul_f32_e32 v19, 0x45800000, v18
	v_cndmask_b32_e32 v18, v18, v19, vcc_lo
	s_delay_alu instid0(VALU_DEP_1)
	v_cvt_f16_f32_e32 v18, v18
	global_store_b16 v[16:17], v18, off
	s_branch .LBB303_3
.LBB303_20:
	s_cbranch_execz .LBB303_22
	s_branch .LBB303_25
.LBB303_21:
.LBB303_22:
	v_min_i64 v[2:3], 0x10000, s[10:11]
	v_dual_mov_b32 v5, 0 :: v_dual_lshlrev_b32 v4, 2, v0
	s_mov_b32 s2, exec_lo
	s_delay_alu instid0(VALU_DEP_1)
	v_cmpx_lt_i64_e64 v[4:5], v[2:3]
	s_cbranch_execz .LBB303_25
; %bb.23:
	s_load_b32 s2, s[0:1], 0xd3c
	v_dual_mov_b32 v1, v5 :: v_dual_lshlrev_b32 v4, 3, v0
	s_wait_xcnt 0x0
	s_add_nc_u64 s[0:1], s[6:7], s[8:9]
	s_mov_b32 s5, 0
	s_delay_alu instid0(VALU_DEP_1) | instskip(SKIP_2) | instid1(VALU_DEP_1)
	v_add_nc_u64_e32 v[6:7], s[0:1], v[4:5]
	s_mov_b32 s7, s5
	s_mov_b32 s3, s5
	v_add_nc_u64_e32 v[4:5], 4, v[6:7]
	s_wait_kmcnt 0x0
	s_and_b32 s4, s2, 0xffff
	s_delay_alu instid0(SALU_CYCLE_1)
	s_lshl_b32 s6, s4, 3
.LBB303_24:                             ; =>This Inner Loop Header: Depth=1
	global_load_b64 v[6:7], v[4:5], off offset:-4
	v_add_nc_u64_e32 v[0:1], s[4:5], v[0:1]
	s_wait_loadcnt 0x0
	v_cvt_f32_f16_e32 v8, v6
	v_dual_lshrrev_b32 v9, 16, v7 :: v_dual_lshrrev_b32 v6, 16, v6
	v_cvt_f32_f16_e32 v7, v7
	s_delay_alu instid0(VALU_DEP_3) | instskip(NEXT) | instid1(VALU_DEP_3)
	v_mul_f32_e32 v10, 0x4b800000, v8
	v_cvt_f32_f16_e32 v9, v9
	s_delay_alu instid0(VALU_DEP_4)
	v_cvt_f32_f16_e32 v6, v6
	v_cmp_gt_f32_e32 vcc_lo, 0x800000, v8
	v_mul_f32_e32 v11, 0x4b800000, v7
	v_cmp_gt_f32_e64 s0, 0x800000, v7
	v_cmp_gt_f32_e64 s1, 0x800000, v9
	v_mul_f32_e32 v12, 0x4b800000, v6
	v_cndmask_b32_e32 v8, v8, v10, vcc_lo
	v_mul_f32_e32 v10, 0x4b800000, v9
	v_cmp_gt_f32_e64 s2, 0x800000, v6
	v_cndmask_b32_e64 v7, v7, v11, s0
	s_delay_alu instid0(VALU_DEP_4) | instskip(NEXT) | instid1(VALU_DEP_2)
	v_rsq_f32_e32 v8, v8
	v_dual_cndmask_b32 v9, v9, v10, s1 :: v_dual_cndmask_b32 v6, v6, v12, s2
	s_delay_alu instid0(VALU_DEP_2) | instskip(NEXT) | instid1(VALU_DEP_1)
	v_rsq_f32_e32 v7, v7
	v_rsq_f32_e32 v9, v9
	s_delay_alu instid0(VALU_DEP_1) | instskip(NEXT) | instid1(TRANS32_DEP_3)
	v_rsq_f32_e32 v6, v6
	v_dual_mul_f32 v10, 0x45800000, v8 :: v_dual_mul_f32 v11, 0x45800000, v7
	s_delay_alu instid0(TRANS32_DEP_1) | instskip(NEXT) | instid1(VALU_DEP_2)
	v_dual_mul_f32 v12, 0x45800000, v9 :: v_dual_mul_f32 v13, 0x45800000, v6
	v_dual_cndmask_b32 v8, v8, v10, vcc_lo :: v_dual_cndmask_b32 v10, v7, v11, s0
	s_delay_alu instid0(VALU_DEP_2) | instskip(SKIP_1) | instid1(VALU_DEP_2)
	v_dual_cndmask_b32 v9, v9, v12, s1 :: v_dual_cndmask_b32 v11, v6, v13, s2
	v_lshlrev_b64_e32 v[6:7], 2, v[0:1]
	v_cvt_pk_f16_f32 v9, v10, v9
	s_delay_alu instid0(VALU_DEP_3) | instskip(NEXT) | instid1(VALU_DEP_3)
	v_cvt_pk_f16_f32 v8, v8, v11
	v_cmp_ge_i64_e32 vcc_lo, v[6:7], v[2:3]
	global_store_b64 v[4:5], v[8:9], off offset:-4
	s_wait_xcnt 0x0
	v_add_nc_u64_e32 v[4:5], s[6:7], v[4:5]
	s_or_b32 s3, vcc_lo, s3
	s_delay_alu instid0(SALU_CYCLE_1)
	s_and_not1_b32 exec_lo, exec_lo, s3
	s_cbranch_execnz .LBB303_24
.LBB303_25:
	s_endpgm
	.section	.rodata,"a",@progbits
	.p2align	6, 0x0
	.amdhsa_kernel _ZN2at6native12_GLOBAL__N_125multi_tensor_apply_kernelINS1_18TensorListMetadataILi1EEENS1_14UnaryOpFunctorIN3c104HalfELi1ELi1ELi0EEEJNS0_5RsqrtIfEEEEEvT_T0_DpT1_
		.amdhsa_group_segment_fixed_size 0
		.amdhsa_private_segment_fixed_size 0
		.amdhsa_kernarg_size 3632
		.amdhsa_user_sgpr_count 2
		.amdhsa_user_sgpr_dispatch_ptr 0
		.amdhsa_user_sgpr_queue_ptr 0
		.amdhsa_user_sgpr_kernarg_segment_ptr 1
		.amdhsa_user_sgpr_dispatch_id 0
		.amdhsa_user_sgpr_kernarg_preload_length 0
		.amdhsa_user_sgpr_kernarg_preload_offset 0
		.amdhsa_user_sgpr_private_segment_size 0
		.amdhsa_wavefront_size32 1
		.amdhsa_uses_dynamic_stack 0
		.amdhsa_enable_private_segment 0
		.amdhsa_system_sgpr_workgroup_id_x 1
		.amdhsa_system_sgpr_workgroup_id_y 0
		.amdhsa_system_sgpr_workgroup_id_z 0
		.amdhsa_system_sgpr_workgroup_info 0
		.amdhsa_system_vgpr_workitem_id 0
		.amdhsa_next_free_vgpr 25
		.amdhsa_next_free_sgpr 20
		.amdhsa_named_barrier_count 0
		.amdhsa_reserve_vcc 1
		.amdhsa_float_round_mode_32 0
		.amdhsa_float_round_mode_16_64 0
		.amdhsa_float_denorm_mode_32 3
		.amdhsa_float_denorm_mode_16_64 3
		.amdhsa_fp16_overflow 0
		.amdhsa_memory_ordered 1
		.amdhsa_forward_progress 1
		.amdhsa_inst_pref_size 11
		.amdhsa_round_robin_scheduling 0
		.amdhsa_exception_fp_ieee_invalid_op 0
		.amdhsa_exception_fp_denorm_src 0
		.amdhsa_exception_fp_ieee_div_zero 0
		.amdhsa_exception_fp_ieee_overflow 0
		.amdhsa_exception_fp_ieee_underflow 0
		.amdhsa_exception_fp_ieee_inexact 0
		.amdhsa_exception_int_div_zero 0
	.end_amdhsa_kernel
	.section	.text._ZN2at6native12_GLOBAL__N_125multi_tensor_apply_kernelINS1_18TensorListMetadataILi1EEENS1_14UnaryOpFunctorIN3c104HalfELi1ELi1ELi0EEEJNS0_5RsqrtIfEEEEEvT_T0_DpT1_,"axG",@progbits,_ZN2at6native12_GLOBAL__N_125multi_tensor_apply_kernelINS1_18TensorListMetadataILi1EEENS1_14UnaryOpFunctorIN3c104HalfELi1ELi1ELi0EEEJNS0_5RsqrtIfEEEEEvT_T0_DpT1_,comdat
.Lfunc_end303:
	.size	_ZN2at6native12_GLOBAL__N_125multi_tensor_apply_kernelINS1_18TensorListMetadataILi1EEENS1_14UnaryOpFunctorIN3c104HalfELi1ELi1ELi0EEEJNS0_5RsqrtIfEEEEEvT_T0_DpT1_, .Lfunc_end303-_ZN2at6native12_GLOBAL__N_125multi_tensor_apply_kernelINS1_18TensorListMetadataILi1EEENS1_14UnaryOpFunctorIN3c104HalfELi1ELi1ELi0EEEJNS0_5RsqrtIfEEEEEvT_T0_DpT1_
                                        ; -- End function
	.set _ZN2at6native12_GLOBAL__N_125multi_tensor_apply_kernelINS1_18TensorListMetadataILi1EEENS1_14UnaryOpFunctorIN3c104HalfELi1ELi1ELi0EEEJNS0_5RsqrtIfEEEEEvT_T0_DpT1_.num_vgpr, 25
	.set _ZN2at6native12_GLOBAL__N_125multi_tensor_apply_kernelINS1_18TensorListMetadataILi1EEENS1_14UnaryOpFunctorIN3c104HalfELi1ELi1ELi0EEEJNS0_5RsqrtIfEEEEEvT_T0_DpT1_.num_agpr, 0
	.set _ZN2at6native12_GLOBAL__N_125multi_tensor_apply_kernelINS1_18TensorListMetadataILi1EEENS1_14UnaryOpFunctorIN3c104HalfELi1ELi1ELi0EEEJNS0_5RsqrtIfEEEEEvT_T0_DpT1_.numbered_sgpr, 20
	.set _ZN2at6native12_GLOBAL__N_125multi_tensor_apply_kernelINS1_18TensorListMetadataILi1EEENS1_14UnaryOpFunctorIN3c104HalfELi1ELi1ELi0EEEJNS0_5RsqrtIfEEEEEvT_T0_DpT1_.num_named_barrier, 0
	.set _ZN2at6native12_GLOBAL__N_125multi_tensor_apply_kernelINS1_18TensorListMetadataILi1EEENS1_14UnaryOpFunctorIN3c104HalfELi1ELi1ELi0EEEJNS0_5RsqrtIfEEEEEvT_T0_DpT1_.private_seg_size, 0
	.set _ZN2at6native12_GLOBAL__N_125multi_tensor_apply_kernelINS1_18TensorListMetadataILi1EEENS1_14UnaryOpFunctorIN3c104HalfELi1ELi1ELi0EEEJNS0_5RsqrtIfEEEEEvT_T0_DpT1_.uses_vcc, 1
	.set _ZN2at6native12_GLOBAL__N_125multi_tensor_apply_kernelINS1_18TensorListMetadataILi1EEENS1_14UnaryOpFunctorIN3c104HalfELi1ELi1ELi0EEEJNS0_5RsqrtIfEEEEEvT_T0_DpT1_.uses_flat_scratch, 0
	.set _ZN2at6native12_GLOBAL__N_125multi_tensor_apply_kernelINS1_18TensorListMetadataILi1EEENS1_14UnaryOpFunctorIN3c104HalfELi1ELi1ELi0EEEJNS0_5RsqrtIfEEEEEvT_T0_DpT1_.has_dyn_sized_stack, 0
	.set _ZN2at6native12_GLOBAL__N_125multi_tensor_apply_kernelINS1_18TensorListMetadataILi1EEENS1_14UnaryOpFunctorIN3c104HalfELi1ELi1ELi0EEEJNS0_5RsqrtIfEEEEEvT_T0_DpT1_.has_recursion, 0
	.set _ZN2at6native12_GLOBAL__N_125multi_tensor_apply_kernelINS1_18TensorListMetadataILi1EEENS1_14UnaryOpFunctorIN3c104HalfELi1ELi1ELi0EEEJNS0_5RsqrtIfEEEEEvT_T0_DpT1_.has_indirect_call, 0
	.section	.AMDGPU.csdata,"",@progbits
; Kernel info:
; codeLenInByte = 1404
; TotalNumSgprs: 22
; NumVgprs: 25
; ScratchSize: 0
; MemoryBound: 0
; FloatMode: 240
; IeeeMode: 1
; LDSByteSize: 0 bytes/workgroup (compile time only)
; SGPRBlocks: 0
; VGPRBlocks: 1
; NumSGPRsForWavesPerEU: 22
; NumVGPRsForWavesPerEU: 25
; NamedBarCnt: 0
; Occupancy: 16
; WaveLimiterHint : 0
; COMPUTE_PGM_RSRC2:SCRATCH_EN: 0
; COMPUTE_PGM_RSRC2:USER_SGPR: 2
; COMPUTE_PGM_RSRC2:TRAP_HANDLER: 0
; COMPUTE_PGM_RSRC2:TGID_X_EN: 1
; COMPUTE_PGM_RSRC2:TGID_Y_EN: 0
; COMPUTE_PGM_RSRC2:TGID_Z_EN: 0
; COMPUTE_PGM_RSRC2:TIDIG_COMP_CNT: 0
	.section	.text._ZN2at6native12_GLOBAL__N_125multi_tensor_apply_kernelINS1_18TensorListMetadataILi1EEENS1_14UnaryOpFunctorIN3c108BFloat16ELi1ELi1ELi0EEEJNS0_5RsqrtIfEEEEEvT_T0_DpT1_,"axG",@progbits,_ZN2at6native12_GLOBAL__N_125multi_tensor_apply_kernelINS1_18TensorListMetadataILi1EEENS1_14UnaryOpFunctorIN3c108BFloat16ELi1ELi1ELi0EEEJNS0_5RsqrtIfEEEEEvT_T0_DpT1_,comdat
	.globl	_ZN2at6native12_GLOBAL__N_125multi_tensor_apply_kernelINS1_18TensorListMetadataILi1EEENS1_14UnaryOpFunctorIN3c108BFloat16ELi1ELi1ELi0EEEJNS0_5RsqrtIfEEEEEvT_T0_DpT1_ ; -- Begin function _ZN2at6native12_GLOBAL__N_125multi_tensor_apply_kernelINS1_18TensorListMetadataILi1EEENS1_14UnaryOpFunctorIN3c108BFloat16ELi1ELi1ELi0EEEJNS0_5RsqrtIfEEEEEvT_T0_DpT1_
	.p2align	8
	.type	_ZN2at6native12_GLOBAL__N_125multi_tensor_apply_kernelINS1_18TensorListMetadataILi1EEENS1_14UnaryOpFunctorIN3c108BFloat16ELi1ELi1ELi0EEEJNS0_5RsqrtIfEEEEEvT_T0_DpT1_,@function
_ZN2at6native12_GLOBAL__N_125multi_tensor_apply_kernelINS1_18TensorListMetadataILi1EEENS1_14UnaryOpFunctorIN3c108BFloat16ELi1ELi1ELi0EEEJNS0_5RsqrtIfEEEEEvT_T0_DpT1_: ; @_ZN2at6native12_GLOBAL__N_125multi_tensor_apply_kernelINS1_18TensorListMetadataILi1EEENS1_14UnaryOpFunctorIN3c108BFloat16ELi1ELi1ELi0EEEJNS0_5RsqrtIfEEEEEvT_T0_DpT1_
; %bb.0:
	s_bfe_u32 s2, ttmp6, 0x4000c
	s_and_b32 s3, ttmp6, 15
	s_add_co_i32 s2, s2, 1
	s_getreg_b32 s4, hwreg(HW_REG_IB_STS2, 6, 4)
	s_mul_i32 s2, ttmp9, s2
	s_delay_alu instid0(SALU_CYCLE_1)
	s_add_co_i32 s3, s3, s2
	s_cmp_eq_u32 s4, 0
	s_cselect_b32 s2, ttmp9, s3
	s_mov_b32 s3, 0
	s_load_u8 s8, s[0:1], s2 offset:0x6e0
	s_add_nc_u64 s[4:5], s[0:1], s[2:3]
	s_mul_u64 s[6:7], s[2:3], 3
	s_delay_alu instid0(SALU_CYCLE_1)
	s_add_nc_u64 s[4:5], s[4:5], s[6:7]
	s_load_b32 s10, s[4:5], 0x820
	s_wait_kmcnt 0x0
	s_clause 0x1
	s_load_b64 s[6:7], s[0:1], s8 offset:0x0 scale_offset
	s_load_b64 s[12:13], s[0:1], s8 offset:0x370 scale_offset
	s_ashr_i32 s11, s10, 31
	s_wait_kmcnt 0x0
	s_and_b64 s[4:5], s[6:7], 7
	s_and_b32 s2, s12, 3
	s_lshl_b64 s[8:9], s[10:11], 17
	s_or_b64 s[2:3], s[4:5], s[2:3]
	s_lshl_b64 s[4:5], s[10:11], 16
	s_cmp_eq_u64 s[2:3], 0
	s_sub_nc_u64 s[10:11], s[12:13], s[4:5]
	s_cbranch_scc1 .LBB304_21
; %bb.1:
	v_cmp_lt_i64_e64 s2, s[10:11], 1
	s_and_b32 vcc_lo, exec_lo, s2
	s_cbranch_vccnz .LBB304_20
; %bb.2:
	s_load_b32 s2, s[0:1], 0xd3c
	v_min_i64 v[2:3], 0x10000, s[10:11]
	v_min_u64 v[4:5], 0x10000, s[10:11]
	v_dual_mov_b32 v1, 0 :: v_dual_lshlrev_b32 v8, 1, v0
	s_mov_b32 s3, 0
	s_add_nc_u64 s[4:5], s[6:7], s[8:9]
	s_mov_b32 s15, s3
	s_delay_alu instid0(VALU_DEP_1)
	v_mov_b32_e32 v15, v1
	s_mov_b32 s17, s3
	s_mov_b32 s13, s3
	s_mov_b64 s[18:19], 0
	s_wait_kmcnt 0x0
	s_and_b32 s2, s2, 0xffff
	s_delay_alu instid0(SALU_CYCLE_1)
	v_add_nc_u64_e32 v[6:7], s[2:3], v[0:1]
	v_mov_b32_e32 v9, v1
	s_lshl_b32 s14, s2, 1
	s_mul_i32 s16, s2, 3
	v_add_nc_u64_e32 v[12:13], s[14:15], v[0:1]
	v_add_nc_u64_e32 v[10:11], s[16:17], v[0:1]
	s_lshl_b32 s12, s2, 2
	v_lshlrev_b32_e32 v14, 1, v6
	v_add_nc_u64_e32 v[8:9], s[4:5], v[8:9]
	s_lshl_b32 s14, s2, 3
	s_mul_u64 s[16:17], s[2:3], 6
	s_delay_alu instid0(VALU_DEP_2)
	v_add_nc_u64_e32 v[14:15], s[4:5], v[14:15]
	s_branch .LBB304_4
.LBB304_3:                              ;   in Loop: Header=BB304_4 Depth=1
	s_wait_xcnt 0x0
	s_or_b32 exec_lo, exec_lo, s2
	s_add_nc_u64 s[18:19], s[18:19], s[12:13]
	v_add_nc_u64_e32 v[8:9], s[14:15], v[8:9]
	v_cmp_lt_i64_e32 vcc_lo, s[18:19], v[2:3]
	v_add_nc_u64_e32 v[14:15], s[14:15], v[14:15]
	s_cbranch_vccz .LBB304_20
.LBB304_4:                              ; =>This Inner Loop Header: Depth=1
	v_add_nc_u64_e32 v[16:17], s[18:19], v[0:1]
	v_mov_b32_e32 v23, 0
	s_delay_alu instid0(VALU_DEP_2)
	v_cmp_lt_u64_e64 s4, v[16:17], v[4:5]
	s_and_saveexec_b32 s2, s4
	s_cbranch_execz .LBB304_6
; %bb.5:                                ;   in Loop: Header=BB304_4 Depth=1
	global_load_u16 v16, v[8:9], off
	s_wait_loadcnt 0x0
	v_lshlrev_b32_e32 v23, 16, v16
.LBB304_6:                              ;   in Loop: Header=BB304_4 Depth=1
	s_wait_xcnt 0x0
	s_or_b32 exec_lo, exec_lo, s2
	v_add_nc_u64_e32 v[16:17], s[18:19], v[6:7]
	v_dual_mov_b32 v20, 0 :: v_dual_mov_b32 v22, 0
	s_delay_alu instid0(VALU_DEP_2)
	v_cmp_lt_u64_e64 s3, v[16:17], v[4:5]
	s_and_saveexec_b32 s2, s3
	s_cbranch_execz .LBB304_8
; %bb.7:                                ;   in Loop: Header=BB304_4 Depth=1
	global_load_u16 v16, v[14:15], off
	s_wait_loadcnt 0x0
	v_lshlrev_b32_e32 v22, 16, v16
.LBB304_8:                              ;   in Loop: Header=BB304_4 Depth=1
	s_wait_xcnt 0x0
	s_or_b32 exec_lo, exec_lo, s2
	v_add_nc_u64_e32 v[16:17], s[18:19], v[12:13]
	v_add_nc_u64_e32 v[18:19], s[12:13], v[8:9]
	s_delay_alu instid0(VALU_DEP_2)
	v_cmp_lt_u64_e64 s2, v[16:17], v[4:5]
	s_and_saveexec_b32 s5, s2
	s_cbranch_execz .LBB304_10
; %bb.9:                                ;   in Loop: Header=BB304_4 Depth=1
	global_load_u16 v16, v[18:19], off
	s_wait_loadcnt 0x0
	v_lshlrev_b32_e32 v20, 16, v16
.LBB304_10:                             ;   in Loop: Header=BB304_4 Depth=1
	s_wait_xcnt 0x0
	s_or_b32 exec_lo, exec_lo, s5
	v_add_nc_u64_e32 v[16:17], s[18:19], v[10:11]
	v_mov_b32_e32 v21, 0
	s_delay_alu instid0(VALU_DEP_2)
	v_cmp_lt_u64_e32 vcc_lo, v[16:17], v[4:5]
	v_add_nc_u64_e32 v[16:17], s[16:17], v[8:9]
	s_and_saveexec_b32 s5, vcc_lo
	s_cbranch_execnz .LBB304_15
; %bb.11:                               ;   in Loop: Header=BB304_4 Depth=1
	s_or_b32 exec_lo, exec_lo, s5
	s_and_saveexec_b32 s5, s4
	s_cbranch_execnz .LBB304_16
.LBB304_12:                             ;   in Loop: Header=BB304_4 Depth=1
	s_or_b32 exec_lo, exec_lo, s5
	s_and_saveexec_b32 s4, s3
	s_cbranch_execnz .LBB304_17
.LBB304_13:                             ;   in Loop: Header=BB304_4 Depth=1
	s_or_b32 exec_lo, exec_lo, s4
	s_and_saveexec_b32 s3, s2
	s_cbranch_execnz .LBB304_18
.LBB304_14:                             ;   in Loop: Header=BB304_4 Depth=1
	s_or_b32 exec_lo, exec_lo, s3
	s_and_saveexec_b32 s2, vcc_lo
	s_cbranch_execz .LBB304_3
	s_branch .LBB304_19
.LBB304_15:                             ;   in Loop: Header=BB304_4 Depth=1
	global_load_u16 v21, v[16:17], off
	s_wait_loadcnt 0x0
	v_lshlrev_b32_e32 v21, 16, v21
	s_wait_xcnt 0x0
	s_or_b32 exec_lo, exec_lo, s5
	s_and_saveexec_b32 s5, s4
	s_cbranch_execz .LBB304_12
.LBB304_16:                             ;   in Loop: Header=BB304_4 Depth=1
	v_mul_f32_e32 v24, 0x4b800000, v23
	v_cmp_gt_f32_e64 s4, 0x800000, v23
	s_delay_alu instid0(VALU_DEP_1) | instskip(NEXT) | instid1(VALU_DEP_1)
	v_cndmask_b32_e64 v23, v23, v24, s4
	v_rsq_f32_e32 v23, v23
	v_nop
	s_delay_alu instid0(TRANS32_DEP_1) | instskip(NEXT) | instid1(VALU_DEP_1)
	v_mul_f32_e32 v24, 0x45800000, v23
	v_cndmask_b32_e64 v23, v23, v24, s4
	s_delay_alu instid0(VALU_DEP_1) | instskip(SKIP_1) | instid1(VALU_DEP_2)
	v_bfe_u32 v24, v23, 16, 1
	v_cmp_o_f32_e64 s4, v23, v23
	v_add3_u32 v24, v23, v24, 0x7fff
	s_delay_alu instid0(VALU_DEP_1) | instskip(NEXT) | instid1(VALU_DEP_1)
	v_lshrrev_b32_e32 v24, 16, v24
	v_cndmask_b32_e64 v23, 0x7fc0, v24, s4
	global_store_b16 v[8:9], v23, off
	s_wait_xcnt 0x0
	s_or_b32 exec_lo, exec_lo, s5
	s_and_saveexec_b32 s4, s3
	s_cbranch_execz .LBB304_13
.LBB304_17:                             ;   in Loop: Header=BB304_4 Depth=1
	v_mul_f32_e32 v23, 0x4b800000, v22
	v_cmp_gt_f32_e64 s3, 0x800000, v22
	s_delay_alu instid0(VALU_DEP_1) | instskip(NEXT) | instid1(VALU_DEP_1)
	v_cndmask_b32_e64 v22, v22, v23, s3
	v_rsq_f32_e32 v22, v22
	v_nop
	s_delay_alu instid0(TRANS32_DEP_1) | instskip(NEXT) | instid1(VALU_DEP_1)
	v_mul_f32_e32 v23, 0x45800000, v22
	v_cndmask_b32_e64 v22, v22, v23, s3
	s_delay_alu instid0(VALU_DEP_1) | instskip(SKIP_1) | instid1(VALU_DEP_2)
	v_bfe_u32 v23, v22, 16, 1
	v_cmp_o_f32_e64 s3, v22, v22
	v_add3_u32 v23, v22, v23, 0x7fff
	s_delay_alu instid0(VALU_DEP_1) | instskip(NEXT) | instid1(VALU_DEP_1)
	v_lshrrev_b32_e32 v23, 16, v23
	v_cndmask_b32_e64 v22, 0x7fc0, v23, s3
	global_store_b16 v[14:15], v22, off
	s_wait_xcnt 0x0
	s_or_b32 exec_lo, exec_lo, s4
	s_and_saveexec_b32 s3, s2
	s_cbranch_execz .LBB304_14
.LBB304_18:                             ;   in Loop: Header=BB304_4 Depth=1
	v_mul_f32_e32 v22, 0x4b800000, v20
	v_cmp_gt_f32_e64 s2, 0x800000, v20
	s_delay_alu instid0(VALU_DEP_1) | instskip(NEXT) | instid1(VALU_DEP_1)
	v_cndmask_b32_e64 v20, v20, v22, s2
	v_rsq_f32_e32 v20, v20
	v_nop
	s_delay_alu instid0(TRANS32_DEP_1) | instskip(NEXT) | instid1(VALU_DEP_1)
	v_mul_f32_e32 v22, 0x45800000, v20
	v_cndmask_b32_e64 v20, v20, v22, s2
	s_delay_alu instid0(VALU_DEP_1) | instskip(SKIP_1) | instid1(VALU_DEP_2)
	v_bfe_u32 v22, v20, 16, 1
	v_cmp_o_f32_e64 s2, v20, v20
	v_add3_u32 v22, v20, v22, 0x7fff
	s_delay_alu instid0(VALU_DEP_1) | instskip(NEXT) | instid1(VALU_DEP_1)
	v_lshrrev_b32_e32 v22, 16, v22
	v_cndmask_b32_e64 v20, 0x7fc0, v22, s2
	global_store_b16 v[18:19], v20, off
	s_wait_xcnt 0x0
	s_or_b32 exec_lo, exec_lo, s3
	s_and_saveexec_b32 s2, vcc_lo
	s_cbranch_execz .LBB304_3
.LBB304_19:                             ;   in Loop: Header=BB304_4 Depth=1
	v_mul_f32_e32 v18, 0x4b800000, v21
	v_cmp_gt_f32_e32 vcc_lo, 0x800000, v21
	s_delay_alu instid0(VALU_DEP_2) | instskip(NEXT) | instid1(VALU_DEP_1)
	v_cndmask_b32_e32 v18, v21, v18, vcc_lo
	v_rsq_f32_e32 v18, v18
	v_nop
	s_delay_alu instid0(TRANS32_DEP_1) | instskip(NEXT) | instid1(VALU_DEP_1)
	v_mul_f32_e32 v19, 0x45800000, v18
	v_cndmask_b32_e32 v18, v18, v19, vcc_lo
	s_delay_alu instid0(VALU_DEP_1) | instskip(SKIP_1) | instid1(VALU_DEP_2)
	v_bfe_u32 v19, v18, 16, 1
	v_cmp_o_f32_e32 vcc_lo, v18, v18
	v_add3_u32 v19, v18, v19, 0x7fff
	s_delay_alu instid0(VALU_DEP_1) | instskip(NEXT) | instid1(VALU_DEP_1)
	v_lshrrev_b32_e32 v19, 16, v19
	v_cndmask_b32_e32 v18, 0x7fc0, v19, vcc_lo
	global_store_b16 v[16:17], v18, off
	s_branch .LBB304_3
.LBB304_20:
	s_cbranch_execz .LBB304_22
	s_branch .LBB304_25
.LBB304_21:
.LBB304_22:
	v_min_i64 v[2:3], 0x10000, s[10:11]
	v_dual_mov_b32 v5, 0 :: v_dual_lshlrev_b32 v4, 2, v0
	s_mov_b32 s2, exec_lo
	s_delay_alu instid0(VALU_DEP_1)
	v_cmpx_lt_i64_e64 v[4:5], v[2:3]
	s_cbranch_execz .LBB304_25
; %bb.23:
	s_load_b32 s2, s[0:1], 0xd3c
	v_dual_mov_b32 v1, v5 :: v_dual_lshlrev_b32 v4, 3, v0
	s_wait_xcnt 0x0
	s_add_nc_u64 s[0:1], s[6:7], s[8:9]
	s_mov_b32 s5, 0
	s_delay_alu instid0(VALU_DEP_1) | instskip(SKIP_4) | instid1(SALU_CYCLE_1)
	v_add_nc_u64_e32 v[4:5], s[0:1], v[4:5]
	s_mov_b32 s7, s5
	s_mov_b32 s3, s5
	s_wait_kmcnt 0x0
	s_and_b32 s4, s2, 0xffff
	s_lshl_b32 s6, s4, 3
.LBB304_24:                             ; =>This Inner Loop Header: Depth=1
	global_load_b64 v[6:7], v[4:5], off
	v_add_nc_u64_e32 v[0:1], s[4:5], v[0:1]
	s_wait_loadcnt 0x0
	v_lshlrev_b32_e32 v8, 16, v6
	v_alignbit_b32 v9, v7, v6, 16
	v_and_b32_e32 v6, 0xffff0000, v6
	v_and_b32_e32 v7, 0xffff0000, v7
	s_delay_alu instid0(VALU_DEP_3) | instskip(NEXT) | instid1(VALU_DEP_3)
	v_and_b32_e32 v9, 0xffff0000, v9
	v_dual_mul_f32 v11, 0x4b800000, v6 :: v_dual_mul_f32 v10, 0x4b800000, v8
	v_cmp_gt_f32_e32 vcc_lo, 0x800000, v8
	v_cmp_gt_f32_e64 s0, 0x800000, v6
	s_delay_alu instid0(VALU_DEP_4) | instskip(SKIP_1) | instid1(VALU_DEP_3)
	v_cmp_gt_f32_e64 s2, 0x800000, v9
	v_cmp_gt_f32_e64 s1, 0x800000, v7
	v_dual_cndmask_b32 v8, v8, v10, vcc_lo :: v_dual_cndmask_b32 v6, v6, v11, s0
	v_mul_f32_e32 v10, 0x4b800000, v9
	s_delay_alu instid0(VALU_DEP_2) | instskip(NEXT) | instid1(VALU_DEP_2)
	v_rsq_f32_e32 v8, v8
	v_rsq_f32_e32 v6, v6
	s_delay_alu instid0(TRANS32_DEP_2) | instskip(NEXT) | instid1(VALU_DEP_1)
	v_mul_f32_e32 v11, 0x45800000, v8
	v_dual_cndmask_b32 v9, v9, v10, s2 :: v_dual_cndmask_b32 v8, v8, v11, vcc_lo
	s_delay_alu instid0(VALU_DEP_1) | instskip(NEXT) | instid1(TRANS32_DEP_2)
	v_rsq_f32_e32 v9, v9
	v_mul_f32_e32 v10, 0x45800000, v6
	s_delay_alu instid0(VALU_DEP_2) | instskip(NEXT) | instid1(TRANS32_DEP_1)
	v_bfe_u32 v11, v8, 16, 1
	v_mul_f32_e32 v13, 0x45800000, v9
	s_delay_alu instid0(VALU_DEP_3) | instskip(NEXT) | instid1(VALU_DEP_3)
	v_cndmask_b32_e64 v6, v6, v10, s0
	v_add3_u32 v11, v8, v11, 0x7fff
	s_delay_alu instid0(VALU_DEP_3) | instskip(NEXT) | instid1(VALU_DEP_3)
	v_cndmask_b32_e64 v9, v9, v13, s2
	v_bfe_u32 v10, v6, 16, 1
	v_cmp_o_f32_e32 vcc_lo, v6, v6
	s_delay_alu instid0(VALU_DEP_4) | instskip(NEXT) | instid1(VALU_DEP_4)
	v_lshrrev_b32_e32 v11, 16, v11
	v_bfe_u32 v13, v9, 16, 1
	s_delay_alu instid0(VALU_DEP_4) | instskip(NEXT) | instid1(VALU_DEP_2)
	v_add3_u32 v10, v6, v10, 0x7fff
	v_add3_u32 v13, v9, v13, 0x7fff
	v_mul_f32_e32 v12, 0x4b800000, v7
	s_delay_alu instid0(VALU_DEP_3) | instskip(NEXT) | instid1(VALU_DEP_2)
	v_and_b32_e32 v10, 0xffff0000, v10
	v_dual_lshrrev_b32 v13, 16, v13 :: v_dual_cndmask_b32 v7, v7, v12, s1
	s_delay_alu instid0(VALU_DEP_2) | instskip(SKIP_1) | instid1(VALU_DEP_3)
	v_cndmask_b32_e32 v6, 0x7fc00000, v10, vcc_lo
	v_cmp_o_f32_e32 vcc_lo, v8, v8
	v_rsq_f32_e32 v7, v7
	v_cndmask_b32_e32 v8, 0x7fc0, v11, vcc_lo
	s_delay_alu instid0(TRANS32_DEP_1) | instskip(NEXT) | instid1(VALU_DEP_1)
	v_mul_f32_e32 v12, 0x45800000, v7
	v_dual_cndmask_b32 v7, v7, v12, s1 :: v_dual_bitop2_b32 v8, v8, v6 bitop3:0x54
	s_delay_alu instid0(VALU_DEP_1) | instskip(NEXT) | instid1(VALU_DEP_2)
	v_or3_b32 v8, v8, 0, 0
	v_bfe_u32 v12, v7, 16, 1
	v_cmp_o_f32_e32 vcc_lo, v7, v7
	s_delay_alu instid0(VALU_DEP_2) | instskip(SKIP_1) | instid1(VALU_DEP_2)
	v_add3_u32 v12, v7, v12, 0x7fff
	v_lshlrev_b64_e32 v[6:7], 2, v[0:1]
	v_and_b32_e32 v12, 0xffff0000, v12
	s_delay_alu instid0(VALU_DEP_1) | instskip(SKIP_3) | instid1(VALU_DEP_2)
	v_cndmask_b32_e32 v10, 0x7fc00000, v12, vcc_lo
	v_cmp_o_f32_e32 vcc_lo, v9, v9
	v_cndmask_b32_e32 v9, 0x7fc0, v13, vcc_lo
	v_cmp_ge_i64_e32 vcc_lo, v[6:7], v[2:3]
	v_or3_b32 v9, 0, v9, v10
	s_or_b32 s3, vcc_lo, s3
	global_store_b64 v[4:5], v[8:9], off
	s_wait_xcnt 0x0
	v_add_nc_u64_e32 v[4:5], s[6:7], v[4:5]
	s_and_not1_b32 exec_lo, exec_lo, s3
	s_cbranch_execnz .LBB304_24
.LBB304_25:
	s_endpgm
	.section	.rodata,"a",@progbits
	.p2align	6, 0x0
	.amdhsa_kernel _ZN2at6native12_GLOBAL__N_125multi_tensor_apply_kernelINS1_18TensorListMetadataILi1EEENS1_14UnaryOpFunctorIN3c108BFloat16ELi1ELi1ELi0EEEJNS0_5RsqrtIfEEEEEvT_T0_DpT1_
		.amdhsa_group_segment_fixed_size 0
		.amdhsa_private_segment_fixed_size 0
		.amdhsa_kernarg_size 3632
		.amdhsa_user_sgpr_count 2
		.amdhsa_user_sgpr_dispatch_ptr 0
		.amdhsa_user_sgpr_queue_ptr 0
		.amdhsa_user_sgpr_kernarg_segment_ptr 1
		.amdhsa_user_sgpr_dispatch_id 0
		.amdhsa_user_sgpr_kernarg_preload_length 0
		.amdhsa_user_sgpr_kernarg_preload_offset 0
		.amdhsa_user_sgpr_private_segment_size 0
		.amdhsa_wavefront_size32 1
		.amdhsa_uses_dynamic_stack 0
		.amdhsa_enable_private_segment 0
		.amdhsa_system_sgpr_workgroup_id_x 1
		.amdhsa_system_sgpr_workgroup_id_y 0
		.amdhsa_system_sgpr_workgroup_id_z 0
		.amdhsa_system_sgpr_workgroup_info 0
		.amdhsa_system_vgpr_workitem_id 0
		.amdhsa_next_free_vgpr 25
		.amdhsa_next_free_sgpr 20
		.amdhsa_named_barrier_count 0
		.amdhsa_reserve_vcc 1
		.amdhsa_float_round_mode_32 0
		.amdhsa_float_round_mode_16_64 0
		.amdhsa_float_denorm_mode_32 3
		.amdhsa_float_denorm_mode_16_64 3
		.amdhsa_fp16_overflow 0
		.amdhsa_memory_ordered 1
		.amdhsa_forward_progress 1
		.amdhsa_inst_pref_size 14
		.amdhsa_round_robin_scheduling 0
		.amdhsa_exception_fp_ieee_invalid_op 0
		.amdhsa_exception_fp_denorm_src 0
		.amdhsa_exception_fp_ieee_div_zero 0
		.amdhsa_exception_fp_ieee_overflow 0
		.amdhsa_exception_fp_ieee_underflow 0
		.amdhsa_exception_fp_ieee_inexact 0
		.amdhsa_exception_int_div_zero 0
	.end_amdhsa_kernel
	.section	.text._ZN2at6native12_GLOBAL__N_125multi_tensor_apply_kernelINS1_18TensorListMetadataILi1EEENS1_14UnaryOpFunctorIN3c108BFloat16ELi1ELi1ELi0EEEJNS0_5RsqrtIfEEEEEvT_T0_DpT1_,"axG",@progbits,_ZN2at6native12_GLOBAL__N_125multi_tensor_apply_kernelINS1_18TensorListMetadataILi1EEENS1_14UnaryOpFunctorIN3c108BFloat16ELi1ELi1ELi0EEEJNS0_5RsqrtIfEEEEEvT_T0_DpT1_,comdat
.Lfunc_end304:
	.size	_ZN2at6native12_GLOBAL__N_125multi_tensor_apply_kernelINS1_18TensorListMetadataILi1EEENS1_14UnaryOpFunctorIN3c108BFloat16ELi1ELi1ELi0EEEJNS0_5RsqrtIfEEEEEvT_T0_DpT1_, .Lfunc_end304-_ZN2at6native12_GLOBAL__N_125multi_tensor_apply_kernelINS1_18TensorListMetadataILi1EEENS1_14UnaryOpFunctorIN3c108BFloat16ELi1ELi1ELi0EEEJNS0_5RsqrtIfEEEEEvT_T0_DpT1_
                                        ; -- End function
	.set _ZN2at6native12_GLOBAL__N_125multi_tensor_apply_kernelINS1_18TensorListMetadataILi1EEENS1_14UnaryOpFunctorIN3c108BFloat16ELi1ELi1ELi0EEEJNS0_5RsqrtIfEEEEEvT_T0_DpT1_.num_vgpr, 25
	.set _ZN2at6native12_GLOBAL__N_125multi_tensor_apply_kernelINS1_18TensorListMetadataILi1EEENS1_14UnaryOpFunctorIN3c108BFloat16ELi1ELi1ELi0EEEJNS0_5RsqrtIfEEEEEvT_T0_DpT1_.num_agpr, 0
	.set _ZN2at6native12_GLOBAL__N_125multi_tensor_apply_kernelINS1_18TensorListMetadataILi1EEENS1_14UnaryOpFunctorIN3c108BFloat16ELi1ELi1ELi0EEEJNS0_5RsqrtIfEEEEEvT_T0_DpT1_.numbered_sgpr, 20
	.set _ZN2at6native12_GLOBAL__N_125multi_tensor_apply_kernelINS1_18TensorListMetadataILi1EEENS1_14UnaryOpFunctorIN3c108BFloat16ELi1ELi1ELi0EEEJNS0_5RsqrtIfEEEEEvT_T0_DpT1_.num_named_barrier, 0
	.set _ZN2at6native12_GLOBAL__N_125multi_tensor_apply_kernelINS1_18TensorListMetadataILi1EEENS1_14UnaryOpFunctorIN3c108BFloat16ELi1ELi1ELi0EEEJNS0_5RsqrtIfEEEEEvT_T0_DpT1_.private_seg_size, 0
	.set _ZN2at6native12_GLOBAL__N_125multi_tensor_apply_kernelINS1_18TensorListMetadataILi1EEENS1_14UnaryOpFunctorIN3c108BFloat16ELi1ELi1ELi0EEEJNS0_5RsqrtIfEEEEEvT_T0_DpT1_.uses_vcc, 1
	.set _ZN2at6native12_GLOBAL__N_125multi_tensor_apply_kernelINS1_18TensorListMetadataILi1EEENS1_14UnaryOpFunctorIN3c108BFloat16ELi1ELi1ELi0EEEJNS0_5RsqrtIfEEEEEvT_T0_DpT1_.uses_flat_scratch, 0
	.set _ZN2at6native12_GLOBAL__N_125multi_tensor_apply_kernelINS1_18TensorListMetadataILi1EEENS1_14UnaryOpFunctorIN3c108BFloat16ELi1ELi1ELi0EEEJNS0_5RsqrtIfEEEEEvT_T0_DpT1_.has_dyn_sized_stack, 0
	.set _ZN2at6native12_GLOBAL__N_125multi_tensor_apply_kernelINS1_18TensorListMetadataILi1EEENS1_14UnaryOpFunctorIN3c108BFloat16ELi1ELi1ELi0EEEJNS0_5RsqrtIfEEEEEvT_T0_DpT1_.has_recursion, 0
	.set _ZN2at6native12_GLOBAL__N_125multi_tensor_apply_kernelINS1_18TensorListMetadataILi1EEENS1_14UnaryOpFunctorIN3c108BFloat16ELi1ELi1ELi0EEEJNS0_5RsqrtIfEEEEEvT_T0_DpT1_.has_indirect_call, 0
	.section	.AMDGPU.csdata,"",@progbits
; Kernel info:
; codeLenInByte = 1768
; TotalNumSgprs: 22
; NumVgprs: 25
; ScratchSize: 0
; MemoryBound: 0
; FloatMode: 240
; IeeeMode: 1
; LDSByteSize: 0 bytes/workgroup (compile time only)
; SGPRBlocks: 0
; VGPRBlocks: 1
; NumSGPRsForWavesPerEU: 22
; NumVGPRsForWavesPerEU: 25
; NamedBarCnt: 0
; Occupancy: 16
; WaveLimiterHint : 0
; COMPUTE_PGM_RSRC2:SCRATCH_EN: 0
; COMPUTE_PGM_RSRC2:USER_SGPR: 2
; COMPUTE_PGM_RSRC2:TRAP_HANDLER: 0
; COMPUTE_PGM_RSRC2:TGID_X_EN: 1
; COMPUTE_PGM_RSRC2:TGID_Y_EN: 0
; COMPUTE_PGM_RSRC2:TGID_Z_EN: 0
; COMPUTE_PGM_RSRC2:TIDIG_COMP_CNT: 0
	.section	.text._ZN2at6native12_GLOBAL__N_125multi_tensor_apply_kernelINS1_18TensorListMetadataILi2EEENS1_14UnaryOpFunctorIhLi2ELi1ELi1EEEJSt6negateIhEEEEvT_T0_DpT1_,"axG",@progbits,_ZN2at6native12_GLOBAL__N_125multi_tensor_apply_kernelINS1_18TensorListMetadataILi2EEENS1_14UnaryOpFunctorIhLi2ELi1ELi1EEEJSt6negateIhEEEEvT_T0_DpT1_,comdat
	.globl	_ZN2at6native12_GLOBAL__N_125multi_tensor_apply_kernelINS1_18TensorListMetadataILi2EEENS1_14UnaryOpFunctorIhLi2ELi1ELi1EEEJSt6negateIhEEEEvT_T0_DpT1_ ; -- Begin function _ZN2at6native12_GLOBAL__N_125multi_tensor_apply_kernelINS1_18TensorListMetadataILi2EEENS1_14UnaryOpFunctorIhLi2ELi1ELi1EEEJSt6negateIhEEEEvT_T0_DpT1_
	.p2align	8
	.type	_ZN2at6native12_GLOBAL__N_125multi_tensor_apply_kernelINS1_18TensorListMetadataILi2EEENS1_14UnaryOpFunctorIhLi2ELi1ELi1EEEJSt6negateIhEEEEvT_T0_DpT1_,@function
_ZN2at6native12_GLOBAL__N_125multi_tensor_apply_kernelINS1_18TensorListMetadataILi2EEENS1_14UnaryOpFunctorIhLi2ELi1ELi1EEEJSt6negateIhEEEEvT_T0_DpT1_: ; @_ZN2at6native12_GLOBAL__N_125multi_tensor_apply_kernelINS1_18TensorListMetadataILi2EEENS1_14UnaryOpFunctorIhLi2ELi1ELi1EEEJSt6negateIhEEEEvT_T0_DpT1_
; %bb.0:
	s_bfe_u32 s2, ttmp6, 0x4000c
	s_and_b32 s3, ttmp6, 15
	s_add_co_i32 s2, s2, 1
	s_getreg_b32 s4, hwreg(HW_REG_IB_STS2, 6, 4)
	s_mul_i32 s2, ttmp9, s2
	s_delay_alu instid0(SALU_CYCLE_1)
	s_add_co_i32 s3, s3, s2
	s_cmp_eq_u32 s4, 0
	s_cselect_b32 s2, ttmp9, s3
	s_mov_b32 s3, 0
	s_load_u8 s9, s[0:1], s2 offset:0x600
	s_add_nc_u64 s[4:5], s[0:1], s[2:3]
	s_wait_xcnt 0x0
	s_mul_u64 s[2:3], s[2:3], 3
	s_delay_alu instid0(SALU_CYCLE_1)
	s_add_nc_u64 s[6:7], s[4:5], s[2:3]
	s_load_b32 s8, s[6:7], 0x740
	s_wait_kmcnt 0x0
	s_clause 0x2
	s_load_b64 s[10:11], s[0:1], s9 offset:0x400 scale_offset
	s_load_b64 s[2:3], s[0:1], s9 offset:0x0 scale_offset
	;; [unrolled: 1-line block ×3, first 2 shown]
	s_wait_xcnt 0x0
	s_ashr_i32 s9, s8, 31
	s_delay_alu instid0(SALU_CYCLE_1) | instskip(SKIP_3) | instid1(SALU_CYCLE_1)
	s_lshl_b64 s[6:7], s[8:9], 16
	s_wait_kmcnt 0x0
	s_add_nc_u64 s[8:9], s[2:3], s[6:7]
	s_or_b32 s9, s10, s4
	s_or_b32 s8, s9, s8
	s_delay_alu instid0(SALU_CYCLE_1)
	s_and_b32 s12, s8, 3
	s_sub_nc_u64 s[8:9], s[10:11], s[6:7]
	s_cmp_eq_u32 s12, 0
	s_mov_b32 s10, -1
	s_cbranch_scc0 .LBB305_5
; %bb.1:
	v_min_i64 v[2:3], 0x10000, s[8:9]
	v_dual_mov_b32 v5, 0 :: v_dual_lshlrev_b32 v4, 2, v0
	s_mov_b32 s14, exec_lo
	s_delay_alu instid0(VALU_DEP_1)
	v_cmpx_lt_i64_e64 v[4:5], v[2:3]
	s_cbranch_execz .LBB305_4
; %bb.2:
	s_load_b32 s10, s[0:1], 0xc5c
	v_mov_b32_e32 v1, v5
	v_add_nc_u64_e32 v[4:5], s[6:7], v[4:5]
	s_mov_b32 s11, 0
	s_delay_alu instid0(SALU_CYCLE_1) | instskip(NEXT) | instid1(VALU_DEP_2)
	s_mov_b32 s13, s11
	v_mov_b64_e32 v[6:7], v[0:1]
	s_mov_b32 s15, s11
	s_wait_kmcnt 0x0
	s_and_b32 s10, s10, 0xffff
	s_delay_alu instid0(SALU_CYCLE_1)
	s_lshl_b32 s12, s10, 2
.LBB305_3:                              ; =>This Inner Loop Header: Depth=1
	v_add_nc_u64_e32 v[8:9], s[2:3], v[4:5]
	s_delay_alu instid0(VALU_DEP_2)
	v_add_nc_u64_e32 v[6:7], s[10:11], v[6:7]
	global_load_b32 v1, v[8:9], off
	s_wait_loadcnt 0x0
	s_wait_xcnt 0x0
	v_lshrrev_b32_e32 v8, 16, v1
	v_sub_nc_u16 v9, 0, v1
	v_and_b32_e32 v1, 0xffffff00, v1
	s_delay_alu instid0(VALU_DEP_3) | instskip(NEXT) | instid1(VALU_DEP_3)
	v_sub_nc_u16 v10, 0, v8
	v_and_b32_e32 v11, 0xff, v9
	v_and_b32_e32 v12, 0xffffff00, v8
	v_lshlrev_b64_e32 v[8:9], 2, v[6:7]
	s_delay_alu instid0(VALU_DEP_4) | instskip(NEXT) | instid1(VALU_DEP_4)
	v_and_b32_e32 v10, 0xff, v10
	v_sub_nc_u16 v1, v11, v1
	s_delay_alu instid0(VALU_DEP_3) | instskip(NEXT) | instid1(VALU_DEP_3)
	v_cmp_ge_i64_e32 vcc_lo, v[8:9], v[2:3]
	v_sub_nc_u16 v10, v10, v12
	s_delay_alu instid0(VALU_DEP_3) | instskip(SKIP_2) | instid1(VALU_DEP_4)
	v_and_b32_e32 v1, 0xffff, v1
	v_add_nc_u64_e32 v[8:9], s[4:5], v[4:5]
	v_add_nc_u64_e32 v[4:5], s[12:13], v[4:5]
	v_lshlrev_b32_e32 v10, 16, v10
	s_or_b32 s15, vcc_lo, s15
	s_delay_alu instid0(VALU_DEP_1)
	v_or_b32_e32 v1, v1, v10
	global_store_b32 v[8:9], v1, off
	s_wait_xcnt 0x0
	s_and_not1_b32 exec_lo, exec_lo, s15
	s_cbranch_execnz .LBB305_3
.LBB305_4:
	s_or_b32 exec_lo, exec_lo, s14
	s_mov_b32 s10, 0
.LBB305_5:
	s_delay_alu instid0(SALU_CYCLE_1)
	s_and_not1_b32 vcc_lo, exec_lo, s10
	s_cbranch_vccnz .LBB305_25
; %bb.6:
	v_cmp_lt_i64_e64 s10, s[8:9], 1
	s_and_b32 vcc_lo, exec_lo, s10
	s_cbranch_vccnz .LBB305_25
; %bb.7:
	s_load_b32 s0, s[0:1], 0xc5c
	v_min_i64 v[2:3], 0x10000, s[8:9]
	v_min_u64 v[4:5], 0x10000, s[8:9]
	v_mov_b32_e32 v1, 0
	s_wait_xcnt 0x0
	s_mov_b32 s1, 0
	s_delay_alu instid0(SALU_CYCLE_1) | instskip(SKIP_2) | instid1(VALU_DEP_1)
	s_mov_b32 s9, s1
	s_mov_b32 s11, s1
	v_add_nc_u64_e32 v[8:9], s[6:7], v[0:1]
	v_add_nc_u64_e32 v[6:7], s[2:3], v[8:9]
	s_wait_kmcnt 0x0
	s_and_b32 s0, s0, 0xffff
	s_delay_alu instid0(SALU_CYCLE_1)
	s_lshl_b32 s8, s0, 1
	s_mul_i32 s10, s0, 3
	v_add_nc_u64_e32 v[16:17], s[0:1], v[8:9]
	s_add_nc_u64 s[12:13], s[6:7], s[10:11]
	s_add_nc_u64 s[6:7], s[6:7], s[8:9]
	v_add_nc_u64_e32 v[20:21], s[12:13], v[0:1]
	v_add_nc_u64_e32 v[24:25], s[6:7], v[0:1]
	;; [unrolled: 1-line block ×12, first 2 shown]
	s_lshl_b32 s4, s0, 2
	s_mov_b32 s5, s1
	s_mov_b64 s[6:7], 0
	s_branch .LBB305_9
.LBB305_8:                              ;   in Loop: Header=BB305_9 Depth=1
	s_wait_xcnt 0x0
	s_or_b32 exec_lo, exec_lo, s0
	s_add_nc_u64 s[6:7], s[6:7], s[4:5]
	s_delay_alu instid0(SALU_CYCLE_1)
	v_cmp_ge_i64_e32 vcc_lo, s[6:7], v[2:3]
	s_cbranch_vccnz .LBB305_25
.LBB305_9:                              ; =>This Inner Loop Header: Depth=1
	v_add_nc_u64_e32 v[28:29], s[6:7], v[0:1]
	s_delay_alu instid0(VALU_DEP_1)
	v_cmp_lt_u64_e32 vcc_lo, v[28:29], v[4:5]
	v_mov_b32_e32 v28, 0
	s_and_saveexec_b32 s0, vcc_lo
	s_cbranch_execz .LBB305_11
; %bb.10:                               ;   in Loop: Header=BB305_9 Depth=1
	v_add_nc_u64_e32 v[28:29], s[6:7], v[6:7]
	global_load_u8 v28, v[28:29], off
.LBB305_11:                             ;   in Loop: Header=BB305_9 Depth=1
	s_wait_xcnt 0x0
	s_or_b32 exec_lo, exec_lo, s0
	v_add_nc_u64_e32 v[30:31], s[6:7], v[26:27]
	v_mov_b32_e32 v29, 0
	s_delay_alu instid0(VALU_DEP_2)
	v_cmp_lt_u64_e64 s0, v[30:31], v[4:5]
	v_mov_b32_e32 v30, 0
	s_and_saveexec_b32 s1, s0
	s_cbranch_execz .LBB305_13
; %bb.12:                               ;   in Loop: Header=BB305_9 Depth=1
	v_add_nc_u64_e32 v[30:31], s[6:7], v[14:15]
	global_load_u8 v30, v[30:31], off
.LBB305_13:                             ;   in Loop: Header=BB305_9 Depth=1
	s_wait_xcnt 0x0
	s_or_b32 exec_lo, exec_lo, s1
	v_add_nc_u64_e32 v[32:33], s[6:7], v[12:13]
	s_delay_alu instid0(VALU_DEP_1)
	v_cmp_lt_u64_e64 s1, v[32:33], v[4:5]
	s_and_saveexec_b32 s2, s1
	s_cbranch_execz .LBB305_15
; %bb.14:                               ;   in Loop: Header=BB305_9 Depth=1
	v_add_nc_u64_e32 v[32:33], s[6:7], v[22:23]
	global_load_u8 v29, v[32:33], off
.LBB305_15:                             ;   in Loop: Header=BB305_9 Depth=1
	s_wait_xcnt 0x0
	s_or_b32 exec_lo, exec_lo, s2
	v_add_nc_u64_e32 v[32:33], s[6:7], v[10:11]
	v_mov_b32_e32 v31, 0
	s_delay_alu instid0(VALU_DEP_2)
	v_cmp_lt_u64_e64 s2, v[32:33], v[4:5]
	s_and_saveexec_b32 s3, s2
	s_cbranch_execz .LBB305_17
; %bb.16:                               ;   in Loop: Header=BB305_9 Depth=1
	v_add_nc_u64_e32 v[32:33], s[6:7], v[18:19]
	global_load_u8 v31, v[32:33], off
.LBB305_17:                             ;   in Loop: Header=BB305_9 Depth=1
	s_wait_xcnt 0x0
	s_or_b32 exec_lo, exec_lo, s3
	s_wait_loadcnt 0x0
	v_sub_nc_u16 v28, 0, v28
	v_sub_nc_u16 v29, 0, v29
	v_lshlrev_b16 v30, 8, v30
	v_lshlrev_b16 v31, 8, v31
	s_delay_alu instid0(VALU_DEP_4) | instskip(NEXT) | instid1(VALU_DEP_4)
	v_and_b32_e32 v28, 0xff, v28
	v_and_b32_e32 v29, 0xff, v29
	s_delay_alu instid0(VALU_DEP_2) | instskip(NEXT) | instid1(VALU_DEP_2)
	v_sub_nc_u16 v28, v28, v30
	v_sub_nc_u16 v29, v29, v31
	s_delay_alu instid0(VALU_DEP_2) | instskip(NEXT) | instid1(VALU_DEP_2)
	v_and_b32_e32 v28, 0xffff, v28
	v_lshlrev_b32_e32 v29, 16, v29
	s_delay_alu instid0(VALU_DEP_1)
	v_or_b32_e32 v28, v28, v29
	s_and_saveexec_b32 s3, vcc_lo
	s_cbranch_execnz .LBB305_21
; %bb.18:                               ;   in Loop: Header=BB305_9 Depth=1
	s_or_b32 exec_lo, exec_lo, s3
	s_and_saveexec_b32 s3, s0
	s_cbranch_execnz .LBB305_22
.LBB305_19:                             ;   in Loop: Header=BB305_9 Depth=1
	s_or_b32 exec_lo, exec_lo, s3
	s_and_saveexec_b32 s0, s1
	s_cbranch_execnz .LBB305_23
.LBB305_20:                             ;   in Loop: Header=BB305_9 Depth=1
	s_or_b32 exec_lo, exec_lo, s0
	s_and_saveexec_b32 s0, s2
	s_cbranch_execz .LBB305_8
	s_branch .LBB305_24
.LBB305_21:                             ;   in Loop: Header=BB305_9 Depth=1
	v_add_nc_u64_e32 v[30:31], s[6:7], v[8:9]
	global_store_b8 v[30:31], v28, off
	s_wait_xcnt 0x0
	s_or_b32 exec_lo, exec_lo, s3
	s_and_saveexec_b32 s3, s0
	s_cbranch_execz .LBB305_19
.LBB305_22:                             ;   in Loop: Header=BB305_9 Depth=1
	v_add_nc_u64_e32 v[30:31], s[6:7], v[16:17]
	v_lshrrev_b32_e32 v29, 8, v28
	global_store_b8 v[30:31], v29, off
	s_wait_xcnt 0x0
	s_or_b32 exec_lo, exec_lo, s3
	s_and_saveexec_b32 s0, s1
	s_cbranch_execz .LBB305_20
.LBB305_23:                             ;   in Loop: Header=BB305_9 Depth=1
	v_add_nc_u64_e32 v[30:31], s[6:7], v[24:25]
	global_store_d16_hi_b8 v[30:31], v28, off
	s_wait_xcnt 0x0
	s_or_b32 exec_lo, exec_lo, s0
	s_and_saveexec_b32 s0, s2
	s_cbranch_execz .LBB305_8
.LBB305_24:                             ;   in Loop: Header=BB305_9 Depth=1
	v_add_nc_u64_e32 v[30:31], s[6:7], v[20:21]
	v_lshrrev_b32_e32 v28, 24, v28
	global_store_b8 v[30:31], v28, off
	s_branch .LBB305_8
.LBB305_25:
	s_endpgm
	.section	.rodata,"a",@progbits
	.p2align	6, 0x0
	.amdhsa_kernel _ZN2at6native12_GLOBAL__N_125multi_tensor_apply_kernelINS1_18TensorListMetadataILi2EEENS1_14UnaryOpFunctorIhLi2ELi1ELi1EEEJSt6negateIhEEEEvT_T0_DpT1_
		.amdhsa_group_segment_fixed_size 0
		.amdhsa_private_segment_fixed_size 0
		.amdhsa_kernarg_size 3408
		.amdhsa_user_sgpr_count 2
		.amdhsa_user_sgpr_dispatch_ptr 0
		.amdhsa_user_sgpr_queue_ptr 0
		.amdhsa_user_sgpr_kernarg_segment_ptr 1
		.amdhsa_user_sgpr_dispatch_id 0
		.amdhsa_user_sgpr_kernarg_preload_length 0
		.amdhsa_user_sgpr_kernarg_preload_offset 0
		.amdhsa_user_sgpr_private_segment_size 0
		.amdhsa_wavefront_size32 1
		.amdhsa_uses_dynamic_stack 0
		.amdhsa_enable_private_segment 0
		.amdhsa_system_sgpr_workgroup_id_x 1
		.amdhsa_system_sgpr_workgroup_id_y 0
		.amdhsa_system_sgpr_workgroup_id_z 0
		.amdhsa_system_sgpr_workgroup_info 0
		.amdhsa_system_vgpr_workitem_id 0
		.amdhsa_next_free_vgpr 34
		.amdhsa_next_free_sgpr 16
		.amdhsa_named_barrier_count 0
		.amdhsa_reserve_vcc 1
		.amdhsa_float_round_mode_32 0
		.amdhsa_float_round_mode_16_64 0
		.amdhsa_float_denorm_mode_32 3
		.amdhsa_float_denorm_mode_16_64 3
		.amdhsa_fp16_overflow 0
		.amdhsa_memory_ordered 1
		.amdhsa_forward_progress 1
		.amdhsa_inst_pref_size 9
		.amdhsa_round_robin_scheduling 0
		.amdhsa_exception_fp_ieee_invalid_op 0
		.amdhsa_exception_fp_denorm_src 0
		.amdhsa_exception_fp_ieee_div_zero 0
		.amdhsa_exception_fp_ieee_overflow 0
		.amdhsa_exception_fp_ieee_underflow 0
		.amdhsa_exception_fp_ieee_inexact 0
		.amdhsa_exception_int_div_zero 0
	.end_amdhsa_kernel
	.section	.text._ZN2at6native12_GLOBAL__N_125multi_tensor_apply_kernelINS1_18TensorListMetadataILi2EEENS1_14UnaryOpFunctorIhLi2ELi1ELi1EEEJSt6negateIhEEEEvT_T0_DpT1_,"axG",@progbits,_ZN2at6native12_GLOBAL__N_125multi_tensor_apply_kernelINS1_18TensorListMetadataILi2EEENS1_14UnaryOpFunctorIhLi2ELi1ELi1EEEJSt6negateIhEEEEvT_T0_DpT1_,comdat
.Lfunc_end305:
	.size	_ZN2at6native12_GLOBAL__N_125multi_tensor_apply_kernelINS1_18TensorListMetadataILi2EEENS1_14UnaryOpFunctorIhLi2ELi1ELi1EEEJSt6negateIhEEEEvT_T0_DpT1_, .Lfunc_end305-_ZN2at6native12_GLOBAL__N_125multi_tensor_apply_kernelINS1_18TensorListMetadataILi2EEENS1_14UnaryOpFunctorIhLi2ELi1ELi1EEEJSt6negateIhEEEEvT_T0_DpT1_
                                        ; -- End function
	.set _ZN2at6native12_GLOBAL__N_125multi_tensor_apply_kernelINS1_18TensorListMetadataILi2EEENS1_14UnaryOpFunctorIhLi2ELi1ELi1EEEJSt6negateIhEEEEvT_T0_DpT1_.num_vgpr, 34
	.set _ZN2at6native12_GLOBAL__N_125multi_tensor_apply_kernelINS1_18TensorListMetadataILi2EEENS1_14UnaryOpFunctorIhLi2ELi1ELi1EEEJSt6negateIhEEEEvT_T0_DpT1_.num_agpr, 0
	.set _ZN2at6native12_GLOBAL__N_125multi_tensor_apply_kernelINS1_18TensorListMetadataILi2EEENS1_14UnaryOpFunctorIhLi2ELi1ELi1EEEJSt6negateIhEEEEvT_T0_DpT1_.numbered_sgpr, 16
	.set _ZN2at6native12_GLOBAL__N_125multi_tensor_apply_kernelINS1_18TensorListMetadataILi2EEENS1_14UnaryOpFunctorIhLi2ELi1ELi1EEEJSt6negateIhEEEEvT_T0_DpT1_.num_named_barrier, 0
	.set _ZN2at6native12_GLOBAL__N_125multi_tensor_apply_kernelINS1_18TensorListMetadataILi2EEENS1_14UnaryOpFunctorIhLi2ELi1ELi1EEEJSt6negateIhEEEEvT_T0_DpT1_.private_seg_size, 0
	.set _ZN2at6native12_GLOBAL__N_125multi_tensor_apply_kernelINS1_18TensorListMetadataILi2EEENS1_14UnaryOpFunctorIhLi2ELi1ELi1EEEJSt6negateIhEEEEvT_T0_DpT1_.uses_vcc, 1
	.set _ZN2at6native12_GLOBAL__N_125multi_tensor_apply_kernelINS1_18TensorListMetadataILi2EEENS1_14UnaryOpFunctorIhLi2ELi1ELi1EEEJSt6negateIhEEEEvT_T0_DpT1_.uses_flat_scratch, 0
	.set _ZN2at6native12_GLOBAL__N_125multi_tensor_apply_kernelINS1_18TensorListMetadataILi2EEENS1_14UnaryOpFunctorIhLi2ELi1ELi1EEEJSt6negateIhEEEEvT_T0_DpT1_.has_dyn_sized_stack, 0
	.set _ZN2at6native12_GLOBAL__N_125multi_tensor_apply_kernelINS1_18TensorListMetadataILi2EEENS1_14UnaryOpFunctorIhLi2ELi1ELi1EEEJSt6negateIhEEEEvT_T0_DpT1_.has_recursion, 0
	.set _ZN2at6native12_GLOBAL__N_125multi_tensor_apply_kernelINS1_18TensorListMetadataILi2EEENS1_14UnaryOpFunctorIhLi2ELi1ELi1EEEJSt6negateIhEEEEvT_T0_DpT1_.has_indirect_call, 0
	.section	.AMDGPU.csdata,"",@progbits
; Kernel info:
; codeLenInByte = 1148
; TotalNumSgprs: 18
; NumVgprs: 34
; ScratchSize: 0
; MemoryBound: 0
; FloatMode: 240
; IeeeMode: 1
; LDSByteSize: 0 bytes/workgroup (compile time only)
; SGPRBlocks: 0
; VGPRBlocks: 2
; NumSGPRsForWavesPerEU: 18
; NumVGPRsForWavesPerEU: 34
; NamedBarCnt: 0
; Occupancy: 16
; WaveLimiterHint : 0
; COMPUTE_PGM_RSRC2:SCRATCH_EN: 0
; COMPUTE_PGM_RSRC2:USER_SGPR: 2
; COMPUTE_PGM_RSRC2:TRAP_HANDLER: 0
; COMPUTE_PGM_RSRC2:TGID_X_EN: 1
; COMPUTE_PGM_RSRC2:TGID_Y_EN: 0
; COMPUTE_PGM_RSRC2:TGID_Z_EN: 0
; COMPUTE_PGM_RSRC2:TIDIG_COMP_CNT: 0
	.section	.text._ZN2at6native12_GLOBAL__N_125multi_tensor_apply_kernelINS1_18TensorListMetadataILi2EEENS1_14UnaryOpFunctorIaLi2ELi1ELi1EEEJSt6negateIaEEEEvT_T0_DpT1_,"axG",@progbits,_ZN2at6native12_GLOBAL__N_125multi_tensor_apply_kernelINS1_18TensorListMetadataILi2EEENS1_14UnaryOpFunctorIaLi2ELi1ELi1EEEJSt6negateIaEEEEvT_T0_DpT1_,comdat
	.globl	_ZN2at6native12_GLOBAL__N_125multi_tensor_apply_kernelINS1_18TensorListMetadataILi2EEENS1_14UnaryOpFunctorIaLi2ELi1ELi1EEEJSt6negateIaEEEEvT_T0_DpT1_ ; -- Begin function _ZN2at6native12_GLOBAL__N_125multi_tensor_apply_kernelINS1_18TensorListMetadataILi2EEENS1_14UnaryOpFunctorIaLi2ELi1ELi1EEEJSt6negateIaEEEEvT_T0_DpT1_
	.p2align	8
	.type	_ZN2at6native12_GLOBAL__N_125multi_tensor_apply_kernelINS1_18TensorListMetadataILi2EEENS1_14UnaryOpFunctorIaLi2ELi1ELi1EEEJSt6negateIaEEEEvT_T0_DpT1_,@function
_ZN2at6native12_GLOBAL__N_125multi_tensor_apply_kernelINS1_18TensorListMetadataILi2EEENS1_14UnaryOpFunctorIaLi2ELi1ELi1EEEJSt6negateIaEEEEvT_T0_DpT1_: ; @_ZN2at6native12_GLOBAL__N_125multi_tensor_apply_kernelINS1_18TensorListMetadataILi2EEENS1_14UnaryOpFunctorIaLi2ELi1ELi1EEEJSt6negateIaEEEEvT_T0_DpT1_
; %bb.0:
	s_bfe_u32 s2, ttmp6, 0x4000c
	s_and_b32 s3, ttmp6, 15
	s_add_co_i32 s2, s2, 1
	s_getreg_b32 s4, hwreg(HW_REG_IB_STS2, 6, 4)
	s_mul_i32 s2, ttmp9, s2
	s_delay_alu instid0(SALU_CYCLE_1)
	s_add_co_i32 s3, s3, s2
	s_cmp_eq_u32 s4, 0
	s_cselect_b32 s2, ttmp9, s3
	s_mov_b32 s3, 0
	s_load_u8 s9, s[0:1], s2 offset:0x600
	s_add_nc_u64 s[4:5], s[0:1], s[2:3]
	s_wait_xcnt 0x0
	s_mul_u64 s[2:3], s[2:3], 3
	s_delay_alu instid0(SALU_CYCLE_1)
	s_add_nc_u64 s[6:7], s[4:5], s[2:3]
	s_load_b32 s8, s[6:7], 0x740
	s_wait_kmcnt 0x0
	s_clause 0x2
	s_load_b64 s[10:11], s[0:1], s9 offset:0x400 scale_offset
	s_load_b64 s[2:3], s[0:1], s9 offset:0x0 scale_offset
	;; [unrolled: 1-line block ×3, first 2 shown]
	s_wait_xcnt 0x0
	s_ashr_i32 s9, s8, 31
	s_delay_alu instid0(SALU_CYCLE_1) | instskip(SKIP_3) | instid1(SALU_CYCLE_1)
	s_lshl_b64 s[6:7], s[8:9], 16
	s_wait_kmcnt 0x0
	s_add_nc_u64 s[8:9], s[2:3], s[6:7]
	s_or_b32 s9, s10, s4
	s_or_b32 s8, s9, s8
	s_delay_alu instid0(SALU_CYCLE_1)
	s_and_b32 s12, s8, 3
	s_sub_nc_u64 s[8:9], s[10:11], s[6:7]
	s_cmp_eq_u32 s12, 0
	s_mov_b32 s10, -1
	s_cbranch_scc0 .LBB306_5
; %bb.1:
	v_min_i64 v[2:3], 0x10000, s[8:9]
	v_dual_mov_b32 v5, 0 :: v_dual_lshlrev_b32 v4, 2, v0
	s_mov_b32 s14, exec_lo
	s_delay_alu instid0(VALU_DEP_1)
	v_cmpx_lt_i64_e64 v[4:5], v[2:3]
	s_cbranch_execz .LBB306_4
; %bb.2:
	s_load_b32 s10, s[0:1], 0xc5c
	v_mov_b32_e32 v1, v5
	v_add_nc_u64_e32 v[4:5], s[6:7], v[4:5]
	s_mov_b32 s11, 0
	s_delay_alu instid0(SALU_CYCLE_1) | instskip(NEXT) | instid1(VALU_DEP_2)
	s_mov_b32 s13, s11
	v_mov_b64_e32 v[6:7], v[0:1]
	s_mov_b32 s15, s11
	s_wait_kmcnt 0x0
	s_and_b32 s10, s10, 0xffff
	s_delay_alu instid0(SALU_CYCLE_1)
	s_lshl_b32 s12, s10, 2
.LBB306_3:                              ; =>This Inner Loop Header: Depth=1
	v_add_nc_u64_e32 v[8:9], s[2:3], v[4:5]
	s_delay_alu instid0(VALU_DEP_2)
	v_add_nc_u64_e32 v[6:7], s[10:11], v[6:7]
	global_load_b32 v1, v[8:9], off
	s_wait_loadcnt 0x0
	s_wait_xcnt 0x0
	v_lshrrev_b32_e32 v8, 16, v1
	v_sub_nc_u16 v9, 0, v1
	v_and_b32_e32 v1, 0xffffff00, v1
	s_delay_alu instid0(VALU_DEP_3) | instskip(NEXT) | instid1(VALU_DEP_3)
	v_sub_nc_u16 v10, 0, v8
	v_and_b32_e32 v11, 0xff, v9
	v_and_b32_e32 v12, 0xffffff00, v8
	v_lshlrev_b64_e32 v[8:9], 2, v[6:7]
	s_delay_alu instid0(VALU_DEP_4) | instskip(NEXT) | instid1(VALU_DEP_4)
	v_and_b32_e32 v10, 0xff, v10
	v_sub_nc_u16 v1, v11, v1
	s_delay_alu instid0(VALU_DEP_3) | instskip(NEXT) | instid1(VALU_DEP_3)
	v_cmp_ge_i64_e32 vcc_lo, v[8:9], v[2:3]
	v_sub_nc_u16 v10, v10, v12
	s_delay_alu instid0(VALU_DEP_3) | instskip(SKIP_2) | instid1(VALU_DEP_4)
	v_and_b32_e32 v1, 0xffff, v1
	v_add_nc_u64_e32 v[8:9], s[4:5], v[4:5]
	v_add_nc_u64_e32 v[4:5], s[12:13], v[4:5]
	v_lshlrev_b32_e32 v10, 16, v10
	s_or_b32 s15, vcc_lo, s15
	s_delay_alu instid0(VALU_DEP_1)
	v_or_b32_e32 v1, v1, v10
	global_store_b32 v[8:9], v1, off
	s_wait_xcnt 0x0
	s_and_not1_b32 exec_lo, exec_lo, s15
	s_cbranch_execnz .LBB306_3
.LBB306_4:
	s_or_b32 exec_lo, exec_lo, s14
	s_mov_b32 s10, 0
.LBB306_5:
	s_delay_alu instid0(SALU_CYCLE_1)
	s_and_not1_b32 vcc_lo, exec_lo, s10
	s_cbranch_vccnz .LBB306_25
; %bb.6:
	v_cmp_lt_i64_e64 s10, s[8:9], 1
	s_and_b32 vcc_lo, exec_lo, s10
	s_cbranch_vccnz .LBB306_25
; %bb.7:
	s_load_b32 s0, s[0:1], 0xc5c
	v_min_i64 v[2:3], 0x10000, s[8:9]
	v_min_u64 v[4:5], 0x10000, s[8:9]
	v_mov_b32_e32 v1, 0
	s_wait_xcnt 0x0
	s_mov_b32 s1, 0
	s_delay_alu instid0(SALU_CYCLE_1) | instskip(SKIP_2) | instid1(VALU_DEP_1)
	s_mov_b32 s9, s1
	s_mov_b32 s11, s1
	v_add_nc_u64_e32 v[8:9], s[6:7], v[0:1]
	v_add_nc_u64_e32 v[6:7], s[2:3], v[8:9]
	s_wait_kmcnt 0x0
	s_and_b32 s0, s0, 0xffff
	s_delay_alu instid0(SALU_CYCLE_1)
	s_lshl_b32 s8, s0, 1
	s_mul_i32 s10, s0, 3
	v_add_nc_u64_e32 v[16:17], s[0:1], v[8:9]
	s_add_nc_u64 s[12:13], s[6:7], s[10:11]
	s_add_nc_u64 s[6:7], s[6:7], s[8:9]
	v_add_nc_u64_e32 v[20:21], s[12:13], v[0:1]
	v_add_nc_u64_e32 v[24:25], s[6:7], v[0:1]
	;; [unrolled: 1-line block ×12, first 2 shown]
	s_lshl_b32 s4, s0, 2
	s_mov_b32 s5, s1
	s_mov_b64 s[6:7], 0
	s_branch .LBB306_9
.LBB306_8:                              ;   in Loop: Header=BB306_9 Depth=1
	s_wait_xcnt 0x0
	s_or_b32 exec_lo, exec_lo, s0
	s_add_nc_u64 s[6:7], s[6:7], s[4:5]
	s_delay_alu instid0(SALU_CYCLE_1)
	v_cmp_ge_i64_e32 vcc_lo, s[6:7], v[2:3]
	s_cbranch_vccnz .LBB306_25
.LBB306_9:                              ; =>This Inner Loop Header: Depth=1
	v_add_nc_u64_e32 v[28:29], s[6:7], v[0:1]
	s_delay_alu instid0(VALU_DEP_1)
	v_cmp_lt_u64_e32 vcc_lo, v[28:29], v[4:5]
	v_mov_b32_e32 v28, 0
	s_and_saveexec_b32 s0, vcc_lo
	s_cbranch_execz .LBB306_11
; %bb.10:                               ;   in Loop: Header=BB306_9 Depth=1
	v_add_nc_u64_e32 v[28:29], s[6:7], v[6:7]
	global_load_u8 v28, v[28:29], off
.LBB306_11:                             ;   in Loop: Header=BB306_9 Depth=1
	s_wait_xcnt 0x0
	s_or_b32 exec_lo, exec_lo, s0
	v_add_nc_u64_e32 v[30:31], s[6:7], v[26:27]
	v_mov_b32_e32 v29, 0
	s_delay_alu instid0(VALU_DEP_2)
	v_cmp_lt_u64_e64 s0, v[30:31], v[4:5]
	v_mov_b32_e32 v30, 0
	s_and_saveexec_b32 s1, s0
	s_cbranch_execz .LBB306_13
; %bb.12:                               ;   in Loop: Header=BB306_9 Depth=1
	v_add_nc_u64_e32 v[30:31], s[6:7], v[14:15]
	global_load_u8 v30, v[30:31], off
.LBB306_13:                             ;   in Loop: Header=BB306_9 Depth=1
	s_wait_xcnt 0x0
	s_or_b32 exec_lo, exec_lo, s1
	v_add_nc_u64_e32 v[32:33], s[6:7], v[12:13]
	s_delay_alu instid0(VALU_DEP_1)
	v_cmp_lt_u64_e64 s1, v[32:33], v[4:5]
	s_and_saveexec_b32 s2, s1
	s_cbranch_execz .LBB306_15
; %bb.14:                               ;   in Loop: Header=BB306_9 Depth=1
	v_add_nc_u64_e32 v[32:33], s[6:7], v[22:23]
	global_load_u8 v29, v[32:33], off
.LBB306_15:                             ;   in Loop: Header=BB306_9 Depth=1
	s_wait_xcnt 0x0
	s_or_b32 exec_lo, exec_lo, s2
	v_add_nc_u64_e32 v[32:33], s[6:7], v[10:11]
	v_mov_b32_e32 v31, 0
	s_delay_alu instid0(VALU_DEP_2)
	v_cmp_lt_u64_e64 s2, v[32:33], v[4:5]
	s_and_saveexec_b32 s3, s2
	s_cbranch_execz .LBB306_17
; %bb.16:                               ;   in Loop: Header=BB306_9 Depth=1
	v_add_nc_u64_e32 v[32:33], s[6:7], v[18:19]
	global_load_u8 v31, v[32:33], off
.LBB306_17:                             ;   in Loop: Header=BB306_9 Depth=1
	s_wait_xcnt 0x0
	s_or_b32 exec_lo, exec_lo, s3
	s_wait_loadcnt 0x0
	v_sub_nc_u16 v28, 0, v28
	v_sub_nc_u16 v29, 0, v29
	v_lshlrev_b16 v30, 8, v30
	v_lshlrev_b16 v31, 8, v31
	s_delay_alu instid0(VALU_DEP_4) | instskip(NEXT) | instid1(VALU_DEP_4)
	v_and_b32_e32 v28, 0xff, v28
	v_and_b32_e32 v29, 0xff, v29
	s_delay_alu instid0(VALU_DEP_2) | instskip(NEXT) | instid1(VALU_DEP_2)
	v_sub_nc_u16 v28, v28, v30
	v_sub_nc_u16 v29, v29, v31
	s_delay_alu instid0(VALU_DEP_2) | instskip(NEXT) | instid1(VALU_DEP_2)
	v_and_b32_e32 v28, 0xffff, v28
	v_lshlrev_b32_e32 v29, 16, v29
	s_delay_alu instid0(VALU_DEP_1)
	v_or_b32_e32 v28, v28, v29
	s_and_saveexec_b32 s3, vcc_lo
	s_cbranch_execnz .LBB306_21
; %bb.18:                               ;   in Loop: Header=BB306_9 Depth=1
	s_or_b32 exec_lo, exec_lo, s3
	s_and_saveexec_b32 s3, s0
	s_cbranch_execnz .LBB306_22
.LBB306_19:                             ;   in Loop: Header=BB306_9 Depth=1
	s_or_b32 exec_lo, exec_lo, s3
	s_and_saveexec_b32 s0, s1
	s_cbranch_execnz .LBB306_23
.LBB306_20:                             ;   in Loop: Header=BB306_9 Depth=1
	s_or_b32 exec_lo, exec_lo, s0
	s_and_saveexec_b32 s0, s2
	s_cbranch_execz .LBB306_8
	s_branch .LBB306_24
.LBB306_21:                             ;   in Loop: Header=BB306_9 Depth=1
	v_add_nc_u64_e32 v[30:31], s[6:7], v[8:9]
	global_store_b8 v[30:31], v28, off
	s_wait_xcnt 0x0
	s_or_b32 exec_lo, exec_lo, s3
	s_and_saveexec_b32 s3, s0
	s_cbranch_execz .LBB306_19
.LBB306_22:                             ;   in Loop: Header=BB306_9 Depth=1
	v_add_nc_u64_e32 v[30:31], s[6:7], v[16:17]
	v_lshrrev_b32_e32 v29, 8, v28
	global_store_b8 v[30:31], v29, off
	s_wait_xcnt 0x0
	s_or_b32 exec_lo, exec_lo, s3
	s_and_saveexec_b32 s0, s1
	s_cbranch_execz .LBB306_20
.LBB306_23:                             ;   in Loop: Header=BB306_9 Depth=1
	v_add_nc_u64_e32 v[30:31], s[6:7], v[24:25]
	global_store_d16_hi_b8 v[30:31], v28, off
	s_wait_xcnt 0x0
	s_or_b32 exec_lo, exec_lo, s0
	s_and_saveexec_b32 s0, s2
	s_cbranch_execz .LBB306_8
.LBB306_24:                             ;   in Loop: Header=BB306_9 Depth=1
	v_add_nc_u64_e32 v[30:31], s[6:7], v[20:21]
	v_lshrrev_b32_e32 v28, 24, v28
	global_store_b8 v[30:31], v28, off
	s_branch .LBB306_8
.LBB306_25:
	s_endpgm
	.section	.rodata,"a",@progbits
	.p2align	6, 0x0
	.amdhsa_kernel _ZN2at6native12_GLOBAL__N_125multi_tensor_apply_kernelINS1_18TensorListMetadataILi2EEENS1_14UnaryOpFunctorIaLi2ELi1ELi1EEEJSt6negateIaEEEEvT_T0_DpT1_
		.amdhsa_group_segment_fixed_size 0
		.amdhsa_private_segment_fixed_size 0
		.amdhsa_kernarg_size 3408
		.amdhsa_user_sgpr_count 2
		.amdhsa_user_sgpr_dispatch_ptr 0
		.amdhsa_user_sgpr_queue_ptr 0
		.amdhsa_user_sgpr_kernarg_segment_ptr 1
		.amdhsa_user_sgpr_dispatch_id 0
		.amdhsa_user_sgpr_kernarg_preload_length 0
		.amdhsa_user_sgpr_kernarg_preload_offset 0
		.amdhsa_user_sgpr_private_segment_size 0
		.amdhsa_wavefront_size32 1
		.amdhsa_uses_dynamic_stack 0
		.amdhsa_enable_private_segment 0
		.amdhsa_system_sgpr_workgroup_id_x 1
		.amdhsa_system_sgpr_workgroup_id_y 0
		.amdhsa_system_sgpr_workgroup_id_z 0
		.amdhsa_system_sgpr_workgroup_info 0
		.amdhsa_system_vgpr_workitem_id 0
		.amdhsa_next_free_vgpr 34
		.amdhsa_next_free_sgpr 16
		.amdhsa_named_barrier_count 0
		.amdhsa_reserve_vcc 1
		.amdhsa_float_round_mode_32 0
		.amdhsa_float_round_mode_16_64 0
		.amdhsa_float_denorm_mode_32 3
		.amdhsa_float_denorm_mode_16_64 3
		.amdhsa_fp16_overflow 0
		.amdhsa_memory_ordered 1
		.amdhsa_forward_progress 1
		.amdhsa_inst_pref_size 9
		.amdhsa_round_robin_scheduling 0
		.amdhsa_exception_fp_ieee_invalid_op 0
		.amdhsa_exception_fp_denorm_src 0
		.amdhsa_exception_fp_ieee_div_zero 0
		.amdhsa_exception_fp_ieee_overflow 0
		.amdhsa_exception_fp_ieee_underflow 0
		.amdhsa_exception_fp_ieee_inexact 0
		.amdhsa_exception_int_div_zero 0
	.end_amdhsa_kernel
	.section	.text._ZN2at6native12_GLOBAL__N_125multi_tensor_apply_kernelINS1_18TensorListMetadataILi2EEENS1_14UnaryOpFunctorIaLi2ELi1ELi1EEEJSt6negateIaEEEEvT_T0_DpT1_,"axG",@progbits,_ZN2at6native12_GLOBAL__N_125multi_tensor_apply_kernelINS1_18TensorListMetadataILi2EEENS1_14UnaryOpFunctorIaLi2ELi1ELi1EEEJSt6negateIaEEEEvT_T0_DpT1_,comdat
.Lfunc_end306:
	.size	_ZN2at6native12_GLOBAL__N_125multi_tensor_apply_kernelINS1_18TensorListMetadataILi2EEENS1_14UnaryOpFunctorIaLi2ELi1ELi1EEEJSt6negateIaEEEEvT_T0_DpT1_, .Lfunc_end306-_ZN2at6native12_GLOBAL__N_125multi_tensor_apply_kernelINS1_18TensorListMetadataILi2EEENS1_14UnaryOpFunctorIaLi2ELi1ELi1EEEJSt6negateIaEEEEvT_T0_DpT1_
                                        ; -- End function
	.set _ZN2at6native12_GLOBAL__N_125multi_tensor_apply_kernelINS1_18TensorListMetadataILi2EEENS1_14UnaryOpFunctorIaLi2ELi1ELi1EEEJSt6negateIaEEEEvT_T0_DpT1_.num_vgpr, 34
	.set _ZN2at6native12_GLOBAL__N_125multi_tensor_apply_kernelINS1_18TensorListMetadataILi2EEENS1_14UnaryOpFunctorIaLi2ELi1ELi1EEEJSt6negateIaEEEEvT_T0_DpT1_.num_agpr, 0
	.set _ZN2at6native12_GLOBAL__N_125multi_tensor_apply_kernelINS1_18TensorListMetadataILi2EEENS1_14UnaryOpFunctorIaLi2ELi1ELi1EEEJSt6negateIaEEEEvT_T0_DpT1_.numbered_sgpr, 16
	.set _ZN2at6native12_GLOBAL__N_125multi_tensor_apply_kernelINS1_18TensorListMetadataILi2EEENS1_14UnaryOpFunctorIaLi2ELi1ELi1EEEJSt6negateIaEEEEvT_T0_DpT1_.num_named_barrier, 0
	.set _ZN2at6native12_GLOBAL__N_125multi_tensor_apply_kernelINS1_18TensorListMetadataILi2EEENS1_14UnaryOpFunctorIaLi2ELi1ELi1EEEJSt6negateIaEEEEvT_T0_DpT1_.private_seg_size, 0
	.set _ZN2at6native12_GLOBAL__N_125multi_tensor_apply_kernelINS1_18TensorListMetadataILi2EEENS1_14UnaryOpFunctorIaLi2ELi1ELi1EEEJSt6negateIaEEEEvT_T0_DpT1_.uses_vcc, 1
	.set _ZN2at6native12_GLOBAL__N_125multi_tensor_apply_kernelINS1_18TensorListMetadataILi2EEENS1_14UnaryOpFunctorIaLi2ELi1ELi1EEEJSt6negateIaEEEEvT_T0_DpT1_.uses_flat_scratch, 0
	.set _ZN2at6native12_GLOBAL__N_125multi_tensor_apply_kernelINS1_18TensorListMetadataILi2EEENS1_14UnaryOpFunctorIaLi2ELi1ELi1EEEJSt6negateIaEEEEvT_T0_DpT1_.has_dyn_sized_stack, 0
	.set _ZN2at6native12_GLOBAL__N_125multi_tensor_apply_kernelINS1_18TensorListMetadataILi2EEENS1_14UnaryOpFunctorIaLi2ELi1ELi1EEEJSt6negateIaEEEEvT_T0_DpT1_.has_recursion, 0
	.set _ZN2at6native12_GLOBAL__N_125multi_tensor_apply_kernelINS1_18TensorListMetadataILi2EEENS1_14UnaryOpFunctorIaLi2ELi1ELi1EEEJSt6negateIaEEEEvT_T0_DpT1_.has_indirect_call, 0
	.section	.AMDGPU.csdata,"",@progbits
; Kernel info:
; codeLenInByte = 1148
; TotalNumSgprs: 18
; NumVgprs: 34
; ScratchSize: 0
; MemoryBound: 0
; FloatMode: 240
; IeeeMode: 1
; LDSByteSize: 0 bytes/workgroup (compile time only)
; SGPRBlocks: 0
; VGPRBlocks: 2
; NumSGPRsForWavesPerEU: 18
; NumVGPRsForWavesPerEU: 34
; NamedBarCnt: 0
; Occupancy: 16
; WaveLimiterHint : 0
; COMPUTE_PGM_RSRC2:SCRATCH_EN: 0
; COMPUTE_PGM_RSRC2:USER_SGPR: 2
; COMPUTE_PGM_RSRC2:TRAP_HANDLER: 0
; COMPUTE_PGM_RSRC2:TGID_X_EN: 1
; COMPUTE_PGM_RSRC2:TGID_Y_EN: 0
; COMPUTE_PGM_RSRC2:TGID_Z_EN: 0
; COMPUTE_PGM_RSRC2:TIDIG_COMP_CNT: 0
	.section	.text._ZN2at6native12_GLOBAL__N_125multi_tensor_apply_kernelINS1_18TensorListMetadataILi2EEENS1_14UnaryOpFunctorIiLi2ELi1ELi1EEEJSt6negateIiEEEEvT_T0_DpT1_,"axG",@progbits,_ZN2at6native12_GLOBAL__N_125multi_tensor_apply_kernelINS1_18TensorListMetadataILi2EEENS1_14UnaryOpFunctorIiLi2ELi1ELi1EEEJSt6negateIiEEEEvT_T0_DpT1_,comdat
	.globl	_ZN2at6native12_GLOBAL__N_125multi_tensor_apply_kernelINS1_18TensorListMetadataILi2EEENS1_14UnaryOpFunctorIiLi2ELi1ELi1EEEJSt6negateIiEEEEvT_T0_DpT1_ ; -- Begin function _ZN2at6native12_GLOBAL__N_125multi_tensor_apply_kernelINS1_18TensorListMetadataILi2EEENS1_14UnaryOpFunctorIiLi2ELi1ELi1EEEJSt6negateIiEEEEvT_T0_DpT1_
	.p2align	8
	.type	_ZN2at6native12_GLOBAL__N_125multi_tensor_apply_kernelINS1_18TensorListMetadataILi2EEENS1_14UnaryOpFunctorIiLi2ELi1ELi1EEEJSt6negateIiEEEEvT_T0_DpT1_,@function
_ZN2at6native12_GLOBAL__N_125multi_tensor_apply_kernelINS1_18TensorListMetadataILi2EEENS1_14UnaryOpFunctorIiLi2ELi1ELi1EEEJSt6negateIiEEEEvT_T0_DpT1_: ; @_ZN2at6native12_GLOBAL__N_125multi_tensor_apply_kernelINS1_18TensorListMetadataILi2EEENS1_14UnaryOpFunctorIiLi2ELi1ELi1EEEJSt6negateIiEEEEvT_T0_DpT1_
; %bb.0:
	s_bfe_u32 s2, ttmp6, 0x4000c
	s_and_b32 s3, ttmp6, 15
	s_add_co_i32 s2, s2, 1
	s_getreg_b32 s4, hwreg(HW_REG_IB_STS2, 6, 4)
	s_mul_i32 s2, ttmp9, s2
	s_mov_b32 s9, 0
	s_add_co_i32 s3, s3, s2
	s_cmp_eq_u32 s4, 0
	s_mov_b32 s15, s9
	s_cselect_b32 s8, ttmp9, s3
	s_load_u8 s11, s[0:1], s8 offset:0x600
	s_add_nc_u64 s[2:3], s[0:1], s[8:9]
	s_mul_u64 s[4:5], s[8:9], 3
	s_delay_alu instid0(SALU_CYCLE_1)
	s_add_nc_u64 s[4:5], s[2:3], s[4:5]
	s_load_b32 s10, s[4:5], 0x740
	s_wait_kmcnt 0x0
	s_clause 0x2
	s_load_b64 s[2:3], s[0:1], s11 offset:0x0 scale_offset
	s_load_b64 s[6:7], s[0:1], s11 offset:0x200 scale_offset
	;; [unrolled: 1-line block ×3, first 2 shown]
	s_wait_xcnt 0x0
	s_ashr_i32 s11, s10, 31
	s_delay_alu instid0(SALU_CYCLE_1)
	s_lshl_b64 s[4:5], s[10:11], 18
	s_wait_kmcnt 0x0
	s_and_b64 s[18:19], s[6:7], 15
	s_add_nc_u64 s[16:17], s[2:3], s[4:5]
	s_and_b32 s14, s12, 3
	s_and_b32 s8, s16, 15
	s_or_b64 s[14:15], s[18:19], s[14:15]
	s_lshl_b64 s[10:11], s[10:11], 16
	s_or_b64 s[14:15], s[14:15], s[8:9]
	s_sub_nc_u64 s[8:9], s[12:13], s[10:11]
	s_cmp_eq_u64 s[14:15], 0
	s_mov_b32 s10, -1
	s_cbranch_scc0 .LBB307_5
; %bb.1:
	v_min_i64 v[2:3], 0x10000, s[8:9]
	v_dual_mov_b32 v5, 0 :: v_dual_lshlrev_b32 v4, 2, v0
	s_mov_b32 s16, exec_lo
	s_delay_alu instid0(VALU_DEP_1)
	v_cmpx_lt_i64_e64 v[4:5], v[2:3]
	s_cbranch_execz .LBB307_4
; %bb.2:
	s_load_b32 s10, s[0:1], 0xc5c
	v_dual_mov_b32 v1, v5 :: v_dual_lshlrev_b32 v4, 4, v0
	s_mov_b32 s11, 0
	s_add_nc_u64 s[12:13], s[2:3], 8
	s_mov_b32 s15, s11
	s_delay_alu instid0(VALU_DEP_1) | instskip(SKIP_4) | instid1(SALU_CYCLE_1)
	v_add_nc_u64_e32 v[4:5], s[4:5], v[4:5]
	v_mov_b64_e32 v[6:7], v[0:1]
	s_mov_b32 s17, s11
	s_wait_kmcnt 0x0
	s_and_b32 s10, s10, 0xffff
	s_lshl_b32 s14, s10, 4
.LBB307_3:                              ; =>This Inner Loop Header: Depth=1
	s_delay_alu instid0(VALU_DEP_2) | instskip(NEXT) | instid1(VALU_DEP_2)
	v_add_nc_u64_e32 v[8:9], s[12:13], v[4:5]
	v_add_nc_u64_e32 v[6:7], s[10:11], v[6:7]
	;; [unrolled: 1-line block ×4, first 2 shown]
	global_load_b128 v[8:11], v[8:9], off offset:-8
	v_lshlrev_b64_e32 v[12:13], 2, v[6:7]
	s_delay_alu instid0(VALU_DEP_1)
	v_cmp_ge_i64_e32 vcc_lo, v[12:13], v[2:3]
	s_or_b32 s17, vcc_lo, s17
	s_wait_loadcnt 0x0
	s_wait_xcnt 0x0
	v_dual_sub_nc_u32 v9, 0, v9 :: v_dual_sub_nc_u32 v8, 0, v8
	v_dual_sub_nc_u32 v11, 0, v11 :: v_dual_sub_nc_u32 v10, 0, v10
	global_store_b128 v[14:15], v[8:11], off
	s_wait_xcnt 0x0
	s_and_not1_b32 exec_lo, exec_lo, s17
	s_cbranch_execnz .LBB307_3
.LBB307_4:
	s_or_b32 exec_lo, exec_lo, s16
	s_mov_b32 s10, 0
.LBB307_5:
	s_delay_alu instid0(SALU_CYCLE_1)
	s_and_not1_b32 vcc_lo, exec_lo, s10
	s_cbranch_vccnz .LBB307_25
; %bb.6:
	v_cmp_lt_i64_e64 s10, s[8:9], 1
	s_and_b32 vcc_lo, exec_lo, s10
	s_cbranch_vccnz .LBB307_25
; %bb.7:
	s_load_b32 s0, s[0:1], 0xc5c
	v_min_i64 v[2:3], 0x10000, s[8:9]
	v_min_u64 v[4:5], 0x10000, s[8:9]
	v_dual_mov_b32 v1, 0 :: v_dual_lshlrev_b32 v10, 2, v0
	s_mov_b32 s9, 0
	s_delay_alu instid0(SALU_CYCLE_1) | instskip(NEXT) | instid1(VALU_DEP_1)
	s_mov_b32 s13, s9
	v_dual_mov_b32 v11, v1 :: v_dual_mov_b32 v27, v1
	s_wait_xcnt 0x0
	s_mov_b32 s1, s9
	s_mov_b32 s11, s9
	s_delay_alu instid0(VALU_DEP_1) | instskip(SKIP_2) | instid1(SALU_CYCLE_1)
	v_add_nc_u64_e32 v[6:7], s[2:3], v[10:11]
	s_wait_kmcnt 0x0
	s_and_b32 s8, s0, 0xffff
	v_add_nc_u64_e32 v[8:9], s[8:9], v[0:1]
	v_mad_nc_u64_u32 v[22:23], s8, 12, v[10:11]
	s_lshl_b32 s12, s8, 3
	s_mul_i32 s10, s8, 3
	v_add_nc_u64_e32 v[18:19], s[12:13], v[10:11]
	s_lshl_b32 s0, s8, 1
	v_add_nc_u64_e32 v[10:11], s[6:7], v[10:11]
	v_lshlrev_b32_e32 v26, 2, v8
	v_add_nc_u64_e32 v[12:13], s[10:11], v[0:1]
	v_add_nc_u64_e32 v[14:15], s[0:1], v[0:1]
	s_mov_b64 s[10:11], 0
	v_add_nc_u64_e32 v[16:17], s[2:3], v[18:19]
	v_add_nc_u64_e32 v[18:19], s[6:7], v[18:19]
	;; [unrolled: 1-line block ×6, first 2 shown]
	s_lshl_b32 s6, s8, 2
	s_mov_b32 s7, s9
	s_lshl_b32 s8, s8, 4
	s_branch .LBB307_9
.LBB307_8:                              ;   in Loop: Header=BB307_9 Depth=1
	s_wait_xcnt 0x0
	s_or_b32 exec_lo, exec_lo, s0
	s_add_nc_u64 s[10:11], s[10:11], s[6:7]
	v_add_nc_u64_e32 v[6:7], s[8:9], v[6:7]
	v_cmp_ge_i64_e32 vcc_lo, s[10:11], v[2:3]
	v_add_nc_u64_e32 v[10:11], s[8:9], v[10:11]
	v_add_nc_u64_e32 v[20:21], s[8:9], v[20:21]
	;; [unrolled: 1-line block ×7, first 2 shown]
	s_cbranch_vccnz .LBB307_25
.LBB307_9:                              ; =>This Inner Loop Header: Depth=1
	s_wait_loadcnt 0x0
	v_add_nc_u64_e32 v[28:29], s[10:11], v[0:1]
	s_delay_alu instid0(VALU_DEP_1)
	v_cmp_lt_u64_e32 vcc_lo, v[28:29], v[4:5]
	v_mov_b32_e32 v29, 0
	s_and_saveexec_b32 s0, vcc_lo
	s_cbranch_execz .LBB307_11
; %bb.10:                               ;   in Loop: Header=BB307_9 Depth=1
	v_add_nc_u64_e32 v[28:29], s[4:5], v[6:7]
	global_load_b32 v29, v[28:29], off
.LBB307_11:                             ;   in Loop: Header=BB307_9 Depth=1
	s_wait_xcnt 0x0
	s_or_b32 exec_lo, exec_lo, s0
	v_add_nc_u64_e32 v[30:31], s[10:11], v[8:9]
	v_mov_b32_e32 v28, 0
	s_delay_alu instid0(VALU_DEP_2)
	v_cmp_lt_u64_e64 s0, v[30:31], v[4:5]
	v_mov_b32_e32 v30, 0
	s_and_saveexec_b32 s1, s0
	s_cbranch_execz .LBB307_13
; %bb.12:                               ;   in Loop: Header=BB307_9 Depth=1
	v_add_nc_u64_e32 v[30:31], s[4:5], v[24:25]
	global_load_b32 v30, v[30:31], off
.LBB307_13:                             ;   in Loop: Header=BB307_9 Depth=1
	s_wait_xcnt 0x0
	s_or_b32 exec_lo, exec_lo, s1
	v_add_nc_u64_e32 v[32:33], s[10:11], v[14:15]
	s_delay_alu instid0(VALU_DEP_1)
	v_cmp_lt_u64_e64 s1, v[32:33], v[4:5]
	s_and_saveexec_b32 s2, s1
	s_cbranch_execz .LBB307_15
; %bb.14:                               ;   in Loop: Header=BB307_9 Depth=1
	v_add_nc_u64_e32 v[32:33], s[4:5], v[16:17]
	global_load_b32 v28, v[32:33], off
.LBB307_15:                             ;   in Loop: Header=BB307_9 Depth=1
	s_wait_xcnt 0x0
	s_or_b32 exec_lo, exec_lo, s2
	v_add_nc_u64_e32 v[32:33], s[10:11], v[12:13]
	v_mov_b32_e32 v31, 0
	s_delay_alu instid0(VALU_DEP_2)
	v_cmp_lt_u64_e64 s2, v[32:33], v[4:5]
	s_and_saveexec_b32 s3, s2
	s_cbranch_execnz .LBB307_20
; %bb.16:                               ;   in Loop: Header=BB307_9 Depth=1
	s_or_b32 exec_lo, exec_lo, s3
	s_and_saveexec_b32 s3, vcc_lo
	s_cbranch_execnz .LBB307_21
.LBB307_17:                             ;   in Loop: Header=BB307_9 Depth=1
	s_or_b32 exec_lo, exec_lo, s3
	s_and_saveexec_b32 s3, s0
	s_cbranch_execnz .LBB307_22
.LBB307_18:                             ;   in Loop: Header=BB307_9 Depth=1
	s_or_b32 exec_lo, exec_lo, s3
	s_and_saveexec_b32 s0, s1
	s_cbranch_execnz .LBB307_23
.LBB307_19:                             ;   in Loop: Header=BB307_9 Depth=1
	s_or_b32 exec_lo, exec_lo, s0
	s_and_saveexec_b32 s0, s2
	s_cbranch_execz .LBB307_8
	s_branch .LBB307_24
.LBB307_20:                             ;   in Loop: Header=BB307_9 Depth=1
	v_add_nc_u64_e32 v[32:33], s[4:5], v[20:21]
	global_load_b32 v31, v[32:33], off
	s_wait_xcnt 0x0
	s_or_b32 exec_lo, exec_lo, s3
	s_and_saveexec_b32 s3, vcc_lo
	s_cbranch_execz .LBB307_17
.LBB307_21:                             ;   in Loop: Header=BB307_9 Depth=1
	v_add_nc_u64_e32 v[32:33], s[4:5], v[10:11]
	s_wait_loadcnt 0x0
	v_sub_nc_u32_e32 v29, 0, v29
	global_store_b32 v[32:33], v29, off
	s_wait_xcnt 0x0
	s_or_b32 exec_lo, exec_lo, s3
	s_and_saveexec_b32 s3, s0
	s_cbranch_execz .LBB307_18
.LBB307_22:                             ;   in Loop: Header=BB307_9 Depth=1
	v_add_nc_u64_e32 v[32:33], s[4:5], v[26:27]
	s_wait_loadcnt 0x0
	v_sub_nc_u32_e32 v29, 0, v30
	global_store_b32 v[32:33], v29, off
	s_wait_xcnt 0x0
	s_or_b32 exec_lo, exec_lo, s3
	s_and_saveexec_b32 s0, s1
	s_cbranch_execz .LBB307_19
.LBB307_23:                             ;   in Loop: Header=BB307_9 Depth=1
	v_add_nc_u64_e32 v[32:33], s[4:5], v[18:19]
	s_wait_loadcnt 0x0
	v_sub_nc_u32_e32 v28, 0, v28
	global_store_b32 v[32:33], v28, off
	s_wait_xcnt 0x0
	s_or_b32 exec_lo, exec_lo, s0
	s_and_saveexec_b32 s0, s2
	s_cbranch_execz .LBB307_8
.LBB307_24:                             ;   in Loop: Header=BB307_9 Depth=1
	s_wait_loadcnt 0x0
	v_add_nc_u64_e32 v[28:29], s[4:5], v[22:23]
	v_sub_nc_u32_e32 v30, 0, v31
	global_store_b32 v[28:29], v30, off
	s_branch .LBB307_8
.LBB307_25:
	s_endpgm
	.section	.rodata,"a",@progbits
	.p2align	6, 0x0
	.amdhsa_kernel _ZN2at6native12_GLOBAL__N_125multi_tensor_apply_kernelINS1_18TensorListMetadataILi2EEENS1_14UnaryOpFunctorIiLi2ELi1ELi1EEEJSt6negateIiEEEEvT_T0_DpT1_
		.amdhsa_group_segment_fixed_size 0
		.amdhsa_private_segment_fixed_size 0
		.amdhsa_kernarg_size 3408
		.amdhsa_user_sgpr_count 2
		.amdhsa_user_sgpr_dispatch_ptr 0
		.amdhsa_user_sgpr_queue_ptr 0
		.amdhsa_user_sgpr_kernarg_segment_ptr 1
		.amdhsa_user_sgpr_dispatch_id 0
		.amdhsa_user_sgpr_kernarg_preload_length 0
		.amdhsa_user_sgpr_kernarg_preload_offset 0
		.amdhsa_user_sgpr_private_segment_size 0
		.amdhsa_wavefront_size32 1
		.amdhsa_uses_dynamic_stack 0
		.amdhsa_enable_private_segment 0
		.amdhsa_system_sgpr_workgroup_id_x 1
		.amdhsa_system_sgpr_workgroup_id_y 0
		.amdhsa_system_sgpr_workgroup_id_z 0
		.amdhsa_system_sgpr_workgroup_info 0
		.amdhsa_system_vgpr_workitem_id 0
		.amdhsa_next_free_vgpr 34
		.amdhsa_next_free_sgpr 20
		.amdhsa_named_barrier_count 0
		.amdhsa_reserve_vcc 1
		.amdhsa_float_round_mode_32 0
		.amdhsa_float_round_mode_16_64 0
		.amdhsa_float_denorm_mode_32 3
		.amdhsa_float_denorm_mode_16_64 3
		.amdhsa_fp16_overflow 0
		.amdhsa_memory_ordered 1
		.amdhsa_forward_progress 1
		.amdhsa_inst_pref_size 9
		.amdhsa_round_robin_scheduling 0
		.amdhsa_exception_fp_ieee_invalid_op 0
		.amdhsa_exception_fp_denorm_src 0
		.amdhsa_exception_fp_ieee_div_zero 0
		.amdhsa_exception_fp_ieee_overflow 0
		.amdhsa_exception_fp_ieee_underflow 0
		.amdhsa_exception_fp_ieee_inexact 0
		.amdhsa_exception_int_div_zero 0
	.end_amdhsa_kernel
	.section	.text._ZN2at6native12_GLOBAL__N_125multi_tensor_apply_kernelINS1_18TensorListMetadataILi2EEENS1_14UnaryOpFunctorIiLi2ELi1ELi1EEEJSt6negateIiEEEEvT_T0_DpT1_,"axG",@progbits,_ZN2at6native12_GLOBAL__N_125multi_tensor_apply_kernelINS1_18TensorListMetadataILi2EEENS1_14UnaryOpFunctorIiLi2ELi1ELi1EEEJSt6negateIiEEEEvT_T0_DpT1_,comdat
.Lfunc_end307:
	.size	_ZN2at6native12_GLOBAL__N_125multi_tensor_apply_kernelINS1_18TensorListMetadataILi2EEENS1_14UnaryOpFunctorIiLi2ELi1ELi1EEEJSt6negateIiEEEEvT_T0_DpT1_, .Lfunc_end307-_ZN2at6native12_GLOBAL__N_125multi_tensor_apply_kernelINS1_18TensorListMetadataILi2EEENS1_14UnaryOpFunctorIiLi2ELi1ELi1EEEJSt6negateIiEEEEvT_T0_DpT1_
                                        ; -- End function
	.set _ZN2at6native12_GLOBAL__N_125multi_tensor_apply_kernelINS1_18TensorListMetadataILi2EEENS1_14UnaryOpFunctorIiLi2ELi1ELi1EEEJSt6negateIiEEEEvT_T0_DpT1_.num_vgpr, 34
	.set _ZN2at6native12_GLOBAL__N_125multi_tensor_apply_kernelINS1_18TensorListMetadataILi2EEENS1_14UnaryOpFunctorIiLi2ELi1ELi1EEEJSt6negateIiEEEEvT_T0_DpT1_.num_agpr, 0
	.set _ZN2at6native12_GLOBAL__N_125multi_tensor_apply_kernelINS1_18TensorListMetadataILi2EEENS1_14UnaryOpFunctorIiLi2ELi1ELi1EEEJSt6negateIiEEEEvT_T0_DpT1_.numbered_sgpr, 20
	.set _ZN2at6native12_GLOBAL__N_125multi_tensor_apply_kernelINS1_18TensorListMetadataILi2EEENS1_14UnaryOpFunctorIiLi2ELi1ELi1EEEJSt6negateIiEEEEvT_T0_DpT1_.num_named_barrier, 0
	.set _ZN2at6native12_GLOBAL__N_125multi_tensor_apply_kernelINS1_18TensorListMetadataILi2EEENS1_14UnaryOpFunctorIiLi2ELi1ELi1EEEJSt6negateIiEEEEvT_T0_DpT1_.private_seg_size, 0
	.set _ZN2at6native12_GLOBAL__N_125multi_tensor_apply_kernelINS1_18TensorListMetadataILi2EEENS1_14UnaryOpFunctorIiLi2ELi1ELi1EEEJSt6negateIiEEEEvT_T0_DpT1_.uses_vcc, 1
	.set _ZN2at6native12_GLOBAL__N_125multi_tensor_apply_kernelINS1_18TensorListMetadataILi2EEENS1_14UnaryOpFunctorIiLi2ELi1ELi1EEEJSt6negateIiEEEEvT_T0_DpT1_.uses_flat_scratch, 0
	.set _ZN2at6native12_GLOBAL__N_125multi_tensor_apply_kernelINS1_18TensorListMetadataILi2EEENS1_14UnaryOpFunctorIiLi2ELi1ELi1EEEJSt6negateIiEEEEvT_T0_DpT1_.has_dyn_sized_stack, 0
	.set _ZN2at6native12_GLOBAL__N_125multi_tensor_apply_kernelINS1_18TensorListMetadataILi2EEENS1_14UnaryOpFunctorIiLi2ELi1ELi1EEEJSt6negateIiEEEEvT_T0_DpT1_.has_recursion, 0
	.set _ZN2at6native12_GLOBAL__N_125multi_tensor_apply_kernelINS1_18TensorListMetadataILi2EEENS1_14UnaryOpFunctorIiLi2ELi1ELi1EEEJSt6negateIiEEEEvT_T0_DpT1_.has_indirect_call, 0
	.section	.AMDGPU.csdata,"",@progbits
; Kernel info:
; codeLenInByte = 1068
; TotalNumSgprs: 22
; NumVgprs: 34
; ScratchSize: 0
; MemoryBound: 0
; FloatMode: 240
; IeeeMode: 1
; LDSByteSize: 0 bytes/workgroup (compile time only)
; SGPRBlocks: 0
; VGPRBlocks: 2
; NumSGPRsForWavesPerEU: 22
; NumVGPRsForWavesPerEU: 34
; NamedBarCnt: 0
; Occupancy: 16
; WaveLimiterHint : 0
; COMPUTE_PGM_RSRC2:SCRATCH_EN: 0
; COMPUTE_PGM_RSRC2:USER_SGPR: 2
; COMPUTE_PGM_RSRC2:TRAP_HANDLER: 0
; COMPUTE_PGM_RSRC2:TGID_X_EN: 1
; COMPUTE_PGM_RSRC2:TGID_Y_EN: 0
; COMPUTE_PGM_RSRC2:TGID_Z_EN: 0
; COMPUTE_PGM_RSRC2:TIDIG_COMP_CNT: 0
	.section	.text._ZN2at6native12_GLOBAL__N_125multi_tensor_apply_kernelINS1_18TensorListMetadataILi2EEENS1_14UnaryOpFunctorIlLi2ELi1ELi1EEEJSt6negateIlEEEEvT_T0_DpT1_,"axG",@progbits,_ZN2at6native12_GLOBAL__N_125multi_tensor_apply_kernelINS1_18TensorListMetadataILi2EEENS1_14UnaryOpFunctorIlLi2ELi1ELi1EEEJSt6negateIlEEEEvT_T0_DpT1_,comdat
	.globl	_ZN2at6native12_GLOBAL__N_125multi_tensor_apply_kernelINS1_18TensorListMetadataILi2EEENS1_14UnaryOpFunctorIlLi2ELi1ELi1EEEJSt6negateIlEEEEvT_T0_DpT1_ ; -- Begin function _ZN2at6native12_GLOBAL__N_125multi_tensor_apply_kernelINS1_18TensorListMetadataILi2EEENS1_14UnaryOpFunctorIlLi2ELi1ELi1EEEJSt6negateIlEEEEvT_T0_DpT1_
	.p2align	8
	.type	_ZN2at6native12_GLOBAL__N_125multi_tensor_apply_kernelINS1_18TensorListMetadataILi2EEENS1_14UnaryOpFunctorIlLi2ELi1ELi1EEEJSt6negateIlEEEEvT_T0_DpT1_,@function
_ZN2at6native12_GLOBAL__N_125multi_tensor_apply_kernelINS1_18TensorListMetadataILi2EEENS1_14UnaryOpFunctorIlLi2ELi1ELi1EEEJSt6negateIlEEEEvT_T0_DpT1_: ; @_ZN2at6native12_GLOBAL__N_125multi_tensor_apply_kernelINS1_18TensorListMetadataILi2EEENS1_14UnaryOpFunctorIlLi2ELi1ELi1EEEJSt6negateIlEEEEvT_T0_DpT1_
; %bb.0:
	s_bfe_u32 s2, ttmp6, 0x4000c
	s_and_b32 s3, ttmp6, 15
	s_add_co_i32 s2, s2, 1
	s_getreg_b32 s4, hwreg(HW_REG_IB_STS2, 6, 4)
	s_mul_i32 s2, ttmp9, s2
	s_mov_b32 s9, 0
	s_add_co_i32 s3, s3, s2
	s_cmp_eq_u32 s4, 0
	s_mov_b32 s15, s9
	s_cselect_b32 s8, ttmp9, s3
	s_load_u8 s11, s[0:1], s8 offset:0x600
	s_add_nc_u64 s[2:3], s[0:1], s[8:9]
	s_mul_u64 s[4:5], s[8:9], 3
	s_delay_alu instid0(SALU_CYCLE_1)
	s_add_nc_u64 s[4:5], s[2:3], s[4:5]
	s_load_b32 s10, s[4:5], 0x740
	s_wait_kmcnt 0x0
	s_clause 0x2
	s_load_b64 s[2:3], s[0:1], s11 offset:0x0 scale_offset
	s_load_b64 s[6:7], s[0:1], s11 offset:0x200 scale_offset
	;; [unrolled: 1-line block ×3, first 2 shown]
	s_wait_xcnt 0x0
	s_ashr_i32 s11, s10, 31
	s_delay_alu instid0(SALU_CYCLE_1)
	s_lshl_b64 s[4:5], s[10:11], 19
	s_wait_kmcnt 0x0
	s_and_b64 s[18:19], s[6:7], 31
	s_add_nc_u64 s[16:17], s[2:3], s[4:5]
	s_and_b32 s14, s12, 3
	s_and_b32 s8, s16, 31
	s_or_b64 s[14:15], s[18:19], s[14:15]
	s_lshl_b64 s[10:11], s[10:11], 16
	s_or_b64 s[14:15], s[14:15], s[8:9]
	s_sub_nc_u64 s[8:9], s[12:13], s[10:11]
	s_cmp_eq_u64 s[14:15], 0
	s_mov_b32 s10, -1
	s_cbranch_scc0 .LBB308_5
; %bb.1:
	v_min_i64 v[2:3], 0x10000, s[8:9]
	v_dual_mov_b32 v5, 0 :: v_dual_lshlrev_b32 v4, 2, v0
	s_mov_b32 s14, exec_lo
	s_delay_alu instid0(VALU_DEP_1)
	v_cmpx_lt_i64_e64 v[4:5], v[2:3]
	s_cbranch_execz .LBB308_4
; %bb.2:
	s_load_b32 s10, s[0:1], 0xc5c
	v_dual_mov_b32 v1, v5 :: v_dual_lshlrev_b32 v4, 5, v0
	s_mov_b32 s11, 0
	s_delay_alu instid0(SALU_CYCLE_1) | instskip(NEXT) | instid1(VALU_DEP_1)
	s_mov_b32 s13, s11
	v_add_nc_u64_e32 v[4:5], s[4:5], v[4:5]
	s_delay_alu instid0(VALU_DEP_2) | instskip(SKIP_3) | instid1(SALU_CYCLE_1)
	v_mov_b64_e32 v[6:7], v[0:1]
	s_mov_b32 s15, s11
	s_wait_kmcnt 0x0
	s_and_b32 s10, s10, 0xffff
	s_lshl_b32 s12, s10, 5
.LBB308_3:                              ; =>This Inner Loop Header: Depth=1
	s_delay_alu instid0(VALU_DEP_2) | instskip(NEXT) | instid1(VALU_DEP_2)
	v_add_nc_u64_e32 v[16:17], s[2:3], v[4:5]
	v_add_nc_u64_e32 v[6:7], s[10:11], v[6:7]
	;; [unrolled: 1-line block ×4, first 2 shown]
	s_clause 0x1
	global_load_b128 v[8:11], v[16:17], off
	global_load_b128 v[12:15], v[16:17], off offset:16
	s_wait_xcnt 0x0
	v_lshlrev_b64_e32 v[16:17], 2, v[6:7]
	s_delay_alu instid0(VALU_DEP_1)
	v_cmp_ge_i64_e32 vcc_lo, v[16:17], v[2:3]
	s_or_b32 s15, vcc_lo, s15
	s_wait_loadcnt 0x1
	v_sub_nc_u64_e32 v[8:9], 0, v[8:9]
	v_sub_nc_u64_e32 v[10:11], 0, v[10:11]
	s_wait_loadcnt 0x0
	v_sub_nc_u64_e32 v[12:13], 0, v[12:13]
	v_sub_nc_u64_e32 v[14:15], 0, v[14:15]
	s_clause 0x1
	global_store_b128 v[18:19], v[8:11], off
	global_store_b128 v[18:19], v[12:15], off offset:16
	s_wait_xcnt 0x0
	s_and_not1_b32 exec_lo, exec_lo, s15
	s_cbranch_execnz .LBB308_3
.LBB308_4:
	s_or_b32 exec_lo, exec_lo, s14
	s_mov_b32 s10, 0
.LBB308_5:
	s_delay_alu instid0(SALU_CYCLE_1)
	s_and_not1_b32 vcc_lo, exec_lo, s10
	s_cbranch_vccnz .LBB308_25
; %bb.6:
	v_cmp_lt_i64_e64 s10, s[8:9], 1
	s_and_b32 vcc_lo, exec_lo, s10
	s_cbranch_vccnz .LBB308_25
; %bb.7:
	s_load_b32 s0, s[0:1], 0xc5c
	v_min_i64 v[2:3], 0x10000, s[8:9]
	v_min_u64 v[4:5], 0x10000, s[8:9]
	v_dual_mov_b32 v1, 0 :: v_dual_lshlrev_b32 v10, 3, v0
	s_mov_b32 s9, 0
	s_delay_alu instid0(SALU_CYCLE_1) | instskip(NEXT) | instid1(VALU_DEP_1)
	s_mov_b32 s13, s9
	v_dual_mov_b32 v11, v1 :: v_dual_mov_b32 v27, v1
	s_wait_xcnt 0x0
	s_mov_b32 s1, s9
	s_mov_b32 s11, s9
	s_delay_alu instid0(VALU_DEP_1) | instskip(SKIP_2) | instid1(SALU_CYCLE_1)
	v_add_nc_u64_e32 v[6:7], s[2:3], v[10:11]
	s_wait_kmcnt 0x0
	s_and_b32 s8, s0, 0xffff
	v_add_nc_u64_e32 v[8:9], s[8:9], v[0:1]
	v_mad_nc_u64_u32 v[22:23], s8, 24, v[10:11]
	s_lshl_b32 s12, s8, 4
	s_mul_i32 s10, s8, 3
	v_add_nc_u64_e32 v[18:19], s[12:13], v[10:11]
	s_lshl_b32 s0, s8, 1
	v_add_nc_u64_e32 v[10:11], s[6:7], v[10:11]
	v_lshlrev_b32_e32 v26, 3, v8
	v_add_nc_u64_e32 v[12:13], s[10:11], v[0:1]
	v_add_nc_u64_e32 v[14:15], s[0:1], v[0:1]
	s_mov_b64 s[10:11], 0
	v_add_nc_u64_e32 v[16:17], s[2:3], v[18:19]
	v_add_nc_u64_e32 v[18:19], s[6:7], v[18:19]
	;; [unrolled: 1-line block ×6, first 2 shown]
	s_lshl_b32 s6, s8, 2
	s_mov_b32 s7, s9
	s_lshl_b32 s8, s8, 5
	s_branch .LBB308_9
.LBB308_8:                              ;   in Loop: Header=BB308_9 Depth=1
	s_wait_xcnt 0x0
	s_or_b32 exec_lo, exec_lo, s0
	s_add_nc_u64 s[10:11], s[10:11], s[6:7]
	v_add_nc_u64_e32 v[6:7], s[8:9], v[6:7]
	v_cmp_ge_i64_e32 vcc_lo, s[10:11], v[2:3]
	v_add_nc_u64_e32 v[10:11], s[8:9], v[10:11]
	v_add_nc_u64_e32 v[20:21], s[8:9], v[20:21]
	;; [unrolled: 1-line block ×7, first 2 shown]
	s_cbranch_vccnz .LBB308_25
.LBB308_9:                              ; =>This Inner Loop Header: Depth=1
	s_wait_loadcnt 0x0
	v_add_nc_u64_e32 v[30:31], s[10:11], v[0:1]
	v_mov_b64_e32 v[28:29], 0
	v_mov_b64_e32 v[32:33], 0
	s_delay_alu instid0(VALU_DEP_3)
	v_cmp_lt_u64_e32 vcc_lo, v[30:31], v[4:5]
	s_and_saveexec_b32 s0, vcc_lo
	s_cbranch_execz .LBB308_11
; %bb.10:                               ;   in Loop: Header=BB308_9 Depth=1
	v_add_nc_u64_e32 v[30:31], s[4:5], v[6:7]
	global_load_b64 v[32:33], v[30:31], off
.LBB308_11:                             ;   in Loop: Header=BB308_9 Depth=1
	s_wait_xcnt 0x0
	s_or_b32 exec_lo, exec_lo, s0
	v_add_nc_u64_e32 v[30:31], s[10:11], v[8:9]
	s_delay_alu instid0(VALU_DEP_1)
	v_cmp_lt_u64_e64 s0, v[30:31], v[4:5]
	s_and_saveexec_b32 s1, s0
	s_cbranch_execz .LBB308_13
; %bb.12:                               ;   in Loop: Header=BB308_9 Depth=1
	v_add_nc_u64_e32 v[28:29], s[4:5], v[24:25]
	global_load_b64 v[28:29], v[28:29], off
.LBB308_13:                             ;   in Loop: Header=BB308_9 Depth=1
	s_wait_xcnt 0x0
	s_or_b32 exec_lo, exec_lo, s1
	v_add_nc_u64_e32 v[34:35], s[10:11], v[14:15]
	v_mov_b64_e32 v[30:31], 0
	s_delay_alu instid0(VALU_DEP_2)
	v_cmp_lt_u64_e64 s1, v[34:35], v[4:5]
	v_mov_b64_e32 v[34:35], 0
	s_and_saveexec_b32 s2, s1
	s_cbranch_execz .LBB308_15
; %bb.14:                               ;   in Loop: Header=BB308_9 Depth=1
	v_add_nc_u64_e32 v[34:35], s[4:5], v[16:17]
	global_load_b64 v[34:35], v[34:35], off
.LBB308_15:                             ;   in Loop: Header=BB308_9 Depth=1
	s_wait_xcnt 0x0
	s_or_b32 exec_lo, exec_lo, s2
	v_add_nc_u64_e32 v[36:37], s[10:11], v[12:13]
	s_delay_alu instid0(VALU_DEP_1)
	v_cmp_lt_u64_e64 s2, v[36:37], v[4:5]
	s_and_saveexec_b32 s3, s2
	s_cbranch_execnz .LBB308_20
; %bb.16:                               ;   in Loop: Header=BB308_9 Depth=1
	s_or_b32 exec_lo, exec_lo, s3
	s_and_saveexec_b32 s3, vcc_lo
	s_cbranch_execnz .LBB308_21
.LBB308_17:                             ;   in Loop: Header=BB308_9 Depth=1
	s_or_b32 exec_lo, exec_lo, s3
	s_and_saveexec_b32 s3, s0
	s_cbranch_execnz .LBB308_22
.LBB308_18:                             ;   in Loop: Header=BB308_9 Depth=1
	s_or_b32 exec_lo, exec_lo, s3
	s_and_saveexec_b32 s0, s1
	s_cbranch_execnz .LBB308_23
.LBB308_19:                             ;   in Loop: Header=BB308_9 Depth=1
	s_or_b32 exec_lo, exec_lo, s0
	s_and_saveexec_b32 s0, s2
	s_cbranch_execz .LBB308_8
	s_branch .LBB308_24
.LBB308_20:                             ;   in Loop: Header=BB308_9 Depth=1
	v_add_nc_u64_e32 v[30:31], s[4:5], v[20:21]
	global_load_b64 v[30:31], v[30:31], off
	s_wait_xcnt 0x0
	s_or_b32 exec_lo, exec_lo, s3
	s_and_saveexec_b32 s3, vcc_lo
	s_cbranch_execz .LBB308_17
.LBB308_21:                             ;   in Loop: Header=BB308_9 Depth=1
	v_add_nc_u64_e32 v[36:37], s[4:5], v[10:11]
	s_wait_loadcnt 0x0
	v_sub_nc_u64_e32 v[32:33], 0, v[32:33]
	global_store_b64 v[36:37], v[32:33], off
	s_wait_xcnt 0x0
	s_or_b32 exec_lo, exec_lo, s3
	s_and_saveexec_b32 s3, s0
	s_cbranch_execz .LBB308_18
.LBB308_22:                             ;   in Loop: Header=BB308_9 Depth=1
	s_wait_loadcnt 0x0
	v_sub_nc_u64_e32 v[28:29], 0, v[28:29]
	v_add_nc_u64_e32 v[32:33], s[4:5], v[26:27]
	global_store_b64 v[32:33], v[28:29], off
	s_wait_xcnt 0x0
	s_or_b32 exec_lo, exec_lo, s3
	s_and_saveexec_b32 s0, s1
	s_cbranch_execz .LBB308_19
.LBB308_23:                             ;   in Loop: Header=BB308_9 Depth=1
	s_wait_loadcnt 0x0
	v_sub_nc_u64_e32 v[28:29], 0, v[34:35]
	v_add_nc_u64_e32 v[32:33], s[4:5], v[18:19]
	global_store_b64 v[32:33], v[28:29], off
	s_wait_xcnt 0x0
	s_or_b32 exec_lo, exec_lo, s0
	s_and_saveexec_b32 s0, s2
	s_cbranch_execz .LBB308_8
.LBB308_24:                             ;   in Loop: Header=BB308_9 Depth=1
	s_wait_loadcnt 0x0
	v_sub_nc_u64_e32 v[28:29], 0, v[30:31]
	v_add_nc_u64_e32 v[30:31], s[4:5], v[22:23]
	global_store_b64 v[30:31], v[28:29], off
	s_branch .LBB308_8
.LBB308_25:
	s_endpgm
	.section	.rodata,"a",@progbits
	.p2align	6, 0x0
	.amdhsa_kernel _ZN2at6native12_GLOBAL__N_125multi_tensor_apply_kernelINS1_18TensorListMetadataILi2EEENS1_14UnaryOpFunctorIlLi2ELi1ELi1EEEJSt6negateIlEEEEvT_T0_DpT1_
		.amdhsa_group_segment_fixed_size 0
		.amdhsa_private_segment_fixed_size 0
		.amdhsa_kernarg_size 3408
		.amdhsa_user_sgpr_count 2
		.amdhsa_user_sgpr_dispatch_ptr 0
		.amdhsa_user_sgpr_queue_ptr 0
		.amdhsa_user_sgpr_kernarg_segment_ptr 1
		.amdhsa_user_sgpr_dispatch_id 0
		.amdhsa_user_sgpr_kernarg_preload_length 0
		.amdhsa_user_sgpr_kernarg_preload_offset 0
		.amdhsa_user_sgpr_private_segment_size 0
		.amdhsa_wavefront_size32 1
		.amdhsa_uses_dynamic_stack 0
		.amdhsa_enable_private_segment 0
		.amdhsa_system_sgpr_workgroup_id_x 1
		.amdhsa_system_sgpr_workgroup_id_y 0
		.amdhsa_system_sgpr_workgroup_id_z 0
		.amdhsa_system_sgpr_workgroup_info 0
		.amdhsa_system_vgpr_workitem_id 0
		.amdhsa_next_free_vgpr 38
		.amdhsa_next_free_sgpr 20
		.amdhsa_named_barrier_count 0
		.amdhsa_reserve_vcc 1
		.amdhsa_float_round_mode_32 0
		.amdhsa_float_round_mode_16_64 0
		.amdhsa_float_denorm_mode_32 3
		.amdhsa_float_denorm_mode_16_64 3
		.amdhsa_fp16_overflow 0
		.amdhsa_memory_ordered 1
		.amdhsa_forward_progress 1
		.amdhsa_inst_pref_size 9
		.amdhsa_round_robin_scheduling 0
		.amdhsa_exception_fp_ieee_invalid_op 0
		.amdhsa_exception_fp_denorm_src 0
		.amdhsa_exception_fp_ieee_div_zero 0
		.amdhsa_exception_fp_ieee_overflow 0
		.amdhsa_exception_fp_ieee_underflow 0
		.amdhsa_exception_fp_ieee_inexact 0
		.amdhsa_exception_int_div_zero 0
	.end_amdhsa_kernel
	.section	.text._ZN2at6native12_GLOBAL__N_125multi_tensor_apply_kernelINS1_18TensorListMetadataILi2EEENS1_14UnaryOpFunctorIlLi2ELi1ELi1EEEJSt6negateIlEEEEvT_T0_DpT1_,"axG",@progbits,_ZN2at6native12_GLOBAL__N_125multi_tensor_apply_kernelINS1_18TensorListMetadataILi2EEENS1_14UnaryOpFunctorIlLi2ELi1ELi1EEEJSt6negateIlEEEEvT_T0_DpT1_,comdat
.Lfunc_end308:
	.size	_ZN2at6native12_GLOBAL__N_125multi_tensor_apply_kernelINS1_18TensorListMetadataILi2EEENS1_14UnaryOpFunctorIlLi2ELi1ELi1EEEJSt6negateIlEEEEvT_T0_DpT1_, .Lfunc_end308-_ZN2at6native12_GLOBAL__N_125multi_tensor_apply_kernelINS1_18TensorListMetadataILi2EEENS1_14UnaryOpFunctorIlLi2ELi1ELi1EEEJSt6negateIlEEEEvT_T0_DpT1_
                                        ; -- End function
	.set _ZN2at6native12_GLOBAL__N_125multi_tensor_apply_kernelINS1_18TensorListMetadataILi2EEENS1_14UnaryOpFunctorIlLi2ELi1ELi1EEEJSt6negateIlEEEEvT_T0_DpT1_.num_vgpr, 38
	.set _ZN2at6native12_GLOBAL__N_125multi_tensor_apply_kernelINS1_18TensorListMetadataILi2EEENS1_14UnaryOpFunctorIlLi2ELi1ELi1EEEJSt6negateIlEEEEvT_T0_DpT1_.num_agpr, 0
	.set _ZN2at6native12_GLOBAL__N_125multi_tensor_apply_kernelINS1_18TensorListMetadataILi2EEENS1_14UnaryOpFunctorIlLi2ELi1ELi1EEEJSt6negateIlEEEEvT_T0_DpT1_.numbered_sgpr, 20
	.set _ZN2at6native12_GLOBAL__N_125multi_tensor_apply_kernelINS1_18TensorListMetadataILi2EEENS1_14UnaryOpFunctorIlLi2ELi1ELi1EEEJSt6negateIlEEEEvT_T0_DpT1_.num_named_barrier, 0
	.set _ZN2at6native12_GLOBAL__N_125multi_tensor_apply_kernelINS1_18TensorListMetadataILi2EEENS1_14UnaryOpFunctorIlLi2ELi1ELi1EEEJSt6negateIlEEEEvT_T0_DpT1_.private_seg_size, 0
	.set _ZN2at6native12_GLOBAL__N_125multi_tensor_apply_kernelINS1_18TensorListMetadataILi2EEENS1_14UnaryOpFunctorIlLi2ELi1ELi1EEEJSt6negateIlEEEEvT_T0_DpT1_.uses_vcc, 1
	.set _ZN2at6native12_GLOBAL__N_125multi_tensor_apply_kernelINS1_18TensorListMetadataILi2EEENS1_14UnaryOpFunctorIlLi2ELi1ELi1EEEJSt6negateIlEEEEvT_T0_DpT1_.uses_flat_scratch, 0
	.set _ZN2at6native12_GLOBAL__N_125multi_tensor_apply_kernelINS1_18TensorListMetadataILi2EEENS1_14UnaryOpFunctorIlLi2ELi1ELi1EEEJSt6negateIlEEEEvT_T0_DpT1_.has_dyn_sized_stack, 0
	.set _ZN2at6native12_GLOBAL__N_125multi_tensor_apply_kernelINS1_18TensorListMetadataILi2EEENS1_14UnaryOpFunctorIlLi2ELi1ELi1EEEJSt6negateIlEEEEvT_T0_DpT1_.has_recursion, 0
	.set _ZN2at6native12_GLOBAL__N_125multi_tensor_apply_kernelINS1_18TensorListMetadataILi2EEENS1_14UnaryOpFunctorIlLi2ELi1ELi1EEEJSt6negateIlEEEEvT_T0_DpT1_.has_indirect_call, 0
	.section	.AMDGPU.csdata,"",@progbits
; Kernel info:
; codeLenInByte = 1096
; TotalNumSgprs: 22
; NumVgprs: 38
; ScratchSize: 0
; MemoryBound: 0
; FloatMode: 240
; IeeeMode: 1
; LDSByteSize: 0 bytes/workgroup (compile time only)
; SGPRBlocks: 0
; VGPRBlocks: 2
; NumSGPRsForWavesPerEU: 22
; NumVGPRsForWavesPerEU: 38
; NamedBarCnt: 0
; Occupancy: 16
; WaveLimiterHint : 0
; COMPUTE_PGM_RSRC2:SCRATCH_EN: 0
; COMPUTE_PGM_RSRC2:USER_SGPR: 2
; COMPUTE_PGM_RSRC2:TRAP_HANDLER: 0
; COMPUTE_PGM_RSRC2:TGID_X_EN: 1
; COMPUTE_PGM_RSRC2:TGID_Y_EN: 0
; COMPUTE_PGM_RSRC2:TGID_Z_EN: 0
; COMPUTE_PGM_RSRC2:TIDIG_COMP_CNT: 0
	.section	.text._ZN2at6native12_GLOBAL__N_125multi_tensor_apply_kernelINS1_18TensorListMetadataILi2EEENS1_14UnaryOpFunctorIsLi2ELi1ELi1EEEJSt6negateIsEEEEvT_T0_DpT1_,"axG",@progbits,_ZN2at6native12_GLOBAL__N_125multi_tensor_apply_kernelINS1_18TensorListMetadataILi2EEENS1_14UnaryOpFunctorIsLi2ELi1ELi1EEEJSt6negateIsEEEEvT_T0_DpT1_,comdat
	.globl	_ZN2at6native12_GLOBAL__N_125multi_tensor_apply_kernelINS1_18TensorListMetadataILi2EEENS1_14UnaryOpFunctorIsLi2ELi1ELi1EEEJSt6negateIsEEEEvT_T0_DpT1_ ; -- Begin function _ZN2at6native12_GLOBAL__N_125multi_tensor_apply_kernelINS1_18TensorListMetadataILi2EEENS1_14UnaryOpFunctorIsLi2ELi1ELi1EEEJSt6negateIsEEEEvT_T0_DpT1_
	.p2align	8
	.type	_ZN2at6native12_GLOBAL__N_125multi_tensor_apply_kernelINS1_18TensorListMetadataILi2EEENS1_14UnaryOpFunctorIsLi2ELi1ELi1EEEJSt6negateIsEEEEvT_T0_DpT1_,@function
_ZN2at6native12_GLOBAL__N_125multi_tensor_apply_kernelINS1_18TensorListMetadataILi2EEENS1_14UnaryOpFunctorIsLi2ELi1ELi1EEEJSt6negateIsEEEEvT_T0_DpT1_: ; @_ZN2at6native12_GLOBAL__N_125multi_tensor_apply_kernelINS1_18TensorListMetadataILi2EEENS1_14UnaryOpFunctorIsLi2ELi1ELi1EEEJSt6negateIsEEEEvT_T0_DpT1_
; %bb.0:
	s_bfe_u32 s2, ttmp6, 0x4000c
	s_and_b32 s3, ttmp6, 15
	s_add_co_i32 s2, s2, 1
	s_getreg_b32 s4, hwreg(HW_REG_IB_STS2, 6, 4)
	s_mul_i32 s2, ttmp9, s2
	s_mov_b32 s7, 0
	s_add_co_i32 s3, s3, s2
	s_cmp_eq_u32 s4, 0
	s_mov_b32 s15, s7
	s_cselect_b32 s6, ttmp9, s3
	s_load_u8 s11, s[0:1], s6 offset:0x600
	s_add_nc_u64 s[2:3], s[0:1], s[6:7]
	s_mul_u64 s[4:5], s[6:7], 3
	s_delay_alu instid0(SALU_CYCLE_1)
	s_add_nc_u64 s[4:5], s[2:3], s[4:5]
	s_load_b32 s10, s[4:5], 0x740
	s_wait_kmcnt 0x0
	s_clause 0x2
	s_load_b64 s[2:3], s[0:1], s11 offset:0x0 scale_offset
	s_load_b64 s[8:9], s[0:1], s11 offset:0x200 scale_offset
	s_load_b64 s[12:13], s[0:1], s11 offset:0x400 scale_offset
	s_wait_xcnt 0x0
	s_ashr_i32 s11, s10, 31
	s_delay_alu instid0(SALU_CYCLE_1)
	s_lshl_b64 s[4:5], s[10:11], 17
	s_wait_kmcnt 0x0
	s_and_b64 s[18:19], s[8:9], 7
	s_add_nc_u64 s[16:17], s[2:3], s[4:5]
	s_and_b32 s14, s12, 3
	s_and_b32 s6, s16, 7
	s_or_b64 s[14:15], s[18:19], s[14:15]
	s_lshl_b64 s[10:11], s[10:11], 16
	s_or_b64 s[14:15], s[14:15], s[6:7]
	s_sub_nc_u64 s[6:7], s[12:13], s[10:11]
	s_cmp_eq_u64 s[14:15], 0
	s_mov_b32 s10, -1
	s_cbranch_scc0 .LBB309_5
; %bb.1:
	v_min_i64 v[2:3], 0x10000, s[6:7]
	v_dual_mov_b32 v5, 0 :: v_dual_lshlrev_b32 v4, 2, v0
	s_mov_b32 s14, exec_lo
	s_delay_alu instid0(VALU_DEP_1)
	v_cmpx_lt_i64_e64 v[4:5], v[2:3]
	s_cbranch_execz .LBB309_4
; %bb.2:
	s_load_b32 s10, s[0:1], 0xc5c
	v_dual_mov_b32 v1, v5 :: v_dual_lshlrev_b32 v4, 3, v0
	s_mov_b32 s11, 0
	s_delay_alu instid0(SALU_CYCLE_1) | instskip(NEXT) | instid1(VALU_DEP_1)
	s_mov_b32 s13, s11
	v_add_nc_u64_e32 v[4:5], s[4:5], v[4:5]
	s_delay_alu instid0(VALU_DEP_2) | instskip(SKIP_3) | instid1(SALU_CYCLE_1)
	v_mov_b64_e32 v[6:7], v[0:1]
	s_mov_b32 s15, s11
	s_wait_kmcnt 0x0
	s_and_b32 s10, s10, 0xffff
	s_lshl_b32 s12, s10, 3
.LBB309_3:                              ; =>This Inner Loop Header: Depth=1
	s_delay_alu instid0(VALU_DEP_2) | instskip(NEXT) | instid1(VALU_DEP_2)
	v_add_nc_u64_e32 v[8:9], s[2:3], v[4:5]
	v_add_nc_u64_e32 v[6:7], s[10:11], v[6:7]
	global_load_b64 v[8:9], v[8:9], off
	v_lshlrev_b64_e32 v[10:11], 2, v[6:7]
	s_delay_alu instid0(VALU_DEP_1)
	v_cmp_ge_i64_e32 vcc_lo, v[10:11], v[2:3]
	v_add_nc_u64_e32 v[10:11], s[8:9], v[4:5]
	v_add_nc_u64_e32 v[4:5], s[12:13], v[4:5]
	s_or_b32 s15, vcc_lo, s15
	s_wait_loadcnt 0x0
	s_wait_xcnt 0x0
	v_pk_sub_i16 v9, 0, v9
	v_pk_sub_i16 v8, 0, v8
	global_store_b64 v[10:11], v[8:9], off
	s_wait_xcnt 0x0
	s_and_not1_b32 exec_lo, exec_lo, s15
	s_cbranch_execnz .LBB309_3
.LBB309_4:
	s_or_b32 exec_lo, exec_lo, s14
	s_mov_b32 s10, 0
.LBB309_5:
	s_delay_alu instid0(SALU_CYCLE_1)
	s_and_not1_b32 vcc_lo, exec_lo, s10
	s_cbranch_vccnz .LBB309_25
; %bb.6:
	v_cmp_lt_i64_e64 s10, s[6:7], 1
	s_and_b32 vcc_lo, exec_lo, s10
	s_cbranch_vccnz .LBB309_25
; %bb.7:
	s_load_b32 s0, s[0:1], 0xc5c
	v_min_i64 v[2:3], 0x10000, s[6:7]
	v_min_u64 v[4:5], 0x10000, s[6:7]
	v_dual_mov_b32 v1, 0 :: v_dual_lshlrev_b32 v10, 1, v0
	s_wait_xcnt 0x0
	s_mov_b32 s1, 0
	s_delay_alu instid0(SALU_CYCLE_1) | instskip(NEXT) | instid1(VALU_DEP_1)
	s_mov_b32 s7, s1
	v_dual_mov_b32 v11, v1 :: v_dual_mov_b32 v27, v1
	s_mov_b32 s11, s1
	s_mov_b32 s13, s1
	v_mov_b32_e32 v29, v1
	s_delay_alu instid0(VALU_DEP_2) | instskip(SKIP_3) | instid1(SALU_CYCLE_1)
	v_add_nc_u64_e32 v[6:7], s[2:3], v[10:11]
	v_mov_b32_e32 v28, v1
	s_wait_kmcnt 0x0
	s_and_b32 s0, s0, 0xffff
	v_add_nc_u64_e32 v[8:9], s[0:1], v[0:1]
	v_mad_nc_u64_u32 v[22:23], s0, 6, v[10:11]
	s_lshl_b32 s6, s0, 2
	s_mul_i32 s12, s0, 3
	v_add_nc_u64_e32 v[18:19], s[6:7], v[10:11]
	s_lshl_b32 s10, s0, 1
	v_add_nc_u64_e32 v[10:11], s[8:9], v[10:11]
	v_lshlrev_b32_e32 v26, 1, v8
	v_add_nc_u64_e32 v[12:13], s[12:13], v[0:1]
	v_add_nc_u64_e32 v[14:15], s[10:11], v[0:1]
	s_mov_b64 s[10:11], 0
	v_add_nc_u64_e32 v[16:17], s[2:3], v[18:19]
	v_add_nc_u64_e32 v[18:19], s[8:9], v[18:19]
	;; [unrolled: 1-line block ×6, first 2 shown]
	s_lshl_b32 s8, s0, 3
	s_mov_b32 s9, s1
	s_branch .LBB309_9
.LBB309_8:                              ;   in Loop: Header=BB309_9 Depth=1
	s_wait_xcnt 0x0
	s_or_b32 exec_lo, exec_lo, s0
	s_add_nc_u64 s[10:11], s[10:11], s[6:7]
	v_add_nc_u64_e32 v[6:7], s[8:9], v[6:7]
	v_cmp_ge_i64_e32 vcc_lo, s[10:11], v[2:3]
	v_add_nc_u64_e32 v[10:11], s[8:9], v[10:11]
	v_add_nc_u64_e32 v[20:21], s[8:9], v[20:21]
	;; [unrolled: 1-line block ×7, first 2 shown]
	s_cbranch_vccnz .LBB309_25
.LBB309_9:                              ; =>This Inner Loop Header: Depth=1
	v_add_nc_u64_e32 v[30:31], s[10:11], v[0:1]
	v_and_b32_e32 v28, 0xffff0000, v28
	s_delay_alu instid0(VALU_DEP_2)
	v_cmp_lt_u64_e32 vcc_lo, v[30:31], v[4:5]
	s_and_saveexec_b32 s0, vcc_lo
	s_cbranch_execz .LBB309_11
; %bb.10:                               ;   in Loop: Header=BB309_9 Depth=1
	v_add_nc_u64_e32 v[30:31], s[4:5], v[6:7]
	global_load_u16 v30, v[30:31], off
	s_wait_loadcnt 0x0
	v_bfi_b32 v28, 0xffff, v30, v28
.LBB309_11:                             ;   in Loop: Header=BB309_9 Depth=1
	s_wait_xcnt 0x0
	s_or_b32 exec_lo, exec_lo, s0
	v_add_nc_u64_e32 v[30:31], s[10:11], v[8:9]
	s_delay_alu instid0(VALU_DEP_2) | instskip(NEXT) | instid1(VALU_DEP_2)
	v_and_b32_e32 v28, 0xffff, v28
	v_cmp_lt_u64_e64 s0, v[30:31], v[4:5]
	s_and_saveexec_b32 s1, s0
	s_cbranch_execz .LBB309_13
; %bb.12:                               ;   in Loop: Header=BB309_9 Depth=1
	v_add_nc_u64_e32 v[30:31], s[4:5], v[24:25]
	global_load_u16 v30, v[30:31], off
	s_wait_loadcnt 0x0
	v_perm_b32 v28, v30, v28, 0x5040100
.LBB309_13:                             ;   in Loop: Header=BB309_9 Depth=1
	s_wait_xcnt 0x0
	s_or_b32 exec_lo, exec_lo, s1
	v_add_nc_u64_e32 v[30:31], s[10:11], v[14:15]
	v_and_b32_e32 v29, 0xffff0000, v29
	s_delay_alu instid0(VALU_DEP_2)
	v_cmp_lt_u64_e64 s1, v[30:31], v[4:5]
	s_and_saveexec_b32 s2, s1
	s_cbranch_execz .LBB309_15
; %bb.14:                               ;   in Loop: Header=BB309_9 Depth=1
	v_add_nc_u64_e32 v[30:31], s[4:5], v[16:17]
	global_load_u16 v30, v[30:31], off
	s_wait_loadcnt 0x0
	v_bfi_b32 v29, 0xffff, v30, v29
.LBB309_15:                             ;   in Loop: Header=BB309_9 Depth=1
	s_wait_xcnt 0x0
	s_or_b32 exec_lo, exec_lo, s2
	v_add_nc_u64_e32 v[30:31], s[10:11], v[12:13]
	s_delay_alu instid0(VALU_DEP_2) | instskip(NEXT) | instid1(VALU_DEP_2)
	v_and_b32_e32 v29, 0xffff, v29
	v_cmp_lt_u64_e64 s2, v[30:31], v[4:5]
	s_and_saveexec_b32 s3, s2
	s_cbranch_execnz .LBB309_20
; %bb.16:                               ;   in Loop: Header=BB309_9 Depth=1
	s_or_b32 exec_lo, exec_lo, s3
	v_pk_sub_i16 v28, 0, v28
	s_and_saveexec_b32 s3, vcc_lo
	s_cbranch_execnz .LBB309_21
.LBB309_17:                             ;   in Loop: Header=BB309_9 Depth=1
	s_or_b32 exec_lo, exec_lo, s3
	s_and_saveexec_b32 s3, s0
	s_cbranch_execnz .LBB309_22
.LBB309_18:                             ;   in Loop: Header=BB309_9 Depth=1
	s_or_b32 exec_lo, exec_lo, s3
	v_pk_sub_i16 v29, 0, v29
	s_and_saveexec_b32 s0, s1
	s_cbranch_execnz .LBB309_23
.LBB309_19:                             ;   in Loop: Header=BB309_9 Depth=1
	s_or_b32 exec_lo, exec_lo, s0
	s_and_saveexec_b32 s0, s2
	s_cbranch_execz .LBB309_8
	s_branch .LBB309_24
.LBB309_20:                             ;   in Loop: Header=BB309_9 Depth=1
	v_add_nc_u64_e32 v[30:31], s[4:5], v[20:21]
	global_load_u16 v30, v[30:31], off
	s_wait_loadcnt 0x0
	v_perm_b32 v29, v30, v29, 0x5040100
	s_wait_xcnt 0x0
	s_or_b32 exec_lo, exec_lo, s3
	v_pk_sub_i16 v28, 0, v28
	s_and_saveexec_b32 s3, vcc_lo
	s_cbranch_execz .LBB309_17
.LBB309_21:                             ;   in Loop: Header=BB309_9 Depth=1
	v_add_nc_u64_e32 v[30:31], s[4:5], v[10:11]
	global_store_b16 v[30:31], v28, off
	s_wait_xcnt 0x0
	s_or_b32 exec_lo, exec_lo, s3
	s_and_saveexec_b32 s3, s0
	s_cbranch_execz .LBB309_18
.LBB309_22:                             ;   in Loop: Header=BB309_9 Depth=1
	v_add_nc_u64_e32 v[30:31], s[4:5], v[26:27]
	global_store_d16_hi_b16 v[30:31], v28, off
	s_wait_xcnt 0x0
	s_or_b32 exec_lo, exec_lo, s3
	v_pk_sub_i16 v29, 0, v29
	s_and_saveexec_b32 s0, s1
	s_cbranch_execz .LBB309_19
.LBB309_23:                             ;   in Loop: Header=BB309_9 Depth=1
	v_add_nc_u64_e32 v[30:31], s[4:5], v[18:19]
	global_store_b16 v[30:31], v29, off
	s_wait_xcnt 0x0
	s_or_b32 exec_lo, exec_lo, s0
	s_and_saveexec_b32 s0, s2
	s_cbranch_execz .LBB309_8
.LBB309_24:                             ;   in Loop: Header=BB309_9 Depth=1
	v_add_nc_u64_e32 v[30:31], s[4:5], v[22:23]
	global_store_d16_hi_b16 v[30:31], v29, off
	s_branch .LBB309_8
.LBB309_25:
	s_endpgm
	.section	.rodata,"a",@progbits
	.p2align	6, 0x0
	.amdhsa_kernel _ZN2at6native12_GLOBAL__N_125multi_tensor_apply_kernelINS1_18TensorListMetadataILi2EEENS1_14UnaryOpFunctorIsLi2ELi1ELi1EEEJSt6negateIsEEEEvT_T0_DpT1_
		.amdhsa_group_segment_fixed_size 0
		.amdhsa_private_segment_fixed_size 0
		.amdhsa_kernarg_size 3408
		.amdhsa_user_sgpr_count 2
		.amdhsa_user_sgpr_dispatch_ptr 0
		.amdhsa_user_sgpr_queue_ptr 0
		.amdhsa_user_sgpr_kernarg_segment_ptr 1
		.amdhsa_user_sgpr_dispatch_id 0
		.amdhsa_user_sgpr_kernarg_preload_length 0
		.amdhsa_user_sgpr_kernarg_preload_offset 0
		.amdhsa_user_sgpr_private_segment_size 0
		.amdhsa_wavefront_size32 1
		.amdhsa_uses_dynamic_stack 0
		.amdhsa_enable_private_segment 0
		.amdhsa_system_sgpr_workgroup_id_x 1
		.amdhsa_system_sgpr_workgroup_id_y 0
		.amdhsa_system_sgpr_workgroup_id_z 0
		.amdhsa_system_sgpr_workgroup_info 0
		.amdhsa_system_vgpr_workitem_id 0
		.amdhsa_next_free_vgpr 32
		.amdhsa_next_free_sgpr 20
		.amdhsa_named_barrier_count 0
		.amdhsa_reserve_vcc 1
		.amdhsa_float_round_mode_32 0
		.amdhsa_float_round_mode_16_64 0
		.amdhsa_float_denorm_mode_32 3
		.amdhsa_float_denorm_mode_16_64 3
		.amdhsa_fp16_overflow 0
		.amdhsa_memory_ordered 1
		.amdhsa_forward_progress 1
		.amdhsa_inst_pref_size 9
		.amdhsa_round_robin_scheduling 0
		.amdhsa_exception_fp_ieee_invalid_op 0
		.amdhsa_exception_fp_denorm_src 0
		.amdhsa_exception_fp_ieee_div_zero 0
		.amdhsa_exception_fp_ieee_overflow 0
		.amdhsa_exception_fp_ieee_underflow 0
		.amdhsa_exception_fp_ieee_inexact 0
		.amdhsa_exception_int_div_zero 0
	.end_amdhsa_kernel
	.section	.text._ZN2at6native12_GLOBAL__N_125multi_tensor_apply_kernelINS1_18TensorListMetadataILi2EEENS1_14UnaryOpFunctorIsLi2ELi1ELi1EEEJSt6negateIsEEEEvT_T0_DpT1_,"axG",@progbits,_ZN2at6native12_GLOBAL__N_125multi_tensor_apply_kernelINS1_18TensorListMetadataILi2EEENS1_14UnaryOpFunctorIsLi2ELi1ELi1EEEJSt6negateIsEEEEvT_T0_DpT1_,comdat
.Lfunc_end309:
	.size	_ZN2at6native12_GLOBAL__N_125multi_tensor_apply_kernelINS1_18TensorListMetadataILi2EEENS1_14UnaryOpFunctorIsLi2ELi1ELi1EEEJSt6negateIsEEEEvT_T0_DpT1_, .Lfunc_end309-_ZN2at6native12_GLOBAL__N_125multi_tensor_apply_kernelINS1_18TensorListMetadataILi2EEENS1_14UnaryOpFunctorIsLi2ELi1ELi1EEEJSt6negateIsEEEEvT_T0_DpT1_
                                        ; -- End function
	.set _ZN2at6native12_GLOBAL__N_125multi_tensor_apply_kernelINS1_18TensorListMetadataILi2EEENS1_14UnaryOpFunctorIsLi2ELi1ELi1EEEJSt6negateIsEEEEvT_T0_DpT1_.num_vgpr, 32
	.set _ZN2at6native12_GLOBAL__N_125multi_tensor_apply_kernelINS1_18TensorListMetadataILi2EEENS1_14UnaryOpFunctorIsLi2ELi1ELi1EEEJSt6negateIsEEEEvT_T0_DpT1_.num_agpr, 0
	.set _ZN2at6native12_GLOBAL__N_125multi_tensor_apply_kernelINS1_18TensorListMetadataILi2EEENS1_14UnaryOpFunctorIsLi2ELi1ELi1EEEJSt6negateIsEEEEvT_T0_DpT1_.numbered_sgpr, 20
	.set _ZN2at6native12_GLOBAL__N_125multi_tensor_apply_kernelINS1_18TensorListMetadataILi2EEENS1_14UnaryOpFunctorIsLi2ELi1ELi1EEEJSt6negateIsEEEEvT_T0_DpT1_.num_named_barrier, 0
	.set _ZN2at6native12_GLOBAL__N_125multi_tensor_apply_kernelINS1_18TensorListMetadataILi2EEENS1_14UnaryOpFunctorIsLi2ELi1ELi1EEEJSt6negateIsEEEEvT_T0_DpT1_.private_seg_size, 0
	.set _ZN2at6native12_GLOBAL__N_125multi_tensor_apply_kernelINS1_18TensorListMetadataILi2EEENS1_14UnaryOpFunctorIsLi2ELi1ELi1EEEJSt6negateIsEEEEvT_T0_DpT1_.uses_vcc, 1
	.set _ZN2at6native12_GLOBAL__N_125multi_tensor_apply_kernelINS1_18TensorListMetadataILi2EEENS1_14UnaryOpFunctorIsLi2ELi1ELi1EEEJSt6negateIsEEEEvT_T0_DpT1_.uses_flat_scratch, 0
	.set _ZN2at6native12_GLOBAL__N_125multi_tensor_apply_kernelINS1_18TensorListMetadataILi2EEENS1_14UnaryOpFunctorIsLi2ELi1ELi1EEEJSt6negateIsEEEEvT_T0_DpT1_.has_dyn_sized_stack, 0
	.set _ZN2at6native12_GLOBAL__N_125multi_tensor_apply_kernelINS1_18TensorListMetadataILi2EEENS1_14UnaryOpFunctorIsLi2ELi1ELi1EEEJSt6negateIsEEEEvT_T0_DpT1_.has_recursion, 0
	.set _ZN2at6native12_GLOBAL__N_125multi_tensor_apply_kernelINS1_18TensorListMetadataILi2EEENS1_14UnaryOpFunctorIsLi2ELi1ELi1EEEJSt6negateIsEEEEvT_T0_DpT1_.has_indirect_call, 0
	.section	.AMDGPU.csdata,"",@progbits
; Kernel info:
; codeLenInByte = 1140
; TotalNumSgprs: 22
; NumVgprs: 32
; ScratchSize: 0
; MemoryBound: 0
; FloatMode: 240
; IeeeMode: 1
; LDSByteSize: 0 bytes/workgroup (compile time only)
; SGPRBlocks: 0
; VGPRBlocks: 1
; NumSGPRsForWavesPerEU: 22
; NumVGPRsForWavesPerEU: 32
; NamedBarCnt: 0
; Occupancy: 16
; WaveLimiterHint : 0
; COMPUTE_PGM_RSRC2:SCRATCH_EN: 0
; COMPUTE_PGM_RSRC2:USER_SGPR: 2
; COMPUTE_PGM_RSRC2:TRAP_HANDLER: 0
; COMPUTE_PGM_RSRC2:TGID_X_EN: 1
; COMPUTE_PGM_RSRC2:TGID_Y_EN: 0
; COMPUTE_PGM_RSRC2:TGID_Z_EN: 0
; COMPUTE_PGM_RSRC2:TIDIG_COMP_CNT: 0
	.section	.text._ZN2at6native12_GLOBAL__N_125multi_tensor_apply_kernelINS1_18TensorListMetadataILi2EEENS1_14UnaryOpFunctorIdLi2ELi1ELi1EEEJSt6negateIdEEEEvT_T0_DpT1_,"axG",@progbits,_ZN2at6native12_GLOBAL__N_125multi_tensor_apply_kernelINS1_18TensorListMetadataILi2EEENS1_14UnaryOpFunctorIdLi2ELi1ELi1EEEJSt6negateIdEEEEvT_T0_DpT1_,comdat
	.globl	_ZN2at6native12_GLOBAL__N_125multi_tensor_apply_kernelINS1_18TensorListMetadataILi2EEENS1_14UnaryOpFunctorIdLi2ELi1ELi1EEEJSt6negateIdEEEEvT_T0_DpT1_ ; -- Begin function _ZN2at6native12_GLOBAL__N_125multi_tensor_apply_kernelINS1_18TensorListMetadataILi2EEENS1_14UnaryOpFunctorIdLi2ELi1ELi1EEEJSt6negateIdEEEEvT_T0_DpT1_
	.p2align	8
	.type	_ZN2at6native12_GLOBAL__N_125multi_tensor_apply_kernelINS1_18TensorListMetadataILi2EEENS1_14UnaryOpFunctorIdLi2ELi1ELi1EEEJSt6negateIdEEEEvT_T0_DpT1_,@function
_ZN2at6native12_GLOBAL__N_125multi_tensor_apply_kernelINS1_18TensorListMetadataILi2EEENS1_14UnaryOpFunctorIdLi2ELi1ELi1EEEJSt6negateIdEEEEvT_T0_DpT1_: ; @_ZN2at6native12_GLOBAL__N_125multi_tensor_apply_kernelINS1_18TensorListMetadataILi2EEENS1_14UnaryOpFunctorIdLi2ELi1ELi1EEEJSt6negateIdEEEEvT_T0_DpT1_
; %bb.0:
	s_bfe_u32 s2, ttmp6, 0x4000c
	s_and_b32 s3, ttmp6, 15
	s_add_co_i32 s2, s2, 1
	s_getreg_b32 s4, hwreg(HW_REG_IB_STS2, 6, 4)
	s_mul_i32 s2, ttmp9, s2
	s_mov_b32 s9, 0
	s_add_co_i32 s3, s3, s2
	s_cmp_eq_u32 s4, 0
	s_mov_b32 s15, s9
	s_cselect_b32 s8, ttmp9, s3
	s_load_u8 s11, s[0:1], s8 offset:0x600
	s_add_nc_u64 s[2:3], s[0:1], s[8:9]
	s_mul_u64 s[4:5], s[8:9], 3
	s_delay_alu instid0(SALU_CYCLE_1)
	s_add_nc_u64 s[4:5], s[2:3], s[4:5]
	s_load_b32 s10, s[4:5], 0x740
	s_wait_kmcnt 0x0
	s_clause 0x2
	s_load_b64 s[2:3], s[0:1], s11 offset:0x0 scale_offset
	s_load_b64 s[6:7], s[0:1], s11 offset:0x200 scale_offset
	;; [unrolled: 1-line block ×3, first 2 shown]
	s_wait_xcnt 0x0
	s_ashr_i32 s11, s10, 31
	s_delay_alu instid0(SALU_CYCLE_1)
	s_lshl_b64 s[4:5], s[10:11], 19
	s_wait_kmcnt 0x0
	s_and_b64 s[18:19], s[6:7], 31
	s_add_nc_u64 s[16:17], s[2:3], s[4:5]
	s_and_b32 s14, s12, 3
	s_and_b32 s8, s16, 31
	s_or_b64 s[14:15], s[18:19], s[14:15]
	s_lshl_b64 s[10:11], s[10:11], 16
	s_or_b64 s[14:15], s[14:15], s[8:9]
	s_sub_nc_u64 s[8:9], s[12:13], s[10:11]
	s_cmp_eq_u64 s[14:15], 0
	s_mov_b32 s10, -1
	s_cbranch_scc0 .LBB310_5
; %bb.1:
	v_min_i64 v[2:3], 0x10000, s[8:9]
	v_dual_mov_b32 v5, 0 :: v_dual_lshlrev_b32 v4, 2, v0
	s_mov_b32 s14, exec_lo
	s_delay_alu instid0(VALU_DEP_1)
	v_cmpx_lt_i64_e64 v[4:5], v[2:3]
	s_cbranch_execz .LBB310_4
; %bb.2:
	s_load_b32 s10, s[0:1], 0xc5c
	v_dual_mov_b32 v1, v5 :: v_dual_lshlrev_b32 v4, 5, v0
	s_mov_b32 s11, 0
	s_delay_alu instid0(SALU_CYCLE_1) | instskip(NEXT) | instid1(VALU_DEP_1)
	s_mov_b32 s13, s11
	v_add_nc_u64_e32 v[4:5], s[4:5], v[4:5]
	s_delay_alu instid0(VALU_DEP_2) | instskip(SKIP_3) | instid1(SALU_CYCLE_1)
	v_mov_b64_e32 v[6:7], v[0:1]
	s_mov_b32 s15, s11
	s_wait_kmcnt 0x0
	s_and_b32 s10, s10, 0xffff
	s_lshl_b32 s12, s10, 5
.LBB310_3:                              ; =>This Inner Loop Header: Depth=1
	s_delay_alu instid0(VALU_DEP_2) | instskip(NEXT) | instid1(VALU_DEP_2)
	v_add_nc_u64_e32 v[16:17], s[2:3], v[4:5]
	v_add_nc_u64_e32 v[6:7], s[10:11], v[6:7]
	;; [unrolled: 1-line block ×4, first 2 shown]
	s_clause 0x1
	global_load_b128 v[8:11], v[16:17], off
	global_load_b128 v[12:15], v[16:17], off offset:16
	s_wait_xcnt 0x0
	v_lshlrev_b64_e32 v[16:17], 2, v[6:7]
	s_delay_alu instid0(VALU_DEP_1)
	v_cmp_ge_i64_e32 vcc_lo, v[16:17], v[2:3]
	s_or_b32 s15, vcc_lo, s15
	s_wait_loadcnt 0x1
	v_xor_b32_e32 v9, 0x80000000, v9
	v_xor_b32_e32 v11, 0x80000000, v11
	s_wait_loadcnt 0x0
	v_xor_b32_e32 v13, 0x80000000, v13
	v_xor_b32_e32 v15, 0x80000000, v15
	s_clause 0x1
	global_store_b128 v[18:19], v[8:11], off
	global_store_b128 v[18:19], v[12:15], off offset:16
	s_wait_xcnt 0x0
	s_and_not1_b32 exec_lo, exec_lo, s15
	s_cbranch_execnz .LBB310_3
.LBB310_4:
	s_or_b32 exec_lo, exec_lo, s14
	s_mov_b32 s10, 0
.LBB310_5:
	s_delay_alu instid0(SALU_CYCLE_1)
	s_and_not1_b32 vcc_lo, exec_lo, s10
	s_cbranch_vccnz .LBB310_25
; %bb.6:
	v_cmp_lt_i64_e64 s10, s[8:9], 1
	s_and_b32 vcc_lo, exec_lo, s10
	s_cbranch_vccnz .LBB310_25
; %bb.7:
	s_load_b32 s0, s[0:1], 0xc5c
	v_min_i64 v[2:3], 0x10000, s[8:9]
	v_min_u64 v[4:5], 0x10000, s[8:9]
	v_dual_mov_b32 v1, 0 :: v_dual_lshlrev_b32 v10, 3, v0
	s_mov_b32 s9, 0
	s_delay_alu instid0(SALU_CYCLE_1) | instskip(NEXT) | instid1(VALU_DEP_1)
	s_mov_b32 s13, s9
	v_dual_mov_b32 v11, v1 :: v_dual_mov_b32 v27, v1
	s_wait_xcnt 0x0
	s_mov_b32 s1, s9
	s_mov_b32 s11, s9
	s_delay_alu instid0(VALU_DEP_1) | instskip(SKIP_2) | instid1(SALU_CYCLE_1)
	v_add_nc_u64_e32 v[6:7], s[2:3], v[10:11]
	s_wait_kmcnt 0x0
	s_and_b32 s8, s0, 0xffff
	v_add_nc_u64_e32 v[8:9], s[8:9], v[0:1]
	v_mad_nc_u64_u32 v[22:23], s8, 24, v[10:11]
	s_lshl_b32 s12, s8, 4
	s_mul_i32 s10, s8, 3
	v_add_nc_u64_e32 v[18:19], s[12:13], v[10:11]
	s_lshl_b32 s0, s8, 1
	v_add_nc_u64_e32 v[10:11], s[6:7], v[10:11]
	v_lshlrev_b32_e32 v26, 3, v8
	v_add_nc_u64_e32 v[12:13], s[10:11], v[0:1]
	v_add_nc_u64_e32 v[14:15], s[0:1], v[0:1]
	s_mov_b64 s[10:11], 0
	v_add_nc_u64_e32 v[16:17], s[2:3], v[18:19]
	v_add_nc_u64_e32 v[18:19], s[6:7], v[18:19]
	;; [unrolled: 1-line block ×6, first 2 shown]
	s_lshl_b32 s6, s8, 2
	s_mov_b32 s7, s9
	s_lshl_b32 s8, s8, 5
	s_branch .LBB310_9
.LBB310_8:                              ;   in Loop: Header=BB310_9 Depth=1
	s_wait_xcnt 0x0
	s_or_b32 exec_lo, exec_lo, s0
	s_add_nc_u64 s[10:11], s[10:11], s[6:7]
	v_add_nc_u64_e32 v[6:7], s[8:9], v[6:7]
	v_cmp_ge_i64_e32 vcc_lo, s[10:11], v[2:3]
	v_add_nc_u64_e32 v[10:11], s[8:9], v[10:11]
	v_add_nc_u64_e32 v[20:21], s[8:9], v[20:21]
	v_add_nc_u64_e32 v[22:23], s[8:9], v[22:23]
	v_add_nc_u64_e32 v[16:17], s[8:9], v[16:17]
	v_add_nc_u64_e32 v[18:19], s[8:9], v[18:19]
	v_add_nc_u64_e32 v[24:25], s[8:9], v[24:25]
	v_add_nc_u64_e32 v[26:27], s[8:9], v[26:27]
	s_cbranch_vccnz .LBB310_25
.LBB310_9:                              ; =>This Inner Loop Header: Depth=1
	s_wait_loadcnt 0x0
	v_add_nc_u64_e32 v[30:31], s[10:11], v[0:1]
	v_mov_b64_e32 v[28:29], 0
	v_mov_b64_e32 v[32:33], 0
	s_delay_alu instid0(VALU_DEP_3)
	v_cmp_lt_u64_e32 vcc_lo, v[30:31], v[4:5]
	s_and_saveexec_b32 s0, vcc_lo
	s_cbranch_execz .LBB310_11
; %bb.10:                               ;   in Loop: Header=BB310_9 Depth=1
	v_add_nc_u64_e32 v[30:31], s[4:5], v[6:7]
	global_load_b64 v[32:33], v[30:31], off
.LBB310_11:                             ;   in Loop: Header=BB310_9 Depth=1
	s_wait_xcnt 0x0
	s_or_b32 exec_lo, exec_lo, s0
	v_add_nc_u64_e32 v[30:31], s[10:11], v[8:9]
	s_delay_alu instid0(VALU_DEP_1)
	v_cmp_lt_u64_e64 s0, v[30:31], v[4:5]
	s_and_saveexec_b32 s1, s0
	s_cbranch_execz .LBB310_13
; %bb.12:                               ;   in Loop: Header=BB310_9 Depth=1
	v_add_nc_u64_e32 v[28:29], s[4:5], v[24:25]
	global_load_b64 v[28:29], v[28:29], off
.LBB310_13:                             ;   in Loop: Header=BB310_9 Depth=1
	s_wait_xcnt 0x0
	s_or_b32 exec_lo, exec_lo, s1
	v_add_nc_u64_e32 v[34:35], s[10:11], v[14:15]
	v_mov_b64_e32 v[30:31], 0
	s_delay_alu instid0(VALU_DEP_2)
	v_cmp_lt_u64_e64 s1, v[34:35], v[4:5]
	v_mov_b64_e32 v[34:35], 0
	s_and_saveexec_b32 s2, s1
	s_cbranch_execz .LBB310_15
; %bb.14:                               ;   in Loop: Header=BB310_9 Depth=1
	v_add_nc_u64_e32 v[34:35], s[4:5], v[16:17]
	global_load_b64 v[34:35], v[34:35], off
.LBB310_15:                             ;   in Loop: Header=BB310_9 Depth=1
	s_wait_xcnt 0x0
	s_or_b32 exec_lo, exec_lo, s2
	v_add_nc_u64_e32 v[36:37], s[10:11], v[12:13]
	s_delay_alu instid0(VALU_DEP_1)
	v_cmp_lt_u64_e64 s2, v[36:37], v[4:5]
	s_and_saveexec_b32 s3, s2
	s_cbranch_execnz .LBB310_20
; %bb.16:                               ;   in Loop: Header=BB310_9 Depth=1
	s_or_b32 exec_lo, exec_lo, s3
	s_and_saveexec_b32 s3, vcc_lo
	s_cbranch_execnz .LBB310_21
.LBB310_17:                             ;   in Loop: Header=BB310_9 Depth=1
	s_or_b32 exec_lo, exec_lo, s3
	s_and_saveexec_b32 s3, s0
	s_cbranch_execnz .LBB310_22
.LBB310_18:                             ;   in Loop: Header=BB310_9 Depth=1
	s_or_b32 exec_lo, exec_lo, s3
	s_and_saveexec_b32 s0, s1
	s_cbranch_execnz .LBB310_23
.LBB310_19:                             ;   in Loop: Header=BB310_9 Depth=1
	s_or_b32 exec_lo, exec_lo, s0
	s_and_saveexec_b32 s0, s2
	s_cbranch_execz .LBB310_8
	s_branch .LBB310_24
.LBB310_20:                             ;   in Loop: Header=BB310_9 Depth=1
	v_add_nc_u64_e32 v[30:31], s[4:5], v[20:21]
	global_load_b64 v[30:31], v[30:31], off
	s_wait_xcnt 0x0
	s_or_b32 exec_lo, exec_lo, s3
	s_and_saveexec_b32 s3, vcc_lo
	s_cbranch_execz .LBB310_17
.LBB310_21:                             ;   in Loop: Header=BB310_9 Depth=1
	v_add_nc_u64_e32 v[36:37], s[4:5], v[10:11]
	s_wait_loadcnt 0x0
	v_xor_b32_e32 v33, 0x80000000, v33
	global_store_b64 v[36:37], v[32:33], off
	s_wait_xcnt 0x0
	s_or_b32 exec_lo, exec_lo, s3
	s_and_saveexec_b32 s3, s0
	s_cbranch_execz .LBB310_18
.LBB310_22:                             ;   in Loop: Header=BB310_9 Depth=1
	s_wait_loadcnt 0x0
	v_add_nc_u64_e32 v[32:33], s[4:5], v[26:27]
	v_xor_b32_e32 v29, 0x80000000, v29
	global_store_b64 v[32:33], v[28:29], off
	s_wait_xcnt 0x0
	s_or_b32 exec_lo, exec_lo, s3
	s_and_saveexec_b32 s0, s1
	s_cbranch_execz .LBB310_19
.LBB310_23:                             ;   in Loop: Header=BB310_9 Depth=1
	s_wait_loadcnt 0x0
	v_add_nc_u64_e32 v[28:29], s[4:5], v[18:19]
	v_xor_b32_e32 v35, 0x80000000, v35
	global_store_b64 v[28:29], v[34:35], off
	s_wait_xcnt 0x0
	s_or_b32 exec_lo, exec_lo, s0
	s_and_saveexec_b32 s0, s2
	s_cbranch_execz .LBB310_8
.LBB310_24:                             ;   in Loop: Header=BB310_9 Depth=1
	s_wait_loadcnt 0x0
	v_add_nc_u64_e32 v[28:29], s[4:5], v[22:23]
	v_xor_b32_e32 v31, 0x80000000, v31
	global_store_b64 v[28:29], v[30:31], off
	s_branch .LBB310_8
.LBB310_25:
	s_endpgm
	.section	.rodata,"a",@progbits
	.p2align	6, 0x0
	.amdhsa_kernel _ZN2at6native12_GLOBAL__N_125multi_tensor_apply_kernelINS1_18TensorListMetadataILi2EEENS1_14UnaryOpFunctorIdLi2ELi1ELi1EEEJSt6negateIdEEEEvT_T0_DpT1_
		.amdhsa_group_segment_fixed_size 0
		.amdhsa_private_segment_fixed_size 0
		.amdhsa_kernarg_size 3408
		.amdhsa_user_sgpr_count 2
		.amdhsa_user_sgpr_dispatch_ptr 0
		.amdhsa_user_sgpr_queue_ptr 0
		.amdhsa_user_sgpr_kernarg_segment_ptr 1
		.amdhsa_user_sgpr_dispatch_id 0
		.amdhsa_user_sgpr_kernarg_preload_length 0
		.amdhsa_user_sgpr_kernarg_preload_offset 0
		.amdhsa_user_sgpr_private_segment_size 0
		.amdhsa_wavefront_size32 1
		.amdhsa_uses_dynamic_stack 0
		.amdhsa_enable_private_segment 0
		.amdhsa_system_sgpr_workgroup_id_x 1
		.amdhsa_system_sgpr_workgroup_id_y 0
		.amdhsa_system_sgpr_workgroup_id_z 0
		.amdhsa_system_sgpr_workgroup_info 0
		.amdhsa_system_vgpr_workitem_id 0
		.amdhsa_next_free_vgpr 38
		.amdhsa_next_free_sgpr 20
		.amdhsa_named_barrier_count 0
		.amdhsa_reserve_vcc 1
		.amdhsa_float_round_mode_32 0
		.amdhsa_float_round_mode_16_64 0
		.amdhsa_float_denorm_mode_32 3
		.amdhsa_float_denorm_mode_16_64 3
		.amdhsa_fp16_overflow 0
		.amdhsa_memory_ordered 1
		.amdhsa_forward_progress 1
		.amdhsa_inst_pref_size 9
		.amdhsa_round_robin_scheduling 0
		.amdhsa_exception_fp_ieee_invalid_op 0
		.amdhsa_exception_fp_denorm_src 0
		.amdhsa_exception_fp_ieee_div_zero 0
		.amdhsa_exception_fp_ieee_overflow 0
		.amdhsa_exception_fp_ieee_underflow 0
		.amdhsa_exception_fp_ieee_inexact 0
		.amdhsa_exception_int_div_zero 0
	.end_amdhsa_kernel
	.section	.text._ZN2at6native12_GLOBAL__N_125multi_tensor_apply_kernelINS1_18TensorListMetadataILi2EEENS1_14UnaryOpFunctorIdLi2ELi1ELi1EEEJSt6negateIdEEEEvT_T0_DpT1_,"axG",@progbits,_ZN2at6native12_GLOBAL__N_125multi_tensor_apply_kernelINS1_18TensorListMetadataILi2EEENS1_14UnaryOpFunctorIdLi2ELi1ELi1EEEJSt6negateIdEEEEvT_T0_DpT1_,comdat
.Lfunc_end310:
	.size	_ZN2at6native12_GLOBAL__N_125multi_tensor_apply_kernelINS1_18TensorListMetadataILi2EEENS1_14UnaryOpFunctorIdLi2ELi1ELi1EEEJSt6negateIdEEEEvT_T0_DpT1_, .Lfunc_end310-_ZN2at6native12_GLOBAL__N_125multi_tensor_apply_kernelINS1_18TensorListMetadataILi2EEENS1_14UnaryOpFunctorIdLi2ELi1ELi1EEEJSt6negateIdEEEEvT_T0_DpT1_
                                        ; -- End function
	.set _ZN2at6native12_GLOBAL__N_125multi_tensor_apply_kernelINS1_18TensorListMetadataILi2EEENS1_14UnaryOpFunctorIdLi2ELi1ELi1EEEJSt6negateIdEEEEvT_T0_DpT1_.num_vgpr, 38
	.set _ZN2at6native12_GLOBAL__N_125multi_tensor_apply_kernelINS1_18TensorListMetadataILi2EEENS1_14UnaryOpFunctorIdLi2ELi1ELi1EEEJSt6negateIdEEEEvT_T0_DpT1_.num_agpr, 0
	.set _ZN2at6native12_GLOBAL__N_125multi_tensor_apply_kernelINS1_18TensorListMetadataILi2EEENS1_14UnaryOpFunctorIdLi2ELi1ELi1EEEJSt6negateIdEEEEvT_T0_DpT1_.numbered_sgpr, 20
	.set _ZN2at6native12_GLOBAL__N_125multi_tensor_apply_kernelINS1_18TensorListMetadataILi2EEENS1_14UnaryOpFunctorIdLi2ELi1ELi1EEEJSt6negateIdEEEEvT_T0_DpT1_.num_named_barrier, 0
	.set _ZN2at6native12_GLOBAL__N_125multi_tensor_apply_kernelINS1_18TensorListMetadataILi2EEENS1_14UnaryOpFunctorIdLi2ELi1ELi1EEEJSt6negateIdEEEEvT_T0_DpT1_.private_seg_size, 0
	.set _ZN2at6native12_GLOBAL__N_125multi_tensor_apply_kernelINS1_18TensorListMetadataILi2EEENS1_14UnaryOpFunctorIdLi2ELi1ELi1EEEJSt6negateIdEEEEvT_T0_DpT1_.uses_vcc, 1
	.set _ZN2at6native12_GLOBAL__N_125multi_tensor_apply_kernelINS1_18TensorListMetadataILi2EEENS1_14UnaryOpFunctorIdLi2ELi1ELi1EEEJSt6negateIdEEEEvT_T0_DpT1_.uses_flat_scratch, 0
	.set _ZN2at6native12_GLOBAL__N_125multi_tensor_apply_kernelINS1_18TensorListMetadataILi2EEENS1_14UnaryOpFunctorIdLi2ELi1ELi1EEEJSt6negateIdEEEEvT_T0_DpT1_.has_dyn_sized_stack, 0
	.set _ZN2at6native12_GLOBAL__N_125multi_tensor_apply_kernelINS1_18TensorListMetadataILi2EEENS1_14UnaryOpFunctorIdLi2ELi1ELi1EEEJSt6negateIdEEEEvT_T0_DpT1_.has_recursion, 0
	.set _ZN2at6native12_GLOBAL__N_125multi_tensor_apply_kernelINS1_18TensorListMetadataILi2EEENS1_14UnaryOpFunctorIdLi2ELi1ELi1EEEJSt6negateIdEEEEvT_T0_DpT1_.has_indirect_call, 0
	.section	.AMDGPU.csdata,"",@progbits
; Kernel info:
; codeLenInByte = 1128
; TotalNumSgprs: 22
; NumVgprs: 38
; ScratchSize: 0
; MemoryBound: 0
; FloatMode: 240
; IeeeMode: 1
; LDSByteSize: 0 bytes/workgroup (compile time only)
; SGPRBlocks: 0
; VGPRBlocks: 2
; NumSGPRsForWavesPerEU: 22
; NumVGPRsForWavesPerEU: 38
; NamedBarCnt: 0
; Occupancy: 16
; WaveLimiterHint : 0
; COMPUTE_PGM_RSRC2:SCRATCH_EN: 0
; COMPUTE_PGM_RSRC2:USER_SGPR: 2
; COMPUTE_PGM_RSRC2:TRAP_HANDLER: 0
; COMPUTE_PGM_RSRC2:TGID_X_EN: 1
; COMPUTE_PGM_RSRC2:TGID_Y_EN: 0
; COMPUTE_PGM_RSRC2:TGID_Z_EN: 0
; COMPUTE_PGM_RSRC2:TIDIG_COMP_CNT: 0
	.section	.text._ZN2at6native12_GLOBAL__N_125multi_tensor_apply_kernelINS1_18TensorListMetadataILi2EEENS1_14UnaryOpFunctorIfLi2ELi1ELi1EEEJSt6negateIfEEEEvT_T0_DpT1_,"axG",@progbits,_ZN2at6native12_GLOBAL__N_125multi_tensor_apply_kernelINS1_18TensorListMetadataILi2EEENS1_14UnaryOpFunctorIfLi2ELi1ELi1EEEJSt6negateIfEEEEvT_T0_DpT1_,comdat
	.globl	_ZN2at6native12_GLOBAL__N_125multi_tensor_apply_kernelINS1_18TensorListMetadataILi2EEENS1_14UnaryOpFunctorIfLi2ELi1ELi1EEEJSt6negateIfEEEEvT_T0_DpT1_ ; -- Begin function _ZN2at6native12_GLOBAL__N_125multi_tensor_apply_kernelINS1_18TensorListMetadataILi2EEENS1_14UnaryOpFunctorIfLi2ELi1ELi1EEEJSt6negateIfEEEEvT_T0_DpT1_
	.p2align	8
	.type	_ZN2at6native12_GLOBAL__N_125multi_tensor_apply_kernelINS1_18TensorListMetadataILi2EEENS1_14UnaryOpFunctorIfLi2ELi1ELi1EEEJSt6negateIfEEEEvT_T0_DpT1_,@function
_ZN2at6native12_GLOBAL__N_125multi_tensor_apply_kernelINS1_18TensorListMetadataILi2EEENS1_14UnaryOpFunctorIfLi2ELi1ELi1EEEJSt6negateIfEEEEvT_T0_DpT1_: ; @_ZN2at6native12_GLOBAL__N_125multi_tensor_apply_kernelINS1_18TensorListMetadataILi2EEENS1_14UnaryOpFunctorIfLi2ELi1ELi1EEEJSt6negateIfEEEEvT_T0_DpT1_
; %bb.0:
	s_bfe_u32 s2, ttmp6, 0x4000c
	s_and_b32 s3, ttmp6, 15
	s_add_co_i32 s2, s2, 1
	s_getreg_b32 s4, hwreg(HW_REG_IB_STS2, 6, 4)
	s_mul_i32 s2, ttmp9, s2
	s_mov_b32 s9, 0
	s_add_co_i32 s3, s3, s2
	s_cmp_eq_u32 s4, 0
	s_mov_b32 s15, s9
	s_cselect_b32 s8, ttmp9, s3
	s_load_u8 s11, s[0:1], s8 offset:0x600
	s_add_nc_u64 s[2:3], s[0:1], s[8:9]
	s_mul_u64 s[4:5], s[8:9], 3
	s_delay_alu instid0(SALU_CYCLE_1)
	s_add_nc_u64 s[4:5], s[2:3], s[4:5]
	s_load_b32 s10, s[4:5], 0x740
	s_wait_kmcnt 0x0
	s_clause 0x2
	s_load_b64 s[2:3], s[0:1], s11 offset:0x0 scale_offset
	s_load_b64 s[6:7], s[0:1], s11 offset:0x200 scale_offset
	;; [unrolled: 1-line block ×3, first 2 shown]
	s_wait_xcnt 0x0
	s_ashr_i32 s11, s10, 31
	s_delay_alu instid0(SALU_CYCLE_1)
	s_lshl_b64 s[4:5], s[10:11], 18
	s_wait_kmcnt 0x0
	s_and_b64 s[18:19], s[6:7], 15
	s_add_nc_u64 s[16:17], s[2:3], s[4:5]
	s_and_b32 s14, s12, 3
	s_and_b32 s8, s16, 15
	s_or_b64 s[14:15], s[18:19], s[14:15]
	s_lshl_b64 s[10:11], s[10:11], 16
	s_or_b64 s[14:15], s[14:15], s[8:9]
	s_sub_nc_u64 s[8:9], s[12:13], s[10:11]
	s_cmp_eq_u64 s[14:15], 0
	s_mov_b32 s10, -1
	s_cbranch_scc0 .LBB311_5
; %bb.1:
	v_min_i64 v[2:3], 0x10000, s[8:9]
	v_dual_mov_b32 v5, 0 :: v_dual_lshlrev_b32 v4, 2, v0
	s_mov_b32 s16, exec_lo
	s_delay_alu instid0(VALU_DEP_1)
	v_cmpx_lt_i64_e64 v[4:5], v[2:3]
	s_cbranch_execz .LBB311_4
; %bb.2:
	s_load_b32 s10, s[0:1], 0xc5c
	v_dual_mov_b32 v1, v5 :: v_dual_lshlrev_b32 v4, 4, v0
	s_mov_b32 s11, 0
	s_add_nc_u64 s[12:13], s[2:3], 8
	s_mov_b32 s15, s11
	s_delay_alu instid0(VALU_DEP_1) | instskip(SKIP_4) | instid1(SALU_CYCLE_1)
	v_add_nc_u64_e32 v[4:5], s[4:5], v[4:5]
	v_mov_b64_e32 v[6:7], v[0:1]
	s_mov_b32 s17, s11
	s_wait_kmcnt 0x0
	s_and_b32 s10, s10, 0xffff
	s_lshl_b32 s14, s10, 4
.LBB311_3:                              ; =>This Inner Loop Header: Depth=1
	s_delay_alu instid0(VALU_DEP_2) | instskip(NEXT) | instid1(VALU_DEP_2)
	v_add_nc_u64_e32 v[8:9], s[12:13], v[4:5]
	v_add_nc_u64_e32 v[6:7], s[10:11], v[6:7]
	;; [unrolled: 1-line block ×4, first 2 shown]
	global_load_b128 v[8:11], v[8:9], off offset:-8
	v_lshlrev_b64_e32 v[12:13], 2, v[6:7]
	s_delay_alu instid0(VALU_DEP_1)
	v_cmp_ge_i64_e32 vcc_lo, v[12:13], v[2:3]
	s_or_b32 s17, vcc_lo, s17
	s_wait_loadcnt 0x0
	s_wait_xcnt 0x0
	v_xor_b32_e32 v9, 0x80000000, v9
	v_xor_b32_e32 v8, 0x80000000, v8
	v_xor_b32_e32 v11, 0x80000000, v11
	v_xor_b32_e32 v10, 0x80000000, v10
	global_store_b128 v[14:15], v[8:11], off
	s_wait_xcnt 0x0
	s_and_not1_b32 exec_lo, exec_lo, s17
	s_cbranch_execnz .LBB311_3
.LBB311_4:
	s_or_b32 exec_lo, exec_lo, s16
	s_mov_b32 s10, 0
.LBB311_5:
	s_delay_alu instid0(SALU_CYCLE_1)
	s_and_not1_b32 vcc_lo, exec_lo, s10
	s_cbranch_vccnz .LBB311_25
; %bb.6:
	v_cmp_lt_i64_e64 s10, s[8:9], 1
	s_and_b32 vcc_lo, exec_lo, s10
	s_cbranch_vccnz .LBB311_25
; %bb.7:
	s_load_b32 s0, s[0:1], 0xc5c
	v_min_i64 v[2:3], 0x10000, s[8:9]
	v_min_u64 v[4:5], 0x10000, s[8:9]
	v_dual_mov_b32 v1, 0 :: v_dual_lshlrev_b32 v10, 2, v0
	s_mov_b32 s9, 0
	s_delay_alu instid0(SALU_CYCLE_1) | instskip(NEXT) | instid1(VALU_DEP_1)
	s_mov_b32 s13, s9
	v_dual_mov_b32 v11, v1 :: v_dual_mov_b32 v27, v1
	s_wait_xcnt 0x0
	s_mov_b32 s1, s9
	s_mov_b32 s11, s9
	s_delay_alu instid0(VALU_DEP_1) | instskip(SKIP_2) | instid1(SALU_CYCLE_1)
	v_add_nc_u64_e32 v[6:7], s[2:3], v[10:11]
	s_wait_kmcnt 0x0
	s_and_b32 s8, s0, 0xffff
	v_add_nc_u64_e32 v[8:9], s[8:9], v[0:1]
	v_mad_nc_u64_u32 v[22:23], s8, 12, v[10:11]
	s_lshl_b32 s12, s8, 3
	s_mul_i32 s10, s8, 3
	v_add_nc_u64_e32 v[18:19], s[12:13], v[10:11]
	s_lshl_b32 s0, s8, 1
	v_add_nc_u64_e32 v[10:11], s[6:7], v[10:11]
	v_lshlrev_b32_e32 v26, 2, v8
	v_add_nc_u64_e32 v[12:13], s[10:11], v[0:1]
	v_add_nc_u64_e32 v[14:15], s[0:1], v[0:1]
	s_mov_b64 s[10:11], 0
	v_add_nc_u64_e32 v[16:17], s[2:3], v[18:19]
	v_add_nc_u64_e32 v[18:19], s[6:7], v[18:19]
	;; [unrolled: 1-line block ×6, first 2 shown]
	s_lshl_b32 s6, s8, 2
	s_mov_b32 s7, s9
	s_lshl_b32 s8, s8, 4
	s_branch .LBB311_9
.LBB311_8:                              ;   in Loop: Header=BB311_9 Depth=1
	s_wait_xcnt 0x0
	s_or_b32 exec_lo, exec_lo, s0
	s_add_nc_u64 s[10:11], s[10:11], s[6:7]
	v_add_nc_u64_e32 v[6:7], s[8:9], v[6:7]
	v_cmp_ge_i64_e32 vcc_lo, s[10:11], v[2:3]
	v_add_nc_u64_e32 v[10:11], s[8:9], v[10:11]
	v_add_nc_u64_e32 v[20:21], s[8:9], v[20:21]
	;; [unrolled: 1-line block ×7, first 2 shown]
	s_cbranch_vccnz .LBB311_25
.LBB311_9:                              ; =>This Inner Loop Header: Depth=1
	s_wait_loadcnt 0x0
	v_add_nc_u64_e32 v[28:29], s[10:11], v[0:1]
	s_delay_alu instid0(VALU_DEP_1)
	v_cmp_lt_u64_e32 vcc_lo, v[28:29], v[4:5]
	v_mov_b32_e32 v29, 0
	s_and_saveexec_b32 s0, vcc_lo
	s_cbranch_execz .LBB311_11
; %bb.10:                               ;   in Loop: Header=BB311_9 Depth=1
	v_add_nc_u64_e32 v[28:29], s[4:5], v[6:7]
	global_load_b32 v29, v[28:29], off
.LBB311_11:                             ;   in Loop: Header=BB311_9 Depth=1
	s_wait_xcnt 0x0
	s_or_b32 exec_lo, exec_lo, s0
	v_add_nc_u64_e32 v[30:31], s[10:11], v[8:9]
	v_mov_b32_e32 v28, 0
	s_delay_alu instid0(VALU_DEP_2)
	v_cmp_lt_u64_e64 s0, v[30:31], v[4:5]
	v_mov_b32_e32 v30, 0
	s_and_saveexec_b32 s1, s0
	s_cbranch_execz .LBB311_13
; %bb.12:                               ;   in Loop: Header=BB311_9 Depth=1
	v_add_nc_u64_e32 v[30:31], s[4:5], v[24:25]
	global_load_b32 v30, v[30:31], off
.LBB311_13:                             ;   in Loop: Header=BB311_9 Depth=1
	s_wait_xcnt 0x0
	s_or_b32 exec_lo, exec_lo, s1
	v_add_nc_u64_e32 v[32:33], s[10:11], v[14:15]
	s_delay_alu instid0(VALU_DEP_1)
	v_cmp_lt_u64_e64 s1, v[32:33], v[4:5]
	s_and_saveexec_b32 s2, s1
	s_cbranch_execz .LBB311_15
; %bb.14:                               ;   in Loop: Header=BB311_9 Depth=1
	v_add_nc_u64_e32 v[32:33], s[4:5], v[16:17]
	global_load_b32 v28, v[32:33], off
.LBB311_15:                             ;   in Loop: Header=BB311_9 Depth=1
	s_wait_xcnt 0x0
	s_or_b32 exec_lo, exec_lo, s2
	v_add_nc_u64_e32 v[32:33], s[10:11], v[12:13]
	v_mov_b32_e32 v31, 0
	s_delay_alu instid0(VALU_DEP_2)
	v_cmp_lt_u64_e64 s2, v[32:33], v[4:5]
	s_and_saveexec_b32 s3, s2
	s_cbranch_execnz .LBB311_20
; %bb.16:                               ;   in Loop: Header=BB311_9 Depth=1
	s_or_b32 exec_lo, exec_lo, s3
	s_and_saveexec_b32 s3, vcc_lo
	s_cbranch_execnz .LBB311_21
.LBB311_17:                             ;   in Loop: Header=BB311_9 Depth=1
	s_or_b32 exec_lo, exec_lo, s3
	s_and_saveexec_b32 s3, s0
	s_cbranch_execnz .LBB311_22
.LBB311_18:                             ;   in Loop: Header=BB311_9 Depth=1
	s_or_b32 exec_lo, exec_lo, s3
	s_and_saveexec_b32 s0, s1
	s_cbranch_execnz .LBB311_23
.LBB311_19:                             ;   in Loop: Header=BB311_9 Depth=1
	s_or_b32 exec_lo, exec_lo, s0
	s_and_saveexec_b32 s0, s2
	s_cbranch_execz .LBB311_8
	s_branch .LBB311_24
.LBB311_20:                             ;   in Loop: Header=BB311_9 Depth=1
	v_add_nc_u64_e32 v[32:33], s[4:5], v[20:21]
	global_load_b32 v31, v[32:33], off
	s_wait_xcnt 0x0
	s_or_b32 exec_lo, exec_lo, s3
	s_and_saveexec_b32 s3, vcc_lo
	s_cbranch_execz .LBB311_17
.LBB311_21:                             ;   in Loop: Header=BB311_9 Depth=1
	v_add_nc_u64_e32 v[32:33], s[4:5], v[10:11]
	s_wait_loadcnt 0x0
	v_xor_b32_e32 v29, 0x80000000, v29
	global_store_b32 v[32:33], v29, off
	s_wait_xcnt 0x0
	s_or_b32 exec_lo, exec_lo, s3
	s_and_saveexec_b32 s3, s0
	s_cbranch_execz .LBB311_18
.LBB311_22:                             ;   in Loop: Header=BB311_9 Depth=1
	v_add_nc_u64_e32 v[32:33], s[4:5], v[26:27]
	s_wait_loadcnt 0x0
	v_xor_b32_e32 v29, 0x80000000, v30
	global_store_b32 v[32:33], v29, off
	s_wait_xcnt 0x0
	s_or_b32 exec_lo, exec_lo, s3
	s_and_saveexec_b32 s0, s1
	s_cbranch_execz .LBB311_19
.LBB311_23:                             ;   in Loop: Header=BB311_9 Depth=1
	v_add_nc_u64_e32 v[32:33], s[4:5], v[18:19]
	s_wait_loadcnt 0x0
	v_xor_b32_e32 v28, 0x80000000, v28
	global_store_b32 v[32:33], v28, off
	s_wait_xcnt 0x0
	s_or_b32 exec_lo, exec_lo, s0
	s_and_saveexec_b32 s0, s2
	s_cbranch_execz .LBB311_8
.LBB311_24:                             ;   in Loop: Header=BB311_9 Depth=1
	s_wait_loadcnt 0x0
	v_add_nc_u64_e32 v[28:29], s[4:5], v[22:23]
	v_xor_b32_e32 v30, 0x80000000, v31
	global_store_b32 v[28:29], v30, off
	s_branch .LBB311_8
.LBB311_25:
	s_endpgm
	.section	.rodata,"a",@progbits
	.p2align	6, 0x0
	.amdhsa_kernel _ZN2at6native12_GLOBAL__N_125multi_tensor_apply_kernelINS1_18TensorListMetadataILi2EEENS1_14UnaryOpFunctorIfLi2ELi1ELi1EEEJSt6negateIfEEEEvT_T0_DpT1_
		.amdhsa_group_segment_fixed_size 0
		.amdhsa_private_segment_fixed_size 0
		.amdhsa_kernarg_size 3408
		.amdhsa_user_sgpr_count 2
		.amdhsa_user_sgpr_dispatch_ptr 0
		.amdhsa_user_sgpr_queue_ptr 0
		.amdhsa_user_sgpr_kernarg_segment_ptr 1
		.amdhsa_user_sgpr_dispatch_id 0
		.amdhsa_user_sgpr_kernarg_preload_length 0
		.amdhsa_user_sgpr_kernarg_preload_offset 0
		.amdhsa_user_sgpr_private_segment_size 0
		.amdhsa_wavefront_size32 1
		.amdhsa_uses_dynamic_stack 0
		.amdhsa_enable_private_segment 0
		.amdhsa_system_sgpr_workgroup_id_x 1
		.amdhsa_system_sgpr_workgroup_id_y 0
		.amdhsa_system_sgpr_workgroup_id_z 0
		.amdhsa_system_sgpr_workgroup_info 0
		.amdhsa_system_vgpr_workitem_id 0
		.amdhsa_next_free_vgpr 34
		.amdhsa_next_free_sgpr 20
		.amdhsa_named_barrier_count 0
		.amdhsa_reserve_vcc 1
		.amdhsa_float_round_mode_32 0
		.amdhsa_float_round_mode_16_64 0
		.amdhsa_float_denorm_mode_32 3
		.amdhsa_float_denorm_mode_16_64 3
		.amdhsa_fp16_overflow 0
		.amdhsa_memory_ordered 1
		.amdhsa_forward_progress 1
		.amdhsa_inst_pref_size 9
		.amdhsa_round_robin_scheduling 0
		.amdhsa_exception_fp_ieee_invalid_op 0
		.amdhsa_exception_fp_denorm_src 0
		.amdhsa_exception_fp_ieee_div_zero 0
		.amdhsa_exception_fp_ieee_overflow 0
		.amdhsa_exception_fp_ieee_underflow 0
		.amdhsa_exception_fp_ieee_inexact 0
		.amdhsa_exception_int_div_zero 0
	.end_amdhsa_kernel
	.section	.text._ZN2at6native12_GLOBAL__N_125multi_tensor_apply_kernelINS1_18TensorListMetadataILi2EEENS1_14UnaryOpFunctorIfLi2ELi1ELi1EEEJSt6negateIfEEEEvT_T0_DpT1_,"axG",@progbits,_ZN2at6native12_GLOBAL__N_125multi_tensor_apply_kernelINS1_18TensorListMetadataILi2EEENS1_14UnaryOpFunctorIfLi2ELi1ELi1EEEJSt6negateIfEEEEvT_T0_DpT1_,comdat
.Lfunc_end311:
	.size	_ZN2at6native12_GLOBAL__N_125multi_tensor_apply_kernelINS1_18TensorListMetadataILi2EEENS1_14UnaryOpFunctorIfLi2ELi1ELi1EEEJSt6negateIfEEEEvT_T0_DpT1_, .Lfunc_end311-_ZN2at6native12_GLOBAL__N_125multi_tensor_apply_kernelINS1_18TensorListMetadataILi2EEENS1_14UnaryOpFunctorIfLi2ELi1ELi1EEEJSt6negateIfEEEEvT_T0_DpT1_
                                        ; -- End function
	.set _ZN2at6native12_GLOBAL__N_125multi_tensor_apply_kernelINS1_18TensorListMetadataILi2EEENS1_14UnaryOpFunctorIfLi2ELi1ELi1EEEJSt6negateIfEEEEvT_T0_DpT1_.num_vgpr, 34
	.set _ZN2at6native12_GLOBAL__N_125multi_tensor_apply_kernelINS1_18TensorListMetadataILi2EEENS1_14UnaryOpFunctorIfLi2ELi1ELi1EEEJSt6negateIfEEEEvT_T0_DpT1_.num_agpr, 0
	.set _ZN2at6native12_GLOBAL__N_125multi_tensor_apply_kernelINS1_18TensorListMetadataILi2EEENS1_14UnaryOpFunctorIfLi2ELi1ELi1EEEJSt6negateIfEEEEvT_T0_DpT1_.numbered_sgpr, 20
	.set _ZN2at6native12_GLOBAL__N_125multi_tensor_apply_kernelINS1_18TensorListMetadataILi2EEENS1_14UnaryOpFunctorIfLi2ELi1ELi1EEEJSt6negateIfEEEEvT_T0_DpT1_.num_named_barrier, 0
	.set _ZN2at6native12_GLOBAL__N_125multi_tensor_apply_kernelINS1_18TensorListMetadataILi2EEENS1_14UnaryOpFunctorIfLi2ELi1ELi1EEEJSt6negateIfEEEEvT_T0_DpT1_.private_seg_size, 0
	.set _ZN2at6native12_GLOBAL__N_125multi_tensor_apply_kernelINS1_18TensorListMetadataILi2EEENS1_14UnaryOpFunctorIfLi2ELi1ELi1EEEJSt6negateIfEEEEvT_T0_DpT1_.uses_vcc, 1
	.set _ZN2at6native12_GLOBAL__N_125multi_tensor_apply_kernelINS1_18TensorListMetadataILi2EEENS1_14UnaryOpFunctorIfLi2ELi1ELi1EEEJSt6negateIfEEEEvT_T0_DpT1_.uses_flat_scratch, 0
	.set _ZN2at6native12_GLOBAL__N_125multi_tensor_apply_kernelINS1_18TensorListMetadataILi2EEENS1_14UnaryOpFunctorIfLi2ELi1ELi1EEEJSt6negateIfEEEEvT_T0_DpT1_.has_dyn_sized_stack, 0
	.set _ZN2at6native12_GLOBAL__N_125multi_tensor_apply_kernelINS1_18TensorListMetadataILi2EEENS1_14UnaryOpFunctorIfLi2ELi1ELi1EEEJSt6negateIfEEEEvT_T0_DpT1_.has_recursion, 0
	.set _ZN2at6native12_GLOBAL__N_125multi_tensor_apply_kernelINS1_18TensorListMetadataILi2EEENS1_14UnaryOpFunctorIfLi2ELi1ELi1EEEJSt6negateIfEEEEvT_T0_DpT1_.has_indirect_call, 0
	.section	.AMDGPU.csdata,"",@progbits
; Kernel info:
; codeLenInByte = 1092
; TotalNumSgprs: 22
; NumVgprs: 34
; ScratchSize: 0
; MemoryBound: 0
; FloatMode: 240
; IeeeMode: 1
; LDSByteSize: 0 bytes/workgroup (compile time only)
; SGPRBlocks: 0
; VGPRBlocks: 2
; NumSGPRsForWavesPerEU: 22
; NumVGPRsForWavesPerEU: 34
; NamedBarCnt: 0
; Occupancy: 16
; WaveLimiterHint : 0
; COMPUTE_PGM_RSRC2:SCRATCH_EN: 0
; COMPUTE_PGM_RSRC2:USER_SGPR: 2
; COMPUTE_PGM_RSRC2:TRAP_HANDLER: 0
; COMPUTE_PGM_RSRC2:TGID_X_EN: 1
; COMPUTE_PGM_RSRC2:TGID_Y_EN: 0
; COMPUTE_PGM_RSRC2:TGID_Z_EN: 0
; COMPUTE_PGM_RSRC2:TIDIG_COMP_CNT: 0
	.section	.text._ZN2at6native12_GLOBAL__N_125multi_tensor_apply_kernelINS1_18TensorListMetadataILi2EEENS1_14UnaryOpFunctorIN3c107complexIdEELi2ELi1ELi1EEEJSt6negateIS8_EEEEvT_T0_DpT1_,"axG",@progbits,_ZN2at6native12_GLOBAL__N_125multi_tensor_apply_kernelINS1_18TensorListMetadataILi2EEENS1_14UnaryOpFunctorIN3c107complexIdEELi2ELi1ELi1EEEJSt6negateIS8_EEEEvT_T0_DpT1_,comdat
	.globl	_ZN2at6native12_GLOBAL__N_125multi_tensor_apply_kernelINS1_18TensorListMetadataILi2EEENS1_14UnaryOpFunctorIN3c107complexIdEELi2ELi1ELi1EEEJSt6negateIS8_EEEEvT_T0_DpT1_ ; -- Begin function _ZN2at6native12_GLOBAL__N_125multi_tensor_apply_kernelINS1_18TensorListMetadataILi2EEENS1_14UnaryOpFunctorIN3c107complexIdEELi2ELi1ELi1EEEJSt6negateIS8_EEEEvT_T0_DpT1_
	.p2align	8
	.type	_ZN2at6native12_GLOBAL__N_125multi_tensor_apply_kernelINS1_18TensorListMetadataILi2EEENS1_14UnaryOpFunctorIN3c107complexIdEELi2ELi1ELi1EEEJSt6negateIS8_EEEEvT_T0_DpT1_,@function
_ZN2at6native12_GLOBAL__N_125multi_tensor_apply_kernelINS1_18TensorListMetadataILi2EEENS1_14UnaryOpFunctorIN3c107complexIdEELi2ELi1ELi1EEEJSt6negateIS8_EEEEvT_T0_DpT1_: ; @_ZN2at6native12_GLOBAL__N_125multi_tensor_apply_kernelINS1_18TensorListMetadataILi2EEENS1_14UnaryOpFunctorIN3c107complexIdEELi2ELi1ELi1EEEJSt6negateIS8_EEEEvT_T0_DpT1_
; %bb.0:
	s_bfe_u32 s2, ttmp6, 0x4000c
	s_and_b32 s3, ttmp6, 15
	s_add_co_i32 s2, s2, 1
	s_getreg_b32 s4, hwreg(HW_REG_IB_STS2, 6, 4)
	s_mul_i32 s2, ttmp9, s2
	s_delay_alu instid0(SALU_CYCLE_1)
	s_add_co_i32 s3, s3, s2
	s_cmp_eq_u32 s4, 0
	s_cselect_b32 s2, ttmp9, s3
	s_mov_b32 s3, 0
	s_load_u8 s9, s[0:1], s2 offset:0x600
	s_add_nc_u64 s[4:5], s[0:1], s[2:3]
	s_mul_u64 s[6:7], s[2:3], 3
	s_delay_alu instid0(SALU_CYCLE_1)
	s_add_nc_u64 s[4:5], s[4:5], s[6:7]
	s_load_b32 s8, s[4:5], 0x740
	s_wait_kmcnt 0x0
	s_clause 0x2
	s_load_b64 s[6:7], s[0:1], s9 offset:0x0 scale_offset
	s_load_b64 s[10:11], s[0:1], s9 offset:0x200 scale_offset
	;; [unrolled: 1-line block ×3, first 2 shown]
	s_wait_xcnt 0x0
	s_ashr_i32 s9, s8, 31
	s_delay_alu instid0(SALU_CYCLE_1)
	s_lshl_b64 s[14:15], s[8:9], 20
	s_lshl_b64 s[8:9], s[8:9], 16
	s_wait_kmcnt 0x0
	s_add_nc_u64 s[4:5], s[6:7], s[14:15]
	s_add_nc_u64 s[6:7], s[10:11], s[14:15]
	s_and_b32 s10, s12, 3
	s_and_b64 s[14:15], s[6:7], 63
	s_mov_b32 s11, s3
	s_and_b32 s2, s4, 63
	s_or_b64 s[10:11], s[14:15], s[10:11]
	s_delay_alu instid0(SALU_CYCLE_1)
	s_or_b64 s[10:11], s[10:11], s[2:3]
	s_sub_nc_u64 s[2:3], s[12:13], s[8:9]
	s_cmp_eq_u64 s[10:11], 0
	s_mov_b32 s8, -1
	s_cbranch_scc0 .LBB312_5
; %bb.1:
	v_min_i64 v[2:3], 0x10000, s[2:3]
	v_dual_mov_b32 v5, 0 :: v_dual_lshlrev_b32 v4, 2, v0
	s_mov_b32 s16, exec_lo
	s_delay_alu instid0(VALU_DEP_1)
	v_cmpx_lt_i64_e64 v[4:5], v[2:3]
	s_cbranch_execz .LBB312_4
; %bb.2:
	s_load_b32 s8, s[0:1], 0xc5c
	v_dual_mov_b32 v1, v5 :: v_dual_lshlrev_b32 v4, 6, v0
	s_mov_b32 s9, 0
	s_mov_b64 s[10:11], s[4:5]
	s_mov_b32 s13, s9
	s_delay_alu instid0(VALU_DEP_1) | instskip(SKIP_4) | instid1(SALU_CYCLE_1)
	v_mov_b64_e32 v[6:7], v[0:1]
	s_mov_b32 s17, s9
	s_mov_b64 s[14:15], s[6:7]
	s_wait_kmcnt 0x0
	s_and_b32 s8, s8, 0xffff
	s_lshl_b32 s12, s8, 6
.LBB312_3:                              ; =>This Inner Loop Header: Depth=1
	v_add_nc_u64_e32 v[24:25], s[10:11], v[4:5]
	v_add_nc_u64_e32 v[6:7], s[8:9], v[6:7]
	s_add_nc_u64 s[10:11], s[10:11], s[12:13]
	s_clause 0x3
	global_load_b128 v[8:11], v[24:25], off
	global_load_b128 v[12:15], v[24:25], off offset:16
	global_load_b128 v[16:19], v[24:25], off offset:32
	;; [unrolled: 1-line block ×3, first 2 shown]
	v_lshlrev_b64_e32 v[26:27], 2, v[6:7]
	s_wait_xcnt 0x0
	v_add_nc_u64_e32 v[24:25], s[14:15], v[4:5]
	s_add_nc_u64 s[14:15], s[14:15], s[12:13]
	s_delay_alu instid0(VALU_DEP_2)
	v_cmp_ge_i64_e32 vcc_lo, v[26:27], v[2:3]
	s_or_b32 s17, vcc_lo, s17
	s_wait_loadcnt 0x3
	v_xor_b32_e32 v9, 0x80000000, v9
	v_xor_b32_e32 v11, 0x80000000, v11
	s_wait_loadcnt 0x2
	v_xor_b32_e32 v13, 0x80000000, v13
	v_xor_b32_e32 v15, 0x80000000, v15
	;; [unrolled: 3-line block ×4, first 2 shown]
	s_clause 0x3
	global_store_b128 v[24:25], v[8:11], off
	global_store_b128 v[24:25], v[12:15], off offset:16
	global_store_b128 v[24:25], v[16:19], off offset:32
	;; [unrolled: 1-line block ×3, first 2 shown]
	s_wait_xcnt 0x0
	s_and_not1_b32 exec_lo, exec_lo, s17
	s_cbranch_execnz .LBB312_3
.LBB312_4:
	s_or_b32 exec_lo, exec_lo, s16
	s_mov_b32 s8, 0
.LBB312_5:
	s_delay_alu instid0(SALU_CYCLE_1)
	s_and_not1_b32 vcc_lo, exec_lo, s8
	s_cbranch_vccnz .LBB312_25
; %bb.6:
	v_cmp_lt_i64_e64 s8, s[2:3], 1
	s_and_b32 vcc_lo, exec_lo, s8
	s_cbranch_vccnz .LBB312_25
; %bb.7:
	v_min_i64 v[18:19], 0x10000, s[2:3]
	v_min_u64 v[20:21], 0x10000, s[2:3]
	s_load_b32 s0, s[0:1], 0xc5c
	v_mov_b32_e32 v1, 0
	s_mov_b32 s9, 0
	s_mov_b64 s[16:17], 0
	s_mov_b32 s11, s9
	s_mov_b32 s13, s9
	;; [unrolled: 1-line block ×3, first 2 shown]
	s_wait_kmcnt 0x0
	s_and_b32 s8, s0, 0xffff
	s_delay_alu instid0(SALU_CYCLE_1)
	s_lshl_b32 s10, s8, 1
	s_mul_i32 s12, s8, 3
	s_lshl_b32 s14, s8, 2
	s_branch .LBB312_9
.LBB312_8:                              ;   in Loop: Header=BB312_9 Depth=1
	s_wait_xcnt 0x0
	s_or_b32 exec_lo, exec_lo, s0
	s_add_nc_u64 s[16:17], s[16:17], s[14:15]
	s_delay_alu instid0(SALU_CYCLE_1)
	v_cmp_ge_i64_e32 vcc_lo, s[16:17], v[18:19]
	s_cbranch_vccnz .LBB312_25
.LBB312_9:                              ; =>This Inner Loop Header: Depth=1
	v_add_nc_u64_e32 v[22:23], s[16:17], v[0:1]
	s_wait_loadcnt 0x0
	v_mov_b64_e32 v[4:5], 0
	v_mov_b64_e32 v[8:9], 0
	;; [unrolled: 1-line block ×3, first 2 shown]
	s_delay_alu instid0(VALU_DEP_4)
	v_cmp_lt_u64_e32 vcc_lo, v[22:23], v[20:21]
	s_and_saveexec_b32 s0, vcc_lo
	s_cbranch_execz .LBB312_11
; %bb.10:                               ;   in Loop: Header=BB312_9 Depth=1
	v_lshl_add_u64 v[2:3], v[22:23], 4, s[4:5]
	global_load_b128 v[6:9], v[2:3], off
.LBB312_11:                             ;   in Loop: Header=BB312_9 Depth=1
	s_wait_xcnt 0x0
	s_or_b32 exec_lo, exec_lo, s0
	v_add_nc_u64_e32 v[24:25], s[8:9], v[22:23]
	v_mov_b64_e32 v[2:3], 0
	s_delay_alu instid0(VALU_DEP_2)
	v_cmp_lt_u64_e64 s0, v[24:25], v[20:21]
	s_and_saveexec_b32 s1, s0
	s_cbranch_execz .LBB312_13
; %bb.12:                               ;   in Loop: Header=BB312_9 Depth=1
	v_lshl_add_u64 v[2:3], v[24:25], 4, s[4:5]
	global_load_b128 v[2:5], v[2:3], off
.LBB312_13:                             ;   in Loop: Header=BB312_9 Depth=1
	s_wait_xcnt 0x0
	s_or_b32 exec_lo, exec_lo, s1
	v_add_nc_u64_e32 v[26:27], s[10:11], v[22:23]
	v_mov_b64_e32 v[12:13], 0
	v_mov_b64_e32 v[16:17], 0
	;; [unrolled: 1-line block ×3, first 2 shown]
	s_delay_alu instid0(VALU_DEP_4)
	v_cmp_lt_u64_e64 s1, v[26:27], v[20:21]
	s_and_saveexec_b32 s2, s1
	s_cbranch_execz .LBB312_15
; %bb.14:                               ;   in Loop: Header=BB312_9 Depth=1
	v_lshl_add_u64 v[10:11], v[26:27], 4, s[4:5]
	global_load_b128 v[14:17], v[10:11], off
.LBB312_15:                             ;   in Loop: Header=BB312_9 Depth=1
	s_wait_xcnt 0x0
	s_or_b32 exec_lo, exec_lo, s2
	v_add_nc_u64_e32 v[28:29], s[12:13], v[22:23]
	v_mov_b64_e32 v[10:11], 0
	s_delay_alu instid0(VALU_DEP_2)
	v_cmp_lt_u64_e64 s2, v[28:29], v[20:21]
	s_and_saveexec_b32 s3, s2
	s_cbranch_execnz .LBB312_20
; %bb.16:                               ;   in Loop: Header=BB312_9 Depth=1
	s_or_b32 exec_lo, exec_lo, s3
	s_and_saveexec_b32 s3, vcc_lo
	s_cbranch_execnz .LBB312_21
.LBB312_17:                             ;   in Loop: Header=BB312_9 Depth=1
	s_or_b32 exec_lo, exec_lo, s3
	s_and_saveexec_b32 s3, s0
	s_cbranch_execnz .LBB312_22
.LBB312_18:                             ;   in Loop: Header=BB312_9 Depth=1
	s_or_b32 exec_lo, exec_lo, s3
	s_and_saveexec_b32 s0, s1
	s_cbranch_execnz .LBB312_23
.LBB312_19:                             ;   in Loop: Header=BB312_9 Depth=1
	s_or_b32 exec_lo, exec_lo, s0
	s_and_saveexec_b32 s0, s2
	s_cbranch_execz .LBB312_8
	s_branch .LBB312_24
.LBB312_20:                             ;   in Loop: Header=BB312_9 Depth=1
	v_lshl_add_u64 v[10:11], v[28:29], 4, s[4:5]
	global_load_b128 v[10:13], v[10:11], off
	s_wait_xcnt 0x0
	s_or_b32 exec_lo, exec_lo, s3
	s_and_saveexec_b32 s3, vcc_lo
	s_cbranch_execz .LBB312_17
.LBB312_21:                             ;   in Loop: Header=BB312_9 Depth=1
	v_lshl_add_u64 v[22:23], v[22:23], 4, s[6:7]
	s_wait_loadcnt 0x0
	v_xor_b32_e32 v7, 0x80000000, v7
	v_xor_b32_e32 v9, 0x80000000, v9
	global_store_b128 v[22:23], v[6:9], off
	s_wait_xcnt 0x0
	s_or_b32 exec_lo, exec_lo, s3
	s_and_saveexec_b32 s3, s0
	s_cbranch_execz .LBB312_18
.LBB312_22:                             ;   in Loop: Header=BB312_9 Depth=1
	s_wait_loadcnt 0x0
	v_xor_b32_e32 v3, 0x80000000, v3
	v_xor_b32_e32 v5, 0x80000000, v5
	v_lshl_add_u64 v[6:7], v[24:25], 4, s[6:7]
	global_store_b128 v[6:7], v[2:5], off
	s_wait_xcnt 0x0
	s_or_b32 exec_lo, exec_lo, s3
	s_and_saveexec_b32 s0, s1
	s_cbranch_execz .LBB312_19
.LBB312_23:                             ;   in Loop: Header=BB312_9 Depth=1
	s_wait_loadcnt 0x0
	v_xor_b32_e32 v15, 0x80000000, v15
	v_xor_b32_e32 v17, 0x80000000, v17
	v_lshl_add_u64 v[2:3], v[26:27], 4, s[6:7]
	global_store_b128 v[2:3], v[14:17], off
	s_wait_xcnt 0x0
	s_or_b32 exec_lo, exec_lo, s0
	s_and_saveexec_b32 s0, s2
	s_cbranch_execz .LBB312_8
.LBB312_24:                             ;   in Loop: Header=BB312_9 Depth=1
	s_wait_loadcnt 0x0
	v_xor_b32_e32 v11, 0x80000000, v11
	v_xor_b32_e32 v13, 0x80000000, v13
	v_lshl_add_u64 v[2:3], v[28:29], 4, s[6:7]
	global_store_b128 v[2:3], v[10:13], off
	s_branch .LBB312_8
.LBB312_25:
	s_endpgm
	.section	.rodata,"a",@progbits
	.p2align	6, 0x0
	.amdhsa_kernel _ZN2at6native12_GLOBAL__N_125multi_tensor_apply_kernelINS1_18TensorListMetadataILi2EEENS1_14UnaryOpFunctorIN3c107complexIdEELi2ELi1ELi1EEEJSt6negateIS8_EEEEvT_T0_DpT1_
		.amdhsa_group_segment_fixed_size 0
		.amdhsa_private_segment_fixed_size 0
		.amdhsa_kernarg_size 3408
		.amdhsa_user_sgpr_count 2
		.amdhsa_user_sgpr_dispatch_ptr 0
		.amdhsa_user_sgpr_queue_ptr 0
		.amdhsa_user_sgpr_kernarg_segment_ptr 1
		.amdhsa_user_sgpr_dispatch_id 0
		.amdhsa_user_sgpr_kernarg_preload_length 0
		.amdhsa_user_sgpr_kernarg_preload_offset 0
		.amdhsa_user_sgpr_private_segment_size 0
		.amdhsa_wavefront_size32 1
		.amdhsa_uses_dynamic_stack 0
		.amdhsa_enable_private_segment 0
		.amdhsa_system_sgpr_workgroup_id_x 1
		.amdhsa_system_sgpr_workgroup_id_y 0
		.amdhsa_system_sgpr_workgroup_id_z 0
		.amdhsa_system_sgpr_workgroup_info 0
		.amdhsa_system_vgpr_workitem_id 0
		.amdhsa_next_free_vgpr 30
		.amdhsa_next_free_sgpr 18
		.amdhsa_named_barrier_count 0
		.amdhsa_reserve_vcc 1
		.amdhsa_float_round_mode_32 0
		.amdhsa_float_round_mode_16_64 0
		.amdhsa_float_denorm_mode_32 3
		.amdhsa_float_denorm_mode_16_64 3
		.amdhsa_fp16_overflow 0
		.amdhsa_memory_ordered 1
		.amdhsa_forward_progress 1
		.amdhsa_inst_pref_size 10
		.amdhsa_round_robin_scheduling 0
		.amdhsa_exception_fp_ieee_invalid_op 0
		.amdhsa_exception_fp_denorm_src 0
		.amdhsa_exception_fp_ieee_div_zero 0
		.amdhsa_exception_fp_ieee_overflow 0
		.amdhsa_exception_fp_ieee_underflow 0
		.amdhsa_exception_fp_ieee_inexact 0
		.amdhsa_exception_int_div_zero 0
	.end_amdhsa_kernel
	.section	.text._ZN2at6native12_GLOBAL__N_125multi_tensor_apply_kernelINS1_18TensorListMetadataILi2EEENS1_14UnaryOpFunctorIN3c107complexIdEELi2ELi1ELi1EEEJSt6negateIS8_EEEEvT_T0_DpT1_,"axG",@progbits,_ZN2at6native12_GLOBAL__N_125multi_tensor_apply_kernelINS1_18TensorListMetadataILi2EEENS1_14UnaryOpFunctorIN3c107complexIdEELi2ELi1ELi1EEEJSt6negateIS8_EEEEvT_T0_DpT1_,comdat
.Lfunc_end312:
	.size	_ZN2at6native12_GLOBAL__N_125multi_tensor_apply_kernelINS1_18TensorListMetadataILi2EEENS1_14UnaryOpFunctorIN3c107complexIdEELi2ELi1ELi1EEEJSt6negateIS8_EEEEvT_T0_DpT1_, .Lfunc_end312-_ZN2at6native12_GLOBAL__N_125multi_tensor_apply_kernelINS1_18TensorListMetadataILi2EEENS1_14UnaryOpFunctorIN3c107complexIdEELi2ELi1ELi1EEEJSt6negateIS8_EEEEvT_T0_DpT1_
                                        ; -- End function
	.set _ZN2at6native12_GLOBAL__N_125multi_tensor_apply_kernelINS1_18TensorListMetadataILi2EEENS1_14UnaryOpFunctorIN3c107complexIdEELi2ELi1ELi1EEEJSt6negateIS8_EEEEvT_T0_DpT1_.num_vgpr, 30
	.set _ZN2at6native12_GLOBAL__N_125multi_tensor_apply_kernelINS1_18TensorListMetadataILi2EEENS1_14UnaryOpFunctorIN3c107complexIdEELi2ELi1ELi1EEEJSt6negateIS8_EEEEvT_T0_DpT1_.num_agpr, 0
	.set _ZN2at6native12_GLOBAL__N_125multi_tensor_apply_kernelINS1_18TensorListMetadataILi2EEENS1_14UnaryOpFunctorIN3c107complexIdEELi2ELi1ELi1EEEJSt6negateIS8_EEEEvT_T0_DpT1_.numbered_sgpr, 18
	.set _ZN2at6native12_GLOBAL__N_125multi_tensor_apply_kernelINS1_18TensorListMetadataILi2EEENS1_14UnaryOpFunctorIN3c107complexIdEELi2ELi1ELi1EEEJSt6negateIS8_EEEEvT_T0_DpT1_.num_named_barrier, 0
	.set _ZN2at6native12_GLOBAL__N_125multi_tensor_apply_kernelINS1_18TensorListMetadataILi2EEENS1_14UnaryOpFunctorIN3c107complexIdEELi2ELi1ELi1EEEJSt6negateIS8_EEEEvT_T0_DpT1_.private_seg_size, 0
	.set _ZN2at6native12_GLOBAL__N_125multi_tensor_apply_kernelINS1_18TensorListMetadataILi2EEENS1_14UnaryOpFunctorIN3c107complexIdEELi2ELi1ELi1EEEJSt6negateIS8_EEEEvT_T0_DpT1_.uses_vcc, 1
	.set _ZN2at6native12_GLOBAL__N_125multi_tensor_apply_kernelINS1_18TensorListMetadataILi2EEENS1_14UnaryOpFunctorIN3c107complexIdEELi2ELi1ELi1EEEJSt6negateIS8_EEEEvT_T0_DpT1_.uses_flat_scratch, 0
	.set _ZN2at6native12_GLOBAL__N_125multi_tensor_apply_kernelINS1_18TensorListMetadataILi2EEENS1_14UnaryOpFunctorIN3c107complexIdEELi2ELi1ELi1EEEJSt6negateIS8_EEEEvT_T0_DpT1_.has_dyn_sized_stack, 0
	.set _ZN2at6native12_GLOBAL__N_125multi_tensor_apply_kernelINS1_18TensorListMetadataILi2EEENS1_14UnaryOpFunctorIN3c107complexIdEELi2ELi1ELi1EEEJSt6negateIS8_EEEEvT_T0_DpT1_.has_recursion, 0
	.set _ZN2at6native12_GLOBAL__N_125multi_tensor_apply_kernelINS1_18TensorListMetadataILi2EEENS1_14UnaryOpFunctorIN3c107complexIdEELi2ELi1ELi1EEEJSt6negateIS8_EEEEvT_T0_DpT1_.has_indirect_call, 0
	.section	.AMDGPU.csdata,"",@progbits
; Kernel info:
; codeLenInByte = 1184
; TotalNumSgprs: 20
; NumVgprs: 30
; ScratchSize: 0
; MemoryBound: 1
; FloatMode: 240
; IeeeMode: 1
; LDSByteSize: 0 bytes/workgroup (compile time only)
; SGPRBlocks: 0
; VGPRBlocks: 1
; NumSGPRsForWavesPerEU: 20
; NumVGPRsForWavesPerEU: 30
; NamedBarCnt: 0
; Occupancy: 16
; WaveLimiterHint : 0
; COMPUTE_PGM_RSRC2:SCRATCH_EN: 0
; COMPUTE_PGM_RSRC2:USER_SGPR: 2
; COMPUTE_PGM_RSRC2:TRAP_HANDLER: 0
; COMPUTE_PGM_RSRC2:TGID_X_EN: 1
; COMPUTE_PGM_RSRC2:TGID_Y_EN: 0
; COMPUTE_PGM_RSRC2:TGID_Z_EN: 0
; COMPUTE_PGM_RSRC2:TIDIG_COMP_CNT: 0
	.section	.text._ZN2at6native12_GLOBAL__N_125multi_tensor_apply_kernelINS1_18TensorListMetadataILi2EEENS1_14UnaryOpFunctorIN3c107complexIfEELi2ELi1ELi1EEEJSt6negateIS8_EEEEvT_T0_DpT1_,"axG",@progbits,_ZN2at6native12_GLOBAL__N_125multi_tensor_apply_kernelINS1_18TensorListMetadataILi2EEENS1_14UnaryOpFunctorIN3c107complexIfEELi2ELi1ELi1EEEJSt6negateIS8_EEEEvT_T0_DpT1_,comdat
	.globl	_ZN2at6native12_GLOBAL__N_125multi_tensor_apply_kernelINS1_18TensorListMetadataILi2EEENS1_14UnaryOpFunctorIN3c107complexIfEELi2ELi1ELi1EEEJSt6negateIS8_EEEEvT_T0_DpT1_ ; -- Begin function _ZN2at6native12_GLOBAL__N_125multi_tensor_apply_kernelINS1_18TensorListMetadataILi2EEENS1_14UnaryOpFunctorIN3c107complexIfEELi2ELi1ELi1EEEJSt6negateIS8_EEEEvT_T0_DpT1_
	.p2align	8
	.type	_ZN2at6native12_GLOBAL__N_125multi_tensor_apply_kernelINS1_18TensorListMetadataILi2EEENS1_14UnaryOpFunctorIN3c107complexIfEELi2ELi1ELi1EEEJSt6negateIS8_EEEEvT_T0_DpT1_,@function
_ZN2at6native12_GLOBAL__N_125multi_tensor_apply_kernelINS1_18TensorListMetadataILi2EEENS1_14UnaryOpFunctorIN3c107complexIfEELi2ELi1ELi1EEEJSt6negateIS8_EEEEvT_T0_DpT1_: ; @_ZN2at6native12_GLOBAL__N_125multi_tensor_apply_kernelINS1_18TensorListMetadataILi2EEENS1_14UnaryOpFunctorIN3c107complexIfEELi2ELi1ELi1EEEJSt6negateIS8_EEEEvT_T0_DpT1_
; %bb.0:
	s_bfe_u32 s2, ttmp6, 0x4000c
	s_and_b32 s3, ttmp6, 15
	s_add_co_i32 s2, s2, 1
	s_getreg_b32 s4, hwreg(HW_REG_IB_STS2, 6, 4)
	s_mul_i32 s2, ttmp9, s2
	s_mov_b32 s9, 0
	s_add_co_i32 s3, s3, s2
	s_cmp_eq_u32 s4, 0
	s_mov_b32 s15, s9
	s_cselect_b32 s8, ttmp9, s3
	s_load_u8 s11, s[0:1], s8 offset:0x600
	s_add_nc_u64 s[2:3], s[0:1], s[8:9]
	s_mul_u64 s[4:5], s[8:9], 3
	s_delay_alu instid0(SALU_CYCLE_1)
	s_add_nc_u64 s[4:5], s[2:3], s[4:5]
	s_load_b32 s10, s[4:5], 0x740
	s_wait_kmcnt 0x0
	s_clause 0x2
	s_load_b64 s[2:3], s[0:1], s11 offset:0x0 scale_offset
	s_load_b64 s[6:7], s[0:1], s11 offset:0x200 scale_offset
	s_load_b64 s[12:13], s[0:1], s11 offset:0x400 scale_offset
	s_wait_xcnt 0x0
	s_ashr_i32 s11, s10, 31
	s_delay_alu instid0(SALU_CYCLE_1)
	s_lshl_b64 s[4:5], s[10:11], 19
	s_wait_kmcnt 0x0
	s_and_b64 s[18:19], s[6:7], 31
	s_add_nc_u64 s[16:17], s[2:3], s[4:5]
	s_and_b32 s14, s12, 3
	s_and_b32 s8, s16, 31
	s_or_b64 s[14:15], s[18:19], s[14:15]
	s_lshl_b64 s[10:11], s[10:11], 16
	s_or_b64 s[14:15], s[14:15], s[8:9]
	s_sub_nc_u64 s[8:9], s[12:13], s[10:11]
	s_cmp_eq_u64 s[14:15], 0
	s_mov_b32 s10, -1
	s_cbranch_scc0 .LBB313_5
; %bb.1:
	v_min_i64 v[2:3], 0x10000, s[8:9]
	v_dual_mov_b32 v5, 0 :: v_dual_lshlrev_b32 v4, 2, v0
	s_mov_b32 s14, exec_lo
	s_delay_alu instid0(VALU_DEP_1)
	v_cmpx_lt_i64_e64 v[4:5], v[2:3]
	s_cbranch_execz .LBB313_4
; %bb.2:
	s_load_b32 s10, s[0:1], 0xc5c
	v_dual_mov_b32 v1, v5 :: v_dual_lshlrev_b32 v4, 5, v0
	s_mov_b32 s11, 0
	s_delay_alu instid0(SALU_CYCLE_1) | instskip(NEXT) | instid1(VALU_DEP_1)
	s_mov_b32 s13, s11
	v_add_nc_u64_e32 v[4:5], s[4:5], v[4:5]
	s_delay_alu instid0(VALU_DEP_2) | instskip(SKIP_3) | instid1(SALU_CYCLE_1)
	v_mov_b64_e32 v[6:7], v[0:1]
	s_mov_b32 s15, s11
	s_wait_kmcnt 0x0
	s_and_b32 s10, s10, 0xffff
	s_lshl_b32 s12, s10, 5
.LBB313_3:                              ; =>This Inner Loop Header: Depth=1
	s_delay_alu instid0(VALU_DEP_2) | instskip(NEXT) | instid1(VALU_DEP_2)
	v_add_nc_u64_e32 v[16:17], s[2:3], v[4:5]
	v_add_nc_u64_e32 v[6:7], s[10:11], v[6:7]
	;; [unrolled: 1-line block ×4, first 2 shown]
	s_clause 0x1
	global_load_b128 v[8:11], v[16:17], off
	global_load_b128 v[12:15], v[16:17], off offset:16
	s_wait_xcnt 0x0
	v_lshlrev_b64_e32 v[16:17], 2, v[6:7]
	s_delay_alu instid0(VALU_DEP_1)
	v_cmp_ge_i64_e32 vcc_lo, v[16:17], v[2:3]
	s_or_b32 s15, vcc_lo, s15
	s_wait_loadcnt 0x1
	v_xor_b32_e32 v9, 0x80000000, v9
	v_xor_b32_e32 v8, 0x80000000, v8
	;; [unrolled: 1-line block ×4, first 2 shown]
	s_wait_loadcnt 0x0
	v_xor_b32_e32 v13, 0x80000000, v13
	v_xor_b32_e32 v12, 0x80000000, v12
	;; [unrolled: 1-line block ×4, first 2 shown]
	s_clause 0x1
	global_store_b128 v[18:19], v[8:11], off
	global_store_b128 v[18:19], v[12:15], off offset:16
	s_wait_xcnt 0x0
	s_and_not1_b32 exec_lo, exec_lo, s15
	s_cbranch_execnz .LBB313_3
.LBB313_4:
	s_or_b32 exec_lo, exec_lo, s14
	s_mov_b32 s10, 0
.LBB313_5:
	s_delay_alu instid0(SALU_CYCLE_1)
	s_and_not1_b32 vcc_lo, exec_lo, s10
	s_cbranch_vccnz .LBB313_25
; %bb.6:
	v_cmp_lt_i64_e64 s10, s[8:9], 1
	s_and_b32 vcc_lo, exec_lo, s10
	s_cbranch_vccnz .LBB313_25
; %bb.7:
	s_load_b32 s0, s[0:1], 0xc5c
	v_min_i64 v[2:3], 0x10000, s[8:9]
	v_min_u64 v[4:5], 0x10000, s[8:9]
	v_dual_mov_b32 v1, 0 :: v_dual_lshlrev_b32 v10, 3, v0
	s_mov_b32 s9, 0
	s_delay_alu instid0(SALU_CYCLE_1) | instskip(NEXT) | instid1(VALU_DEP_1)
	s_mov_b32 s13, s9
	v_dual_mov_b32 v11, v1 :: v_dual_mov_b32 v27, v1
	s_wait_xcnt 0x0
	s_mov_b32 s1, s9
	s_mov_b32 s11, s9
	s_delay_alu instid0(VALU_DEP_1) | instskip(SKIP_2) | instid1(SALU_CYCLE_1)
	v_add_nc_u64_e32 v[6:7], s[2:3], v[10:11]
	s_wait_kmcnt 0x0
	s_and_b32 s8, s0, 0xffff
	v_add_nc_u64_e32 v[8:9], s[8:9], v[0:1]
	v_mad_nc_u64_u32 v[22:23], s8, 24, v[10:11]
	s_lshl_b32 s12, s8, 4
	s_mul_i32 s10, s8, 3
	v_add_nc_u64_e32 v[18:19], s[12:13], v[10:11]
	s_lshl_b32 s0, s8, 1
	v_add_nc_u64_e32 v[10:11], s[6:7], v[10:11]
	v_lshlrev_b32_e32 v26, 3, v8
	v_add_nc_u64_e32 v[12:13], s[10:11], v[0:1]
	v_add_nc_u64_e32 v[14:15], s[0:1], v[0:1]
	s_mov_b64 s[10:11], 0
	v_add_nc_u64_e32 v[16:17], s[2:3], v[18:19]
	v_add_nc_u64_e32 v[18:19], s[6:7], v[18:19]
	;; [unrolled: 1-line block ×6, first 2 shown]
	s_lshl_b32 s6, s8, 2
	s_mov_b32 s7, s9
	s_lshl_b32 s8, s8, 5
	s_branch .LBB313_9
.LBB313_8:                              ;   in Loop: Header=BB313_9 Depth=1
	s_wait_xcnt 0x0
	s_or_b32 exec_lo, exec_lo, s0
	s_add_nc_u64 s[10:11], s[10:11], s[6:7]
	v_add_nc_u64_e32 v[6:7], s[8:9], v[6:7]
	v_cmp_ge_i64_e32 vcc_lo, s[10:11], v[2:3]
	v_add_nc_u64_e32 v[10:11], s[8:9], v[10:11]
	v_add_nc_u64_e32 v[20:21], s[8:9], v[20:21]
	;; [unrolled: 1-line block ×7, first 2 shown]
	s_cbranch_vccnz .LBB313_25
.LBB313_9:                              ; =>This Inner Loop Header: Depth=1
	s_wait_loadcnt 0x0
	v_add_nc_u64_e32 v[28:29], s[10:11], v[0:1]
	v_dual_mov_b32 v30, 0 :: v_dual_mov_b32 v31, 0
	s_delay_alu instid0(VALU_DEP_2)
	v_cmp_lt_u64_e32 vcc_lo, v[28:29], v[4:5]
	s_and_saveexec_b32 s0, vcc_lo
	s_cbranch_execz .LBB313_11
; %bb.10:                               ;   in Loop: Header=BB313_9 Depth=1
	v_add_nc_u64_e32 v[28:29], s[4:5], v[6:7]
	global_load_b64 v[30:31], v[28:29], off
.LBB313_11:                             ;   in Loop: Header=BB313_9 Depth=1
	s_wait_xcnt 0x0
	s_or_b32 exec_lo, exec_lo, s0
	v_add_nc_u64_e32 v[28:29], s[10:11], v[8:9]
	v_dual_mov_b32 v33, 0 :: v_dual_mov_b32 v32, 0
	s_delay_alu instid0(VALU_DEP_2)
	v_cmp_lt_u64_e64 s0, v[28:29], v[4:5]
	v_mov_b32_e32 v28, 0
	s_and_saveexec_b32 s1, s0
	s_cbranch_execz .LBB313_13
; %bb.12:                               ;   in Loop: Header=BB313_9 Depth=1
	v_add_nc_u64_e32 v[32:33], s[4:5], v[24:25]
	global_load_b64 v[32:33], v[32:33], off
.LBB313_13:                             ;   in Loop: Header=BB313_9 Depth=1
	s_wait_xcnt 0x0
	s_or_b32 exec_lo, exec_lo, s1
	v_add_nc_u64_e32 v[34:35], s[10:11], v[14:15]
	v_mov_b32_e32 v29, 0
	s_delay_alu instid0(VALU_DEP_2)
	v_cmp_lt_u64_e64 s1, v[34:35], v[4:5]
	s_and_saveexec_b32 s2, s1
	s_cbranch_execz .LBB313_15
; %bb.14:                               ;   in Loop: Header=BB313_9 Depth=1
	v_add_nc_u64_e32 v[28:29], s[4:5], v[16:17]
	global_load_b64 v[28:29], v[28:29], off
.LBB313_15:                             ;   in Loop: Header=BB313_9 Depth=1
	s_wait_xcnt 0x0
	s_or_b32 exec_lo, exec_lo, s2
	v_add_nc_u64_e32 v[34:35], s[10:11], v[12:13]
	s_delay_alu instid0(VALU_DEP_1)
	v_cmp_lt_u64_e64 s2, v[34:35], v[4:5]
	v_dual_mov_b32 v34, 0 :: v_dual_mov_b32 v35, 0
	s_and_saveexec_b32 s3, s2
	s_cbranch_execnz .LBB313_20
; %bb.16:                               ;   in Loop: Header=BB313_9 Depth=1
	s_or_b32 exec_lo, exec_lo, s3
	s_and_saveexec_b32 s3, vcc_lo
	s_cbranch_execnz .LBB313_21
.LBB313_17:                             ;   in Loop: Header=BB313_9 Depth=1
	s_or_b32 exec_lo, exec_lo, s3
	s_and_saveexec_b32 s3, s0
	s_cbranch_execnz .LBB313_22
.LBB313_18:                             ;   in Loop: Header=BB313_9 Depth=1
	s_or_b32 exec_lo, exec_lo, s3
	s_and_saveexec_b32 s0, s1
	s_cbranch_execnz .LBB313_23
.LBB313_19:                             ;   in Loop: Header=BB313_9 Depth=1
	s_or_b32 exec_lo, exec_lo, s0
	s_and_saveexec_b32 s0, s2
	s_cbranch_execz .LBB313_8
	s_branch .LBB313_24
.LBB313_20:                             ;   in Loop: Header=BB313_9 Depth=1
	v_add_nc_u64_e32 v[34:35], s[4:5], v[20:21]
	global_load_b64 v[34:35], v[34:35], off
	s_wait_xcnt 0x0
	s_or_b32 exec_lo, exec_lo, s3
	s_and_saveexec_b32 s3, vcc_lo
	s_cbranch_execz .LBB313_17
.LBB313_21:                             ;   in Loop: Header=BB313_9 Depth=1
	v_add_nc_u64_e32 v[36:37], s[4:5], v[10:11]
	s_wait_loadcnt 0x0
	v_pk_add_f32 v[30:31], v[30:31], 0 neg_lo:[1,1] neg_hi:[1,1]
	global_store_b64 v[36:37], v[30:31], off
	s_wait_xcnt 0x0
	s_or_b32 exec_lo, exec_lo, s3
	s_and_saveexec_b32 s3, s0
	s_cbranch_execz .LBB313_18
.LBB313_22:                             ;   in Loop: Header=BB313_9 Depth=1
	s_wait_loadcnt 0x0
	v_add_nc_u64_e32 v[30:31], s[4:5], v[26:27]
	v_pk_add_f32 v[32:33], v[32:33], 0 neg_lo:[1,1] neg_hi:[1,1]
	global_store_b64 v[30:31], v[32:33], off
	s_wait_xcnt 0x0
	s_or_b32 exec_lo, exec_lo, s3
	s_and_saveexec_b32 s0, s1
	s_cbranch_execz .LBB313_19
.LBB313_23:                             ;   in Loop: Header=BB313_9 Depth=1
	s_wait_loadcnt 0x0
	v_add_nc_u64_e32 v[30:31], s[4:5], v[18:19]
	v_pk_add_f32 v[28:29], v[28:29], 0 neg_lo:[1,1] neg_hi:[1,1]
	global_store_b64 v[30:31], v[28:29], off
	s_wait_xcnt 0x0
	s_or_b32 exec_lo, exec_lo, s0
	s_and_saveexec_b32 s0, s2
	s_cbranch_execz .LBB313_8
.LBB313_24:                             ;   in Loop: Header=BB313_9 Depth=1
	s_wait_loadcnt 0x0
	v_add_nc_u64_e32 v[28:29], s[4:5], v[22:23]
	v_pk_add_f32 v[30:31], v[34:35], 0 neg_lo:[1,1] neg_hi:[1,1]
	global_store_b64 v[28:29], v[30:31], off
	s_branch .LBB313_8
.LBB313_25:
	s_endpgm
	.section	.rodata,"a",@progbits
	.p2align	6, 0x0
	.amdhsa_kernel _ZN2at6native12_GLOBAL__N_125multi_tensor_apply_kernelINS1_18TensorListMetadataILi2EEENS1_14UnaryOpFunctorIN3c107complexIfEELi2ELi1ELi1EEEJSt6negateIS8_EEEEvT_T0_DpT1_
		.amdhsa_group_segment_fixed_size 0
		.amdhsa_private_segment_fixed_size 0
		.amdhsa_kernarg_size 3408
		.amdhsa_user_sgpr_count 2
		.amdhsa_user_sgpr_dispatch_ptr 0
		.amdhsa_user_sgpr_queue_ptr 0
		.amdhsa_user_sgpr_kernarg_segment_ptr 1
		.amdhsa_user_sgpr_dispatch_id 0
		.amdhsa_user_sgpr_kernarg_preload_length 0
		.amdhsa_user_sgpr_kernarg_preload_offset 0
		.amdhsa_user_sgpr_private_segment_size 0
		.amdhsa_wavefront_size32 1
		.amdhsa_uses_dynamic_stack 0
		.amdhsa_enable_private_segment 0
		.amdhsa_system_sgpr_workgroup_id_x 1
		.amdhsa_system_sgpr_workgroup_id_y 0
		.amdhsa_system_sgpr_workgroup_id_z 0
		.amdhsa_system_sgpr_workgroup_info 0
		.amdhsa_system_vgpr_workitem_id 0
		.amdhsa_next_free_vgpr 38
		.amdhsa_next_free_sgpr 20
		.amdhsa_named_barrier_count 0
		.amdhsa_reserve_vcc 1
		.amdhsa_float_round_mode_32 0
		.amdhsa_float_round_mode_16_64 0
		.amdhsa_float_denorm_mode_32 3
		.amdhsa_float_denorm_mode_16_64 3
		.amdhsa_fp16_overflow 0
		.amdhsa_memory_ordered 1
		.amdhsa_forward_progress 1
		.amdhsa_inst_pref_size 10
		.amdhsa_round_robin_scheduling 0
		.amdhsa_exception_fp_ieee_invalid_op 0
		.amdhsa_exception_fp_denorm_src 0
		.amdhsa_exception_fp_ieee_div_zero 0
		.amdhsa_exception_fp_ieee_overflow 0
		.amdhsa_exception_fp_ieee_underflow 0
		.amdhsa_exception_fp_ieee_inexact 0
		.amdhsa_exception_int_div_zero 0
	.end_amdhsa_kernel
	.section	.text._ZN2at6native12_GLOBAL__N_125multi_tensor_apply_kernelINS1_18TensorListMetadataILi2EEENS1_14UnaryOpFunctorIN3c107complexIfEELi2ELi1ELi1EEEJSt6negateIS8_EEEEvT_T0_DpT1_,"axG",@progbits,_ZN2at6native12_GLOBAL__N_125multi_tensor_apply_kernelINS1_18TensorListMetadataILi2EEENS1_14UnaryOpFunctorIN3c107complexIfEELi2ELi1ELi1EEEJSt6negateIS8_EEEEvT_T0_DpT1_,comdat
.Lfunc_end313:
	.size	_ZN2at6native12_GLOBAL__N_125multi_tensor_apply_kernelINS1_18TensorListMetadataILi2EEENS1_14UnaryOpFunctorIN3c107complexIfEELi2ELi1ELi1EEEJSt6negateIS8_EEEEvT_T0_DpT1_, .Lfunc_end313-_ZN2at6native12_GLOBAL__N_125multi_tensor_apply_kernelINS1_18TensorListMetadataILi2EEENS1_14UnaryOpFunctorIN3c107complexIfEELi2ELi1ELi1EEEJSt6negateIS8_EEEEvT_T0_DpT1_
                                        ; -- End function
	.set _ZN2at6native12_GLOBAL__N_125multi_tensor_apply_kernelINS1_18TensorListMetadataILi2EEENS1_14UnaryOpFunctorIN3c107complexIfEELi2ELi1ELi1EEEJSt6negateIS8_EEEEvT_T0_DpT1_.num_vgpr, 38
	.set _ZN2at6native12_GLOBAL__N_125multi_tensor_apply_kernelINS1_18TensorListMetadataILi2EEENS1_14UnaryOpFunctorIN3c107complexIfEELi2ELi1ELi1EEEJSt6negateIS8_EEEEvT_T0_DpT1_.num_agpr, 0
	.set _ZN2at6native12_GLOBAL__N_125multi_tensor_apply_kernelINS1_18TensorListMetadataILi2EEENS1_14UnaryOpFunctorIN3c107complexIfEELi2ELi1ELi1EEEJSt6negateIS8_EEEEvT_T0_DpT1_.numbered_sgpr, 20
	.set _ZN2at6native12_GLOBAL__N_125multi_tensor_apply_kernelINS1_18TensorListMetadataILi2EEENS1_14UnaryOpFunctorIN3c107complexIfEELi2ELi1ELi1EEEJSt6negateIS8_EEEEvT_T0_DpT1_.num_named_barrier, 0
	.set _ZN2at6native12_GLOBAL__N_125multi_tensor_apply_kernelINS1_18TensorListMetadataILi2EEENS1_14UnaryOpFunctorIN3c107complexIfEELi2ELi1ELi1EEEJSt6negateIS8_EEEEvT_T0_DpT1_.private_seg_size, 0
	.set _ZN2at6native12_GLOBAL__N_125multi_tensor_apply_kernelINS1_18TensorListMetadataILi2EEENS1_14UnaryOpFunctorIN3c107complexIfEELi2ELi1ELi1EEEJSt6negateIS8_EEEEvT_T0_DpT1_.uses_vcc, 1
	.set _ZN2at6native12_GLOBAL__N_125multi_tensor_apply_kernelINS1_18TensorListMetadataILi2EEENS1_14UnaryOpFunctorIN3c107complexIfEELi2ELi1ELi1EEEJSt6negateIS8_EEEEvT_T0_DpT1_.uses_flat_scratch, 0
	.set _ZN2at6native12_GLOBAL__N_125multi_tensor_apply_kernelINS1_18TensorListMetadataILi2EEENS1_14UnaryOpFunctorIN3c107complexIfEELi2ELi1ELi1EEEJSt6negateIS8_EEEEvT_T0_DpT1_.has_dyn_sized_stack, 0
	.set _ZN2at6native12_GLOBAL__N_125multi_tensor_apply_kernelINS1_18TensorListMetadataILi2EEENS1_14UnaryOpFunctorIN3c107complexIfEELi2ELi1ELi1EEEJSt6negateIS8_EEEEvT_T0_DpT1_.has_recursion, 0
	.set _ZN2at6native12_GLOBAL__N_125multi_tensor_apply_kernelINS1_18TensorListMetadataILi2EEENS1_14UnaryOpFunctorIN3c107complexIfEELi2ELi1ELi1EEEJSt6negateIS8_EEEEvT_T0_DpT1_.has_indirect_call, 0
	.section	.AMDGPU.csdata,"",@progbits
; Kernel info:
; codeLenInByte = 1176
; TotalNumSgprs: 22
; NumVgprs: 38
; ScratchSize: 0
; MemoryBound: 0
; FloatMode: 240
; IeeeMode: 1
; LDSByteSize: 0 bytes/workgroup (compile time only)
; SGPRBlocks: 0
; VGPRBlocks: 2
; NumSGPRsForWavesPerEU: 22
; NumVGPRsForWavesPerEU: 38
; NamedBarCnt: 0
; Occupancy: 16
; WaveLimiterHint : 0
; COMPUTE_PGM_RSRC2:SCRATCH_EN: 0
; COMPUTE_PGM_RSRC2:USER_SGPR: 2
; COMPUTE_PGM_RSRC2:TRAP_HANDLER: 0
; COMPUTE_PGM_RSRC2:TGID_X_EN: 1
; COMPUTE_PGM_RSRC2:TGID_Y_EN: 0
; COMPUTE_PGM_RSRC2:TGID_Z_EN: 0
; COMPUTE_PGM_RSRC2:TIDIG_COMP_CNT: 0
	.section	.text._ZN2at6native12_GLOBAL__N_125multi_tensor_apply_kernelINS1_18TensorListMetadataILi2EEENS1_14UnaryOpFunctorIN3c104HalfELi2ELi1ELi1EEEJSt6negateIfEEEEvT_T0_DpT1_,"axG",@progbits,_ZN2at6native12_GLOBAL__N_125multi_tensor_apply_kernelINS1_18TensorListMetadataILi2EEENS1_14UnaryOpFunctorIN3c104HalfELi2ELi1ELi1EEEJSt6negateIfEEEEvT_T0_DpT1_,comdat
	.globl	_ZN2at6native12_GLOBAL__N_125multi_tensor_apply_kernelINS1_18TensorListMetadataILi2EEENS1_14UnaryOpFunctorIN3c104HalfELi2ELi1ELi1EEEJSt6negateIfEEEEvT_T0_DpT1_ ; -- Begin function _ZN2at6native12_GLOBAL__N_125multi_tensor_apply_kernelINS1_18TensorListMetadataILi2EEENS1_14UnaryOpFunctorIN3c104HalfELi2ELi1ELi1EEEJSt6negateIfEEEEvT_T0_DpT1_
	.p2align	8
	.type	_ZN2at6native12_GLOBAL__N_125multi_tensor_apply_kernelINS1_18TensorListMetadataILi2EEENS1_14UnaryOpFunctorIN3c104HalfELi2ELi1ELi1EEEJSt6negateIfEEEEvT_T0_DpT1_,@function
_ZN2at6native12_GLOBAL__N_125multi_tensor_apply_kernelINS1_18TensorListMetadataILi2EEENS1_14UnaryOpFunctorIN3c104HalfELi2ELi1ELi1EEEJSt6negateIfEEEEvT_T0_DpT1_: ; @_ZN2at6native12_GLOBAL__N_125multi_tensor_apply_kernelINS1_18TensorListMetadataILi2EEENS1_14UnaryOpFunctorIN3c104HalfELi2ELi1ELi1EEEJSt6negateIfEEEEvT_T0_DpT1_
; %bb.0:
	s_bfe_u32 s2, ttmp6, 0x4000c
	s_and_b32 s3, ttmp6, 15
	s_add_co_i32 s2, s2, 1
	s_getreg_b32 s4, hwreg(HW_REG_IB_STS2, 6, 4)
	s_mul_i32 s2, ttmp9, s2
	s_mov_b32 s7, 0
	s_add_co_i32 s3, s3, s2
	s_cmp_eq_u32 s4, 0
	s_mov_b32 s15, s7
	s_cselect_b32 s6, ttmp9, s3
	s_load_u8 s11, s[0:1], s6 offset:0x600
	s_add_nc_u64 s[2:3], s[0:1], s[6:7]
	s_mul_u64 s[4:5], s[6:7], 3
	s_delay_alu instid0(SALU_CYCLE_1)
	s_add_nc_u64 s[4:5], s[2:3], s[4:5]
	s_load_b32 s10, s[4:5], 0x740
	s_wait_kmcnt 0x0
	s_clause 0x2
	s_load_b64 s[2:3], s[0:1], s11 offset:0x0 scale_offset
	s_load_b64 s[8:9], s[0:1], s11 offset:0x200 scale_offset
	;; [unrolled: 1-line block ×3, first 2 shown]
	s_wait_xcnt 0x0
	s_ashr_i32 s11, s10, 31
	s_delay_alu instid0(SALU_CYCLE_1)
	s_lshl_b64 s[4:5], s[10:11], 17
	s_wait_kmcnt 0x0
	s_and_b64 s[18:19], s[8:9], 7
	s_add_nc_u64 s[16:17], s[2:3], s[4:5]
	s_and_b32 s14, s12, 3
	s_and_b32 s6, s16, 7
	s_or_b64 s[14:15], s[18:19], s[14:15]
	s_lshl_b64 s[10:11], s[10:11], 16
	s_or_b64 s[14:15], s[14:15], s[6:7]
	s_sub_nc_u64 s[6:7], s[12:13], s[10:11]
	s_cmp_eq_u64 s[14:15], 0
	s_mov_b32 s10, -1
	s_cbranch_scc0 .LBB314_5
; %bb.1:
	v_min_i64 v[2:3], 0x10000, s[6:7]
	v_dual_mov_b32 v5, 0 :: v_dual_lshlrev_b32 v4, 2, v0
	s_mov_b32 s14, exec_lo
	s_delay_alu instid0(VALU_DEP_1)
	v_cmpx_lt_i64_e64 v[4:5], v[2:3]
	s_cbranch_execz .LBB314_4
; %bb.2:
	s_load_b32 s10, s[0:1], 0xc5c
	v_dual_mov_b32 v1, v5 :: v_dual_lshlrev_b32 v4, 3, v0
	s_mov_b32 s11, 0
	s_delay_alu instid0(SALU_CYCLE_1) | instskip(NEXT) | instid1(VALU_DEP_1)
	s_mov_b32 s13, s11
	v_add_nc_u64_e32 v[4:5], s[4:5], v[4:5]
	s_delay_alu instid0(VALU_DEP_2) | instskip(SKIP_3) | instid1(SALU_CYCLE_1)
	v_mov_b64_e32 v[6:7], v[0:1]
	s_mov_b32 s15, s11
	s_wait_kmcnt 0x0
	s_and_b32 s10, s10, 0xffff
	s_lshl_b32 s12, s10, 3
.LBB314_3:                              ; =>This Inner Loop Header: Depth=1
	s_delay_alu instid0(VALU_DEP_2) | instskip(NEXT) | instid1(VALU_DEP_2)
	v_add_nc_u64_e32 v[8:9], s[2:3], v[4:5]
	v_add_nc_u64_e32 v[6:7], s[10:11], v[6:7]
	global_load_b64 v[8:9], v[8:9], off
	v_lshlrev_b64_e32 v[10:11], 2, v[6:7]
	s_delay_alu instid0(VALU_DEP_1)
	v_cmp_ge_i64_e32 vcc_lo, v[10:11], v[2:3]
	v_add_nc_u64_e32 v[10:11], s[8:9], v[4:5]
	v_add_nc_u64_e32 v[4:5], s[12:13], v[4:5]
	s_or_b32 s15, vcc_lo, s15
	s_wait_loadcnt 0x0
	s_wait_xcnt 0x0
	v_xor_b32_e32 v9, 0x80008000, v9
	v_xor_b32_e32 v8, 0x80008000, v8
	global_store_b64 v[10:11], v[8:9], off
	s_wait_xcnt 0x0
	s_and_not1_b32 exec_lo, exec_lo, s15
	s_cbranch_execnz .LBB314_3
.LBB314_4:
	s_or_b32 exec_lo, exec_lo, s14
	s_mov_b32 s10, 0
.LBB314_5:
	s_delay_alu instid0(SALU_CYCLE_1)
	s_and_not1_b32 vcc_lo, exec_lo, s10
	s_cbranch_vccnz .LBB314_25
; %bb.6:
	v_cmp_lt_i64_e64 s10, s[6:7], 1
	s_and_b32 vcc_lo, exec_lo, s10
	s_cbranch_vccnz .LBB314_25
; %bb.7:
	s_load_b32 s0, s[0:1], 0xc5c
	v_min_i64 v[2:3], 0x10000, s[6:7]
	v_min_u64 v[4:5], 0x10000, s[6:7]
	v_dual_mov_b32 v1, 0 :: v_dual_lshlrev_b32 v10, 1, v0
	s_wait_xcnt 0x0
	s_mov_b32 s1, 0
	s_delay_alu instid0(SALU_CYCLE_1) | instskip(NEXT) | instid1(VALU_DEP_1)
	s_mov_b32 s7, s1
	v_dual_mov_b32 v11, v1 :: v_dual_mov_b32 v27, v1
	s_mov_b32 s11, s1
	s_mov_b32 s13, s1
	s_delay_alu instid0(VALU_DEP_1) | instskip(SKIP_2) | instid1(SALU_CYCLE_1)
	v_add_nc_u64_e32 v[6:7], s[2:3], v[10:11]
	s_wait_kmcnt 0x0
	s_and_b32 s0, s0, 0xffff
	v_add_nc_u64_e32 v[8:9], s[0:1], v[0:1]
	v_mad_nc_u64_u32 v[22:23], s0, 6, v[10:11]
	s_lshl_b32 s6, s0, 2
	s_mul_i32 s12, s0, 3
	v_add_nc_u64_e32 v[18:19], s[6:7], v[10:11]
	s_lshl_b32 s10, s0, 1
	v_add_nc_u64_e32 v[10:11], s[8:9], v[10:11]
	v_lshlrev_b32_e32 v26, 1, v8
	v_add_nc_u64_e32 v[12:13], s[12:13], v[0:1]
	v_add_nc_u64_e32 v[14:15], s[10:11], v[0:1]
	s_mov_b64 s[10:11], 0
	v_add_nc_u64_e32 v[16:17], s[2:3], v[18:19]
	v_add_nc_u64_e32 v[18:19], s[8:9], v[18:19]
	;; [unrolled: 1-line block ×6, first 2 shown]
	s_lshl_b32 s8, s0, 3
	s_mov_b32 s9, s1
	s_branch .LBB314_9
.LBB314_8:                              ;   in Loop: Header=BB314_9 Depth=1
	s_wait_xcnt 0x0
	s_or_b32 exec_lo, exec_lo, s0
	s_add_nc_u64 s[10:11], s[10:11], s[6:7]
	v_add_nc_u64_e32 v[6:7], s[8:9], v[6:7]
	v_cmp_ge_i64_e32 vcc_lo, s[10:11], v[2:3]
	v_add_nc_u64_e32 v[10:11], s[8:9], v[10:11]
	v_add_nc_u64_e32 v[20:21], s[8:9], v[20:21]
	;; [unrolled: 1-line block ×7, first 2 shown]
	s_cbranch_vccnz .LBB314_25
.LBB314_9:                              ; =>This Inner Loop Header: Depth=1
	s_wait_loadcnt 0x0
	v_add_nc_u64_e32 v[28:29], s[10:11], v[0:1]
	s_delay_alu instid0(VALU_DEP_1)
	v_cmp_lt_u64_e32 vcc_lo, v[28:29], v[4:5]
	v_mov_b32_e32 v29, 0
	s_and_saveexec_b32 s0, vcc_lo
	s_cbranch_execz .LBB314_11
; %bb.10:                               ;   in Loop: Header=BB314_9 Depth=1
	v_add_nc_u64_e32 v[28:29], s[4:5], v[6:7]
	global_load_u16 v29, v[28:29], off
.LBB314_11:                             ;   in Loop: Header=BB314_9 Depth=1
	s_wait_xcnt 0x0
	s_or_b32 exec_lo, exec_lo, s0
	v_add_nc_u64_e32 v[30:31], s[10:11], v[8:9]
	v_mov_b32_e32 v28, 0
	s_delay_alu instid0(VALU_DEP_2)
	v_cmp_lt_u64_e64 s0, v[30:31], v[4:5]
	v_mov_b32_e32 v30, 0
	s_and_saveexec_b32 s1, s0
	s_cbranch_execz .LBB314_13
; %bb.12:                               ;   in Loop: Header=BB314_9 Depth=1
	v_add_nc_u64_e32 v[30:31], s[4:5], v[24:25]
	global_load_u16 v30, v[30:31], off
.LBB314_13:                             ;   in Loop: Header=BB314_9 Depth=1
	s_wait_xcnt 0x0
	s_or_b32 exec_lo, exec_lo, s1
	v_add_nc_u64_e32 v[32:33], s[10:11], v[14:15]
	s_delay_alu instid0(VALU_DEP_1)
	v_cmp_lt_u64_e64 s1, v[32:33], v[4:5]
	s_and_saveexec_b32 s2, s1
	s_cbranch_execz .LBB314_15
; %bb.14:                               ;   in Loop: Header=BB314_9 Depth=1
	v_add_nc_u64_e32 v[32:33], s[4:5], v[16:17]
	global_load_u16 v28, v[32:33], off
.LBB314_15:                             ;   in Loop: Header=BB314_9 Depth=1
	s_wait_xcnt 0x0
	s_or_b32 exec_lo, exec_lo, s2
	v_add_nc_u64_e32 v[32:33], s[10:11], v[12:13]
	v_mov_b32_e32 v31, 0
	s_delay_alu instid0(VALU_DEP_2)
	v_cmp_lt_u64_e64 s2, v[32:33], v[4:5]
	s_and_saveexec_b32 s3, s2
	s_cbranch_execnz .LBB314_20
; %bb.16:                               ;   in Loop: Header=BB314_9 Depth=1
	s_or_b32 exec_lo, exec_lo, s3
	s_and_saveexec_b32 s3, vcc_lo
	s_cbranch_execnz .LBB314_21
.LBB314_17:                             ;   in Loop: Header=BB314_9 Depth=1
	s_or_b32 exec_lo, exec_lo, s3
	s_and_saveexec_b32 s3, s0
	s_cbranch_execnz .LBB314_22
.LBB314_18:                             ;   in Loop: Header=BB314_9 Depth=1
	s_or_b32 exec_lo, exec_lo, s3
	s_and_saveexec_b32 s0, s1
	s_cbranch_execnz .LBB314_23
.LBB314_19:                             ;   in Loop: Header=BB314_9 Depth=1
	s_or_b32 exec_lo, exec_lo, s0
	s_and_saveexec_b32 s0, s2
	s_cbranch_execz .LBB314_8
	s_branch .LBB314_24
.LBB314_20:                             ;   in Loop: Header=BB314_9 Depth=1
	v_add_nc_u64_e32 v[32:33], s[4:5], v[20:21]
	global_load_u16 v31, v[32:33], off
	s_wait_xcnt 0x0
	s_or_b32 exec_lo, exec_lo, s3
	s_and_saveexec_b32 s3, vcc_lo
	s_cbranch_execz .LBB314_17
.LBB314_21:                             ;   in Loop: Header=BB314_9 Depth=1
	v_add_nc_u64_e32 v[32:33], s[4:5], v[10:11]
	s_wait_loadcnt 0x0
	v_xor_b32_e32 v29, 0x8000, v29
	global_store_b16 v[32:33], v29, off
	s_wait_xcnt 0x0
	s_or_b32 exec_lo, exec_lo, s3
	s_and_saveexec_b32 s3, s0
	s_cbranch_execz .LBB314_18
.LBB314_22:                             ;   in Loop: Header=BB314_9 Depth=1
	v_add_nc_u64_e32 v[32:33], s[4:5], v[26:27]
	s_wait_loadcnt 0x0
	v_xor_b32_e32 v29, 0x8000, v30
	global_store_b16 v[32:33], v29, off
	s_wait_xcnt 0x0
	s_or_b32 exec_lo, exec_lo, s3
	s_and_saveexec_b32 s0, s1
	s_cbranch_execz .LBB314_19
.LBB314_23:                             ;   in Loop: Header=BB314_9 Depth=1
	v_add_nc_u64_e32 v[32:33], s[4:5], v[18:19]
	s_wait_loadcnt 0x0
	v_xor_b32_e32 v28, 0x8000, v28
	global_store_b16 v[32:33], v28, off
	s_wait_xcnt 0x0
	s_or_b32 exec_lo, exec_lo, s0
	s_and_saveexec_b32 s0, s2
	s_cbranch_execz .LBB314_8
.LBB314_24:                             ;   in Loop: Header=BB314_9 Depth=1
	s_wait_loadcnt 0x0
	v_add_nc_u64_e32 v[28:29], s[4:5], v[22:23]
	v_xor_b32_e32 v30, 0x8000, v31
	global_store_b16 v[28:29], v30, off
	s_branch .LBB314_8
.LBB314_25:
	s_endpgm
	.section	.rodata,"a",@progbits
	.p2align	6, 0x0
	.amdhsa_kernel _ZN2at6native12_GLOBAL__N_125multi_tensor_apply_kernelINS1_18TensorListMetadataILi2EEENS1_14UnaryOpFunctorIN3c104HalfELi2ELi1ELi1EEEJSt6negateIfEEEEvT_T0_DpT1_
		.amdhsa_group_segment_fixed_size 0
		.amdhsa_private_segment_fixed_size 0
		.amdhsa_kernarg_size 3408
		.amdhsa_user_sgpr_count 2
		.amdhsa_user_sgpr_dispatch_ptr 0
		.amdhsa_user_sgpr_queue_ptr 0
		.amdhsa_user_sgpr_kernarg_segment_ptr 1
		.amdhsa_user_sgpr_dispatch_id 0
		.amdhsa_user_sgpr_kernarg_preload_length 0
		.amdhsa_user_sgpr_kernarg_preload_offset 0
		.amdhsa_user_sgpr_private_segment_size 0
		.amdhsa_wavefront_size32 1
		.amdhsa_uses_dynamic_stack 0
		.amdhsa_enable_private_segment 0
		.amdhsa_system_sgpr_workgroup_id_x 1
		.amdhsa_system_sgpr_workgroup_id_y 0
		.amdhsa_system_sgpr_workgroup_id_z 0
		.amdhsa_system_sgpr_workgroup_info 0
		.amdhsa_system_vgpr_workitem_id 0
		.amdhsa_next_free_vgpr 34
		.amdhsa_next_free_sgpr 20
		.amdhsa_named_barrier_count 0
		.amdhsa_reserve_vcc 1
		.amdhsa_float_round_mode_32 0
		.amdhsa_float_round_mode_16_64 0
		.amdhsa_float_denorm_mode_32 3
		.amdhsa_float_denorm_mode_16_64 3
		.amdhsa_fp16_overflow 0
		.amdhsa_memory_ordered 1
		.amdhsa_forward_progress 1
		.amdhsa_inst_pref_size 9
		.amdhsa_round_robin_scheduling 0
		.amdhsa_exception_fp_ieee_invalid_op 0
		.amdhsa_exception_fp_denorm_src 0
		.amdhsa_exception_fp_ieee_div_zero 0
		.amdhsa_exception_fp_ieee_overflow 0
		.amdhsa_exception_fp_ieee_underflow 0
		.amdhsa_exception_fp_ieee_inexact 0
		.amdhsa_exception_int_div_zero 0
	.end_amdhsa_kernel
	.section	.text._ZN2at6native12_GLOBAL__N_125multi_tensor_apply_kernelINS1_18TensorListMetadataILi2EEENS1_14UnaryOpFunctorIN3c104HalfELi2ELi1ELi1EEEJSt6negateIfEEEEvT_T0_DpT1_,"axG",@progbits,_ZN2at6native12_GLOBAL__N_125multi_tensor_apply_kernelINS1_18TensorListMetadataILi2EEENS1_14UnaryOpFunctorIN3c104HalfELi2ELi1ELi1EEEJSt6negateIfEEEEvT_T0_DpT1_,comdat
.Lfunc_end314:
	.size	_ZN2at6native12_GLOBAL__N_125multi_tensor_apply_kernelINS1_18TensorListMetadataILi2EEENS1_14UnaryOpFunctorIN3c104HalfELi2ELi1ELi1EEEJSt6negateIfEEEEvT_T0_DpT1_, .Lfunc_end314-_ZN2at6native12_GLOBAL__N_125multi_tensor_apply_kernelINS1_18TensorListMetadataILi2EEENS1_14UnaryOpFunctorIN3c104HalfELi2ELi1ELi1EEEJSt6negateIfEEEEvT_T0_DpT1_
                                        ; -- End function
	.set _ZN2at6native12_GLOBAL__N_125multi_tensor_apply_kernelINS1_18TensorListMetadataILi2EEENS1_14UnaryOpFunctorIN3c104HalfELi2ELi1ELi1EEEJSt6negateIfEEEEvT_T0_DpT1_.num_vgpr, 34
	.set _ZN2at6native12_GLOBAL__N_125multi_tensor_apply_kernelINS1_18TensorListMetadataILi2EEENS1_14UnaryOpFunctorIN3c104HalfELi2ELi1ELi1EEEJSt6negateIfEEEEvT_T0_DpT1_.num_agpr, 0
	.set _ZN2at6native12_GLOBAL__N_125multi_tensor_apply_kernelINS1_18TensorListMetadataILi2EEENS1_14UnaryOpFunctorIN3c104HalfELi2ELi1ELi1EEEJSt6negateIfEEEEvT_T0_DpT1_.numbered_sgpr, 20
	.set _ZN2at6native12_GLOBAL__N_125multi_tensor_apply_kernelINS1_18TensorListMetadataILi2EEENS1_14UnaryOpFunctorIN3c104HalfELi2ELi1ELi1EEEJSt6negateIfEEEEvT_T0_DpT1_.num_named_barrier, 0
	.set _ZN2at6native12_GLOBAL__N_125multi_tensor_apply_kernelINS1_18TensorListMetadataILi2EEENS1_14UnaryOpFunctorIN3c104HalfELi2ELi1ELi1EEEJSt6negateIfEEEEvT_T0_DpT1_.private_seg_size, 0
	.set _ZN2at6native12_GLOBAL__N_125multi_tensor_apply_kernelINS1_18TensorListMetadataILi2EEENS1_14UnaryOpFunctorIN3c104HalfELi2ELi1ELi1EEEJSt6negateIfEEEEvT_T0_DpT1_.uses_vcc, 1
	.set _ZN2at6native12_GLOBAL__N_125multi_tensor_apply_kernelINS1_18TensorListMetadataILi2EEENS1_14UnaryOpFunctorIN3c104HalfELi2ELi1ELi1EEEJSt6negateIfEEEEvT_T0_DpT1_.uses_flat_scratch, 0
	.set _ZN2at6native12_GLOBAL__N_125multi_tensor_apply_kernelINS1_18TensorListMetadataILi2EEENS1_14UnaryOpFunctorIN3c104HalfELi2ELi1ELi1EEEJSt6negateIfEEEEvT_T0_DpT1_.has_dyn_sized_stack, 0
	.set _ZN2at6native12_GLOBAL__N_125multi_tensor_apply_kernelINS1_18TensorListMetadataILi2EEENS1_14UnaryOpFunctorIN3c104HalfELi2ELi1ELi1EEEJSt6negateIfEEEEvT_T0_DpT1_.has_recursion, 0
	.set _ZN2at6native12_GLOBAL__N_125multi_tensor_apply_kernelINS1_18TensorListMetadataILi2EEENS1_14UnaryOpFunctorIN3c104HalfELi2ELi1ELi1EEEJSt6negateIfEEEEvT_T0_DpT1_.has_indirect_call, 0
	.section	.AMDGPU.csdata,"",@progbits
; Kernel info:
; codeLenInByte = 1072
; TotalNumSgprs: 22
; NumVgprs: 34
; ScratchSize: 0
; MemoryBound: 0
; FloatMode: 240
; IeeeMode: 1
; LDSByteSize: 0 bytes/workgroup (compile time only)
; SGPRBlocks: 0
; VGPRBlocks: 2
; NumSGPRsForWavesPerEU: 22
; NumVGPRsForWavesPerEU: 34
; NamedBarCnt: 0
; Occupancy: 16
; WaveLimiterHint : 0
; COMPUTE_PGM_RSRC2:SCRATCH_EN: 0
; COMPUTE_PGM_RSRC2:USER_SGPR: 2
; COMPUTE_PGM_RSRC2:TRAP_HANDLER: 0
; COMPUTE_PGM_RSRC2:TGID_X_EN: 1
; COMPUTE_PGM_RSRC2:TGID_Y_EN: 0
; COMPUTE_PGM_RSRC2:TGID_Z_EN: 0
; COMPUTE_PGM_RSRC2:TIDIG_COMP_CNT: 0
	.section	.text._ZN2at6native12_GLOBAL__N_125multi_tensor_apply_kernelINS1_18TensorListMetadataILi2EEENS1_14UnaryOpFunctorIN3c108BFloat16ELi2ELi1ELi1EEEJSt6negateIfEEEEvT_T0_DpT1_,"axG",@progbits,_ZN2at6native12_GLOBAL__N_125multi_tensor_apply_kernelINS1_18TensorListMetadataILi2EEENS1_14UnaryOpFunctorIN3c108BFloat16ELi2ELi1ELi1EEEJSt6negateIfEEEEvT_T0_DpT1_,comdat
	.globl	_ZN2at6native12_GLOBAL__N_125multi_tensor_apply_kernelINS1_18TensorListMetadataILi2EEENS1_14UnaryOpFunctorIN3c108BFloat16ELi2ELi1ELi1EEEJSt6negateIfEEEEvT_T0_DpT1_ ; -- Begin function _ZN2at6native12_GLOBAL__N_125multi_tensor_apply_kernelINS1_18TensorListMetadataILi2EEENS1_14UnaryOpFunctorIN3c108BFloat16ELi2ELi1ELi1EEEJSt6negateIfEEEEvT_T0_DpT1_
	.p2align	8
	.type	_ZN2at6native12_GLOBAL__N_125multi_tensor_apply_kernelINS1_18TensorListMetadataILi2EEENS1_14UnaryOpFunctorIN3c108BFloat16ELi2ELi1ELi1EEEJSt6negateIfEEEEvT_T0_DpT1_,@function
_ZN2at6native12_GLOBAL__N_125multi_tensor_apply_kernelINS1_18TensorListMetadataILi2EEENS1_14UnaryOpFunctorIN3c108BFloat16ELi2ELi1ELi1EEEJSt6negateIfEEEEvT_T0_DpT1_: ; @_ZN2at6native12_GLOBAL__N_125multi_tensor_apply_kernelINS1_18TensorListMetadataILi2EEENS1_14UnaryOpFunctorIN3c108BFloat16ELi2ELi1ELi1EEEJSt6negateIfEEEEvT_T0_DpT1_
; %bb.0:
	s_bfe_u32 s2, ttmp6, 0x4000c
	s_and_b32 s3, ttmp6, 15
	s_add_co_i32 s2, s2, 1
	s_getreg_b32 s4, hwreg(HW_REG_IB_STS2, 6, 4)
	s_mul_i32 s2, ttmp9, s2
	s_delay_alu instid0(SALU_CYCLE_1)
	s_add_co_i32 s3, s3, s2
	s_cmp_eq_u32 s4, 0
	s_cselect_b32 s2, ttmp9, s3
	s_mov_b32 s3, 0
	s_load_u8 s11, s[0:1], s2 offset:0x600
	s_add_nc_u64 s[4:5], s[0:1], s[2:3]
	s_mul_u64 s[6:7], s[2:3], 3
	s_mov_b32 s15, s3
	s_add_nc_u64 s[4:5], s[4:5], s[6:7]
	s_load_b32 s10, s[4:5], 0x740
	s_wait_kmcnt 0x0
	s_clause 0x2
	s_load_b64 s[6:7], s[0:1], s11 offset:0x0 scale_offset
	s_load_b64 s[8:9], s[0:1], s11 offset:0x200 scale_offset
	;; [unrolled: 1-line block ×3, first 2 shown]
	s_wait_xcnt 0x0
	s_ashr_i32 s11, s10, 31
	s_delay_alu instid0(SALU_CYCLE_1)
	s_lshl_b64 s[4:5], s[10:11], 17
	s_wait_kmcnt 0x0
	s_and_b64 s[18:19], s[8:9], 7
	s_add_nc_u64 s[16:17], s[6:7], s[4:5]
	s_and_b32 s14, s12, 3
	s_and_b32 s2, s16, 7
	s_or_b64 s[14:15], s[18:19], s[14:15]
	s_lshl_b64 s[10:11], s[10:11], 16
	s_or_b64 s[2:3], s[14:15], s[2:3]
	s_sub_nc_u64 s[10:11], s[12:13], s[10:11]
	s_cmp_eq_u64 s[2:3], 0
	s_mov_b32 s2, -1
	s_cbranch_scc0 .LBB315_5
; %bb.1:
	v_min_i64 v[2:3], 0x10000, s[10:11]
	v_dual_mov_b32 v5, 0 :: v_dual_lshlrev_b32 v4, 2, v0
	s_mov_b32 s3, exec_lo
	s_delay_alu instid0(VALU_DEP_1)
	v_cmpx_lt_i64_e64 v[4:5], v[2:3]
	s_cbranch_execz .LBB315_4
; %bb.2:
	s_load_b32 s2, s[0:1], 0xc5c
	v_dual_mov_b32 v1, v5 :: v_dual_lshlrev_b32 v4, 3, v0
	s_mov_b32 s13, 0
	s_delay_alu instid0(SALU_CYCLE_1) | instskip(NEXT) | instid1(VALU_DEP_1)
	s_mov_b32 s15, s13
	v_add_nc_u64_e32 v[4:5], s[4:5], v[4:5]
	s_delay_alu instid0(VALU_DEP_2) | instskip(SKIP_3) | instid1(SALU_CYCLE_1)
	v_mov_b64_e32 v[6:7], v[0:1]
	s_mov_b32 s16, s13
	s_wait_kmcnt 0x0
	s_and_b32 s12, s2, 0xffff
	s_lshl_b32 s14, s12, 3
.LBB315_3:                              ; =>This Inner Loop Header: Depth=1
	s_delay_alu instid0(VALU_DEP_2) | instskip(NEXT) | instid1(VALU_DEP_2)
	v_add_nc_u64_e32 v[8:9], s[6:7], v[4:5]
	v_add_nc_u64_e32 v[6:7], s[12:13], v[6:7]
	global_load_b64 v[8:9], v[8:9], off
	v_lshlrev_b64_e32 v[10:11], 2, v[6:7]
	s_wait_loadcnt 0x0
	v_lshlrev_b32_e32 v1, 16, v8
	v_alignbit_b32 v12, v9, v8, 16
	s_wait_xcnt 0x0
	v_and_b32_e32 v8, 0xffff0000, v8
	v_and_b32_e32 v9, 0xffff0000, v9
	v_xor_b32_e32 v13, 0x80000000, v1
	v_and_b32_e32 v12, 0xffff0000, v12
	s_delay_alu instid0(VALU_DEP_4) | instskip(NEXT) | instid1(VALU_DEP_4)
	v_xor_b32_e32 v14, 0x80000000, v8
	v_xor_b32_e32 v15, 0x80000000, v9
	v_cmp_o_f32_e32 vcc_lo, v8, v8
	v_bfe_u32 v16, v13, 16, 1
	v_xor_b32_e32 v17, 0x80000000, v12
	v_bfe_u32 v18, v14, 16, 1
	v_bfe_u32 v19, v15, 16, 1
	s_delay_alu instid0(VALU_DEP_4) | instskip(NEXT) | instid1(VALU_DEP_4)
	v_add3_u32 v13, v13, v16, 0x7fff
	v_bfe_u32 v16, v17, 16, 1
	s_delay_alu instid0(VALU_DEP_4) | instskip(NEXT) | instid1(VALU_DEP_4)
	v_add3_u32 v14, v14, v18, 0x7fff
	v_add3_u32 v15, v15, v19, 0x7fff
	s_delay_alu instid0(VALU_DEP_4) | instskip(NEXT) | instid1(VALU_DEP_4)
	v_lshrrev_b32_e32 v13, 16, v13
	v_add3_u32 v16, v17, v16, 0x7fff
	s_delay_alu instid0(VALU_DEP_4) | instskip(NEXT) | instid1(VALU_DEP_4)
	v_and_b32_e32 v14, 0xffff0000, v14
	v_and_b32_e32 v15, 0xffff0000, v15
	v_cmp_o_f32_e64 s2, v1, v1
	s_delay_alu instid0(VALU_DEP_3) | instskip(SKIP_1) | instid1(VALU_DEP_3)
	v_dual_cndmask_b32 v8, 0x7fc00000, v14 :: v_dual_lshrrev_b32 v1, 16, v16
	v_cmp_o_f32_e32 vcc_lo, v9, v9
	v_cndmask_b32_e64 v13, 0x7fc0, v13, s2
	v_cndmask_b32_e32 v14, 0x7fc00000, v15, vcc_lo
	v_cmp_o_f32_e32 vcc_lo, v12, v12
	s_delay_alu instid0(VALU_DEP_3)
	v_or_b32_e32 v12, v13, v8
	v_add_nc_u64_e32 v[8:9], s[8:9], v[4:5]
	v_add_nc_u64_e32 v[4:5], s[14:15], v[4:5]
	v_cndmask_b32_e32 v1, 0x7fc0, v1, vcc_lo
	v_cmp_ge_i64_e32 vcc_lo, v[10:11], v[2:3]
	v_or3_b32 v10, v12, 0, 0
	s_delay_alu instid0(VALU_DEP_3)
	v_or3_b32 v11, 0, v1, v14
	s_or_b32 s16, vcc_lo, s16
	global_store_b64 v[8:9], v[10:11], off
	s_wait_xcnt 0x0
	s_and_not1_b32 exec_lo, exec_lo, s16
	s_cbranch_execnz .LBB315_3
.LBB315_4:
	s_or_b32 exec_lo, exec_lo, s3
	s_mov_b32 s2, 0
.LBB315_5:
	s_delay_alu instid0(SALU_CYCLE_1)
	s_and_not1_b32 vcc_lo, exec_lo, s2
	s_cbranch_vccnz .LBB315_25
; %bb.6:
	v_cmp_lt_i64_e64 s2, s[10:11], 1
	s_and_b32 vcc_lo, exec_lo, s2
	s_cbranch_vccnz .LBB315_25
; %bb.7:
	s_load_b32 s0, s[0:1], 0xc5c
	v_min_i64 v[2:3], 0x10000, s[10:11]
	v_min_u64 v[4:5], 0x10000, s[10:11]
	v_dual_mov_b32 v1, 0 :: v_dual_lshlrev_b32 v10, 1, v0
	s_wait_xcnt 0x0
	s_mov_b32 s1, 0
	s_delay_alu instid0(SALU_CYCLE_1) | instskip(NEXT) | instid1(VALU_DEP_1)
	s_mov_b32 s11, s1
	v_dual_mov_b32 v11, v1 :: v_dual_mov_b32 v27, v1
	s_mov_b32 s3, s1
	s_mov_b32 s13, s1
	s_delay_alu instid0(VALU_DEP_1) | instskip(SKIP_2) | instid1(SALU_CYCLE_1)
	v_add_nc_u64_e32 v[6:7], s[6:7], v[10:11]
	s_wait_kmcnt 0x0
	s_and_b32 s0, s0, 0xffff
	v_add_nc_u64_e32 v[8:9], s[0:1], v[0:1]
	v_mad_nc_u64_u32 v[22:23], s0, 6, v[10:11]
	s_lshl_b32 s10, s0, 2
	s_mul_i32 s12, s0, 3
	v_add_nc_u64_e32 v[18:19], s[10:11], v[10:11]
	s_lshl_b32 s2, s0, 1
	v_add_nc_u64_e32 v[10:11], s[8:9], v[10:11]
	v_lshlrev_b32_e32 v26, 1, v8
	v_add_nc_u64_e32 v[12:13], s[12:13], v[0:1]
	v_add_nc_u64_e32 v[14:15], s[2:3], v[0:1]
	;; [unrolled: 1-line block ×8, first 2 shown]
	s_lshl_b32 s6, s0, 3
	s_mov_b32 s7, s1
	s_mov_b64 s[8:9], 0
	s_branch .LBB315_9
.LBB315_8:                              ;   in Loop: Header=BB315_9 Depth=1
	s_wait_xcnt 0x0
	s_or_b32 exec_lo, exec_lo, s0
	s_add_nc_u64 s[8:9], s[8:9], s[10:11]
	v_add_nc_u64_e32 v[6:7], s[6:7], v[6:7]
	v_cmp_ge_i64_e32 vcc_lo, s[8:9], v[2:3]
	v_add_nc_u64_e32 v[10:11], s[6:7], v[10:11]
	v_add_nc_u64_e32 v[20:21], s[6:7], v[20:21]
	;; [unrolled: 1-line block ×7, first 2 shown]
	s_cbranch_vccnz .LBB315_25
.LBB315_9:                              ; =>This Inner Loop Header: Depth=1
	v_add_nc_u64_e32 v[28:29], s[8:9], v[0:1]
	v_mov_b32_e32 v31, 0
	s_delay_alu instid0(VALU_DEP_2)
	v_cmp_lt_u64_e64 s2, v[28:29], v[4:5]
	s_and_saveexec_b32 s0, s2
	s_cbranch_execz .LBB315_11
; %bb.10:                               ;   in Loop: Header=BB315_9 Depth=1
	v_add_nc_u64_e32 v[28:29], s[4:5], v[6:7]
	global_load_u16 v28, v[28:29], off
	s_wait_loadcnt 0x0
	v_lshlrev_b32_e32 v31, 16, v28
.LBB315_11:                             ;   in Loop: Header=BB315_9 Depth=1
	s_wait_xcnt 0x0
	s_or_b32 exec_lo, exec_lo, s0
	v_add_nc_u64_e32 v[28:29], s[8:9], v[8:9]
	v_mov_b32_e32 v30, 0
	s_delay_alu instid0(VALU_DEP_2)
	v_cmp_lt_u64_e64 s1, v[28:29], v[4:5]
	v_mov_b32_e32 v28, 0
	s_and_saveexec_b32 s0, s1
	s_cbranch_execz .LBB315_13
; %bb.12:                               ;   in Loop: Header=BB315_9 Depth=1
	v_add_nc_u64_e32 v[32:33], s[4:5], v[24:25]
	global_load_u16 v29, v[32:33], off
	s_wait_loadcnt 0x0
	v_lshlrev_b32_e32 v30, 16, v29
.LBB315_13:                             ;   in Loop: Header=BB315_9 Depth=1
	s_wait_xcnt 0x0
	s_or_b32 exec_lo, exec_lo, s0
	v_add_nc_u64_e32 v[32:33], s[8:9], v[14:15]
	s_delay_alu instid0(VALU_DEP_1)
	v_cmp_lt_u64_e64 s0, v[32:33], v[4:5]
	s_and_saveexec_b32 s3, s0
	s_cbranch_execz .LBB315_15
; %bb.14:                               ;   in Loop: Header=BB315_9 Depth=1
	v_add_nc_u64_e32 v[28:29], s[4:5], v[16:17]
	global_load_u16 v28, v[28:29], off
	s_wait_loadcnt 0x0
	v_lshlrev_b32_e32 v28, 16, v28
.LBB315_15:                             ;   in Loop: Header=BB315_9 Depth=1
	s_or_b32 exec_lo, exec_lo, s3
	v_add_nc_u64_e32 v[32:33], s[8:9], v[12:13]
	v_mov_b32_e32 v29, 0
	s_delay_alu instid0(VALU_DEP_2)
	v_cmp_lt_u64_e32 vcc_lo, v[32:33], v[4:5]
	s_and_saveexec_b32 s3, vcc_lo
	s_cbranch_execnz .LBB315_20
; %bb.16:                               ;   in Loop: Header=BB315_9 Depth=1
	s_or_b32 exec_lo, exec_lo, s3
	s_and_saveexec_b32 s3, s2
	s_cbranch_execnz .LBB315_21
.LBB315_17:                             ;   in Loop: Header=BB315_9 Depth=1
	s_or_b32 exec_lo, exec_lo, s3
	s_and_saveexec_b32 s2, s1
	s_cbranch_execnz .LBB315_22
.LBB315_18:                             ;   in Loop: Header=BB315_9 Depth=1
	s_or_b32 exec_lo, exec_lo, s2
	s_and_saveexec_b32 s1, s0
	s_cbranch_execnz .LBB315_23
.LBB315_19:                             ;   in Loop: Header=BB315_9 Depth=1
	s_or_b32 exec_lo, exec_lo, s1
	s_and_saveexec_b32 s0, vcc_lo
	s_cbranch_execz .LBB315_8
	s_branch .LBB315_24
.LBB315_20:                             ;   in Loop: Header=BB315_9 Depth=1
	v_add_nc_u64_e32 v[32:33], s[4:5], v[20:21]
	global_load_u16 v29, v[32:33], off
	s_wait_loadcnt 0x0
	v_lshlrev_b32_e32 v29, 16, v29
	s_wait_xcnt 0x0
	s_or_b32 exec_lo, exec_lo, s3
	s_and_saveexec_b32 s3, s2
	s_cbranch_execz .LBB315_17
.LBB315_21:                             ;   in Loop: Header=BB315_9 Depth=1
	v_xor_b32_e32 v32, 0x80000000, v31
	v_cmp_o_f32_e64 s2, v31, v31
	s_delay_alu instid0(VALU_DEP_2) | instskip(NEXT) | instid1(VALU_DEP_1)
	v_bfe_u32 v33, v32, 16, 1
	v_add3_u32 v32, v32, v33, 0x7fff
	s_delay_alu instid0(VALU_DEP_1) | instskip(SKIP_1) | instid1(VALU_DEP_2)
	v_lshrrev_b32_e32 v34, 16, v32
	v_add_nc_u64_e32 v[32:33], s[4:5], v[10:11]
	v_cndmask_b32_e64 v31, 0x7fc0, v34, s2
	global_store_b16 v[32:33], v31, off
	s_wait_xcnt 0x0
	s_or_b32 exec_lo, exec_lo, s3
	s_and_saveexec_b32 s2, s1
	s_cbranch_execz .LBB315_18
.LBB315_22:                             ;   in Loop: Header=BB315_9 Depth=1
	v_xor_b32_e32 v31, 0x80000000, v30
	v_cmp_o_f32_e64 s1, v30, v30
	s_delay_alu instid0(VALU_DEP_2) | instskip(NEXT) | instid1(VALU_DEP_1)
	v_bfe_u32 v32, v31, 16, 1
	v_add3_u32 v31, v31, v32, 0x7fff
	v_add_nc_u64_e32 v[32:33], s[4:5], v[26:27]
	s_delay_alu instid0(VALU_DEP_2) | instskip(NEXT) | instid1(VALU_DEP_1)
	v_lshrrev_b32_e32 v31, 16, v31
	v_cndmask_b32_e64 v30, 0x7fc0, v31, s1
	global_store_b16 v[32:33], v30, off
	s_wait_xcnt 0x0
	s_or_b32 exec_lo, exec_lo, s2
	s_and_saveexec_b32 s1, s0
	s_cbranch_execz .LBB315_19
.LBB315_23:                             ;   in Loop: Header=BB315_9 Depth=1
	v_xor_b32_e32 v30, 0x80000000, v28
	v_cmp_o_f32_e64 s0, v28, v28
	s_delay_alu instid0(VALU_DEP_2) | instskip(NEXT) | instid1(VALU_DEP_1)
	v_bfe_u32 v31, v30, 16, 1
	v_add3_u32 v30, v30, v31, 0x7fff
	s_delay_alu instid0(VALU_DEP_1) | instskip(SKIP_1) | instid1(VALU_DEP_2)
	v_lshrrev_b32_e32 v32, 16, v30
	v_add_nc_u64_e32 v[30:31], s[4:5], v[18:19]
	v_cndmask_b32_e64 v28, 0x7fc0, v32, s0
	global_store_b16 v[30:31], v28, off
	s_wait_xcnt 0x0
	s_or_b32 exec_lo, exec_lo, s1
	s_and_saveexec_b32 s0, vcc_lo
	s_cbranch_execz .LBB315_8
.LBB315_24:                             ;   in Loop: Header=BB315_9 Depth=1
	v_xor_b32_e32 v28, 0x80000000, v29
	v_cmp_o_f32_e32 vcc_lo, v29, v29
	s_delay_alu instid0(VALU_DEP_2) | instskip(NEXT) | instid1(VALU_DEP_1)
	v_bfe_u32 v30, v28, 16, 1
	v_add3_u32 v28, v28, v30, 0x7fff
	v_add_nc_u64_e32 v[30:31], s[4:5], v[22:23]
	s_delay_alu instid0(VALU_DEP_2) | instskip(NEXT) | instid1(VALU_DEP_1)
	v_lshrrev_b32_e32 v28, 16, v28
	v_cndmask_b32_e32 v28, 0x7fc0, v28, vcc_lo
	global_store_b16 v[30:31], v28, off
	s_branch .LBB315_8
.LBB315_25:
	s_endpgm
	.section	.rodata,"a",@progbits
	.p2align	6, 0x0
	.amdhsa_kernel _ZN2at6native12_GLOBAL__N_125multi_tensor_apply_kernelINS1_18TensorListMetadataILi2EEENS1_14UnaryOpFunctorIN3c108BFloat16ELi2ELi1ELi1EEEJSt6negateIfEEEEvT_T0_DpT1_
		.amdhsa_group_segment_fixed_size 0
		.amdhsa_private_segment_fixed_size 0
		.amdhsa_kernarg_size 3408
		.amdhsa_user_sgpr_count 2
		.amdhsa_user_sgpr_dispatch_ptr 0
		.amdhsa_user_sgpr_queue_ptr 0
		.amdhsa_user_sgpr_kernarg_segment_ptr 1
		.amdhsa_user_sgpr_dispatch_id 0
		.amdhsa_user_sgpr_kernarg_preload_length 0
		.amdhsa_user_sgpr_kernarg_preload_offset 0
		.amdhsa_user_sgpr_private_segment_size 0
		.amdhsa_wavefront_size32 1
		.amdhsa_uses_dynamic_stack 0
		.amdhsa_enable_private_segment 0
		.amdhsa_system_sgpr_workgroup_id_x 1
		.amdhsa_system_sgpr_workgroup_id_y 0
		.amdhsa_system_sgpr_workgroup_id_z 0
		.amdhsa_system_sgpr_workgroup_info 0
		.amdhsa_system_vgpr_workitem_id 0
		.amdhsa_next_free_vgpr 35
		.amdhsa_next_free_sgpr 20
		.amdhsa_named_barrier_count 0
		.amdhsa_reserve_vcc 1
		.amdhsa_float_round_mode_32 0
		.amdhsa_float_round_mode_16_64 0
		.amdhsa_float_denorm_mode_32 3
		.amdhsa_float_denorm_mode_16_64 3
		.amdhsa_fp16_overflow 0
		.amdhsa_memory_ordered 1
		.amdhsa_forward_progress 1
		.amdhsa_inst_pref_size 13
		.amdhsa_round_robin_scheduling 0
		.amdhsa_exception_fp_ieee_invalid_op 0
		.amdhsa_exception_fp_denorm_src 0
		.amdhsa_exception_fp_ieee_div_zero 0
		.amdhsa_exception_fp_ieee_overflow 0
		.amdhsa_exception_fp_ieee_underflow 0
		.amdhsa_exception_fp_ieee_inexact 0
		.amdhsa_exception_int_div_zero 0
	.end_amdhsa_kernel
	.section	.text._ZN2at6native12_GLOBAL__N_125multi_tensor_apply_kernelINS1_18TensorListMetadataILi2EEENS1_14UnaryOpFunctorIN3c108BFloat16ELi2ELi1ELi1EEEJSt6negateIfEEEEvT_T0_DpT1_,"axG",@progbits,_ZN2at6native12_GLOBAL__N_125multi_tensor_apply_kernelINS1_18TensorListMetadataILi2EEENS1_14UnaryOpFunctorIN3c108BFloat16ELi2ELi1ELi1EEEJSt6negateIfEEEEvT_T0_DpT1_,comdat
.Lfunc_end315:
	.size	_ZN2at6native12_GLOBAL__N_125multi_tensor_apply_kernelINS1_18TensorListMetadataILi2EEENS1_14UnaryOpFunctorIN3c108BFloat16ELi2ELi1ELi1EEEJSt6negateIfEEEEvT_T0_DpT1_, .Lfunc_end315-_ZN2at6native12_GLOBAL__N_125multi_tensor_apply_kernelINS1_18TensorListMetadataILi2EEENS1_14UnaryOpFunctorIN3c108BFloat16ELi2ELi1ELi1EEEJSt6negateIfEEEEvT_T0_DpT1_
                                        ; -- End function
	.set _ZN2at6native12_GLOBAL__N_125multi_tensor_apply_kernelINS1_18TensorListMetadataILi2EEENS1_14UnaryOpFunctorIN3c108BFloat16ELi2ELi1ELi1EEEJSt6negateIfEEEEvT_T0_DpT1_.num_vgpr, 35
	.set _ZN2at6native12_GLOBAL__N_125multi_tensor_apply_kernelINS1_18TensorListMetadataILi2EEENS1_14UnaryOpFunctorIN3c108BFloat16ELi2ELi1ELi1EEEJSt6negateIfEEEEvT_T0_DpT1_.num_agpr, 0
	.set _ZN2at6native12_GLOBAL__N_125multi_tensor_apply_kernelINS1_18TensorListMetadataILi2EEENS1_14UnaryOpFunctorIN3c108BFloat16ELi2ELi1ELi1EEEJSt6negateIfEEEEvT_T0_DpT1_.numbered_sgpr, 20
	.set _ZN2at6native12_GLOBAL__N_125multi_tensor_apply_kernelINS1_18TensorListMetadataILi2EEENS1_14UnaryOpFunctorIN3c108BFloat16ELi2ELi1ELi1EEEJSt6negateIfEEEEvT_T0_DpT1_.num_named_barrier, 0
	.set _ZN2at6native12_GLOBAL__N_125multi_tensor_apply_kernelINS1_18TensorListMetadataILi2EEENS1_14UnaryOpFunctorIN3c108BFloat16ELi2ELi1ELi1EEEJSt6negateIfEEEEvT_T0_DpT1_.private_seg_size, 0
	.set _ZN2at6native12_GLOBAL__N_125multi_tensor_apply_kernelINS1_18TensorListMetadataILi2EEENS1_14UnaryOpFunctorIN3c108BFloat16ELi2ELi1ELi1EEEJSt6negateIfEEEEvT_T0_DpT1_.uses_vcc, 1
	.set _ZN2at6native12_GLOBAL__N_125multi_tensor_apply_kernelINS1_18TensorListMetadataILi2EEENS1_14UnaryOpFunctorIN3c108BFloat16ELi2ELi1ELi1EEEJSt6negateIfEEEEvT_T0_DpT1_.uses_flat_scratch, 0
	.set _ZN2at6native12_GLOBAL__N_125multi_tensor_apply_kernelINS1_18TensorListMetadataILi2EEENS1_14UnaryOpFunctorIN3c108BFloat16ELi2ELi1ELi1EEEJSt6negateIfEEEEvT_T0_DpT1_.has_dyn_sized_stack, 0
	.set _ZN2at6native12_GLOBAL__N_125multi_tensor_apply_kernelINS1_18TensorListMetadataILi2EEENS1_14UnaryOpFunctorIN3c108BFloat16ELi2ELi1ELi1EEEJSt6negateIfEEEEvT_T0_DpT1_.has_recursion, 0
	.set _ZN2at6native12_GLOBAL__N_125multi_tensor_apply_kernelINS1_18TensorListMetadataILi2EEENS1_14UnaryOpFunctorIN3c108BFloat16ELi2ELi1ELi1EEEJSt6negateIfEEEEvT_T0_DpT1_.has_indirect_call, 0
	.section	.AMDGPU.csdata,"",@progbits
; Kernel info:
; codeLenInByte = 1540
; TotalNumSgprs: 22
; NumVgprs: 35
; ScratchSize: 0
; MemoryBound: 0
; FloatMode: 240
; IeeeMode: 1
; LDSByteSize: 0 bytes/workgroup (compile time only)
; SGPRBlocks: 0
; VGPRBlocks: 2
; NumSGPRsForWavesPerEU: 22
; NumVGPRsForWavesPerEU: 35
; NamedBarCnt: 0
; Occupancy: 16
; WaveLimiterHint : 0
; COMPUTE_PGM_RSRC2:SCRATCH_EN: 0
; COMPUTE_PGM_RSRC2:USER_SGPR: 2
; COMPUTE_PGM_RSRC2:TRAP_HANDLER: 0
; COMPUTE_PGM_RSRC2:TGID_X_EN: 1
; COMPUTE_PGM_RSRC2:TGID_Y_EN: 0
; COMPUTE_PGM_RSRC2:TGID_Z_EN: 0
; COMPUTE_PGM_RSRC2:TIDIG_COMP_CNT: 0
	.section	.text._ZN2at6native12_GLOBAL__N_125multi_tensor_apply_kernelINS1_18TensorListMetadataILi1EEENS1_14UnaryOpFunctorIhLi1ELi1ELi0EEEJSt6negateIhEEEEvT_T0_DpT1_,"axG",@progbits,_ZN2at6native12_GLOBAL__N_125multi_tensor_apply_kernelINS1_18TensorListMetadataILi1EEENS1_14UnaryOpFunctorIhLi1ELi1ELi0EEEJSt6negateIhEEEEvT_T0_DpT1_,comdat
	.globl	_ZN2at6native12_GLOBAL__N_125multi_tensor_apply_kernelINS1_18TensorListMetadataILi1EEENS1_14UnaryOpFunctorIhLi1ELi1ELi0EEEJSt6negateIhEEEEvT_T0_DpT1_ ; -- Begin function _ZN2at6native12_GLOBAL__N_125multi_tensor_apply_kernelINS1_18TensorListMetadataILi1EEENS1_14UnaryOpFunctorIhLi1ELi1ELi0EEEJSt6negateIhEEEEvT_T0_DpT1_
	.p2align	8
	.type	_ZN2at6native12_GLOBAL__N_125multi_tensor_apply_kernelINS1_18TensorListMetadataILi1EEENS1_14UnaryOpFunctorIhLi1ELi1ELi0EEEJSt6negateIhEEEEvT_T0_DpT1_,@function
_ZN2at6native12_GLOBAL__N_125multi_tensor_apply_kernelINS1_18TensorListMetadataILi1EEENS1_14UnaryOpFunctorIhLi1ELi1ELi0EEEJSt6negateIhEEEEvT_T0_DpT1_: ; @_ZN2at6native12_GLOBAL__N_125multi_tensor_apply_kernelINS1_18TensorListMetadataILi1EEENS1_14UnaryOpFunctorIhLi1ELi1ELi0EEEJSt6negateIhEEEEvT_T0_DpT1_
; %bb.0:
	s_bfe_u32 s2, ttmp6, 0x4000c
	s_and_b32 s3, ttmp6, 15
	s_add_co_i32 s2, s2, 1
	s_getreg_b32 s4, hwreg(HW_REG_IB_STS2, 6, 4)
	s_mul_i32 s2, ttmp9, s2
	s_delay_alu instid0(SALU_CYCLE_1)
	s_add_co_i32 s3, s3, s2
	s_cmp_eq_u32 s4, 0
	s_cselect_b32 s2, ttmp9, s3
	s_mov_b32 s3, 0
	s_load_u8 s9, s[0:1], s2 offset:0x6e0
	s_add_nc_u64 s[4:5], s[0:1], s[2:3]
	s_wait_xcnt 0x0
	s_mul_u64 s[2:3], s[2:3], 3
	s_delay_alu instid0(SALU_CYCLE_1)
	s_add_nc_u64 s[2:3], s[4:5], s[2:3]
	s_wait_kmcnt 0x0
	s_clause 0x2
	s_load_b64 s[4:5], s[0:1], s9 offset:0x370 scale_offset
	s_load_b64 s[6:7], s[0:1], s9 offset:0x0 scale_offset
	s_load_b32 s8, s[2:3], 0x820
	s_wait_kmcnt 0x0
	s_or_b32 s2, s4, s6
	s_ashr_i32 s9, s8, 31
	s_and_b32 s2, s2, 3
	s_lshl_b64 s[8:9], s[8:9], 16
	s_cmp_eq_u32 s2, 0
	s_sub_nc_u64 s[10:11], s[4:5], s[8:9]
	s_cbranch_scc1 .LBB316_21
; %bb.1:
	v_cmp_lt_i64_e64 s2, s[10:11], 1
	s_and_b32 vcc_lo, exec_lo, s2
	s_cbranch_vccnz .LBB316_20
; %bb.2:
	s_load_b32 s2, s[0:1], 0xd3c
	v_min_i64 v[2:3], 0x10000, s[10:11]
	v_min_u64 v[4:5], 0x10000, s[10:11]
	v_mov_b32_e32 v1, 0
	s_mov_b32 s13, 0
	s_delay_alu instid0(SALU_CYCLE_1) | instskip(SKIP_1) | instid1(VALU_DEP_1)
	s_mov_b32 s3, s13
	s_mov_b32 s5, s13
	v_add_nc_u64_e32 v[12:13], s[8:9], v[0:1]
	s_delay_alu instid0(VALU_DEP_1) | instskip(SKIP_2) | instid1(SALU_CYCLE_1)
	v_add_nc_u64_e32 v[6:7], s[6:7], v[12:13]
	s_wait_kmcnt 0x0
	s_and_b32 s12, s2, 0xffff
	s_lshl_b32 s2, s12, 1
	s_mul_i32 s4, s12, 3
	s_add_nc_u64 s[14:15], s[6:7], s[12:13]
	s_add_nc_u64 s[16:17], s[8:9], s[4:5]
	v_add_nc_u64_e32 v[8:9], s[4:5], v[0:1]
	s_add_nc_u64 s[4:5], s[8:9], s[2:3]
	v_add_nc_u64_e32 v[10:11], s[2:3], v[0:1]
	s_add_nc_u64 s[2:3], s[6:7], s[16:17]
	s_add_nc_u64 s[4:5], s[6:7], s[4:5]
	v_add_nc_u64_e32 v[12:13], s[14:15], v[12:13]
	v_add_nc_u64_e32 v[14:15], s[2:3], v[0:1]
	;; [unrolled: 1-line block ×4, first 2 shown]
	s_lshl_b32 s12, s12, 2
	s_mov_b64 s[14:15], 0
	s_branch .LBB316_4
.LBB316_3:                              ;   in Loop: Header=BB316_4 Depth=1
	s_wait_xcnt 0x0
	s_or_b32 exec_lo, exec_lo, s2
	s_add_nc_u64 s[14:15], s[14:15], s[12:13]
	s_delay_alu instid0(SALU_CYCLE_1)
	v_cmp_lt_i64_e32 vcc_lo, s[14:15], v[2:3]
	s_cbranch_vccz .LBB316_20
.LBB316_4:                              ; =>This Inner Loop Header: Depth=1
	v_add_nc_u64_e32 v[20:21], s[14:15], v[0:1]
	v_mov_b32_e32 v28, 0
	s_delay_alu instid0(VALU_DEP_2)
	v_cmp_lt_u64_e32 vcc_lo, v[20:21], v[4:5]
	v_add_nc_u64_e32 v[20:21], s[14:15], v[6:7]
	s_and_saveexec_b32 s2, vcc_lo
	s_cbranch_execz .LBB316_6
; %bb.5:                                ;   in Loop: Header=BB316_4 Depth=1
	global_load_u8 v28, v[20:21], off
.LBB316_6:                              ;   in Loop: Header=BB316_4 Depth=1
	s_wait_xcnt 0x0
	s_or_b32 exec_lo, exec_lo, s2
	v_add_nc_u64_e32 v[22:23], s[14:15], v[18:19]
	v_dual_mov_b32 v29, 0 :: v_dual_mov_b32 v30, 0
	s_delay_alu instid0(VALU_DEP_2)
	v_cmp_lt_u64_e64 s2, v[22:23], v[4:5]
	v_add_nc_u64_e32 v[22:23], s[14:15], v[12:13]
	s_and_saveexec_b32 s3, s2
	s_cbranch_execz .LBB316_8
; %bb.7:                                ;   in Loop: Header=BB316_4 Depth=1
	global_load_u8 v30, v[22:23], off
.LBB316_8:                              ;   in Loop: Header=BB316_4 Depth=1
	s_wait_xcnt 0x0
	s_or_b32 exec_lo, exec_lo, s3
	v_add_nc_u64_e32 v[24:25], s[14:15], v[10:11]
	s_delay_alu instid0(VALU_DEP_1)
	v_cmp_lt_u64_e64 s3, v[24:25], v[4:5]
	v_add_nc_u64_e32 v[24:25], s[14:15], v[16:17]
	s_and_saveexec_b32 s4, s3
	s_cbranch_execz .LBB316_10
; %bb.9:                                ;   in Loop: Header=BB316_4 Depth=1
	global_load_u8 v29, v[24:25], off
.LBB316_10:                             ;   in Loop: Header=BB316_4 Depth=1
	s_wait_xcnt 0x0
	s_or_b32 exec_lo, exec_lo, s4
	v_add_nc_u64_e32 v[26:27], s[14:15], v[8:9]
	v_mov_b32_e32 v31, 0
	s_delay_alu instid0(VALU_DEP_2)
	v_cmp_lt_u64_e64 s4, v[26:27], v[4:5]
	v_add_nc_u64_e32 v[26:27], s[14:15], v[14:15]
	s_and_saveexec_b32 s5, s4
	s_cbranch_execz .LBB316_12
; %bb.11:                               ;   in Loop: Header=BB316_4 Depth=1
	global_load_u8 v31, v[26:27], off
.LBB316_12:                             ;   in Loop: Header=BB316_4 Depth=1
	s_wait_xcnt 0x0
	s_or_b32 exec_lo, exec_lo, s5
	s_wait_loadcnt 0x0
	v_sub_nc_u16 v28, 0, v28
	v_sub_nc_u16 v29, 0, v29
	v_lshlrev_b16 v30, 8, v30
	v_lshlrev_b16 v31, 8, v31
	s_delay_alu instid0(VALU_DEP_4) | instskip(NEXT) | instid1(VALU_DEP_4)
	v_and_b32_e32 v28, 0xff, v28
	v_and_b32_e32 v29, 0xff, v29
	s_delay_alu instid0(VALU_DEP_2) | instskip(NEXT) | instid1(VALU_DEP_2)
	v_sub_nc_u16 v28, v28, v30
	v_sub_nc_u16 v29, v29, v31
	s_delay_alu instid0(VALU_DEP_2) | instskip(NEXT) | instid1(VALU_DEP_2)
	v_and_b32_e32 v28, 0xffff, v28
	v_lshlrev_b32_e32 v29, 16, v29
	s_delay_alu instid0(VALU_DEP_1)
	v_or_b32_e32 v28, v28, v29
	s_and_saveexec_b32 s5, vcc_lo
	s_cbranch_execnz .LBB316_16
; %bb.13:                               ;   in Loop: Header=BB316_4 Depth=1
	s_or_b32 exec_lo, exec_lo, s5
	s_and_saveexec_b32 s5, s2
	s_cbranch_execnz .LBB316_17
.LBB316_14:                             ;   in Loop: Header=BB316_4 Depth=1
	s_or_b32 exec_lo, exec_lo, s5
	s_and_saveexec_b32 s2, s3
	s_cbranch_execnz .LBB316_18
.LBB316_15:                             ;   in Loop: Header=BB316_4 Depth=1
	s_or_b32 exec_lo, exec_lo, s2
	s_and_saveexec_b32 s2, s4
	s_cbranch_execz .LBB316_3
	s_branch .LBB316_19
.LBB316_16:                             ;   in Loop: Header=BB316_4 Depth=1
	global_store_b8 v[20:21], v28, off
	s_wait_xcnt 0x0
	s_or_b32 exec_lo, exec_lo, s5
	s_and_saveexec_b32 s5, s2
	s_cbranch_execz .LBB316_14
.LBB316_17:                             ;   in Loop: Header=BB316_4 Depth=1
	v_lshrrev_b32_e32 v20, 8, v28
	global_store_b8 v[22:23], v20, off
	s_wait_xcnt 0x0
	s_or_b32 exec_lo, exec_lo, s5
	s_and_saveexec_b32 s2, s3
	s_cbranch_execz .LBB316_15
.LBB316_18:                             ;   in Loop: Header=BB316_4 Depth=1
	global_store_d16_hi_b8 v[24:25], v28, off
	s_wait_xcnt 0x0
	s_or_b32 exec_lo, exec_lo, s2
	s_and_saveexec_b32 s2, s4
	s_cbranch_execz .LBB316_3
.LBB316_19:                             ;   in Loop: Header=BB316_4 Depth=1
	v_lshrrev_b32_e32 v20, 24, v28
	global_store_b8 v[26:27], v20, off
	s_branch .LBB316_3
.LBB316_20:
	s_cbranch_execz .LBB316_22
	s_branch .LBB316_25
.LBB316_21:
.LBB316_22:
	v_min_i64 v[2:3], 0x10000, s[10:11]
	v_dual_mov_b32 v5, 0 :: v_dual_lshlrev_b32 v4, 2, v0
	s_mov_b32 s2, exec_lo
	s_delay_alu instid0(VALU_DEP_1)
	v_cmpx_lt_i64_e64 v[4:5], v[2:3]
	s_cbranch_execz .LBB316_25
; %bb.23:
	s_load_b32 s2, s[0:1], 0xd3c
	s_wait_xcnt 0x0
	s_add_nc_u64 s[0:1], s[6:7], s[8:9]
	v_mov_b32_e32 v1, v5
	v_add_nc_u64_e32 v[4:5], s[0:1], v[4:5]
	s_mov_b32 s1, 0
	s_delay_alu instid0(SALU_CYCLE_1) | instskip(SKIP_3) | instid1(SALU_CYCLE_1)
	s_mov_b32 s3, s1
	s_mov_b32 s4, s1
	s_wait_kmcnt 0x0
	s_and_b32 s0, s2, 0xffff
	s_lshl_b32 s2, s0, 2
.LBB316_24:                             ; =>This Inner Loop Header: Depth=1
	global_load_b32 v6, v[4:5], off
	v_add_nc_u64_e32 v[0:1], s[0:1], v[0:1]
	s_wait_loadcnt 0x0
	v_lshrrev_b32_e32 v7, 16, v6
	v_sub_nc_u16 v8, 0, v6
	v_and_b32_e32 v6, 0xffffff00, v6
	s_delay_alu instid0(VALU_DEP_3) | instskip(NEXT) | instid1(VALU_DEP_3)
	v_sub_nc_u16 v9, 0, v7
	v_and_b32_e32 v8, 0xff, v8
	v_and_b32_e32 v7, 0xffffff00, v7
	s_delay_alu instid0(VALU_DEP_3) | instskip(NEXT) | instid1(VALU_DEP_3)
	v_and_b32_e32 v9, 0xff, v9
	v_sub_nc_u16 v6, v8, v6
	s_delay_alu instid0(VALU_DEP_2) | instskip(NEXT) | instid1(VALU_DEP_2)
	v_sub_nc_u16 v7, v9, v7
	v_and_b32_e32 v8, 0xffff, v6
	s_delay_alu instid0(VALU_DEP_2) | instskip(SKIP_1) | instid1(VALU_DEP_2)
	v_lshlrev_b32_e32 v9, 16, v7
	v_lshlrev_b64_e32 v[6:7], 2, v[0:1]
	v_or_b32_e32 v8, v8, v9
	s_delay_alu instid0(VALU_DEP_2) | instskip(SKIP_4) | instid1(SALU_CYCLE_1)
	v_cmp_ge_i64_e32 vcc_lo, v[6:7], v[2:3]
	global_store_b32 v[4:5], v8, off
	s_wait_xcnt 0x0
	v_add_nc_u64_e32 v[4:5], s[2:3], v[4:5]
	s_or_b32 s4, vcc_lo, s4
	s_and_not1_b32 exec_lo, exec_lo, s4
	s_cbranch_execnz .LBB316_24
.LBB316_25:
	s_endpgm
	.section	.rodata,"a",@progbits
	.p2align	6, 0x0
	.amdhsa_kernel _ZN2at6native12_GLOBAL__N_125multi_tensor_apply_kernelINS1_18TensorListMetadataILi1EEENS1_14UnaryOpFunctorIhLi1ELi1ELi0EEEJSt6negateIhEEEEvT_T0_DpT1_
		.amdhsa_group_segment_fixed_size 0
		.amdhsa_private_segment_fixed_size 0
		.amdhsa_kernarg_size 3632
		.amdhsa_user_sgpr_count 2
		.amdhsa_user_sgpr_dispatch_ptr 0
		.amdhsa_user_sgpr_queue_ptr 0
		.amdhsa_user_sgpr_kernarg_segment_ptr 1
		.amdhsa_user_sgpr_dispatch_id 0
		.amdhsa_user_sgpr_kernarg_preload_length 0
		.amdhsa_user_sgpr_kernarg_preload_offset 0
		.amdhsa_user_sgpr_private_segment_size 0
		.amdhsa_wavefront_size32 1
		.amdhsa_uses_dynamic_stack 0
		.amdhsa_enable_private_segment 0
		.amdhsa_system_sgpr_workgroup_id_x 1
		.amdhsa_system_sgpr_workgroup_id_y 0
		.amdhsa_system_sgpr_workgroup_id_z 0
		.amdhsa_system_sgpr_workgroup_info 0
		.amdhsa_system_vgpr_workitem_id 0
		.amdhsa_next_free_vgpr 32
		.amdhsa_next_free_sgpr 18
		.amdhsa_named_barrier_count 0
		.amdhsa_reserve_vcc 1
		.amdhsa_float_round_mode_32 0
		.amdhsa_float_round_mode_16_64 0
		.amdhsa_float_denorm_mode_32 3
		.amdhsa_float_denorm_mode_16_64 3
		.amdhsa_fp16_overflow 0
		.amdhsa_memory_ordered 1
		.amdhsa_forward_progress 1
		.amdhsa_inst_pref_size 9
		.amdhsa_round_robin_scheduling 0
		.amdhsa_exception_fp_ieee_invalid_op 0
		.amdhsa_exception_fp_denorm_src 0
		.amdhsa_exception_fp_ieee_div_zero 0
		.amdhsa_exception_fp_ieee_overflow 0
		.amdhsa_exception_fp_ieee_underflow 0
		.amdhsa_exception_fp_ieee_inexact 0
		.amdhsa_exception_int_div_zero 0
	.end_amdhsa_kernel
	.section	.text._ZN2at6native12_GLOBAL__N_125multi_tensor_apply_kernelINS1_18TensorListMetadataILi1EEENS1_14UnaryOpFunctorIhLi1ELi1ELi0EEEJSt6negateIhEEEEvT_T0_DpT1_,"axG",@progbits,_ZN2at6native12_GLOBAL__N_125multi_tensor_apply_kernelINS1_18TensorListMetadataILi1EEENS1_14UnaryOpFunctorIhLi1ELi1ELi0EEEJSt6negateIhEEEEvT_T0_DpT1_,comdat
.Lfunc_end316:
	.size	_ZN2at6native12_GLOBAL__N_125multi_tensor_apply_kernelINS1_18TensorListMetadataILi1EEENS1_14UnaryOpFunctorIhLi1ELi1ELi0EEEJSt6negateIhEEEEvT_T0_DpT1_, .Lfunc_end316-_ZN2at6native12_GLOBAL__N_125multi_tensor_apply_kernelINS1_18TensorListMetadataILi1EEENS1_14UnaryOpFunctorIhLi1ELi1ELi0EEEJSt6negateIhEEEEvT_T0_DpT1_
                                        ; -- End function
	.set _ZN2at6native12_GLOBAL__N_125multi_tensor_apply_kernelINS1_18TensorListMetadataILi1EEENS1_14UnaryOpFunctorIhLi1ELi1ELi0EEEJSt6negateIhEEEEvT_T0_DpT1_.num_vgpr, 32
	.set _ZN2at6native12_GLOBAL__N_125multi_tensor_apply_kernelINS1_18TensorListMetadataILi1EEENS1_14UnaryOpFunctorIhLi1ELi1ELi0EEEJSt6negateIhEEEEvT_T0_DpT1_.num_agpr, 0
	.set _ZN2at6native12_GLOBAL__N_125multi_tensor_apply_kernelINS1_18TensorListMetadataILi1EEENS1_14UnaryOpFunctorIhLi1ELi1ELi0EEEJSt6negateIhEEEEvT_T0_DpT1_.numbered_sgpr, 18
	.set _ZN2at6native12_GLOBAL__N_125multi_tensor_apply_kernelINS1_18TensorListMetadataILi1EEENS1_14UnaryOpFunctorIhLi1ELi1ELi0EEEJSt6negateIhEEEEvT_T0_DpT1_.num_named_barrier, 0
	.set _ZN2at6native12_GLOBAL__N_125multi_tensor_apply_kernelINS1_18TensorListMetadataILi1EEENS1_14UnaryOpFunctorIhLi1ELi1ELi0EEEJSt6negateIhEEEEvT_T0_DpT1_.private_seg_size, 0
	.set _ZN2at6native12_GLOBAL__N_125multi_tensor_apply_kernelINS1_18TensorListMetadataILi1EEENS1_14UnaryOpFunctorIhLi1ELi1ELi0EEEJSt6negateIhEEEEvT_T0_DpT1_.uses_vcc, 1
	.set _ZN2at6native12_GLOBAL__N_125multi_tensor_apply_kernelINS1_18TensorListMetadataILi1EEENS1_14UnaryOpFunctorIhLi1ELi1ELi0EEEJSt6negateIhEEEEvT_T0_DpT1_.uses_flat_scratch, 0
	.set _ZN2at6native12_GLOBAL__N_125multi_tensor_apply_kernelINS1_18TensorListMetadataILi1EEENS1_14UnaryOpFunctorIhLi1ELi1ELi0EEEJSt6negateIhEEEEvT_T0_DpT1_.has_dyn_sized_stack, 0
	.set _ZN2at6native12_GLOBAL__N_125multi_tensor_apply_kernelINS1_18TensorListMetadataILi1EEENS1_14UnaryOpFunctorIhLi1ELi1ELi0EEEJSt6negateIhEEEEvT_T0_DpT1_.has_recursion, 0
	.set _ZN2at6native12_GLOBAL__N_125multi_tensor_apply_kernelINS1_18TensorListMetadataILi1EEENS1_14UnaryOpFunctorIhLi1ELi1ELi0EEEJSt6negateIhEEEEvT_T0_DpT1_.has_indirect_call, 0
	.section	.AMDGPU.csdata,"",@progbits
; Kernel info:
; codeLenInByte = 1048
; TotalNumSgprs: 20
; NumVgprs: 32
; ScratchSize: 0
; MemoryBound: 0
; FloatMode: 240
; IeeeMode: 1
; LDSByteSize: 0 bytes/workgroup (compile time only)
; SGPRBlocks: 0
; VGPRBlocks: 1
; NumSGPRsForWavesPerEU: 20
; NumVGPRsForWavesPerEU: 32
; NamedBarCnt: 0
; Occupancy: 16
; WaveLimiterHint : 0
; COMPUTE_PGM_RSRC2:SCRATCH_EN: 0
; COMPUTE_PGM_RSRC2:USER_SGPR: 2
; COMPUTE_PGM_RSRC2:TRAP_HANDLER: 0
; COMPUTE_PGM_RSRC2:TGID_X_EN: 1
; COMPUTE_PGM_RSRC2:TGID_Y_EN: 0
; COMPUTE_PGM_RSRC2:TGID_Z_EN: 0
; COMPUTE_PGM_RSRC2:TIDIG_COMP_CNT: 0
	.section	.text._ZN2at6native12_GLOBAL__N_125multi_tensor_apply_kernelINS1_18TensorListMetadataILi1EEENS1_14UnaryOpFunctorIaLi1ELi1ELi0EEEJSt6negateIaEEEEvT_T0_DpT1_,"axG",@progbits,_ZN2at6native12_GLOBAL__N_125multi_tensor_apply_kernelINS1_18TensorListMetadataILi1EEENS1_14UnaryOpFunctorIaLi1ELi1ELi0EEEJSt6negateIaEEEEvT_T0_DpT1_,comdat
	.globl	_ZN2at6native12_GLOBAL__N_125multi_tensor_apply_kernelINS1_18TensorListMetadataILi1EEENS1_14UnaryOpFunctorIaLi1ELi1ELi0EEEJSt6negateIaEEEEvT_T0_DpT1_ ; -- Begin function _ZN2at6native12_GLOBAL__N_125multi_tensor_apply_kernelINS1_18TensorListMetadataILi1EEENS1_14UnaryOpFunctorIaLi1ELi1ELi0EEEJSt6negateIaEEEEvT_T0_DpT1_
	.p2align	8
	.type	_ZN2at6native12_GLOBAL__N_125multi_tensor_apply_kernelINS1_18TensorListMetadataILi1EEENS1_14UnaryOpFunctorIaLi1ELi1ELi0EEEJSt6negateIaEEEEvT_T0_DpT1_,@function
_ZN2at6native12_GLOBAL__N_125multi_tensor_apply_kernelINS1_18TensorListMetadataILi1EEENS1_14UnaryOpFunctorIaLi1ELi1ELi0EEEJSt6negateIaEEEEvT_T0_DpT1_: ; @_ZN2at6native12_GLOBAL__N_125multi_tensor_apply_kernelINS1_18TensorListMetadataILi1EEENS1_14UnaryOpFunctorIaLi1ELi1ELi0EEEJSt6negateIaEEEEvT_T0_DpT1_
; %bb.0:
	s_bfe_u32 s2, ttmp6, 0x4000c
	s_and_b32 s3, ttmp6, 15
	s_add_co_i32 s2, s2, 1
	s_getreg_b32 s4, hwreg(HW_REG_IB_STS2, 6, 4)
	s_mul_i32 s2, ttmp9, s2
	s_delay_alu instid0(SALU_CYCLE_1)
	s_add_co_i32 s3, s3, s2
	s_cmp_eq_u32 s4, 0
	s_cselect_b32 s2, ttmp9, s3
	s_mov_b32 s3, 0
	s_load_u8 s9, s[0:1], s2 offset:0x6e0
	s_add_nc_u64 s[4:5], s[0:1], s[2:3]
	s_wait_xcnt 0x0
	s_mul_u64 s[2:3], s[2:3], 3
	s_delay_alu instid0(SALU_CYCLE_1)
	s_add_nc_u64 s[2:3], s[4:5], s[2:3]
	s_wait_kmcnt 0x0
	s_clause 0x2
	s_load_b64 s[4:5], s[0:1], s9 offset:0x370 scale_offset
	s_load_b64 s[6:7], s[0:1], s9 offset:0x0 scale_offset
	s_load_b32 s8, s[2:3], 0x820
	s_wait_kmcnt 0x0
	s_or_b32 s2, s4, s6
	s_ashr_i32 s9, s8, 31
	s_and_b32 s2, s2, 3
	s_lshl_b64 s[8:9], s[8:9], 16
	s_cmp_eq_u32 s2, 0
	s_sub_nc_u64 s[10:11], s[4:5], s[8:9]
	s_cbranch_scc1 .LBB317_21
; %bb.1:
	v_cmp_lt_i64_e64 s2, s[10:11], 1
	s_and_b32 vcc_lo, exec_lo, s2
	s_cbranch_vccnz .LBB317_20
; %bb.2:
	s_load_b32 s2, s[0:1], 0xd3c
	v_min_i64 v[2:3], 0x10000, s[10:11]
	v_min_u64 v[4:5], 0x10000, s[10:11]
	v_mov_b32_e32 v1, 0
	s_mov_b32 s13, 0
	s_delay_alu instid0(SALU_CYCLE_1) | instskip(SKIP_1) | instid1(VALU_DEP_1)
	s_mov_b32 s3, s13
	s_mov_b32 s5, s13
	v_add_nc_u64_e32 v[12:13], s[8:9], v[0:1]
	s_delay_alu instid0(VALU_DEP_1) | instskip(SKIP_2) | instid1(SALU_CYCLE_1)
	v_add_nc_u64_e32 v[6:7], s[6:7], v[12:13]
	s_wait_kmcnt 0x0
	s_and_b32 s12, s2, 0xffff
	s_lshl_b32 s2, s12, 1
	s_mul_i32 s4, s12, 3
	s_add_nc_u64 s[14:15], s[6:7], s[12:13]
	s_add_nc_u64 s[16:17], s[8:9], s[4:5]
	v_add_nc_u64_e32 v[8:9], s[4:5], v[0:1]
	s_add_nc_u64 s[4:5], s[8:9], s[2:3]
	v_add_nc_u64_e32 v[10:11], s[2:3], v[0:1]
	s_add_nc_u64 s[2:3], s[6:7], s[16:17]
	s_add_nc_u64 s[4:5], s[6:7], s[4:5]
	v_add_nc_u64_e32 v[12:13], s[14:15], v[12:13]
	v_add_nc_u64_e32 v[14:15], s[2:3], v[0:1]
	;; [unrolled: 1-line block ×4, first 2 shown]
	s_lshl_b32 s12, s12, 2
	s_mov_b64 s[14:15], 0
	s_branch .LBB317_4
.LBB317_3:                              ;   in Loop: Header=BB317_4 Depth=1
	s_wait_xcnt 0x0
	s_or_b32 exec_lo, exec_lo, s2
	s_add_nc_u64 s[14:15], s[14:15], s[12:13]
	s_delay_alu instid0(SALU_CYCLE_1)
	v_cmp_lt_i64_e32 vcc_lo, s[14:15], v[2:3]
	s_cbranch_vccz .LBB317_20
.LBB317_4:                              ; =>This Inner Loop Header: Depth=1
	v_add_nc_u64_e32 v[20:21], s[14:15], v[0:1]
	v_mov_b32_e32 v28, 0
	s_delay_alu instid0(VALU_DEP_2)
	v_cmp_lt_u64_e32 vcc_lo, v[20:21], v[4:5]
	v_add_nc_u64_e32 v[20:21], s[14:15], v[6:7]
	s_and_saveexec_b32 s2, vcc_lo
	s_cbranch_execz .LBB317_6
; %bb.5:                                ;   in Loop: Header=BB317_4 Depth=1
	global_load_u8 v28, v[20:21], off
.LBB317_6:                              ;   in Loop: Header=BB317_4 Depth=1
	s_wait_xcnt 0x0
	s_or_b32 exec_lo, exec_lo, s2
	v_add_nc_u64_e32 v[22:23], s[14:15], v[18:19]
	v_dual_mov_b32 v29, 0 :: v_dual_mov_b32 v30, 0
	s_delay_alu instid0(VALU_DEP_2)
	v_cmp_lt_u64_e64 s2, v[22:23], v[4:5]
	v_add_nc_u64_e32 v[22:23], s[14:15], v[12:13]
	s_and_saveexec_b32 s3, s2
	s_cbranch_execz .LBB317_8
; %bb.7:                                ;   in Loop: Header=BB317_4 Depth=1
	global_load_u8 v30, v[22:23], off
.LBB317_8:                              ;   in Loop: Header=BB317_4 Depth=1
	s_wait_xcnt 0x0
	s_or_b32 exec_lo, exec_lo, s3
	v_add_nc_u64_e32 v[24:25], s[14:15], v[10:11]
	s_delay_alu instid0(VALU_DEP_1)
	v_cmp_lt_u64_e64 s3, v[24:25], v[4:5]
	v_add_nc_u64_e32 v[24:25], s[14:15], v[16:17]
	s_and_saveexec_b32 s4, s3
	s_cbranch_execz .LBB317_10
; %bb.9:                                ;   in Loop: Header=BB317_4 Depth=1
	global_load_u8 v29, v[24:25], off
.LBB317_10:                             ;   in Loop: Header=BB317_4 Depth=1
	s_wait_xcnt 0x0
	s_or_b32 exec_lo, exec_lo, s4
	v_add_nc_u64_e32 v[26:27], s[14:15], v[8:9]
	v_mov_b32_e32 v31, 0
	s_delay_alu instid0(VALU_DEP_2)
	v_cmp_lt_u64_e64 s4, v[26:27], v[4:5]
	v_add_nc_u64_e32 v[26:27], s[14:15], v[14:15]
	s_and_saveexec_b32 s5, s4
	s_cbranch_execz .LBB317_12
; %bb.11:                               ;   in Loop: Header=BB317_4 Depth=1
	global_load_u8 v31, v[26:27], off
.LBB317_12:                             ;   in Loop: Header=BB317_4 Depth=1
	s_wait_xcnt 0x0
	s_or_b32 exec_lo, exec_lo, s5
	s_wait_loadcnt 0x0
	v_sub_nc_u16 v28, 0, v28
	v_sub_nc_u16 v29, 0, v29
	v_lshlrev_b16 v30, 8, v30
	v_lshlrev_b16 v31, 8, v31
	s_delay_alu instid0(VALU_DEP_4) | instskip(NEXT) | instid1(VALU_DEP_4)
	v_and_b32_e32 v28, 0xff, v28
	v_and_b32_e32 v29, 0xff, v29
	s_delay_alu instid0(VALU_DEP_2) | instskip(NEXT) | instid1(VALU_DEP_2)
	v_sub_nc_u16 v28, v28, v30
	v_sub_nc_u16 v29, v29, v31
	s_delay_alu instid0(VALU_DEP_2) | instskip(NEXT) | instid1(VALU_DEP_2)
	v_and_b32_e32 v28, 0xffff, v28
	v_lshlrev_b32_e32 v29, 16, v29
	s_delay_alu instid0(VALU_DEP_1)
	v_or_b32_e32 v28, v28, v29
	s_and_saveexec_b32 s5, vcc_lo
	s_cbranch_execnz .LBB317_16
; %bb.13:                               ;   in Loop: Header=BB317_4 Depth=1
	s_or_b32 exec_lo, exec_lo, s5
	s_and_saveexec_b32 s5, s2
	s_cbranch_execnz .LBB317_17
.LBB317_14:                             ;   in Loop: Header=BB317_4 Depth=1
	s_or_b32 exec_lo, exec_lo, s5
	s_and_saveexec_b32 s2, s3
	s_cbranch_execnz .LBB317_18
.LBB317_15:                             ;   in Loop: Header=BB317_4 Depth=1
	s_or_b32 exec_lo, exec_lo, s2
	s_and_saveexec_b32 s2, s4
	s_cbranch_execz .LBB317_3
	s_branch .LBB317_19
.LBB317_16:                             ;   in Loop: Header=BB317_4 Depth=1
	global_store_b8 v[20:21], v28, off
	s_wait_xcnt 0x0
	s_or_b32 exec_lo, exec_lo, s5
	s_and_saveexec_b32 s5, s2
	s_cbranch_execz .LBB317_14
.LBB317_17:                             ;   in Loop: Header=BB317_4 Depth=1
	v_lshrrev_b32_e32 v20, 8, v28
	global_store_b8 v[22:23], v20, off
	s_wait_xcnt 0x0
	s_or_b32 exec_lo, exec_lo, s5
	s_and_saveexec_b32 s2, s3
	s_cbranch_execz .LBB317_15
.LBB317_18:                             ;   in Loop: Header=BB317_4 Depth=1
	global_store_d16_hi_b8 v[24:25], v28, off
	s_wait_xcnt 0x0
	s_or_b32 exec_lo, exec_lo, s2
	s_and_saveexec_b32 s2, s4
	s_cbranch_execz .LBB317_3
.LBB317_19:                             ;   in Loop: Header=BB317_4 Depth=1
	v_lshrrev_b32_e32 v20, 24, v28
	global_store_b8 v[26:27], v20, off
	s_branch .LBB317_3
.LBB317_20:
	s_cbranch_execz .LBB317_22
	s_branch .LBB317_25
.LBB317_21:
.LBB317_22:
	v_min_i64 v[2:3], 0x10000, s[10:11]
	v_dual_mov_b32 v5, 0 :: v_dual_lshlrev_b32 v4, 2, v0
	s_mov_b32 s2, exec_lo
	s_delay_alu instid0(VALU_DEP_1)
	v_cmpx_lt_i64_e64 v[4:5], v[2:3]
	s_cbranch_execz .LBB317_25
; %bb.23:
	s_load_b32 s2, s[0:1], 0xd3c
	s_wait_xcnt 0x0
	s_add_nc_u64 s[0:1], s[6:7], s[8:9]
	v_mov_b32_e32 v1, v5
	v_add_nc_u64_e32 v[4:5], s[0:1], v[4:5]
	s_mov_b32 s1, 0
	s_delay_alu instid0(SALU_CYCLE_1) | instskip(SKIP_3) | instid1(SALU_CYCLE_1)
	s_mov_b32 s3, s1
	s_mov_b32 s4, s1
	s_wait_kmcnt 0x0
	s_and_b32 s0, s2, 0xffff
	s_lshl_b32 s2, s0, 2
.LBB317_24:                             ; =>This Inner Loop Header: Depth=1
	global_load_b32 v6, v[4:5], off
	v_add_nc_u64_e32 v[0:1], s[0:1], v[0:1]
	s_wait_loadcnt 0x0
	v_lshrrev_b32_e32 v7, 16, v6
	v_sub_nc_u16 v8, 0, v6
	v_and_b32_e32 v6, 0xffffff00, v6
	s_delay_alu instid0(VALU_DEP_3) | instskip(NEXT) | instid1(VALU_DEP_3)
	v_sub_nc_u16 v9, 0, v7
	v_and_b32_e32 v8, 0xff, v8
	v_and_b32_e32 v7, 0xffffff00, v7
	s_delay_alu instid0(VALU_DEP_3) | instskip(NEXT) | instid1(VALU_DEP_3)
	v_and_b32_e32 v9, 0xff, v9
	v_sub_nc_u16 v6, v8, v6
	s_delay_alu instid0(VALU_DEP_2) | instskip(NEXT) | instid1(VALU_DEP_2)
	v_sub_nc_u16 v7, v9, v7
	v_and_b32_e32 v8, 0xffff, v6
	s_delay_alu instid0(VALU_DEP_2) | instskip(SKIP_1) | instid1(VALU_DEP_2)
	v_lshlrev_b32_e32 v9, 16, v7
	v_lshlrev_b64_e32 v[6:7], 2, v[0:1]
	v_or_b32_e32 v8, v8, v9
	s_delay_alu instid0(VALU_DEP_2) | instskip(SKIP_4) | instid1(SALU_CYCLE_1)
	v_cmp_ge_i64_e32 vcc_lo, v[6:7], v[2:3]
	global_store_b32 v[4:5], v8, off
	s_wait_xcnt 0x0
	v_add_nc_u64_e32 v[4:5], s[2:3], v[4:5]
	s_or_b32 s4, vcc_lo, s4
	s_and_not1_b32 exec_lo, exec_lo, s4
	s_cbranch_execnz .LBB317_24
.LBB317_25:
	s_endpgm
	.section	.rodata,"a",@progbits
	.p2align	6, 0x0
	.amdhsa_kernel _ZN2at6native12_GLOBAL__N_125multi_tensor_apply_kernelINS1_18TensorListMetadataILi1EEENS1_14UnaryOpFunctorIaLi1ELi1ELi0EEEJSt6negateIaEEEEvT_T0_DpT1_
		.amdhsa_group_segment_fixed_size 0
		.amdhsa_private_segment_fixed_size 0
		.amdhsa_kernarg_size 3632
		.amdhsa_user_sgpr_count 2
		.amdhsa_user_sgpr_dispatch_ptr 0
		.amdhsa_user_sgpr_queue_ptr 0
		.amdhsa_user_sgpr_kernarg_segment_ptr 1
		.amdhsa_user_sgpr_dispatch_id 0
		.amdhsa_user_sgpr_kernarg_preload_length 0
		.amdhsa_user_sgpr_kernarg_preload_offset 0
		.amdhsa_user_sgpr_private_segment_size 0
		.amdhsa_wavefront_size32 1
		.amdhsa_uses_dynamic_stack 0
		.amdhsa_enable_private_segment 0
		.amdhsa_system_sgpr_workgroup_id_x 1
		.amdhsa_system_sgpr_workgroup_id_y 0
		.amdhsa_system_sgpr_workgroup_id_z 0
		.amdhsa_system_sgpr_workgroup_info 0
		.amdhsa_system_vgpr_workitem_id 0
		.amdhsa_next_free_vgpr 32
		.amdhsa_next_free_sgpr 18
		.amdhsa_named_barrier_count 0
		.amdhsa_reserve_vcc 1
		.amdhsa_float_round_mode_32 0
		.amdhsa_float_round_mode_16_64 0
		.amdhsa_float_denorm_mode_32 3
		.amdhsa_float_denorm_mode_16_64 3
		.amdhsa_fp16_overflow 0
		.amdhsa_memory_ordered 1
		.amdhsa_forward_progress 1
		.amdhsa_inst_pref_size 9
		.amdhsa_round_robin_scheduling 0
		.amdhsa_exception_fp_ieee_invalid_op 0
		.amdhsa_exception_fp_denorm_src 0
		.amdhsa_exception_fp_ieee_div_zero 0
		.amdhsa_exception_fp_ieee_overflow 0
		.amdhsa_exception_fp_ieee_underflow 0
		.amdhsa_exception_fp_ieee_inexact 0
		.amdhsa_exception_int_div_zero 0
	.end_amdhsa_kernel
	.section	.text._ZN2at6native12_GLOBAL__N_125multi_tensor_apply_kernelINS1_18TensorListMetadataILi1EEENS1_14UnaryOpFunctorIaLi1ELi1ELi0EEEJSt6negateIaEEEEvT_T0_DpT1_,"axG",@progbits,_ZN2at6native12_GLOBAL__N_125multi_tensor_apply_kernelINS1_18TensorListMetadataILi1EEENS1_14UnaryOpFunctorIaLi1ELi1ELi0EEEJSt6negateIaEEEEvT_T0_DpT1_,comdat
.Lfunc_end317:
	.size	_ZN2at6native12_GLOBAL__N_125multi_tensor_apply_kernelINS1_18TensorListMetadataILi1EEENS1_14UnaryOpFunctorIaLi1ELi1ELi0EEEJSt6negateIaEEEEvT_T0_DpT1_, .Lfunc_end317-_ZN2at6native12_GLOBAL__N_125multi_tensor_apply_kernelINS1_18TensorListMetadataILi1EEENS1_14UnaryOpFunctorIaLi1ELi1ELi0EEEJSt6negateIaEEEEvT_T0_DpT1_
                                        ; -- End function
	.set _ZN2at6native12_GLOBAL__N_125multi_tensor_apply_kernelINS1_18TensorListMetadataILi1EEENS1_14UnaryOpFunctorIaLi1ELi1ELi0EEEJSt6negateIaEEEEvT_T0_DpT1_.num_vgpr, 32
	.set _ZN2at6native12_GLOBAL__N_125multi_tensor_apply_kernelINS1_18TensorListMetadataILi1EEENS1_14UnaryOpFunctorIaLi1ELi1ELi0EEEJSt6negateIaEEEEvT_T0_DpT1_.num_agpr, 0
	.set _ZN2at6native12_GLOBAL__N_125multi_tensor_apply_kernelINS1_18TensorListMetadataILi1EEENS1_14UnaryOpFunctorIaLi1ELi1ELi0EEEJSt6negateIaEEEEvT_T0_DpT1_.numbered_sgpr, 18
	.set _ZN2at6native12_GLOBAL__N_125multi_tensor_apply_kernelINS1_18TensorListMetadataILi1EEENS1_14UnaryOpFunctorIaLi1ELi1ELi0EEEJSt6negateIaEEEEvT_T0_DpT1_.num_named_barrier, 0
	.set _ZN2at6native12_GLOBAL__N_125multi_tensor_apply_kernelINS1_18TensorListMetadataILi1EEENS1_14UnaryOpFunctorIaLi1ELi1ELi0EEEJSt6negateIaEEEEvT_T0_DpT1_.private_seg_size, 0
	.set _ZN2at6native12_GLOBAL__N_125multi_tensor_apply_kernelINS1_18TensorListMetadataILi1EEENS1_14UnaryOpFunctorIaLi1ELi1ELi0EEEJSt6negateIaEEEEvT_T0_DpT1_.uses_vcc, 1
	.set _ZN2at6native12_GLOBAL__N_125multi_tensor_apply_kernelINS1_18TensorListMetadataILi1EEENS1_14UnaryOpFunctorIaLi1ELi1ELi0EEEJSt6negateIaEEEEvT_T0_DpT1_.uses_flat_scratch, 0
	.set _ZN2at6native12_GLOBAL__N_125multi_tensor_apply_kernelINS1_18TensorListMetadataILi1EEENS1_14UnaryOpFunctorIaLi1ELi1ELi0EEEJSt6negateIaEEEEvT_T0_DpT1_.has_dyn_sized_stack, 0
	.set _ZN2at6native12_GLOBAL__N_125multi_tensor_apply_kernelINS1_18TensorListMetadataILi1EEENS1_14UnaryOpFunctorIaLi1ELi1ELi0EEEJSt6negateIaEEEEvT_T0_DpT1_.has_recursion, 0
	.set _ZN2at6native12_GLOBAL__N_125multi_tensor_apply_kernelINS1_18TensorListMetadataILi1EEENS1_14UnaryOpFunctorIaLi1ELi1ELi0EEEJSt6negateIaEEEEvT_T0_DpT1_.has_indirect_call, 0
	.section	.AMDGPU.csdata,"",@progbits
; Kernel info:
; codeLenInByte = 1048
; TotalNumSgprs: 20
; NumVgprs: 32
; ScratchSize: 0
; MemoryBound: 0
; FloatMode: 240
; IeeeMode: 1
; LDSByteSize: 0 bytes/workgroup (compile time only)
; SGPRBlocks: 0
; VGPRBlocks: 1
; NumSGPRsForWavesPerEU: 20
; NumVGPRsForWavesPerEU: 32
; NamedBarCnt: 0
; Occupancy: 16
; WaveLimiterHint : 0
; COMPUTE_PGM_RSRC2:SCRATCH_EN: 0
; COMPUTE_PGM_RSRC2:USER_SGPR: 2
; COMPUTE_PGM_RSRC2:TRAP_HANDLER: 0
; COMPUTE_PGM_RSRC2:TGID_X_EN: 1
; COMPUTE_PGM_RSRC2:TGID_Y_EN: 0
; COMPUTE_PGM_RSRC2:TGID_Z_EN: 0
; COMPUTE_PGM_RSRC2:TIDIG_COMP_CNT: 0
	.section	.text._ZN2at6native12_GLOBAL__N_125multi_tensor_apply_kernelINS1_18TensorListMetadataILi1EEENS1_14UnaryOpFunctorIiLi1ELi1ELi0EEEJSt6negateIiEEEEvT_T0_DpT1_,"axG",@progbits,_ZN2at6native12_GLOBAL__N_125multi_tensor_apply_kernelINS1_18TensorListMetadataILi1EEENS1_14UnaryOpFunctorIiLi1ELi1ELi0EEEJSt6negateIiEEEEvT_T0_DpT1_,comdat
	.globl	_ZN2at6native12_GLOBAL__N_125multi_tensor_apply_kernelINS1_18TensorListMetadataILi1EEENS1_14UnaryOpFunctorIiLi1ELi1ELi0EEEJSt6negateIiEEEEvT_T0_DpT1_ ; -- Begin function _ZN2at6native12_GLOBAL__N_125multi_tensor_apply_kernelINS1_18TensorListMetadataILi1EEENS1_14UnaryOpFunctorIiLi1ELi1ELi0EEEJSt6negateIiEEEEvT_T0_DpT1_
	.p2align	8
	.type	_ZN2at6native12_GLOBAL__N_125multi_tensor_apply_kernelINS1_18TensorListMetadataILi1EEENS1_14UnaryOpFunctorIiLi1ELi1ELi0EEEJSt6negateIiEEEEvT_T0_DpT1_,@function
_ZN2at6native12_GLOBAL__N_125multi_tensor_apply_kernelINS1_18TensorListMetadataILi1EEENS1_14UnaryOpFunctorIiLi1ELi1ELi0EEEJSt6negateIiEEEEvT_T0_DpT1_: ; @_ZN2at6native12_GLOBAL__N_125multi_tensor_apply_kernelINS1_18TensorListMetadataILi1EEENS1_14UnaryOpFunctorIiLi1ELi1ELi0EEEJSt6negateIiEEEEvT_T0_DpT1_
; %bb.0:
	s_bfe_u32 s2, ttmp6, 0x4000c
	s_and_b32 s3, ttmp6, 15
	s_add_co_i32 s2, s2, 1
	s_getreg_b32 s4, hwreg(HW_REG_IB_STS2, 6, 4)
	s_mul_i32 s2, ttmp9, s2
	s_delay_alu instid0(SALU_CYCLE_1)
	s_add_co_i32 s3, s3, s2
	s_cmp_eq_u32 s4, 0
	s_cselect_b32 s2, ttmp9, s3
	s_mov_b32 s3, 0
	s_load_u8 s8, s[0:1], s2 offset:0x6e0
	s_add_nc_u64 s[4:5], s[0:1], s[2:3]
	s_mul_u64 s[6:7], s[2:3], 3
	s_delay_alu instid0(SALU_CYCLE_1)
	s_add_nc_u64 s[4:5], s[4:5], s[6:7]
	s_load_b32 s10, s[4:5], 0x820
	s_wait_kmcnt 0x0
	s_clause 0x1
	s_load_b64 s[6:7], s[0:1], s8 offset:0x0 scale_offset
	s_load_b64 s[12:13], s[0:1], s8 offset:0x370 scale_offset
	s_ashr_i32 s11, s10, 31
	s_wait_kmcnt 0x0
	s_and_b64 s[4:5], s[6:7], 15
	s_and_b32 s2, s12, 3
	s_lshl_b64 s[8:9], s[10:11], 18
	s_or_b64 s[2:3], s[4:5], s[2:3]
	s_lshl_b64 s[4:5], s[10:11], 16
	s_cmp_eq_u64 s[2:3], 0
	s_sub_nc_u64 s[10:11], s[12:13], s[4:5]
	s_cbranch_scc1 .LBB318_21
; %bb.1:
	v_cmp_lt_i64_e64 s2, s[10:11], 1
	s_and_b32 vcc_lo, exec_lo, s2
	s_cbranch_vccnz .LBB318_20
; %bb.2:
	s_load_b32 s4, s[0:1], 0xd3c
	v_min_i64 v[2:3], 0x10000, s[10:11]
	v_min_u64 v[4:5], 0x10000, s[10:11]
	v_dual_mov_b32 v1, 0 :: v_dual_lshlrev_b32 v8, 2, v0
	s_mov_b32 s19, 0
	s_add_nc_u64 s[2:3], s[6:7], s[8:9]
	s_mov_b32 s5, s19
	s_delay_alu instid0(VALU_DEP_1)
	v_mov_b32_e32 v15, v1
	s_mov_b32 s17, s19
	s_mov_b32 s13, s19
	;; [unrolled: 1-line block ×3, first 2 shown]
	s_mov_b64 s[20:21], 0
	s_wait_kmcnt 0x0
	s_and_b32 s18, s4, 0xffff
	s_delay_alu instid0(SALU_CYCLE_1)
	v_add_nc_u64_e32 v[6:7], s[18:19], v[0:1]
	v_mov_b32_e32 v9, v1
	s_lshl_b32 s4, s18, 1
	s_mul_i32 s16, s18, 3
	v_add_nc_u64_e32 v[12:13], s[4:5], v[0:1]
	v_add_nc_u64_e32 v[10:11], s[16:17], v[0:1]
	s_lshl_b32 s12, s18, 2
	v_lshlrev_b32_e32 v14, 2, v6
	v_add_nc_u64_e32 v[8:9], s[2:3], v[8:9]
	s_lshl_b32 s14, s18, 4
	s_mul_u64 s[16:17], s[18:19], 12
	s_lshl_b32 s18, s18, 3
	v_add_nc_u64_e32 v[14:15], s[2:3], v[14:15]
	s_branch .LBB318_4
.LBB318_3:                              ;   in Loop: Header=BB318_4 Depth=1
	s_wait_xcnt 0x0
	s_or_b32 exec_lo, exec_lo, s2
	s_add_nc_u64 s[20:21], s[20:21], s[12:13]
	v_add_nc_u64_e32 v[8:9], s[14:15], v[8:9]
	v_cmp_lt_i64_e32 vcc_lo, s[20:21], v[2:3]
	v_add_nc_u64_e32 v[14:15], s[14:15], v[14:15]
	s_cbranch_vccz .LBB318_20
.LBB318_4:                              ; =>This Inner Loop Header: Depth=1
	v_add_nc_u64_e32 v[16:17], s[20:21], v[0:1]
	s_wait_loadcnt 0x0
	v_mov_b32_e32 v21, 0
	s_delay_alu instid0(VALU_DEP_2)
	v_cmp_lt_u64_e32 vcc_lo, v[16:17], v[4:5]
	s_and_saveexec_b32 s2, vcc_lo
	s_cbranch_execz .LBB318_6
; %bb.5:                                ;   in Loop: Header=BB318_4 Depth=1
	global_load_b32 v21, v[8:9], off
.LBB318_6:                              ;   in Loop: Header=BB318_4 Depth=1
	s_wait_xcnt 0x0
	s_or_b32 exec_lo, exec_lo, s2
	v_add_nc_u64_e32 v[16:17], s[20:21], v[6:7]
	v_dual_mov_b32 v20, 0 :: v_dual_mov_b32 v22, 0
	s_delay_alu instid0(VALU_DEP_2)
	v_cmp_lt_u64_e64 s2, v[16:17], v[4:5]
	s_and_saveexec_b32 s3, s2
	s_cbranch_execz .LBB318_8
; %bb.7:                                ;   in Loop: Header=BB318_4 Depth=1
	global_load_b32 v22, v[14:15], off
.LBB318_8:                              ;   in Loop: Header=BB318_4 Depth=1
	s_wait_xcnt 0x0
	s_or_b32 exec_lo, exec_lo, s3
	v_add_nc_u64_e32 v[16:17], s[20:21], v[12:13]
	s_delay_alu instid0(VALU_DEP_1)
	v_cmp_lt_u64_e64 s3, v[16:17], v[4:5]
	v_add_nc_u64_e32 v[16:17], s[18:19], v[8:9]
	s_and_saveexec_b32 s4, s3
	s_cbranch_execz .LBB318_10
; %bb.9:                                ;   in Loop: Header=BB318_4 Depth=1
	global_load_b32 v20, v[16:17], off
.LBB318_10:                             ;   in Loop: Header=BB318_4 Depth=1
	s_wait_xcnt 0x0
	s_or_b32 exec_lo, exec_lo, s4
	v_add_nc_u64_e32 v[18:19], s[20:21], v[10:11]
	v_mov_b32_e32 v23, 0
	s_delay_alu instid0(VALU_DEP_2)
	v_cmp_lt_u64_e64 s4, v[18:19], v[4:5]
	v_add_nc_u64_e32 v[18:19], s[16:17], v[8:9]
	s_and_saveexec_b32 s5, s4
	s_cbranch_execnz .LBB318_15
; %bb.11:                               ;   in Loop: Header=BB318_4 Depth=1
	s_or_b32 exec_lo, exec_lo, s5
	s_and_saveexec_b32 s5, vcc_lo
	s_cbranch_execnz .LBB318_16
.LBB318_12:                             ;   in Loop: Header=BB318_4 Depth=1
	s_or_b32 exec_lo, exec_lo, s5
	s_and_saveexec_b32 s5, s2
	s_cbranch_execnz .LBB318_17
.LBB318_13:                             ;   in Loop: Header=BB318_4 Depth=1
	s_or_b32 exec_lo, exec_lo, s5
	s_and_saveexec_b32 s2, s3
	s_cbranch_execnz .LBB318_18
.LBB318_14:                             ;   in Loop: Header=BB318_4 Depth=1
	s_or_b32 exec_lo, exec_lo, s2
	s_and_saveexec_b32 s2, s4
	s_cbranch_execz .LBB318_3
	s_branch .LBB318_19
.LBB318_15:                             ;   in Loop: Header=BB318_4 Depth=1
	global_load_b32 v23, v[18:19], off
	s_wait_xcnt 0x0
	s_or_b32 exec_lo, exec_lo, s5
	s_and_saveexec_b32 s5, vcc_lo
	s_cbranch_execz .LBB318_12
.LBB318_16:                             ;   in Loop: Header=BB318_4 Depth=1
	s_wait_loadcnt 0x0
	v_sub_nc_u32_e32 v21, 0, v21
	global_store_b32 v[8:9], v21, off
	s_wait_xcnt 0x0
	s_or_b32 exec_lo, exec_lo, s5
	s_and_saveexec_b32 s5, s2
	s_cbranch_execz .LBB318_13
.LBB318_17:                             ;   in Loop: Header=BB318_4 Depth=1
	s_wait_loadcnt 0x0
	v_sub_nc_u32_e32 v21, 0, v22
	global_store_b32 v[14:15], v21, off
	s_wait_xcnt 0x0
	s_or_b32 exec_lo, exec_lo, s5
	s_and_saveexec_b32 s2, s3
	s_cbranch_execz .LBB318_14
.LBB318_18:                             ;   in Loop: Header=BB318_4 Depth=1
	s_wait_loadcnt 0x0
	v_sub_nc_u32_e32 v20, 0, v20
	global_store_b32 v[16:17], v20, off
	s_wait_xcnt 0x0
	s_or_b32 exec_lo, exec_lo, s2
	s_and_saveexec_b32 s2, s4
	s_cbranch_execz .LBB318_3
.LBB318_19:                             ;   in Loop: Header=BB318_4 Depth=1
	s_wait_loadcnt 0x0
	v_sub_nc_u32_e32 v16, 0, v23
	global_store_b32 v[18:19], v16, off
	s_branch .LBB318_3
.LBB318_20:
	s_cbranch_execz .LBB318_22
	s_branch .LBB318_30
.LBB318_21:
.LBB318_22:
	v_min_i64 v[2:3], 0x10000, s[10:11]
	v_dual_mov_b32 v5, 0 :: v_dual_lshlrev_b32 v4, 2, v0
	s_mov_b32 s2, exec_lo
	s_delay_alu instid0(VALU_DEP_1)
	v_cmpx_lt_i64_e64 v[4:5], v[2:3]
	s_cbranch_execz .LBB318_30
; %bb.23:
	v_dual_mov_b32 v7, v5 :: v_dual_add_nc_u32 v6, 4, v4
	s_load_b32 s0, s[0:1], 0xd3c
	s_wait_xcnt 0x0
	s_mov_b32 s1, 0
	v_mov_b32_e32 v1, v5
	s_mov_b32 s3, -1
	v_max_i64 v[6:7], v[2:3], v[6:7]
	v_mov_b32_e32 v9, s1
	s_wait_kmcnt 0x0
	s_and_b32 s0, s0, 0xffff
	s_delay_alu instid0(SALU_CYCLE_1) | instskip(SKIP_1) | instid1(VALU_DEP_2)
	s_cmp_eq_u32 s0, 1
	s_cselect_b32 s2, -1, 0
	v_add_nc_u64_e32 v[6:7], -4, v[6:7]
	s_delay_alu instid0(VALU_DEP_1) | instskip(SKIP_1) | instid1(VALU_DEP_1)
	v_cmp_ne_u64_e32 vcc_lo, v[6:7], v[4:5]
	v_cndmask_b32_e64 v8, 0, 1, vcc_lo
	v_or_b32_e32 v4, v4, v8
	s_delay_alu instid0(VALU_DEP_1) | instskip(NEXT) | instid1(VALU_DEP_1)
	v_sub_nc_u64_e32 v[6:7], v[6:7], v[4:5]
	v_lshrrev_b64 v[6:7], 2, v[6:7]
	s_delay_alu instid0(VALU_DEP_1) | instskip(NEXT) | instid1(VALU_DEP_1)
	v_add_nc_u64_e32 v[6:7], v[6:7], v[8:9]
	v_cmp_ne_u64_e32 vcc_lo, 0, v[6:7]
	s_and_b32 s4, vcc_lo, s2
	s_delay_alu instid0(SALU_CYCLE_1)
	s_and_saveexec_b32 s2, s4
	s_cbranch_execz .LBB318_27
; %bb.24:
	v_dual_mov_b32 v9, 0 :: v_dual_lshlrev_b32 v8, 4, v0
	v_add_nc_u64_e32 v[4:5], 1, v[6:7]
	s_add_nc_u64 s[4:5], s[6:7], s[8:9]
	s_delay_alu instid0(VALU_DEP_2) | instid1(SALU_CYCLE_1)
	v_add_nc_u64_e32 v[8:9], s[4:5], v[8:9]
	s_delay_alu instid0(VALU_DEP_2) | instskip(NEXT) | instid1(VALU_DEP_2)
	v_dual_mov_b32 v7, v5 :: v_dual_bitop2_b32 v6, -2, v4 bitop3:0x40
	v_add_nc_u64_e32 v[8:9], 28, v[8:9]
	s_delay_alu instid0(VALU_DEP_2)
	v_mov_b64_e32 v[10:11], v[6:7]
.LBB318_25:                             ; =>This Inner Loop Header: Depth=1
	s_clause 0x1
	global_load_b128 v[12:15], v[8:9], off offset:-12
	global_load_b128 v[16:19], v[8:9], off offset:-28
	v_add_nc_u64_e32 v[10:11], -2, v[10:11]
	s_delay_alu instid0(VALU_DEP_1)
	v_cmp_eq_u64_e32 vcc_lo, 0, v[10:11]
	s_or_b32 s1, vcc_lo, s1
	s_wait_loadcnt 0x0
	v_dual_sub_nc_u32 v14, 0, v14 :: v_dual_sub_nc_u32 v19, 0, v19
	v_dual_sub_nc_u32 v16, 0, v16 :: v_dual_sub_nc_u32 v17, 0, v17
	;; [unrolled: 1-line block ×4, first 2 shown]
	s_clause 0x1
	global_store_b128 v[8:9], v[16:19], off offset:-28
	global_store_b128 v[8:9], v[12:15], off offset:-12
	s_wait_xcnt 0x0
	v_add_nc_u64_e32 v[8:9], 32, v[8:9]
	s_and_not1_b32 exec_lo, exec_lo, s1
	s_cbranch_execnz .LBB318_25
; %bb.26:
	s_or_b32 exec_lo, exec_lo, s1
	v_cmp_ne_u64_e32 vcc_lo, v[4:5], v[6:7]
	v_add_nc_u64_e32 v[0:1], v[6:7], v[0:1]
	s_or_not1_b32 s3, vcc_lo, exec_lo
.LBB318_27:
	s_or_b32 exec_lo, exec_lo, s2
	s_delay_alu instid0(SALU_CYCLE_1)
	s_and_b32 exec_lo, exec_lo, s3
	s_cbranch_execz .LBB318_30
; %bb.28:
	s_add_nc_u64 s[2:3], s[6:7], s[8:9]
	s_mov_b32 s1, 0
	v_lshl_add_u64 v[4:5], v[0:1], 4, s[2:3]
	s_lshl_b32 s2, s0, 4
	s_mov_b32 s3, s1
	s_mov_b32 s4, s1
	s_delay_alu instid0(VALU_DEP_1)
	v_add_nc_u64_e32 v[4:5], 8, v[4:5]
.LBB318_29:                             ; =>This Inner Loop Header: Depth=1
	global_load_b128 v[6:9], v[4:5], off offset:-8
	v_add_nc_u64_e32 v[0:1], s[0:1], v[0:1]
	s_delay_alu instid0(VALU_DEP_1) | instskip(NEXT) | instid1(VALU_DEP_1)
	v_lshlrev_b64_e32 v[10:11], 2, v[0:1]
	v_cmp_ge_i64_e32 vcc_lo, v[10:11], v[2:3]
	s_or_b32 s4, vcc_lo, s4
	s_wait_loadcnt 0x0
	v_dual_sub_nc_u32 v7, 0, v7 :: v_dual_sub_nc_u32 v6, 0, v6
	v_dual_sub_nc_u32 v9, 0, v9 :: v_dual_sub_nc_u32 v8, 0, v8
	global_store_b128 v[4:5], v[6:9], off offset:-8
	s_wait_xcnt 0x0
	v_add_nc_u64_e32 v[4:5], s[2:3], v[4:5]
	s_and_not1_b32 exec_lo, exec_lo, s4
	s_cbranch_execnz .LBB318_29
.LBB318_30:
	s_endpgm
	.section	.rodata,"a",@progbits
	.p2align	6, 0x0
	.amdhsa_kernel _ZN2at6native12_GLOBAL__N_125multi_tensor_apply_kernelINS1_18TensorListMetadataILi1EEENS1_14UnaryOpFunctorIiLi1ELi1ELi0EEEJSt6negateIiEEEEvT_T0_DpT1_
		.amdhsa_group_segment_fixed_size 0
		.amdhsa_private_segment_fixed_size 0
		.amdhsa_kernarg_size 3632
		.amdhsa_user_sgpr_count 2
		.amdhsa_user_sgpr_dispatch_ptr 0
		.amdhsa_user_sgpr_queue_ptr 0
		.amdhsa_user_sgpr_kernarg_segment_ptr 1
		.amdhsa_user_sgpr_dispatch_id 0
		.amdhsa_user_sgpr_kernarg_preload_length 0
		.amdhsa_user_sgpr_kernarg_preload_offset 0
		.amdhsa_user_sgpr_private_segment_size 0
		.amdhsa_wavefront_size32 1
		.amdhsa_uses_dynamic_stack 0
		.amdhsa_enable_private_segment 0
		.amdhsa_system_sgpr_workgroup_id_x 1
		.amdhsa_system_sgpr_workgroup_id_y 0
		.amdhsa_system_sgpr_workgroup_id_z 0
		.amdhsa_system_sgpr_workgroup_info 0
		.amdhsa_system_vgpr_workitem_id 0
		.amdhsa_next_free_vgpr 24
		.amdhsa_next_free_sgpr 22
		.amdhsa_named_barrier_count 0
		.amdhsa_reserve_vcc 1
		.amdhsa_float_round_mode_32 0
		.amdhsa_float_round_mode_16_64 0
		.amdhsa_float_denorm_mode_32 3
		.amdhsa_float_denorm_mode_16_64 3
		.amdhsa_fp16_overflow 0
		.amdhsa_memory_ordered 1
		.amdhsa_forward_progress 1
		.amdhsa_inst_pref_size 10
		.amdhsa_round_robin_scheduling 0
		.amdhsa_exception_fp_ieee_invalid_op 0
		.amdhsa_exception_fp_denorm_src 0
		.amdhsa_exception_fp_ieee_div_zero 0
		.amdhsa_exception_fp_ieee_overflow 0
		.amdhsa_exception_fp_ieee_underflow 0
		.amdhsa_exception_fp_ieee_inexact 0
		.amdhsa_exception_int_div_zero 0
	.end_amdhsa_kernel
	.section	.text._ZN2at6native12_GLOBAL__N_125multi_tensor_apply_kernelINS1_18TensorListMetadataILi1EEENS1_14UnaryOpFunctorIiLi1ELi1ELi0EEEJSt6negateIiEEEEvT_T0_DpT1_,"axG",@progbits,_ZN2at6native12_GLOBAL__N_125multi_tensor_apply_kernelINS1_18TensorListMetadataILi1EEENS1_14UnaryOpFunctorIiLi1ELi1ELi0EEEJSt6negateIiEEEEvT_T0_DpT1_,comdat
.Lfunc_end318:
	.size	_ZN2at6native12_GLOBAL__N_125multi_tensor_apply_kernelINS1_18TensorListMetadataILi1EEENS1_14UnaryOpFunctorIiLi1ELi1ELi0EEEJSt6negateIiEEEEvT_T0_DpT1_, .Lfunc_end318-_ZN2at6native12_GLOBAL__N_125multi_tensor_apply_kernelINS1_18TensorListMetadataILi1EEENS1_14UnaryOpFunctorIiLi1ELi1ELi0EEEJSt6negateIiEEEEvT_T0_DpT1_
                                        ; -- End function
	.set _ZN2at6native12_GLOBAL__N_125multi_tensor_apply_kernelINS1_18TensorListMetadataILi1EEENS1_14UnaryOpFunctorIiLi1ELi1ELi0EEEJSt6negateIiEEEEvT_T0_DpT1_.num_vgpr, 24
	.set _ZN2at6native12_GLOBAL__N_125multi_tensor_apply_kernelINS1_18TensorListMetadataILi1EEENS1_14UnaryOpFunctorIiLi1ELi1ELi0EEEJSt6negateIiEEEEvT_T0_DpT1_.num_agpr, 0
	.set _ZN2at6native12_GLOBAL__N_125multi_tensor_apply_kernelINS1_18TensorListMetadataILi1EEENS1_14UnaryOpFunctorIiLi1ELi1ELi0EEEJSt6negateIiEEEEvT_T0_DpT1_.numbered_sgpr, 22
	.set _ZN2at6native12_GLOBAL__N_125multi_tensor_apply_kernelINS1_18TensorListMetadataILi1EEENS1_14UnaryOpFunctorIiLi1ELi1ELi0EEEJSt6negateIiEEEEvT_T0_DpT1_.num_named_barrier, 0
	.set _ZN2at6native12_GLOBAL__N_125multi_tensor_apply_kernelINS1_18TensorListMetadataILi1EEENS1_14UnaryOpFunctorIiLi1ELi1ELi0EEEJSt6negateIiEEEEvT_T0_DpT1_.private_seg_size, 0
	.set _ZN2at6native12_GLOBAL__N_125multi_tensor_apply_kernelINS1_18TensorListMetadataILi1EEENS1_14UnaryOpFunctorIiLi1ELi1ELi0EEEJSt6negateIiEEEEvT_T0_DpT1_.uses_vcc, 1
	.set _ZN2at6native12_GLOBAL__N_125multi_tensor_apply_kernelINS1_18TensorListMetadataILi1EEENS1_14UnaryOpFunctorIiLi1ELi1ELi0EEEJSt6negateIiEEEEvT_T0_DpT1_.uses_flat_scratch, 0
	.set _ZN2at6native12_GLOBAL__N_125multi_tensor_apply_kernelINS1_18TensorListMetadataILi1EEENS1_14UnaryOpFunctorIiLi1ELi1ELi0EEEJSt6negateIiEEEEvT_T0_DpT1_.has_dyn_sized_stack, 0
	.set _ZN2at6native12_GLOBAL__N_125multi_tensor_apply_kernelINS1_18TensorListMetadataILi1EEENS1_14UnaryOpFunctorIiLi1ELi1ELi0EEEJSt6negateIiEEEEvT_T0_DpT1_.has_recursion, 0
	.set _ZN2at6native12_GLOBAL__N_125multi_tensor_apply_kernelINS1_18TensorListMetadataILi1EEENS1_14UnaryOpFunctorIiLi1ELi1ELi0EEEJSt6negateIiEEEEvT_T0_DpT1_.has_indirect_call, 0
	.section	.AMDGPU.csdata,"",@progbits
; Kernel info:
; codeLenInByte = 1264
; TotalNumSgprs: 24
; NumVgprs: 24
; ScratchSize: 0
; MemoryBound: 0
; FloatMode: 240
; IeeeMode: 1
; LDSByteSize: 0 bytes/workgroup (compile time only)
; SGPRBlocks: 0
; VGPRBlocks: 1
; NumSGPRsForWavesPerEU: 24
; NumVGPRsForWavesPerEU: 24
; NamedBarCnt: 0
; Occupancy: 16
; WaveLimiterHint : 0
; COMPUTE_PGM_RSRC2:SCRATCH_EN: 0
; COMPUTE_PGM_RSRC2:USER_SGPR: 2
; COMPUTE_PGM_RSRC2:TRAP_HANDLER: 0
; COMPUTE_PGM_RSRC2:TGID_X_EN: 1
; COMPUTE_PGM_RSRC2:TGID_Y_EN: 0
; COMPUTE_PGM_RSRC2:TGID_Z_EN: 0
; COMPUTE_PGM_RSRC2:TIDIG_COMP_CNT: 0
	.section	.text._ZN2at6native12_GLOBAL__N_125multi_tensor_apply_kernelINS1_18TensorListMetadataILi1EEENS1_14UnaryOpFunctorIlLi1ELi1ELi0EEEJSt6negateIlEEEEvT_T0_DpT1_,"axG",@progbits,_ZN2at6native12_GLOBAL__N_125multi_tensor_apply_kernelINS1_18TensorListMetadataILi1EEENS1_14UnaryOpFunctorIlLi1ELi1ELi0EEEJSt6negateIlEEEEvT_T0_DpT1_,comdat
	.globl	_ZN2at6native12_GLOBAL__N_125multi_tensor_apply_kernelINS1_18TensorListMetadataILi1EEENS1_14UnaryOpFunctorIlLi1ELi1ELi0EEEJSt6negateIlEEEEvT_T0_DpT1_ ; -- Begin function _ZN2at6native12_GLOBAL__N_125multi_tensor_apply_kernelINS1_18TensorListMetadataILi1EEENS1_14UnaryOpFunctorIlLi1ELi1ELi0EEEJSt6negateIlEEEEvT_T0_DpT1_
	.p2align	8
	.type	_ZN2at6native12_GLOBAL__N_125multi_tensor_apply_kernelINS1_18TensorListMetadataILi1EEENS1_14UnaryOpFunctorIlLi1ELi1ELi0EEEJSt6negateIlEEEEvT_T0_DpT1_,@function
_ZN2at6native12_GLOBAL__N_125multi_tensor_apply_kernelINS1_18TensorListMetadataILi1EEENS1_14UnaryOpFunctorIlLi1ELi1ELi0EEEJSt6negateIlEEEEvT_T0_DpT1_: ; @_ZN2at6native12_GLOBAL__N_125multi_tensor_apply_kernelINS1_18TensorListMetadataILi1EEENS1_14UnaryOpFunctorIlLi1ELi1ELi0EEEJSt6negateIlEEEEvT_T0_DpT1_
; %bb.0:
	s_bfe_u32 s2, ttmp6, 0x4000c
	s_and_b32 s3, ttmp6, 15
	s_add_co_i32 s2, s2, 1
	s_getreg_b32 s4, hwreg(HW_REG_IB_STS2, 6, 4)
	s_mul_i32 s2, ttmp9, s2
	s_delay_alu instid0(SALU_CYCLE_1)
	s_add_co_i32 s3, s3, s2
	s_cmp_eq_u32 s4, 0
	s_cselect_b32 s2, ttmp9, s3
	s_mov_b32 s3, 0
	s_load_u8 s8, s[0:1], s2 offset:0x6e0
	s_add_nc_u64 s[4:5], s[0:1], s[2:3]
	s_mul_u64 s[6:7], s[2:3], 3
	s_delay_alu instid0(SALU_CYCLE_1)
	s_add_nc_u64 s[4:5], s[4:5], s[6:7]
	s_load_b32 s10, s[4:5], 0x820
	s_wait_kmcnt 0x0
	s_clause 0x1
	s_load_b64 s[6:7], s[0:1], s8 offset:0x0 scale_offset
	s_load_b64 s[12:13], s[0:1], s8 offset:0x370 scale_offset
	s_ashr_i32 s11, s10, 31
	s_wait_kmcnt 0x0
	s_and_b64 s[4:5], s[6:7], 31
	s_and_b32 s2, s12, 3
	s_lshl_b64 s[8:9], s[10:11], 19
	s_or_b64 s[2:3], s[4:5], s[2:3]
	s_lshl_b64 s[4:5], s[10:11], 16
	s_cmp_eq_u64 s[2:3], 0
	s_sub_nc_u64 s[10:11], s[12:13], s[4:5]
	s_cbranch_scc1 .LBB319_21
; %bb.1:
	v_cmp_lt_i64_e64 s2, s[10:11], 1
	s_and_b32 vcc_lo, exec_lo, s2
	s_cbranch_vccnz .LBB319_20
; %bb.2:
	s_load_b32 s4, s[0:1], 0xd3c
	v_min_i64 v[2:3], 0x10000, s[10:11]
	v_min_u64 v[4:5], 0x10000, s[10:11]
	v_dual_mov_b32 v1, 0 :: v_dual_lshlrev_b32 v8, 3, v0
	s_mov_b32 s19, 0
	s_add_nc_u64 s[2:3], s[6:7], s[8:9]
	s_mov_b32 s5, s19
	s_delay_alu instid0(VALU_DEP_1)
	v_mov_b32_e32 v15, v1
	s_mov_b32 s17, s19
	s_mov_b32 s13, s19
	;; [unrolled: 1-line block ×3, first 2 shown]
	s_mov_b64 s[20:21], 0
	s_wait_kmcnt 0x0
	s_and_b32 s18, s4, 0xffff
	s_delay_alu instid0(SALU_CYCLE_1)
	v_add_nc_u64_e32 v[6:7], s[18:19], v[0:1]
	v_mov_b32_e32 v9, v1
	s_lshl_b32 s4, s18, 1
	s_mul_i32 s16, s18, 3
	v_add_nc_u64_e32 v[12:13], s[4:5], v[0:1]
	v_add_nc_u64_e32 v[10:11], s[16:17], v[0:1]
	s_lshl_b32 s12, s18, 2
	v_lshlrev_b32_e32 v14, 3, v6
	v_add_nc_u64_e32 v[8:9], s[2:3], v[8:9]
	s_lshl_b32 s14, s18, 5
	s_mul_u64 s[16:17], s[18:19], 24
	s_lshl_b32 s18, s18, 4
	v_add_nc_u64_e32 v[14:15], s[2:3], v[14:15]
	s_branch .LBB319_4
.LBB319_3:                              ;   in Loop: Header=BB319_4 Depth=1
	s_wait_xcnt 0x0
	s_or_b32 exec_lo, exec_lo, s2
	s_add_nc_u64 s[20:21], s[20:21], s[12:13]
	v_add_nc_u64_e32 v[8:9], s[14:15], v[8:9]
	v_cmp_lt_i64_e32 vcc_lo, s[20:21], v[2:3]
	v_add_nc_u64_e32 v[14:15], s[14:15], v[14:15]
	s_cbranch_vccz .LBB319_20
.LBB319_4:                              ; =>This Inner Loop Header: Depth=1
	s_wait_loadcnt 0x0
	v_add_nc_u64_e32 v[18:19], s[20:21], v[0:1]
	v_mov_b64_e32 v[16:17], 0
	v_mov_b64_e32 v[20:21], 0
	s_delay_alu instid0(VALU_DEP_3)
	v_cmp_lt_u64_e32 vcc_lo, v[18:19], v[4:5]
	s_and_saveexec_b32 s2, vcc_lo
	s_cbranch_execz .LBB319_6
; %bb.5:                                ;   in Loop: Header=BB319_4 Depth=1
	global_load_b64 v[20:21], v[8:9], off
.LBB319_6:                              ;   in Loop: Header=BB319_4 Depth=1
	s_wait_xcnt 0x0
	s_or_b32 exec_lo, exec_lo, s2
	v_add_nc_u64_e32 v[18:19], s[20:21], v[6:7]
	s_delay_alu instid0(VALU_DEP_1)
	v_cmp_lt_u64_e64 s2, v[18:19], v[4:5]
	s_and_saveexec_b32 s3, s2
	s_cbranch_execz .LBB319_8
; %bb.7:                                ;   in Loop: Header=BB319_4 Depth=1
	global_load_b64 v[16:17], v[14:15], off
.LBB319_8:                              ;   in Loop: Header=BB319_4 Depth=1
	s_wait_xcnt 0x0
	s_or_b32 exec_lo, exec_lo, s3
	v_add_nc_u64_e32 v[24:25], s[20:21], v[12:13]
	v_mov_b64_e32 v[18:19], 0
	v_add_nc_u64_e32 v[22:23], s[18:19], v[8:9]
	s_delay_alu instid0(VALU_DEP_3)
	v_cmp_lt_u64_e64 s3, v[24:25], v[4:5]
	v_mov_b64_e32 v[24:25], 0
	s_and_saveexec_b32 s4, s3
	s_cbranch_execz .LBB319_10
; %bb.9:                                ;   in Loop: Header=BB319_4 Depth=1
	global_load_b64 v[24:25], v[22:23], off
.LBB319_10:                             ;   in Loop: Header=BB319_4 Depth=1
	s_wait_xcnt 0x0
	s_or_b32 exec_lo, exec_lo, s4
	v_add_nc_u64_e32 v[26:27], s[20:21], v[10:11]
	s_delay_alu instid0(VALU_DEP_1)
	v_cmp_lt_u64_e64 s4, v[26:27], v[4:5]
	v_add_nc_u64_e32 v[26:27], s[16:17], v[8:9]
	s_and_saveexec_b32 s5, s4
	s_cbranch_execnz .LBB319_15
; %bb.11:                               ;   in Loop: Header=BB319_4 Depth=1
	s_or_b32 exec_lo, exec_lo, s5
	s_and_saveexec_b32 s5, vcc_lo
	s_cbranch_execnz .LBB319_16
.LBB319_12:                             ;   in Loop: Header=BB319_4 Depth=1
	s_or_b32 exec_lo, exec_lo, s5
	s_and_saveexec_b32 s5, s2
	s_cbranch_execnz .LBB319_17
.LBB319_13:                             ;   in Loop: Header=BB319_4 Depth=1
	s_or_b32 exec_lo, exec_lo, s5
	s_and_saveexec_b32 s2, s3
	s_cbranch_execnz .LBB319_18
.LBB319_14:                             ;   in Loop: Header=BB319_4 Depth=1
	s_or_b32 exec_lo, exec_lo, s2
	s_and_saveexec_b32 s2, s4
	s_cbranch_execz .LBB319_3
	s_branch .LBB319_19
.LBB319_15:                             ;   in Loop: Header=BB319_4 Depth=1
	global_load_b64 v[18:19], v[26:27], off
	s_wait_xcnt 0x0
	s_or_b32 exec_lo, exec_lo, s5
	s_and_saveexec_b32 s5, vcc_lo
	s_cbranch_execz .LBB319_12
.LBB319_16:                             ;   in Loop: Header=BB319_4 Depth=1
	s_wait_loadcnt 0x0
	v_sub_nc_u64_e32 v[20:21], 0, v[20:21]
	global_store_b64 v[8:9], v[20:21], off
	s_wait_xcnt 0x0
	s_or_b32 exec_lo, exec_lo, s5
	s_and_saveexec_b32 s5, s2
	s_cbranch_execz .LBB319_13
.LBB319_17:                             ;   in Loop: Header=BB319_4 Depth=1
	s_wait_loadcnt 0x0
	v_sub_nc_u64_e32 v[16:17], 0, v[16:17]
	global_store_b64 v[14:15], v[16:17], off
	s_wait_xcnt 0x0
	s_or_b32 exec_lo, exec_lo, s5
	s_and_saveexec_b32 s2, s3
	s_cbranch_execz .LBB319_14
.LBB319_18:                             ;   in Loop: Header=BB319_4 Depth=1
	s_wait_loadcnt 0x0
	v_sub_nc_u64_e32 v[16:17], 0, v[24:25]
	global_store_b64 v[22:23], v[16:17], off
	s_wait_xcnt 0x0
	s_or_b32 exec_lo, exec_lo, s2
	s_and_saveexec_b32 s2, s4
	s_cbranch_execz .LBB319_3
.LBB319_19:                             ;   in Loop: Header=BB319_4 Depth=1
	s_wait_loadcnt 0x0
	v_sub_nc_u64_e32 v[16:17], 0, v[18:19]
	global_store_b64 v[26:27], v[16:17], off
	s_branch .LBB319_3
.LBB319_20:
	s_cbranch_execz .LBB319_22
	s_branch .LBB319_25
.LBB319_21:
.LBB319_22:
	v_min_i64 v[2:3], 0x10000, s[10:11]
	v_dual_mov_b32 v5, 0 :: v_dual_lshlrev_b32 v4, 2, v0
	s_mov_b32 s2, exec_lo
	s_delay_alu instid0(VALU_DEP_1)
	v_cmpx_lt_i64_e64 v[4:5], v[2:3]
	s_cbranch_execz .LBB319_25
; %bb.23:
	s_load_b32 s2, s[0:1], 0xd3c
	v_dual_mov_b32 v1, v5 :: v_dual_lshlrev_b32 v4, 5, v0
	s_wait_xcnt 0x0
	s_add_nc_u64 s[0:1], s[6:7], s[8:9]
	s_delay_alu instid0(VALU_DEP_1) | instid1(SALU_CYCLE_1)
	v_add_nc_u64_e32 v[6:7], s[0:1], v[4:5]
	s_mov_b32 s1, 0
	s_delay_alu instid0(SALU_CYCLE_1) | instskip(SKIP_1) | instid1(VALU_DEP_1)
	s_mov_b32 s3, s1
	s_mov_b32 s4, s1
	v_add_nc_u64_e32 v[4:5], 16, v[6:7]
	s_wait_kmcnt 0x0
	s_and_b32 s0, s2, 0xffff
	s_delay_alu instid0(SALU_CYCLE_1)
	s_lshl_b32 s2, s0, 5
.LBB319_24:                             ; =>This Inner Loop Header: Depth=1
	s_clause 0x1
	global_load_b128 v[6:9], v[4:5], off offset:-16
	global_load_b128 v[10:13], v[4:5], off
	v_add_nc_u64_e32 v[0:1], s[0:1], v[0:1]
	s_delay_alu instid0(VALU_DEP_1) | instskip(NEXT) | instid1(VALU_DEP_1)
	v_lshlrev_b64_e32 v[14:15], 2, v[0:1]
	v_cmp_ge_i64_e32 vcc_lo, v[14:15], v[2:3]
	s_or_b32 s4, vcc_lo, s4
	s_wait_loadcnt 0x1
	v_sub_nc_u64_e32 v[6:7], 0, v[6:7]
	v_sub_nc_u64_e32 v[8:9], 0, v[8:9]
	s_wait_loadcnt 0x0
	v_sub_nc_u64_e32 v[10:11], 0, v[10:11]
	v_sub_nc_u64_e32 v[12:13], 0, v[12:13]
	s_clause 0x1
	global_store_b128 v[4:5], v[6:9], off offset:-16
	global_store_b128 v[4:5], v[10:13], off
	s_wait_xcnt 0x0
	v_add_nc_u64_e32 v[4:5], s[2:3], v[4:5]
	s_and_not1_b32 exec_lo, exec_lo, s4
	s_cbranch_execnz .LBB319_24
.LBB319_25:
	s_endpgm
	.section	.rodata,"a",@progbits
	.p2align	6, 0x0
	.amdhsa_kernel _ZN2at6native12_GLOBAL__N_125multi_tensor_apply_kernelINS1_18TensorListMetadataILi1EEENS1_14UnaryOpFunctorIlLi1ELi1ELi0EEEJSt6negateIlEEEEvT_T0_DpT1_
		.amdhsa_group_segment_fixed_size 0
		.amdhsa_private_segment_fixed_size 0
		.amdhsa_kernarg_size 3632
		.amdhsa_user_sgpr_count 2
		.amdhsa_user_sgpr_dispatch_ptr 0
		.amdhsa_user_sgpr_queue_ptr 0
		.amdhsa_user_sgpr_kernarg_segment_ptr 1
		.amdhsa_user_sgpr_dispatch_id 0
		.amdhsa_user_sgpr_kernarg_preload_length 0
		.amdhsa_user_sgpr_kernarg_preload_offset 0
		.amdhsa_user_sgpr_private_segment_size 0
		.amdhsa_wavefront_size32 1
		.amdhsa_uses_dynamic_stack 0
		.amdhsa_enable_private_segment 0
		.amdhsa_system_sgpr_workgroup_id_x 1
		.amdhsa_system_sgpr_workgroup_id_y 0
		.amdhsa_system_sgpr_workgroup_id_z 0
		.amdhsa_system_sgpr_workgroup_info 0
		.amdhsa_system_vgpr_workitem_id 0
		.amdhsa_next_free_vgpr 28
		.amdhsa_next_free_sgpr 22
		.amdhsa_named_barrier_count 0
		.amdhsa_reserve_vcc 1
		.amdhsa_float_round_mode_32 0
		.amdhsa_float_round_mode_16_64 0
		.amdhsa_float_denorm_mode_32 3
		.amdhsa_float_denorm_mode_16_64 3
		.amdhsa_fp16_overflow 0
		.amdhsa_memory_ordered 1
		.amdhsa_forward_progress 1
		.amdhsa_inst_pref_size 8
		.amdhsa_round_robin_scheduling 0
		.amdhsa_exception_fp_ieee_invalid_op 0
		.amdhsa_exception_fp_denorm_src 0
		.amdhsa_exception_fp_ieee_div_zero 0
		.amdhsa_exception_fp_ieee_overflow 0
		.amdhsa_exception_fp_ieee_underflow 0
		.amdhsa_exception_fp_ieee_inexact 0
		.amdhsa_exception_int_div_zero 0
	.end_amdhsa_kernel
	.section	.text._ZN2at6native12_GLOBAL__N_125multi_tensor_apply_kernelINS1_18TensorListMetadataILi1EEENS1_14UnaryOpFunctorIlLi1ELi1ELi0EEEJSt6negateIlEEEEvT_T0_DpT1_,"axG",@progbits,_ZN2at6native12_GLOBAL__N_125multi_tensor_apply_kernelINS1_18TensorListMetadataILi1EEENS1_14UnaryOpFunctorIlLi1ELi1ELi0EEEJSt6negateIlEEEEvT_T0_DpT1_,comdat
.Lfunc_end319:
	.size	_ZN2at6native12_GLOBAL__N_125multi_tensor_apply_kernelINS1_18TensorListMetadataILi1EEENS1_14UnaryOpFunctorIlLi1ELi1ELi0EEEJSt6negateIlEEEEvT_T0_DpT1_, .Lfunc_end319-_ZN2at6native12_GLOBAL__N_125multi_tensor_apply_kernelINS1_18TensorListMetadataILi1EEENS1_14UnaryOpFunctorIlLi1ELi1ELi0EEEJSt6negateIlEEEEvT_T0_DpT1_
                                        ; -- End function
	.set _ZN2at6native12_GLOBAL__N_125multi_tensor_apply_kernelINS1_18TensorListMetadataILi1EEENS1_14UnaryOpFunctorIlLi1ELi1ELi0EEEJSt6negateIlEEEEvT_T0_DpT1_.num_vgpr, 28
	.set _ZN2at6native12_GLOBAL__N_125multi_tensor_apply_kernelINS1_18TensorListMetadataILi1EEENS1_14UnaryOpFunctorIlLi1ELi1ELi0EEEJSt6negateIlEEEEvT_T0_DpT1_.num_agpr, 0
	.set _ZN2at6native12_GLOBAL__N_125multi_tensor_apply_kernelINS1_18TensorListMetadataILi1EEENS1_14UnaryOpFunctorIlLi1ELi1ELi0EEEJSt6negateIlEEEEvT_T0_DpT1_.numbered_sgpr, 22
	.set _ZN2at6native12_GLOBAL__N_125multi_tensor_apply_kernelINS1_18TensorListMetadataILi1EEENS1_14UnaryOpFunctorIlLi1ELi1ELi0EEEJSt6negateIlEEEEvT_T0_DpT1_.num_named_barrier, 0
	.set _ZN2at6native12_GLOBAL__N_125multi_tensor_apply_kernelINS1_18TensorListMetadataILi1EEENS1_14UnaryOpFunctorIlLi1ELi1ELi0EEEJSt6negateIlEEEEvT_T0_DpT1_.private_seg_size, 0
	.set _ZN2at6native12_GLOBAL__N_125multi_tensor_apply_kernelINS1_18TensorListMetadataILi1EEENS1_14UnaryOpFunctorIlLi1ELi1ELi0EEEJSt6negateIlEEEEvT_T0_DpT1_.uses_vcc, 1
	.set _ZN2at6native12_GLOBAL__N_125multi_tensor_apply_kernelINS1_18TensorListMetadataILi1EEENS1_14UnaryOpFunctorIlLi1ELi1ELi0EEEJSt6negateIlEEEEvT_T0_DpT1_.uses_flat_scratch, 0
	.set _ZN2at6native12_GLOBAL__N_125multi_tensor_apply_kernelINS1_18TensorListMetadataILi1EEENS1_14UnaryOpFunctorIlLi1ELi1ELi0EEEJSt6negateIlEEEEvT_T0_DpT1_.has_dyn_sized_stack, 0
	.set _ZN2at6native12_GLOBAL__N_125multi_tensor_apply_kernelINS1_18TensorListMetadataILi1EEENS1_14UnaryOpFunctorIlLi1ELi1ELi0EEEJSt6negateIlEEEEvT_T0_DpT1_.has_recursion, 0
	.set _ZN2at6native12_GLOBAL__N_125multi_tensor_apply_kernelINS1_18TensorListMetadataILi1EEENS1_14UnaryOpFunctorIlLi1ELi1ELi0EEEJSt6negateIlEEEEvT_T0_DpT1_.has_indirect_call, 0
	.section	.AMDGPU.csdata,"",@progbits
; Kernel info:
; codeLenInByte = 964
; TotalNumSgprs: 24
; NumVgprs: 28
; ScratchSize: 0
; MemoryBound: 0
; FloatMode: 240
; IeeeMode: 1
; LDSByteSize: 0 bytes/workgroup (compile time only)
; SGPRBlocks: 0
; VGPRBlocks: 1
; NumSGPRsForWavesPerEU: 24
; NumVGPRsForWavesPerEU: 28
; NamedBarCnt: 0
; Occupancy: 16
; WaveLimiterHint : 0
; COMPUTE_PGM_RSRC2:SCRATCH_EN: 0
; COMPUTE_PGM_RSRC2:USER_SGPR: 2
; COMPUTE_PGM_RSRC2:TRAP_HANDLER: 0
; COMPUTE_PGM_RSRC2:TGID_X_EN: 1
; COMPUTE_PGM_RSRC2:TGID_Y_EN: 0
; COMPUTE_PGM_RSRC2:TGID_Z_EN: 0
; COMPUTE_PGM_RSRC2:TIDIG_COMP_CNT: 0
	.section	.text._ZN2at6native12_GLOBAL__N_125multi_tensor_apply_kernelINS1_18TensorListMetadataILi1EEENS1_14UnaryOpFunctorIsLi1ELi1ELi0EEEJSt6negateIsEEEEvT_T0_DpT1_,"axG",@progbits,_ZN2at6native12_GLOBAL__N_125multi_tensor_apply_kernelINS1_18TensorListMetadataILi1EEENS1_14UnaryOpFunctorIsLi1ELi1ELi0EEEJSt6negateIsEEEEvT_T0_DpT1_,comdat
	.globl	_ZN2at6native12_GLOBAL__N_125multi_tensor_apply_kernelINS1_18TensorListMetadataILi1EEENS1_14UnaryOpFunctorIsLi1ELi1ELi0EEEJSt6negateIsEEEEvT_T0_DpT1_ ; -- Begin function _ZN2at6native12_GLOBAL__N_125multi_tensor_apply_kernelINS1_18TensorListMetadataILi1EEENS1_14UnaryOpFunctorIsLi1ELi1ELi0EEEJSt6negateIsEEEEvT_T0_DpT1_
	.p2align	8
	.type	_ZN2at6native12_GLOBAL__N_125multi_tensor_apply_kernelINS1_18TensorListMetadataILi1EEENS1_14UnaryOpFunctorIsLi1ELi1ELi0EEEJSt6negateIsEEEEvT_T0_DpT1_,@function
_ZN2at6native12_GLOBAL__N_125multi_tensor_apply_kernelINS1_18TensorListMetadataILi1EEENS1_14UnaryOpFunctorIsLi1ELi1ELi0EEEJSt6negateIsEEEEvT_T0_DpT1_: ; @_ZN2at6native12_GLOBAL__N_125multi_tensor_apply_kernelINS1_18TensorListMetadataILi1EEENS1_14UnaryOpFunctorIsLi1ELi1ELi0EEEJSt6negateIsEEEEvT_T0_DpT1_
; %bb.0:
	s_bfe_u32 s2, ttmp6, 0x4000c
	s_and_b32 s3, ttmp6, 15
	s_add_co_i32 s2, s2, 1
	s_getreg_b32 s4, hwreg(HW_REG_IB_STS2, 6, 4)
	s_mul_i32 s2, ttmp9, s2
	s_delay_alu instid0(SALU_CYCLE_1)
	s_add_co_i32 s3, s3, s2
	s_cmp_eq_u32 s4, 0
	s_cselect_b32 s2, ttmp9, s3
	s_mov_b32 s3, 0
	s_load_u8 s8, s[0:1], s2 offset:0x6e0
	s_add_nc_u64 s[4:5], s[0:1], s[2:3]
	s_mul_u64 s[6:7], s[2:3], 3
	s_delay_alu instid0(SALU_CYCLE_1)
	s_add_nc_u64 s[4:5], s[4:5], s[6:7]
	s_load_b32 s10, s[4:5], 0x820
	s_wait_kmcnt 0x0
	s_clause 0x1
	s_load_b64 s[6:7], s[0:1], s8 offset:0x0 scale_offset
	s_load_b64 s[12:13], s[0:1], s8 offset:0x370 scale_offset
	s_ashr_i32 s11, s10, 31
	s_wait_kmcnt 0x0
	s_and_b64 s[4:5], s[6:7], 7
	s_and_b32 s2, s12, 3
	s_lshl_b64 s[8:9], s[10:11], 17
	s_or_b64 s[2:3], s[4:5], s[2:3]
	s_lshl_b64 s[4:5], s[10:11], 16
	s_cmp_eq_u64 s[2:3], 0
	s_sub_nc_u64 s[10:11], s[12:13], s[4:5]
	s_cbranch_scc1 .LBB320_21
; %bb.1:
	v_cmp_lt_i64_e64 s2, s[10:11], 1
	s_and_b32 vcc_lo, exec_lo, s2
	s_cbranch_vccnz .LBB320_20
; %bb.2:
	s_load_b32 s2, s[0:1], 0xd3c
	v_min_i64 v[2:3], 0x10000, s[10:11]
	v_min_u64 v[4:5], 0x10000, s[10:11]
	v_dual_mov_b32 v1, 0 :: v_dual_lshlrev_b32 v8, 1, v0
	s_mov_b32 s3, 0
	s_add_nc_u64 s[4:5], s[6:7], s[8:9]
	s_mov_b32 s17, s3
	s_delay_alu instid0(VALU_DEP_1)
	v_dual_mov_b32 v15, v1 :: v_dual_mov_b32 v16, v1
	s_mov_b32 s19, s3
	v_mov_b32_e32 v17, v1
	s_mov_b32 s13, s3
	s_mov_b32 s15, s3
	s_wait_kmcnt 0x0
	s_and_b32 s2, s2, 0xffff
	s_delay_alu instid0(SALU_CYCLE_1)
	v_add_nc_u64_e32 v[6:7], s[2:3], v[0:1]
	v_mov_b32_e32 v9, v1
	s_lshl_b32 s16, s2, 1
	s_mul_i32 s18, s2, 3
	v_add_nc_u64_e32 v[12:13], s[16:17], v[0:1]
	v_add_nc_u64_e32 v[10:11], s[18:19], v[0:1]
	s_lshl_b32 s12, s2, 2
	v_lshlrev_b32_e32 v14, 1, v6
	v_add_nc_u64_e32 v[8:9], s[4:5], v[8:9]
	s_lshl_b32 s14, s2, 3
	s_mul_u64 s[16:17], s[2:3], 6
	s_mov_b64 s[18:19], 0
	v_add_nc_u64_e32 v[14:15], s[4:5], v[14:15]
	s_branch .LBB320_4
.LBB320_3:                              ;   in Loop: Header=BB320_4 Depth=1
	s_wait_xcnt 0x0
	s_or_b32 exec_lo, exec_lo, s2
	s_add_nc_u64 s[18:19], s[18:19], s[12:13]
	v_add_nc_u64_e32 v[8:9], s[14:15], v[8:9]
	v_cmp_lt_i64_e32 vcc_lo, s[18:19], v[2:3]
	v_add_nc_u64_e32 v[14:15], s[14:15], v[14:15]
	s_cbranch_vccz .LBB320_20
.LBB320_4:                              ; =>This Inner Loop Header: Depth=1
	v_add_nc_u64_e32 v[18:19], s[18:19], v[0:1]
	v_and_b32_e32 v16, 0xffff0000, v16
	s_delay_alu instid0(VALU_DEP_2)
	v_cmp_lt_u64_e32 vcc_lo, v[18:19], v[4:5]
	s_and_saveexec_b32 s2, vcc_lo
	s_cbranch_execz .LBB320_6
; %bb.5:                                ;   in Loop: Header=BB320_4 Depth=1
	global_load_u16 v18, v[8:9], off
	s_wait_loadcnt 0x0
	v_bfi_b32 v16, 0xffff, v18, v16
.LBB320_6:                              ;   in Loop: Header=BB320_4 Depth=1
	s_wait_xcnt 0x0
	s_or_b32 exec_lo, exec_lo, s2
	v_add_nc_u64_e32 v[18:19], s[18:19], v[6:7]
	s_delay_alu instid0(VALU_DEP_2) | instskip(NEXT) | instid1(VALU_DEP_2)
	v_and_b32_e32 v16, 0xffff, v16
	v_cmp_lt_u64_e64 s2, v[18:19], v[4:5]
	s_and_saveexec_b32 s3, s2
	s_cbranch_execz .LBB320_8
; %bb.7:                                ;   in Loop: Header=BB320_4 Depth=1
	global_load_u16 v18, v[14:15], off
	s_wait_loadcnt 0x0
	v_perm_b32 v16, v18, v16, 0x5040100
.LBB320_8:                              ;   in Loop: Header=BB320_4 Depth=1
	s_wait_xcnt 0x0
	s_or_b32 exec_lo, exec_lo, s3
	v_add_nc_u64_e32 v[18:19], s[18:19], v[12:13]
	v_and_b32_e32 v17, 0xffff0000, v17
	s_delay_alu instid0(VALU_DEP_2)
	v_cmp_lt_u64_e64 s3, v[18:19], v[4:5]
	v_add_nc_u64_e32 v[18:19], s[12:13], v[8:9]
	s_and_saveexec_b32 s4, s3
	s_cbranch_execz .LBB320_10
; %bb.9:                                ;   in Loop: Header=BB320_4 Depth=1
	global_load_u16 v20, v[18:19], off
	s_wait_loadcnt 0x0
	v_bfi_b32 v17, 0xffff, v20, v17
.LBB320_10:                             ;   in Loop: Header=BB320_4 Depth=1
	s_wait_xcnt 0x0
	s_or_b32 exec_lo, exec_lo, s4
	v_add_nc_u64_e32 v[20:21], s[18:19], v[10:11]
	s_delay_alu instid0(VALU_DEP_2) | instskip(NEXT) | instid1(VALU_DEP_2)
	v_and_b32_e32 v17, 0xffff, v17
	v_cmp_lt_u64_e64 s4, v[20:21], v[4:5]
	v_add_nc_u64_e32 v[20:21], s[16:17], v[8:9]
	s_and_saveexec_b32 s5, s4
	s_cbranch_execnz .LBB320_15
; %bb.11:                               ;   in Loop: Header=BB320_4 Depth=1
	s_or_b32 exec_lo, exec_lo, s5
	v_pk_sub_i16 v16, 0, v16
	s_and_saveexec_b32 s5, vcc_lo
	s_cbranch_execnz .LBB320_16
.LBB320_12:                             ;   in Loop: Header=BB320_4 Depth=1
	s_or_b32 exec_lo, exec_lo, s5
	s_and_saveexec_b32 s5, s2
	s_cbranch_execnz .LBB320_17
.LBB320_13:                             ;   in Loop: Header=BB320_4 Depth=1
	s_or_b32 exec_lo, exec_lo, s5
	v_pk_sub_i16 v17, 0, v17
	s_and_saveexec_b32 s2, s3
	s_cbranch_execnz .LBB320_18
.LBB320_14:                             ;   in Loop: Header=BB320_4 Depth=1
	s_or_b32 exec_lo, exec_lo, s2
	s_and_saveexec_b32 s2, s4
	s_cbranch_execz .LBB320_3
	s_branch .LBB320_19
.LBB320_15:                             ;   in Loop: Header=BB320_4 Depth=1
	global_load_u16 v22, v[20:21], off
	s_wait_loadcnt 0x0
	v_perm_b32 v17, v22, v17, 0x5040100
	s_wait_xcnt 0x0
	s_or_b32 exec_lo, exec_lo, s5
	v_pk_sub_i16 v16, 0, v16
	s_and_saveexec_b32 s5, vcc_lo
	s_cbranch_execz .LBB320_12
.LBB320_16:                             ;   in Loop: Header=BB320_4 Depth=1
	global_store_b16 v[8:9], v16, off
	s_wait_xcnt 0x0
	s_or_b32 exec_lo, exec_lo, s5
	s_and_saveexec_b32 s5, s2
	s_cbranch_execz .LBB320_13
.LBB320_17:                             ;   in Loop: Header=BB320_4 Depth=1
	global_store_d16_hi_b16 v[14:15], v16, off
	s_wait_xcnt 0x0
	s_or_b32 exec_lo, exec_lo, s5
	v_pk_sub_i16 v17, 0, v17
	s_and_saveexec_b32 s2, s3
	s_cbranch_execz .LBB320_14
.LBB320_18:                             ;   in Loop: Header=BB320_4 Depth=1
	global_store_b16 v[18:19], v17, off
	s_wait_xcnt 0x0
	s_or_b32 exec_lo, exec_lo, s2
	s_and_saveexec_b32 s2, s4
	s_cbranch_execz .LBB320_3
.LBB320_19:                             ;   in Loop: Header=BB320_4 Depth=1
	global_store_d16_hi_b16 v[20:21], v17, off
	s_branch .LBB320_3
.LBB320_20:
	s_cbranch_execz .LBB320_22
	s_branch .LBB320_25
.LBB320_21:
.LBB320_22:
	v_min_i64 v[2:3], 0x10000, s[10:11]
	v_dual_mov_b32 v5, 0 :: v_dual_lshlrev_b32 v4, 2, v0
	s_mov_b32 s2, exec_lo
	s_delay_alu instid0(VALU_DEP_1)
	v_cmpx_lt_i64_e64 v[4:5], v[2:3]
	s_cbranch_execz .LBB320_25
; %bb.23:
	s_load_b32 s2, s[0:1], 0xd3c
	v_dual_mov_b32 v1, v5 :: v_dual_lshlrev_b32 v4, 3, v0
	s_wait_xcnt 0x0
	s_add_nc_u64 s[0:1], s[6:7], s[8:9]
	s_delay_alu instid0(VALU_DEP_1) | instid1(SALU_CYCLE_1)
	v_add_nc_u64_e32 v[4:5], s[0:1], v[4:5]
	s_mov_b32 s1, 0
	s_delay_alu instid0(SALU_CYCLE_1) | instskip(SKIP_3) | instid1(SALU_CYCLE_1)
	s_mov_b32 s3, s1
	s_mov_b32 s4, s1
	s_wait_kmcnt 0x0
	s_and_b32 s0, s2, 0xffff
	s_lshl_b32 s2, s0, 3
.LBB320_24:                             ; =>This Inner Loop Header: Depth=1
	global_load_b64 v[6:7], v[4:5], off
	v_add_nc_u64_e32 v[0:1], s[0:1], v[0:1]
	s_delay_alu instid0(VALU_DEP_1) | instskip(NEXT) | instid1(VALU_DEP_1)
	v_lshlrev_b64_e32 v[8:9], 2, v[0:1]
	v_cmp_ge_i64_e32 vcc_lo, v[8:9], v[2:3]
	s_or_b32 s4, vcc_lo, s4
	s_wait_loadcnt 0x0
	v_pk_sub_i16 v7, 0, v7
	v_pk_sub_i16 v6, 0, v6
	global_store_b64 v[4:5], v[6:7], off
	s_wait_xcnt 0x0
	v_add_nc_u64_e32 v[4:5], s[2:3], v[4:5]
	s_and_not1_b32 exec_lo, exec_lo, s4
	s_cbranch_execnz .LBB320_24
.LBB320_25:
	s_endpgm
	.section	.rodata,"a",@progbits
	.p2align	6, 0x0
	.amdhsa_kernel _ZN2at6native12_GLOBAL__N_125multi_tensor_apply_kernelINS1_18TensorListMetadataILi1EEENS1_14UnaryOpFunctorIsLi1ELi1ELi0EEEJSt6negateIsEEEEvT_T0_DpT1_
		.amdhsa_group_segment_fixed_size 0
		.amdhsa_private_segment_fixed_size 0
		.amdhsa_kernarg_size 3632
		.amdhsa_user_sgpr_count 2
		.amdhsa_user_sgpr_dispatch_ptr 0
		.amdhsa_user_sgpr_queue_ptr 0
		.amdhsa_user_sgpr_kernarg_segment_ptr 1
		.amdhsa_user_sgpr_dispatch_id 0
		.amdhsa_user_sgpr_kernarg_preload_length 0
		.amdhsa_user_sgpr_kernarg_preload_offset 0
		.amdhsa_user_sgpr_private_segment_size 0
		.amdhsa_wavefront_size32 1
		.amdhsa_uses_dynamic_stack 0
		.amdhsa_enable_private_segment 0
		.amdhsa_system_sgpr_workgroup_id_x 1
		.amdhsa_system_sgpr_workgroup_id_y 0
		.amdhsa_system_sgpr_workgroup_id_z 0
		.amdhsa_system_sgpr_workgroup_info 0
		.amdhsa_system_vgpr_workitem_id 0
		.amdhsa_next_free_vgpr 23
		.amdhsa_next_free_sgpr 20
		.amdhsa_named_barrier_count 0
		.amdhsa_reserve_vcc 1
		.amdhsa_float_round_mode_32 0
		.amdhsa_float_round_mode_16_64 0
		.amdhsa_float_denorm_mode_32 3
		.amdhsa_float_denorm_mode_16_64 3
		.amdhsa_fp16_overflow 0
		.amdhsa_memory_ordered 1
		.amdhsa_forward_progress 1
		.amdhsa_inst_pref_size 8
		.amdhsa_round_robin_scheduling 0
		.amdhsa_exception_fp_ieee_invalid_op 0
		.amdhsa_exception_fp_denorm_src 0
		.amdhsa_exception_fp_ieee_div_zero 0
		.amdhsa_exception_fp_ieee_overflow 0
		.amdhsa_exception_fp_ieee_underflow 0
		.amdhsa_exception_fp_ieee_inexact 0
		.amdhsa_exception_int_div_zero 0
	.end_amdhsa_kernel
	.section	.text._ZN2at6native12_GLOBAL__N_125multi_tensor_apply_kernelINS1_18TensorListMetadataILi1EEENS1_14UnaryOpFunctorIsLi1ELi1ELi0EEEJSt6negateIsEEEEvT_T0_DpT1_,"axG",@progbits,_ZN2at6native12_GLOBAL__N_125multi_tensor_apply_kernelINS1_18TensorListMetadataILi1EEENS1_14UnaryOpFunctorIsLi1ELi1ELi0EEEJSt6negateIsEEEEvT_T0_DpT1_,comdat
.Lfunc_end320:
	.size	_ZN2at6native12_GLOBAL__N_125multi_tensor_apply_kernelINS1_18TensorListMetadataILi1EEENS1_14UnaryOpFunctorIsLi1ELi1ELi0EEEJSt6negateIsEEEEvT_T0_DpT1_, .Lfunc_end320-_ZN2at6native12_GLOBAL__N_125multi_tensor_apply_kernelINS1_18TensorListMetadataILi1EEENS1_14UnaryOpFunctorIsLi1ELi1ELi0EEEJSt6negateIsEEEEvT_T0_DpT1_
                                        ; -- End function
	.set _ZN2at6native12_GLOBAL__N_125multi_tensor_apply_kernelINS1_18TensorListMetadataILi1EEENS1_14UnaryOpFunctorIsLi1ELi1ELi0EEEJSt6negateIsEEEEvT_T0_DpT1_.num_vgpr, 23
	.set _ZN2at6native12_GLOBAL__N_125multi_tensor_apply_kernelINS1_18TensorListMetadataILi1EEENS1_14UnaryOpFunctorIsLi1ELi1ELi0EEEJSt6negateIsEEEEvT_T0_DpT1_.num_agpr, 0
	.set _ZN2at6native12_GLOBAL__N_125multi_tensor_apply_kernelINS1_18TensorListMetadataILi1EEENS1_14UnaryOpFunctorIsLi1ELi1ELi0EEEJSt6negateIsEEEEvT_T0_DpT1_.numbered_sgpr, 20
	.set _ZN2at6native12_GLOBAL__N_125multi_tensor_apply_kernelINS1_18TensorListMetadataILi1EEENS1_14UnaryOpFunctorIsLi1ELi1ELi0EEEJSt6negateIsEEEEvT_T0_DpT1_.num_named_barrier, 0
	.set _ZN2at6native12_GLOBAL__N_125multi_tensor_apply_kernelINS1_18TensorListMetadataILi1EEENS1_14UnaryOpFunctorIsLi1ELi1ELi0EEEJSt6negateIsEEEEvT_T0_DpT1_.private_seg_size, 0
	.set _ZN2at6native12_GLOBAL__N_125multi_tensor_apply_kernelINS1_18TensorListMetadataILi1EEENS1_14UnaryOpFunctorIsLi1ELi1ELi0EEEJSt6negateIsEEEEvT_T0_DpT1_.uses_vcc, 1
	.set _ZN2at6native12_GLOBAL__N_125multi_tensor_apply_kernelINS1_18TensorListMetadataILi1EEENS1_14UnaryOpFunctorIsLi1ELi1ELi0EEEJSt6negateIsEEEEvT_T0_DpT1_.uses_flat_scratch, 0
	.set _ZN2at6native12_GLOBAL__N_125multi_tensor_apply_kernelINS1_18TensorListMetadataILi1EEENS1_14UnaryOpFunctorIsLi1ELi1ELi0EEEJSt6negateIsEEEEvT_T0_DpT1_.has_dyn_sized_stack, 0
	.set _ZN2at6native12_GLOBAL__N_125multi_tensor_apply_kernelINS1_18TensorListMetadataILi1EEENS1_14UnaryOpFunctorIsLi1ELi1ELi0EEEJSt6negateIsEEEEvT_T0_DpT1_.has_recursion, 0
	.set _ZN2at6native12_GLOBAL__N_125multi_tensor_apply_kernelINS1_18TensorListMetadataILi1EEENS1_14UnaryOpFunctorIsLi1ELi1ELi0EEEJSt6negateIsEEEEvT_T0_DpT1_.has_indirect_call, 0
	.section	.AMDGPU.csdata,"",@progbits
; Kernel info:
; codeLenInByte = 1000
; TotalNumSgprs: 22
; NumVgprs: 23
; ScratchSize: 0
; MemoryBound: 0
; FloatMode: 240
; IeeeMode: 1
; LDSByteSize: 0 bytes/workgroup (compile time only)
; SGPRBlocks: 0
; VGPRBlocks: 1
; NumSGPRsForWavesPerEU: 22
; NumVGPRsForWavesPerEU: 23
; NamedBarCnt: 0
; Occupancy: 16
; WaveLimiterHint : 0
; COMPUTE_PGM_RSRC2:SCRATCH_EN: 0
; COMPUTE_PGM_RSRC2:USER_SGPR: 2
; COMPUTE_PGM_RSRC2:TRAP_HANDLER: 0
; COMPUTE_PGM_RSRC2:TGID_X_EN: 1
; COMPUTE_PGM_RSRC2:TGID_Y_EN: 0
; COMPUTE_PGM_RSRC2:TGID_Z_EN: 0
; COMPUTE_PGM_RSRC2:TIDIG_COMP_CNT: 0
	.section	.text._ZN2at6native12_GLOBAL__N_125multi_tensor_apply_kernelINS1_18TensorListMetadataILi1EEENS1_14UnaryOpFunctorIdLi1ELi1ELi0EEEJSt6negateIdEEEEvT_T0_DpT1_,"axG",@progbits,_ZN2at6native12_GLOBAL__N_125multi_tensor_apply_kernelINS1_18TensorListMetadataILi1EEENS1_14UnaryOpFunctorIdLi1ELi1ELi0EEEJSt6negateIdEEEEvT_T0_DpT1_,comdat
	.globl	_ZN2at6native12_GLOBAL__N_125multi_tensor_apply_kernelINS1_18TensorListMetadataILi1EEENS1_14UnaryOpFunctorIdLi1ELi1ELi0EEEJSt6negateIdEEEEvT_T0_DpT1_ ; -- Begin function _ZN2at6native12_GLOBAL__N_125multi_tensor_apply_kernelINS1_18TensorListMetadataILi1EEENS1_14UnaryOpFunctorIdLi1ELi1ELi0EEEJSt6negateIdEEEEvT_T0_DpT1_
	.p2align	8
	.type	_ZN2at6native12_GLOBAL__N_125multi_tensor_apply_kernelINS1_18TensorListMetadataILi1EEENS1_14UnaryOpFunctorIdLi1ELi1ELi0EEEJSt6negateIdEEEEvT_T0_DpT1_,@function
_ZN2at6native12_GLOBAL__N_125multi_tensor_apply_kernelINS1_18TensorListMetadataILi1EEENS1_14UnaryOpFunctorIdLi1ELi1ELi0EEEJSt6negateIdEEEEvT_T0_DpT1_: ; @_ZN2at6native12_GLOBAL__N_125multi_tensor_apply_kernelINS1_18TensorListMetadataILi1EEENS1_14UnaryOpFunctorIdLi1ELi1ELi0EEEJSt6negateIdEEEEvT_T0_DpT1_
; %bb.0:
	s_bfe_u32 s2, ttmp6, 0x4000c
	s_and_b32 s3, ttmp6, 15
	s_add_co_i32 s2, s2, 1
	s_getreg_b32 s4, hwreg(HW_REG_IB_STS2, 6, 4)
	s_mul_i32 s2, ttmp9, s2
	s_delay_alu instid0(SALU_CYCLE_1)
	s_add_co_i32 s3, s3, s2
	s_cmp_eq_u32 s4, 0
	s_cselect_b32 s2, ttmp9, s3
	s_mov_b32 s3, 0
	s_load_u8 s8, s[0:1], s2 offset:0x6e0
	s_add_nc_u64 s[4:5], s[0:1], s[2:3]
	s_mul_u64 s[6:7], s[2:3], 3
	s_delay_alu instid0(SALU_CYCLE_1)
	s_add_nc_u64 s[4:5], s[4:5], s[6:7]
	s_load_b32 s10, s[4:5], 0x820
	s_wait_kmcnt 0x0
	s_clause 0x1
	s_load_b64 s[6:7], s[0:1], s8 offset:0x0 scale_offset
	s_load_b64 s[12:13], s[0:1], s8 offset:0x370 scale_offset
	s_ashr_i32 s11, s10, 31
	s_wait_kmcnt 0x0
	s_and_b64 s[4:5], s[6:7], 31
	s_and_b32 s2, s12, 3
	s_lshl_b64 s[8:9], s[10:11], 19
	s_or_b64 s[2:3], s[4:5], s[2:3]
	s_lshl_b64 s[4:5], s[10:11], 16
	s_cmp_eq_u64 s[2:3], 0
	s_sub_nc_u64 s[10:11], s[12:13], s[4:5]
	s_cbranch_scc1 .LBB321_21
; %bb.1:
	v_cmp_lt_i64_e64 s2, s[10:11], 1
	s_and_b32 vcc_lo, exec_lo, s2
	s_cbranch_vccnz .LBB321_20
; %bb.2:
	s_load_b32 s4, s[0:1], 0xd3c
	v_min_i64 v[2:3], 0x10000, s[10:11]
	v_min_u64 v[4:5], 0x10000, s[10:11]
	v_dual_mov_b32 v1, 0 :: v_dual_lshlrev_b32 v8, 3, v0
	s_mov_b32 s19, 0
	s_add_nc_u64 s[2:3], s[6:7], s[8:9]
	s_mov_b32 s5, s19
	s_delay_alu instid0(VALU_DEP_1)
	v_mov_b32_e32 v15, v1
	s_mov_b32 s17, s19
	s_mov_b32 s13, s19
	;; [unrolled: 1-line block ×3, first 2 shown]
	s_mov_b64 s[20:21], 0
	s_wait_kmcnt 0x0
	s_and_b32 s18, s4, 0xffff
	s_delay_alu instid0(SALU_CYCLE_1)
	v_add_nc_u64_e32 v[6:7], s[18:19], v[0:1]
	v_mov_b32_e32 v9, v1
	s_lshl_b32 s4, s18, 1
	s_mul_i32 s16, s18, 3
	v_add_nc_u64_e32 v[12:13], s[4:5], v[0:1]
	v_add_nc_u64_e32 v[10:11], s[16:17], v[0:1]
	s_lshl_b32 s12, s18, 2
	v_lshlrev_b32_e32 v14, 3, v6
	v_add_nc_u64_e32 v[8:9], s[2:3], v[8:9]
	s_lshl_b32 s14, s18, 5
	s_mul_u64 s[16:17], s[18:19], 24
	s_lshl_b32 s18, s18, 4
	v_add_nc_u64_e32 v[14:15], s[2:3], v[14:15]
	s_branch .LBB321_4
.LBB321_3:                              ;   in Loop: Header=BB321_4 Depth=1
	s_wait_xcnt 0x0
	s_or_b32 exec_lo, exec_lo, s2
	s_add_nc_u64 s[20:21], s[20:21], s[12:13]
	v_add_nc_u64_e32 v[8:9], s[14:15], v[8:9]
	v_cmp_lt_i64_e32 vcc_lo, s[20:21], v[2:3]
	v_add_nc_u64_e32 v[14:15], s[14:15], v[14:15]
	s_cbranch_vccz .LBB321_20
.LBB321_4:                              ; =>This Inner Loop Header: Depth=1
	s_wait_loadcnt 0x0
	v_add_nc_u64_e32 v[18:19], s[20:21], v[0:1]
	v_mov_b64_e32 v[16:17], 0
	v_mov_b64_e32 v[20:21], 0
	s_delay_alu instid0(VALU_DEP_3)
	v_cmp_lt_u64_e32 vcc_lo, v[18:19], v[4:5]
	s_and_saveexec_b32 s2, vcc_lo
	s_cbranch_execz .LBB321_6
; %bb.5:                                ;   in Loop: Header=BB321_4 Depth=1
	global_load_b64 v[20:21], v[8:9], off
.LBB321_6:                              ;   in Loop: Header=BB321_4 Depth=1
	s_wait_xcnt 0x0
	s_or_b32 exec_lo, exec_lo, s2
	v_add_nc_u64_e32 v[18:19], s[20:21], v[6:7]
	s_delay_alu instid0(VALU_DEP_1)
	v_cmp_lt_u64_e64 s2, v[18:19], v[4:5]
	s_and_saveexec_b32 s3, s2
	s_cbranch_execz .LBB321_8
; %bb.7:                                ;   in Loop: Header=BB321_4 Depth=1
	global_load_b64 v[16:17], v[14:15], off
.LBB321_8:                              ;   in Loop: Header=BB321_4 Depth=1
	s_wait_xcnt 0x0
	s_or_b32 exec_lo, exec_lo, s3
	v_add_nc_u64_e32 v[24:25], s[20:21], v[12:13]
	v_mov_b64_e32 v[18:19], 0
	v_add_nc_u64_e32 v[22:23], s[18:19], v[8:9]
	s_delay_alu instid0(VALU_DEP_3)
	v_cmp_lt_u64_e64 s3, v[24:25], v[4:5]
	v_mov_b64_e32 v[24:25], 0
	s_and_saveexec_b32 s4, s3
	s_cbranch_execz .LBB321_10
; %bb.9:                                ;   in Loop: Header=BB321_4 Depth=1
	global_load_b64 v[24:25], v[22:23], off
.LBB321_10:                             ;   in Loop: Header=BB321_4 Depth=1
	s_wait_xcnt 0x0
	s_or_b32 exec_lo, exec_lo, s4
	v_add_nc_u64_e32 v[26:27], s[20:21], v[10:11]
	s_delay_alu instid0(VALU_DEP_1)
	v_cmp_lt_u64_e64 s4, v[26:27], v[4:5]
	v_add_nc_u64_e32 v[26:27], s[16:17], v[8:9]
	s_and_saveexec_b32 s5, s4
	s_cbranch_execnz .LBB321_15
; %bb.11:                               ;   in Loop: Header=BB321_4 Depth=1
	s_or_b32 exec_lo, exec_lo, s5
	s_and_saveexec_b32 s5, vcc_lo
	s_cbranch_execnz .LBB321_16
.LBB321_12:                             ;   in Loop: Header=BB321_4 Depth=1
	s_or_b32 exec_lo, exec_lo, s5
	s_and_saveexec_b32 s5, s2
	s_cbranch_execnz .LBB321_17
.LBB321_13:                             ;   in Loop: Header=BB321_4 Depth=1
	s_or_b32 exec_lo, exec_lo, s5
	s_and_saveexec_b32 s2, s3
	s_cbranch_execnz .LBB321_18
.LBB321_14:                             ;   in Loop: Header=BB321_4 Depth=1
	s_or_b32 exec_lo, exec_lo, s2
	s_and_saveexec_b32 s2, s4
	s_cbranch_execz .LBB321_3
	s_branch .LBB321_19
.LBB321_15:                             ;   in Loop: Header=BB321_4 Depth=1
	global_load_b64 v[18:19], v[26:27], off
	s_wait_xcnt 0x0
	s_or_b32 exec_lo, exec_lo, s5
	s_and_saveexec_b32 s5, vcc_lo
	s_cbranch_execz .LBB321_12
.LBB321_16:                             ;   in Loop: Header=BB321_4 Depth=1
	s_wait_loadcnt 0x0
	v_xor_b32_e32 v21, 0x80000000, v21
	global_store_b64 v[8:9], v[20:21], off
	s_wait_xcnt 0x0
	s_or_b32 exec_lo, exec_lo, s5
	s_and_saveexec_b32 s5, s2
	s_cbranch_execz .LBB321_13
.LBB321_17:                             ;   in Loop: Header=BB321_4 Depth=1
	s_wait_loadcnt 0x0
	v_xor_b32_e32 v17, 0x80000000, v17
	global_store_b64 v[14:15], v[16:17], off
	s_wait_xcnt 0x0
	s_or_b32 exec_lo, exec_lo, s5
	s_and_saveexec_b32 s2, s3
	s_cbranch_execz .LBB321_14
.LBB321_18:                             ;   in Loop: Header=BB321_4 Depth=1
	s_wait_loadcnt 0x0
	v_xor_b32_e32 v25, 0x80000000, v25
	global_store_b64 v[22:23], v[24:25], off
	s_wait_xcnt 0x0
	s_or_b32 exec_lo, exec_lo, s2
	s_and_saveexec_b32 s2, s4
	s_cbranch_execz .LBB321_3
.LBB321_19:                             ;   in Loop: Header=BB321_4 Depth=1
	s_wait_loadcnt 0x0
	v_xor_b32_e32 v19, 0x80000000, v19
	global_store_b64 v[26:27], v[18:19], off
	s_branch .LBB321_3
.LBB321_20:
	s_cbranch_execz .LBB321_22
	s_branch .LBB321_25
.LBB321_21:
.LBB321_22:
	v_min_i64 v[2:3], 0x10000, s[10:11]
	v_dual_mov_b32 v5, 0 :: v_dual_lshlrev_b32 v4, 2, v0
	s_mov_b32 s2, exec_lo
	s_delay_alu instid0(VALU_DEP_1)
	v_cmpx_lt_i64_e64 v[4:5], v[2:3]
	s_cbranch_execz .LBB321_25
; %bb.23:
	s_load_b32 s2, s[0:1], 0xd3c
	v_dual_mov_b32 v1, v5 :: v_dual_lshlrev_b32 v4, 5, v0
	s_wait_xcnt 0x0
	s_add_nc_u64 s[0:1], s[6:7], s[8:9]
	s_delay_alu instid0(VALU_DEP_1) | instid1(SALU_CYCLE_1)
	v_add_nc_u64_e32 v[6:7], s[0:1], v[4:5]
	s_mov_b32 s1, 0
	s_delay_alu instid0(SALU_CYCLE_1) | instskip(SKIP_1) | instid1(VALU_DEP_1)
	s_mov_b32 s3, s1
	s_mov_b32 s4, s1
	v_add_nc_u64_e32 v[4:5], 16, v[6:7]
	s_wait_kmcnt 0x0
	s_and_b32 s0, s2, 0xffff
	s_delay_alu instid0(SALU_CYCLE_1)
	s_lshl_b32 s2, s0, 5
.LBB321_24:                             ; =>This Inner Loop Header: Depth=1
	s_clause 0x1
	global_load_b128 v[6:9], v[4:5], off offset:-16
	global_load_b128 v[10:13], v[4:5], off
	v_add_nc_u64_e32 v[0:1], s[0:1], v[0:1]
	s_delay_alu instid0(VALU_DEP_1) | instskip(NEXT) | instid1(VALU_DEP_1)
	v_lshlrev_b64_e32 v[14:15], 2, v[0:1]
	v_cmp_ge_i64_e32 vcc_lo, v[14:15], v[2:3]
	s_or_b32 s4, vcc_lo, s4
	s_wait_loadcnt 0x1
	v_xor_b32_e32 v7, 0x80000000, v7
	v_xor_b32_e32 v9, 0x80000000, v9
	s_wait_loadcnt 0x0
	v_xor_b32_e32 v11, 0x80000000, v11
	v_xor_b32_e32 v13, 0x80000000, v13
	s_clause 0x1
	global_store_b128 v[4:5], v[6:9], off offset:-16
	global_store_b128 v[4:5], v[10:13], off
	s_wait_xcnt 0x0
	v_add_nc_u64_e32 v[4:5], s[2:3], v[4:5]
	s_and_not1_b32 exec_lo, exec_lo, s4
	s_cbranch_execnz .LBB321_24
.LBB321_25:
	s_endpgm
	.section	.rodata,"a",@progbits
	.p2align	6, 0x0
	.amdhsa_kernel _ZN2at6native12_GLOBAL__N_125multi_tensor_apply_kernelINS1_18TensorListMetadataILi1EEENS1_14UnaryOpFunctorIdLi1ELi1ELi0EEEJSt6negateIdEEEEvT_T0_DpT1_
		.amdhsa_group_segment_fixed_size 0
		.amdhsa_private_segment_fixed_size 0
		.amdhsa_kernarg_size 3632
		.amdhsa_user_sgpr_count 2
		.amdhsa_user_sgpr_dispatch_ptr 0
		.amdhsa_user_sgpr_queue_ptr 0
		.amdhsa_user_sgpr_kernarg_segment_ptr 1
		.amdhsa_user_sgpr_dispatch_id 0
		.amdhsa_user_sgpr_kernarg_preload_length 0
		.amdhsa_user_sgpr_kernarg_preload_offset 0
		.amdhsa_user_sgpr_private_segment_size 0
		.amdhsa_wavefront_size32 1
		.amdhsa_uses_dynamic_stack 0
		.amdhsa_enable_private_segment 0
		.amdhsa_system_sgpr_workgroup_id_x 1
		.amdhsa_system_sgpr_workgroup_id_y 0
		.amdhsa_system_sgpr_workgroup_id_z 0
		.amdhsa_system_sgpr_workgroup_info 0
		.amdhsa_system_vgpr_workitem_id 0
		.amdhsa_next_free_vgpr 28
		.amdhsa_next_free_sgpr 22
		.amdhsa_named_barrier_count 0
		.amdhsa_reserve_vcc 1
		.amdhsa_float_round_mode_32 0
		.amdhsa_float_round_mode_16_64 0
		.amdhsa_float_denorm_mode_32 3
		.amdhsa_float_denorm_mode_16_64 3
		.amdhsa_fp16_overflow 0
		.amdhsa_memory_ordered 1
		.amdhsa_forward_progress 1
		.amdhsa_inst_pref_size 8
		.amdhsa_round_robin_scheduling 0
		.amdhsa_exception_fp_ieee_invalid_op 0
		.amdhsa_exception_fp_denorm_src 0
		.amdhsa_exception_fp_ieee_div_zero 0
		.amdhsa_exception_fp_ieee_overflow 0
		.amdhsa_exception_fp_ieee_underflow 0
		.amdhsa_exception_fp_ieee_inexact 0
		.amdhsa_exception_int_div_zero 0
	.end_amdhsa_kernel
	.section	.text._ZN2at6native12_GLOBAL__N_125multi_tensor_apply_kernelINS1_18TensorListMetadataILi1EEENS1_14UnaryOpFunctorIdLi1ELi1ELi0EEEJSt6negateIdEEEEvT_T0_DpT1_,"axG",@progbits,_ZN2at6native12_GLOBAL__N_125multi_tensor_apply_kernelINS1_18TensorListMetadataILi1EEENS1_14UnaryOpFunctorIdLi1ELi1ELi0EEEJSt6negateIdEEEEvT_T0_DpT1_,comdat
.Lfunc_end321:
	.size	_ZN2at6native12_GLOBAL__N_125multi_tensor_apply_kernelINS1_18TensorListMetadataILi1EEENS1_14UnaryOpFunctorIdLi1ELi1ELi0EEEJSt6negateIdEEEEvT_T0_DpT1_, .Lfunc_end321-_ZN2at6native12_GLOBAL__N_125multi_tensor_apply_kernelINS1_18TensorListMetadataILi1EEENS1_14UnaryOpFunctorIdLi1ELi1ELi0EEEJSt6negateIdEEEEvT_T0_DpT1_
                                        ; -- End function
	.set _ZN2at6native12_GLOBAL__N_125multi_tensor_apply_kernelINS1_18TensorListMetadataILi1EEENS1_14UnaryOpFunctorIdLi1ELi1ELi0EEEJSt6negateIdEEEEvT_T0_DpT1_.num_vgpr, 28
	.set _ZN2at6native12_GLOBAL__N_125multi_tensor_apply_kernelINS1_18TensorListMetadataILi1EEENS1_14UnaryOpFunctorIdLi1ELi1ELi0EEEJSt6negateIdEEEEvT_T0_DpT1_.num_agpr, 0
	.set _ZN2at6native12_GLOBAL__N_125multi_tensor_apply_kernelINS1_18TensorListMetadataILi1EEENS1_14UnaryOpFunctorIdLi1ELi1ELi0EEEJSt6negateIdEEEEvT_T0_DpT1_.numbered_sgpr, 22
	.set _ZN2at6native12_GLOBAL__N_125multi_tensor_apply_kernelINS1_18TensorListMetadataILi1EEENS1_14UnaryOpFunctorIdLi1ELi1ELi0EEEJSt6negateIdEEEEvT_T0_DpT1_.num_named_barrier, 0
	.set _ZN2at6native12_GLOBAL__N_125multi_tensor_apply_kernelINS1_18TensorListMetadataILi1EEENS1_14UnaryOpFunctorIdLi1ELi1ELi0EEEJSt6negateIdEEEEvT_T0_DpT1_.private_seg_size, 0
	.set _ZN2at6native12_GLOBAL__N_125multi_tensor_apply_kernelINS1_18TensorListMetadataILi1EEENS1_14UnaryOpFunctorIdLi1ELi1ELi0EEEJSt6negateIdEEEEvT_T0_DpT1_.uses_vcc, 1
	.set _ZN2at6native12_GLOBAL__N_125multi_tensor_apply_kernelINS1_18TensorListMetadataILi1EEENS1_14UnaryOpFunctorIdLi1ELi1ELi0EEEJSt6negateIdEEEEvT_T0_DpT1_.uses_flat_scratch, 0
	.set _ZN2at6native12_GLOBAL__N_125multi_tensor_apply_kernelINS1_18TensorListMetadataILi1EEENS1_14UnaryOpFunctorIdLi1ELi1ELi0EEEJSt6negateIdEEEEvT_T0_DpT1_.has_dyn_sized_stack, 0
	.set _ZN2at6native12_GLOBAL__N_125multi_tensor_apply_kernelINS1_18TensorListMetadataILi1EEENS1_14UnaryOpFunctorIdLi1ELi1ELi0EEEJSt6negateIdEEEEvT_T0_DpT1_.has_recursion, 0
	.set _ZN2at6native12_GLOBAL__N_125multi_tensor_apply_kernelINS1_18TensorListMetadataILi1EEENS1_14UnaryOpFunctorIdLi1ELi1ELi0EEEJSt6negateIdEEEEvT_T0_DpT1_.has_indirect_call, 0
	.section	.AMDGPU.csdata,"",@progbits
; Kernel info:
; codeLenInByte = 996
; TotalNumSgprs: 24
; NumVgprs: 28
; ScratchSize: 0
; MemoryBound: 0
; FloatMode: 240
; IeeeMode: 1
; LDSByteSize: 0 bytes/workgroup (compile time only)
; SGPRBlocks: 0
; VGPRBlocks: 1
; NumSGPRsForWavesPerEU: 24
; NumVGPRsForWavesPerEU: 28
; NamedBarCnt: 0
; Occupancy: 16
; WaveLimiterHint : 0
; COMPUTE_PGM_RSRC2:SCRATCH_EN: 0
; COMPUTE_PGM_RSRC2:USER_SGPR: 2
; COMPUTE_PGM_RSRC2:TRAP_HANDLER: 0
; COMPUTE_PGM_RSRC2:TGID_X_EN: 1
; COMPUTE_PGM_RSRC2:TGID_Y_EN: 0
; COMPUTE_PGM_RSRC2:TGID_Z_EN: 0
; COMPUTE_PGM_RSRC2:TIDIG_COMP_CNT: 0
	.section	.text._ZN2at6native12_GLOBAL__N_125multi_tensor_apply_kernelINS1_18TensorListMetadataILi1EEENS1_14UnaryOpFunctorIfLi1ELi1ELi0EEEJSt6negateIfEEEEvT_T0_DpT1_,"axG",@progbits,_ZN2at6native12_GLOBAL__N_125multi_tensor_apply_kernelINS1_18TensorListMetadataILi1EEENS1_14UnaryOpFunctorIfLi1ELi1ELi0EEEJSt6negateIfEEEEvT_T0_DpT1_,comdat
	.globl	_ZN2at6native12_GLOBAL__N_125multi_tensor_apply_kernelINS1_18TensorListMetadataILi1EEENS1_14UnaryOpFunctorIfLi1ELi1ELi0EEEJSt6negateIfEEEEvT_T0_DpT1_ ; -- Begin function _ZN2at6native12_GLOBAL__N_125multi_tensor_apply_kernelINS1_18TensorListMetadataILi1EEENS1_14UnaryOpFunctorIfLi1ELi1ELi0EEEJSt6negateIfEEEEvT_T0_DpT1_
	.p2align	8
	.type	_ZN2at6native12_GLOBAL__N_125multi_tensor_apply_kernelINS1_18TensorListMetadataILi1EEENS1_14UnaryOpFunctorIfLi1ELi1ELi0EEEJSt6negateIfEEEEvT_T0_DpT1_,@function
_ZN2at6native12_GLOBAL__N_125multi_tensor_apply_kernelINS1_18TensorListMetadataILi1EEENS1_14UnaryOpFunctorIfLi1ELi1ELi0EEEJSt6negateIfEEEEvT_T0_DpT1_: ; @_ZN2at6native12_GLOBAL__N_125multi_tensor_apply_kernelINS1_18TensorListMetadataILi1EEENS1_14UnaryOpFunctorIfLi1ELi1ELi0EEEJSt6negateIfEEEEvT_T0_DpT1_
; %bb.0:
	s_bfe_u32 s2, ttmp6, 0x4000c
	s_and_b32 s3, ttmp6, 15
	s_add_co_i32 s2, s2, 1
	s_getreg_b32 s4, hwreg(HW_REG_IB_STS2, 6, 4)
	s_mul_i32 s2, ttmp9, s2
	s_delay_alu instid0(SALU_CYCLE_1)
	s_add_co_i32 s3, s3, s2
	s_cmp_eq_u32 s4, 0
	s_cselect_b32 s2, ttmp9, s3
	s_mov_b32 s3, 0
	s_load_u8 s8, s[0:1], s2 offset:0x6e0
	s_add_nc_u64 s[4:5], s[0:1], s[2:3]
	s_mul_u64 s[6:7], s[2:3], 3
	s_delay_alu instid0(SALU_CYCLE_1)
	s_add_nc_u64 s[4:5], s[4:5], s[6:7]
	s_load_b32 s10, s[4:5], 0x820
	s_wait_kmcnt 0x0
	s_clause 0x1
	s_load_b64 s[6:7], s[0:1], s8 offset:0x0 scale_offset
	s_load_b64 s[12:13], s[0:1], s8 offset:0x370 scale_offset
	s_ashr_i32 s11, s10, 31
	s_wait_kmcnt 0x0
	s_and_b64 s[4:5], s[6:7], 15
	s_and_b32 s2, s12, 3
	s_lshl_b64 s[8:9], s[10:11], 18
	s_or_b64 s[2:3], s[4:5], s[2:3]
	s_lshl_b64 s[4:5], s[10:11], 16
	s_cmp_eq_u64 s[2:3], 0
	s_sub_nc_u64 s[10:11], s[12:13], s[4:5]
	s_cbranch_scc1 .LBB322_21
; %bb.1:
	v_cmp_lt_i64_e64 s2, s[10:11], 1
	s_and_b32 vcc_lo, exec_lo, s2
	s_cbranch_vccnz .LBB322_20
; %bb.2:
	s_load_b32 s4, s[0:1], 0xd3c
	v_min_i64 v[2:3], 0x10000, s[10:11]
	v_min_u64 v[4:5], 0x10000, s[10:11]
	v_dual_mov_b32 v1, 0 :: v_dual_lshlrev_b32 v8, 2, v0
	s_mov_b32 s19, 0
	s_add_nc_u64 s[2:3], s[6:7], s[8:9]
	s_mov_b32 s5, s19
	s_delay_alu instid0(VALU_DEP_1)
	v_mov_b32_e32 v15, v1
	s_mov_b32 s17, s19
	s_mov_b32 s13, s19
	;; [unrolled: 1-line block ×3, first 2 shown]
	s_mov_b64 s[20:21], 0
	s_wait_kmcnt 0x0
	s_and_b32 s18, s4, 0xffff
	s_delay_alu instid0(SALU_CYCLE_1)
	v_add_nc_u64_e32 v[6:7], s[18:19], v[0:1]
	v_mov_b32_e32 v9, v1
	s_lshl_b32 s4, s18, 1
	s_mul_i32 s16, s18, 3
	v_add_nc_u64_e32 v[12:13], s[4:5], v[0:1]
	v_add_nc_u64_e32 v[10:11], s[16:17], v[0:1]
	s_lshl_b32 s12, s18, 2
	v_lshlrev_b32_e32 v14, 2, v6
	v_add_nc_u64_e32 v[8:9], s[2:3], v[8:9]
	s_lshl_b32 s14, s18, 4
	s_mul_u64 s[16:17], s[18:19], 12
	s_lshl_b32 s18, s18, 3
	v_add_nc_u64_e32 v[14:15], s[2:3], v[14:15]
	s_branch .LBB322_4
.LBB322_3:                              ;   in Loop: Header=BB322_4 Depth=1
	s_wait_xcnt 0x0
	s_or_b32 exec_lo, exec_lo, s2
	s_add_nc_u64 s[20:21], s[20:21], s[12:13]
	v_add_nc_u64_e32 v[8:9], s[14:15], v[8:9]
	v_cmp_lt_i64_e32 vcc_lo, s[20:21], v[2:3]
	v_add_nc_u64_e32 v[14:15], s[14:15], v[14:15]
	s_cbranch_vccz .LBB322_20
.LBB322_4:                              ; =>This Inner Loop Header: Depth=1
	v_add_nc_u64_e32 v[16:17], s[20:21], v[0:1]
	s_wait_loadcnt 0x0
	v_mov_b32_e32 v21, 0
	s_delay_alu instid0(VALU_DEP_2)
	v_cmp_lt_u64_e32 vcc_lo, v[16:17], v[4:5]
	s_and_saveexec_b32 s2, vcc_lo
	s_cbranch_execz .LBB322_6
; %bb.5:                                ;   in Loop: Header=BB322_4 Depth=1
	global_load_b32 v21, v[8:9], off
.LBB322_6:                              ;   in Loop: Header=BB322_4 Depth=1
	s_wait_xcnt 0x0
	s_or_b32 exec_lo, exec_lo, s2
	v_add_nc_u64_e32 v[16:17], s[20:21], v[6:7]
	v_dual_mov_b32 v20, 0 :: v_dual_mov_b32 v22, 0
	s_delay_alu instid0(VALU_DEP_2)
	v_cmp_lt_u64_e64 s2, v[16:17], v[4:5]
	s_and_saveexec_b32 s3, s2
	s_cbranch_execz .LBB322_8
; %bb.7:                                ;   in Loop: Header=BB322_4 Depth=1
	global_load_b32 v22, v[14:15], off
.LBB322_8:                              ;   in Loop: Header=BB322_4 Depth=1
	s_wait_xcnt 0x0
	s_or_b32 exec_lo, exec_lo, s3
	v_add_nc_u64_e32 v[16:17], s[20:21], v[12:13]
	s_delay_alu instid0(VALU_DEP_1)
	v_cmp_lt_u64_e64 s3, v[16:17], v[4:5]
	v_add_nc_u64_e32 v[16:17], s[18:19], v[8:9]
	s_and_saveexec_b32 s4, s3
	s_cbranch_execz .LBB322_10
; %bb.9:                                ;   in Loop: Header=BB322_4 Depth=1
	global_load_b32 v20, v[16:17], off
.LBB322_10:                             ;   in Loop: Header=BB322_4 Depth=1
	s_wait_xcnt 0x0
	s_or_b32 exec_lo, exec_lo, s4
	v_add_nc_u64_e32 v[18:19], s[20:21], v[10:11]
	v_mov_b32_e32 v23, 0
	s_delay_alu instid0(VALU_DEP_2)
	v_cmp_lt_u64_e64 s4, v[18:19], v[4:5]
	v_add_nc_u64_e32 v[18:19], s[16:17], v[8:9]
	s_and_saveexec_b32 s5, s4
	s_cbranch_execnz .LBB322_15
; %bb.11:                               ;   in Loop: Header=BB322_4 Depth=1
	s_or_b32 exec_lo, exec_lo, s5
	s_and_saveexec_b32 s5, vcc_lo
	s_cbranch_execnz .LBB322_16
.LBB322_12:                             ;   in Loop: Header=BB322_4 Depth=1
	s_or_b32 exec_lo, exec_lo, s5
	s_and_saveexec_b32 s5, s2
	s_cbranch_execnz .LBB322_17
.LBB322_13:                             ;   in Loop: Header=BB322_4 Depth=1
	s_or_b32 exec_lo, exec_lo, s5
	s_and_saveexec_b32 s2, s3
	s_cbranch_execnz .LBB322_18
.LBB322_14:                             ;   in Loop: Header=BB322_4 Depth=1
	s_or_b32 exec_lo, exec_lo, s2
	s_and_saveexec_b32 s2, s4
	s_cbranch_execz .LBB322_3
	s_branch .LBB322_19
.LBB322_15:                             ;   in Loop: Header=BB322_4 Depth=1
	global_load_b32 v23, v[18:19], off
	s_wait_xcnt 0x0
	s_or_b32 exec_lo, exec_lo, s5
	s_and_saveexec_b32 s5, vcc_lo
	s_cbranch_execz .LBB322_12
.LBB322_16:                             ;   in Loop: Header=BB322_4 Depth=1
	s_wait_loadcnt 0x0
	v_xor_b32_e32 v21, 0x80000000, v21
	global_store_b32 v[8:9], v21, off
	s_wait_xcnt 0x0
	s_or_b32 exec_lo, exec_lo, s5
	s_and_saveexec_b32 s5, s2
	s_cbranch_execz .LBB322_13
.LBB322_17:                             ;   in Loop: Header=BB322_4 Depth=1
	s_wait_loadcnt 0x0
	v_xor_b32_e32 v21, 0x80000000, v22
	global_store_b32 v[14:15], v21, off
	s_wait_xcnt 0x0
	s_or_b32 exec_lo, exec_lo, s5
	s_and_saveexec_b32 s2, s3
	s_cbranch_execz .LBB322_14
.LBB322_18:                             ;   in Loop: Header=BB322_4 Depth=1
	s_wait_loadcnt 0x0
	v_xor_b32_e32 v20, 0x80000000, v20
	global_store_b32 v[16:17], v20, off
	s_wait_xcnt 0x0
	s_or_b32 exec_lo, exec_lo, s2
	s_and_saveexec_b32 s2, s4
	s_cbranch_execz .LBB322_3
.LBB322_19:                             ;   in Loop: Header=BB322_4 Depth=1
	s_wait_loadcnt 0x0
	v_xor_b32_e32 v16, 0x80000000, v23
	global_store_b32 v[18:19], v16, off
	s_branch .LBB322_3
.LBB322_20:
	s_cbranch_execz .LBB322_22
	s_branch .LBB322_30
.LBB322_21:
.LBB322_22:
	v_min_i64 v[2:3], 0x10000, s[10:11]
	v_dual_mov_b32 v5, 0 :: v_dual_lshlrev_b32 v4, 2, v0
	s_mov_b32 s2, exec_lo
	s_delay_alu instid0(VALU_DEP_1)
	v_cmpx_lt_i64_e64 v[4:5], v[2:3]
	s_cbranch_execz .LBB322_30
; %bb.23:
	v_dual_mov_b32 v7, v5 :: v_dual_add_nc_u32 v6, 4, v4
	s_load_b32 s0, s[0:1], 0xd3c
	s_wait_xcnt 0x0
	s_mov_b32 s1, 0
	v_mov_b32_e32 v1, v5
	s_mov_b32 s3, -1
	v_max_i64 v[6:7], v[2:3], v[6:7]
	v_mov_b32_e32 v9, s1
	s_wait_kmcnt 0x0
	s_and_b32 s0, s0, 0xffff
	s_delay_alu instid0(SALU_CYCLE_1) | instskip(SKIP_1) | instid1(VALU_DEP_2)
	s_cmp_eq_u32 s0, 1
	s_cselect_b32 s2, -1, 0
	v_add_nc_u64_e32 v[6:7], -4, v[6:7]
	s_delay_alu instid0(VALU_DEP_1) | instskip(SKIP_1) | instid1(VALU_DEP_1)
	v_cmp_ne_u64_e32 vcc_lo, v[6:7], v[4:5]
	v_cndmask_b32_e64 v8, 0, 1, vcc_lo
	v_or_b32_e32 v4, v4, v8
	s_delay_alu instid0(VALU_DEP_1) | instskip(NEXT) | instid1(VALU_DEP_1)
	v_sub_nc_u64_e32 v[6:7], v[6:7], v[4:5]
	v_lshrrev_b64 v[6:7], 2, v[6:7]
	s_delay_alu instid0(VALU_DEP_1) | instskip(NEXT) | instid1(VALU_DEP_1)
	v_add_nc_u64_e32 v[6:7], v[6:7], v[8:9]
	v_cmp_ne_u64_e32 vcc_lo, 0, v[6:7]
	s_and_b32 s4, vcc_lo, s2
	s_delay_alu instid0(SALU_CYCLE_1)
	s_and_saveexec_b32 s2, s4
	s_cbranch_execz .LBB322_27
; %bb.24:
	v_dual_mov_b32 v9, 0 :: v_dual_lshlrev_b32 v8, 4, v0
	v_add_nc_u64_e32 v[4:5], 1, v[6:7]
	s_add_nc_u64 s[4:5], s[6:7], s[8:9]
	s_delay_alu instid0(VALU_DEP_2) | instid1(SALU_CYCLE_1)
	v_add_nc_u64_e32 v[8:9], s[4:5], v[8:9]
	s_delay_alu instid0(VALU_DEP_2) | instskip(NEXT) | instid1(VALU_DEP_2)
	v_dual_mov_b32 v7, v5 :: v_dual_bitop2_b32 v6, -2, v4 bitop3:0x40
	v_add_nc_u64_e32 v[8:9], 28, v[8:9]
	s_delay_alu instid0(VALU_DEP_2)
	v_mov_b64_e32 v[10:11], v[6:7]
.LBB322_25:                             ; =>This Inner Loop Header: Depth=1
	s_clause 0x1
	global_load_b128 v[12:15], v[8:9], off offset:-28
	global_load_b128 v[16:19], v[8:9], off offset:-12
	v_add_nc_u64_e32 v[10:11], -2, v[10:11]
	s_delay_alu instid0(VALU_DEP_1)
	v_cmp_eq_u64_e32 vcc_lo, 0, v[10:11]
	s_or_b32 s1, vcc_lo, s1
	s_wait_loadcnt 0x1
	v_xor_b32_e32 v13, 0x80000000, v13
	v_xor_b32_e32 v12, 0x80000000, v12
	;; [unrolled: 1-line block ×4, first 2 shown]
	s_wait_loadcnt 0x0
	v_xor_b32_e32 v17, 0x80000000, v17
	v_xor_b32_e32 v16, 0x80000000, v16
	;; [unrolled: 1-line block ×4, first 2 shown]
	s_clause 0x1
	global_store_b128 v[8:9], v[12:15], off offset:-28
	global_store_b128 v[8:9], v[16:19], off offset:-12
	s_wait_xcnt 0x0
	v_add_nc_u64_e32 v[8:9], 32, v[8:9]
	s_and_not1_b32 exec_lo, exec_lo, s1
	s_cbranch_execnz .LBB322_25
; %bb.26:
	s_or_b32 exec_lo, exec_lo, s1
	v_cmp_ne_u64_e32 vcc_lo, v[4:5], v[6:7]
	v_add_nc_u64_e32 v[0:1], v[6:7], v[0:1]
	s_or_not1_b32 s3, vcc_lo, exec_lo
.LBB322_27:
	s_or_b32 exec_lo, exec_lo, s2
	s_delay_alu instid0(SALU_CYCLE_1)
	s_and_b32 exec_lo, exec_lo, s3
	s_cbranch_execz .LBB322_30
; %bb.28:
	s_add_nc_u64 s[2:3], s[6:7], s[8:9]
	s_mov_b32 s1, 0
	v_lshl_add_u64 v[4:5], v[0:1], 4, s[2:3]
	s_lshl_b32 s2, s0, 4
	s_mov_b32 s3, s1
	s_mov_b32 s4, s1
	s_delay_alu instid0(VALU_DEP_1)
	v_add_nc_u64_e32 v[4:5], 8, v[4:5]
.LBB322_29:                             ; =>This Inner Loop Header: Depth=1
	global_load_b128 v[6:9], v[4:5], off offset:-8
	v_add_nc_u64_e32 v[0:1], s[0:1], v[0:1]
	s_delay_alu instid0(VALU_DEP_1) | instskip(NEXT) | instid1(VALU_DEP_1)
	v_lshlrev_b64_e32 v[10:11], 2, v[0:1]
	v_cmp_ge_i64_e32 vcc_lo, v[10:11], v[2:3]
	s_or_b32 s4, vcc_lo, s4
	s_wait_loadcnt 0x0
	v_xor_b32_e32 v7, 0x80000000, v7
	v_xor_b32_e32 v6, 0x80000000, v6
	;; [unrolled: 1-line block ×4, first 2 shown]
	global_store_b128 v[4:5], v[6:9], off offset:-8
	s_wait_xcnt 0x0
	v_add_nc_u64_e32 v[4:5], s[2:3], v[4:5]
	s_and_not1_b32 exec_lo, exec_lo, s4
	s_cbranch_execnz .LBB322_29
.LBB322_30:
	s_endpgm
	.section	.rodata,"a",@progbits
	.p2align	6, 0x0
	.amdhsa_kernel _ZN2at6native12_GLOBAL__N_125multi_tensor_apply_kernelINS1_18TensorListMetadataILi1EEENS1_14UnaryOpFunctorIfLi1ELi1ELi0EEEJSt6negateIfEEEEvT_T0_DpT1_
		.amdhsa_group_segment_fixed_size 0
		.amdhsa_private_segment_fixed_size 0
		.amdhsa_kernarg_size 3632
		.amdhsa_user_sgpr_count 2
		.amdhsa_user_sgpr_dispatch_ptr 0
		.amdhsa_user_sgpr_queue_ptr 0
		.amdhsa_user_sgpr_kernarg_segment_ptr 1
		.amdhsa_user_sgpr_dispatch_id 0
		.amdhsa_user_sgpr_kernarg_preload_length 0
		.amdhsa_user_sgpr_kernarg_preload_offset 0
		.amdhsa_user_sgpr_private_segment_size 0
		.amdhsa_wavefront_size32 1
		.amdhsa_uses_dynamic_stack 0
		.amdhsa_enable_private_segment 0
		.amdhsa_system_sgpr_workgroup_id_x 1
		.amdhsa_system_sgpr_workgroup_id_y 0
		.amdhsa_system_sgpr_workgroup_id_z 0
		.amdhsa_system_sgpr_workgroup_info 0
		.amdhsa_system_vgpr_workitem_id 0
		.amdhsa_next_free_vgpr 24
		.amdhsa_next_free_sgpr 22
		.amdhsa_named_barrier_count 0
		.amdhsa_reserve_vcc 1
		.amdhsa_float_round_mode_32 0
		.amdhsa_float_round_mode_16_64 0
		.amdhsa_float_denorm_mode_32 3
		.amdhsa_float_denorm_mode_16_64 3
		.amdhsa_fp16_overflow 0
		.amdhsa_memory_ordered 1
		.amdhsa_forward_progress 1
		.amdhsa_inst_pref_size 11
		.amdhsa_round_robin_scheduling 0
		.amdhsa_exception_fp_ieee_invalid_op 0
		.amdhsa_exception_fp_denorm_src 0
		.amdhsa_exception_fp_ieee_div_zero 0
		.amdhsa_exception_fp_ieee_overflow 0
		.amdhsa_exception_fp_ieee_underflow 0
		.amdhsa_exception_fp_ieee_inexact 0
		.amdhsa_exception_int_div_zero 0
	.end_amdhsa_kernel
	.section	.text._ZN2at6native12_GLOBAL__N_125multi_tensor_apply_kernelINS1_18TensorListMetadataILi1EEENS1_14UnaryOpFunctorIfLi1ELi1ELi0EEEJSt6negateIfEEEEvT_T0_DpT1_,"axG",@progbits,_ZN2at6native12_GLOBAL__N_125multi_tensor_apply_kernelINS1_18TensorListMetadataILi1EEENS1_14UnaryOpFunctorIfLi1ELi1ELi0EEEJSt6negateIfEEEEvT_T0_DpT1_,comdat
.Lfunc_end322:
	.size	_ZN2at6native12_GLOBAL__N_125multi_tensor_apply_kernelINS1_18TensorListMetadataILi1EEENS1_14UnaryOpFunctorIfLi1ELi1ELi0EEEJSt6negateIfEEEEvT_T0_DpT1_, .Lfunc_end322-_ZN2at6native12_GLOBAL__N_125multi_tensor_apply_kernelINS1_18TensorListMetadataILi1EEENS1_14UnaryOpFunctorIfLi1ELi1ELi0EEEJSt6negateIfEEEEvT_T0_DpT1_
                                        ; -- End function
	.set _ZN2at6native12_GLOBAL__N_125multi_tensor_apply_kernelINS1_18TensorListMetadataILi1EEENS1_14UnaryOpFunctorIfLi1ELi1ELi0EEEJSt6negateIfEEEEvT_T0_DpT1_.num_vgpr, 24
	.set _ZN2at6native12_GLOBAL__N_125multi_tensor_apply_kernelINS1_18TensorListMetadataILi1EEENS1_14UnaryOpFunctorIfLi1ELi1ELi0EEEJSt6negateIfEEEEvT_T0_DpT1_.num_agpr, 0
	.set _ZN2at6native12_GLOBAL__N_125multi_tensor_apply_kernelINS1_18TensorListMetadataILi1EEENS1_14UnaryOpFunctorIfLi1ELi1ELi0EEEJSt6negateIfEEEEvT_T0_DpT1_.numbered_sgpr, 22
	.set _ZN2at6native12_GLOBAL__N_125multi_tensor_apply_kernelINS1_18TensorListMetadataILi1EEENS1_14UnaryOpFunctorIfLi1ELi1ELi0EEEJSt6negateIfEEEEvT_T0_DpT1_.num_named_barrier, 0
	.set _ZN2at6native12_GLOBAL__N_125multi_tensor_apply_kernelINS1_18TensorListMetadataILi1EEENS1_14UnaryOpFunctorIfLi1ELi1ELi0EEEJSt6negateIfEEEEvT_T0_DpT1_.private_seg_size, 0
	.set _ZN2at6native12_GLOBAL__N_125multi_tensor_apply_kernelINS1_18TensorListMetadataILi1EEENS1_14UnaryOpFunctorIfLi1ELi1ELi0EEEJSt6negateIfEEEEvT_T0_DpT1_.uses_vcc, 1
	.set _ZN2at6native12_GLOBAL__N_125multi_tensor_apply_kernelINS1_18TensorListMetadataILi1EEENS1_14UnaryOpFunctorIfLi1ELi1ELi0EEEJSt6negateIfEEEEvT_T0_DpT1_.uses_flat_scratch, 0
	.set _ZN2at6native12_GLOBAL__N_125multi_tensor_apply_kernelINS1_18TensorListMetadataILi1EEENS1_14UnaryOpFunctorIfLi1ELi1ELi0EEEJSt6negateIfEEEEvT_T0_DpT1_.has_dyn_sized_stack, 0
	.set _ZN2at6native12_GLOBAL__N_125multi_tensor_apply_kernelINS1_18TensorListMetadataILi1EEENS1_14UnaryOpFunctorIfLi1ELi1ELi0EEEJSt6negateIfEEEEvT_T0_DpT1_.has_recursion, 0
	.set _ZN2at6native12_GLOBAL__N_125multi_tensor_apply_kernelINS1_18TensorListMetadataILi1EEENS1_14UnaryOpFunctorIfLi1ELi1ELi0EEEJSt6negateIfEEEEvT_T0_DpT1_.has_indirect_call, 0
	.section	.AMDGPU.csdata,"",@progbits
; Kernel info:
; codeLenInByte = 1308
; TotalNumSgprs: 24
; NumVgprs: 24
; ScratchSize: 0
; MemoryBound: 0
; FloatMode: 240
; IeeeMode: 1
; LDSByteSize: 0 bytes/workgroup (compile time only)
; SGPRBlocks: 0
; VGPRBlocks: 1
; NumSGPRsForWavesPerEU: 24
; NumVGPRsForWavesPerEU: 24
; NamedBarCnt: 0
; Occupancy: 16
; WaveLimiterHint : 0
; COMPUTE_PGM_RSRC2:SCRATCH_EN: 0
; COMPUTE_PGM_RSRC2:USER_SGPR: 2
; COMPUTE_PGM_RSRC2:TRAP_HANDLER: 0
; COMPUTE_PGM_RSRC2:TGID_X_EN: 1
; COMPUTE_PGM_RSRC2:TGID_Y_EN: 0
; COMPUTE_PGM_RSRC2:TGID_Z_EN: 0
; COMPUTE_PGM_RSRC2:TIDIG_COMP_CNT: 0
	.section	.text._ZN2at6native12_GLOBAL__N_125multi_tensor_apply_kernelINS1_18TensorListMetadataILi1EEENS1_14UnaryOpFunctorIN3c107complexIdEELi1ELi1ELi0EEEJSt6negateIS8_EEEEvT_T0_DpT1_,"axG",@progbits,_ZN2at6native12_GLOBAL__N_125multi_tensor_apply_kernelINS1_18TensorListMetadataILi1EEENS1_14UnaryOpFunctorIN3c107complexIdEELi1ELi1ELi0EEEJSt6negateIS8_EEEEvT_T0_DpT1_,comdat
	.globl	_ZN2at6native12_GLOBAL__N_125multi_tensor_apply_kernelINS1_18TensorListMetadataILi1EEENS1_14UnaryOpFunctorIN3c107complexIdEELi1ELi1ELi0EEEJSt6negateIS8_EEEEvT_T0_DpT1_ ; -- Begin function _ZN2at6native12_GLOBAL__N_125multi_tensor_apply_kernelINS1_18TensorListMetadataILi1EEENS1_14UnaryOpFunctorIN3c107complexIdEELi1ELi1ELi0EEEJSt6negateIS8_EEEEvT_T0_DpT1_
	.p2align	8
	.type	_ZN2at6native12_GLOBAL__N_125multi_tensor_apply_kernelINS1_18TensorListMetadataILi1EEENS1_14UnaryOpFunctorIN3c107complexIdEELi1ELi1ELi0EEEJSt6negateIS8_EEEEvT_T0_DpT1_,@function
_ZN2at6native12_GLOBAL__N_125multi_tensor_apply_kernelINS1_18TensorListMetadataILi1EEENS1_14UnaryOpFunctorIN3c107complexIdEELi1ELi1ELi0EEEJSt6negateIS8_EEEEvT_T0_DpT1_: ; @_ZN2at6native12_GLOBAL__N_125multi_tensor_apply_kernelINS1_18TensorListMetadataILi1EEENS1_14UnaryOpFunctorIN3c107complexIdEELi1ELi1ELi0EEEJSt6negateIS8_EEEEvT_T0_DpT1_
; %bb.0:
	s_bfe_u32 s2, ttmp6, 0x4000c
	s_and_b32 s3, ttmp6, 15
	s_add_co_i32 s2, s2, 1
	s_getreg_b32 s4, hwreg(HW_REG_IB_STS2, 6, 4)
	s_mul_i32 s2, ttmp9, s2
	s_delay_alu instid0(SALU_CYCLE_1)
	s_add_co_i32 s3, s3, s2
	s_cmp_eq_u32 s4, 0
	s_cselect_b32 s2, ttmp9, s3
	s_mov_b32 s3, 0
	s_load_u8 s8, s[0:1], s2 offset:0x6e0
	s_add_nc_u64 s[4:5], s[0:1], s[2:3]
	s_mul_u64 s[6:7], s[2:3], 3
	s_delay_alu instid0(SALU_CYCLE_1)
	s_add_nc_u64 s[4:5], s[4:5], s[6:7]
	s_load_b32 s10, s[4:5], 0x820
	s_wait_kmcnt 0x0
	s_clause 0x1
	s_load_b64 s[6:7], s[0:1], s8 offset:0x0 scale_offset
	s_load_b64 s[14:15], s[0:1], s8 offset:0x370 scale_offset
	s_ashr_i32 s11, s10, 31
	s_wait_xcnt 0x0
	s_lshl_b64 s[8:9], s[10:11], 20
	s_wait_kmcnt 0x0
	s_and_b32 s2, s14, 3
	s_add_nc_u64 s[12:13], s[6:7], s[8:9]
	s_delay_alu instid0(SALU_CYCLE_1) | instskip(NEXT) | instid1(SALU_CYCLE_1)
	s_and_b64 s[4:5], s[12:13], 63
	s_or_b64 s[2:3], s[4:5], s[2:3]
	s_lshl_b64 s[4:5], s[10:11], 16
	s_cmp_eq_u64 s[2:3], 0
	s_sub_nc_u64 s[10:11], s[14:15], s[4:5]
	s_cbranch_scc1 .LBB323_21
; %bb.1:
	v_cmp_lt_i64_e64 s2, s[10:11], 1
	s_and_b32 vcc_lo, exec_lo, s2
	s_cbranch_vccnz .LBB323_20
; %bb.2:
	s_load_b32 s2, s[0:1], 0xd3c
	v_min_i64 v[18:19], 0x10000, s[10:11]
	v_min_u64 v[20:21], 0x10000, s[10:11]
	v_dual_mov_b32 v1, 0 :: v_dual_lshlrev_b32 v22, 4, v0
	s_mov_b32 s3, 0
	s_delay_alu instid0(SALU_CYCLE_1) | instskip(NEXT) | instid1(VALU_DEP_1)
	s_mov_b32 s5, s3
	v_dual_mov_b32 v23, v1 :: v_dual_mov_b32 v31, v1
	s_mov_b32 s19, s3
	s_mov_b32 s15, s3
	;; [unrolled: 1-line block ×3, first 2 shown]
	s_wait_kmcnt 0x0
	s_and_b32 s2, s2, 0xffff
	s_delay_alu instid0(SALU_CYCLE_1)
	v_mad_nc_u64_u32 v[24:25], s2, 48, v[22:23]
	s_lshl_b32 s4, s2, 1
	s_mul_i32 s18, s2, 3
	s_lshl_b32 s14, s2, 2
	s_lshl_b32 s16, s2, 6
	v_add_nc_u64_e32 v[26:27], s[2:3], v[0:1]
	s_lshl_b32 s2, s2, 5
	v_add_nc_u64_e32 v[32:33], s[18:19], v[0:1]
	v_add_nc_u64_e32 v[28:29], s[2:3], v[22:23]
	;; [unrolled: 1-line block ×3, first 2 shown]
	s_mov_b64 s[18:19], 0
	s_delay_alu instid0(VALU_DEP_4) | instskip(NEXT) | instid1(VALU_DEP_3)
	v_dual_lshlrev_b32 v30, 4, v26 :: v_dual_bitop2_b32 v24, 8, v24 bitop3:0x54
	v_or_b32_e32 v28, 8, v28
	s_branch .LBB323_4
.LBB323_3:                              ;   in Loop: Header=BB323_4 Depth=1
	s_wait_xcnt 0x0
	s_or_b32 exec_lo, exec_lo, s2
	s_add_nc_u64 s[18:19], s[18:19], s[14:15]
	s_add_nc_u64 s[12:13], s[12:13], s[16:17]
	v_cmp_lt_i64_e32 vcc_lo, s[18:19], v[18:19]
	s_cbranch_vccz .LBB323_20
.LBB323_4:                              ; =>This Inner Loop Header: Depth=1
	s_wait_loadcnt 0x0
	v_add_nc_u64_e32 v[2:3], s[18:19], v[0:1]
	v_mov_b64_e32 v[4:5], 0
	v_add_nc_u64_e32 v[36:37], s[12:13], v[22:23]
	v_mov_b64_e32 v[8:9], 0
	v_mov_b64_e32 v[6:7], 0
	v_cmp_lt_u64_e32 vcc_lo, v[2:3], v[20:21]
	s_and_saveexec_b32 s2, vcc_lo
	s_cbranch_execz .LBB323_6
; %bb.5:                                ;   in Loop: Header=BB323_4 Depth=1
	global_load_b128 v[6:9], v[36:37], off
.LBB323_6:                              ;   in Loop: Header=BB323_4 Depth=1
	s_wait_xcnt 0x0
	s_or_b32 exec_lo, exec_lo, s2
	v_add_nc_u64_e32 v[2:3], s[18:19], v[26:27]
	v_add_nc_u64_e32 v[38:39], s[12:13], v[30:31]
	s_delay_alu instid0(VALU_DEP_2)
	v_cmp_lt_u64_e64 s2, v[2:3], v[20:21]
	v_mov_b64_e32 v[2:3], 0
	s_and_saveexec_b32 s3, s2
	s_cbranch_execz .LBB323_8
; %bb.7:                                ;   in Loop: Header=BB323_4 Depth=1
	global_load_b128 v[2:5], v[38:39], off
.LBB323_8:                              ;   in Loop: Header=BB323_4 Depth=1
	s_wait_xcnt 0x0
	s_or_b32 exec_lo, exec_lo, s3
	v_add_nc_u64_e32 v[10:11], s[18:19], v[34:35]
	v_mov_b64_e32 v[12:13], 0
	v_add_nc_u64_e32 v[40:41], s[12:13], v[28:29]
	v_mov_b64_e32 v[16:17], 0
	v_mov_b64_e32 v[14:15], 0
	v_cmp_lt_u64_e64 s3, v[10:11], v[20:21]
	s_and_saveexec_b32 s4, s3
	s_cbranch_execz .LBB323_10
; %bb.9:                                ;   in Loop: Header=BB323_4 Depth=1
	global_load_b128 v[14:17], v[40:41], off offset:-8
.LBB323_10:                             ;   in Loop: Header=BB323_4 Depth=1
	s_wait_xcnt 0x0
	s_or_b32 exec_lo, exec_lo, s4
	v_add_nc_u64_e32 v[10:11], s[18:19], v[32:33]
	v_add_nc_u64_e32 v[42:43], s[12:13], v[24:25]
	s_delay_alu instid0(VALU_DEP_2)
	v_cmp_lt_u64_e64 s4, v[10:11], v[20:21]
	v_mov_b64_e32 v[10:11], 0
	s_and_saveexec_b32 s5, s4
	s_cbranch_execnz .LBB323_15
; %bb.11:                               ;   in Loop: Header=BB323_4 Depth=1
	s_or_b32 exec_lo, exec_lo, s5
	s_and_saveexec_b32 s5, vcc_lo
	s_cbranch_execnz .LBB323_16
.LBB323_12:                             ;   in Loop: Header=BB323_4 Depth=1
	s_or_b32 exec_lo, exec_lo, s5
	s_and_saveexec_b32 s5, s2
	s_cbranch_execnz .LBB323_17
.LBB323_13:                             ;   in Loop: Header=BB323_4 Depth=1
	s_or_b32 exec_lo, exec_lo, s5
	s_and_saveexec_b32 s2, s3
	s_cbranch_execnz .LBB323_18
.LBB323_14:                             ;   in Loop: Header=BB323_4 Depth=1
	s_or_b32 exec_lo, exec_lo, s2
	s_and_saveexec_b32 s2, s4
	s_cbranch_execz .LBB323_3
	s_branch .LBB323_19
.LBB323_15:                             ;   in Loop: Header=BB323_4 Depth=1
	global_load_b128 v[10:13], v[42:43], off offset:-8
	s_wait_xcnt 0x0
	s_or_b32 exec_lo, exec_lo, s5
	s_and_saveexec_b32 s5, vcc_lo
	s_cbranch_execz .LBB323_12
.LBB323_16:                             ;   in Loop: Header=BB323_4 Depth=1
	s_wait_loadcnt 0x0
	v_xor_b32_e32 v7, 0x80000000, v7
	v_xor_b32_e32 v9, 0x80000000, v9
	global_store_b128 v[36:37], v[6:9], off
	s_wait_xcnt 0x0
	s_or_b32 exec_lo, exec_lo, s5
	s_and_saveexec_b32 s5, s2
	s_cbranch_execz .LBB323_13
.LBB323_17:                             ;   in Loop: Header=BB323_4 Depth=1
	s_wait_loadcnt 0x0
	v_xor_b32_e32 v3, 0x80000000, v3
	v_xor_b32_e32 v5, 0x80000000, v5
	global_store_b128 v[38:39], v[2:5], off
	s_wait_xcnt 0x0
	s_or_b32 exec_lo, exec_lo, s5
	s_and_saveexec_b32 s2, s3
	s_cbranch_execz .LBB323_14
.LBB323_18:                             ;   in Loop: Header=BB323_4 Depth=1
	s_wait_loadcnt 0x0
	v_xor_b32_e32 v15, 0x80000000, v15
	v_xor_b32_e32 v17, 0x80000000, v17
	global_store_b128 v[40:41], v[14:17], off offset:-8
	s_wait_xcnt 0x0
	s_or_b32 exec_lo, exec_lo, s2
	s_and_saveexec_b32 s2, s4
	s_cbranch_execz .LBB323_3
.LBB323_19:                             ;   in Loop: Header=BB323_4 Depth=1
	s_wait_loadcnt 0x0
	v_xor_b32_e32 v11, 0x80000000, v11
	v_xor_b32_e32 v13, 0x80000000, v13
	global_store_b128 v[42:43], v[10:13], off offset:-8
	s_branch .LBB323_3
.LBB323_20:
	s_cbranch_execz .LBB323_22
	s_branch .LBB323_25
.LBB323_21:
.LBB323_22:
	s_wait_loadcnt 0x0
	v_min_i64 v[2:3], 0x10000, s[10:11]
	v_dual_mov_b32 v5, 0 :: v_dual_lshlrev_b32 v4, 2, v0
	s_mov_b32 s2, exec_lo
	s_delay_alu instid0(VALU_DEP_1)
	v_cmpx_lt_i64_e64 v[4:5], v[2:3]
	s_cbranch_execz .LBB323_25
; %bb.23:
	s_load_b32 s2, s[0:1], 0xd3c
	v_dual_mov_b32 v1, v5 :: v_dual_lshlrev_b32 v4, 6, v0
	s_wait_xcnt 0x0
	s_add_nc_u64 s[0:1], s[6:7], s[8:9]
	s_delay_alu instid0(VALU_DEP_1) | instid1(SALU_CYCLE_1)
	v_add_nc_u64_e32 v[4:5], s[0:1], v[4:5]
	s_mov_b32 s1, 0
	s_delay_alu instid0(SALU_CYCLE_1) | instskip(SKIP_3) | instid1(SALU_CYCLE_1)
	s_mov_b32 s3, s1
	s_mov_b32 s4, s1
	s_wait_kmcnt 0x0
	s_and_b32 s0, s2, 0xffff
	s_lshl_b32 s2, s0, 6
.LBB323_24:                             ; =>This Inner Loop Header: Depth=1
	s_clause 0x3
	global_load_b128 v[6:9], v[4:5], off
	global_load_b128 v[10:13], v[4:5], off offset:16
	global_load_b128 v[14:17], v[4:5], off offset:32
	;; [unrolled: 1-line block ×3, first 2 shown]
	v_add_nc_u64_e32 v[0:1], s[0:1], v[0:1]
	s_delay_alu instid0(VALU_DEP_1) | instskip(NEXT) | instid1(VALU_DEP_1)
	v_lshlrev_b64_e32 v[22:23], 2, v[0:1]
	v_cmp_ge_i64_e32 vcc_lo, v[22:23], v[2:3]
	s_or_b32 s4, vcc_lo, s4
	s_wait_loadcnt 0x3
	v_xor_b32_e32 v7, 0x80000000, v7
	v_xor_b32_e32 v9, 0x80000000, v9
	s_wait_loadcnt 0x2
	v_xor_b32_e32 v11, 0x80000000, v11
	v_xor_b32_e32 v13, 0x80000000, v13
	s_wait_loadcnt 0x1
	v_xor_b32_e32 v15, 0x80000000, v15
	v_xor_b32_e32 v17, 0x80000000, v17
	s_wait_loadcnt 0x0
	v_xor_b32_e32 v19, 0x80000000, v19
	v_xor_b32_e32 v21, 0x80000000, v21
	s_clause 0x3
	global_store_b128 v[4:5], v[6:9], off
	global_store_b128 v[4:5], v[10:13], off offset:16
	global_store_b128 v[4:5], v[14:17], off offset:32
	global_store_b128 v[4:5], v[18:21], off offset:48
	s_wait_xcnt 0x0
	v_add_nc_u64_e32 v[4:5], s[2:3], v[4:5]
	s_and_not1_b32 exec_lo, exec_lo, s4
	s_cbranch_execnz .LBB323_24
.LBB323_25:
	s_endpgm
	.section	.rodata,"a",@progbits
	.p2align	6, 0x0
	.amdhsa_kernel _ZN2at6native12_GLOBAL__N_125multi_tensor_apply_kernelINS1_18TensorListMetadataILi1EEENS1_14UnaryOpFunctorIN3c107complexIdEELi1ELi1ELi0EEEJSt6negateIS8_EEEEvT_T0_DpT1_
		.amdhsa_group_segment_fixed_size 0
		.amdhsa_private_segment_fixed_size 0
		.amdhsa_kernarg_size 3632
		.amdhsa_user_sgpr_count 2
		.amdhsa_user_sgpr_dispatch_ptr 0
		.amdhsa_user_sgpr_queue_ptr 0
		.amdhsa_user_sgpr_kernarg_segment_ptr 1
		.amdhsa_user_sgpr_dispatch_id 0
		.amdhsa_user_sgpr_kernarg_preload_length 0
		.amdhsa_user_sgpr_kernarg_preload_offset 0
		.amdhsa_user_sgpr_private_segment_size 0
		.amdhsa_wavefront_size32 1
		.amdhsa_uses_dynamic_stack 0
		.amdhsa_enable_private_segment 0
		.amdhsa_system_sgpr_workgroup_id_x 1
		.amdhsa_system_sgpr_workgroup_id_y 0
		.amdhsa_system_sgpr_workgroup_id_z 0
		.amdhsa_system_sgpr_workgroup_info 0
		.amdhsa_system_vgpr_workitem_id 0
		.amdhsa_next_free_vgpr 44
		.amdhsa_next_free_sgpr 20
		.amdhsa_named_barrier_count 0
		.amdhsa_reserve_vcc 1
		.amdhsa_float_round_mode_32 0
		.amdhsa_float_round_mode_16_64 0
		.amdhsa_float_denorm_mode_32 3
		.amdhsa_float_denorm_mode_16_64 3
		.amdhsa_fp16_overflow 0
		.amdhsa_memory_ordered 1
		.amdhsa_forward_progress 1
		.amdhsa_inst_pref_size 9
		.amdhsa_round_robin_scheduling 0
		.amdhsa_exception_fp_ieee_invalid_op 0
		.amdhsa_exception_fp_denorm_src 0
		.amdhsa_exception_fp_ieee_div_zero 0
		.amdhsa_exception_fp_ieee_overflow 0
		.amdhsa_exception_fp_ieee_underflow 0
		.amdhsa_exception_fp_ieee_inexact 0
		.amdhsa_exception_int_div_zero 0
	.end_amdhsa_kernel
	.section	.text._ZN2at6native12_GLOBAL__N_125multi_tensor_apply_kernelINS1_18TensorListMetadataILi1EEENS1_14UnaryOpFunctorIN3c107complexIdEELi1ELi1ELi0EEEJSt6negateIS8_EEEEvT_T0_DpT1_,"axG",@progbits,_ZN2at6native12_GLOBAL__N_125multi_tensor_apply_kernelINS1_18TensorListMetadataILi1EEENS1_14UnaryOpFunctorIN3c107complexIdEELi1ELi1ELi0EEEJSt6negateIS8_EEEEvT_T0_DpT1_,comdat
.Lfunc_end323:
	.size	_ZN2at6native12_GLOBAL__N_125multi_tensor_apply_kernelINS1_18TensorListMetadataILi1EEENS1_14UnaryOpFunctorIN3c107complexIdEELi1ELi1ELi0EEEJSt6negateIS8_EEEEvT_T0_DpT1_, .Lfunc_end323-_ZN2at6native12_GLOBAL__N_125multi_tensor_apply_kernelINS1_18TensorListMetadataILi1EEENS1_14UnaryOpFunctorIN3c107complexIdEELi1ELi1ELi0EEEJSt6negateIS8_EEEEvT_T0_DpT1_
                                        ; -- End function
	.set _ZN2at6native12_GLOBAL__N_125multi_tensor_apply_kernelINS1_18TensorListMetadataILi1EEENS1_14UnaryOpFunctorIN3c107complexIdEELi1ELi1ELi0EEEJSt6negateIS8_EEEEvT_T0_DpT1_.num_vgpr, 44
	.set _ZN2at6native12_GLOBAL__N_125multi_tensor_apply_kernelINS1_18TensorListMetadataILi1EEENS1_14UnaryOpFunctorIN3c107complexIdEELi1ELi1ELi0EEEJSt6negateIS8_EEEEvT_T0_DpT1_.num_agpr, 0
	.set _ZN2at6native12_GLOBAL__N_125multi_tensor_apply_kernelINS1_18TensorListMetadataILi1EEENS1_14UnaryOpFunctorIN3c107complexIdEELi1ELi1ELi0EEEJSt6negateIS8_EEEEvT_T0_DpT1_.numbered_sgpr, 20
	.set _ZN2at6native12_GLOBAL__N_125multi_tensor_apply_kernelINS1_18TensorListMetadataILi1EEENS1_14UnaryOpFunctorIN3c107complexIdEELi1ELi1ELi0EEEJSt6negateIS8_EEEEvT_T0_DpT1_.num_named_barrier, 0
	.set _ZN2at6native12_GLOBAL__N_125multi_tensor_apply_kernelINS1_18TensorListMetadataILi1EEENS1_14UnaryOpFunctorIN3c107complexIdEELi1ELi1ELi0EEEJSt6negateIS8_EEEEvT_T0_DpT1_.private_seg_size, 0
	.set _ZN2at6native12_GLOBAL__N_125multi_tensor_apply_kernelINS1_18TensorListMetadataILi1EEENS1_14UnaryOpFunctorIN3c107complexIdEELi1ELi1ELi0EEEJSt6negateIS8_EEEEvT_T0_DpT1_.uses_vcc, 1
	.set _ZN2at6native12_GLOBAL__N_125multi_tensor_apply_kernelINS1_18TensorListMetadataILi1EEENS1_14UnaryOpFunctorIN3c107complexIdEELi1ELi1ELi0EEEJSt6negateIS8_EEEEvT_T0_DpT1_.uses_flat_scratch, 0
	.set _ZN2at6native12_GLOBAL__N_125multi_tensor_apply_kernelINS1_18TensorListMetadataILi1EEENS1_14UnaryOpFunctorIN3c107complexIdEELi1ELi1ELi0EEEJSt6negateIS8_EEEEvT_T0_DpT1_.has_dyn_sized_stack, 0
	.set _ZN2at6native12_GLOBAL__N_125multi_tensor_apply_kernelINS1_18TensorListMetadataILi1EEENS1_14UnaryOpFunctorIN3c107complexIdEELi1ELi1ELi0EEEJSt6negateIS8_EEEEvT_T0_DpT1_.has_recursion, 0
	.set _ZN2at6native12_GLOBAL__N_125multi_tensor_apply_kernelINS1_18TensorListMetadataILi1EEENS1_14UnaryOpFunctorIN3c107complexIdEELi1ELi1ELi0EEEJSt6negateIS8_EEEEvT_T0_DpT1_.has_indirect_call, 0
	.section	.AMDGPU.csdata,"",@progbits
; Kernel info:
; codeLenInByte = 1152
; TotalNumSgprs: 22
; NumVgprs: 44
; ScratchSize: 0
; MemoryBound: 1
; FloatMode: 240
; IeeeMode: 1
; LDSByteSize: 0 bytes/workgroup (compile time only)
; SGPRBlocks: 0
; VGPRBlocks: 2
; NumSGPRsForWavesPerEU: 22
; NumVGPRsForWavesPerEU: 44
; NamedBarCnt: 0
; Occupancy: 16
; WaveLimiterHint : 0
; COMPUTE_PGM_RSRC2:SCRATCH_EN: 0
; COMPUTE_PGM_RSRC2:USER_SGPR: 2
; COMPUTE_PGM_RSRC2:TRAP_HANDLER: 0
; COMPUTE_PGM_RSRC2:TGID_X_EN: 1
; COMPUTE_PGM_RSRC2:TGID_Y_EN: 0
; COMPUTE_PGM_RSRC2:TGID_Z_EN: 0
; COMPUTE_PGM_RSRC2:TIDIG_COMP_CNT: 0
	.section	.text._ZN2at6native12_GLOBAL__N_125multi_tensor_apply_kernelINS1_18TensorListMetadataILi1EEENS1_14UnaryOpFunctorIN3c107complexIfEELi1ELi1ELi0EEEJSt6negateIS8_EEEEvT_T0_DpT1_,"axG",@progbits,_ZN2at6native12_GLOBAL__N_125multi_tensor_apply_kernelINS1_18TensorListMetadataILi1EEENS1_14UnaryOpFunctorIN3c107complexIfEELi1ELi1ELi0EEEJSt6negateIS8_EEEEvT_T0_DpT1_,comdat
	.globl	_ZN2at6native12_GLOBAL__N_125multi_tensor_apply_kernelINS1_18TensorListMetadataILi1EEENS1_14UnaryOpFunctorIN3c107complexIfEELi1ELi1ELi0EEEJSt6negateIS8_EEEEvT_T0_DpT1_ ; -- Begin function _ZN2at6native12_GLOBAL__N_125multi_tensor_apply_kernelINS1_18TensorListMetadataILi1EEENS1_14UnaryOpFunctorIN3c107complexIfEELi1ELi1ELi0EEEJSt6negateIS8_EEEEvT_T0_DpT1_
	.p2align	8
	.type	_ZN2at6native12_GLOBAL__N_125multi_tensor_apply_kernelINS1_18TensorListMetadataILi1EEENS1_14UnaryOpFunctorIN3c107complexIfEELi1ELi1ELi0EEEJSt6negateIS8_EEEEvT_T0_DpT1_,@function
_ZN2at6native12_GLOBAL__N_125multi_tensor_apply_kernelINS1_18TensorListMetadataILi1EEENS1_14UnaryOpFunctorIN3c107complexIfEELi1ELi1ELi0EEEJSt6negateIS8_EEEEvT_T0_DpT1_: ; @_ZN2at6native12_GLOBAL__N_125multi_tensor_apply_kernelINS1_18TensorListMetadataILi1EEENS1_14UnaryOpFunctorIN3c107complexIfEELi1ELi1ELi0EEEJSt6negateIS8_EEEEvT_T0_DpT1_
; %bb.0:
	s_bfe_u32 s2, ttmp6, 0x4000c
	s_and_b32 s3, ttmp6, 15
	s_add_co_i32 s2, s2, 1
	s_getreg_b32 s4, hwreg(HW_REG_IB_STS2, 6, 4)
	s_mul_i32 s2, ttmp9, s2
	s_delay_alu instid0(SALU_CYCLE_1)
	s_add_co_i32 s3, s3, s2
	s_cmp_eq_u32 s4, 0
	s_cselect_b32 s2, ttmp9, s3
	s_mov_b32 s3, 0
	s_load_u8 s8, s[0:1], s2 offset:0x6e0
	s_add_nc_u64 s[4:5], s[0:1], s[2:3]
	s_mul_u64 s[6:7], s[2:3], 3
	s_delay_alu instid0(SALU_CYCLE_1)
	s_add_nc_u64 s[4:5], s[4:5], s[6:7]
	s_load_b32 s10, s[4:5], 0x820
	s_wait_kmcnt 0x0
	s_clause 0x1
	s_load_b64 s[6:7], s[0:1], s8 offset:0x0 scale_offset
	s_load_b64 s[12:13], s[0:1], s8 offset:0x370 scale_offset
	s_ashr_i32 s11, s10, 31
	s_wait_kmcnt 0x0
	s_and_b64 s[4:5], s[6:7], 31
	s_and_b32 s2, s12, 3
	s_lshl_b64 s[8:9], s[10:11], 19
	s_or_b64 s[2:3], s[4:5], s[2:3]
	s_lshl_b64 s[4:5], s[10:11], 16
	s_cmp_eq_u64 s[2:3], 0
	s_sub_nc_u64 s[10:11], s[12:13], s[4:5]
	s_cbranch_scc1 .LBB324_21
; %bb.1:
	v_cmp_lt_i64_e64 s2, s[10:11], 1
	s_and_b32 vcc_lo, exec_lo, s2
	s_cbranch_vccnz .LBB324_20
; %bb.2:
	s_load_b32 s4, s[0:1], 0xd3c
	v_min_i64 v[2:3], 0x10000, s[10:11]
	v_min_u64 v[4:5], 0x10000, s[10:11]
	v_dual_mov_b32 v1, 0 :: v_dual_lshlrev_b32 v8, 3, v0
	s_mov_b32 s19, 0
	s_add_nc_u64 s[2:3], s[6:7], s[8:9]
	s_mov_b32 s5, s19
	s_delay_alu instid0(VALU_DEP_1)
	v_mov_b32_e32 v15, v1
	s_mov_b32 s17, s19
	s_mov_b32 s13, s19
	s_mov_b32 s15, s19
	s_mov_b64 s[20:21], 0
	s_wait_kmcnt 0x0
	s_and_b32 s18, s4, 0xffff
	s_delay_alu instid0(SALU_CYCLE_1)
	v_add_nc_u64_e32 v[6:7], s[18:19], v[0:1]
	v_mov_b32_e32 v9, v1
	s_lshl_b32 s4, s18, 1
	s_mul_i32 s16, s18, 3
	v_add_nc_u64_e32 v[12:13], s[4:5], v[0:1]
	v_add_nc_u64_e32 v[10:11], s[16:17], v[0:1]
	s_lshl_b32 s12, s18, 2
	v_lshlrev_b32_e32 v14, 3, v6
	v_add_nc_u64_e32 v[8:9], s[2:3], v[8:9]
	s_lshl_b32 s14, s18, 5
	s_mul_u64 s[16:17], s[18:19], 24
	s_lshl_b32 s18, s18, 4
	v_add_nc_u64_e32 v[14:15], s[2:3], v[14:15]
	s_branch .LBB324_4
.LBB324_3:                              ;   in Loop: Header=BB324_4 Depth=1
	s_wait_xcnt 0x0
	s_or_b32 exec_lo, exec_lo, s2
	s_add_nc_u64 s[20:21], s[20:21], s[12:13]
	v_add_nc_u64_e32 v[8:9], s[14:15], v[8:9]
	v_cmp_lt_i64_e32 vcc_lo, s[20:21], v[2:3]
	v_add_nc_u64_e32 v[14:15], s[14:15], v[14:15]
	s_cbranch_vccz .LBB324_20
.LBB324_4:                              ; =>This Inner Loop Header: Depth=1
	s_wait_loadcnt 0x0
	v_add_nc_u64_e32 v[16:17], s[20:21], v[0:1]
	v_dual_mov_b32 v18, 0 :: v_dual_mov_b32 v19, 0
	s_delay_alu instid0(VALU_DEP_2)
	v_cmp_lt_u64_e32 vcc_lo, v[16:17], v[4:5]
	s_and_saveexec_b32 s2, vcc_lo
	s_cbranch_execz .LBB324_6
; %bb.5:                                ;   in Loop: Header=BB324_4 Depth=1
	global_load_b64 v[18:19], v[8:9], off
.LBB324_6:                              ;   in Loop: Header=BB324_4 Depth=1
	s_wait_xcnt 0x0
	s_or_b32 exec_lo, exec_lo, s2
	v_add_nc_u64_e32 v[16:17], s[20:21], v[6:7]
	v_dual_mov_b32 v21, 0 :: v_dual_mov_b32 v20, 0
	s_delay_alu instid0(VALU_DEP_2)
	v_cmp_lt_u64_e64 s2, v[16:17], v[4:5]
	v_mov_b32_e32 v16, 0
	s_and_saveexec_b32 s3, s2
	s_cbranch_execz .LBB324_8
; %bb.7:                                ;   in Loop: Header=BB324_4 Depth=1
	global_load_b64 v[20:21], v[14:15], off
.LBB324_8:                              ;   in Loop: Header=BB324_4 Depth=1
	s_wait_xcnt 0x0
	s_or_b32 exec_lo, exec_lo, s3
	v_add_nc_u64_e32 v[22:23], s[20:21], v[12:13]
	v_mov_b32_e32 v17, 0
	s_delay_alu instid0(VALU_DEP_2)
	v_cmp_lt_u64_e64 s3, v[22:23], v[4:5]
	v_add_nc_u64_e32 v[22:23], s[18:19], v[8:9]
	s_and_saveexec_b32 s4, s3
	s_cbranch_execz .LBB324_10
; %bb.9:                                ;   in Loop: Header=BB324_4 Depth=1
	global_load_b64 v[16:17], v[22:23], off
.LBB324_10:                             ;   in Loop: Header=BB324_4 Depth=1
	s_wait_xcnt 0x0
	s_or_b32 exec_lo, exec_lo, s4
	v_add_nc_u64_e32 v[24:25], s[20:21], v[10:11]
	v_dual_mov_b32 v26, 0 :: v_dual_mov_b32 v27, 0
	s_delay_alu instid0(VALU_DEP_2)
	v_cmp_lt_u64_e64 s4, v[24:25], v[4:5]
	v_add_nc_u64_e32 v[24:25], s[16:17], v[8:9]
	s_and_saveexec_b32 s5, s4
	s_cbranch_execnz .LBB324_15
; %bb.11:                               ;   in Loop: Header=BB324_4 Depth=1
	s_or_b32 exec_lo, exec_lo, s5
	s_and_saveexec_b32 s5, vcc_lo
	s_cbranch_execnz .LBB324_16
.LBB324_12:                             ;   in Loop: Header=BB324_4 Depth=1
	s_or_b32 exec_lo, exec_lo, s5
	s_and_saveexec_b32 s5, s2
	s_cbranch_execnz .LBB324_17
.LBB324_13:                             ;   in Loop: Header=BB324_4 Depth=1
	s_or_b32 exec_lo, exec_lo, s5
	s_and_saveexec_b32 s2, s3
	s_cbranch_execnz .LBB324_18
.LBB324_14:                             ;   in Loop: Header=BB324_4 Depth=1
	s_or_b32 exec_lo, exec_lo, s2
	s_and_saveexec_b32 s2, s4
	s_cbranch_execz .LBB324_3
	s_branch .LBB324_19
.LBB324_15:                             ;   in Loop: Header=BB324_4 Depth=1
	global_load_b64 v[26:27], v[24:25], off
	s_wait_xcnt 0x0
	s_or_b32 exec_lo, exec_lo, s5
	s_and_saveexec_b32 s5, vcc_lo
	s_cbranch_execz .LBB324_12
.LBB324_16:                             ;   in Loop: Header=BB324_4 Depth=1
	s_wait_loadcnt 0x0
	v_pk_add_f32 v[18:19], v[18:19], 0 neg_lo:[1,1] neg_hi:[1,1]
	global_store_b64 v[8:9], v[18:19], off
	s_wait_xcnt 0x0
	s_or_b32 exec_lo, exec_lo, s5
	s_and_saveexec_b32 s5, s2
	s_cbranch_execz .LBB324_13
.LBB324_17:                             ;   in Loop: Header=BB324_4 Depth=1
	s_wait_loadcnt 0x0
	v_pk_add_f32 v[18:19], v[20:21], 0 neg_lo:[1,1] neg_hi:[1,1]
	global_store_b64 v[14:15], v[18:19], off
	s_wait_xcnt 0x0
	s_or_b32 exec_lo, exec_lo, s5
	s_and_saveexec_b32 s2, s3
	s_cbranch_execz .LBB324_14
.LBB324_18:                             ;   in Loop: Header=BB324_4 Depth=1
	s_wait_loadcnt 0x0
	v_pk_add_f32 v[16:17], v[16:17], 0 neg_lo:[1,1] neg_hi:[1,1]
	global_store_b64 v[22:23], v[16:17], off
	s_wait_xcnt 0x0
	s_or_b32 exec_lo, exec_lo, s2
	s_and_saveexec_b32 s2, s4
	s_cbranch_execz .LBB324_3
.LBB324_19:                             ;   in Loop: Header=BB324_4 Depth=1
	s_wait_loadcnt 0x0
	v_pk_add_f32 v[16:17], v[26:27], 0 neg_lo:[1,1] neg_hi:[1,1]
	global_store_b64 v[24:25], v[16:17], off
	s_branch .LBB324_3
.LBB324_20:
	s_cbranch_execz .LBB324_22
	s_branch .LBB324_25
.LBB324_21:
.LBB324_22:
	v_min_i64 v[2:3], 0x10000, s[10:11]
	v_dual_mov_b32 v5, 0 :: v_dual_lshlrev_b32 v4, 2, v0
	s_mov_b32 s2, exec_lo
	s_delay_alu instid0(VALU_DEP_1)
	v_cmpx_lt_i64_e64 v[4:5], v[2:3]
	s_cbranch_execz .LBB324_25
; %bb.23:
	s_load_b32 s2, s[0:1], 0xd3c
	v_dual_mov_b32 v1, v5 :: v_dual_lshlrev_b32 v4, 5, v0
	s_wait_xcnt 0x0
	s_add_nc_u64 s[0:1], s[6:7], s[8:9]
	s_delay_alu instid0(VALU_DEP_1) | instid1(SALU_CYCLE_1)
	v_add_nc_u64_e32 v[6:7], s[0:1], v[4:5]
	s_mov_b32 s1, 0
	s_delay_alu instid0(SALU_CYCLE_1) | instskip(SKIP_1) | instid1(VALU_DEP_1)
	s_mov_b32 s3, s1
	s_mov_b32 s4, s1
	v_add_nc_u64_e32 v[4:5], 16, v[6:7]
	s_wait_kmcnt 0x0
	s_and_b32 s0, s2, 0xffff
	s_delay_alu instid0(SALU_CYCLE_1)
	s_lshl_b32 s2, s0, 5
.LBB324_24:                             ; =>This Inner Loop Header: Depth=1
	s_clause 0x1
	global_load_b128 v[6:9], v[4:5], off offset:-16
	global_load_b128 v[10:13], v[4:5], off
	v_add_nc_u64_e32 v[0:1], s[0:1], v[0:1]
	s_delay_alu instid0(VALU_DEP_1) | instskip(NEXT) | instid1(VALU_DEP_1)
	v_lshlrev_b64_e32 v[14:15], 2, v[0:1]
	v_cmp_ge_i64_e32 vcc_lo, v[14:15], v[2:3]
	s_or_b32 s4, vcc_lo, s4
	s_wait_loadcnt 0x1
	v_xor_b32_e32 v7, 0x80000000, v7
	v_xor_b32_e32 v6, 0x80000000, v6
	;; [unrolled: 1-line block ×4, first 2 shown]
	s_wait_loadcnt 0x0
	v_xor_b32_e32 v11, 0x80000000, v11
	v_xor_b32_e32 v10, 0x80000000, v10
	;; [unrolled: 1-line block ×4, first 2 shown]
	s_clause 0x1
	global_store_b128 v[4:5], v[6:9], off offset:-16
	global_store_b128 v[4:5], v[10:13], off
	s_wait_xcnt 0x0
	v_add_nc_u64_e32 v[4:5], s[2:3], v[4:5]
	s_and_not1_b32 exec_lo, exec_lo, s4
	s_cbranch_execnz .LBB324_24
.LBB324_25:
	s_endpgm
	.section	.rodata,"a",@progbits
	.p2align	6, 0x0
	.amdhsa_kernel _ZN2at6native12_GLOBAL__N_125multi_tensor_apply_kernelINS1_18TensorListMetadataILi1EEENS1_14UnaryOpFunctorIN3c107complexIfEELi1ELi1ELi0EEEJSt6negateIS8_EEEEvT_T0_DpT1_
		.amdhsa_group_segment_fixed_size 0
		.amdhsa_private_segment_fixed_size 0
		.amdhsa_kernarg_size 3632
		.amdhsa_user_sgpr_count 2
		.amdhsa_user_sgpr_dispatch_ptr 0
		.amdhsa_user_sgpr_queue_ptr 0
		.amdhsa_user_sgpr_kernarg_segment_ptr 1
		.amdhsa_user_sgpr_dispatch_id 0
		.amdhsa_user_sgpr_kernarg_preload_length 0
		.amdhsa_user_sgpr_kernarg_preload_offset 0
		.amdhsa_user_sgpr_private_segment_size 0
		.amdhsa_wavefront_size32 1
		.amdhsa_uses_dynamic_stack 0
		.amdhsa_enable_private_segment 0
		.amdhsa_system_sgpr_workgroup_id_x 1
		.amdhsa_system_sgpr_workgroup_id_y 0
		.amdhsa_system_sgpr_workgroup_id_z 0
		.amdhsa_system_sgpr_workgroup_info 0
		.amdhsa_system_vgpr_workitem_id 0
		.amdhsa_next_free_vgpr 28
		.amdhsa_next_free_sgpr 22
		.amdhsa_named_barrier_count 0
		.amdhsa_reserve_vcc 1
		.amdhsa_float_round_mode_32 0
		.amdhsa_float_round_mode_16_64 0
		.amdhsa_float_denorm_mode_32 3
		.amdhsa_float_denorm_mode_16_64 3
		.amdhsa_fp16_overflow 0
		.amdhsa_memory_ordered 1
		.amdhsa_forward_progress 1
		.amdhsa_inst_pref_size 9
		.amdhsa_round_robin_scheduling 0
		.amdhsa_exception_fp_ieee_invalid_op 0
		.amdhsa_exception_fp_denorm_src 0
		.amdhsa_exception_fp_ieee_div_zero 0
		.amdhsa_exception_fp_ieee_overflow 0
		.amdhsa_exception_fp_ieee_underflow 0
		.amdhsa_exception_fp_ieee_inexact 0
		.amdhsa_exception_int_div_zero 0
	.end_amdhsa_kernel
	.section	.text._ZN2at6native12_GLOBAL__N_125multi_tensor_apply_kernelINS1_18TensorListMetadataILi1EEENS1_14UnaryOpFunctorIN3c107complexIfEELi1ELi1ELi0EEEJSt6negateIS8_EEEEvT_T0_DpT1_,"axG",@progbits,_ZN2at6native12_GLOBAL__N_125multi_tensor_apply_kernelINS1_18TensorListMetadataILi1EEENS1_14UnaryOpFunctorIN3c107complexIfEELi1ELi1ELi0EEEJSt6negateIS8_EEEEvT_T0_DpT1_,comdat
.Lfunc_end324:
	.size	_ZN2at6native12_GLOBAL__N_125multi_tensor_apply_kernelINS1_18TensorListMetadataILi1EEENS1_14UnaryOpFunctorIN3c107complexIfEELi1ELi1ELi0EEEJSt6negateIS8_EEEEvT_T0_DpT1_, .Lfunc_end324-_ZN2at6native12_GLOBAL__N_125multi_tensor_apply_kernelINS1_18TensorListMetadataILi1EEENS1_14UnaryOpFunctorIN3c107complexIfEELi1ELi1ELi0EEEJSt6negateIS8_EEEEvT_T0_DpT1_
                                        ; -- End function
	.set _ZN2at6native12_GLOBAL__N_125multi_tensor_apply_kernelINS1_18TensorListMetadataILi1EEENS1_14UnaryOpFunctorIN3c107complexIfEELi1ELi1ELi0EEEJSt6negateIS8_EEEEvT_T0_DpT1_.num_vgpr, 28
	.set _ZN2at6native12_GLOBAL__N_125multi_tensor_apply_kernelINS1_18TensorListMetadataILi1EEENS1_14UnaryOpFunctorIN3c107complexIfEELi1ELi1ELi0EEEJSt6negateIS8_EEEEvT_T0_DpT1_.num_agpr, 0
	.set _ZN2at6native12_GLOBAL__N_125multi_tensor_apply_kernelINS1_18TensorListMetadataILi1EEENS1_14UnaryOpFunctorIN3c107complexIfEELi1ELi1ELi0EEEJSt6negateIS8_EEEEvT_T0_DpT1_.numbered_sgpr, 22
	.set _ZN2at6native12_GLOBAL__N_125multi_tensor_apply_kernelINS1_18TensorListMetadataILi1EEENS1_14UnaryOpFunctorIN3c107complexIfEELi1ELi1ELi0EEEJSt6negateIS8_EEEEvT_T0_DpT1_.num_named_barrier, 0
	.set _ZN2at6native12_GLOBAL__N_125multi_tensor_apply_kernelINS1_18TensorListMetadataILi1EEENS1_14UnaryOpFunctorIN3c107complexIfEELi1ELi1ELi0EEEJSt6negateIS8_EEEEvT_T0_DpT1_.private_seg_size, 0
	.set _ZN2at6native12_GLOBAL__N_125multi_tensor_apply_kernelINS1_18TensorListMetadataILi1EEENS1_14UnaryOpFunctorIN3c107complexIfEELi1ELi1ELi0EEEJSt6negateIS8_EEEEvT_T0_DpT1_.uses_vcc, 1
	.set _ZN2at6native12_GLOBAL__N_125multi_tensor_apply_kernelINS1_18TensorListMetadataILi1EEENS1_14UnaryOpFunctorIN3c107complexIfEELi1ELi1ELi0EEEJSt6negateIS8_EEEEvT_T0_DpT1_.uses_flat_scratch, 0
	.set _ZN2at6native12_GLOBAL__N_125multi_tensor_apply_kernelINS1_18TensorListMetadataILi1EEENS1_14UnaryOpFunctorIN3c107complexIfEELi1ELi1ELi0EEEJSt6negateIS8_EEEEvT_T0_DpT1_.has_dyn_sized_stack, 0
	.set _ZN2at6native12_GLOBAL__N_125multi_tensor_apply_kernelINS1_18TensorListMetadataILi1EEENS1_14UnaryOpFunctorIN3c107complexIfEELi1ELi1ELi0EEEJSt6negateIS8_EEEEvT_T0_DpT1_.has_recursion, 0
	.set _ZN2at6native12_GLOBAL__N_125multi_tensor_apply_kernelINS1_18TensorListMetadataILi1EEENS1_14UnaryOpFunctorIN3c107complexIfEELi1ELi1ELi0EEEJSt6negateIS8_EEEEvT_T0_DpT1_.has_indirect_call, 0
	.section	.AMDGPU.csdata,"",@progbits
; Kernel info:
; codeLenInByte = 1044
; TotalNumSgprs: 24
; NumVgprs: 28
; ScratchSize: 0
; MemoryBound: 0
; FloatMode: 240
; IeeeMode: 1
; LDSByteSize: 0 bytes/workgroup (compile time only)
; SGPRBlocks: 0
; VGPRBlocks: 1
; NumSGPRsForWavesPerEU: 24
; NumVGPRsForWavesPerEU: 28
; NamedBarCnt: 0
; Occupancy: 16
; WaveLimiterHint : 0
; COMPUTE_PGM_RSRC2:SCRATCH_EN: 0
; COMPUTE_PGM_RSRC2:USER_SGPR: 2
; COMPUTE_PGM_RSRC2:TRAP_HANDLER: 0
; COMPUTE_PGM_RSRC2:TGID_X_EN: 1
; COMPUTE_PGM_RSRC2:TGID_Y_EN: 0
; COMPUTE_PGM_RSRC2:TGID_Z_EN: 0
; COMPUTE_PGM_RSRC2:TIDIG_COMP_CNT: 0
	.section	.text._ZN2at6native12_GLOBAL__N_125multi_tensor_apply_kernelINS1_18TensorListMetadataILi1EEENS1_14UnaryOpFunctorIN3c104HalfELi1ELi1ELi0EEEJSt6negateIfEEEEvT_T0_DpT1_,"axG",@progbits,_ZN2at6native12_GLOBAL__N_125multi_tensor_apply_kernelINS1_18TensorListMetadataILi1EEENS1_14UnaryOpFunctorIN3c104HalfELi1ELi1ELi0EEEJSt6negateIfEEEEvT_T0_DpT1_,comdat
	.globl	_ZN2at6native12_GLOBAL__N_125multi_tensor_apply_kernelINS1_18TensorListMetadataILi1EEENS1_14UnaryOpFunctorIN3c104HalfELi1ELi1ELi0EEEJSt6negateIfEEEEvT_T0_DpT1_ ; -- Begin function _ZN2at6native12_GLOBAL__N_125multi_tensor_apply_kernelINS1_18TensorListMetadataILi1EEENS1_14UnaryOpFunctorIN3c104HalfELi1ELi1ELi0EEEJSt6negateIfEEEEvT_T0_DpT1_
	.p2align	8
	.type	_ZN2at6native12_GLOBAL__N_125multi_tensor_apply_kernelINS1_18TensorListMetadataILi1EEENS1_14UnaryOpFunctorIN3c104HalfELi1ELi1ELi0EEEJSt6negateIfEEEEvT_T0_DpT1_,@function
_ZN2at6native12_GLOBAL__N_125multi_tensor_apply_kernelINS1_18TensorListMetadataILi1EEENS1_14UnaryOpFunctorIN3c104HalfELi1ELi1ELi0EEEJSt6negateIfEEEEvT_T0_DpT1_: ; @_ZN2at6native12_GLOBAL__N_125multi_tensor_apply_kernelINS1_18TensorListMetadataILi1EEENS1_14UnaryOpFunctorIN3c104HalfELi1ELi1ELi0EEEJSt6negateIfEEEEvT_T0_DpT1_
; %bb.0:
	s_bfe_u32 s2, ttmp6, 0x4000c
	s_and_b32 s3, ttmp6, 15
	s_add_co_i32 s2, s2, 1
	s_getreg_b32 s4, hwreg(HW_REG_IB_STS2, 6, 4)
	s_mul_i32 s2, ttmp9, s2
	s_delay_alu instid0(SALU_CYCLE_1)
	s_add_co_i32 s3, s3, s2
	s_cmp_eq_u32 s4, 0
	s_cselect_b32 s2, ttmp9, s3
	s_mov_b32 s3, 0
	s_load_u8 s8, s[0:1], s2 offset:0x6e0
	s_add_nc_u64 s[4:5], s[0:1], s[2:3]
	s_mul_u64 s[6:7], s[2:3], 3
	s_delay_alu instid0(SALU_CYCLE_1)
	s_add_nc_u64 s[4:5], s[4:5], s[6:7]
	s_load_b32 s10, s[4:5], 0x820
	s_wait_kmcnt 0x0
	s_clause 0x1
	s_load_b64 s[6:7], s[0:1], s8 offset:0x0 scale_offset
	s_load_b64 s[12:13], s[0:1], s8 offset:0x370 scale_offset
	s_ashr_i32 s11, s10, 31
	s_wait_kmcnt 0x0
	s_and_b64 s[4:5], s[6:7], 7
	s_and_b32 s2, s12, 3
	s_lshl_b64 s[8:9], s[10:11], 17
	s_or_b64 s[2:3], s[4:5], s[2:3]
	s_lshl_b64 s[4:5], s[10:11], 16
	s_cmp_eq_u64 s[2:3], 0
	s_sub_nc_u64 s[10:11], s[12:13], s[4:5]
	s_cbranch_scc1 .LBB325_21
; %bb.1:
	v_cmp_lt_i64_e64 s2, s[10:11], 1
	s_and_b32 vcc_lo, exec_lo, s2
	s_cbranch_vccnz .LBB325_20
; %bb.2:
	s_load_b32 s2, s[0:1], 0xd3c
	v_min_i64 v[2:3], 0x10000, s[10:11]
	v_min_u64 v[4:5], 0x10000, s[10:11]
	v_dual_mov_b32 v1, 0 :: v_dual_lshlrev_b32 v8, 1, v0
	s_mov_b32 s3, 0
	s_add_nc_u64 s[4:5], s[6:7], s[8:9]
	s_mov_b32 s15, s3
	s_delay_alu instid0(VALU_DEP_1)
	v_mov_b32_e32 v15, v1
	s_mov_b32 s17, s3
	s_mov_b32 s13, s3
	s_mov_b64 s[18:19], 0
	s_wait_kmcnt 0x0
	s_and_b32 s2, s2, 0xffff
	s_delay_alu instid0(SALU_CYCLE_1)
	v_add_nc_u64_e32 v[6:7], s[2:3], v[0:1]
	v_mov_b32_e32 v9, v1
	s_lshl_b32 s14, s2, 1
	s_mul_i32 s16, s2, 3
	v_add_nc_u64_e32 v[12:13], s[14:15], v[0:1]
	v_add_nc_u64_e32 v[10:11], s[16:17], v[0:1]
	s_lshl_b32 s12, s2, 2
	v_lshlrev_b32_e32 v14, 1, v6
	v_add_nc_u64_e32 v[8:9], s[4:5], v[8:9]
	s_lshl_b32 s14, s2, 3
	s_mul_u64 s[16:17], s[2:3], 6
	s_delay_alu instid0(VALU_DEP_2)
	v_add_nc_u64_e32 v[14:15], s[4:5], v[14:15]
	s_branch .LBB325_4
.LBB325_3:                              ;   in Loop: Header=BB325_4 Depth=1
	s_wait_xcnt 0x0
	s_or_b32 exec_lo, exec_lo, s2
	s_add_nc_u64 s[18:19], s[18:19], s[12:13]
	v_add_nc_u64_e32 v[8:9], s[14:15], v[8:9]
	v_cmp_lt_i64_e32 vcc_lo, s[18:19], v[2:3]
	v_add_nc_u64_e32 v[14:15], s[14:15], v[14:15]
	s_cbranch_vccz .LBB325_20
.LBB325_4:                              ; =>This Inner Loop Header: Depth=1
	v_add_nc_u64_e32 v[16:17], s[18:19], v[0:1]
	s_wait_loadcnt 0x0
	v_mov_b32_e32 v21, 0
	s_delay_alu instid0(VALU_DEP_2)
	v_cmp_lt_u64_e32 vcc_lo, v[16:17], v[4:5]
	s_and_saveexec_b32 s2, vcc_lo
	s_cbranch_execz .LBB325_6
; %bb.5:                                ;   in Loop: Header=BB325_4 Depth=1
	global_load_u16 v21, v[8:9], off
.LBB325_6:                              ;   in Loop: Header=BB325_4 Depth=1
	s_wait_xcnt 0x0
	s_or_b32 exec_lo, exec_lo, s2
	v_add_nc_u64_e32 v[16:17], s[18:19], v[6:7]
	v_dual_mov_b32 v20, 0 :: v_dual_mov_b32 v22, 0
	s_delay_alu instid0(VALU_DEP_2)
	v_cmp_lt_u64_e64 s2, v[16:17], v[4:5]
	s_and_saveexec_b32 s3, s2
	s_cbranch_execz .LBB325_8
; %bb.7:                                ;   in Loop: Header=BB325_4 Depth=1
	global_load_u16 v22, v[14:15], off
.LBB325_8:                              ;   in Loop: Header=BB325_4 Depth=1
	s_wait_xcnt 0x0
	s_or_b32 exec_lo, exec_lo, s3
	v_add_nc_u64_e32 v[16:17], s[18:19], v[12:13]
	s_delay_alu instid0(VALU_DEP_1)
	v_cmp_lt_u64_e64 s3, v[16:17], v[4:5]
	v_add_nc_u64_e32 v[16:17], s[12:13], v[8:9]
	s_and_saveexec_b32 s4, s3
	s_cbranch_execz .LBB325_10
; %bb.9:                                ;   in Loop: Header=BB325_4 Depth=1
	global_load_u16 v20, v[16:17], off
.LBB325_10:                             ;   in Loop: Header=BB325_4 Depth=1
	s_wait_xcnt 0x0
	s_or_b32 exec_lo, exec_lo, s4
	v_add_nc_u64_e32 v[18:19], s[18:19], v[10:11]
	v_mov_b32_e32 v23, 0
	s_delay_alu instid0(VALU_DEP_2)
	v_cmp_lt_u64_e64 s4, v[18:19], v[4:5]
	v_add_nc_u64_e32 v[18:19], s[16:17], v[8:9]
	s_and_saveexec_b32 s5, s4
	s_cbranch_execnz .LBB325_15
; %bb.11:                               ;   in Loop: Header=BB325_4 Depth=1
	s_or_b32 exec_lo, exec_lo, s5
	s_and_saveexec_b32 s5, vcc_lo
	s_cbranch_execnz .LBB325_16
.LBB325_12:                             ;   in Loop: Header=BB325_4 Depth=1
	s_or_b32 exec_lo, exec_lo, s5
	s_and_saveexec_b32 s5, s2
	s_cbranch_execnz .LBB325_17
.LBB325_13:                             ;   in Loop: Header=BB325_4 Depth=1
	s_or_b32 exec_lo, exec_lo, s5
	s_and_saveexec_b32 s2, s3
	s_cbranch_execnz .LBB325_18
.LBB325_14:                             ;   in Loop: Header=BB325_4 Depth=1
	s_or_b32 exec_lo, exec_lo, s2
	s_and_saveexec_b32 s2, s4
	s_cbranch_execz .LBB325_3
	s_branch .LBB325_19
.LBB325_15:                             ;   in Loop: Header=BB325_4 Depth=1
	global_load_u16 v23, v[18:19], off
	s_wait_xcnt 0x0
	s_or_b32 exec_lo, exec_lo, s5
	s_and_saveexec_b32 s5, vcc_lo
	s_cbranch_execz .LBB325_12
.LBB325_16:                             ;   in Loop: Header=BB325_4 Depth=1
	s_wait_loadcnt 0x0
	v_xor_b32_e32 v21, 0x8000, v21
	global_store_b16 v[8:9], v21, off
	s_wait_xcnt 0x0
	s_or_b32 exec_lo, exec_lo, s5
	s_and_saveexec_b32 s5, s2
	s_cbranch_execz .LBB325_13
.LBB325_17:                             ;   in Loop: Header=BB325_4 Depth=1
	s_wait_loadcnt 0x0
	v_xor_b32_e32 v21, 0x8000, v22
	global_store_b16 v[14:15], v21, off
	s_wait_xcnt 0x0
	s_or_b32 exec_lo, exec_lo, s5
	s_and_saveexec_b32 s2, s3
	s_cbranch_execz .LBB325_14
.LBB325_18:                             ;   in Loop: Header=BB325_4 Depth=1
	s_wait_loadcnt 0x0
	v_xor_b32_e32 v20, 0x8000, v20
	global_store_b16 v[16:17], v20, off
	s_wait_xcnt 0x0
	s_or_b32 exec_lo, exec_lo, s2
	s_and_saveexec_b32 s2, s4
	s_cbranch_execz .LBB325_3
.LBB325_19:                             ;   in Loop: Header=BB325_4 Depth=1
	s_wait_loadcnt 0x0
	v_xor_b32_e32 v16, 0x8000, v23
	global_store_b16 v[18:19], v16, off
	s_branch .LBB325_3
.LBB325_20:
	s_cbranch_execz .LBB325_22
	s_branch .LBB325_30
.LBB325_21:
.LBB325_22:
	v_min_i64 v[2:3], 0x10000, s[10:11]
	v_dual_mov_b32 v5, 0 :: v_dual_lshlrev_b32 v4, 2, v0
	s_mov_b32 s2, exec_lo
	s_delay_alu instid0(VALU_DEP_1)
	v_cmpx_lt_i64_e64 v[4:5], v[2:3]
	s_cbranch_execz .LBB325_30
; %bb.23:
	v_dual_mov_b32 v7, v5 :: v_dual_add_nc_u32 v6, 4, v4
	s_load_b32 s0, s[0:1], 0xd3c
	s_wait_xcnt 0x0
	s_mov_b32 s1, 0
	v_mov_b32_e32 v1, v5
	s_mov_b32 s3, -1
	v_max_i64 v[6:7], v[2:3], v[6:7]
	v_mov_b32_e32 v9, s1
	s_wait_kmcnt 0x0
	s_and_b32 s0, s0, 0xffff
	s_delay_alu instid0(SALU_CYCLE_1) | instskip(SKIP_1) | instid1(VALU_DEP_2)
	s_cmp_eq_u32 s0, 1
	s_cselect_b32 s2, -1, 0
	v_add_nc_u64_e32 v[6:7], -4, v[6:7]
	s_delay_alu instid0(VALU_DEP_1) | instskip(SKIP_1) | instid1(VALU_DEP_1)
	v_cmp_ne_u64_e32 vcc_lo, v[6:7], v[4:5]
	v_cndmask_b32_e64 v8, 0, 1, vcc_lo
	v_or_b32_e32 v4, v4, v8
	s_delay_alu instid0(VALU_DEP_1) | instskip(NEXT) | instid1(VALU_DEP_1)
	v_sub_nc_u64_e32 v[6:7], v[6:7], v[4:5]
	v_lshrrev_b64 v[6:7], 2, v[6:7]
	s_delay_alu instid0(VALU_DEP_1) | instskip(NEXT) | instid1(VALU_DEP_1)
	v_add_nc_u64_e32 v[6:7], v[6:7], v[8:9]
	v_cmp_lt_u64_e32 vcc_lo, 2, v[6:7]
	s_and_b32 s4, vcc_lo, s2
	s_delay_alu instid0(SALU_CYCLE_1)
	s_and_saveexec_b32 s2, s4
	s_cbranch_execz .LBB325_27
; %bb.24:
	v_dual_mov_b32 v9, 0 :: v_dual_lshlrev_b32 v8, 3, v0
	v_add_nc_u64_e32 v[4:5], 1, v[6:7]
	s_add_nc_u64 s[4:5], s[6:7], s[8:9]
	s_delay_alu instid0(VALU_DEP_2) | instid1(SALU_CYCLE_1)
	v_add_nc_u64_e32 v[8:9], s[4:5], v[8:9]
	s_delay_alu instid0(VALU_DEP_2) | instskip(NEXT) | instid1(VALU_DEP_2)
	v_dual_mov_b32 v7, v5 :: v_dual_bitop2_b32 v6, -4, v4 bitop3:0x40
	v_add_nc_u64_e32 v[8:9], 16, v[8:9]
	s_delay_alu instid0(VALU_DEP_2)
	v_mov_b64_e32 v[10:11], v[6:7]
.LBB325_25:                             ; =>This Inner Loop Header: Depth=1
	s_clause 0x1
	global_load_b128 v[12:15], v[8:9], off offset:-16
	global_load_b128 v[16:19], v[8:9], off
	v_add_nc_u64_e32 v[10:11], -4, v[10:11]
	s_delay_alu instid0(VALU_DEP_1)
	v_cmp_eq_u64_e32 vcc_lo, 0, v[10:11]
	s_or_b32 s1, vcc_lo, s1
	s_wait_loadcnt 0x1
	v_dual_lshrrev_b32 v20, 16, v12 :: v_dual_lshrrev_b32 v21, 16, v13
	v_dual_lshrrev_b32 v22, 16, v14 :: v_dual_lshrrev_b32 v23, 16, v15
	s_wait_loadcnt 0x0
	v_dual_lshrrev_b32 v24, 16, v16 :: v_dual_lshrrev_b32 v25, 16, v17
	v_dual_lshrrev_b32 v26, 16, v18 :: v_dual_lshrrev_b32 v27, 16, v19
	v_xor_b32_e32 v14, 0x8000, v14
	v_xor_b32_e32 v15, 0x8000, v15
	;; [unrolled: 1-line block ×16, first 2 shown]
	v_perm_b32 v14, v22, v14, 0x5040100
	v_perm_b32 v15, v23, v15, 0x5040100
	;; [unrolled: 1-line block ×8, first 2 shown]
	s_clause 0x1
	global_store_b128 v[8:9], v[12:15], off offset:-16
	global_store_b128 v[8:9], v[16:19], off
	s_wait_xcnt 0x0
	v_add_nc_u64_e32 v[8:9], 32, v[8:9]
	s_and_not1_b32 exec_lo, exec_lo, s1
	s_cbranch_execnz .LBB325_25
; %bb.26:
	s_or_b32 exec_lo, exec_lo, s1
	v_cmp_ne_u64_e32 vcc_lo, v[4:5], v[6:7]
	v_add_nc_u64_e32 v[0:1], v[6:7], v[0:1]
	s_or_not1_b32 s3, vcc_lo, exec_lo
.LBB325_27:
	s_or_b32 exec_lo, exec_lo, s2
	s_delay_alu instid0(SALU_CYCLE_1)
	s_and_b32 exec_lo, exec_lo, s3
	s_cbranch_execz .LBB325_30
; %bb.28:
	s_add_nc_u64 s[2:3], s[6:7], s[8:9]
	s_mov_b32 s1, 0
	v_lshl_add_u64 v[4:5], v[0:1], 3, s[2:3]
	s_lshl_b32 s2, s0, 3
	s_mov_b32 s3, s1
	s_mov_b32 s4, s1
.LBB325_29:                             ; =>This Inner Loop Header: Depth=1
	global_load_b64 v[6:7], v[4:5], off
	v_add_nc_u64_e32 v[0:1], s[0:1], v[0:1]
	s_delay_alu instid0(VALU_DEP_1) | instskip(NEXT) | instid1(VALU_DEP_1)
	v_lshlrev_b64_e32 v[8:9], 2, v[0:1]
	v_cmp_ge_i64_e32 vcc_lo, v[8:9], v[2:3]
	s_or_b32 s4, vcc_lo, s4
	s_wait_loadcnt 0x0
	v_xor_b32_e32 v7, 0x80008000, v7
	v_xor_b32_e32 v6, 0x80008000, v6
	global_store_b64 v[4:5], v[6:7], off
	s_wait_xcnt 0x0
	v_add_nc_u64_e32 v[4:5], s[2:3], v[4:5]
	s_and_not1_b32 exec_lo, exec_lo, s4
	s_cbranch_execnz .LBB325_29
.LBB325_30:
	s_endpgm
	.section	.rodata,"a",@progbits
	.p2align	6, 0x0
	.amdhsa_kernel _ZN2at6native12_GLOBAL__N_125multi_tensor_apply_kernelINS1_18TensorListMetadataILi1EEENS1_14UnaryOpFunctorIN3c104HalfELi1ELi1ELi0EEEJSt6negateIfEEEEvT_T0_DpT1_
		.amdhsa_group_segment_fixed_size 0
		.amdhsa_private_segment_fixed_size 0
		.amdhsa_kernarg_size 3632
		.amdhsa_user_sgpr_count 2
		.amdhsa_user_sgpr_dispatch_ptr 0
		.amdhsa_user_sgpr_queue_ptr 0
		.amdhsa_user_sgpr_kernarg_segment_ptr 1
		.amdhsa_user_sgpr_dispatch_id 0
		.amdhsa_user_sgpr_kernarg_preload_length 0
		.amdhsa_user_sgpr_kernarg_preload_offset 0
		.amdhsa_user_sgpr_private_segment_size 0
		.amdhsa_wavefront_size32 1
		.amdhsa_uses_dynamic_stack 0
		.amdhsa_enable_private_segment 0
		.amdhsa_system_sgpr_workgroup_id_x 1
		.amdhsa_system_sgpr_workgroup_id_y 0
		.amdhsa_system_sgpr_workgroup_id_z 0
		.amdhsa_system_sgpr_workgroup_info 0
		.amdhsa_system_vgpr_workitem_id 0
		.amdhsa_next_free_vgpr 28
		.amdhsa_next_free_sgpr 20
		.amdhsa_named_barrier_count 0
		.amdhsa_reserve_vcc 1
		.amdhsa_float_round_mode_32 0
		.amdhsa_float_round_mode_16_64 0
		.amdhsa_float_denorm_mode_32 3
		.amdhsa_float_denorm_mode_16_64 3
		.amdhsa_fp16_overflow 0
		.amdhsa_memory_ordered 1
		.amdhsa_forward_progress 1
		.amdhsa_inst_pref_size 12
		.amdhsa_round_robin_scheduling 0
		.amdhsa_exception_fp_ieee_invalid_op 0
		.amdhsa_exception_fp_denorm_src 0
		.amdhsa_exception_fp_ieee_div_zero 0
		.amdhsa_exception_fp_ieee_overflow 0
		.amdhsa_exception_fp_ieee_underflow 0
		.amdhsa_exception_fp_ieee_inexact 0
		.amdhsa_exception_int_div_zero 0
	.end_amdhsa_kernel
	.section	.text._ZN2at6native12_GLOBAL__N_125multi_tensor_apply_kernelINS1_18TensorListMetadataILi1EEENS1_14UnaryOpFunctorIN3c104HalfELi1ELi1ELi0EEEJSt6negateIfEEEEvT_T0_DpT1_,"axG",@progbits,_ZN2at6native12_GLOBAL__N_125multi_tensor_apply_kernelINS1_18TensorListMetadataILi1EEENS1_14UnaryOpFunctorIN3c104HalfELi1ELi1ELi0EEEJSt6negateIfEEEEvT_T0_DpT1_,comdat
.Lfunc_end325:
	.size	_ZN2at6native12_GLOBAL__N_125multi_tensor_apply_kernelINS1_18TensorListMetadataILi1EEENS1_14UnaryOpFunctorIN3c104HalfELi1ELi1ELi0EEEJSt6negateIfEEEEvT_T0_DpT1_, .Lfunc_end325-_ZN2at6native12_GLOBAL__N_125multi_tensor_apply_kernelINS1_18TensorListMetadataILi1EEENS1_14UnaryOpFunctorIN3c104HalfELi1ELi1ELi0EEEJSt6negateIfEEEEvT_T0_DpT1_
                                        ; -- End function
	.set _ZN2at6native12_GLOBAL__N_125multi_tensor_apply_kernelINS1_18TensorListMetadataILi1EEENS1_14UnaryOpFunctorIN3c104HalfELi1ELi1ELi0EEEJSt6negateIfEEEEvT_T0_DpT1_.num_vgpr, 28
	.set _ZN2at6native12_GLOBAL__N_125multi_tensor_apply_kernelINS1_18TensorListMetadataILi1EEENS1_14UnaryOpFunctorIN3c104HalfELi1ELi1ELi0EEEJSt6negateIfEEEEvT_T0_DpT1_.num_agpr, 0
	.set _ZN2at6native12_GLOBAL__N_125multi_tensor_apply_kernelINS1_18TensorListMetadataILi1EEENS1_14UnaryOpFunctorIN3c104HalfELi1ELi1ELi0EEEJSt6negateIfEEEEvT_T0_DpT1_.numbered_sgpr, 20
	.set _ZN2at6native12_GLOBAL__N_125multi_tensor_apply_kernelINS1_18TensorListMetadataILi1EEENS1_14UnaryOpFunctorIN3c104HalfELi1ELi1ELi0EEEJSt6negateIfEEEEvT_T0_DpT1_.num_named_barrier, 0
	.set _ZN2at6native12_GLOBAL__N_125multi_tensor_apply_kernelINS1_18TensorListMetadataILi1EEENS1_14UnaryOpFunctorIN3c104HalfELi1ELi1ELi0EEEJSt6negateIfEEEEvT_T0_DpT1_.private_seg_size, 0
	.set _ZN2at6native12_GLOBAL__N_125multi_tensor_apply_kernelINS1_18TensorListMetadataILi1EEENS1_14UnaryOpFunctorIN3c104HalfELi1ELi1ELi0EEEJSt6negateIfEEEEvT_T0_DpT1_.uses_vcc, 1
	.set _ZN2at6native12_GLOBAL__N_125multi_tensor_apply_kernelINS1_18TensorListMetadataILi1EEENS1_14UnaryOpFunctorIN3c104HalfELi1ELi1ELi0EEEJSt6negateIfEEEEvT_T0_DpT1_.uses_flat_scratch, 0
	.set _ZN2at6native12_GLOBAL__N_125multi_tensor_apply_kernelINS1_18TensorListMetadataILi1EEENS1_14UnaryOpFunctorIN3c104HalfELi1ELi1ELi0EEEJSt6negateIfEEEEvT_T0_DpT1_.has_dyn_sized_stack, 0
	.set _ZN2at6native12_GLOBAL__N_125multi_tensor_apply_kernelINS1_18TensorListMetadataILi1EEENS1_14UnaryOpFunctorIN3c104HalfELi1ELi1ELi0EEEJSt6negateIfEEEEvT_T0_DpT1_.has_recursion, 0
	.set _ZN2at6native12_GLOBAL__N_125multi_tensor_apply_kernelINS1_18TensorListMetadataILi1EEENS1_14UnaryOpFunctorIN3c104HalfELi1ELi1ELi0EEEJSt6negateIfEEEEvT_T0_DpT1_.has_indirect_call, 0
	.section	.AMDGPU.csdata,"",@progbits
; Kernel info:
; codeLenInByte = 1488
; TotalNumSgprs: 22
; NumVgprs: 28
; ScratchSize: 0
; MemoryBound: 0
; FloatMode: 240
; IeeeMode: 1
; LDSByteSize: 0 bytes/workgroup (compile time only)
; SGPRBlocks: 0
; VGPRBlocks: 1
; NumSGPRsForWavesPerEU: 22
; NumVGPRsForWavesPerEU: 28
; NamedBarCnt: 0
; Occupancy: 16
; WaveLimiterHint : 0
; COMPUTE_PGM_RSRC2:SCRATCH_EN: 0
; COMPUTE_PGM_RSRC2:USER_SGPR: 2
; COMPUTE_PGM_RSRC2:TRAP_HANDLER: 0
; COMPUTE_PGM_RSRC2:TGID_X_EN: 1
; COMPUTE_PGM_RSRC2:TGID_Y_EN: 0
; COMPUTE_PGM_RSRC2:TGID_Z_EN: 0
; COMPUTE_PGM_RSRC2:TIDIG_COMP_CNT: 0
	.section	.text._ZN2at6native12_GLOBAL__N_125multi_tensor_apply_kernelINS1_18TensorListMetadataILi1EEENS1_14UnaryOpFunctorIN3c108BFloat16ELi1ELi1ELi0EEEJSt6negateIfEEEEvT_T0_DpT1_,"axG",@progbits,_ZN2at6native12_GLOBAL__N_125multi_tensor_apply_kernelINS1_18TensorListMetadataILi1EEENS1_14UnaryOpFunctorIN3c108BFloat16ELi1ELi1ELi0EEEJSt6negateIfEEEEvT_T0_DpT1_,comdat
	.globl	_ZN2at6native12_GLOBAL__N_125multi_tensor_apply_kernelINS1_18TensorListMetadataILi1EEENS1_14UnaryOpFunctorIN3c108BFloat16ELi1ELi1ELi0EEEJSt6negateIfEEEEvT_T0_DpT1_ ; -- Begin function _ZN2at6native12_GLOBAL__N_125multi_tensor_apply_kernelINS1_18TensorListMetadataILi1EEENS1_14UnaryOpFunctorIN3c108BFloat16ELi1ELi1ELi0EEEJSt6negateIfEEEEvT_T0_DpT1_
	.p2align	8
	.type	_ZN2at6native12_GLOBAL__N_125multi_tensor_apply_kernelINS1_18TensorListMetadataILi1EEENS1_14UnaryOpFunctorIN3c108BFloat16ELi1ELi1ELi0EEEJSt6negateIfEEEEvT_T0_DpT1_,@function
_ZN2at6native12_GLOBAL__N_125multi_tensor_apply_kernelINS1_18TensorListMetadataILi1EEENS1_14UnaryOpFunctorIN3c108BFloat16ELi1ELi1ELi0EEEJSt6negateIfEEEEvT_T0_DpT1_: ; @_ZN2at6native12_GLOBAL__N_125multi_tensor_apply_kernelINS1_18TensorListMetadataILi1EEENS1_14UnaryOpFunctorIN3c108BFloat16ELi1ELi1ELi0EEEJSt6negateIfEEEEvT_T0_DpT1_
; %bb.0:
	s_bfe_u32 s2, ttmp6, 0x4000c
	s_and_b32 s3, ttmp6, 15
	s_add_co_i32 s2, s2, 1
	s_getreg_b32 s4, hwreg(HW_REG_IB_STS2, 6, 4)
	s_mul_i32 s2, ttmp9, s2
	s_delay_alu instid0(SALU_CYCLE_1)
	s_add_co_i32 s3, s3, s2
	s_cmp_eq_u32 s4, 0
	s_cselect_b32 s2, ttmp9, s3
	s_mov_b32 s3, 0
	s_load_u8 s8, s[0:1], s2 offset:0x6e0
	s_add_nc_u64 s[4:5], s[0:1], s[2:3]
	s_mul_u64 s[6:7], s[2:3], 3
	s_delay_alu instid0(SALU_CYCLE_1)
	s_add_nc_u64 s[4:5], s[4:5], s[6:7]
	s_load_b32 s10, s[4:5], 0x820
	s_wait_kmcnt 0x0
	s_clause 0x1
	s_load_b64 s[6:7], s[0:1], s8 offset:0x0 scale_offset
	s_load_b64 s[12:13], s[0:1], s8 offset:0x370 scale_offset
	s_ashr_i32 s11, s10, 31
	s_wait_kmcnt 0x0
	s_and_b64 s[4:5], s[6:7], 7
	s_and_b32 s2, s12, 3
	s_lshl_b64 s[8:9], s[10:11], 17
	s_or_b64 s[2:3], s[4:5], s[2:3]
	s_lshl_b64 s[4:5], s[10:11], 16
	s_cmp_eq_u64 s[2:3], 0
	s_sub_nc_u64 s[10:11], s[12:13], s[4:5]
	s_cbranch_scc1 .LBB326_21
; %bb.1:
	v_cmp_lt_i64_e64 s2, s[10:11], 1
	s_and_b32 vcc_lo, exec_lo, s2
	s_cbranch_vccnz .LBB326_20
; %bb.2:
	s_load_b32 s2, s[0:1], 0xd3c
	v_min_i64 v[2:3], 0x10000, s[10:11]
	v_min_u64 v[4:5], 0x10000, s[10:11]
	v_dual_mov_b32 v1, 0 :: v_dual_lshlrev_b32 v8, 1, v0
	s_mov_b32 s3, 0
	s_add_nc_u64 s[4:5], s[6:7], s[8:9]
	s_mov_b32 s15, s3
	s_delay_alu instid0(VALU_DEP_1)
	v_mov_b32_e32 v15, v1
	s_mov_b32 s17, s3
	s_mov_b32 s13, s3
	s_mov_b64 s[18:19], 0
	s_wait_kmcnt 0x0
	s_and_b32 s2, s2, 0xffff
	s_delay_alu instid0(SALU_CYCLE_1)
	v_add_nc_u64_e32 v[6:7], s[2:3], v[0:1]
	v_mov_b32_e32 v9, v1
	s_lshl_b32 s14, s2, 1
	s_mul_i32 s16, s2, 3
	v_add_nc_u64_e32 v[12:13], s[14:15], v[0:1]
	v_add_nc_u64_e32 v[10:11], s[16:17], v[0:1]
	s_lshl_b32 s12, s2, 2
	v_lshlrev_b32_e32 v14, 1, v6
	v_add_nc_u64_e32 v[8:9], s[4:5], v[8:9]
	s_lshl_b32 s14, s2, 3
	s_mul_u64 s[16:17], s[2:3], 6
	s_delay_alu instid0(VALU_DEP_2)
	v_add_nc_u64_e32 v[14:15], s[4:5], v[14:15]
	s_branch .LBB326_4
.LBB326_3:                              ;   in Loop: Header=BB326_4 Depth=1
	s_wait_xcnt 0x0
	s_or_b32 exec_lo, exec_lo, s2
	s_add_nc_u64 s[18:19], s[18:19], s[12:13]
	v_add_nc_u64_e32 v[8:9], s[14:15], v[8:9]
	v_cmp_lt_i64_e32 vcc_lo, s[18:19], v[2:3]
	v_add_nc_u64_e32 v[14:15], s[14:15], v[14:15]
	s_cbranch_vccz .LBB326_20
.LBB326_4:                              ; =>This Inner Loop Header: Depth=1
	v_add_nc_u64_e32 v[16:17], s[18:19], v[0:1]
	v_mov_b32_e32 v21, 0
	s_delay_alu instid0(VALU_DEP_2)
	v_cmp_lt_u64_e32 vcc_lo, v[16:17], v[4:5]
	s_and_saveexec_b32 s2, vcc_lo
	s_cbranch_execz .LBB326_6
; %bb.5:                                ;   in Loop: Header=BB326_4 Depth=1
	global_load_u16 v16, v[8:9], off
	s_wait_loadcnt 0x0
	v_lshlrev_b32_e32 v21, 16, v16
.LBB326_6:                              ;   in Loop: Header=BB326_4 Depth=1
	s_wait_xcnt 0x0
	s_or_b32 exec_lo, exec_lo, s2
	v_add_nc_u64_e32 v[16:17], s[18:19], v[6:7]
	v_dual_mov_b32 v20, 0 :: v_dual_mov_b32 v22, 0
	s_delay_alu instid0(VALU_DEP_2)
	v_cmp_lt_u64_e64 s2, v[16:17], v[4:5]
	s_and_saveexec_b32 s3, s2
	s_cbranch_execz .LBB326_8
; %bb.7:                                ;   in Loop: Header=BB326_4 Depth=1
	global_load_u16 v16, v[14:15], off
	s_wait_loadcnt 0x0
	v_lshlrev_b32_e32 v22, 16, v16
.LBB326_8:                              ;   in Loop: Header=BB326_4 Depth=1
	s_wait_xcnt 0x0
	s_or_b32 exec_lo, exec_lo, s3
	v_add_nc_u64_e32 v[16:17], s[18:19], v[12:13]
	s_delay_alu instid0(VALU_DEP_1)
	v_cmp_lt_u64_e64 s3, v[16:17], v[4:5]
	v_add_nc_u64_e32 v[16:17], s[12:13], v[8:9]
	s_and_saveexec_b32 s4, s3
	s_cbranch_execz .LBB326_10
; %bb.9:                                ;   in Loop: Header=BB326_4 Depth=1
	global_load_u16 v18, v[16:17], off
	s_wait_loadcnt 0x0
	v_lshlrev_b32_e32 v20, 16, v18
.LBB326_10:                             ;   in Loop: Header=BB326_4 Depth=1
	s_wait_xcnt 0x0
	s_or_b32 exec_lo, exec_lo, s4
	v_add_nc_u64_e32 v[18:19], s[18:19], v[10:11]
	v_mov_b32_e32 v23, 0
	s_delay_alu instid0(VALU_DEP_2)
	v_cmp_lt_u64_e64 s4, v[18:19], v[4:5]
	v_add_nc_u64_e32 v[18:19], s[16:17], v[8:9]
	s_and_saveexec_b32 s5, s4
	s_cbranch_execnz .LBB326_15
; %bb.11:                               ;   in Loop: Header=BB326_4 Depth=1
	s_or_b32 exec_lo, exec_lo, s5
	s_and_saveexec_b32 s5, vcc_lo
	s_cbranch_execnz .LBB326_16
.LBB326_12:                             ;   in Loop: Header=BB326_4 Depth=1
	s_or_b32 exec_lo, exec_lo, s5
	s_and_saveexec_b32 s5, s2
	s_cbranch_execnz .LBB326_17
.LBB326_13:                             ;   in Loop: Header=BB326_4 Depth=1
	s_or_b32 exec_lo, exec_lo, s5
	s_and_saveexec_b32 s2, s3
	s_cbranch_execnz .LBB326_18
.LBB326_14:                             ;   in Loop: Header=BB326_4 Depth=1
	s_or_b32 exec_lo, exec_lo, s2
	s_and_saveexec_b32 s2, s4
	s_cbranch_execz .LBB326_3
	s_branch .LBB326_19
.LBB326_15:                             ;   in Loop: Header=BB326_4 Depth=1
	global_load_u16 v23, v[18:19], off
	s_wait_loadcnt 0x0
	v_lshlrev_b32_e32 v23, 16, v23
	s_wait_xcnt 0x0
	s_or_b32 exec_lo, exec_lo, s5
	s_and_saveexec_b32 s5, vcc_lo
	s_cbranch_execz .LBB326_12
.LBB326_16:                             ;   in Loop: Header=BB326_4 Depth=1
	v_xor_b32_e32 v24, 0x80000000, v21
	v_cmp_o_f32_e32 vcc_lo, v21, v21
	s_delay_alu instid0(VALU_DEP_2) | instskip(NEXT) | instid1(VALU_DEP_1)
	v_bfe_u32 v25, v24, 16, 1
	v_add3_u32 v24, v24, v25, 0x7fff
	s_delay_alu instid0(VALU_DEP_1) | instskip(NEXT) | instid1(VALU_DEP_1)
	v_lshrrev_b32_e32 v24, 16, v24
	v_cndmask_b32_e32 v21, 0x7fc0, v24, vcc_lo
	global_store_b16 v[8:9], v21, off
	s_wait_xcnt 0x0
	s_or_b32 exec_lo, exec_lo, s5
	s_and_saveexec_b32 s5, s2
	s_cbranch_execz .LBB326_13
.LBB326_17:                             ;   in Loop: Header=BB326_4 Depth=1
	v_xor_b32_e32 v21, 0x80000000, v22
	v_cmp_o_f32_e32 vcc_lo, v22, v22
	s_delay_alu instid0(VALU_DEP_2) | instskip(NEXT) | instid1(VALU_DEP_1)
	v_bfe_u32 v24, v21, 16, 1
	v_add3_u32 v21, v21, v24, 0x7fff
	s_delay_alu instid0(VALU_DEP_1) | instskip(NEXT) | instid1(VALU_DEP_1)
	v_lshrrev_b32_e32 v21, 16, v21
	v_cndmask_b32_e32 v21, 0x7fc0, v21, vcc_lo
	global_store_b16 v[14:15], v21, off
	s_wait_xcnt 0x0
	s_or_b32 exec_lo, exec_lo, s5
	s_and_saveexec_b32 s2, s3
	s_cbranch_execz .LBB326_14
.LBB326_18:                             ;   in Loop: Header=BB326_4 Depth=1
	v_xor_b32_e32 v21, 0x80000000, v20
	v_cmp_o_f32_e32 vcc_lo, v20, v20
	s_delay_alu instid0(VALU_DEP_2) | instskip(NEXT) | instid1(VALU_DEP_1)
	v_bfe_u32 v22, v21, 16, 1
	v_add3_u32 v21, v21, v22, 0x7fff
	s_delay_alu instid0(VALU_DEP_1) | instskip(NEXT) | instid1(VALU_DEP_1)
	v_lshrrev_b32_e32 v21, 16, v21
	v_cndmask_b32_e32 v20, 0x7fc0, v21, vcc_lo
	global_store_b16 v[16:17], v20, off
	s_wait_xcnt 0x0
	s_or_b32 exec_lo, exec_lo, s2
	s_and_saveexec_b32 s2, s4
	s_cbranch_execz .LBB326_3
.LBB326_19:                             ;   in Loop: Header=BB326_4 Depth=1
	v_xor_b32_e32 v16, 0x80000000, v23
	v_cmp_o_f32_e32 vcc_lo, v23, v23
	s_delay_alu instid0(VALU_DEP_2) | instskip(NEXT) | instid1(VALU_DEP_1)
	v_bfe_u32 v17, v16, 16, 1
	v_add3_u32 v16, v16, v17, 0x7fff
	s_delay_alu instid0(VALU_DEP_1) | instskip(NEXT) | instid1(VALU_DEP_1)
	v_lshrrev_b32_e32 v16, 16, v16
	v_cndmask_b32_e32 v16, 0x7fc0, v16, vcc_lo
	global_store_b16 v[18:19], v16, off
	s_branch .LBB326_3
.LBB326_20:
	s_cbranch_execz .LBB326_22
	s_branch .LBB326_25
.LBB326_21:
.LBB326_22:
	v_min_i64 v[2:3], 0x10000, s[10:11]
	v_dual_mov_b32 v5, 0 :: v_dual_lshlrev_b32 v4, 2, v0
	s_mov_b32 s2, exec_lo
	s_delay_alu instid0(VALU_DEP_1)
	v_cmpx_lt_i64_e64 v[4:5], v[2:3]
	s_cbranch_execz .LBB326_25
; %bb.23:
	s_load_b32 s2, s[0:1], 0xd3c
	v_dual_mov_b32 v1, v5 :: v_dual_lshlrev_b32 v4, 3, v0
	s_wait_xcnt 0x0
	s_add_nc_u64 s[0:1], s[6:7], s[8:9]
	s_delay_alu instid0(VALU_DEP_1) | instid1(SALU_CYCLE_1)
	v_add_nc_u64_e32 v[4:5], s[0:1], v[4:5]
	s_mov_b32 s1, 0
	s_delay_alu instid0(SALU_CYCLE_1) | instskip(SKIP_3) | instid1(SALU_CYCLE_1)
	s_mov_b32 s3, s1
	s_mov_b32 s4, s1
	s_wait_kmcnt 0x0
	s_and_b32 s0, s2, 0xffff
	s_lshl_b32 s2, s0, 3
.LBB326_24:                             ; =>This Inner Loop Header: Depth=1
	global_load_b64 v[6:7], v[4:5], off
	v_add_nc_u64_e32 v[0:1], s[0:1], v[0:1]
	s_wait_loadcnt 0x0
	v_and_b32_e32 v9, 0xffff0000, v6
	v_alignbit_b32 v8, v7, v6, 16
	v_lshlrev_b32_e32 v6, 16, v6
	v_and_b32_e32 v7, 0xffff0000, v7
	s_delay_alu instid0(VALU_DEP_4) | instskip(NEXT) | instid1(VALU_DEP_4)
	v_xor_b32_e32 v10, 0x80000000, v9
	v_and_b32_e32 v8, 0xffff0000, v8
	s_delay_alu instid0(VALU_DEP_4) | instskip(NEXT) | instid1(VALU_DEP_4)
	v_xor_b32_e32 v11, 0x80000000, v6
	v_xor_b32_e32 v12, 0x80000000, v7
	v_cmp_o_f32_e32 vcc_lo, v9, v9
	v_bfe_u32 v14, v10, 16, 1
	v_xor_b32_e32 v13, 0x80000000, v8
	v_bfe_u32 v15, v11, 16, 1
	v_bfe_u32 v16, v12, 16, 1
	s_delay_alu instid0(VALU_DEP_4) | instskip(NEXT) | instid1(VALU_DEP_4)
	v_add3_u32 v10, v10, v14, 0x7fff
	v_bfe_u32 v17, v13, 16, 1
	s_delay_alu instid0(VALU_DEP_4) | instskip(NEXT) | instid1(VALU_DEP_4)
	v_add3_u32 v11, v11, v15, 0x7fff
	v_add3_u32 v12, v12, v16, 0x7fff
	s_delay_alu instid0(VALU_DEP_4) | instskip(NEXT) | instid1(VALU_DEP_4)
	v_and_b32_e32 v10, 0xffff0000, v10
	v_add3_u32 v13, v13, v17, 0x7fff
	s_delay_alu instid0(VALU_DEP_4) | instskip(NEXT) | instid1(VALU_DEP_4)
	v_lshrrev_b32_e32 v11, 16, v11
	v_and_b32_e32 v12, 0xffff0000, v12
	s_delay_alu instid0(VALU_DEP_4) | instskip(SKIP_1) | instid1(VALU_DEP_4)
	v_cndmask_b32_e32 v9, 0x7fc00000, v10, vcc_lo
	v_cmp_o_f32_e32 vcc_lo, v6, v6
	v_dual_cndmask_b32 v6, 0x7fc0, v11 :: v_dual_lshrrev_b32 v13, 16, v13
	v_cmp_o_f32_e32 vcc_lo, v7, v7
	s_delay_alu instid0(VALU_DEP_2) | instskip(SKIP_4) | instid1(VALU_DEP_2)
	v_or_b32_e32 v11, v6, v9
	v_cndmask_b32_e32 v10, 0x7fc00000, v12, vcc_lo
	v_cmp_o_f32_e32 vcc_lo, v8, v8
	v_lshlrev_b64_e32 v[6:7], 2, v[0:1]
	v_cndmask_b32_e32 v8, 0x7fc0, v13, vcc_lo
	v_cmp_ge_i64_e32 vcc_lo, v[6:7], v[2:3]
	s_delay_alu instid0(VALU_DEP_2)
	v_or3_b32 v9, 0, v8, v10
	v_or3_b32 v8, v11, 0, 0
	s_or_b32 s4, vcc_lo, s4
	global_store_b64 v[4:5], v[8:9], off
	s_wait_xcnt 0x0
	v_add_nc_u64_e32 v[4:5], s[2:3], v[4:5]
	s_and_not1_b32 exec_lo, exec_lo, s4
	s_cbranch_execnz .LBB326_24
.LBB326_25:
	s_endpgm
	.section	.rodata,"a",@progbits
	.p2align	6, 0x0
	.amdhsa_kernel _ZN2at6native12_GLOBAL__N_125multi_tensor_apply_kernelINS1_18TensorListMetadataILi1EEENS1_14UnaryOpFunctorIN3c108BFloat16ELi1ELi1ELi0EEEJSt6negateIfEEEEvT_T0_DpT1_
		.amdhsa_group_segment_fixed_size 0
		.amdhsa_private_segment_fixed_size 0
		.amdhsa_kernarg_size 3632
		.amdhsa_user_sgpr_count 2
		.amdhsa_user_sgpr_dispatch_ptr 0
		.amdhsa_user_sgpr_queue_ptr 0
		.amdhsa_user_sgpr_kernarg_segment_ptr 1
		.amdhsa_user_sgpr_dispatch_id 0
		.amdhsa_user_sgpr_kernarg_preload_length 0
		.amdhsa_user_sgpr_kernarg_preload_offset 0
		.amdhsa_user_sgpr_private_segment_size 0
		.amdhsa_wavefront_size32 1
		.amdhsa_uses_dynamic_stack 0
		.amdhsa_enable_private_segment 0
		.amdhsa_system_sgpr_workgroup_id_x 1
		.amdhsa_system_sgpr_workgroup_id_y 0
		.amdhsa_system_sgpr_workgroup_id_z 0
		.amdhsa_system_sgpr_workgroup_info 0
		.amdhsa_system_vgpr_workitem_id 0
		.amdhsa_next_free_vgpr 26
		.amdhsa_next_free_sgpr 20
		.amdhsa_named_barrier_count 0
		.amdhsa_reserve_vcc 1
		.amdhsa_float_round_mode_32 0
		.amdhsa_float_round_mode_16_64 0
		.amdhsa_float_denorm_mode_32 3
		.amdhsa_float_denorm_mode_16_64 3
		.amdhsa_fp16_overflow 0
		.amdhsa_memory_ordered 1
		.amdhsa_forward_progress 1
		.amdhsa_inst_pref_size 11
		.amdhsa_round_robin_scheduling 0
		.amdhsa_exception_fp_ieee_invalid_op 0
		.amdhsa_exception_fp_denorm_src 0
		.amdhsa_exception_fp_ieee_div_zero 0
		.amdhsa_exception_fp_ieee_overflow 0
		.amdhsa_exception_fp_ieee_underflow 0
		.amdhsa_exception_fp_ieee_inexact 0
		.amdhsa_exception_int_div_zero 0
	.end_amdhsa_kernel
	.section	.text._ZN2at6native12_GLOBAL__N_125multi_tensor_apply_kernelINS1_18TensorListMetadataILi1EEENS1_14UnaryOpFunctorIN3c108BFloat16ELi1ELi1ELi0EEEJSt6negateIfEEEEvT_T0_DpT1_,"axG",@progbits,_ZN2at6native12_GLOBAL__N_125multi_tensor_apply_kernelINS1_18TensorListMetadataILi1EEENS1_14UnaryOpFunctorIN3c108BFloat16ELi1ELi1ELi0EEEJSt6negateIfEEEEvT_T0_DpT1_,comdat
.Lfunc_end326:
	.size	_ZN2at6native12_GLOBAL__N_125multi_tensor_apply_kernelINS1_18TensorListMetadataILi1EEENS1_14UnaryOpFunctorIN3c108BFloat16ELi1ELi1ELi0EEEJSt6negateIfEEEEvT_T0_DpT1_, .Lfunc_end326-_ZN2at6native12_GLOBAL__N_125multi_tensor_apply_kernelINS1_18TensorListMetadataILi1EEENS1_14UnaryOpFunctorIN3c108BFloat16ELi1ELi1ELi0EEEJSt6negateIfEEEEvT_T0_DpT1_
                                        ; -- End function
	.set _ZN2at6native12_GLOBAL__N_125multi_tensor_apply_kernelINS1_18TensorListMetadataILi1EEENS1_14UnaryOpFunctorIN3c108BFloat16ELi1ELi1ELi0EEEJSt6negateIfEEEEvT_T0_DpT1_.num_vgpr, 26
	.set _ZN2at6native12_GLOBAL__N_125multi_tensor_apply_kernelINS1_18TensorListMetadataILi1EEENS1_14UnaryOpFunctorIN3c108BFloat16ELi1ELi1ELi0EEEJSt6negateIfEEEEvT_T0_DpT1_.num_agpr, 0
	.set _ZN2at6native12_GLOBAL__N_125multi_tensor_apply_kernelINS1_18TensorListMetadataILi1EEENS1_14UnaryOpFunctorIN3c108BFloat16ELi1ELi1ELi0EEEJSt6negateIfEEEEvT_T0_DpT1_.numbered_sgpr, 20
	.set _ZN2at6native12_GLOBAL__N_125multi_tensor_apply_kernelINS1_18TensorListMetadataILi1EEENS1_14UnaryOpFunctorIN3c108BFloat16ELi1ELi1ELi0EEEJSt6negateIfEEEEvT_T0_DpT1_.num_named_barrier, 0
	.set _ZN2at6native12_GLOBAL__N_125multi_tensor_apply_kernelINS1_18TensorListMetadataILi1EEENS1_14UnaryOpFunctorIN3c108BFloat16ELi1ELi1ELi0EEEJSt6negateIfEEEEvT_T0_DpT1_.private_seg_size, 0
	.set _ZN2at6native12_GLOBAL__N_125multi_tensor_apply_kernelINS1_18TensorListMetadataILi1EEENS1_14UnaryOpFunctorIN3c108BFloat16ELi1ELi1ELi0EEEJSt6negateIfEEEEvT_T0_DpT1_.uses_vcc, 1
	.set _ZN2at6native12_GLOBAL__N_125multi_tensor_apply_kernelINS1_18TensorListMetadataILi1EEENS1_14UnaryOpFunctorIN3c108BFloat16ELi1ELi1ELi0EEEJSt6negateIfEEEEvT_T0_DpT1_.uses_flat_scratch, 0
	.set _ZN2at6native12_GLOBAL__N_125multi_tensor_apply_kernelINS1_18TensorListMetadataILi1EEENS1_14UnaryOpFunctorIN3c108BFloat16ELi1ELi1ELi0EEEJSt6negateIfEEEEvT_T0_DpT1_.has_dyn_sized_stack, 0
	.set _ZN2at6native12_GLOBAL__N_125multi_tensor_apply_kernelINS1_18TensorListMetadataILi1EEENS1_14UnaryOpFunctorIN3c108BFloat16ELi1ELi1ELi0EEEJSt6negateIfEEEEvT_T0_DpT1_.has_recursion, 0
	.set _ZN2at6native12_GLOBAL__N_125multi_tensor_apply_kernelINS1_18TensorListMetadataILi1EEENS1_14UnaryOpFunctorIN3c108BFloat16ELi1ELi1ELi0EEEJSt6negateIfEEEEvT_T0_DpT1_.has_indirect_call, 0
	.section	.AMDGPU.csdata,"",@progbits
; Kernel info:
; codeLenInByte = 1380
; TotalNumSgprs: 22
; NumVgprs: 26
; ScratchSize: 0
; MemoryBound: 0
; FloatMode: 240
; IeeeMode: 1
; LDSByteSize: 0 bytes/workgroup (compile time only)
; SGPRBlocks: 0
; VGPRBlocks: 1
; NumSGPRsForWavesPerEU: 22
; NumVGPRsForWavesPerEU: 26
; NamedBarCnt: 0
; Occupancy: 16
; WaveLimiterHint : 0
; COMPUTE_PGM_RSRC2:SCRATCH_EN: 0
; COMPUTE_PGM_RSRC2:USER_SGPR: 2
; COMPUTE_PGM_RSRC2:TRAP_HANDLER: 0
; COMPUTE_PGM_RSRC2:TGID_X_EN: 1
; COMPUTE_PGM_RSRC2:TGID_Y_EN: 0
; COMPUTE_PGM_RSRC2:TGID_Z_EN: 0
; COMPUTE_PGM_RSRC2:TIDIG_COMP_CNT: 0
	.section	.text._ZN2at6native12_GLOBAL__N_125multi_tensor_apply_kernelINS1_18TensorListMetadataILi2EEENS1_14UnaryOpFunctorIhLi2ELi1ELi1EEEJNS0_3AbsIhEEEEEvT_T0_DpT1_,"axG",@progbits,_ZN2at6native12_GLOBAL__N_125multi_tensor_apply_kernelINS1_18TensorListMetadataILi2EEENS1_14UnaryOpFunctorIhLi2ELi1ELi1EEEJNS0_3AbsIhEEEEEvT_T0_DpT1_,comdat
	.globl	_ZN2at6native12_GLOBAL__N_125multi_tensor_apply_kernelINS1_18TensorListMetadataILi2EEENS1_14UnaryOpFunctorIhLi2ELi1ELi1EEEJNS0_3AbsIhEEEEEvT_T0_DpT1_ ; -- Begin function _ZN2at6native12_GLOBAL__N_125multi_tensor_apply_kernelINS1_18TensorListMetadataILi2EEENS1_14UnaryOpFunctorIhLi2ELi1ELi1EEEJNS0_3AbsIhEEEEEvT_T0_DpT1_
	.p2align	8
	.type	_ZN2at6native12_GLOBAL__N_125multi_tensor_apply_kernelINS1_18TensorListMetadataILi2EEENS1_14UnaryOpFunctorIhLi2ELi1ELi1EEEJNS0_3AbsIhEEEEEvT_T0_DpT1_,@function
_ZN2at6native12_GLOBAL__N_125multi_tensor_apply_kernelINS1_18TensorListMetadataILi2EEENS1_14UnaryOpFunctorIhLi2ELi1ELi1EEEJNS0_3AbsIhEEEEEvT_T0_DpT1_: ; @_ZN2at6native12_GLOBAL__N_125multi_tensor_apply_kernelINS1_18TensorListMetadataILi2EEENS1_14UnaryOpFunctorIhLi2ELi1ELi1EEEJNS0_3AbsIhEEEEEvT_T0_DpT1_
; %bb.0:
	s_bfe_u32 s2, ttmp6, 0x4000c
	s_and_b32 s3, ttmp6, 15
	s_add_co_i32 s2, s2, 1
	s_getreg_b32 s4, hwreg(HW_REG_IB_STS2, 6, 4)
	s_mul_i32 s2, ttmp9, s2
	s_delay_alu instid0(SALU_CYCLE_1)
	s_add_co_i32 s3, s3, s2
	s_cmp_eq_u32 s4, 0
	s_cselect_b32 s2, ttmp9, s3
	s_mov_b32 s3, 0
	s_load_u8 s9, s[0:1], s2 offset:0x600
	s_add_nc_u64 s[4:5], s[0:1], s[2:3]
	s_wait_xcnt 0x0
	s_mul_u64 s[2:3], s[2:3], 3
	s_delay_alu instid0(SALU_CYCLE_1)
	s_add_nc_u64 s[6:7], s[4:5], s[2:3]
	s_load_b32 s8, s[6:7], 0x740
	s_wait_kmcnt 0x0
	s_clause 0x2
	s_load_b64 s[10:11], s[0:1], s9 offset:0x400 scale_offset
	s_load_b64 s[2:3], s[0:1], s9 offset:0x0 scale_offset
	;; [unrolled: 1-line block ×3, first 2 shown]
	s_wait_xcnt 0x0
	s_ashr_i32 s9, s8, 31
	s_delay_alu instid0(SALU_CYCLE_1) | instskip(SKIP_3) | instid1(SALU_CYCLE_1)
	s_lshl_b64 s[6:7], s[8:9], 16
	s_wait_kmcnt 0x0
	s_add_nc_u64 s[8:9], s[2:3], s[6:7]
	s_or_b32 s9, s10, s4
	s_or_b32 s8, s9, s8
	s_delay_alu instid0(SALU_CYCLE_1)
	s_and_b32 s12, s8, 3
	s_sub_nc_u64 s[8:9], s[10:11], s[6:7]
	s_cmp_eq_u32 s12, 0
	s_mov_b32 s10, -1
	s_cbranch_scc0 .LBB327_5
; %bb.1:
	v_min_i64 v[2:3], 0x10000, s[8:9]
	v_dual_mov_b32 v5, 0 :: v_dual_lshlrev_b32 v4, 2, v0
	s_mov_b32 s14, exec_lo
	s_delay_alu instid0(VALU_DEP_1)
	v_cmpx_lt_i64_e64 v[4:5], v[2:3]
	s_cbranch_execz .LBB327_4
; %bb.2:
	s_load_b32 s10, s[0:1], 0xc5c
	v_mov_b32_e32 v1, v5
	v_add_nc_u64_e32 v[4:5], s[6:7], v[4:5]
	s_mov_b32 s11, 0
	s_delay_alu instid0(SALU_CYCLE_1) | instskip(NEXT) | instid1(VALU_DEP_2)
	s_mov_b32 s13, s11
	v_mov_b64_e32 v[6:7], v[0:1]
	s_mov_b32 s15, s11
	s_wait_kmcnt 0x0
	s_and_b32 s10, s10, 0xffff
	s_delay_alu instid0(SALU_CYCLE_1)
	s_lshl_b32 s12, s10, 2
.LBB327_3:                              ; =>This Inner Loop Header: Depth=1
	v_add_nc_u64_e32 v[8:9], s[2:3], v[4:5]
	s_delay_alu instid0(VALU_DEP_2) | instskip(SKIP_3) | instid1(VALU_DEP_1)
	v_add_nc_u64_e32 v[6:7], s[10:11], v[6:7]
	global_load_b32 v1, v[8:9], off
	s_wait_xcnt 0x0
	v_lshlrev_b64_e32 v[8:9], 2, v[6:7]
	v_cmp_ge_i64_e32 vcc_lo, v[8:9], v[2:3]
	v_add_nc_u64_e32 v[8:9], s[4:5], v[4:5]
	v_add_nc_u64_e32 v[4:5], s[12:13], v[4:5]
	s_or_b32 s15, vcc_lo, s15
	s_wait_loadcnt 0x0
	global_store_b32 v[8:9], v1, off
	s_wait_xcnt 0x0
	s_and_not1_b32 exec_lo, exec_lo, s15
	s_cbranch_execnz .LBB327_3
.LBB327_4:
	s_or_b32 exec_lo, exec_lo, s14
	s_mov_b32 s10, 0
.LBB327_5:
	s_delay_alu instid0(SALU_CYCLE_1)
	s_and_not1_b32 vcc_lo, exec_lo, s10
	s_cbranch_vccnz .LBB327_25
; %bb.6:
	v_cmp_lt_i64_e64 s10, s[8:9], 1
	s_and_b32 vcc_lo, exec_lo, s10
	s_cbranch_vccnz .LBB327_25
; %bb.7:
	s_load_b32 s0, s[0:1], 0xc5c
	v_min_i64 v[2:3], 0x10000, s[8:9]
	v_min_u64 v[4:5], 0x10000, s[8:9]
	v_mov_b32_e32 v1, 0
	s_wait_xcnt 0x0
	s_mov_b32 s1, 0
	s_delay_alu instid0(SALU_CYCLE_1) | instskip(SKIP_3) | instid1(VALU_DEP_2)
	s_mov_b32 s9, s1
	s_mov_b32 s11, s1
	v_add_nc_u64_e32 v[8:9], s[6:7], v[0:1]
	v_mov_b32_e32 v28, v1
	v_add_nc_u64_e32 v[6:7], s[2:3], v[8:9]
	s_wait_kmcnt 0x0
	s_and_b32 s0, s0, 0xffff
	s_delay_alu instid0(SALU_CYCLE_1)
	s_lshl_b32 s8, s0, 1
	s_mul_i32 s10, s0, 3
	v_add_nc_u64_e32 v[16:17], s[0:1], v[8:9]
	s_add_nc_u64 s[12:13], s[6:7], s[10:11]
	s_add_nc_u64 s[6:7], s[6:7], s[8:9]
	v_add_nc_u64_e32 v[20:21], s[12:13], v[0:1]
	v_add_nc_u64_e32 v[24:25], s[6:7], v[0:1]
	;; [unrolled: 1-line block ×12, first 2 shown]
	s_lshl_b32 s4, s0, 2
	s_mov_b32 s5, s1
	s_mov_b64 s[6:7], 0
	s_branch .LBB327_9
.LBB327_8:                              ;   in Loop: Header=BB327_9 Depth=1
	s_wait_xcnt 0x0
	s_or_b32 exec_lo, exec_lo, s0
	s_add_nc_u64 s[6:7], s[6:7], s[4:5]
	s_delay_alu instid0(SALU_CYCLE_1)
	v_cmp_ge_i64_e32 vcc_lo, s[6:7], v[2:3]
	s_cbranch_vccnz .LBB327_25
.LBB327_9:                              ; =>This Inner Loop Header: Depth=1
	v_add_nc_u64_e32 v[30:31], s[6:7], v[0:1]
	v_and_b32_e32 v28, 0xffffff00, v28
	s_delay_alu instid0(VALU_DEP_2)
	v_cmp_lt_u64_e32 vcc_lo, v[30:31], v[4:5]
	s_and_saveexec_b32 s0, vcc_lo
	s_cbranch_execz .LBB327_11
; %bb.10:                               ;   in Loop: Header=BB327_9 Depth=1
	v_add_nc_u64_e32 v[30:31], s[6:7], v[6:7]
	global_load_u8 v29, v[30:31], off
	s_wait_loadcnt 0x0
	v_perm_b32 v28, v29, v28, 0x3020104
.LBB327_11:                             ;   in Loop: Header=BB327_9 Depth=1
	s_wait_xcnt 0x0
	s_or_b32 exec_lo, exec_lo, s0
	v_add_nc_u64_e32 v[30:31], s[6:7], v[26:27]
	s_delay_alu instid0(VALU_DEP_2) | instskip(NEXT) | instid1(VALU_DEP_2)
	v_and_b32_e32 v28, 0xffff00ff, v28
	v_cmp_lt_u64_e64 s0, v[30:31], v[4:5]
	s_and_saveexec_b32 s1, s0
	s_cbranch_execz .LBB327_13
; %bb.12:                               ;   in Loop: Header=BB327_9 Depth=1
	v_add_nc_u64_e32 v[30:31], s[6:7], v[14:15]
	global_load_u8 v29, v[30:31], off
	s_wait_loadcnt 0x0
	v_perm_b32 v28, v28, v29, 0x7060004
.LBB327_13:                             ;   in Loop: Header=BB327_9 Depth=1
	s_wait_xcnt 0x0
	s_or_b32 exec_lo, exec_lo, s1
	v_add_nc_u64_e32 v[30:31], s[6:7], v[12:13]
	s_delay_alu instid0(VALU_DEP_2) | instskip(NEXT) | instid1(VALU_DEP_2)
	v_and_b32_e32 v28, 0xff00ffff, v28
	v_cmp_lt_u64_e64 s1, v[30:31], v[4:5]
	s_and_saveexec_b32 s2, s1
	;; [unrolled: 14-line block ×3, first 2 shown]
	s_cbranch_execnz .LBB327_20
; %bb.16:                               ;   in Loop: Header=BB327_9 Depth=1
	s_or_b32 exec_lo, exec_lo, s3
	s_and_saveexec_b32 s3, vcc_lo
	s_cbranch_execnz .LBB327_21
.LBB327_17:                             ;   in Loop: Header=BB327_9 Depth=1
	s_or_b32 exec_lo, exec_lo, s3
	s_and_saveexec_b32 s3, s0
	s_cbranch_execnz .LBB327_22
.LBB327_18:                             ;   in Loop: Header=BB327_9 Depth=1
	s_or_b32 exec_lo, exec_lo, s3
	s_and_saveexec_b32 s0, s1
	s_cbranch_execnz .LBB327_23
.LBB327_19:                             ;   in Loop: Header=BB327_9 Depth=1
	s_or_b32 exec_lo, exec_lo, s0
	s_and_saveexec_b32 s0, s2
	s_cbranch_execz .LBB327_8
	s_branch .LBB327_24
.LBB327_20:                             ;   in Loop: Header=BB327_9 Depth=1
	v_add_nc_u64_e32 v[30:31], s[6:7], v[18:19]
	global_load_u8 v29, v[30:31], off
	s_wait_xcnt 0x0
	v_lshrrev_b32_e32 v30, 16, v28
	s_wait_loadcnt 0x0
	v_lshlrev_b16 v29, 8, v29
	s_delay_alu instid0(VALU_DEP_1) | instskip(NEXT) | instid1(VALU_DEP_1)
	v_or_b32_e32 v29, v30, v29
	v_lshlrev_b32_e32 v29, 16, v29
	s_delay_alu instid0(VALU_DEP_1)
	v_and_or_b32 v28, 0xffff, v28, v29
	s_or_b32 exec_lo, exec_lo, s3
	s_and_saveexec_b32 s3, vcc_lo
	s_cbranch_execz .LBB327_17
.LBB327_21:                             ;   in Loop: Header=BB327_9 Depth=1
	v_add_nc_u64_e32 v[30:31], s[6:7], v[8:9]
	global_store_b8 v[30:31], v28, off
	s_wait_xcnt 0x0
	s_or_b32 exec_lo, exec_lo, s3
	s_and_saveexec_b32 s3, s0
	s_cbranch_execz .LBB327_18
.LBB327_22:                             ;   in Loop: Header=BB327_9 Depth=1
	v_add_nc_u64_e32 v[30:31], s[6:7], v[16:17]
	v_lshrrev_b32_e32 v29, 8, v28
	global_store_b8 v[30:31], v29, off
	s_wait_xcnt 0x0
	s_or_b32 exec_lo, exec_lo, s3
	s_and_saveexec_b32 s0, s1
	s_cbranch_execz .LBB327_19
.LBB327_23:                             ;   in Loop: Header=BB327_9 Depth=1
	v_add_nc_u64_e32 v[30:31], s[6:7], v[24:25]
	global_store_d16_hi_b8 v[30:31], v28, off
	s_wait_xcnt 0x0
	s_or_b32 exec_lo, exec_lo, s0
	s_and_saveexec_b32 s0, s2
	s_cbranch_execz .LBB327_8
.LBB327_24:                             ;   in Loop: Header=BB327_9 Depth=1
	v_add_nc_u64_e32 v[30:31], s[6:7], v[20:21]
	v_lshrrev_b32_e32 v29, 24, v28
	global_store_b8 v[30:31], v29, off
	s_branch .LBB327_8
.LBB327_25:
	s_endpgm
	.section	.rodata,"a",@progbits
	.p2align	6, 0x0
	.amdhsa_kernel _ZN2at6native12_GLOBAL__N_125multi_tensor_apply_kernelINS1_18TensorListMetadataILi2EEENS1_14UnaryOpFunctorIhLi2ELi1ELi1EEEJNS0_3AbsIhEEEEEvT_T0_DpT1_
		.amdhsa_group_segment_fixed_size 0
		.amdhsa_private_segment_fixed_size 0
		.amdhsa_kernarg_size 3408
		.amdhsa_user_sgpr_count 2
		.amdhsa_user_sgpr_dispatch_ptr 0
		.amdhsa_user_sgpr_queue_ptr 0
		.amdhsa_user_sgpr_kernarg_segment_ptr 1
		.amdhsa_user_sgpr_dispatch_id 0
		.amdhsa_user_sgpr_kernarg_preload_length 0
		.amdhsa_user_sgpr_kernarg_preload_offset 0
		.amdhsa_user_sgpr_private_segment_size 0
		.amdhsa_wavefront_size32 1
		.amdhsa_uses_dynamic_stack 0
		.amdhsa_enable_private_segment 0
		.amdhsa_system_sgpr_workgroup_id_x 1
		.amdhsa_system_sgpr_workgroup_id_y 0
		.amdhsa_system_sgpr_workgroup_id_z 0
		.amdhsa_system_sgpr_workgroup_info 0
		.amdhsa_system_vgpr_workitem_id 0
		.amdhsa_next_free_vgpr 32
		.amdhsa_next_free_sgpr 16
		.amdhsa_named_barrier_count 0
		.amdhsa_reserve_vcc 1
		.amdhsa_float_round_mode_32 0
		.amdhsa_float_round_mode_16_64 0
		.amdhsa_float_denorm_mode_32 3
		.amdhsa_float_denorm_mode_16_64 3
		.amdhsa_fp16_overflow 0
		.amdhsa_memory_ordered 1
		.amdhsa_forward_progress 1
		.amdhsa_inst_pref_size 9
		.amdhsa_round_robin_scheduling 0
		.amdhsa_exception_fp_ieee_invalid_op 0
		.amdhsa_exception_fp_denorm_src 0
		.amdhsa_exception_fp_ieee_div_zero 0
		.amdhsa_exception_fp_ieee_overflow 0
		.amdhsa_exception_fp_ieee_underflow 0
		.amdhsa_exception_fp_ieee_inexact 0
		.amdhsa_exception_int_div_zero 0
	.end_amdhsa_kernel
	.section	.text._ZN2at6native12_GLOBAL__N_125multi_tensor_apply_kernelINS1_18TensorListMetadataILi2EEENS1_14UnaryOpFunctorIhLi2ELi1ELi1EEEJNS0_3AbsIhEEEEEvT_T0_DpT1_,"axG",@progbits,_ZN2at6native12_GLOBAL__N_125multi_tensor_apply_kernelINS1_18TensorListMetadataILi2EEENS1_14UnaryOpFunctorIhLi2ELi1ELi1EEEJNS0_3AbsIhEEEEEvT_T0_DpT1_,comdat
.Lfunc_end327:
	.size	_ZN2at6native12_GLOBAL__N_125multi_tensor_apply_kernelINS1_18TensorListMetadataILi2EEENS1_14UnaryOpFunctorIhLi2ELi1ELi1EEEJNS0_3AbsIhEEEEEvT_T0_DpT1_, .Lfunc_end327-_ZN2at6native12_GLOBAL__N_125multi_tensor_apply_kernelINS1_18TensorListMetadataILi2EEENS1_14UnaryOpFunctorIhLi2ELi1ELi1EEEJNS0_3AbsIhEEEEEvT_T0_DpT1_
                                        ; -- End function
	.set _ZN2at6native12_GLOBAL__N_125multi_tensor_apply_kernelINS1_18TensorListMetadataILi2EEENS1_14UnaryOpFunctorIhLi2ELi1ELi1EEEJNS0_3AbsIhEEEEEvT_T0_DpT1_.num_vgpr, 32
	.set _ZN2at6native12_GLOBAL__N_125multi_tensor_apply_kernelINS1_18TensorListMetadataILi2EEENS1_14UnaryOpFunctorIhLi2ELi1ELi1EEEJNS0_3AbsIhEEEEEvT_T0_DpT1_.num_agpr, 0
	.set _ZN2at6native12_GLOBAL__N_125multi_tensor_apply_kernelINS1_18TensorListMetadataILi2EEENS1_14UnaryOpFunctorIhLi2ELi1ELi1EEEJNS0_3AbsIhEEEEEvT_T0_DpT1_.numbered_sgpr, 16
	.set _ZN2at6native12_GLOBAL__N_125multi_tensor_apply_kernelINS1_18TensorListMetadataILi2EEENS1_14UnaryOpFunctorIhLi2ELi1ELi1EEEJNS0_3AbsIhEEEEEvT_T0_DpT1_.num_named_barrier, 0
	.set _ZN2at6native12_GLOBAL__N_125multi_tensor_apply_kernelINS1_18TensorListMetadataILi2EEENS1_14UnaryOpFunctorIhLi2ELi1ELi1EEEJNS0_3AbsIhEEEEEvT_T0_DpT1_.private_seg_size, 0
	.set _ZN2at6native12_GLOBAL__N_125multi_tensor_apply_kernelINS1_18TensorListMetadataILi2EEENS1_14UnaryOpFunctorIhLi2ELi1ELi1EEEJNS0_3AbsIhEEEEEvT_T0_DpT1_.uses_vcc, 1
	.set _ZN2at6native12_GLOBAL__N_125multi_tensor_apply_kernelINS1_18TensorListMetadataILi2EEENS1_14UnaryOpFunctorIhLi2ELi1ELi1EEEJNS0_3AbsIhEEEEEvT_T0_DpT1_.uses_flat_scratch, 0
	.set _ZN2at6native12_GLOBAL__N_125multi_tensor_apply_kernelINS1_18TensorListMetadataILi2EEENS1_14UnaryOpFunctorIhLi2ELi1ELi1EEEJNS0_3AbsIhEEEEEvT_T0_DpT1_.has_dyn_sized_stack, 0
	.set _ZN2at6native12_GLOBAL__N_125multi_tensor_apply_kernelINS1_18TensorListMetadataILi2EEENS1_14UnaryOpFunctorIhLi2ELi1ELi1EEEJNS0_3AbsIhEEEEEvT_T0_DpT1_.has_recursion, 0
	.set _ZN2at6native12_GLOBAL__N_125multi_tensor_apply_kernelINS1_18TensorListMetadataILi2EEENS1_14UnaryOpFunctorIhLi2ELi1ELi1EEEJNS0_3AbsIhEEEEEvT_T0_DpT1_.has_indirect_call, 0
	.section	.AMDGPU.csdata,"",@progbits
; Kernel info:
; codeLenInByte = 1068
; TotalNumSgprs: 18
; NumVgprs: 32
; ScratchSize: 0
; MemoryBound: 0
; FloatMode: 240
; IeeeMode: 1
; LDSByteSize: 0 bytes/workgroup (compile time only)
; SGPRBlocks: 0
; VGPRBlocks: 1
; NumSGPRsForWavesPerEU: 18
; NumVGPRsForWavesPerEU: 32
; NamedBarCnt: 0
; Occupancy: 16
; WaveLimiterHint : 0
; COMPUTE_PGM_RSRC2:SCRATCH_EN: 0
; COMPUTE_PGM_RSRC2:USER_SGPR: 2
; COMPUTE_PGM_RSRC2:TRAP_HANDLER: 0
; COMPUTE_PGM_RSRC2:TGID_X_EN: 1
; COMPUTE_PGM_RSRC2:TGID_Y_EN: 0
; COMPUTE_PGM_RSRC2:TGID_Z_EN: 0
; COMPUTE_PGM_RSRC2:TIDIG_COMP_CNT: 0
	.section	.text._ZN2at6native12_GLOBAL__N_125multi_tensor_apply_kernelINS1_18TensorListMetadataILi2EEENS1_14UnaryOpFunctorIaLi2ELi1ELi1EEEJNS0_3AbsIaEEEEEvT_T0_DpT1_,"axG",@progbits,_ZN2at6native12_GLOBAL__N_125multi_tensor_apply_kernelINS1_18TensorListMetadataILi2EEENS1_14UnaryOpFunctorIaLi2ELi1ELi1EEEJNS0_3AbsIaEEEEEvT_T0_DpT1_,comdat
	.globl	_ZN2at6native12_GLOBAL__N_125multi_tensor_apply_kernelINS1_18TensorListMetadataILi2EEENS1_14UnaryOpFunctorIaLi2ELi1ELi1EEEJNS0_3AbsIaEEEEEvT_T0_DpT1_ ; -- Begin function _ZN2at6native12_GLOBAL__N_125multi_tensor_apply_kernelINS1_18TensorListMetadataILi2EEENS1_14UnaryOpFunctorIaLi2ELi1ELi1EEEJNS0_3AbsIaEEEEEvT_T0_DpT1_
	.p2align	8
	.type	_ZN2at6native12_GLOBAL__N_125multi_tensor_apply_kernelINS1_18TensorListMetadataILi2EEENS1_14UnaryOpFunctorIaLi2ELi1ELi1EEEJNS0_3AbsIaEEEEEvT_T0_DpT1_,@function
_ZN2at6native12_GLOBAL__N_125multi_tensor_apply_kernelINS1_18TensorListMetadataILi2EEENS1_14UnaryOpFunctorIaLi2ELi1ELi1EEEJNS0_3AbsIaEEEEEvT_T0_DpT1_: ; @_ZN2at6native12_GLOBAL__N_125multi_tensor_apply_kernelINS1_18TensorListMetadataILi2EEENS1_14UnaryOpFunctorIaLi2ELi1ELi1EEEJNS0_3AbsIaEEEEEvT_T0_DpT1_
; %bb.0:
	s_bfe_u32 s2, ttmp6, 0x4000c
	s_and_b32 s3, ttmp6, 15
	s_add_co_i32 s2, s2, 1
	s_getreg_b32 s4, hwreg(HW_REG_IB_STS2, 6, 4)
	s_mul_i32 s2, ttmp9, s2
	s_delay_alu instid0(SALU_CYCLE_1)
	s_add_co_i32 s3, s3, s2
	s_cmp_eq_u32 s4, 0
	s_cselect_b32 s2, ttmp9, s3
	s_mov_b32 s3, 0
	s_load_u8 s9, s[0:1], s2 offset:0x600
	s_add_nc_u64 s[4:5], s[0:1], s[2:3]
	s_wait_xcnt 0x0
	s_mul_u64 s[2:3], s[2:3], 3
	s_delay_alu instid0(SALU_CYCLE_1)
	s_add_nc_u64 s[6:7], s[4:5], s[2:3]
	s_load_b32 s8, s[6:7], 0x740
	s_wait_kmcnt 0x0
	s_clause 0x2
	s_load_b64 s[10:11], s[0:1], s9 offset:0x400 scale_offset
	s_load_b64 s[2:3], s[0:1], s9 offset:0x0 scale_offset
	;; [unrolled: 1-line block ×3, first 2 shown]
	s_wait_xcnt 0x0
	s_ashr_i32 s9, s8, 31
	s_delay_alu instid0(SALU_CYCLE_1) | instskip(SKIP_3) | instid1(SALU_CYCLE_1)
	s_lshl_b64 s[6:7], s[8:9], 16
	s_wait_kmcnt 0x0
	s_add_nc_u64 s[8:9], s[2:3], s[6:7]
	s_or_b32 s9, s10, s4
	s_or_b32 s8, s9, s8
	s_delay_alu instid0(SALU_CYCLE_1)
	s_and_b32 s12, s8, 3
	s_sub_nc_u64 s[8:9], s[10:11], s[6:7]
	s_cmp_eq_u32 s12, 0
	s_mov_b32 s10, -1
	s_cbranch_scc0 .LBB328_5
; %bb.1:
	v_min_i64 v[2:3], 0x10000, s[8:9]
	v_dual_mov_b32 v5, 0 :: v_dual_lshlrev_b32 v4, 2, v0
	s_mov_b32 s14, exec_lo
	s_delay_alu instid0(VALU_DEP_1)
	v_cmpx_lt_i64_e64 v[4:5], v[2:3]
	s_cbranch_execz .LBB328_4
; %bb.2:
	s_load_b32 s10, s[0:1], 0xc5c
	v_mov_b32_e32 v1, v5
	v_add_nc_u64_e32 v[4:5], s[6:7], v[4:5]
	s_mov_b32 s11, 0
	s_delay_alu instid0(SALU_CYCLE_1) | instskip(NEXT) | instid1(VALU_DEP_2)
	s_mov_b32 s13, s11
	v_mov_b64_e32 v[6:7], v[0:1]
	s_mov_b32 s15, s11
	s_wait_kmcnt 0x0
	s_and_b32 s10, s10, 0xffff
	s_delay_alu instid0(SALU_CYCLE_1)
	s_lshl_b32 s12, s10, 2
.LBB328_3:                              ; =>This Inner Loop Header: Depth=1
	v_add_nc_u64_e32 v[8:9], s[2:3], v[4:5]
	s_delay_alu instid0(VALU_DEP_2)
	v_add_nc_u64_e32 v[6:7], s[10:11], v[6:7]
	global_load_b32 v1, v[8:9], off
	s_wait_loadcnt 0x0
	s_wait_xcnt 0x0
	v_lshrrev_b32_e32 v8, 16, v1
	v_ashrrev_i16 v9, 8, v1
	v_bfe_i32 v1, v1, 0, 8
	s_delay_alu instid0(VALU_DEP_3) | instskip(NEXT) | instid1(VALU_DEP_3)
	v_ashrrev_i16 v10, 8, v8
	v_sub_nc_u16 v11, 0, v9
	s_delay_alu instid0(VALU_DEP_3) | instskip(NEXT) | instid1(VALU_DEP_3)
	v_sub_nc_u16 v13, 0, v1
	v_sub_nc_u16 v12, 0, v10
	s_delay_alu instid0(VALU_DEP_3) | instskip(NEXT) | instid1(VALU_DEP_3)
	v_max_i16 v9, v9, v11
	v_max_i16 v1, v1, v13
	s_delay_alu instid0(VALU_DEP_3) | instskip(NEXT) | instid1(VALU_DEP_3)
	v_max_i16 v10, v10, v12
	v_lshlrev_b16 v12, 8, v9
	s_delay_alu instid0(VALU_DEP_2) | instskip(NEXT) | instid1(VALU_DEP_2)
	v_lshlrev_b16 v10, 8, v10
	v_or_b32_e32 v1, v1, v12
	v_bfe_i32 v8, v8, 0, 8
	s_delay_alu instid0(VALU_DEP_2) | instskip(NEXT) | instid1(VALU_DEP_2)
	v_and_b32_e32 v1, 0xffff, v1
	v_sub_nc_u16 v11, 0, v8
	s_delay_alu instid0(VALU_DEP_1) | instskip(SKIP_1) | instid1(VALU_DEP_2)
	v_max_i16 v11, v8, v11
	v_lshlrev_b64_e32 v[8:9], 2, v[6:7]
	v_or_b32_e32 v10, v11, v10
	s_delay_alu instid0(VALU_DEP_2) | instskip(SKIP_1) | instid1(VALU_DEP_3)
	v_cmp_ge_i64_e32 vcc_lo, v[8:9], v[2:3]
	v_add_nc_u64_e32 v[8:9], s[4:5], v[4:5]
	v_lshlrev_b32_e32 v10, 16, v10
	v_add_nc_u64_e32 v[4:5], s[12:13], v[4:5]
	s_or_b32 s15, vcc_lo, s15
	s_delay_alu instid0(VALU_DEP_2)
	v_or_b32_e32 v1, v1, v10
	global_store_b32 v[8:9], v1, off
	s_wait_xcnt 0x0
	s_and_not1_b32 exec_lo, exec_lo, s15
	s_cbranch_execnz .LBB328_3
.LBB328_4:
	s_or_b32 exec_lo, exec_lo, s14
	s_mov_b32 s10, 0
.LBB328_5:
	s_delay_alu instid0(SALU_CYCLE_1)
	s_and_not1_b32 vcc_lo, exec_lo, s10
	s_cbranch_vccnz .LBB328_25
; %bb.6:
	v_cmp_lt_i64_e64 s10, s[8:9], 1
	s_and_b32 vcc_lo, exec_lo, s10
	s_cbranch_vccnz .LBB328_25
; %bb.7:
	s_load_b32 s0, s[0:1], 0xc5c
	v_min_i64 v[2:3], 0x10000, s[8:9]
	v_min_u64 v[4:5], 0x10000, s[8:9]
	v_mov_b32_e32 v1, 0
	s_wait_xcnt 0x0
	s_mov_b32 s1, 0
	s_delay_alu instid0(SALU_CYCLE_1) | instskip(SKIP_3) | instid1(VALU_DEP_2)
	s_mov_b32 s9, s1
	s_mov_b32 s11, s1
	v_add_nc_u64_e32 v[8:9], s[6:7], v[0:1]
	v_mov_b32_e32 v28, v1
	v_add_nc_u64_e32 v[6:7], s[2:3], v[8:9]
	s_wait_kmcnt 0x0
	s_and_b32 s0, s0, 0xffff
	s_delay_alu instid0(SALU_CYCLE_1)
	s_lshl_b32 s8, s0, 1
	s_mul_i32 s10, s0, 3
	v_add_nc_u64_e32 v[16:17], s[0:1], v[8:9]
	s_add_nc_u64 s[12:13], s[6:7], s[10:11]
	s_add_nc_u64 s[6:7], s[6:7], s[8:9]
	v_add_nc_u64_e32 v[20:21], s[12:13], v[0:1]
	v_add_nc_u64_e32 v[24:25], s[6:7], v[0:1]
	;; [unrolled: 1-line block ×12, first 2 shown]
	s_lshl_b32 s4, s0, 2
	s_mov_b32 s5, s1
	s_mov_b64 s[6:7], 0
	s_branch .LBB328_9
.LBB328_8:                              ;   in Loop: Header=BB328_9 Depth=1
	s_wait_xcnt 0x0
	s_or_b32 exec_lo, exec_lo, s0
	s_add_nc_u64 s[6:7], s[6:7], s[4:5]
	s_delay_alu instid0(SALU_CYCLE_1)
	v_cmp_ge_i64_e32 vcc_lo, s[6:7], v[2:3]
	s_cbranch_vccnz .LBB328_25
.LBB328_9:                              ; =>This Inner Loop Header: Depth=1
	v_add_nc_u64_e32 v[30:31], s[6:7], v[0:1]
	v_and_b32_e32 v28, 0xffffff00, v28
	s_delay_alu instid0(VALU_DEP_2)
	v_cmp_lt_u64_e32 vcc_lo, v[30:31], v[4:5]
	s_and_saveexec_b32 s0, vcc_lo
	s_cbranch_execz .LBB328_11
; %bb.10:                               ;   in Loop: Header=BB328_9 Depth=1
	v_add_nc_u64_e32 v[30:31], s[6:7], v[6:7]
	global_load_u8 v29, v[30:31], off
	s_wait_loadcnt 0x0
	v_perm_b32 v28, v29, v28, 0x3020104
.LBB328_11:                             ;   in Loop: Header=BB328_9 Depth=1
	s_wait_xcnt 0x0
	s_or_b32 exec_lo, exec_lo, s0
	v_add_nc_u64_e32 v[30:31], s[6:7], v[26:27]
	s_delay_alu instid0(VALU_DEP_2) | instskip(NEXT) | instid1(VALU_DEP_2)
	v_and_b32_e32 v28, 0xffff00ff, v28
	v_cmp_lt_u64_e64 s0, v[30:31], v[4:5]
	s_and_saveexec_b32 s1, s0
	s_cbranch_execz .LBB328_13
; %bb.12:                               ;   in Loop: Header=BB328_9 Depth=1
	v_add_nc_u64_e32 v[30:31], s[6:7], v[14:15]
	global_load_u8 v29, v[30:31], off
	s_wait_loadcnt 0x0
	v_perm_b32 v28, v28, v29, 0x7060004
.LBB328_13:                             ;   in Loop: Header=BB328_9 Depth=1
	s_wait_xcnt 0x0
	s_or_b32 exec_lo, exec_lo, s1
	v_add_nc_u64_e32 v[30:31], s[6:7], v[12:13]
	s_delay_alu instid0(VALU_DEP_2) | instskip(NEXT) | instid1(VALU_DEP_2)
	v_and_b32_e32 v28, 0xff00ffff, v28
	v_cmp_lt_u64_e64 s1, v[30:31], v[4:5]
	s_and_saveexec_b32 s2, s1
	s_cbranch_execz .LBB328_15
; %bb.14:                               ;   in Loop: Header=BB328_9 Depth=1
	v_add_nc_u64_e32 v[30:31], s[6:7], v[22:23]
	global_load_u8 v29, v[30:31], off
	s_wait_loadcnt 0x0
	v_perm_b32 v28, v28, v29, 0x7000504
.LBB328_15:                             ;   in Loop: Header=BB328_9 Depth=1
	s_wait_xcnt 0x0
	s_or_b32 exec_lo, exec_lo, s2
	v_add_nc_u64_e32 v[30:31], s[6:7], v[10:11]
	s_delay_alu instid0(VALU_DEP_2) | instskip(NEXT) | instid1(VALU_DEP_2)
	v_and_b32_e32 v28, 0xffffff, v28
	v_cmp_lt_u64_e64 s2, v[30:31], v[4:5]
	s_and_saveexec_b32 s3, s2
	s_cbranch_execz .LBB328_17
; %bb.16:                               ;   in Loop: Header=BB328_9 Depth=1
	v_add_nc_u64_e32 v[30:31], s[6:7], v[18:19]
	global_load_u8 v29, v[30:31], off
	s_wait_xcnt 0x0
	v_lshrrev_b32_e32 v30, 16, v28
	s_wait_loadcnt 0x0
	v_lshlrev_b16 v29, 8, v29
	s_delay_alu instid0(VALU_DEP_1) | instskip(NEXT) | instid1(VALU_DEP_1)
	v_or_b32_e32 v29, v30, v29
	v_lshlrev_b32_e32 v29, 16, v29
	s_delay_alu instid0(VALU_DEP_1)
	v_and_or_b32 v28, 0xffff, v28, v29
.LBB328_17:                             ;   in Loop: Header=BB328_9 Depth=1
	s_or_b32 exec_lo, exec_lo, s3
	s_delay_alu instid0(VALU_DEP_1) | instskip(SKIP_2) | instid1(VALU_DEP_3)
	v_dual_ashrrev_i32 v29, 24, v28 :: v_dual_lshrrev_b32 v30, 16, v28
	v_ashrrev_i16 v31, 8, v28
	v_bfe_i32 v28, v28, 0, 8
	v_sub_nc_u16 v32, 0, v29
	s_delay_alu instid0(VALU_DEP_4) | instskip(NEXT) | instid1(VALU_DEP_4)
	v_bfe_i32 v30, v30, 0, 8
	v_sub_nc_u16 v33, 0, v31
	s_delay_alu instid0(VALU_DEP_4) | instskip(NEXT) | instid1(VALU_DEP_4)
	v_sub_nc_u16 v34, 0, v28
	v_max_i16 v29, v29, v32
	s_delay_alu instid0(VALU_DEP_4) | instskip(NEXT) | instid1(VALU_DEP_4)
	v_sub_nc_u16 v32, 0, v30
	v_max_i16 v31, v31, v33
	s_delay_alu instid0(VALU_DEP_4) | instskip(NEXT) | instid1(VALU_DEP_4)
	v_max_i16 v28, v28, v34
	v_lshlrev_b16 v29, 8, v29
	s_delay_alu instid0(VALU_DEP_4) | instskip(NEXT) | instid1(VALU_DEP_4)
	v_max_i16 v30, v30, v32
	v_lshlrev_b16 v31, 8, v31
	s_delay_alu instid0(VALU_DEP_2) | instskip(NEXT) | instid1(VALU_DEP_1)
	v_or_b32_e32 v29, v30, v29
	v_dual_lshlrev_b32 v29, 16, v29 :: v_dual_bitop2_b32 v28, v28, v31 bitop3:0x54
	s_delay_alu instid0(VALU_DEP_1) | instskip(NEXT) | instid1(VALU_DEP_1)
	v_and_b32_e32 v28, 0xffff, v28
	v_or_b32_e32 v28, v28, v29
	s_and_saveexec_b32 s3, vcc_lo
	s_cbranch_execnz .LBB328_21
; %bb.18:                               ;   in Loop: Header=BB328_9 Depth=1
	s_or_b32 exec_lo, exec_lo, s3
	s_and_saveexec_b32 s3, s0
	s_cbranch_execnz .LBB328_22
.LBB328_19:                             ;   in Loop: Header=BB328_9 Depth=1
	s_or_b32 exec_lo, exec_lo, s3
	s_and_saveexec_b32 s0, s1
	s_cbranch_execnz .LBB328_23
.LBB328_20:                             ;   in Loop: Header=BB328_9 Depth=1
	s_or_b32 exec_lo, exec_lo, s0
	s_and_saveexec_b32 s0, s2
	s_cbranch_execz .LBB328_8
	s_branch .LBB328_24
.LBB328_21:                             ;   in Loop: Header=BB328_9 Depth=1
	v_add_nc_u64_e32 v[30:31], s[6:7], v[8:9]
	global_store_b8 v[30:31], v28, off
	s_wait_xcnt 0x0
	s_or_b32 exec_lo, exec_lo, s3
	s_and_saveexec_b32 s3, s0
	s_cbranch_execz .LBB328_19
.LBB328_22:                             ;   in Loop: Header=BB328_9 Depth=1
	v_add_nc_u64_e32 v[30:31], s[6:7], v[16:17]
	v_lshrrev_b32_e32 v29, 8, v28
	global_store_b8 v[30:31], v29, off
	s_wait_xcnt 0x0
	s_or_b32 exec_lo, exec_lo, s3
	s_and_saveexec_b32 s0, s1
	s_cbranch_execz .LBB328_20
.LBB328_23:                             ;   in Loop: Header=BB328_9 Depth=1
	v_add_nc_u64_e32 v[30:31], s[6:7], v[24:25]
	global_store_d16_hi_b8 v[30:31], v28, off
	s_wait_xcnt 0x0
	s_or_b32 exec_lo, exec_lo, s0
	s_and_saveexec_b32 s0, s2
	s_cbranch_execz .LBB328_8
.LBB328_24:                             ;   in Loop: Header=BB328_9 Depth=1
	v_add_nc_u64_e32 v[30:31], s[6:7], v[20:21]
	v_lshrrev_b32_e32 v29, 24, v28
	global_store_b8 v[30:31], v29, off
	s_branch .LBB328_8
.LBB328_25:
	s_endpgm
	.section	.rodata,"a",@progbits
	.p2align	6, 0x0
	.amdhsa_kernel _ZN2at6native12_GLOBAL__N_125multi_tensor_apply_kernelINS1_18TensorListMetadataILi2EEENS1_14UnaryOpFunctorIaLi2ELi1ELi1EEEJNS0_3AbsIaEEEEEvT_T0_DpT1_
		.amdhsa_group_segment_fixed_size 0
		.amdhsa_private_segment_fixed_size 0
		.amdhsa_kernarg_size 3408
		.amdhsa_user_sgpr_count 2
		.amdhsa_user_sgpr_dispatch_ptr 0
		.amdhsa_user_sgpr_queue_ptr 0
		.amdhsa_user_sgpr_kernarg_segment_ptr 1
		.amdhsa_user_sgpr_dispatch_id 0
		.amdhsa_user_sgpr_kernarg_preload_length 0
		.amdhsa_user_sgpr_kernarg_preload_offset 0
		.amdhsa_user_sgpr_private_segment_size 0
		.amdhsa_wavefront_size32 1
		.amdhsa_uses_dynamic_stack 0
		.amdhsa_enable_private_segment 0
		.amdhsa_system_sgpr_workgroup_id_x 1
		.amdhsa_system_sgpr_workgroup_id_y 0
		.amdhsa_system_sgpr_workgroup_id_z 0
		.amdhsa_system_sgpr_workgroup_info 0
		.amdhsa_system_vgpr_workitem_id 0
		.amdhsa_next_free_vgpr 35
		.amdhsa_next_free_sgpr 16
		.amdhsa_named_barrier_count 0
		.amdhsa_reserve_vcc 1
		.amdhsa_float_round_mode_32 0
		.amdhsa_float_round_mode_16_64 0
		.amdhsa_float_denorm_mode_32 3
		.amdhsa_float_denorm_mode_16_64 3
		.amdhsa_fp16_overflow 0
		.amdhsa_memory_ordered 1
		.amdhsa_forward_progress 1
		.amdhsa_inst_pref_size 11
		.amdhsa_round_robin_scheduling 0
		.amdhsa_exception_fp_ieee_invalid_op 0
		.amdhsa_exception_fp_denorm_src 0
		.amdhsa_exception_fp_ieee_div_zero 0
		.amdhsa_exception_fp_ieee_overflow 0
		.amdhsa_exception_fp_ieee_underflow 0
		.amdhsa_exception_fp_ieee_inexact 0
		.amdhsa_exception_int_div_zero 0
	.end_amdhsa_kernel
	.section	.text._ZN2at6native12_GLOBAL__N_125multi_tensor_apply_kernelINS1_18TensorListMetadataILi2EEENS1_14UnaryOpFunctorIaLi2ELi1ELi1EEEJNS0_3AbsIaEEEEEvT_T0_DpT1_,"axG",@progbits,_ZN2at6native12_GLOBAL__N_125multi_tensor_apply_kernelINS1_18TensorListMetadataILi2EEENS1_14UnaryOpFunctorIaLi2ELi1ELi1EEEJNS0_3AbsIaEEEEEvT_T0_DpT1_,comdat
.Lfunc_end328:
	.size	_ZN2at6native12_GLOBAL__N_125multi_tensor_apply_kernelINS1_18TensorListMetadataILi2EEENS1_14UnaryOpFunctorIaLi2ELi1ELi1EEEJNS0_3AbsIaEEEEEvT_T0_DpT1_, .Lfunc_end328-_ZN2at6native12_GLOBAL__N_125multi_tensor_apply_kernelINS1_18TensorListMetadataILi2EEENS1_14UnaryOpFunctorIaLi2ELi1ELi1EEEJNS0_3AbsIaEEEEEvT_T0_DpT1_
                                        ; -- End function
	.set _ZN2at6native12_GLOBAL__N_125multi_tensor_apply_kernelINS1_18TensorListMetadataILi2EEENS1_14UnaryOpFunctorIaLi2ELi1ELi1EEEJNS0_3AbsIaEEEEEvT_T0_DpT1_.num_vgpr, 35
	.set _ZN2at6native12_GLOBAL__N_125multi_tensor_apply_kernelINS1_18TensorListMetadataILi2EEENS1_14UnaryOpFunctorIaLi2ELi1ELi1EEEJNS0_3AbsIaEEEEEvT_T0_DpT1_.num_agpr, 0
	.set _ZN2at6native12_GLOBAL__N_125multi_tensor_apply_kernelINS1_18TensorListMetadataILi2EEENS1_14UnaryOpFunctorIaLi2ELi1ELi1EEEJNS0_3AbsIaEEEEEvT_T0_DpT1_.numbered_sgpr, 16
	.set _ZN2at6native12_GLOBAL__N_125multi_tensor_apply_kernelINS1_18TensorListMetadataILi2EEENS1_14UnaryOpFunctorIaLi2ELi1ELi1EEEJNS0_3AbsIaEEEEEvT_T0_DpT1_.num_named_barrier, 0
	.set _ZN2at6native12_GLOBAL__N_125multi_tensor_apply_kernelINS1_18TensorListMetadataILi2EEENS1_14UnaryOpFunctorIaLi2ELi1ELi1EEEJNS0_3AbsIaEEEEEvT_T0_DpT1_.private_seg_size, 0
	.set _ZN2at6native12_GLOBAL__N_125multi_tensor_apply_kernelINS1_18TensorListMetadataILi2EEENS1_14UnaryOpFunctorIaLi2ELi1ELi1EEEJNS0_3AbsIaEEEEEvT_T0_DpT1_.uses_vcc, 1
	.set _ZN2at6native12_GLOBAL__N_125multi_tensor_apply_kernelINS1_18TensorListMetadataILi2EEENS1_14UnaryOpFunctorIaLi2ELi1ELi1EEEJNS0_3AbsIaEEEEEvT_T0_DpT1_.uses_flat_scratch, 0
	.set _ZN2at6native12_GLOBAL__N_125multi_tensor_apply_kernelINS1_18TensorListMetadataILi2EEENS1_14UnaryOpFunctorIaLi2ELi1ELi1EEEJNS0_3AbsIaEEEEEvT_T0_DpT1_.has_dyn_sized_stack, 0
	.set _ZN2at6native12_GLOBAL__N_125multi_tensor_apply_kernelINS1_18TensorListMetadataILi2EEENS1_14UnaryOpFunctorIaLi2ELi1ELi1EEEJNS0_3AbsIaEEEEEvT_T0_DpT1_.has_recursion, 0
	.set _ZN2at6native12_GLOBAL__N_125multi_tensor_apply_kernelINS1_18TensorListMetadataILi2EEENS1_14UnaryOpFunctorIaLi2ELi1ELi1EEEJNS0_3AbsIaEEEEEvT_T0_DpT1_.has_indirect_call, 0
	.section	.AMDGPU.csdata,"",@progbits
; Kernel info:
; codeLenInByte = 1408
; TotalNumSgprs: 18
; NumVgprs: 35
; ScratchSize: 0
; MemoryBound: 0
; FloatMode: 240
; IeeeMode: 1
; LDSByteSize: 0 bytes/workgroup (compile time only)
; SGPRBlocks: 0
; VGPRBlocks: 2
; NumSGPRsForWavesPerEU: 18
; NumVGPRsForWavesPerEU: 35
; NamedBarCnt: 0
; Occupancy: 16
; WaveLimiterHint : 0
; COMPUTE_PGM_RSRC2:SCRATCH_EN: 0
; COMPUTE_PGM_RSRC2:USER_SGPR: 2
; COMPUTE_PGM_RSRC2:TRAP_HANDLER: 0
; COMPUTE_PGM_RSRC2:TGID_X_EN: 1
; COMPUTE_PGM_RSRC2:TGID_Y_EN: 0
; COMPUTE_PGM_RSRC2:TGID_Z_EN: 0
; COMPUTE_PGM_RSRC2:TIDIG_COMP_CNT: 0
	.section	.text._ZN2at6native12_GLOBAL__N_125multi_tensor_apply_kernelINS1_18TensorListMetadataILi2EEENS1_14UnaryOpFunctorIiLi2ELi1ELi1EEEJNS0_3AbsIiEEEEEvT_T0_DpT1_,"axG",@progbits,_ZN2at6native12_GLOBAL__N_125multi_tensor_apply_kernelINS1_18TensorListMetadataILi2EEENS1_14UnaryOpFunctorIiLi2ELi1ELi1EEEJNS0_3AbsIiEEEEEvT_T0_DpT1_,comdat
	.globl	_ZN2at6native12_GLOBAL__N_125multi_tensor_apply_kernelINS1_18TensorListMetadataILi2EEENS1_14UnaryOpFunctorIiLi2ELi1ELi1EEEJNS0_3AbsIiEEEEEvT_T0_DpT1_ ; -- Begin function _ZN2at6native12_GLOBAL__N_125multi_tensor_apply_kernelINS1_18TensorListMetadataILi2EEENS1_14UnaryOpFunctorIiLi2ELi1ELi1EEEJNS0_3AbsIiEEEEEvT_T0_DpT1_
	.p2align	8
	.type	_ZN2at6native12_GLOBAL__N_125multi_tensor_apply_kernelINS1_18TensorListMetadataILi2EEENS1_14UnaryOpFunctorIiLi2ELi1ELi1EEEJNS0_3AbsIiEEEEEvT_T0_DpT1_,@function
_ZN2at6native12_GLOBAL__N_125multi_tensor_apply_kernelINS1_18TensorListMetadataILi2EEENS1_14UnaryOpFunctorIiLi2ELi1ELi1EEEJNS0_3AbsIiEEEEEvT_T0_DpT1_: ; @_ZN2at6native12_GLOBAL__N_125multi_tensor_apply_kernelINS1_18TensorListMetadataILi2EEENS1_14UnaryOpFunctorIiLi2ELi1ELi1EEEJNS0_3AbsIiEEEEEvT_T0_DpT1_
; %bb.0:
	s_bfe_u32 s2, ttmp6, 0x4000c
	s_and_b32 s3, ttmp6, 15
	s_add_co_i32 s2, s2, 1
	s_getreg_b32 s4, hwreg(HW_REG_IB_STS2, 6, 4)
	s_mul_i32 s2, ttmp9, s2
	s_mov_b32 s9, 0
	s_add_co_i32 s3, s3, s2
	s_cmp_eq_u32 s4, 0
	s_mov_b32 s15, s9
	s_cselect_b32 s8, ttmp9, s3
	s_load_u8 s11, s[0:1], s8 offset:0x600
	s_add_nc_u64 s[2:3], s[0:1], s[8:9]
	s_mul_u64 s[4:5], s[8:9], 3
	s_delay_alu instid0(SALU_CYCLE_1)
	s_add_nc_u64 s[4:5], s[2:3], s[4:5]
	s_load_b32 s10, s[4:5], 0x740
	s_wait_kmcnt 0x0
	s_clause 0x2
	s_load_b64 s[2:3], s[0:1], s11 offset:0x0 scale_offset
	s_load_b64 s[6:7], s[0:1], s11 offset:0x200 scale_offset
	;; [unrolled: 1-line block ×3, first 2 shown]
	s_wait_xcnt 0x0
	s_ashr_i32 s11, s10, 31
	s_delay_alu instid0(SALU_CYCLE_1)
	s_lshl_b64 s[4:5], s[10:11], 18
	s_wait_kmcnt 0x0
	s_and_b64 s[18:19], s[6:7], 15
	s_add_nc_u64 s[16:17], s[2:3], s[4:5]
	s_and_b32 s14, s12, 3
	s_and_b32 s8, s16, 15
	s_or_b64 s[14:15], s[18:19], s[14:15]
	s_lshl_b64 s[10:11], s[10:11], 16
	s_or_b64 s[14:15], s[14:15], s[8:9]
	s_sub_nc_u64 s[8:9], s[12:13], s[10:11]
	s_cmp_eq_u64 s[14:15], 0
	s_mov_b32 s10, -1
	s_cbranch_scc0 .LBB329_5
; %bb.1:
	v_min_i64 v[2:3], 0x10000, s[8:9]
	v_dual_mov_b32 v5, 0 :: v_dual_lshlrev_b32 v4, 2, v0
	s_mov_b32 s16, exec_lo
	s_delay_alu instid0(VALU_DEP_1)
	v_cmpx_lt_i64_e64 v[4:5], v[2:3]
	s_cbranch_execz .LBB329_4
; %bb.2:
	s_load_b32 s10, s[0:1], 0xc5c
	v_dual_mov_b32 v1, v5 :: v_dual_lshlrev_b32 v4, 4, v0
	s_mov_b32 s11, 0
	s_add_nc_u64 s[12:13], s[2:3], 8
	s_mov_b32 s15, s11
	s_delay_alu instid0(VALU_DEP_1) | instskip(SKIP_4) | instid1(SALU_CYCLE_1)
	v_add_nc_u64_e32 v[4:5], s[4:5], v[4:5]
	v_mov_b64_e32 v[6:7], v[0:1]
	s_mov_b32 s17, s11
	s_wait_kmcnt 0x0
	s_and_b32 s10, s10, 0xffff
	s_lshl_b32 s14, s10, 4
.LBB329_3:                              ; =>This Inner Loop Header: Depth=1
	s_delay_alu instid0(VALU_DEP_2) | instskip(NEXT) | instid1(VALU_DEP_2)
	v_add_nc_u64_e32 v[8:9], s[12:13], v[4:5]
	v_add_nc_u64_e32 v[6:7], s[10:11], v[6:7]
	;; [unrolled: 1-line block ×4, first 2 shown]
	global_load_b128 v[8:11], v[8:9], off offset:-8
	v_lshlrev_b64_e32 v[12:13], 2, v[6:7]
	s_delay_alu instid0(VALU_DEP_1)
	v_cmp_ge_i64_e32 vcc_lo, v[12:13], v[2:3]
	s_or_b32 s17, vcc_lo, s17
	s_wait_loadcnt 0x0
	v_dual_sub_nc_u32 v1, 0, v9 :: v_dual_sub_nc_u32 v16, 0, v8
	v_dual_sub_nc_u32 v17, 0, v11 :: v_dual_sub_nc_u32 v18, 0, v10
	s_wait_xcnt 0x0
	s_delay_alu instid0(VALU_DEP_2) | instskip(NEXT) | instid1(VALU_DEP_3)
	v_max_i32_e32 v9, v9, v1
	v_max_i32_e32 v8, v8, v16
	s_delay_alu instid0(VALU_DEP_3)
	v_max_i32_e32 v11, v11, v17
	v_max_i32_e32 v10, v10, v18
	global_store_b128 v[14:15], v[8:11], off
	s_wait_xcnt 0x0
	s_and_not1_b32 exec_lo, exec_lo, s17
	s_cbranch_execnz .LBB329_3
.LBB329_4:
	s_or_b32 exec_lo, exec_lo, s16
	s_mov_b32 s10, 0
.LBB329_5:
	s_delay_alu instid0(SALU_CYCLE_1)
	s_and_not1_b32 vcc_lo, exec_lo, s10
	s_cbranch_vccnz .LBB329_25
; %bb.6:
	v_cmp_lt_i64_e64 s10, s[8:9], 1
	s_and_b32 vcc_lo, exec_lo, s10
	s_cbranch_vccnz .LBB329_25
; %bb.7:
	s_load_b32 s0, s[0:1], 0xc5c
	v_min_i64 v[2:3], 0x10000, s[8:9]
	v_min_u64 v[4:5], 0x10000, s[8:9]
	v_dual_mov_b32 v1, 0 :: v_dual_lshlrev_b32 v10, 2, v0
	s_mov_b32 s9, 0
	s_delay_alu instid0(SALU_CYCLE_1) | instskip(NEXT) | instid1(VALU_DEP_1)
	s_mov_b32 s13, s9
	v_dual_mov_b32 v11, v1 :: v_dual_mov_b32 v27, v1
	s_wait_xcnt 0x0
	s_mov_b32 s1, s9
	s_mov_b32 s11, s9
	s_delay_alu instid0(VALU_DEP_1) | instskip(SKIP_2) | instid1(SALU_CYCLE_1)
	v_add_nc_u64_e32 v[6:7], s[2:3], v[10:11]
	s_wait_kmcnt 0x0
	s_and_b32 s8, s0, 0xffff
	v_add_nc_u64_e32 v[8:9], s[8:9], v[0:1]
	v_mad_nc_u64_u32 v[22:23], s8, 12, v[10:11]
	s_lshl_b32 s12, s8, 3
	s_mul_i32 s10, s8, 3
	v_add_nc_u64_e32 v[18:19], s[12:13], v[10:11]
	s_lshl_b32 s0, s8, 1
	v_add_nc_u64_e32 v[10:11], s[6:7], v[10:11]
	v_lshlrev_b32_e32 v26, 2, v8
	v_add_nc_u64_e32 v[12:13], s[10:11], v[0:1]
	v_add_nc_u64_e32 v[14:15], s[0:1], v[0:1]
	s_mov_b64 s[10:11], 0
	v_add_nc_u64_e32 v[16:17], s[2:3], v[18:19]
	v_add_nc_u64_e32 v[18:19], s[6:7], v[18:19]
	;; [unrolled: 1-line block ×6, first 2 shown]
	s_lshl_b32 s6, s8, 2
	s_mov_b32 s7, s9
	s_lshl_b32 s8, s8, 4
	s_branch .LBB329_9
.LBB329_8:                              ;   in Loop: Header=BB329_9 Depth=1
	s_wait_xcnt 0x0
	s_or_b32 exec_lo, exec_lo, s0
	s_add_nc_u64 s[10:11], s[10:11], s[6:7]
	v_add_nc_u64_e32 v[6:7], s[8:9], v[6:7]
	v_cmp_ge_i64_e32 vcc_lo, s[10:11], v[2:3]
	v_add_nc_u64_e32 v[10:11], s[8:9], v[10:11]
	v_add_nc_u64_e32 v[20:21], s[8:9], v[20:21]
	;; [unrolled: 1-line block ×7, first 2 shown]
	s_cbranch_vccnz .LBB329_25
.LBB329_9:                              ; =>This Inner Loop Header: Depth=1
	v_add_nc_u64_e32 v[28:29], s[10:11], v[0:1]
	s_delay_alu instid0(VALU_DEP_1)
	v_cmp_lt_u64_e32 vcc_lo, v[28:29], v[4:5]
	v_mov_b32_e32 v29, 0
	s_and_saveexec_b32 s0, vcc_lo
	s_cbranch_execz .LBB329_11
; %bb.10:                               ;   in Loop: Header=BB329_9 Depth=1
	v_add_nc_u64_e32 v[28:29], s[4:5], v[6:7]
	global_load_b32 v28, v[28:29], off
	s_wait_loadcnt 0x0
	v_sub_nc_u32_e32 v29, 0, v28
	s_delay_alu instid0(VALU_DEP_1)
	v_max_i32_e32 v29, v28, v29
.LBB329_11:                             ;   in Loop: Header=BB329_9 Depth=1
	s_or_b32 exec_lo, exec_lo, s0
	v_add_nc_u64_e32 v[30:31], s[10:11], v[8:9]
	v_mov_b32_e32 v28, 0
	s_delay_alu instid0(VALU_DEP_2)
	v_cmp_lt_u64_e64 s0, v[30:31], v[4:5]
	v_mov_b32_e32 v30, 0
	s_and_saveexec_b32 s1, s0
	s_cbranch_execz .LBB329_13
; %bb.12:                               ;   in Loop: Header=BB329_9 Depth=1
	v_add_nc_u64_e32 v[30:31], s[4:5], v[24:25]
	global_load_b32 v30, v[30:31], off
	s_wait_loadcnt 0x0
	v_sub_nc_u32_e32 v31, 0, v30
	s_delay_alu instid0(VALU_DEP_1)
	v_max_i32_e32 v30, v30, v31
.LBB329_13:                             ;   in Loop: Header=BB329_9 Depth=1
	s_or_b32 exec_lo, exec_lo, s1
	v_add_nc_u64_e32 v[32:33], s[10:11], v[14:15]
	s_delay_alu instid0(VALU_DEP_1)
	v_cmp_lt_u64_e64 s1, v[32:33], v[4:5]
	s_and_saveexec_b32 s2, s1
	s_cbranch_execz .LBB329_15
; %bb.14:                               ;   in Loop: Header=BB329_9 Depth=1
	v_add_nc_u64_e32 v[32:33], s[4:5], v[16:17]
	global_load_b32 v28, v[32:33], off
	s_wait_loadcnt 0x0
	v_sub_nc_u32_e32 v31, 0, v28
	s_delay_alu instid0(VALU_DEP_1)
	v_max_i32_e32 v28, v28, v31
.LBB329_15:                             ;   in Loop: Header=BB329_9 Depth=1
	s_wait_xcnt 0x0
	s_or_b32 exec_lo, exec_lo, s2
	v_add_nc_u64_e32 v[32:33], s[10:11], v[12:13]
	v_mov_b32_e32 v31, 0
	s_delay_alu instid0(VALU_DEP_2)
	v_cmp_lt_u64_e64 s2, v[32:33], v[4:5]
	s_and_saveexec_b32 s3, s2
	s_cbranch_execnz .LBB329_20
; %bb.16:                               ;   in Loop: Header=BB329_9 Depth=1
	s_or_b32 exec_lo, exec_lo, s3
	s_and_saveexec_b32 s3, vcc_lo
	s_cbranch_execnz .LBB329_21
.LBB329_17:                             ;   in Loop: Header=BB329_9 Depth=1
	s_or_b32 exec_lo, exec_lo, s3
	s_and_saveexec_b32 s3, s0
	s_cbranch_execnz .LBB329_22
.LBB329_18:                             ;   in Loop: Header=BB329_9 Depth=1
	s_or_b32 exec_lo, exec_lo, s3
	s_and_saveexec_b32 s0, s1
	s_cbranch_execnz .LBB329_23
.LBB329_19:                             ;   in Loop: Header=BB329_9 Depth=1
	s_or_b32 exec_lo, exec_lo, s0
	s_and_saveexec_b32 s0, s2
	s_cbranch_execz .LBB329_8
	s_branch .LBB329_24
.LBB329_20:                             ;   in Loop: Header=BB329_9 Depth=1
	v_add_nc_u64_e32 v[32:33], s[4:5], v[20:21]
	global_load_b32 v31, v[32:33], off
	s_wait_loadcnt 0x0
	v_sub_nc_u32_e32 v32, 0, v31
	s_delay_alu instid0(VALU_DEP_1)
	v_max_i32_e32 v31, v31, v32
	s_or_b32 exec_lo, exec_lo, s3
	s_and_saveexec_b32 s3, vcc_lo
	s_cbranch_execz .LBB329_17
.LBB329_21:                             ;   in Loop: Header=BB329_9 Depth=1
	v_add_nc_u64_e32 v[32:33], s[4:5], v[10:11]
	global_store_b32 v[32:33], v29, off
	s_wait_xcnt 0x0
	s_or_b32 exec_lo, exec_lo, s3
	s_and_saveexec_b32 s3, s0
	s_cbranch_execz .LBB329_18
.LBB329_22:                             ;   in Loop: Header=BB329_9 Depth=1
	v_add_nc_u64_e32 v[32:33], s[4:5], v[26:27]
	global_store_b32 v[32:33], v30, off
	s_wait_xcnt 0x0
	s_or_b32 exec_lo, exec_lo, s3
	s_and_saveexec_b32 s0, s1
	s_cbranch_execz .LBB329_19
.LBB329_23:                             ;   in Loop: Header=BB329_9 Depth=1
	v_add_nc_u64_e32 v[32:33], s[4:5], v[18:19]
	global_store_b32 v[32:33], v28, off
	s_wait_xcnt 0x0
	s_or_b32 exec_lo, exec_lo, s0
	s_and_saveexec_b32 s0, s2
	s_cbranch_execz .LBB329_8
.LBB329_24:                             ;   in Loop: Header=BB329_9 Depth=1
	v_add_nc_u64_e32 v[28:29], s[4:5], v[22:23]
	global_store_b32 v[28:29], v31, off
	s_branch .LBB329_8
.LBB329_25:
	s_endpgm
	.section	.rodata,"a",@progbits
	.p2align	6, 0x0
	.amdhsa_kernel _ZN2at6native12_GLOBAL__N_125multi_tensor_apply_kernelINS1_18TensorListMetadataILi2EEENS1_14UnaryOpFunctorIiLi2ELi1ELi1EEEJNS0_3AbsIiEEEEEvT_T0_DpT1_
		.amdhsa_group_segment_fixed_size 0
		.amdhsa_private_segment_fixed_size 0
		.amdhsa_kernarg_size 3408
		.amdhsa_user_sgpr_count 2
		.amdhsa_user_sgpr_dispatch_ptr 0
		.amdhsa_user_sgpr_queue_ptr 0
		.amdhsa_user_sgpr_kernarg_segment_ptr 1
		.amdhsa_user_sgpr_dispatch_id 0
		.amdhsa_user_sgpr_kernarg_preload_length 0
		.amdhsa_user_sgpr_kernarg_preload_offset 0
		.amdhsa_user_sgpr_private_segment_size 0
		.amdhsa_wavefront_size32 1
		.amdhsa_uses_dynamic_stack 0
		.amdhsa_enable_private_segment 0
		.amdhsa_system_sgpr_workgroup_id_x 1
		.amdhsa_system_sgpr_workgroup_id_y 0
		.amdhsa_system_sgpr_workgroup_id_z 0
		.amdhsa_system_sgpr_workgroup_info 0
		.amdhsa_system_vgpr_workitem_id 0
		.amdhsa_next_free_vgpr 34
		.amdhsa_next_free_sgpr 20
		.amdhsa_named_barrier_count 0
		.amdhsa_reserve_vcc 1
		.amdhsa_float_round_mode_32 0
		.amdhsa_float_round_mode_16_64 0
		.amdhsa_float_denorm_mode_32 3
		.amdhsa_float_denorm_mode_16_64 3
		.amdhsa_fp16_overflow 0
		.amdhsa_memory_ordered 1
		.amdhsa_forward_progress 1
		.amdhsa_inst_pref_size 9
		.amdhsa_round_robin_scheduling 0
		.amdhsa_exception_fp_ieee_invalid_op 0
		.amdhsa_exception_fp_denorm_src 0
		.amdhsa_exception_fp_ieee_div_zero 0
		.amdhsa_exception_fp_ieee_overflow 0
		.amdhsa_exception_fp_ieee_underflow 0
		.amdhsa_exception_fp_ieee_inexact 0
		.amdhsa_exception_int_div_zero 0
	.end_amdhsa_kernel
	.section	.text._ZN2at6native12_GLOBAL__N_125multi_tensor_apply_kernelINS1_18TensorListMetadataILi2EEENS1_14UnaryOpFunctorIiLi2ELi1ELi1EEEJNS0_3AbsIiEEEEEvT_T0_DpT1_,"axG",@progbits,_ZN2at6native12_GLOBAL__N_125multi_tensor_apply_kernelINS1_18TensorListMetadataILi2EEENS1_14UnaryOpFunctorIiLi2ELi1ELi1EEEJNS0_3AbsIiEEEEEvT_T0_DpT1_,comdat
.Lfunc_end329:
	.size	_ZN2at6native12_GLOBAL__N_125multi_tensor_apply_kernelINS1_18TensorListMetadataILi2EEENS1_14UnaryOpFunctorIiLi2ELi1ELi1EEEJNS0_3AbsIiEEEEEvT_T0_DpT1_, .Lfunc_end329-_ZN2at6native12_GLOBAL__N_125multi_tensor_apply_kernelINS1_18TensorListMetadataILi2EEENS1_14UnaryOpFunctorIiLi2ELi1ELi1EEEJNS0_3AbsIiEEEEEvT_T0_DpT1_
                                        ; -- End function
	.set _ZN2at6native12_GLOBAL__N_125multi_tensor_apply_kernelINS1_18TensorListMetadataILi2EEENS1_14UnaryOpFunctorIiLi2ELi1ELi1EEEJNS0_3AbsIiEEEEEvT_T0_DpT1_.num_vgpr, 34
	.set _ZN2at6native12_GLOBAL__N_125multi_tensor_apply_kernelINS1_18TensorListMetadataILi2EEENS1_14UnaryOpFunctorIiLi2ELi1ELi1EEEJNS0_3AbsIiEEEEEvT_T0_DpT1_.num_agpr, 0
	.set _ZN2at6native12_GLOBAL__N_125multi_tensor_apply_kernelINS1_18TensorListMetadataILi2EEENS1_14UnaryOpFunctorIiLi2ELi1ELi1EEEJNS0_3AbsIiEEEEEvT_T0_DpT1_.numbered_sgpr, 20
	.set _ZN2at6native12_GLOBAL__N_125multi_tensor_apply_kernelINS1_18TensorListMetadataILi2EEENS1_14UnaryOpFunctorIiLi2ELi1ELi1EEEJNS0_3AbsIiEEEEEvT_T0_DpT1_.num_named_barrier, 0
	.set _ZN2at6native12_GLOBAL__N_125multi_tensor_apply_kernelINS1_18TensorListMetadataILi2EEENS1_14UnaryOpFunctorIiLi2ELi1ELi1EEEJNS0_3AbsIiEEEEEvT_T0_DpT1_.private_seg_size, 0
	.set _ZN2at6native12_GLOBAL__N_125multi_tensor_apply_kernelINS1_18TensorListMetadataILi2EEENS1_14UnaryOpFunctorIiLi2ELi1ELi1EEEJNS0_3AbsIiEEEEEvT_T0_DpT1_.uses_vcc, 1
	.set _ZN2at6native12_GLOBAL__N_125multi_tensor_apply_kernelINS1_18TensorListMetadataILi2EEENS1_14UnaryOpFunctorIiLi2ELi1ELi1EEEJNS0_3AbsIiEEEEEvT_T0_DpT1_.uses_flat_scratch, 0
	.set _ZN2at6native12_GLOBAL__N_125multi_tensor_apply_kernelINS1_18TensorListMetadataILi2EEENS1_14UnaryOpFunctorIiLi2ELi1ELi1EEEJNS0_3AbsIiEEEEEvT_T0_DpT1_.has_dyn_sized_stack, 0
	.set _ZN2at6native12_GLOBAL__N_125multi_tensor_apply_kernelINS1_18TensorListMetadataILi2EEENS1_14UnaryOpFunctorIiLi2ELi1ELi1EEEJNS0_3AbsIiEEEEEvT_T0_DpT1_.has_recursion, 0
	.set _ZN2at6native12_GLOBAL__N_125multi_tensor_apply_kernelINS1_18TensorListMetadataILi2EEENS1_14UnaryOpFunctorIiLi2ELi1ELi1EEEJNS0_3AbsIiEEEEEvT_T0_DpT1_.has_indirect_call, 0
	.section	.AMDGPU.csdata,"",@progbits
; Kernel info:
; codeLenInByte = 1108
; TotalNumSgprs: 22
; NumVgprs: 34
; ScratchSize: 0
; MemoryBound: 0
; FloatMode: 240
; IeeeMode: 1
; LDSByteSize: 0 bytes/workgroup (compile time only)
; SGPRBlocks: 0
; VGPRBlocks: 2
; NumSGPRsForWavesPerEU: 22
; NumVGPRsForWavesPerEU: 34
; NamedBarCnt: 0
; Occupancy: 16
; WaveLimiterHint : 0
; COMPUTE_PGM_RSRC2:SCRATCH_EN: 0
; COMPUTE_PGM_RSRC2:USER_SGPR: 2
; COMPUTE_PGM_RSRC2:TRAP_HANDLER: 0
; COMPUTE_PGM_RSRC2:TGID_X_EN: 1
; COMPUTE_PGM_RSRC2:TGID_Y_EN: 0
; COMPUTE_PGM_RSRC2:TGID_Z_EN: 0
; COMPUTE_PGM_RSRC2:TIDIG_COMP_CNT: 0
	.section	.text._ZN2at6native12_GLOBAL__N_125multi_tensor_apply_kernelINS1_18TensorListMetadataILi2EEENS1_14UnaryOpFunctorIlLi2ELi1ELi1EEEJNS0_3AbsIlEEEEEvT_T0_DpT1_,"axG",@progbits,_ZN2at6native12_GLOBAL__N_125multi_tensor_apply_kernelINS1_18TensorListMetadataILi2EEENS1_14UnaryOpFunctorIlLi2ELi1ELi1EEEJNS0_3AbsIlEEEEEvT_T0_DpT1_,comdat
	.globl	_ZN2at6native12_GLOBAL__N_125multi_tensor_apply_kernelINS1_18TensorListMetadataILi2EEENS1_14UnaryOpFunctorIlLi2ELi1ELi1EEEJNS0_3AbsIlEEEEEvT_T0_DpT1_ ; -- Begin function _ZN2at6native12_GLOBAL__N_125multi_tensor_apply_kernelINS1_18TensorListMetadataILi2EEENS1_14UnaryOpFunctorIlLi2ELi1ELi1EEEJNS0_3AbsIlEEEEEvT_T0_DpT1_
	.p2align	8
	.type	_ZN2at6native12_GLOBAL__N_125multi_tensor_apply_kernelINS1_18TensorListMetadataILi2EEENS1_14UnaryOpFunctorIlLi2ELi1ELi1EEEJNS0_3AbsIlEEEEEvT_T0_DpT1_,@function
_ZN2at6native12_GLOBAL__N_125multi_tensor_apply_kernelINS1_18TensorListMetadataILi2EEENS1_14UnaryOpFunctorIlLi2ELi1ELi1EEEJNS0_3AbsIlEEEEEvT_T0_DpT1_: ; @_ZN2at6native12_GLOBAL__N_125multi_tensor_apply_kernelINS1_18TensorListMetadataILi2EEENS1_14UnaryOpFunctorIlLi2ELi1ELi1EEEJNS0_3AbsIlEEEEEvT_T0_DpT1_
; %bb.0:
	s_bfe_u32 s2, ttmp6, 0x4000c
	s_and_b32 s3, ttmp6, 15
	s_add_co_i32 s2, s2, 1
	s_getreg_b32 s4, hwreg(HW_REG_IB_STS2, 6, 4)
	s_mul_i32 s2, ttmp9, s2
	s_mov_b32 s9, 0
	s_add_co_i32 s3, s3, s2
	s_cmp_eq_u32 s4, 0
	s_mov_b32 s15, s9
	s_cselect_b32 s8, ttmp9, s3
	s_load_u8 s11, s[0:1], s8 offset:0x600
	s_add_nc_u64 s[2:3], s[0:1], s[8:9]
	s_mul_u64 s[4:5], s[8:9], 3
	s_delay_alu instid0(SALU_CYCLE_1)
	s_add_nc_u64 s[4:5], s[2:3], s[4:5]
	s_load_b32 s10, s[4:5], 0x740
	s_wait_kmcnt 0x0
	s_clause 0x2
	s_load_b64 s[2:3], s[0:1], s11 offset:0x0 scale_offset
	s_load_b64 s[6:7], s[0:1], s11 offset:0x200 scale_offset
	;; [unrolled: 1-line block ×3, first 2 shown]
	s_wait_xcnt 0x0
	s_ashr_i32 s11, s10, 31
	s_delay_alu instid0(SALU_CYCLE_1)
	s_lshl_b64 s[4:5], s[10:11], 19
	s_wait_kmcnt 0x0
	s_and_b64 s[18:19], s[6:7], 31
	s_add_nc_u64 s[16:17], s[2:3], s[4:5]
	s_and_b32 s14, s12, 3
	s_and_b32 s8, s16, 31
	s_or_b64 s[14:15], s[18:19], s[14:15]
	s_lshl_b64 s[10:11], s[10:11], 16
	s_or_b64 s[14:15], s[14:15], s[8:9]
	s_sub_nc_u64 s[8:9], s[12:13], s[10:11]
	s_cmp_eq_u64 s[14:15], 0
	s_mov_b32 s10, -1
	s_cbranch_scc0 .LBB330_5
; %bb.1:
	v_min_i64 v[2:3], 0x10000, s[8:9]
	v_dual_mov_b32 v5, 0 :: v_dual_lshlrev_b32 v4, 2, v0
	s_mov_b32 s14, exec_lo
	s_delay_alu instid0(VALU_DEP_1)
	v_cmpx_lt_i64_e64 v[4:5], v[2:3]
	s_cbranch_execz .LBB330_4
; %bb.2:
	s_load_b32 s10, s[0:1], 0xc5c
	v_dual_mov_b32 v1, v5 :: v_dual_lshlrev_b32 v4, 5, v0
	s_mov_b32 s11, 0
	s_delay_alu instid0(SALU_CYCLE_1) | instskip(NEXT) | instid1(VALU_DEP_1)
	s_mov_b32 s13, s11
	v_add_nc_u64_e32 v[4:5], s[4:5], v[4:5]
	s_delay_alu instid0(VALU_DEP_2) | instskip(SKIP_3) | instid1(SALU_CYCLE_1)
	v_mov_b64_e32 v[6:7], v[0:1]
	s_mov_b32 s15, s11
	s_wait_kmcnt 0x0
	s_and_b32 s10, s10, 0xffff
	s_lshl_b32 s12, s10, 5
.LBB330_3:                              ; =>This Inner Loop Header: Depth=1
	s_delay_alu instid0(VALU_DEP_2) | instskip(NEXT) | instid1(VALU_DEP_2)
	v_add_nc_u64_e32 v[16:17], s[2:3], v[4:5]
	v_add_nc_u64_e32 v[6:7], s[10:11], v[6:7]
	s_clause 0x1
	global_load_b128 v[8:11], v[16:17], off
	global_load_b128 v[12:15], v[16:17], off offset:16
	s_wait_loadcnt 0x1
	s_wait_xcnt 0x0
	v_sub_nc_u64_e32 v[16:17], 0, v[8:9]
	v_sub_nc_u64_e32 v[18:19], 0, v[10:11]
	s_wait_loadcnt 0x0
	v_sub_nc_u64_e32 v[20:21], 0, v[12:13]
	v_sub_nc_u64_e32 v[22:23], 0, v[14:15]
	s_delay_alu instid0(VALU_DEP_4) | instskip(NEXT) | instid1(VALU_DEP_4)
	v_max_i64 v[8:9], v[8:9], v[16:17]
	v_max_i64 v[10:11], v[10:11], v[18:19]
	s_delay_alu instid0(VALU_DEP_4) | instskip(NEXT) | instid1(VALU_DEP_4)
	v_max_i64 v[12:13], v[12:13], v[20:21]
	v_max_i64 v[14:15], v[14:15], v[22:23]
	v_lshlrev_b64_e32 v[16:17], 2, v[6:7]
	s_delay_alu instid0(VALU_DEP_1)
	v_cmp_ge_i64_e32 vcc_lo, v[16:17], v[2:3]
	v_add_nc_u64_e32 v[16:17], s[6:7], v[4:5]
	v_add_nc_u64_e32 v[4:5], s[12:13], v[4:5]
	s_clause 0x1
	global_store_b128 v[16:17], v[8:11], off
	global_store_b128 v[16:17], v[12:15], off offset:16
	s_or_b32 s15, vcc_lo, s15
	s_wait_xcnt 0x0
	s_and_not1_b32 exec_lo, exec_lo, s15
	s_cbranch_execnz .LBB330_3
.LBB330_4:
	s_or_b32 exec_lo, exec_lo, s14
	s_mov_b32 s10, 0
.LBB330_5:
	s_delay_alu instid0(SALU_CYCLE_1)
	s_and_not1_b32 vcc_lo, exec_lo, s10
	s_cbranch_vccnz .LBB330_25
; %bb.6:
	v_cmp_lt_i64_e64 s10, s[8:9], 1
	s_and_b32 vcc_lo, exec_lo, s10
	s_cbranch_vccnz .LBB330_25
; %bb.7:
	s_load_b32 s0, s[0:1], 0xc5c
	v_min_i64 v[2:3], 0x10000, s[8:9]
	v_min_u64 v[4:5], 0x10000, s[8:9]
	v_dual_mov_b32 v1, 0 :: v_dual_lshlrev_b32 v10, 3, v0
	s_mov_b32 s9, 0
	s_delay_alu instid0(SALU_CYCLE_1) | instskip(NEXT) | instid1(VALU_DEP_1)
	s_mov_b32 s13, s9
	v_dual_mov_b32 v11, v1 :: v_dual_mov_b32 v27, v1
	s_wait_xcnt 0x0
	s_mov_b32 s1, s9
	s_mov_b32 s11, s9
	s_delay_alu instid0(VALU_DEP_1) | instskip(SKIP_2) | instid1(SALU_CYCLE_1)
	v_add_nc_u64_e32 v[6:7], s[2:3], v[10:11]
	s_wait_kmcnt 0x0
	s_and_b32 s8, s0, 0xffff
	v_add_nc_u64_e32 v[8:9], s[8:9], v[0:1]
	v_mad_nc_u64_u32 v[22:23], s8, 24, v[10:11]
	s_lshl_b32 s12, s8, 4
	s_mul_i32 s10, s8, 3
	v_add_nc_u64_e32 v[18:19], s[12:13], v[10:11]
	s_lshl_b32 s0, s8, 1
	v_add_nc_u64_e32 v[10:11], s[6:7], v[10:11]
	v_lshlrev_b32_e32 v26, 3, v8
	v_add_nc_u64_e32 v[12:13], s[10:11], v[0:1]
	v_add_nc_u64_e32 v[14:15], s[0:1], v[0:1]
	s_mov_b64 s[10:11], 0
	v_add_nc_u64_e32 v[16:17], s[2:3], v[18:19]
	v_add_nc_u64_e32 v[18:19], s[6:7], v[18:19]
	;; [unrolled: 1-line block ×6, first 2 shown]
	s_lshl_b32 s6, s8, 2
	s_mov_b32 s7, s9
	s_lshl_b32 s8, s8, 5
	s_branch .LBB330_9
.LBB330_8:                              ;   in Loop: Header=BB330_9 Depth=1
	s_wait_xcnt 0x0
	s_or_b32 exec_lo, exec_lo, s0
	s_add_nc_u64 s[10:11], s[10:11], s[6:7]
	v_add_nc_u64_e32 v[6:7], s[8:9], v[6:7]
	v_cmp_ge_i64_e32 vcc_lo, s[10:11], v[2:3]
	v_add_nc_u64_e32 v[10:11], s[8:9], v[10:11]
	v_add_nc_u64_e32 v[20:21], s[8:9], v[20:21]
	;; [unrolled: 1-line block ×7, first 2 shown]
	s_cbranch_vccnz .LBB330_25
.LBB330_9:                              ; =>This Inner Loop Header: Depth=1
	v_add_nc_u64_e32 v[30:31], s[10:11], v[0:1]
	v_mov_b64_e32 v[28:29], 0
	s_delay_alu instid0(VALU_DEP_2)
	v_cmp_lt_u64_e32 vcc_lo, v[30:31], v[4:5]
	v_mov_b64_e32 v[30:31], 0
	s_and_saveexec_b32 s0, vcc_lo
	s_cbranch_execz .LBB330_11
; %bb.10:                               ;   in Loop: Header=BB330_9 Depth=1
	v_add_nc_u64_e32 v[30:31], s[4:5], v[6:7]
	global_load_b64 v[30:31], v[30:31], off
	s_wait_loadcnt 0x0
	v_sub_nc_u64_e32 v[32:33], 0, v[30:31]
	s_wait_xcnt 0x0
	s_delay_alu instid0(VALU_DEP_1)
	v_max_i64 v[30:31], v[30:31], v[32:33]
.LBB330_11:                             ;   in Loop: Header=BB330_9 Depth=1
	s_or_b32 exec_lo, exec_lo, s0
	v_add_nc_u64_e32 v[32:33], s[10:11], v[8:9]
	s_delay_alu instid0(VALU_DEP_1)
	v_cmp_lt_u64_e64 s0, v[32:33], v[4:5]
	s_and_saveexec_b32 s1, s0
	s_cbranch_execz .LBB330_13
; %bb.12:                               ;   in Loop: Header=BB330_9 Depth=1
	v_add_nc_u64_e32 v[28:29], s[4:5], v[24:25]
	global_load_b64 v[28:29], v[28:29], off
	s_wait_loadcnt 0x0
	v_sub_nc_u64_e32 v[32:33], 0, v[28:29]
	s_wait_xcnt 0x0
	s_delay_alu instid0(VALU_DEP_1)
	v_max_i64 v[28:29], v[28:29], v[32:33]
.LBB330_13:                             ;   in Loop: Header=BB330_9 Depth=1
	s_or_b32 exec_lo, exec_lo, s1
	v_add_nc_u64_e32 v[34:35], s[10:11], v[14:15]
	v_mov_b64_e32 v[32:33], 0
	s_delay_alu instid0(VALU_DEP_2)
	v_cmp_lt_u64_e64 s1, v[34:35], v[4:5]
	v_mov_b64_e32 v[34:35], 0
	s_and_saveexec_b32 s2, s1
	s_cbranch_execz .LBB330_15
; %bb.14:                               ;   in Loop: Header=BB330_9 Depth=1
	v_add_nc_u64_e32 v[34:35], s[4:5], v[16:17]
	global_load_b64 v[34:35], v[34:35], off
	s_wait_loadcnt 0x0
	v_sub_nc_u64_e32 v[36:37], 0, v[34:35]
	s_wait_xcnt 0x0
	s_delay_alu instid0(VALU_DEP_1)
	v_max_i64 v[34:35], v[34:35], v[36:37]
.LBB330_15:                             ;   in Loop: Header=BB330_9 Depth=1
	s_or_b32 exec_lo, exec_lo, s2
	v_add_nc_u64_e32 v[36:37], s[10:11], v[12:13]
	s_delay_alu instid0(VALU_DEP_1)
	v_cmp_lt_u64_e64 s2, v[36:37], v[4:5]
	s_and_saveexec_b32 s3, s2
	s_cbranch_execnz .LBB330_20
; %bb.16:                               ;   in Loop: Header=BB330_9 Depth=1
	s_or_b32 exec_lo, exec_lo, s3
	s_and_saveexec_b32 s3, vcc_lo
	s_cbranch_execnz .LBB330_21
.LBB330_17:                             ;   in Loop: Header=BB330_9 Depth=1
	s_or_b32 exec_lo, exec_lo, s3
	s_and_saveexec_b32 s3, s0
	s_cbranch_execnz .LBB330_22
.LBB330_18:                             ;   in Loop: Header=BB330_9 Depth=1
	s_or_b32 exec_lo, exec_lo, s3
	s_and_saveexec_b32 s0, s1
	s_cbranch_execnz .LBB330_23
.LBB330_19:                             ;   in Loop: Header=BB330_9 Depth=1
	s_or_b32 exec_lo, exec_lo, s0
	s_and_saveexec_b32 s0, s2
	s_cbranch_execz .LBB330_8
	s_branch .LBB330_24
.LBB330_20:                             ;   in Loop: Header=BB330_9 Depth=1
	v_add_nc_u64_e32 v[32:33], s[4:5], v[20:21]
	global_load_b64 v[32:33], v[32:33], off
	s_wait_loadcnt 0x0
	v_sub_nc_u64_e32 v[36:37], 0, v[32:33]
	s_wait_xcnt 0x0
	s_delay_alu instid0(VALU_DEP_1)
	v_max_i64 v[32:33], v[32:33], v[36:37]
	s_or_b32 exec_lo, exec_lo, s3
	s_and_saveexec_b32 s3, vcc_lo
	s_cbranch_execz .LBB330_17
.LBB330_21:                             ;   in Loop: Header=BB330_9 Depth=1
	v_add_nc_u64_e32 v[36:37], s[4:5], v[10:11]
	global_store_b64 v[36:37], v[30:31], off
	s_wait_xcnt 0x0
	s_or_b32 exec_lo, exec_lo, s3
	s_and_saveexec_b32 s3, s0
	s_cbranch_execz .LBB330_18
.LBB330_22:                             ;   in Loop: Header=BB330_9 Depth=1
	v_add_nc_u64_e32 v[30:31], s[4:5], v[26:27]
	global_store_b64 v[30:31], v[28:29], off
	s_wait_xcnt 0x0
	s_or_b32 exec_lo, exec_lo, s3
	s_and_saveexec_b32 s0, s1
	s_cbranch_execz .LBB330_19
.LBB330_23:                             ;   in Loop: Header=BB330_9 Depth=1
	v_add_nc_u64_e32 v[28:29], s[4:5], v[18:19]
	global_store_b64 v[28:29], v[34:35], off
	s_wait_xcnt 0x0
	s_or_b32 exec_lo, exec_lo, s0
	s_and_saveexec_b32 s0, s2
	s_cbranch_execz .LBB330_8
.LBB330_24:                             ;   in Loop: Header=BB330_9 Depth=1
	v_add_nc_u64_e32 v[28:29], s[4:5], v[22:23]
	global_store_b64 v[28:29], v[32:33], off
	s_branch .LBB330_8
.LBB330_25:
	s_endpgm
	.section	.rodata,"a",@progbits
	.p2align	6, 0x0
	.amdhsa_kernel _ZN2at6native12_GLOBAL__N_125multi_tensor_apply_kernelINS1_18TensorListMetadataILi2EEENS1_14UnaryOpFunctorIlLi2ELi1ELi1EEEJNS0_3AbsIlEEEEEvT_T0_DpT1_
		.amdhsa_group_segment_fixed_size 0
		.amdhsa_private_segment_fixed_size 0
		.amdhsa_kernarg_size 3408
		.amdhsa_user_sgpr_count 2
		.amdhsa_user_sgpr_dispatch_ptr 0
		.amdhsa_user_sgpr_queue_ptr 0
		.amdhsa_user_sgpr_kernarg_segment_ptr 1
		.amdhsa_user_sgpr_dispatch_id 0
		.amdhsa_user_sgpr_kernarg_preload_length 0
		.amdhsa_user_sgpr_kernarg_preload_offset 0
		.amdhsa_user_sgpr_private_segment_size 0
		.amdhsa_wavefront_size32 1
		.amdhsa_uses_dynamic_stack 0
		.amdhsa_enable_private_segment 0
		.amdhsa_system_sgpr_workgroup_id_x 1
		.amdhsa_system_sgpr_workgroup_id_y 0
		.amdhsa_system_sgpr_workgroup_id_z 0
		.amdhsa_system_sgpr_workgroup_info 0
		.amdhsa_system_vgpr_workitem_id 0
		.amdhsa_next_free_vgpr 38
		.amdhsa_next_free_sgpr 20
		.amdhsa_named_barrier_count 0
		.amdhsa_reserve_vcc 1
		.amdhsa_float_round_mode_32 0
		.amdhsa_float_round_mode_16_64 0
		.amdhsa_float_denorm_mode_32 3
		.amdhsa_float_denorm_mode_16_64 3
		.amdhsa_fp16_overflow 0
		.amdhsa_memory_ordered 1
		.amdhsa_forward_progress 1
		.amdhsa_inst_pref_size 10
		.amdhsa_round_robin_scheduling 0
		.amdhsa_exception_fp_ieee_invalid_op 0
		.amdhsa_exception_fp_denorm_src 0
		.amdhsa_exception_fp_ieee_div_zero 0
		.amdhsa_exception_fp_ieee_overflow 0
		.amdhsa_exception_fp_ieee_underflow 0
		.amdhsa_exception_fp_ieee_inexact 0
		.amdhsa_exception_int_div_zero 0
	.end_amdhsa_kernel
	.section	.text._ZN2at6native12_GLOBAL__N_125multi_tensor_apply_kernelINS1_18TensorListMetadataILi2EEENS1_14UnaryOpFunctorIlLi2ELi1ELi1EEEJNS0_3AbsIlEEEEEvT_T0_DpT1_,"axG",@progbits,_ZN2at6native12_GLOBAL__N_125multi_tensor_apply_kernelINS1_18TensorListMetadataILi2EEENS1_14UnaryOpFunctorIlLi2ELi1ELi1EEEJNS0_3AbsIlEEEEEvT_T0_DpT1_,comdat
.Lfunc_end330:
	.size	_ZN2at6native12_GLOBAL__N_125multi_tensor_apply_kernelINS1_18TensorListMetadataILi2EEENS1_14UnaryOpFunctorIlLi2ELi1ELi1EEEJNS0_3AbsIlEEEEEvT_T0_DpT1_, .Lfunc_end330-_ZN2at6native12_GLOBAL__N_125multi_tensor_apply_kernelINS1_18TensorListMetadataILi2EEENS1_14UnaryOpFunctorIlLi2ELi1ELi1EEEJNS0_3AbsIlEEEEEvT_T0_DpT1_
                                        ; -- End function
	.set _ZN2at6native12_GLOBAL__N_125multi_tensor_apply_kernelINS1_18TensorListMetadataILi2EEENS1_14UnaryOpFunctorIlLi2ELi1ELi1EEEJNS0_3AbsIlEEEEEvT_T0_DpT1_.num_vgpr, 38
	.set _ZN2at6native12_GLOBAL__N_125multi_tensor_apply_kernelINS1_18TensorListMetadataILi2EEENS1_14UnaryOpFunctorIlLi2ELi1ELi1EEEJNS0_3AbsIlEEEEEvT_T0_DpT1_.num_agpr, 0
	.set _ZN2at6native12_GLOBAL__N_125multi_tensor_apply_kernelINS1_18TensorListMetadataILi2EEENS1_14UnaryOpFunctorIlLi2ELi1ELi1EEEJNS0_3AbsIlEEEEEvT_T0_DpT1_.numbered_sgpr, 20
	.set _ZN2at6native12_GLOBAL__N_125multi_tensor_apply_kernelINS1_18TensorListMetadataILi2EEENS1_14UnaryOpFunctorIlLi2ELi1ELi1EEEJNS0_3AbsIlEEEEEvT_T0_DpT1_.num_named_barrier, 0
	.set _ZN2at6native12_GLOBAL__N_125multi_tensor_apply_kernelINS1_18TensorListMetadataILi2EEENS1_14UnaryOpFunctorIlLi2ELi1ELi1EEEJNS0_3AbsIlEEEEEvT_T0_DpT1_.private_seg_size, 0
	.set _ZN2at6native12_GLOBAL__N_125multi_tensor_apply_kernelINS1_18TensorListMetadataILi2EEENS1_14UnaryOpFunctorIlLi2ELi1ELi1EEEJNS0_3AbsIlEEEEEvT_T0_DpT1_.uses_vcc, 1
	.set _ZN2at6native12_GLOBAL__N_125multi_tensor_apply_kernelINS1_18TensorListMetadataILi2EEENS1_14UnaryOpFunctorIlLi2ELi1ELi1EEEJNS0_3AbsIlEEEEEvT_T0_DpT1_.uses_flat_scratch, 0
	.set _ZN2at6native12_GLOBAL__N_125multi_tensor_apply_kernelINS1_18TensorListMetadataILi2EEENS1_14UnaryOpFunctorIlLi2ELi1ELi1EEEJNS0_3AbsIlEEEEEvT_T0_DpT1_.has_dyn_sized_stack, 0
	.set _ZN2at6native12_GLOBAL__N_125multi_tensor_apply_kernelINS1_18TensorListMetadataILi2EEENS1_14UnaryOpFunctorIlLi2ELi1ELi1EEEJNS0_3AbsIlEEEEEvT_T0_DpT1_.has_recursion, 0
	.set _ZN2at6native12_GLOBAL__N_125multi_tensor_apply_kernelINS1_18TensorListMetadataILi2EEENS1_14UnaryOpFunctorIlLi2ELi1ELi1EEEJNS0_3AbsIlEEEEEvT_T0_DpT1_.has_indirect_call, 0
	.section	.AMDGPU.csdata,"",@progbits
; Kernel info:
; codeLenInByte = 1180
; TotalNumSgprs: 22
; NumVgprs: 38
; ScratchSize: 0
; MemoryBound: 0
; FloatMode: 240
; IeeeMode: 1
; LDSByteSize: 0 bytes/workgroup (compile time only)
; SGPRBlocks: 0
; VGPRBlocks: 2
; NumSGPRsForWavesPerEU: 22
; NumVGPRsForWavesPerEU: 38
; NamedBarCnt: 0
; Occupancy: 16
; WaveLimiterHint : 0
; COMPUTE_PGM_RSRC2:SCRATCH_EN: 0
; COMPUTE_PGM_RSRC2:USER_SGPR: 2
; COMPUTE_PGM_RSRC2:TRAP_HANDLER: 0
; COMPUTE_PGM_RSRC2:TGID_X_EN: 1
; COMPUTE_PGM_RSRC2:TGID_Y_EN: 0
; COMPUTE_PGM_RSRC2:TGID_Z_EN: 0
; COMPUTE_PGM_RSRC2:TIDIG_COMP_CNT: 0
	.section	.text._ZN2at6native12_GLOBAL__N_125multi_tensor_apply_kernelINS1_18TensorListMetadataILi2EEENS1_14UnaryOpFunctorIsLi2ELi1ELi1EEEJNS0_3AbsIsEEEEEvT_T0_DpT1_,"axG",@progbits,_ZN2at6native12_GLOBAL__N_125multi_tensor_apply_kernelINS1_18TensorListMetadataILi2EEENS1_14UnaryOpFunctorIsLi2ELi1ELi1EEEJNS0_3AbsIsEEEEEvT_T0_DpT1_,comdat
	.globl	_ZN2at6native12_GLOBAL__N_125multi_tensor_apply_kernelINS1_18TensorListMetadataILi2EEENS1_14UnaryOpFunctorIsLi2ELi1ELi1EEEJNS0_3AbsIsEEEEEvT_T0_DpT1_ ; -- Begin function _ZN2at6native12_GLOBAL__N_125multi_tensor_apply_kernelINS1_18TensorListMetadataILi2EEENS1_14UnaryOpFunctorIsLi2ELi1ELi1EEEJNS0_3AbsIsEEEEEvT_T0_DpT1_
	.p2align	8
	.type	_ZN2at6native12_GLOBAL__N_125multi_tensor_apply_kernelINS1_18TensorListMetadataILi2EEENS1_14UnaryOpFunctorIsLi2ELi1ELi1EEEJNS0_3AbsIsEEEEEvT_T0_DpT1_,@function
_ZN2at6native12_GLOBAL__N_125multi_tensor_apply_kernelINS1_18TensorListMetadataILi2EEENS1_14UnaryOpFunctorIsLi2ELi1ELi1EEEJNS0_3AbsIsEEEEEvT_T0_DpT1_: ; @_ZN2at6native12_GLOBAL__N_125multi_tensor_apply_kernelINS1_18TensorListMetadataILi2EEENS1_14UnaryOpFunctorIsLi2ELi1ELi1EEEJNS0_3AbsIsEEEEEvT_T0_DpT1_
; %bb.0:
	s_bfe_u32 s2, ttmp6, 0x4000c
	s_and_b32 s3, ttmp6, 15
	s_add_co_i32 s2, s2, 1
	s_getreg_b32 s4, hwreg(HW_REG_IB_STS2, 6, 4)
	s_mul_i32 s2, ttmp9, s2
	s_mov_b32 s7, 0
	s_add_co_i32 s3, s3, s2
	s_cmp_eq_u32 s4, 0
	s_mov_b32 s15, s7
	s_cselect_b32 s6, ttmp9, s3
	s_load_u8 s11, s[0:1], s6 offset:0x600
	s_add_nc_u64 s[2:3], s[0:1], s[6:7]
	s_mul_u64 s[4:5], s[6:7], 3
	s_delay_alu instid0(SALU_CYCLE_1)
	s_add_nc_u64 s[4:5], s[2:3], s[4:5]
	s_load_b32 s10, s[4:5], 0x740
	s_wait_kmcnt 0x0
	s_clause 0x2
	s_load_b64 s[2:3], s[0:1], s11 offset:0x0 scale_offset
	s_load_b64 s[8:9], s[0:1], s11 offset:0x200 scale_offset
	;; [unrolled: 1-line block ×3, first 2 shown]
	s_wait_xcnt 0x0
	s_ashr_i32 s11, s10, 31
	s_delay_alu instid0(SALU_CYCLE_1)
	s_lshl_b64 s[4:5], s[10:11], 17
	s_wait_kmcnt 0x0
	s_and_b64 s[18:19], s[8:9], 7
	s_add_nc_u64 s[16:17], s[2:3], s[4:5]
	s_and_b32 s14, s12, 3
	s_and_b32 s6, s16, 7
	s_or_b64 s[14:15], s[18:19], s[14:15]
	s_lshl_b64 s[10:11], s[10:11], 16
	s_or_b64 s[14:15], s[14:15], s[6:7]
	s_sub_nc_u64 s[6:7], s[12:13], s[10:11]
	s_cmp_eq_u64 s[14:15], 0
	s_mov_b32 s10, -1
	s_cbranch_scc0 .LBB331_5
; %bb.1:
	v_min_i64 v[2:3], 0x10000, s[6:7]
	v_dual_mov_b32 v5, 0 :: v_dual_lshlrev_b32 v4, 2, v0
	s_mov_b32 s14, exec_lo
	s_delay_alu instid0(VALU_DEP_1)
	v_cmpx_lt_i64_e64 v[4:5], v[2:3]
	s_cbranch_execz .LBB331_4
; %bb.2:
	s_load_b32 s10, s[0:1], 0xc5c
	v_dual_mov_b32 v1, v5 :: v_dual_lshlrev_b32 v4, 3, v0
	s_mov_b32 s11, 0
	s_delay_alu instid0(SALU_CYCLE_1) | instskip(NEXT) | instid1(VALU_DEP_1)
	s_mov_b32 s13, s11
	v_add_nc_u64_e32 v[4:5], s[4:5], v[4:5]
	s_delay_alu instid0(VALU_DEP_2) | instskip(SKIP_3) | instid1(SALU_CYCLE_1)
	v_mov_b64_e32 v[6:7], v[0:1]
	s_mov_b32 s15, s11
	s_wait_kmcnt 0x0
	s_and_b32 s10, s10, 0xffff
	s_lshl_b32 s12, s10, 3
.LBB331_3:                              ; =>This Inner Loop Header: Depth=1
	s_delay_alu instid0(VALU_DEP_2) | instskip(NEXT) | instid1(VALU_DEP_2)
	v_add_nc_u64_e32 v[8:9], s[2:3], v[4:5]
	v_add_nc_u64_e32 v[6:7], s[10:11], v[6:7]
	global_load_b64 v[8:9], v[8:9], off
	v_lshlrev_b64_e32 v[10:11], 2, v[6:7]
	s_delay_alu instid0(VALU_DEP_1)
	v_cmp_ge_i64_e32 vcc_lo, v[10:11], v[2:3]
	v_add_nc_u64_e32 v[10:11], s[8:9], v[4:5]
	v_add_nc_u64_e32 v[4:5], s[12:13], v[4:5]
	s_or_b32 s15, vcc_lo, s15
	s_wait_loadcnt 0x0
	v_pk_sub_i16 v1, 0, v9
	v_pk_sub_i16 v12, 0, v8
	s_wait_xcnt 0x0
	s_delay_alu instid0(VALU_DEP_2) | instskip(NEXT) | instid1(VALU_DEP_2)
	v_pk_max_i16 v9, v9, v1
	v_pk_max_i16 v8, v8, v12
	global_store_b64 v[10:11], v[8:9], off
	s_wait_xcnt 0x0
	s_and_not1_b32 exec_lo, exec_lo, s15
	s_cbranch_execnz .LBB331_3
.LBB331_4:
	s_or_b32 exec_lo, exec_lo, s14
	s_mov_b32 s10, 0
.LBB331_5:
	s_delay_alu instid0(SALU_CYCLE_1)
	s_and_not1_b32 vcc_lo, exec_lo, s10
	s_cbranch_vccnz .LBB331_25
; %bb.6:
	v_cmp_lt_i64_e64 s10, s[6:7], 1
	s_and_b32 vcc_lo, exec_lo, s10
	s_cbranch_vccnz .LBB331_25
; %bb.7:
	s_load_b32 s0, s[0:1], 0xc5c
	v_min_i64 v[2:3], 0x10000, s[6:7]
	v_min_u64 v[4:5], 0x10000, s[6:7]
	v_dual_mov_b32 v1, 0 :: v_dual_lshlrev_b32 v10, 1, v0
	s_wait_xcnt 0x0
	s_mov_b32 s1, 0
	s_delay_alu instid0(SALU_CYCLE_1) | instskip(NEXT) | instid1(VALU_DEP_1)
	s_mov_b32 s7, s1
	v_dual_mov_b32 v11, v1 :: v_dual_mov_b32 v27, v1
	s_mov_b32 s11, s1
	s_mov_b32 s13, s1
	v_mov_b32_e32 v29, v1
	s_delay_alu instid0(VALU_DEP_2) | instskip(SKIP_3) | instid1(SALU_CYCLE_1)
	v_add_nc_u64_e32 v[6:7], s[2:3], v[10:11]
	v_mov_b32_e32 v28, v1
	s_wait_kmcnt 0x0
	s_and_b32 s0, s0, 0xffff
	v_add_nc_u64_e32 v[8:9], s[0:1], v[0:1]
	v_mad_nc_u64_u32 v[22:23], s0, 6, v[10:11]
	s_lshl_b32 s6, s0, 2
	s_mul_i32 s12, s0, 3
	v_add_nc_u64_e32 v[18:19], s[6:7], v[10:11]
	s_lshl_b32 s10, s0, 1
	v_add_nc_u64_e32 v[10:11], s[8:9], v[10:11]
	v_lshlrev_b32_e32 v26, 1, v8
	v_add_nc_u64_e32 v[12:13], s[12:13], v[0:1]
	v_add_nc_u64_e32 v[14:15], s[10:11], v[0:1]
	s_mov_b64 s[10:11], 0
	v_add_nc_u64_e32 v[16:17], s[2:3], v[18:19]
	v_add_nc_u64_e32 v[18:19], s[8:9], v[18:19]
	v_add_nc_u64_e32 v[20:21], s[2:3], v[22:23]
	v_add_nc_u64_e32 v[22:23], s[8:9], v[22:23]
	v_add_nc_u64_e32 v[24:25], s[2:3], v[26:27]
	v_add_nc_u64_e32 v[26:27], s[8:9], v[26:27]
	s_lshl_b32 s8, s0, 3
	s_mov_b32 s9, s1
	s_branch .LBB331_9
.LBB331_8:                              ;   in Loop: Header=BB331_9 Depth=1
	s_wait_xcnt 0x0
	s_or_b32 exec_lo, exec_lo, s0
	s_add_nc_u64 s[10:11], s[10:11], s[6:7]
	v_add_nc_u64_e32 v[6:7], s[8:9], v[6:7]
	v_cmp_ge_i64_e32 vcc_lo, s[10:11], v[2:3]
	v_add_nc_u64_e32 v[10:11], s[8:9], v[10:11]
	v_add_nc_u64_e32 v[20:21], s[8:9], v[20:21]
	;; [unrolled: 1-line block ×7, first 2 shown]
	s_cbranch_vccnz .LBB331_25
.LBB331_9:                              ; =>This Inner Loop Header: Depth=1
	v_add_nc_u64_e32 v[30:31], s[10:11], v[0:1]
	v_and_b32_e32 v28, 0xffff0000, v28
	s_delay_alu instid0(VALU_DEP_2)
	v_cmp_lt_u64_e32 vcc_lo, v[30:31], v[4:5]
	s_and_saveexec_b32 s0, vcc_lo
	s_cbranch_execz .LBB331_11
; %bb.10:                               ;   in Loop: Header=BB331_9 Depth=1
	v_add_nc_u64_e32 v[30:31], s[4:5], v[6:7]
	global_load_u16 v30, v[30:31], off
	s_wait_loadcnt 0x0
	v_bfi_b32 v28, 0xffff, v30, v28
.LBB331_11:                             ;   in Loop: Header=BB331_9 Depth=1
	s_wait_xcnt 0x0
	s_or_b32 exec_lo, exec_lo, s0
	v_add_nc_u64_e32 v[30:31], s[10:11], v[8:9]
	s_delay_alu instid0(VALU_DEP_2) | instskip(NEXT) | instid1(VALU_DEP_2)
	v_and_b32_e32 v28, 0xffff, v28
	v_cmp_lt_u64_e64 s0, v[30:31], v[4:5]
	s_and_saveexec_b32 s1, s0
	s_cbranch_execz .LBB331_13
; %bb.12:                               ;   in Loop: Header=BB331_9 Depth=1
	v_add_nc_u64_e32 v[30:31], s[4:5], v[24:25]
	global_load_u16 v30, v[30:31], off
	s_wait_loadcnt 0x0
	v_perm_b32 v28, v30, v28, 0x5040100
.LBB331_13:                             ;   in Loop: Header=BB331_9 Depth=1
	s_wait_xcnt 0x0
	s_or_b32 exec_lo, exec_lo, s1
	v_add_nc_u64_e32 v[30:31], s[10:11], v[14:15]
	v_and_b32_e32 v29, 0xffff0000, v29
	s_delay_alu instid0(VALU_DEP_2)
	v_cmp_lt_u64_e64 s1, v[30:31], v[4:5]
	s_and_saveexec_b32 s2, s1
	s_cbranch_execz .LBB331_15
; %bb.14:                               ;   in Loop: Header=BB331_9 Depth=1
	v_add_nc_u64_e32 v[30:31], s[4:5], v[16:17]
	global_load_u16 v30, v[30:31], off
	s_wait_loadcnt 0x0
	v_bfi_b32 v29, 0xffff, v30, v29
.LBB331_15:                             ;   in Loop: Header=BB331_9 Depth=1
	s_wait_xcnt 0x0
	s_or_b32 exec_lo, exec_lo, s2
	v_add_nc_u64_e32 v[30:31], s[10:11], v[12:13]
	s_delay_alu instid0(VALU_DEP_2) | instskip(NEXT) | instid1(VALU_DEP_2)
	v_and_b32_e32 v29, 0xffff, v29
	v_cmp_lt_u64_e64 s2, v[30:31], v[4:5]
	s_and_saveexec_b32 s3, s2
	s_cbranch_execz .LBB331_17
; %bb.16:                               ;   in Loop: Header=BB331_9 Depth=1
	v_add_nc_u64_e32 v[30:31], s[4:5], v[20:21]
	global_load_u16 v30, v[30:31], off
	s_wait_loadcnt 0x0
	v_perm_b32 v29, v30, v29, 0x5040100
.LBB331_17:                             ;   in Loop: Header=BB331_9 Depth=1
	s_wait_xcnt 0x0
	s_or_b32 exec_lo, exec_lo, s3
	s_delay_alu instid0(VALU_DEP_1) | instskip(SKIP_1) | instid1(VALU_DEP_2)
	v_pk_sub_i16 v30, 0, v29
	v_pk_sub_i16 v31, 0, v28
	v_pk_max_i16 v29, v29, v30
	s_delay_alu instid0(VALU_DEP_2)
	v_pk_max_i16 v28, v28, v31
	s_and_saveexec_b32 s3, vcc_lo
	s_cbranch_execnz .LBB331_21
; %bb.18:                               ;   in Loop: Header=BB331_9 Depth=1
	s_or_b32 exec_lo, exec_lo, s3
	s_and_saveexec_b32 s3, s0
	s_cbranch_execnz .LBB331_22
.LBB331_19:                             ;   in Loop: Header=BB331_9 Depth=1
	s_or_b32 exec_lo, exec_lo, s3
	s_and_saveexec_b32 s0, s1
	s_cbranch_execnz .LBB331_23
.LBB331_20:                             ;   in Loop: Header=BB331_9 Depth=1
	s_or_b32 exec_lo, exec_lo, s0
	s_and_saveexec_b32 s0, s2
	s_cbranch_execz .LBB331_8
	s_branch .LBB331_24
.LBB331_21:                             ;   in Loop: Header=BB331_9 Depth=1
	v_add_nc_u64_e32 v[30:31], s[4:5], v[10:11]
	global_store_b16 v[30:31], v28, off
	s_wait_xcnt 0x0
	s_or_b32 exec_lo, exec_lo, s3
	s_and_saveexec_b32 s3, s0
	s_cbranch_execz .LBB331_19
.LBB331_22:                             ;   in Loop: Header=BB331_9 Depth=1
	v_add_nc_u64_e32 v[30:31], s[4:5], v[26:27]
	global_store_d16_hi_b16 v[30:31], v28, off
	s_wait_xcnt 0x0
	s_or_b32 exec_lo, exec_lo, s3
	s_and_saveexec_b32 s0, s1
	s_cbranch_execz .LBB331_20
.LBB331_23:                             ;   in Loop: Header=BB331_9 Depth=1
	v_add_nc_u64_e32 v[30:31], s[4:5], v[18:19]
	global_store_b16 v[30:31], v29, off
	s_wait_xcnt 0x0
	s_or_b32 exec_lo, exec_lo, s0
	s_and_saveexec_b32 s0, s2
	s_cbranch_execz .LBB331_8
.LBB331_24:                             ;   in Loop: Header=BB331_9 Depth=1
	v_add_nc_u64_e32 v[30:31], s[4:5], v[22:23]
	global_store_d16_hi_b16 v[30:31], v29, off
	s_branch .LBB331_8
.LBB331_25:
	s_endpgm
	.section	.rodata,"a",@progbits
	.p2align	6, 0x0
	.amdhsa_kernel _ZN2at6native12_GLOBAL__N_125multi_tensor_apply_kernelINS1_18TensorListMetadataILi2EEENS1_14UnaryOpFunctorIsLi2ELi1ELi1EEEJNS0_3AbsIsEEEEEvT_T0_DpT1_
		.amdhsa_group_segment_fixed_size 0
		.amdhsa_private_segment_fixed_size 0
		.amdhsa_kernarg_size 3408
		.amdhsa_user_sgpr_count 2
		.amdhsa_user_sgpr_dispatch_ptr 0
		.amdhsa_user_sgpr_queue_ptr 0
		.amdhsa_user_sgpr_kernarg_segment_ptr 1
		.amdhsa_user_sgpr_dispatch_id 0
		.amdhsa_user_sgpr_kernarg_preload_length 0
		.amdhsa_user_sgpr_kernarg_preload_offset 0
		.amdhsa_user_sgpr_private_segment_size 0
		.amdhsa_wavefront_size32 1
		.amdhsa_uses_dynamic_stack 0
		.amdhsa_enable_private_segment 0
		.amdhsa_system_sgpr_workgroup_id_x 1
		.amdhsa_system_sgpr_workgroup_id_y 0
		.amdhsa_system_sgpr_workgroup_id_z 0
		.amdhsa_system_sgpr_workgroup_info 0
		.amdhsa_system_vgpr_workitem_id 0
		.amdhsa_next_free_vgpr 32
		.amdhsa_next_free_sgpr 20
		.amdhsa_named_barrier_count 0
		.amdhsa_reserve_vcc 1
		.amdhsa_float_round_mode_32 0
		.amdhsa_float_round_mode_16_64 0
		.amdhsa_float_denorm_mode_32 3
		.amdhsa_float_denorm_mode_16_64 3
		.amdhsa_fp16_overflow 0
		.amdhsa_memory_ordered 1
		.amdhsa_forward_progress 1
		.amdhsa_inst_pref_size 10
		.amdhsa_round_robin_scheduling 0
		.amdhsa_exception_fp_ieee_invalid_op 0
		.amdhsa_exception_fp_denorm_src 0
		.amdhsa_exception_fp_ieee_div_zero 0
		.amdhsa_exception_fp_ieee_overflow 0
		.amdhsa_exception_fp_ieee_underflow 0
		.amdhsa_exception_fp_ieee_inexact 0
		.amdhsa_exception_int_div_zero 0
	.end_amdhsa_kernel
	.section	.text._ZN2at6native12_GLOBAL__N_125multi_tensor_apply_kernelINS1_18TensorListMetadataILi2EEENS1_14UnaryOpFunctorIsLi2ELi1ELi1EEEJNS0_3AbsIsEEEEEvT_T0_DpT1_,"axG",@progbits,_ZN2at6native12_GLOBAL__N_125multi_tensor_apply_kernelINS1_18TensorListMetadataILi2EEENS1_14UnaryOpFunctorIsLi2ELi1ELi1EEEJNS0_3AbsIsEEEEEvT_T0_DpT1_,comdat
.Lfunc_end331:
	.size	_ZN2at6native12_GLOBAL__N_125multi_tensor_apply_kernelINS1_18TensorListMetadataILi2EEENS1_14UnaryOpFunctorIsLi2ELi1ELi1EEEJNS0_3AbsIsEEEEEvT_T0_DpT1_, .Lfunc_end331-_ZN2at6native12_GLOBAL__N_125multi_tensor_apply_kernelINS1_18TensorListMetadataILi2EEENS1_14UnaryOpFunctorIsLi2ELi1ELi1EEEJNS0_3AbsIsEEEEEvT_T0_DpT1_
                                        ; -- End function
	.set _ZN2at6native12_GLOBAL__N_125multi_tensor_apply_kernelINS1_18TensorListMetadataILi2EEENS1_14UnaryOpFunctorIsLi2ELi1ELi1EEEJNS0_3AbsIsEEEEEvT_T0_DpT1_.num_vgpr, 32
	.set _ZN2at6native12_GLOBAL__N_125multi_tensor_apply_kernelINS1_18TensorListMetadataILi2EEENS1_14UnaryOpFunctorIsLi2ELi1ELi1EEEJNS0_3AbsIsEEEEEvT_T0_DpT1_.num_agpr, 0
	.set _ZN2at6native12_GLOBAL__N_125multi_tensor_apply_kernelINS1_18TensorListMetadataILi2EEENS1_14UnaryOpFunctorIsLi2ELi1ELi1EEEJNS0_3AbsIsEEEEEvT_T0_DpT1_.numbered_sgpr, 20
	.set _ZN2at6native12_GLOBAL__N_125multi_tensor_apply_kernelINS1_18TensorListMetadataILi2EEENS1_14UnaryOpFunctorIsLi2ELi1ELi1EEEJNS0_3AbsIsEEEEEvT_T0_DpT1_.num_named_barrier, 0
	.set _ZN2at6native12_GLOBAL__N_125multi_tensor_apply_kernelINS1_18TensorListMetadataILi2EEENS1_14UnaryOpFunctorIsLi2ELi1ELi1EEEJNS0_3AbsIsEEEEEvT_T0_DpT1_.private_seg_size, 0
	.set _ZN2at6native12_GLOBAL__N_125multi_tensor_apply_kernelINS1_18TensorListMetadataILi2EEENS1_14UnaryOpFunctorIsLi2ELi1ELi1EEEJNS0_3AbsIsEEEEEvT_T0_DpT1_.uses_vcc, 1
	.set _ZN2at6native12_GLOBAL__N_125multi_tensor_apply_kernelINS1_18TensorListMetadataILi2EEENS1_14UnaryOpFunctorIsLi2ELi1ELi1EEEJNS0_3AbsIsEEEEEvT_T0_DpT1_.uses_flat_scratch, 0
	.set _ZN2at6native12_GLOBAL__N_125multi_tensor_apply_kernelINS1_18TensorListMetadataILi2EEENS1_14UnaryOpFunctorIsLi2ELi1ELi1EEEJNS0_3AbsIsEEEEEvT_T0_DpT1_.has_dyn_sized_stack, 0
	.set _ZN2at6native12_GLOBAL__N_125multi_tensor_apply_kernelINS1_18TensorListMetadataILi2EEENS1_14UnaryOpFunctorIsLi2ELi1ELi1EEEJNS0_3AbsIsEEEEEvT_T0_DpT1_.has_recursion, 0
	.set _ZN2at6native12_GLOBAL__N_125multi_tensor_apply_kernelINS1_18TensorListMetadataILi2EEENS1_14UnaryOpFunctorIsLi2ELi1ELi1EEEJNS0_3AbsIsEEEEEvT_T0_DpT1_.has_indirect_call, 0
	.section	.AMDGPU.csdata,"",@progbits
; Kernel info:
; codeLenInByte = 1156
; TotalNumSgprs: 22
; NumVgprs: 32
; ScratchSize: 0
; MemoryBound: 0
; FloatMode: 240
; IeeeMode: 1
; LDSByteSize: 0 bytes/workgroup (compile time only)
; SGPRBlocks: 0
; VGPRBlocks: 1
; NumSGPRsForWavesPerEU: 22
; NumVGPRsForWavesPerEU: 32
; NamedBarCnt: 0
; Occupancy: 16
; WaveLimiterHint : 0
; COMPUTE_PGM_RSRC2:SCRATCH_EN: 0
; COMPUTE_PGM_RSRC2:USER_SGPR: 2
; COMPUTE_PGM_RSRC2:TRAP_HANDLER: 0
; COMPUTE_PGM_RSRC2:TGID_X_EN: 1
; COMPUTE_PGM_RSRC2:TGID_Y_EN: 0
; COMPUTE_PGM_RSRC2:TGID_Z_EN: 0
; COMPUTE_PGM_RSRC2:TIDIG_COMP_CNT: 0
	.section	.text._ZN2at6native12_GLOBAL__N_125multi_tensor_apply_kernelINS1_18TensorListMetadataILi2EEENS1_14UnaryOpFunctorIdLi2ELi1ELi1EEEJNS0_3AbsIdEEEEEvT_T0_DpT1_,"axG",@progbits,_ZN2at6native12_GLOBAL__N_125multi_tensor_apply_kernelINS1_18TensorListMetadataILi2EEENS1_14UnaryOpFunctorIdLi2ELi1ELi1EEEJNS0_3AbsIdEEEEEvT_T0_DpT1_,comdat
	.globl	_ZN2at6native12_GLOBAL__N_125multi_tensor_apply_kernelINS1_18TensorListMetadataILi2EEENS1_14UnaryOpFunctorIdLi2ELi1ELi1EEEJNS0_3AbsIdEEEEEvT_T0_DpT1_ ; -- Begin function _ZN2at6native12_GLOBAL__N_125multi_tensor_apply_kernelINS1_18TensorListMetadataILi2EEENS1_14UnaryOpFunctorIdLi2ELi1ELi1EEEJNS0_3AbsIdEEEEEvT_T0_DpT1_
	.p2align	8
	.type	_ZN2at6native12_GLOBAL__N_125multi_tensor_apply_kernelINS1_18TensorListMetadataILi2EEENS1_14UnaryOpFunctorIdLi2ELi1ELi1EEEJNS0_3AbsIdEEEEEvT_T0_DpT1_,@function
_ZN2at6native12_GLOBAL__N_125multi_tensor_apply_kernelINS1_18TensorListMetadataILi2EEENS1_14UnaryOpFunctorIdLi2ELi1ELi1EEEJNS0_3AbsIdEEEEEvT_T0_DpT1_: ; @_ZN2at6native12_GLOBAL__N_125multi_tensor_apply_kernelINS1_18TensorListMetadataILi2EEENS1_14UnaryOpFunctorIdLi2ELi1ELi1EEEJNS0_3AbsIdEEEEEvT_T0_DpT1_
; %bb.0:
	s_bfe_u32 s2, ttmp6, 0x4000c
	s_and_b32 s3, ttmp6, 15
	s_add_co_i32 s2, s2, 1
	s_getreg_b32 s4, hwreg(HW_REG_IB_STS2, 6, 4)
	s_mul_i32 s2, ttmp9, s2
	s_mov_b32 s9, 0
	s_add_co_i32 s3, s3, s2
	s_cmp_eq_u32 s4, 0
	s_mov_b32 s15, s9
	s_cselect_b32 s8, ttmp9, s3
	s_load_u8 s11, s[0:1], s8 offset:0x600
	s_add_nc_u64 s[2:3], s[0:1], s[8:9]
	s_mul_u64 s[4:5], s[8:9], 3
	s_delay_alu instid0(SALU_CYCLE_1)
	s_add_nc_u64 s[4:5], s[2:3], s[4:5]
	s_load_b32 s10, s[4:5], 0x740
	s_wait_kmcnt 0x0
	s_clause 0x2
	s_load_b64 s[2:3], s[0:1], s11 offset:0x0 scale_offset
	s_load_b64 s[6:7], s[0:1], s11 offset:0x200 scale_offset
	;; [unrolled: 1-line block ×3, first 2 shown]
	s_wait_xcnt 0x0
	s_ashr_i32 s11, s10, 31
	s_delay_alu instid0(SALU_CYCLE_1)
	s_lshl_b64 s[4:5], s[10:11], 19
	s_wait_kmcnt 0x0
	s_and_b64 s[18:19], s[6:7], 31
	s_add_nc_u64 s[16:17], s[2:3], s[4:5]
	s_and_b32 s14, s12, 3
	s_and_b32 s8, s16, 31
	s_or_b64 s[14:15], s[18:19], s[14:15]
	s_lshl_b64 s[10:11], s[10:11], 16
	s_or_b64 s[14:15], s[14:15], s[8:9]
	s_sub_nc_u64 s[8:9], s[12:13], s[10:11]
	s_cmp_eq_u64 s[14:15], 0
	s_mov_b32 s10, -1
	s_cbranch_scc0 .LBB332_5
; %bb.1:
	v_min_i64 v[2:3], 0x10000, s[8:9]
	v_dual_mov_b32 v5, 0 :: v_dual_lshlrev_b32 v4, 2, v0
	s_mov_b32 s14, exec_lo
	s_delay_alu instid0(VALU_DEP_1)
	v_cmpx_lt_i64_e64 v[4:5], v[2:3]
	s_cbranch_execz .LBB332_4
; %bb.2:
	s_load_b32 s10, s[0:1], 0xc5c
	v_dual_mov_b32 v1, v5 :: v_dual_lshlrev_b32 v4, 5, v0
	s_mov_b32 s11, 0
	s_delay_alu instid0(SALU_CYCLE_1) | instskip(NEXT) | instid1(VALU_DEP_1)
	s_mov_b32 s13, s11
	v_add_nc_u64_e32 v[4:5], s[4:5], v[4:5]
	s_delay_alu instid0(VALU_DEP_2) | instskip(SKIP_3) | instid1(SALU_CYCLE_1)
	v_mov_b64_e32 v[6:7], v[0:1]
	s_mov_b32 s15, s11
	s_wait_kmcnt 0x0
	s_and_b32 s10, s10, 0xffff
	s_lshl_b32 s12, s10, 5
.LBB332_3:                              ; =>This Inner Loop Header: Depth=1
	s_delay_alu instid0(VALU_DEP_2) | instskip(NEXT) | instid1(VALU_DEP_2)
	v_add_nc_u64_e32 v[16:17], s[2:3], v[4:5]
	v_add_nc_u64_e32 v[6:7], s[10:11], v[6:7]
	;; [unrolled: 1-line block ×4, first 2 shown]
	s_clause 0x1
	global_load_b128 v[8:11], v[16:17], off
	global_load_b128 v[12:15], v[16:17], off offset:16
	s_wait_xcnt 0x0
	v_lshlrev_b64_e32 v[16:17], 2, v[6:7]
	s_delay_alu instid0(VALU_DEP_1)
	v_cmp_ge_i64_e32 vcc_lo, v[16:17], v[2:3]
	s_or_b32 s15, vcc_lo, s15
	s_wait_loadcnt 0x1
	v_and_b32_e32 v9, 0x7fffffff, v9
	v_and_b32_e32 v11, 0x7fffffff, v11
	s_wait_loadcnt 0x0
	v_and_b32_e32 v13, 0x7fffffff, v13
	v_and_b32_e32 v15, 0x7fffffff, v15
	s_clause 0x1
	global_store_b128 v[18:19], v[8:11], off
	global_store_b128 v[18:19], v[12:15], off offset:16
	s_wait_xcnt 0x0
	s_and_not1_b32 exec_lo, exec_lo, s15
	s_cbranch_execnz .LBB332_3
.LBB332_4:
	s_or_b32 exec_lo, exec_lo, s14
	s_mov_b32 s10, 0
.LBB332_5:
	s_delay_alu instid0(SALU_CYCLE_1)
	s_and_not1_b32 vcc_lo, exec_lo, s10
	s_cbranch_vccnz .LBB332_25
; %bb.6:
	v_cmp_lt_i64_e64 s10, s[8:9], 1
	s_and_b32 vcc_lo, exec_lo, s10
	s_cbranch_vccnz .LBB332_25
; %bb.7:
	s_load_b32 s0, s[0:1], 0xc5c
	v_min_i64 v[2:3], 0x10000, s[8:9]
	v_min_u64 v[4:5], 0x10000, s[8:9]
	v_dual_mov_b32 v1, 0 :: v_dual_lshlrev_b32 v10, 3, v0
	s_mov_b32 s9, 0
	s_delay_alu instid0(SALU_CYCLE_1) | instskip(NEXT) | instid1(VALU_DEP_1)
	s_mov_b32 s13, s9
	v_dual_mov_b32 v11, v1 :: v_dual_mov_b32 v27, v1
	s_wait_xcnt 0x0
	s_mov_b32 s1, s9
	s_mov_b32 s11, s9
	s_delay_alu instid0(VALU_DEP_1) | instskip(SKIP_2) | instid1(SALU_CYCLE_1)
	v_add_nc_u64_e32 v[6:7], s[2:3], v[10:11]
	s_wait_kmcnt 0x0
	s_and_b32 s8, s0, 0xffff
	v_add_nc_u64_e32 v[8:9], s[8:9], v[0:1]
	v_mad_nc_u64_u32 v[22:23], s8, 24, v[10:11]
	s_lshl_b32 s12, s8, 4
	s_mul_i32 s10, s8, 3
	v_add_nc_u64_e32 v[18:19], s[12:13], v[10:11]
	s_lshl_b32 s0, s8, 1
	v_add_nc_u64_e32 v[10:11], s[6:7], v[10:11]
	v_lshlrev_b32_e32 v26, 3, v8
	v_add_nc_u64_e32 v[12:13], s[10:11], v[0:1]
	v_add_nc_u64_e32 v[14:15], s[0:1], v[0:1]
	s_mov_b64 s[10:11], 0
	v_add_nc_u64_e32 v[16:17], s[2:3], v[18:19]
	v_add_nc_u64_e32 v[18:19], s[6:7], v[18:19]
	;; [unrolled: 1-line block ×6, first 2 shown]
	s_lshl_b32 s6, s8, 2
	s_mov_b32 s7, s9
	s_lshl_b32 s8, s8, 5
	s_branch .LBB332_9
.LBB332_8:                              ;   in Loop: Header=BB332_9 Depth=1
	s_wait_xcnt 0x0
	s_or_b32 exec_lo, exec_lo, s0
	s_add_nc_u64 s[10:11], s[10:11], s[6:7]
	v_add_nc_u64_e32 v[6:7], s[8:9], v[6:7]
	v_cmp_ge_i64_e32 vcc_lo, s[10:11], v[2:3]
	v_add_nc_u64_e32 v[10:11], s[8:9], v[10:11]
	v_add_nc_u64_e32 v[20:21], s[8:9], v[20:21]
	;; [unrolled: 1-line block ×7, first 2 shown]
	s_cbranch_vccnz .LBB332_25
.LBB332_9:                              ; =>This Inner Loop Header: Depth=1
	v_add_nc_u64_e32 v[30:31], s[10:11], v[0:1]
	v_mov_b64_e32 v[28:29], 0
	s_delay_alu instid0(VALU_DEP_2)
	v_cmp_lt_u64_e32 vcc_lo, v[30:31], v[4:5]
	v_mov_b64_e32 v[30:31], 0
	s_and_saveexec_b32 s0, vcc_lo
	s_cbranch_execz .LBB332_11
; %bb.10:                               ;   in Loop: Header=BB332_9 Depth=1
	v_add_nc_u64_e32 v[30:31], s[4:5], v[6:7]
	global_load_b64 v[30:31], v[30:31], off
	s_wait_loadcnt 0x0
	s_wait_xcnt 0x0
	v_and_b32_e32 v31, 0x7fffffff, v31
.LBB332_11:                             ;   in Loop: Header=BB332_9 Depth=1
	s_or_b32 exec_lo, exec_lo, s0
	v_add_nc_u64_e32 v[32:33], s[10:11], v[8:9]
	s_delay_alu instid0(VALU_DEP_1)
	v_cmp_lt_u64_e64 s0, v[32:33], v[4:5]
	s_and_saveexec_b32 s1, s0
	s_cbranch_execz .LBB332_13
; %bb.12:                               ;   in Loop: Header=BB332_9 Depth=1
	v_add_nc_u64_e32 v[28:29], s[4:5], v[24:25]
	global_load_b64 v[28:29], v[28:29], off
	s_wait_loadcnt 0x0
	s_wait_xcnt 0x0
	v_and_b32_e32 v29, 0x7fffffff, v29
.LBB332_13:                             ;   in Loop: Header=BB332_9 Depth=1
	s_or_b32 exec_lo, exec_lo, s1
	v_add_nc_u64_e32 v[34:35], s[10:11], v[14:15]
	v_mov_b64_e32 v[32:33], 0
	s_delay_alu instid0(VALU_DEP_2)
	v_cmp_lt_u64_e64 s1, v[34:35], v[4:5]
	v_mov_b64_e32 v[34:35], 0
	s_and_saveexec_b32 s2, s1
	s_cbranch_execz .LBB332_15
; %bb.14:                               ;   in Loop: Header=BB332_9 Depth=1
	v_add_nc_u64_e32 v[34:35], s[4:5], v[16:17]
	global_load_b64 v[34:35], v[34:35], off
	s_wait_loadcnt 0x0
	v_and_b32_e32 v35, 0x7fffffff, v35
.LBB332_15:                             ;   in Loop: Header=BB332_9 Depth=1
	s_or_b32 exec_lo, exec_lo, s2
	v_add_nc_u64_e32 v[36:37], s[10:11], v[12:13]
	s_delay_alu instid0(VALU_DEP_1)
	v_cmp_lt_u64_e64 s2, v[36:37], v[4:5]
	s_and_saveexec_b32 s3, s2
	s_cbranch_execnz .LBB332_20
; %bb.16:                               ;   in Loop: Header=BB332_9 Depth=1
	s_or_b32 exec_lo, exec_lo, s3
	s_and_saveexec_b32 s3, vcc_lo
	s_cbranch_execnz .LBB332_21
.LBB332_17:                             ;   in Loop: Header=BB332_9 Depth=1
	s_or_b32 exec_lo, exec_lo, s3
	s_and_saveexec_b32 s3, s0
	s_cbranch_execnz .LBB332_22
.LBB332_18:                             ;   in Loop: Header=BB332_9 Depth=1
	s_or_b32 exec_lo, exec_lo, s3
	s_and_saveexec_b32 s0, s1
	s_cbranch_execnz .LBB332_23
.LBB332_19:                             ;   in Loop: Header=BB332_9 Depth=1
	s_or_b32 exec_lo, exec_lo, s0
	s_and_saveexec_b32 s0, s2
	s_cbranch_execz .LBB332_8
	s_branch .LBB332_24
.LBB332_20:                             ;   in Loop: Header=BB332_9 Depth=1
	v_add_nc_u64_e32 v[32:33], s[4:5], v[20:21]
	global_load_b64 v[32:33], v[32:33], off
	s_wait_loadcnt 0x0
	v_and_b32_e32 v33, 0x7fffffff, v33
	s_or_b32 exec_lo, exec_lo, s3
	s_and_saveexec_b32 s3, vcc_lo
	s_cbranch_execz .LBB332_17
.LBB332_21:                             ;   in Loop: Header=BB332_9 Depth=1
	v_add_nc_u64_e32 v[36:37], s[4:5], v[10:11]
	global_store_b64 v[36:37], v[30:31], off
	s_wait_xcnt 0x0
	s_or_b32 exec_lo, exec_lo, s3
	s_and_saveexec_b32 s3, s0
	s_cbranch_execz .LBB332_18
.LBB332_22:                             ;   in Loop: Header=BB332_9 Depth=1
	v_add_nc_u64_e32 v[30:31], s[4:5], v[26:27]
	global_store_b64 v[30:31], v[28:29], off
	s_wait_xcnt 0x0
	s_or_b32 exec_lo, exec_lo, s3
	s_and_saveexec_b32 s0, s1
	s_cbranch_execz .LBB332_19
.LBB332_23:                             ;   in Loop: Header=BB332_9 Depth=1
	v_add_nc_u64_e32 v[28:29], s[4:5], v[18:19]
	global_store_b64 v[28:29], v[34:35], off
	s_wait_xcnt 0x0
	s_or_b32 exec_lo, exec_lo, s0
	s_and_saveexec_b32 s0, s2
	s_cbranch_execz .LBB332_8
.LBB332_24:                             ;   in Loop: Header=BB332_9 Depth=1
	v_add_nc_u64_e32 v[28:29], s[4:5], v[22:23]
	global_store_b64 v[28:29], v[32:33], off
	s_branch .LBB332_8
.LBB332_25:
	s_endpgm
	.section	.rodata,"a",@progbits
	.p2align	6, 0x0
	.amdhsa_kernel _ZN2at6native12_GLOBAL__N_125multi_tensor_apply_kernelINS1_18TensorListMetadataILi2EEENS1_14UnaryOpFunctorIdLi2ELi1ELi1EEEJNS0_3AbsIdEEEEEvT_T0_DpT1_
		.amdhsa_group_segment_fixed_size 0
		.amdhsa_private_segment_fixed_size 0
		.amdhsa_kernarg_size 3408
		.amdhsa_user_sgpr_count 2
		.amdhsa_user_sgpr_dispatch_ptr 0
		.amdhsa_user_sgpr_queue_ptr 0
		.amdhsa_user_sgpr_kernarg_segment_ptr 1
		.amdhsa_user_sgpr_dispatch_id 0
		.amdhsa_user_sgpr_kernarg_preload_length 0
		.amdhsa_user_sgpr_kernarg_preload_offset 0
		.amdhsa_user_sgpr_private_segment_size 0
		.amdhsa_wavefront_size32 1
		.amdhsa_uses_dynamic_stack 0
		.amdhsa_enable_private_segment 0
		.amdhsa_system_sgpr_workgroup_id_x 1
		.amdhsa_system_sgpr_workgroup_id_y 0
		.amdhsa_system_sgpr_workgroup_id_z 0
		.amdhsa_system_sgpr_workgroup_info 0
		.amdhsa_system_vgpr_workitem_id 0
		.amdhsa_next_free_vgpr 38
		.amdhsa_next_free_sgpr 20
		.amdhsa_named_barrier_count 0
		.amdhsa_reserve_vcc 1
		.amdhsa_float_round_mode_32 0
		.amdhsa_float_round_mode_16_64 0
		.amdhsa_float_denorm_mode_32 3
		.amdhsa_float_denorm_mode_16_64 3
		.amdhsa_fp16_overflow 0
		.amdhsa_memory_ordered 1
		.amdhsa_forward_progress 1
		.amdhsa_inst_pref_size 9
		.amdhsa_round_robin_scheduling 0
		.amdhsa_exception_fp_ieee_invalid_op 0
		.amdhsa_exception_fp_denorm_src 0
		.amdhsa_exception_fp_ieee_div_zero 0
		.amdhsa_exception_fp_ieee_overflow 0
		.amdhsa_exception_fp_ieee_underflow 0
		.amdhsa_exception_fp_ieee_inexact 0
		.amdhsa_exception_int_div_zero 0
	.end_amdhsa_kernel
	.section	.text._ZN2at6native12_GLOBAL__N_125multi_tensor_apply_kernelINS1_18TensorListMetadataILi2EEENS1_14UnaryOpFunctorIdLi2ELi1ELi1EEEJNS0_3AbsIdEEEEEvT_T0_DpT1_,"axG",@progbits,_ZN2at6native12_GLOBAL__N_125multi_tensor_apply_kernelINS1_18TensorListMetadataILi2EEENS1_14UnaryOpFunctorIdLi2ELi1ELi1EEEJNS0_3AbsIdEEEEEvT_T0_DpT1_,comdat
.Lfunc_end332:
	.size	_ZN2at6native12_GLOBAL__N_125multi_tensor_apply_kernelINS1_18TensorListMetadataILi2EEENS1_14UnaryOpFunctorIdLi2ELi1ELi1EEEJNS0_3AbsIdEEEEEvT_T0_DpT1_, .Lfunc_end332-_ZN2at6native12_GLOBAL__N_125multi_tensor_apply_kernelINS1_18TensorListMetadataILi2EEENS1_14UnaryOpFunctorIdLi2ELi1ELi1EEEJNS0_3AbsIdEEEEEvT_T0_DpT1_
                                        ; -- End function
	.set _ZN2at6native12_GLOBAL__N_125multi_tensor_apply_kernelINS1_18TensorListMetadataILi2EEENS1_14UnaryOpFunctorIdLi2ELi1ELi1EEEJNS0_3AbsIdEEEEEvT_T0_DpT1_.num_vgpr, 38
	.set _ZN2at6native12_GLOBAL__N_125multi_tensor_apply_kernelINS1_18TensorListMetadataILi2EEENS1_14UnaryOpFunctorIdLi2ELi1ELi1EEEJNS0_3AbsIdEEEEEvT_T0_DpT1_.num_agpr, 0
	.set _ZN2at6native12_GLOBAL__N_125multi_tensor_apply_kernelINS1_18TensorListMetadataILi2EEENS1_14UnaryOpFunctorIdLi2ELi1ELi1EEEJNS0_3AbsIdEEEEEvT_T0_DpT1_.numbered_sgpr, 20
	.set _ZN2at6native12_GLOBAL__N_125multi_tensor_apply_kernelINS1_18TensorListMetadataILi2EEENS1_14UnaryOpFunctorIdLi2ELi1ELi1EEEJNS0_3AbsIdEEEEEvT_T0_DpT1_.num_named_barrier, 0
	.set _ZN2at6native12_GLOBAL__N_125multi_tensor_apply_kernelINS1_18TensorListMetadataILi2EEENS1_14UnaryOpFunctorIdLi2ELi1ELi1EEEJNS0_3AbsIdEEEEEvT_T0_DpT1_.private_seg_size, 0
	.set _ZN2at6native12_GLOBAL__N_125multi_tensor_apply_kernelINS1_18TensorListMetadataILi2EEENS1_14UnaryOpFunctorIdLi2ELi1ELi1EEEJNS0_3AbsIdEEEEEvT_T0_DpT1_.uses_vcc, 1
	.set _ZN2at6native12_GLOBAL__N_125multi_tensor_apply_kernelINS1_18TensorListMetadataILi2EEENS1_14UnaryOpFunctorIdLi2ELi1ELi1EEEJNS0_3AbsIdEEEEEvT_T0_DpT1_.uses_flat_scratch, 0
	.set _ZN2at6native12_GLOBAL__N_125multi_tensor_apply_kernelINS1_18TensorListMetadataILi2EEENS1_14UnaryOpFunctorIdLi2ELi1ELi1EEEJNS0_3AbsIdEEEEEvT_T0_DpT1_.has_dyn_sized_stack, 0
	.set _ZN2at6native12_GLOBAL__N_125multi_tensor_apply_kernelINS1_18TensorListMetadataILi2EEENS1_14UnaryOpFunctorIdLi2ELi1ELi1EEEJNS0_3AbsIdEEEEEvT_T0_DpT1_.has_recursion, 0
	.set _ZN2at6native12_GLOBAL__N_125multi_tensor_apply_kernelINS1_18TensorListMetadataILi2EEENS1_14UnaryOpFunctorIdLi2ELi1ELi1EEEJNS0_3AbsIdEEEEEvT_T0_DpT1_.has_indirect_call, 0
	.section	.AMDGPU.csdata,"",@progbits
; Kernel info:
; codeLenInByte = 1116
; TotalNumSgprs: 22
; NumVgprs: 38
; ScratchSize: 0
; MemoryBound: 0
; FloatMode: 240
; IeeeMode: 1
; LDSByteSize: 0 bytes/workgroup (compile time only)
; SGPRBlocks: 0
; VGPRBlocks: 2
; NumSGPRsForWavesPerEU: 22
; NumVGPRsForWavesPerEU: 38
; NamedBarCnt: 0
; Occupancy: 16
; WaveLimiterHint : 0
; COMPUTE_PGM_RSRC2:SCRATCH_EN: 0
; COMPUTE_PGM_RSRC2:USER_SGPR: 2
; COMPUTE_PGM_RSRC2:TRAP_HANDLER: 0
; COMPUTE_PGM_RSRC2:TGID_X_EN: 1
; COMPUTE_PGM_RSRC2:TGID_Y_EN: 0
; COMPUTE_PGM_RSRC2:TGID_Z_EN: 0
; COMPUTE_PGM_RSRC2:TIDIG_COMP_CNT: 0
	.section	.text._ZN2at6native12_GLOBAL__N_125multi_tensor_apply_kernelINS1_18TensorListMetadataILi2EEENS1_14UnaryOpFunctorIfLi2ELi1ELi1EEEJNS0_3AbsIfEEEEEvT_T0_DpT1_,"axG",@progbits,_ZN2at6native12_GLOBAL__N_125multi_tensor_apply_kernelINS1_18TensorListMetadataILi2EEENS1_14UnaryOpFunctorIfLi2ELi1ELi1EEEJNS0_3AbsIfEEEEEvT_T0_DpT1_,comdat
	.globl	_ZN2at6native12_GLOBAL__N_125multi_tensor_apply_kernelINS1_18TensorListMetadataILi2EEENS1_14UnaryOpFunctorIfLi2ELi1ELi1EEEJNS0_3AbsIfEEEEEvT_T0_DpT1_ ; -- Begin function _ZN2at6native12_GLOBAL__N_125multi_tensor_apply_kernelINS1_18TensorListMetadataILi2EEENS1_14UnaryOpFunctorIfLi2ELi1ELi1EEEJNS0_3AbsIfEEEEEvT_T0_DpT1_
	.p2align	8
	.type	_ZN2at6native12_GLOBAL__N_125multi_tensor_apply_kernelINS1_18TensorListMetadataILi2EEENS1_14UnaryOpFunctorIfLi2ELi1ELi1EEEJNS0_3AbsIfEEEEEvT_T0_DpT1_,@function
_ZN2at6native12_GLOBAL__N_125multi_tensor_apply_kernelINS1_18TensorListMetadataILi2EEENS1_14UnaryOpFunctorIfLi2ELi1ELi1EEEJNS0_3AbsIfEEEEEvT_T0_DpT1_: ; @_ZN2at6native12_GLOBAL__N_125multi_tensor_apply_kernelINS1_18TensorListMetadataILi2EEENS1_14UnaryOpFunctorIfLi2ELi1ELi1EEEJNS0_3AbsIfEEEEEvT_T0_DpT1_
; %bb.0:
	s_bfe_u32 s2, ttmp6, 0x4000c
	s_and_b32 s3, ttmp6, 15
	s_add_co_i32 s2, s2, 1
	s_getreg_b32 s4, hwreg(HW_REG_IB_STS2, 6, 4)
	s_mul_i32 s2, ttmp9, s2
	s_mov_b32 s9, 0
	s_add_co_i32 s3, s3, s2
	s_cmp_eq_u32 s4, 0
	s_mov_b32 s15, s9
	s_cselect_b32 s8, ttmp9, s3
	s_load_u8 s11, s[0:1], s8 offset:0x600
	s_add_nc_u64 s[2:3], s[0:1], s[8:9]
	s_mul_u64 s[4:5], s[8:9], 3
	s_delay_alu instid0(SALU_CYCLE_1)
	s_add_nc_u64 s[4:5], s[2:3], s[4:5]
	s_load_b32 s10, s[4:5], 0x740
	s_wait_kmcnt 0x0
	s_clause 0x2
	s_load_b64 s[2:3], s[0:1], s11 offset:0x0 scale_offset
	s_load_b64 s[6:7], s[0:1], s11 offset:0x200 scale_offset
	;; [unrolled: 1-line block ×3, first 2 shown]
	s_wait_xcnt 0x0
	s_ashr_i32 s11, s10, 31
	s_delay_alu instid0(SALU_CYCLE_1)
	s_lshl_b64 s[4:5], s[10:11], 18
	s_wait_kmcnt 0x0
	s_and_b64 s[18:19], s[6:7], 15
	s_add_nc_u64 s[16:17], s[2:3], s[4:5]
	s_and_b32 s14, s12, 3
	s_and_b32 s8, s16, 15
	s_or_b64 s[14:15], s[18:19], s[14:15]
	s_lshl_b64 s[10:11], s[10:11], 16
	s_or_b64 s[14:15], s[14:15], s[8:9]
	s_sub_nc_u64 s[8:9], s[12:13], s[10:11]
	s_cmp_eq_u64 s[14:15], 0
	s_mov_b32 s10, -1
	s_cbranch_scc0 .LBB333_5
; %bb.1:
	v_min_i64 v[2:3], 0x10000, s[8:9]
	v_dual_mov_b32 v5, 0 :: v_dual_lshlrev_b32 v4, 2, v0
	s_mov_b32 s16, exec_lo
	s_delay_alu instid0(VALU_DEP_1)
	v_cmpx_lt_i64_e64 v[4:5], v[2:3]
	s_cbranch_execz .LBB333_4
; %bb.2:
	s_load_b32 s10, s[0:1], 0xc5c
	v_dual_mov_b32 v1, v5 :: v_dual_lshlrev_b32 v4, 4, v0
	s_mov_b32 s11, 0
	s_add_nc_u64 s[12:13], s[2:3], 8
	s_mov_b32 s15, s11
	s_delay_alu instid0(VALU_DEP_1) | instskip(SKIP_4) | instid1(SALU_CYCLE_1)
	v_add_nc_u64_e32 v[4:5], s[4:5], v[4:5]
	v_mov_b64_e32 v[6:7], v[0:1]
	s_mov_b32 s17, s11
	s_wait_kmcnt 0x0
	s_and_b32 s10, s10, 0xffff
	s_lshl_b32 s14, s10, 4
.LBB333_3:                              ; =>This Inner Loop Header: Depth=1
	s_delay_alu instid0(VALU_DEP_2) | instskip(NEXT) | instid1(VALU_DEP_2)
	v_add_nc_u64_e32 v[8:9], s[12:13], v[4:5]
	v_add_nc_u64_e32 v[6:7], s[10:11], v[6:7]
	;; [unrolled: 1-line block ×4, first 2 shown]
	global_load_b128 v[8:11], v[8:9], off offset:-8
	v_lshlrev_b64_e32 v[12:13], 2, v[6:7]
	s_delay_alu instid0(VALU_DEP_1)
	v_cmp_ge_i64_e32 vcc_lo, v[12:13], v[2:3]
	s_or_b32 s17, vcc_lo, s17
	s_wait_loadcnt 0x0
	s_wait_xcnt 0x0
	v_and_b32_e32 v9, 0x7fffffff, v9
	v_and_b32_e32 v8, 0x7fffffff, v8
	;; [unrolled: 1-line block ×4, first 2 shown]
	global_store_b128 v[14:15], v[8:11], off
	s_wait_xcnt 0x0
	s_and_not1_b32 exec_lo, exec_lo, s17
	s_cbranch_execnz .LBB333_3
.LBB333_4:
	s_or_b32 exec_lo, exec_lo, s16
	s_mov_b32 s10, 0
.LBB333_5:
	s_delay_alu instid0(SALU_CYCLE_1)
	s_and_not1_b32 vcc_lo, exec_lo, s10
	s_cbranch_vccnz .LBB333_25
; %bb.6:
	v_cmp_lt_i64_e64 s10, s[8:9], 1
	s_and_b32 vcc_lo, exec_lo, s10
	s_cbranch_vccnz .LBB333_25
; %bb.7:
	s_load_b32 s0, s[0:1], 0xc5c
	v_min_i64 v[2:3], 0x10000, s[8:9]
	v_min_u64 v[4:5], 0x10000, s[8:9]
	v_dual_mov_b32 v1, 0 :: v_dual_lshlrev_b32 v10, 2, v0
	s_mov_b32 s9, 0
	s_delay_alu instid0(SALU_CYCLE_1) | instskip(NEXT) | instid1(VALU_DEP_1)
	s_mov_b32 s13, s9
	v_dual_mov_b32 v11, v1 :: v_dual_mov_b32 v27, v1
	s_wait_xcnt 0x0
	s_mov_b32 s1, s9
	s_mov_b32 s11, s9
	s_delay_alu instid0(VALU_DEP_1) | instskip(SKIP_2) | instid1(SALU_CYCLE_1)
	v_add_nc_u64_e32 v[6:7], s[2:3], v[10:11]
	s_wait_kmcnt 0x0
	s_and_b32 s8, s0, 0xffff
	v_add_nc_u64_e32 v[8:9], s[8:9], v[0:1]
	v_mad_nc_u64_u32 v[22:23], s8, 12, v[10:11]
	s_lshl_b32 s12, s8, 3
	s_mul_i32 s10, s8, 3
	v_add_nc_u64_e32 v[18:19], s[12:13], v[10:11]
	s_lshl_b32 s0, s8, 1
	v_add_nc_u64_e32 v[10:11], s[6:7], v[10:11]
	v_lshlrev_b32_e32 v26, 2, v8
	v_add_nc_u64_e32 v[12:13], s[10:11], v[0:1]
	v_add_nc_u64_e32 v[14:15], s[0:1], v[0:1]
	s_mov_b64 s[10:11], 0
	v_add_nc_u64_e32 v[16:17], s[2:3], v[18:19]
	v_add_nc_u64_e32 v[18:19], s[6:7], v[18:19]
	;; [unrolled: 1-line block ×6, first 2 shown]
	s_lshl_b32 s6, s8, 2
	s_mov_b32 s7, s9
	s_lshl_b32 s8, s8, 4
	s_branch .LBB333_9
.LBB333_8:                              ;   in Loop: Header=BB333_9 Depth=1
	s_wait_xcnt 0x0
	s_or_b32 exec_lo, exec_lo, s0
	s_add_nc_u64 s[10:11], s[10:11], s[6:7]
	v_add_nc_u64_e32 v[6:7], s[8:9], v[6:7]
	v_cmp_ge_i64_e32 vcc_lo, s[10:11], v[2:3]
	v_add_nc_u64_e32 v[10:11], s[8:9], v[10:11]
	v_add_nc_u64_e32 v[20:21], s[8:9], v[20:21]
	;; [unrolled: 1-line block ×7, first 2 shown]
	s_cbranch_vccnz .LBB333_25
.LBB333_9:                              ; =>This Inner Loop Header: Depth=1
	v_add_nc_u64_e32 v[28:29], s[10:11], v[0:1]
	s_delay_alu instid0(VALU_DEP_1)
	v_cmp_lt_u64_e32 vcc_lo, v[28:29], v[4:5]
	v_mov_b32_e32 v29, 0
	s_and_saveexec_b32 s0, vcc_lo
	s_cbranch_execz .LBB333_11
; %bb.10:                               ;   in Loop: Header=BB333_9 Depth=1
	v_add_nc_u64_e32 v[28:29], s[4:5], v[6:7]
	global_load_b32 v28, v[28:29], off
	s_wait_loadcnt 0x0
	v_and_b32_e32 v29, 0x7fffffff, v28
.LBB333_11:                             ;   in Loop: Header=BB333_9 Depth=1
	s_or_b32 exec_lo, exec_lo, s0
	v_add_nc_u64_e32 v[30:31], s[10:11], v[8:9]
	v_mov_b32_e32 v28, 0
	s_delay_alu instid0(VALU_DEP_2)
	v_cmp_lt_u64_e64 s0, v[30:31], v[4:5]
	v_mov_b32_e32 v30, 0
	s_and_saveexec_b32 s1, s0
	s_cbranch_execz .LBB333_13
; %bb.12:                               ;   in Loop: Header=BB333_9 Depth=1
	v_add_nc_u64_e32 v[30:31], s[4:5], v[24:25]
	global_load_b32 v30, v[30:31], off
	s_wait_loadcnt 0x0
	v_and_b32_e32 v30, 0x7fffffff, v30
.LBB333_13:                             ;   in Loop: Header=BB333_9 Depth=1
	s_or_b32 exec_lo, exec_lo, s1
	v_add_nc_u64_e32 v[32:33], s[10:11], v[14:15]
	s_delay_alu instid0(VALU_DEP_1)
	v_cmp_lt_u64_e64 s1, v[32:33], v[4:5]
	s_and_saveexec_b32 s2, s1
	s_cbranch_execz .LBB333_15
; %bb.14:                               ;   in Loop: Header=BB333_9 Depth=1
	v_add_nc_u64_e32 v[32:33], s[4:5], v[16:17]
	global_load_b32 v28, v[32:33], off
	s_wait_loadcnt 0x0
	v_and_b32_e32 v28, 0x7fffffff, v28
.LBB333_15:                             ;   in Loop: Header=BB333_9 Depth=1
	s_wait_xcnt 0x0
	s_or_b32 exec_lo, exec_lo, s2
	v_add_nc_u64_e32 v[32:33], s[10:11], v[12:13]
	v_mov_b32_e32 v31, 0
	s_delay_alu instid0(VALU_DEP_2)
	v_cmp_lt_u64_e64 s2, v[32:33], v[4:5]
	s_and_saveexec_b32 s3, s2
	s_cbranch_execnz .LBB333_20
; %bb.16:                               ;   in Loop: Header=BB333_9 Depth=1
	s_or_b32 exec_lo, exec_lo, s3
	s_and_saveexec_b32 s3, vcc_lo
	s_cbranch_execnz .LBB333_21
.LBB333_17:                             ;   in Loop: Header=BB333_9 Depth=1
	s_or_b32 exec_lo, exec_lo, s3
	s_and_saveexec_b32 s3, s0
	s_cbranch_execnz .LBB333_22
.LBB333_18:                             ;   in Loop: Header=BB333_9 Depth=1
	s_or_b32 exec_lo, exec_lo, s3
	s_and_saveexec_b32 s0, s1
	s_cbranch_execnz .LBB333_23
.LBB333_19:                             ;   in Loop: Header=BB333_9 Depth=1
	s_or_b32 exec_lo, exec_lo, s0
	s_and_saveexec_b32 s0, s2
	s_cbranch_execz .LBB333_8
	s_branch .LBB333_24
.LBB333_20:                             ;   in Loop: Header=BB333_9 Depth=1
	v_add_nc_u64_e32 v[32:33], s[4:5], v[20:21]
	global_load_b32 v31, v[32:33], off
	s_wait_loadcnt 0x0
	v_and_b32_e32 v31, 0x7fffffff, v31
	s_wait_xcnt 0x0
	s_or_b32 exec_lo, exec_lo, s3
	s_and_saveexec_b32 s3, vcc_lo
	s_cbranch_execz .LBB333_17
.LBB333_21:                             ;   in Loop: Header=BB333_9 Depth=1
	v_add_nc_u64_e32 v[32:33], s[4:5], v[10:11]
	global_store_b32 v[32:33], v29, off
	s_wait_xcnt 0x0
	s_or_b32 exec_lo, exec_lo, s3
	s_and_saveexec_b32 s3, s0
	s_cbranch_execz .LBB333_18
.LBB333_22:                             ;   in Loop: Header=BB333_9 Depth=1
	v_add_nc_u64_e32 v[32:33], s[4:5], v[26:27]
	global_store_b32 v[32:33], v30, off
	s_wait_xcnt 0x0
	s_or_b32 exec_lo, exec_lo, s3
	s_and_saveexec_b32 s0, s1
	s_cbranch_execz .LBB333_19
.LBB333_23:                             ;   in Loop: Header=BB333_9 Depth=1
	v_add_nc_u64_e32 v[32:33], s[4:5], v[18:19]
	global_store_b32 v[32:33], v28, off
	s_wait_xcnt 0x0
	s_or_b32 exec_lo, exec_lo, s0
	s_and_saveexec_b32 s0, s2
	s_cbranch_execz .LBB333_8
.LBB333_24:                             ;   in Loop: Header=BB333_9 Depth=1
	v_add_nc_u64_e32 v[28:29], s[4:5], v[22:23]
	global_store_b32 v[28:29], v31, off
	s_branch .LBB333_8
.LBB333_25:
	s_endpgm
	.section	.rodata,"a",@progbits
	.p2align	6, 0x0
	.amdhsa_kernel _ZN2at6native12_GLOBAL__N_125multi_tensor_apply_kernelINS1_18TensorListMetadataILi2EEENS1_14UnaryOpFunctorIfLi2ELi1ELi1EEEJNS0_3AbsIfEEEEEvT_T0_DpT1_
		.amdhsa_group_segment_fixed_size 0
		.amdhsa_private_segment_fixed_size 0
		.amdhsa_kernarg_size 3408
		.amdhsa_user_sgpr_count 2
		.amdhsa_user_sgpr_dispatch_ptr 0
		.amdhsa_user_sgpr_queue_ptr 0
		.amdhsa_user_sgpr_kernarg_segment_ptr 1
		.amdhsa_user_sgpr_dispatch_id 0
		.amdhsa_user_sgpr_kernarg_preload_length 0
		.amdhsa_user_sgpr_kernarg_preload_offset 0
		.amdhsa_user_sgpr_private_segment_size 0
		.amdhsa_wavefront_size32 1
		.amdhsa_uses_dynamic_stack 0
		.amdhsa_enable_private_segment 0
		.amdhsa_system_sgpr_workgroup_id_x 1
		.amdhsa_system_sgpr_workgroup_id_y 0
		.amdhsa_system_sgpr_workgroup_id_z 0
		.amdhsa_system_sgpr_workgroup_info 0
		.amdhsa_system_vgpr_workitem_id 0
		.amdhsa_next_free_vgpr 34
		.amdhsa_next_free_sgpr 20
		.amdhsa_named_barrier_count 0
		.amdhsa_reserve_vcc 1
		.amdhsa_float_round_mode_32 0
		.amdhsa_float_round_mode_16_64 0
		.amdhsa_float_denorm_mode_32 3
		.amdhsa_float_denorm_mode_16_64 3
		.amdhsa_fp16_overflow 0
		.amdhsa_memory_ordered 1
		.amdhsa_forward_progress 1
		.amdhsa_inst_pref_size 9
		.amdhsa_round_robin_scheduling 0
		.amdhsa_exception_fp_ieee_invalid_op 0
		.amdhsa_exception_fp_denorm_src 0
		.amdhsa_exception_fp_ieee_div_zero 0
		.amdhsa_exception_fp_ieee_overflow 0
		.amdhsa_exception_fp_ieee_underflow 0
		.amdhsa_exception_fp_ieee_inexact 0
		.amdhsa_exception_int_div_zero 0
	.end_amdhsa_kernel
	.section	.text._ZN2at6native12_GLOBAL__N_125multi_tensor_apply_kernelINS1_18TensorListMetadataILi2EEENS1_14UnaryOpFunctorIfLi2ELi1ELi1EEEJNS0_3AbsIfEEEEEvT_T0_DpT1_,"axG",@progbits,_ZN2at6native12_GLOBAL__N_125multi_tensor_apply_kernelINS1_18TensorListMetadataILi2EEENS1_14UnaryOpFunctorIfLi2ELi1ELi1EEEJNS0_3AbsIfEEEEEvT_T0_DpT1_,comdat
.Lfunc_end333:
	.size	_ZN2at6native12_GLOBAL__N_125multi_tensor_apply_kernelINS1_18TensorListMetadataILi2EEENS1_14UnaryOpFunctorIfLi2ELi1ELi1EEEJNS0_3AbsIfEEEEEvT_T0_DpT1_, .Lfunc_end333-_ZN2at6native12_GLOBAL__N_125multi_tensor_apply_kernelINS1_18TensorListMetadataILi2EEENS1_14UnaryOpFunctorIfLi2ELi1ELi1EEEJNS0_3AbsIfEEEEEvT_T0_DpT1_
                                        ; -- End function
	.set _ZN2at6native12_GLOBAL__N_125multi_tensor_apply_kernelINS1_18TensorListMetadataILi2EEENS1_14UnaryOpFunctorIfLi2ELi1ELi1EEEJNS0_3AbsIfEEEEEvT_T0_DpT1_.num_vgpr, 34
	.set _ZN2at6native12_GLOBAL__N_125multi_tensor_apply_kernelINS1_18TensorListMetadataILi2EEENS1_14UnaryOpFunctorIfLi2ELi1ELi1EEEJNS0_3AbsIfEEEEEvT_T0_DpT1_.num_agpr, 0
	.set _ZN2at6native12_GLOBAL__N_125multi_tensor_apply_kernelINS1_18TensorListMetadataILi2EEENS1_14UnaryOpFunctorIfLi2ELi1ELi1EEEJNS0_3AbsIfEEEEEvT_T0_DpT1_.numbered_sgpr, 20
	.set _ZN2at6native12_GLOBAL__N_125multi_tensor_apply_kernelINS1_18TensorListMetadataILi2EEENS1_14UnaryOpFunctorIfLi2ELi1ELi1EEEJNS0_3AbsIfEEEEEvT_T0_DpT1_.num_named_barrier, 0
	.set _ZN2at6native12_GLOBAL__N_125multi_tensor_apply_kernelINS1_18TensorListMetadataILi2EEENS1_14UnaryOpFunctorIfLi2ELi1ELi1EEEJNS0_3AbsIfEEEEEvT_T0_DpT1_.private_seg_size, 0
	.set _ZN2at6native12_GLOBAL__N_125multi_tensor_apply_kernelINS1_18TensorListMetadataILi2EEENS1_14UnaryOpFunctorIfLi2ELi1ELi1EEEJNS0_3AbsIfEEEEEvT_T0_DpT1_.uses_vcc, 1
	.set _ZN2at6native12_GLOBAL__N_125multi_tensor_apply_kernelINS1_18TensorListMetadataILi2EEENS1_14UnaryOpFunctorIfLi2ELi1ELi1EEEJNS0_3AbsIfEEEEEvT_T0_DpT1_.uses_flat_scratch, 0
	.set _ZN2at6native12_GLOBAL__N_125multi_tensor_apply_kernelINS1_18TensorListMetadataILi2EEENS1_14UnaryOpFunctorIfLi2ELi1ELi1EEEJNS0_3AbsIfEEEEEvT_T0_DpT1_.has_dyn_sized_stack, 0
	.set _ZN2at6native12_GLOBAL__N_125multi_tensor_apply_kernelINS1_18TensorListMetadataILi2EEENS1_14UnaryOpFunctorIfLi2ELi1ELi1EEEJNS0_3AbsIfEEEEEvT_T0_DpT1_.has_recursion, 0
	.set _ZN2at6native12_GLOBAL__N_125multi_tensor_apply_kernelINS1_18TensorListMetadataILi2EEENS1_14UnaryOpFunctorIfLi2ELi1ELi1EEEJNS0_3AbsIfEEEEEvT_T0_DpT1_.has_indirect_call, 0
	.section	.AMDGPU.csdata,"",@progbits
; Kernel info:
; codeLenInByte = 1080
; TotalNumSgprs: 22
; NumVgprs: 34
; ScratchSize: 0
; MemoryBound: 0
; FloatMode: 240
; IeeeMode: 1
; LDSByteSize: 0 bytes/workgroup (compile time only)
; SGPRBlocks: 0
; VGPRBlocks: 2
; NumSGPRsForWavesPerEU: 22
; NumVGPRsForWavesPerEU: 34
; NamedBarCnt: 0
; Occupancy: 16
; WaveLimiterHint : 0
; COMPUTE_PGM_RSRC2:SCRATCH_EN: 0
; COMPUTE_PGM_RSRC2:USER_SGPR: 2
; COMPUTE_PGM_RSRC2:TRAP_HANDLER: 0
; COMPUTE_PGM_RSRC2:TGID_X_EN: 1
; COMPUTE_PGM_RSRC2:TGID_Y_EN: 0
; COMPUTE_PGM_RSRC2:TGID_Z_EN: 0
; COMPUTE_PGM_RSRC2:TIDIG_COMP_CNT: 0
	.section	.text._ZN2at6native12_GLOBAL__N_125multi_tensor_apply_kernelINS1_18TensorListMetadataILi2EEENS1_14UnaryOpFunctorIN3c107complexIdEELi2ELi1ELi1EEEJNS0_3AbsIS8_EEEEEvT_T0_DpT1_,"axG",@progbits,_ZN2at6native12_GLOBAL__N_125multi_tensor_apply_kernelINS1_18TensorListMetadataILi2EEENS1_14UnaryOpFunctorIN3c107complexIdEELi2ELi1ELi1EEEJNS0_3AbsIS8_EEEEEvT_T0_DpT1_,comdat
	.globl	_ZN2at6native12_GLOBAL__N_125multi_tensor_apply_kernelINS1_18TensorListMetadataILi2EEENS1_14UnaryOpFunctorIN3c107complexIdEELi2ELi1ELi1EEEJNS0_3AbsIS8_EEEEEvT_T0_DpT1_ ; -- Begin function _ZN2at6native12_GLOBAL__N_125multi_tensor_apply_kernelINS1_18TensorListMetadataILi2EEENS1_14UnaryOpFunctorIN3c107complexIdEELi2ELi1ELi1EEEJNS0_3AbsIS8_EEEEEvT_T0_DpT1_
	.p2align	8
	.type	_ZN2at6native12_GLOBAL__N_125multi_tensor_apply_kernelINS1_18TensorListMetadataILi2EEENS1_14UnaryOpFunctorIN3c107complexIdEELi2ELi1ELi1EEEJNS0_3AbsIS8_EEEEEvT_T0_DpT1_,@function
_ZN2at6native12_GLOBAL__N_125multi_tensor_apply_kernelINS1_18TensorListMetadataILi2EEENS1_14UnaryOpFunctorIN3c107complexIdEELi2ELi1ELi1EEEJNS0_3AbsIS8_EEEEEvT_T0_DpT1_: ; @_ZN2at6native12_GLOBAL__N_125multi_tensor_apply_kernelINS1_18TensorListMetadataILi2EEENS1_14UnaryOpFunctorIN3c107complexIdEELi2ELi1ELi1EEEJNS0_3AbsIS8_EEEEEvT_T0_DpT1_
; %bb.0:
	s_bfe_u32 s2, ttmp6, 0x4000c
	s_and_b32 s3, ttmp6, 15
	s_add_co_i32 s2, s2, 1
	s_getreg_b32 s4, hwreg(HW_REG_IB_STS2, 6, 4)
	s_mul_i32 s2, ttmp9, s2
	s_mov_b32 s5, 0
	s_add_co_i32 s3, s3, s2
	s_cmp_eq_u32 s4, 0
	s_mov_b32 s19, s5
	s_cselect_b32 s4, ttmp9, s3
	s_load_u8 s8, s[0:1], s4 offset:0x600
	s_add_nc_u64 s[2:3], s[0:1], s[4:5]
	s_mul_u64 s[6:7], s[4:5], 3
	s_delay_alu instid0(SALU_CYCLE_1)
	s_add_nc_u64 s[2:3], s[2:3], s[6:7]
	s_load_b32 s10, s[2:3], 0x740
	s_wait_kmcnt 0x0
	s_clause 0x2
	s_load_b64 s[12:13], s[0:1], s8 offset:0x0 scale_offset
	s_load_b64 s[14:15], s[0:1], s8 offset:0x200 scale_offset
	;; [unrolled: 1-line block ×3, first 2 shown]
	s_ashr_i32 s11, s10, 31
	s_delay_alu instid0(SALU_CYCLE_1)
	s_lshl_b64 s[2:3], s[10:11], 20
	s_wait_kmcnt 0x0
	s_and_b32 s18, s16, 3
	s_add_nc_u64 s[8:9], s[14:15], s[2:3]
	s_add_nc_u64 s[6:7], s[12:13], s[2:3]
	s_and_b64 s[20:21], s[8:9], 63
	s_and_b32 s4, s6, 63
	s_or_b64 s[18:19], s[20:21], s[18:19]
	s_lshl_b64 s[10:11], s[10:11], 16
	s_or_b64 s[4:5], s[18:19], s[4:5]
	s_sub_nc_u64 s[10:11], s[16:17], s[10:11]
	s_cmp_eq_u64 s[4:5], 0
	s_mov_b32 s4, -1
	s_cbranch_scc0 .LBB334_5
; %bb.1:
	v_min_i64 v[10:11], 0x10000, s[10:11]
	v_dual_mov_b32 v4, 0 :: v_dual_lshlrev_b32 v2, 2, v0
	s_mov_b32 s20, exec_lo
	s_delay_alu instid0(VALU_DEP_1) | instskip(NEXT) | instid1(VALU_DEP_1)
	v_mov_b32_e32 v3, v4
	v_cmpx_lt_i64_e64 v[2:3], v[10:11]
	s_cbranch_execz .LBB334_4
; %bb.2:
	s_load_b32 s4, s[0:1], 0xc5c
	v_dual_mov_b32 v3, v4 :: v_dual_lshlrev_b32 v2, 6, v0
	v_mov_b32_e32 v1, v4
	s_mov_b32 s17, 0
	s_delay_alu instid0(SALU_CYCLE_1) | instskip(NEXT) | instid1(VALU_DEP_2)
	s_mov_b32 s19, s17
	v_add_nc_u64_e32 v[12:13], s[2:3], v[2:3]
	s_delay_alu instid0(VALU_DEP_2) | instskip(SKIP_3) | instid1(SALU_CYCLE_1)
	v_mov_b64_e32 v[14:15], v[0:1]
	s_mov_b32 s21, s17
	s_wait_kmcnt 0x0
	s_and_b32 s16, s4, 0xffff
	s_lshl_b32 s18, s16, 6
.LBB334_3:                              ; =>This Inner Loop Header: Depth=1
	s_delay_alu instid0(VALU_DEP_2) | instskip(NEXT) | instid1(VALU_DEP_2)
	v_add_nc_u64_e32 v[2:3], s[12:13], v[12:13]
	v_add_nc_u64_e32 v[14:15], s[16:17], v[14:15]
	s_clause 0x3
	global_load_b128 v[6:9], v[2:3], off
	global_load_b128 v[16:19], v[2:3], off offset:16
	global_load_b128 v[20:23], v[2:3], off offset:32
	;; [unrolled: 1-line block ×3, first 2 shown]
	s_wait_loadcnt 0x3
	s_wait_xcnt 0x0
	v_max_num_f64_e64 v[2:3], |v[8:9]|, |v[8:9]|
	v_max_num_f64_e64 v[28:29], |v[6:7]|, |v[6:7]|
	s_wait_loadcnt 0x2
	v_max_num_f64_e64 v[30:31], |v[18:19]|, |v[18:19]|
	v_max_num_f64_e64 v[32:33], |v[16:17]|, |v[16:17]|
	s_wait_loadcnt 0x1
	;; [unrolled: 3-line block ×3, first 2 shown]
	v_max_num_f64_e64 v[38:39], |v[26:27]|, |v[26:27]|
	v_max_num_f64_e64 v[40:41], |v[24:25]|, |v[24:25]|
	v_cmp_class_f64_e64 s22, v[6:7], 0x204
	v_cmp_class_f64_e64 s23, v[16:17], 0x204
	;; [unrolled: 1-line block ×8, first 2 shown]
	v_max_num_f64_e32 v[2:3], v[28:29], v[2:3]
	v_max_num_f64_e32 v[28:29], v[32:33], v[30:31]
	;; [unrolled: 1-line block ×3, first 2 shown]
	s_or_b32 s22, s22, s29
	s_delay_alu instid0(VALU_DEP_3) | instskip(NEXT) | instid1(VALU_DEP_3)
	v_frexp_exp_i32_f64_e32 v1, v[2:3]
	v_frexp_exp_i32_f64_e32 v56, v[28:29]
	s_delay_alu instid0(VALU_DEP_3) | instskip(NEXT) | instid1(VALU_DEP_3)
	v_frexp_exp_i32_f64_e32 v57, v[30:31]
	v_sub_nc_u32_e32 v5, 0, v1
	s_delay_alu instid0(VALU_DEP_2) | instskip(NEXT) | instid1(VALU_DEP_2)
	v_sub_nc_u32_e32 v36, 0, v57
	v_ldexp_f64 v[2:3], |v[8:9]|, v5
	v_ldexp_f64 v[28:29], |v[6:7]|, v5
	v_mov_b32_e32 v5, v4
	s_delay_alu instid0(VALU_DEP_4) | instskip(SKIP_2) | instid1(VALU_DEP_1)
	v_ldexp_f64 v[34:35], |v[20:21]|, v36
	v_ldexp_f64 v[36:37], |v[22:23]|, v36
	v_mul_f64_e32 v[2:3], v[2:3], v[2:3]
	v_fmac_f64_e32 v[2:3], v[28:29], v[28:29]
	s_delay_alu instid0(VALU_DEP_1) | instskip(NEXT) | instid1(VALU_DEP_4)
	v_cmp_eq_f64_e32 vcc_lo, 0, v[2:3]
	v_mul_f64_e32 v[36:37], v[36:37], v[36:37]
	v_rsq_f64_e32 v[28:29], v[2:3]
	s_delay_alu instid0(VALU_DEP_1) | instskip(NEXT) | instid1(TRANS32_DEP_1)
	v_fmac_f64_e32 v[36:37], v[34:35], v[34:35]
	v_mul_f64_e32 v[42:43], v[2:3], v[28:29]
	v_mul_f64_e32 v[28:29], 0.5, v[28:29]
	s_delay_alu instid0(VALU_DEP_3) | instskip(SKIP_1) | instid1(VALU_DEP_2)
	v_rsq_f64_e32 v[34:35], v[36:37]
	v_cmp_eq_f64_e64 s3, 0, v[36:37]
	v_fma_f64 v[50:51], -v[28:29], v[42:43], 0.5
	s_delay_alu instid0(TRANS32_DEP_1) | instskip(SKIP_1) | instid1(VALU_DEP_3)
	v_mul_f64_e32 v[46:47], v[36:37], v[34:35]
	v_mul_f64_e32 v[34:35], 0.5, v[34:35]
	v_fmac_f64_e32 v[28:29], v[28:29], v[50:51]
	v_fmac_f64_e32 v[42:43], v[42:43], v[50:51]
	s_delay_alu instid0(VALU_DEP_3) | instskip(NEXT) | instid1(VALU_DEP_1)
	v_fma_f64 v[54:55], -v[34:35], v[46:47], 0.5
	v_fmac_f64_e32 v[46:47], v[46:47], v[54:55]
	v_fmac_f64_e32 v[34:35], v[34:35], v[54:55]
	s_delay_alu instid0(VALU_DEP_2) | instskip(NEXT) | instid1(VALU_DEP_1)
	v_fma_f64 v[54:55], -v[46:47], v[46:47], v[36:37]
	v_fmac_f64_e32 v[46:47], v[54:55], v[34:35]
	s_delay_alu instid0(VALU_DEP_1) | instskip(NEXT) | instid1(VALU_DEP_1)
	v_dual_max_num_f64 v[32:33], v[40:41], v[38:39] :: v_dual_cndmask_b32 v35, v47, v37, s3
	v_frexp_exp_i32_f64_e32 v58, v[32:33]
	v_sub_nc_u32_e32 v32, 0, v56
	s_delay_alu instid0(VALU_DEP_4) | instskip(SKIP_2) | instid1(VALU_DEP_4)
	v_cndmask_b32_e64 v34, v46, v36, s3
	v_cmp_o_f64_e64 s3, v[20:21], v[22:23]
	v_lshlrev_b64_e32 v[22:23], 2, v[14:15]
	v_ldexp_f64 v[30:31], |v[16:17]|, v32
	v_ldexp_f64 v[32:33], |v[18:19]|, v32
	s_delay_alu instid0(VALU_DEP_3) | instskip(NEXT) | instid1(VALU_DEP_2)
	v_cmp_ge_i64_e64 s5, v[22:23], v[10:11]
	v_dual_mul_f64 v[32:33], v[32:33], v[32:33] :: v_dual_sub_nc_u32 v40, 0, v58
	s_delay_alu instid0(VALU_DEP_1) | instskip(SKIP_1) | instid1(VALU_DEP_3)
	v_ldexp_f64 v[38:39], |v[24:25]|, v40
	v_ldexp_f64 v[40:41], |v[26:27]|, v40
	v_fmac_f64_e32 v[32:33], v[30:31], v[30:31]
	s_delay_alu instid0(VALU_DEP_2) | instskip(NEXT) | instid1(VALU_DEP_2)
	v_mul_f64_e32 v[40:41], v[40:41], v[40:41]
	v_rsq_f64_e32 v[30:31], v[32:33]
	v_cmp_eq_f64_e64 s2, 0, v[32:33]
	s_delay_alu instid0(VALU_DEP_2) | instskip(NEXT) | instid1(VALU_DEP_1)
	v_fmac_f64_e32 v[40:41], v[38:39], v[38:39]
	v_rsq_f64_e32 v[38:39], v[40:41]
	v_cmp_eq_f64_e64 s4, 0, v[40:41]
	s_delay_alu instid0(TRANS32_DEP_2) | instskip(SKIP_1) | instid1(VALU_DEP_1)
	v_mul_f64_e32 v[44:45], v[32:33], v[30:31]
	v_mul_f64_e32 v[30:31], 0.5, v[30:31]
	v_fma_f64 v[52:53], -v[30:31], v[44:45], 0.5
	s_delay_alu instid0(TRANS32_DEP_1) | instskip(SKIP_1) | instid1(VALU_DEP_3)
	v_mul_f64_e32 v[48:49], v[40:41], v[38:39]
	v_mul_f64_e32 v[38:39], 0.5, v[38:39]
	v_fmac_f64_e32 v[44:45], v[44:45], v[52:53]
	v_fmac_f64_e32 v[30:31], v[30:31], v[52:53]
	s_delay_alu instid0(VALU_DEP_3) | instskip(NEXT) | instid1(VALU_DEP_1)
	v_fma_f64 v[50:51], -v[38:39], v[48:49], 0.5
	v_fmac_f64_e32 v[38:39], v[38:39], v[50:51]
	v_fmac_f64_e32 v[48:49], v[48:49], v[50:51]
	v_fma_f64 v[50:51], -v[42:43], v[42:43], v[2:3]
	s_delay_alu instid0(VALU_DEP_1) | instskip(NEXT) | instid1(VALU_DEP_1)
	v_fmac_f64_e32 v[42:43], v[50:51], v[28:29]
	v_dual_cndmask_b32 v3, v43, v3 :: v_dual_cndmask_b32 v2, v42, v2
	v_cmp_o_f64_e32 vcc_lo, v[6:7], v[8:9]
	v_dual_mov_b32 v8, v4 :: v_dual_mov_b32 v9, v4
	s_delay_alu instid0(VALU_DEP_3) | instskip(NEXT) | instid1(VALU_DEP_1)
	v_ldexp_f64 v[2:3], v[2:3], v1
	v_dual_fma_f64 v[52:53], -v[44:45], v[44:45], v[32:33] :: v_dual_cndmask_b32 v1, 0, v2, vcc_lo
	s_delay_alu instid0(VALU_DEP_1) | instskip(SKIP_3) | instid1(VALU_DEP_1)
	v_fmac_f64_e32 v[44:45], v[52:53], v[30:31]
	v_add_nc_u64_e32 v[30:31], s[14:15], v[12:13]
	v_add_nc_u64_e32 v[12:13], s[18:19], v[12:13]
	v_cndmask_b32_e32 v2, 0x7ff80000, v3, vcc_lo
	v_cndmask_b32_e64 v3, v2, 0x7ff00000, s22
	v_cndmask_b32_e64 v2, v1, 0, s22
	v_dual_cndmask_b32 v33, v45, v33, s2 :: v_dual_cndmask_b32 v32, v44, v32, s2
	v_cmp_o_f64_e64 s2, v[16:17], v[18:19]
	v_ldexp_f64 v[16:17], v[34:35], v57
	v_dual_mov_b32 v19, v4 :: v_dual_mov_b32 v18, v4
	s_delay_alu instid0(VALU_DEP_4) | instskip(SKIP_1) | instid1(VALU_DEP_4)
	v_ldexp_f64 v[6:7], v[32:33], v56
	v_fma_f64 v[28:29], -v[48:49], v[48:49], v[40:41]
	v_cndmask_b32_e64 v16, 0, v16, s3
	v_cndmask_b32_e64 v17, 0x7ff80000, v17, s3
	s_or_b32 s3, s25, s26
	s_delay_alu instid0(VALU_DEP_4) | instskip(NEXT) | instid1(VALU_DEP_4)
	v_cndmask_b32_e64 v6, 0, v6, s2
	v_fmac_f64_e32 v[48:49], v[28:29], v[38:39]
	v_cndmask_b32_e64 v7, 0x7ff80000, v7, s2
	s_or_b32 s2, s23, s24
	v_dual_mov_b32 v28, v4 :: v_dual_mov_b32 v29, v4
	s_delay_alu instid0(VALU_DEP_3)
	v_dual_cndmask_b32 v37, v49, v41, s4 :: v_dual_cndmask_b32 v36, v48, v40, s4
	v_cmp_o_f64_e64 s4, v[24:25], v[26:27]
	v_cndmask_b32_e64 v27, v7, 0x7ff00000, s2
	v_cndmask_b32_e64 v26, v6, 0, s2
	;; [unrolled: 1-line block ×3, first 2 shown]
	v_ldexp_f64 v[20:21], v[36:37], v58
	v_cndmask_b32_e64 v6, v16, 0, s3
	s_delay_alu instid0(VALU_DEP_2) | instskip(NEXT) | instid1(VALU_DEP_3)
	v_cndmask_b32_e64 v20, 0, v20, s4
	v_cndmask_b32_e64 v21, 0x7ff80000, v21, s4
	s_or_b32 s4, s27, s28
	s_or_b32 s21, s5, s21
	s_delay_alu instid0(VALU_DEP_2) | instskip(NEXT) | instid1(VALU_DEP_2)
	v_cndmask_b32_e64 v16, v20, 0, s4
	v_cndmask_b32_e64 v17, v21, 0x7ff00000, s4
	s_clause 0x3
	global_store_b128 v[30:31], v[2:5], off
	global_store_b128 v[30:31], v[26:29], off offset:16
	global_store_b128 v[30:31], v[6:9], off offset:32
	global_store_b128 v[30:31], v[16:19], off offset:48
	s_wait_xcnt 0x0
	s_and_not1_b32 exec_lo, exec_lo, s21
	s_cbranch_execnz .LBB334_3
.LBB334_4:
	s_or_b32 exec_lo, exec_lo, s20
	s_mov_b32 s4, 0
.LBB334_5:
	s_delay_alu instid0(SALU_CYCLE_1)
	s_and_not1_b32 vcc_lo, exec_lo, s4
	s_cbranch_vccnz .LBB334_25
; %bb.6:
	v_cmp_lt_i64_e64 s2, s[10:11], 1
	s_and_b32 vcc_lo, exec_lo, s2
	s_cbranch_vccnz .LBB334_25
; %bb.7:
	v_min_i64 v[22:23], 0x10000, s[10:11]
	v_min_u64 v[24:25], 0x10000, s[10:11]
	s_load_b32 s0, s[0:1], 0xc5c
	v_mov_b32_e32 v4, 0
	s_mov_b32 s5, 0
	s_mov_b64 s[16:17], 0
	s_mov_b32 s11, s5
	s_mov_b32 s13, s5
	v_mov_b32_e32 v1, v4
	s_mov_b32 s15, s5
	s_wait_kmcnt 0x0
	s_and_b32 s4, s0, 0xffff
	s_delay_alu instid0(SALU_CYCLE_1)
	s_lshl_b32 s10, s4, 1
	s_mul_i32 s12, s4, 3
	s_lshl_b32 s14, s4, 2
	s_branch .LBB334_9
.LBB334_8:                              ;   in Loop: Header=BB334_9 Depth=1
	s_wait_xcnt 0x0
	s_or_b32 exec_lo, exec_lo, s0
	s_add_nc_u64 s[16:17], s[16:17], s[14:15]
	s_delay_alu instid0(SALU_CYCLE_1)
	v_cmp_ge_i64_e32 vcc_lo, s[16:17], v[22:23]
	s_cbranch_vccnz .LBB334_25
.LBB334_9:                              ; =>This Inner Loop Header: Depth=1
	v_add_nc_u64_e32 v[2:3], s[16:17], v[0:1]
	s_wait_loadcnt 0x0
	v_mov_b64_e32 v[16:17], 0
	v_mov_b64_e32 v[20:21], 0
	;; [unrolled: 1-line block ×3, first 2 shown]
	s_delay_alu instid0(VALU_DEP_4)
	v_cmp_lt_u64_e64 s2, v[2:3], v[24:25]
	s_and_saveexec_b32 s0, s2
	s_cbranch_execz .LBB334_11
; %bb.10:                               ;   in Loop: Header=BB334_9 Depth=1
	v_lshl_add_u64 v[6:7], v[2:3], 4, s[6:7]
	global_load_b128 v[18:21], v[6:7], off
.LBB334_11:                             ;   in Loop: Header=BB334_9 Depth=1
	s_wait_xcnt 0x0
	s_or_b32 exec_lo, exec_lo, s0
	v_add_nc_u64_e32 v[30:31], s[4:5], v[2:3]
	v_mov_b64_e32 v[14:15], 0
	s_delay_alu instid0(VALU_DEP_2)
	v_cmp_lt_u64_e64 s1, v[30:31], v[24:25]
	s_and_saveexec_b32 s0, s1
	s_cbranch_execz .LBB334_13
; %bb.12:                               ;   in Loop: Header=BB334_9 Depth=1
	v_lshl_add_u64 v[6:7], v[30:31], 4, s[6:7]
	global_load_b128 v[14:17], v[6:7], off
.LBB334_13:                             ;   in Loop: Header=BB334_9 Depth=1
	s_wait_xcnt 0x0
	s_or_b32 exec_lo, exec_lo, s0
	v_add_nc_u64_e32 v[28:29], s[10:11], v[2:3]
	v_mov_b64_e32 v[8:9], 0
	v_mov_b64_e32 v[12:13], 0
	;; [unrolled: 1-line block ×3, first 2 shown]
	s_delay_alu instid0(VALU_DEP_4)
	v_cmp_lt_u64_e64 s0, v[28:29], v[24:25]
	s_and_saveexec_b32 s3, s0
	s_cbranch_execz .LBB334_15
; %bb.14:                               ;   in Loop: Header=BB334_9 Depth=1
	v_lshl_add_u64 v[6:7], v[28:29], 4, s[6:7]
	global_load_b128 v[10:13], v[6:7], off
.LBB334_15:                             ;   in Loop: Header=BB334_9 Depth=1
	s_wait_xcnt 0x0
	s_or_b32 exec_lo, exec_lo, s3
	v_add_nc_u64_e32 v[26:27], s[12:13], v[2:3]
	v_mov_b64_e32 v[6:7], 0
	s_delay_alu instid0(VALU_DEP_2)
	v_cmp_lt_u64_e32 vcc_lo, v[26:27], v[24:25]
	s_and_saveexec_b32 s3, vcc_lo
	s_cbranch_execnz .LBB334_20
; %bb.16:                               ;   in Loop: Header=BB334_9 Depth=1
	s_or_b32 exec_lo, exec_lo, s3
	s_and_saveexec_b32 s3, s2
	s_cbranch_execnz .LBB334_21
.LBB334_17:                             ;   in Loop: Header=BB334_9 Depth=1
	s_or_b32 exec_lo, exec_lo, s3
	s_and_saveexec_b32 s2, s1
	s_cbranch_execnz .LBB334_22
.LBB334_18:                             ;   in Loop: Header=BB334_9 Depth=1
	s_or_b32 exec_lo, exec_lo, s2
	s_and_saveexec_b32 s1, s0
	s_cbranch_execnz .LBB334_23
.LBB334_19:                             ;   in Loop: Header=BB334_9 Depth=1
	s_or_b32 exec_lo, exec_lo, s1
	s_and_saveexec_b32 s0, vcc_lo
	s_cbranch_execz .LBB334_8
	s_branch .LBB334_24
.LBB334_20:                             ;   in Loop: Header=BB334_9 Depth=1
	v_lshl_add_u64 v[6:7], v[26:27], 4, s[6:7]
	global_load_b128 v[6:9], v[6:7], off
	s_wait_xcnt 0x0
	s_or_b32 exec_lo, exec_lo, s3
	s_and_saveexec_b32 s3, s2
	s_cbranch_execz .LBB334_17
.LBB334_21:                             ;   in Loop: Header=BB334_9 Depth=1
	s_wait_loadcnt 0x0
	v_max_num_f64_e64 v[32:33], |v[20:21]|, |v[20:21]|
	v_max_num_f64_e64 v[34:35], |v[18:19]|, |v[18:19]|
	v_cmp_class_f64_e64 s18, v[18:19], 0x204
	v_cmp_class_f64_e64 s19, v[20:21], 0x204
	s_delay_alu instid0(VALU_DEP_3) | instskip(NEXT) | instid1(VALU_DEP_1)
	v_max_num_f64_e32 v[32:33], v[34:35], v[32:33]
	v_frexp_exp_i32_f64_e32 v5, v[32:33]
	s_delay_alu instid0(VALU_DEP_1) | instskip(NEXT) | instid1(VALU_DEP_1)
	v_sub_nc_u32_e32 v34, 0, v5
	v_ldexp_f64 v[32:33], |v[20:21]|, v34
	v_ldexp_f64 v[34:35], |v[18:19]|, v34
	s_delay_alu instid0(VALU_DEP_2) | instskip(NEXT) | instid1(VALU_DEP_1)
	v_mul_f64_e32 v[32:33], v[32:33], v[32:33]
	v_fmac_f64_e32 v[32:33], v[34:35], v[34:35]
	s_delay_alu instid0(VALU_DEP_1) | instskip(SKIP_1) | instid1(TRANS32_DEP_1)
	v_rsq_f64_e32 v[34:35], v[32:33]
	v_cmp_eq_f64_e64 s2, 0, v[32:33]
	v_mul_f64_e32 v[36:37], v[32:33], v[34:35]
	v_mul_f64_e32 v[34:35], 0.5, v[34:35]
	s_delay_alu instid0(VALU_DEP_1) | instskip(NEXT) | instid1(VALU_DEP_1)
	v_fma_f64 v[38:39], -v[34:35], v[36:37], 0.5
	v_fmac_f64_e32 v[36:37], v[36:37], v[38:39]
	v_fmac_f64_e32 v[34:35], v[34:35], v[38:39]
	s_delay_alu instid0(VALU_DEP_2) | instskip(NEXT) | instid1(VALU_DEP_1)
	v_fma_f64 v[38:39], -v[36:37], v[36:37], v[32:33]
	v_fmac_f64_e32 v[36:37], v[38:39], v[34:35]
	s_delay_alu instid0(VALU_DEP_1) | instskip(SKIP_2) | instid1(VALU_DEP_3)
	v_dual_cndmask_b32 v33, v37, v33, s2 :: v_dual_cndmask_b32 v32, v36, v32, s2
	v_cmp_o_f64_e64 s2, v[18:19], v[20:21]
	v_lshl_add_u64 v[18:19], v[2:3], 4, s[8:9]
	v_ldexp_f64 v[32:33], v[32:33], v5
	s_delay_alu instid0(VALU_DEP_1) | instskip(NEXT) | instid1(VALU_DEP_2)
	v_cndmask_b32_e64 v5, 0, v32, s2
	v_cndmask_b32_e64 v20, 0x7ff80000, v33, s2
	s_or_b32 s2, s19, s18
	s_delay_alu instid0(VALU_DEP_2) | instid1(SALU_CYCLE_1)
	v_cndmask_b32_e64 v2, v5, 0, s2
	s_delay_alu instid0(VALU_DEP_2)
	v_cndmask_b32_e64 v3, v20, 0x7ff00000, s2
	v_mov_b32_e32 v5, v4
	global_store_b128 v[18:19], v[2:5], off
	s_wait_xcnt 0x0
	s_or_b32 exec_lo, exec_lo, s3
	s_and_saveexec_b32 s2, s1
	s_cbranch_execz .LBB334_18
.LBB334_22:                             ;   in Loop: Header=BB334_9 Depth=1
	s_wait_loadcnt 0x0
	v_max_num_f64_e64 v[2:3], |v[16:17]|, |v[16:17]|
	v_max_num_f64_e64 v[18:19], |v[14:15]|, |v[14:15]|
	v_cmp_class_f64_e64 s3, v[14:15], 0x204
	v_cmp_class_f64_e64 s18, v[16:17], 0x204
	s_delay_alu instid0(VALU_DEP_3) | instskip(NEXT) | instid1(VALU_DEP_1)
	v_max_num_f64_e32 v[2:3], v[18:19], v[2:3]
	v_frexp_exp_i32_f64_e32 v5, v[2:3]
	s_delay_alu instid0(VALU_DEP_1) | instskip(NEXT) | instid1(VALU_DEP_1)
	v_sub_nc_u32_e32 v18, 0, v5
	v_ldexp_f64 v[2:3], |v[16:17]|, v18
	v_ldexp_f64 v[18:19], |v[14:15]|, v18
	s_delay_alu instid0(VALU_DEP_2) | instskip(NEXT) | instid1(VALU_DEP_1)
	v_mul_f64_e32 v[2:3], v[2:3], v[2:3]
	v_fmac_f64_e32 v[2:3], v[18:19], v[18:19]
	s_delay_alu instid0(VALU_DEP_1) | instskip(SKIP_1) | instid1(TRANS32_DEP_1)
	v_rsq_f64_e32 v[18:19], v[2:3]
	v_cmp_eq_f64_e64 s1, 0, v[2:3]
	v_mul_f64_e32 v[20:21], v[2:3], v[18:19]
	v_mul_f64_e32 v[18:19], 0.5, v[18:19]
	s_delay_alu instid0(VALU_DEP_1) | instskip(NEXT) | instid1(VALU_DEP_1)
	v_fma_f64 v[32:33], -v[18:19], v[20:21], 0.5
	v_fmac_f64_e32 v[20:21], v[20:21], v[32:33]
	v_fmac_f64_e32 v[18:19], v[18:19], v[32:33]
	s_delay_alu instid0(VALU_DEP_2) | instskip(NEXT) | instid1(VALU_DEP_1)
	v_fma_f64 v[32:33], -v[20:21], v[20:21], v[2:3]
	v_fmac_f64_e32 v[20:21], v[32:33], v[18:19]
	s_delay_alu instid0(VALU_DEP_1) | instskip(SKIP_2) | instid1(VALU_DEP_3)
	v_dual_cndmask_b32 v3, v21, v3, s1 :: v_dual_cndmask_b32 v2, v20, v2, s1
	v_cmp_o_f64_e64 s1, v[14:15], v[16:17]
	v_lshl_add_u64 v[14:15], v[30:31], 4, s[8:9]
	v_ldexp_f64 v[2:3], v[2:3], v5
	s_delay_alu instid0(VALU_DEP_1) | instskip(NEXT) | instid1(VALU_DEP_2)
	v_dual_mov_b32 v5, v4 :: v_dual_cndmask_b32 v2, 0, v2, s1
	v_cndmask_b32_e64 v3, 0x7ff80000, v3, s1
	s_or_b32 s1, s18, s3
	s_delay_alu instid0(VALU_DEP_2) | instid1(SALU_CYCLE_1)
	v_cndmask_b32_e64 v2, v2, 0, s1
	s_delay_alu instid0(VALU_DEP_2)
	v_cndmask_b32_e64 v3, v3, 0x7ff00000, s1
	global_store_b128 v[14:15], v[2:5], off
	s_wait_xcnt 0x0
	s_or_b32 exec_lo, exec_lo, s2
	s_and_saveexec_b32 s1, s0
	s_cbranch_execz .LBB334_19
.LBB334_23:                             ;   in Loop: Header=BB334_9 Depth=1
	s_wait_loadcnt 0x0
	v_max_num_f64_e64 v[2:3], |v[12:13]|, |v[12:13]|
	v_max_num_f64_e64 v[14:15], |v[10:11]|, |v[10:11]|
	v_cmp_class_f64_e64 s2, v[10:11], 0x204
	v_cmp_class_f64_e64 s3, v[12:13], 0x204
	s_delay_alu instid0(VALU_DEP_3) | instskip(NEXT) | instid1(VALU_DEP_1)
	v_max_num_f64_e32 v[2:3], v[14:15], v[2:3]
	v_frexp_exp_i32_f64_e32 v5, v[2:3]
	s_delay_alu instid0(VALU_DEP_1) | instskip(NEXT) | instid1(VALU_DEP_1)
	v_sub_nc_u32_e32 v14, 0, v5
	v_ldexp_f64 v[2:3], |v[12:13]|, v14
	v_ldexp_f64 v[14:15], |v[10:11]|, v14
	s_delay_alu instid0(VALU_DEP_2) | instskip(NEXT) | instid1(VALU_DEP_1)
	v_mul_f64_e32 v[2:3], v[2:3], v[2:3]
	v_fmac_f64_e32 v[2:3], v[14:15], v[14:15]
	s_delay_alu instid0(VALU_DEP_1) | instskip(SKIP_1) | instid1(TRANS32_DEP_1)
	v_rsq_f64_e32 v[14:15], v[2:3]
	v_cmp_eq_f64_e64 s0, 0, v[2:3]
	v_mul_f64_e32 v[16:17], v[2:3], v[14:15]
	v_mul_f64_e32 v[14:15], 0.5, v[14:15]
	s_delay_alu instid0(VALU_DEP_1) | instskip(NEXT) | instid1(VALU_DEP_1)
	v_fma_f64 v[18:19], -v[14:15], v[16:17], 0.5
	v_fmac_f64_e32 v[16:17], v[16:17], v[18:19]
	v_fmac_f64_e32 v[14:15], v[14:15], v[18:19]
	s_delay_alu instid0(VALU_DEP_2) | instskip(NEXT) | instid1(VALU_DEP_1)
	v_fma_f64 v[18:19], -v[16:17], v[16:17], v[2:3]
	v_fmac_f64_e32 v[16:17], v[18:19], v[14:15]
	s_delay_alu instid0(VALU_DEP_1) | instskip(SKIP_2) | instid1(VALU_DEP_3)
	v_dual_cndmask_b32 v3, v17, v3, s0 :: v_dual_cndmask_b32 v2, v16, v2, s0
	v_cmp_o_f64_e64 s0, v[10:11], v[12:13]
	v_lshl_add_u64 v[10:11], v[28:29], 4, s[8:9]
	v_ldexp_f64 v[2:3], v[2:3], v5
	s_delay_alu instid0(VALU_DEP_1) | instskip(NEXT) | instid1(VALU_DEP_2)
	v_dual_mov_b32 v5, v4 :: v_dual_cndmask_b32 v2, 0, v2, s0
	v_cndmask_b32_e64 v3, 0x7ff80000, v3, s0
	s_or_b32 s0, s3, s2
	s_delay_alu instid0(VALU_DEP_2) | instid1(SALU_CYCLE_1)
	v_cndmask_b32_e64 v2, v2, 0, s0
	s_delay_alu instid0(VALU_DEP_2)
	v_cndmask_b32_e64 v3, v3, 0x7ff00000, s0
	global_store_b128 v[10:11], v[2:5], off
	s_wait_xcnt 0x0
	s_or_b32 exec_lo, exec_lo, s1
	s_and_saveexec_b32 s0, vcc_lo
	s_cbranch_execz .LBB334_8
.LBB334_24:                             ;   in Loop: Header=BB334_9 Depth=1
	s_wait_loadcnt 0x0
	v_max_num_f64_e64 v[2:3], |v[8:9]|, |v[8:9]|
	v_max_num_f64_e64 v[10:11], |v[6:7]|, |v[6:7]|
	v_cmp_class_f64_e64 s1, v[6:7], 0x204
	v_cmp_class_f64_e64 s2, v[8:9], 0x204
	s_delay_alu instid0(VALU_DEP_3) | instskip(SKIP_1) | instid1(VALU_DEP_1)
	v_max_num_f64_e32 v[2:3], v[10:11], v[2:3]
	s_or_b32 s1, s2, s1
	v_frexp_exp_i32_f64_e32 v5, v[2:3]
	s_delay_alu instid0(VALU_DEP_1) | instskip(NEXT) | instid1(VALU_DEP_1)
	v_sub_nc_u32_e32 v10, 0, v5
	v_ldexp_f64 v[2:3], |v[8:9]|, v10
	v_ldexp_f64 v[10:11], |v[6:7]|, v10
	s_delay_alu instid0(VALU_DEP_2) | instskip(NEXT) | instid1(VALU_DEP_1)
	v_mul_f64_e32 v[2:3], v[2:3], v[2:3]
	v_fmac_f64_e32 v[2:3], v[10:11], v[10:11]
	s_delay_alu instid0(VALU_DEP_1) | instskip(SKIP_1) | instid1(TRANS32_DEP_1)
	v_rsq_f64_e32 v[10:11], v[2:3]
	v_cmp_eq_f64_e32 vcc_lo, 0, v[2:3]
	v_mul_f64_e32 v[12:13], v[2:3], v[10:11]
	v_mul_f64_e32 v[10:11], 0.5, v[10:11]
	s_delay_alu instid0(VALU_DEP_1) | instskip(NEXT) | instid1(VALU_DEP_1)
	v_fma_f64 v[14:15], -v[10:11], v[12:13], 0.5
	v_fmac_f64_e32 v[12:13], v[12:13], v[14:15]
	v_fmac_f64_e32 v[10:11], v[10:11], v[14:15]
	s_delay_alu instid0(VALU_DEP_2) | instskip(NEXT) | instid1(VALU_DEP_1)
	v_fma_f64 v[14:15], -v[12:13], v[12:13], v[2:3]
	v_fmac_f64_e32 v[12:13], v[14:15], v[10:11]
	s_delay_alu instid0(VALU_DEP_1) | instskip(SKIP_2) | instid1(VALU_DEP_3)
	v_dual_cndmask_b32 v3, v13, v3 :: v_dual_cndmask_b32 v2, v12, v2
	v_cmp_o_f64_e32 vcc_lo, v[6:7], v[8:9]
	v_lshl_add_u64 v[6:7], v[26:27], 4, s[8:9]
	v_ldexp_f64 v[2:3], v[2:3], v5
	s_delay_alu instid0(VALU_DEP_1) | instskip(NEXT) | instid1(VALU_DEP_2)
	v_dual_mov_b32 v5, v4 :: v_dual_cndmask_b32 v2, 0, v2
	v_cndmask_b32_e32 v3, 0x7ff80000, v3, vcc_lo
	s_delay_alu instid0(VALU_DEP_2) | instskip(NEXT) | instid1(VALU_DEP_2)
	v_cndmask_b32_e64 v2, v2, 0, s1
	v_cndmask_b32_e64 v3, v3, 0x7ff00000, s1
	global_store_b128 v[6:7], v[2:5], off
	s_branch .LBB334_8
.LBB334_25:
	s_endpgm
	.section	.rodata,"a",@progbits
	.p2align	6, 0x0
	.amdhsa_kernel _ZN2at6native12_GLOBAL__N_125multi_tensor_apply_kernelINS1_18TensorListMetadataILi2EEENS1_14UnaryOpFunctorIN3c107complexIdEELi2ELi1ELi1EEEJNS0_3AbsIS8_EEEEEvT_T0_DpT1_
		.amdhsa_group_segment_fixed_size 0
		.amdhsa_private_segment_fixed_size 0
		.amdhsa_kernarg_size 3408
		.amdhsa_user_sgpr_count 2
		.amdhsa_user_sgpr_dispatch_ptr 0
		.amdhsa_user_sgpr_queue_ptr 0
		.amdhsa_user_sgpr_kernarg_segment_ptr 1
		.amdhsa_user_sgpr_dispatch_id 0
		.amdhsa_user_sgpr_kernarg_preload_length 0
		.amdhsa_user_sgpr_kernarg_preload_offset 0
		.amdhsa_user_sgpr_private_segment_size 0
		.amdhsa_wavefront_size32 1
		.amdhsa_uses_dynamic_stack 0
		.amdhsa_enable_private_segment 0
		.amdhsa_system_sgpr_workgroup_id_x 1
		.amdhsa_system_sgpr_workgroup_id_y 0
		.amdhsa_system_sgpr_workgroup_id_z 0
		.amdhsa_system_sgpr_workgroup_info 0
		.amdhsa_system_vgpr_workitem_id 0
		.amdhsa_next_free_vgpr 59
		.amdhsa_next_free_sgpr 30
		.amdhsa_named_barrier_count 0
		.amdhsa_reserve_vcc 1
		.amdhsa_float_round_mode_32 0
		.amdhsa_float_round_mode_16_64 0
		.amdhsa_float_denorm_mode_32 3
		.amdhsa_float_denorm_mode_16_64 3
		.amdhsa_fp16_overflow 0
		.amdhsa_memory_ordered 1
		.amdhsa_forward_progress 1
		.amdhsa_inst_pref_size 23
		.amdhsa_round_robin_scheduling 0
		.amdhsa_exception_fp_ieee_invalid_op 0
		.amdhsa_exception_fp_denorm_src 0
		.amdhsa_exception_fp_ieee_div_zero 0
		.amdhsa_exception_fp_ieee_overflow 0
		.amdhsa_exception_fp_ieee_underflow 0
		.amdhsa_exception_fp_ieee_inexact 0
		.amdhsa_exception_int_div_zero 0
	.end_amdhsa_kernel
	.section	.text._ZN2at6native12_GLOBAL__N_125multi_tensor_apply_kernelINS1_18TensorListMetadataILi2EEENS1_14UnaryOpFunctorIN3c107complexIdEELi2ELi1ELi1EEEJNS0_3AbsIS8_EEEEEvT_T0_DpT1_,"axG",@progbits,_ZN2at6native12_GLOBAL__N_125multi_tensor_apply_kernelINS1_18TensorListMetadataILi2EEENS1_14UnaryOpFunctorIN3c107complexIdEELi2ELi1ELi1EEEJNS0_3AbsIS8_EEEEEvT_T0_DpT1_,comdat
.Lfunc_end334:
	.size	_ZN2at6native12_GLOBAL__N_125multi_tensor_apply_kernelINS1_18TensorListMetadataILi2EEENS1_14UnaryOpFunctorIN3c107complexIdEELi2ELi1ELi1EEEJNS0_3AbsIS8_EEEEEvT_T0_DpT1_, .Lfunc_end334-_ZN2at6native12_GLOBAL__N_125multi_tensor_apply_kernelINS1_18TensorListMetadataILi2EEENS1_14UnaryOpFunctorIN3c107complexIdEELi2ELi1ELi1EEEJNS0_3AbsIS8_EEEEEvT_T0_DpT1_
                                        ; -- End function
	.set _ZN2at6native12_GLOBAL__N_125multi_tensor_apply_kernelINS1_18TensorListMetadataILi2EEENS1_14UnaryOpFunctorIN3c107complexIdEELi2ELi1ELi1EEEJNS0_3AbsIS8_EEEEEvT_T0_DpT1_.num_vgpr, 59
	.set _ZN2at6native12_GLOBAL__N_125multi_tensor_apply_kernelINS1_18TensorListMetadataILi2EEENS1_14UnaryOpFunctorIN3c107complexIdEELi2ELi1ELi1EEEJNS0_3AbsIS8_EEEEEvT_T0_DpT1_.num_agpr, 0
	.set _ZN2at6native12_GLOBAL__N_125multi_tensor_apply_kernelINS1_18TensorListMetadataILi2EEENS1_14UnaryOpFunctorIN3c107complexIdEELi2ELi1ELi1EEEJNS0_3AbsIS8_EEEEEvT_T0_DpT1_.numbered_sgpr, 30
	.set _ZN2at6native12_GLOBAL__N_125multi_tensor_apply_kernelINS1_18TensorListMetadataILi2EEENS1_14UnaryOpFunctorIN3c107complexIdEELi2ELi1ELi1EEEJNS0_3AbsIS8_EEEEEvT_T0_DpT1_.num_named_barrier, 0
	.set _ZN2at6native12_GLOBAL__N_125multi_tensor_apply_kernelINS1_18TensorListMetadataILi2EEENS1_14UnaryOpFunctorIN3c107complexIdEELi2ELi1ELi1EEEJNS0_3AbsIS8_EEEEEvT_T0_DpT1_.private_seg_size, 0
	.set _ZN2at6native12_GLOBAL__N_125multi_tensor_apply_kernelINS1_18TensorListMetadataILi2EEENS1_14UnaryOpFunctorIN3c107complexIdEELi2ELi1ELi1EEEJNS0_3AbsIS8_EEEEEvT_T0_DpT1_.uses_vcc, 1
	.set _ZN2at6native12_GLOBAL__N_125multi_tensor_apply_kernelINS1_18TensorListMetadataILi2EEENS1_14UnaryOpFunctorIN3c107complexIdEELi2ELi1ELi1EEEJNS0_3AbsIS8_EEEEEvT_T0_DpT1_.uses_flat_scratch, 0
	.set _ZN2at6native12_GLOBAL__N_125multi_tensor_apply_kernelINS1_18TensorListMetadataILi2EEENS1_14UnaryOpFunctorIN3c107complexIdEELi2ELi1ELi1EEEJNS0_3AbsIS8_EEEEEvT_T0_DpT1_.has_dyn_sized_stack, 0
	.set _ZN2at6native12_GLOBAL__N_125multi_tensor_apply_kernelINS1_18TensorListMetadataILi2EEENS1_14UnaryOpFunctorIN3c107complexIdEELi2ELi1ELi1EEEJNS0_3AbsIS8_EEEEEvT_T0_DpT1_.has_recursion, 0
	.set _ZN2at6native12_GLOBAL__N_125multi_tensor_apply_kernelINS1_18TensorListMetadataILi2EEENS1_14UnaryOpFunctorIN3c107complexIdEELi2ELi1ELi1EEEJNS0_3AbsIS8_EEEEEvT_T0_DpT1_.has_indirect_call, 0
	.section	.AMDGPU.csdata,"",@progbits
; Kernel info:
; codeLenInByte = 2904
; TotalNumSgprs: 32
; NumVgprs: 59
; ScratchSize: 0
; MemoryBound: 1
; FloatMode: 240
; IeeeMode: 1
; LDSByteSize: 0 bytes/workgroup (compile time only)
; SGPRBlocks: 0
; VGPRBlocks: 3
; NumSGPRsForWavesPerEU: 32
; NumVGPRsForWavesPerEU: 59
; NamedBarCnt: 0
; Occupancy: 16
; WaveLimiterHint : 0
; COMPUTE_PGM_RSRC2:SCRATCH_EN: 0
; COMPUTE_PGM_RSRC2:USER_SGPR: 2
; COMPUTE_PGM_RSRC2:TRAP_HANDLER: 0
; COMPUTE_PGM_RSRC2:TGID_X_EN: 1
; COMPUTE_PGM_RSRC2:TGID_Y_EN: 0
; COMPUTE_PGM_RSRC2:TGID_Z_EN: 0
; COMPUTE_PGM_RSRC2:TIDIG_COMP_CNT: 0
	.section	.text._ZN2at6native12_GLOBAL__N_125multi_tensor_apply_kernelINS1_18TensorListMetadataILi2EEENS1_14UnaryOpFunctorIN3c107complexIfEELi2ELi1ELi1EEEJNS0_3AbsIS8_EEEEEvT_T0_DpT1_,"axG",@progbits,_ZN2at6native12_GLOBAL__N_125multi_tensor_apply_kernelINS1_18TensorListMetadataILi2EEENS1_14UnaryOpFunctorIN3c107complexIfEELi2ELi1ELi1EEEJNS0_3AbsIS8_EEEEEvT_T0_DpT1_,comdat
	.globl	_ZN2at6native12_GLOBAL__N_125multi_tensor_apply_kernelINS1_18TensorListMetadataILi2EEENS1_14UnaryOpFunctorIN3c107complexIfEELi2ELi1ELi1EEEJNS0_3AbsIS8_EEEEEvT_T0_DpT1_ ; -- Begin function _ZN2at6native12_GLOBAL__N_125multi_tensor_apply_kernelINS1_18TensorListMetadataILi2EEENS1_14UnaryOpFunctorIN3c107complexIfEELi2ELi1ELi1EEEJNS0_3AbsIS8_EEEEEvT_T0_DpT1_
	.p2align	8
	.type	_ZN2at6native12_GLOBAL__N_125multi_tensor_apply_kernelINS1_18TensorListMetadataILi2EEENS1_14UnaryOpFunctorIN3c107complexIfEELi2ELi1ELi1EEEJNS0_3AbsIS8_EEEEEvT_T0_DpT1_,@function
_ZN2at6native12_GLOBAL__N_125multi_tensor_apply_kernelINS1_18TensorListMetadataILi2EEENS1_14UnaryOpFunctorIN3c107complexIfEELi2ELi1ELi1EEEJNS0_3AbsIS8_EEEEEvT_T0_DpT1_: ; @_ZN2at6native12_GLOBAL__N_125multi_tensor_apply_kernelINS1_18TensorListMetadataILi2EEENS1_14UnaryOpFunctorIN3c107complexIfEELi2ELi1ELi1EEEJNS0_3AbsIS8_EEEEEvT_T0_DpT1_
; %bb.0:
	s_bfe_u32 s2, ttmp6, 0x4000c
	s_and_b32 s3, ttmp6, 15
	s_add_co_i32 s2, s2, 1
	s_getreg_b32 s4, hwreg(HW_REG_IB_STS2, 6, 4)
	s_mul_i32 s2, ttmp9, s2
	s_delay_alu instid0(SALU_CYCLE_1)
	s_add_co_i32 s3, s3, s2
	s_cmp_eq_u32 s4, 0
	s_cselect_b32 s2, ttmp9, s3
	s_mov_b32 s3, 0
	s_load_u8 s13, s[0:1], s2 offset:0x600
	s_add_nc_u64 s[4:5], s[0:1], s[2:3]
	s_mul_u64 s[6:7], s[2:3], 3
	s_delay_alu instid0(SALU_CYCLE_1)
	s_add_nc_u64 s[4:5], s[4:5], s[6:7]
	s_load_b32 s12, s[4:5], 0x740
	s_wait_kmcnt 0x0
	s_clause 0x2
	s_load_b64 s[8:9], s[0:1], s13 offset:0x0 scale_offset
	s_load_b64 s[10:11], s[0:1], s13 offset:0x200 scale_offset
	;; [unrolled: 1-line block ×3, first 2 shown]
	s_mov_b32 s5, s3
	s_wait_xcnt 0x0
	s_ashr_i32 s13, s12, 31
	s_delay_alu instid0(SALU_CYCLE_1)
	s_lshl_b64 s[6:7], s[12:13], 19
	s_wait_kmcnt 0x0
	s_and_b32 s4, s18, 3
	s_add_nc_u64 s[16:17], s[10:11], s[6:7]
	s_add_nc_u64 s[14:15], s[8:9], s[6:7]
	s_and_b64 s[20:21], s[16:17], 31
	s_and_b32 s2, s14, 31
	s_or_b64 s[4:5], s[20:21], s[4:5]
	s_lshl_b64 s[12:13], s[12:13], 16
	s_or_b64 s[2:3], s[4:5], s[2:3]
	s_sub_nc_u64 s[12:13], s[18:19], s[12:13]
	s_cmp_eq_u64 s[2:3], 0
	s_mov_b32 s2, -1
	s_cbranch_scc0 .LBB335_5
; %bb.1:
	v_min_i64 v[6:7], 0x10000, s[12:13]
	v_dual_mov_b32 v3, 0 :: v_dual_lshlrev_b32 v2, 2, v0
	s_mov_b32 s22, exec_lo
	s_delay_alu instid0(VALU_DEP_1)
	v_cmpx_lt_i64_e64 v[2:3], v[6:7]
	s_cbranch_execz .LBB335_4
; %bb.2:
	s_load_b32 s2, s[0:1], 0xc5c
	v_dual_mov_b32 v1, v3 :: v_dual_lshlrev_b32 v8, 5, v0
	v_mov_b32_e32 v9, v3
	s_mov_b32 s19, 0
	s_delay_alu instid0(VALU_DEP_2) | instskip(SKIP_4) | instid1(SALU_CYCLE_1)
	v_mov_b64_e32 v[10:11], v[0:1]
	s_mov_b32 s21, s19
	s_mov_b32 s23, s19
	s_wait_kmcnt 0x0
	s_and_b32 s18, s2, 0xffff
	s_lshl_b32 s20, s18, 5
.LBB335_3:                              ; =>This Inner Loop Header: Depth=1
	v_add_nc_u64_e32 v[4:5], s[14:15], v[8:9]
	v_add_nc_u64_e32 v[10:11], s[18:19], v[10:11]
	s_add_nc_u64 s[14:15], s[14:15], s[20:21]
	s_clause 0x1
	global_load_b128 v[12:15], v[4:5], off
	global_load_b128 v[16:19], v[4:5], off offset:16
	v_lshlrev_b64_e32 v[26:27], 2, v[10:11]
	s_delay_alu instid0(VALU_DEP_1)
	v_cmp_ge_i64_e32 vcc_lo, v[26:27], v[6:7]
	s_or_b32 s23, vcc_lo, s23
	s_wait_loadcnt 0x1
	v_max_num_f32_e64 v1, |v13|, |v13|
	v_max_num_f32_e64 v2, |v12|, |v12|
	s_wait_xcnt 0x0
	v_max_num_f32_e64 v4, |v15|, |v15|
	v_max_num_f32_e64 v5, |v14|, |v14|
	s_wait_loadcnt 0x0
	v_max_num_f32_e64 v20, |v17|, |v17|
	v_max_num_f32_e64 v21, |v16|, |v16|
	;; [unrolled: 1-line block ×4, first 2 shown]
	v_dual_max_num_f32 v1, v2, v1 :: v_dual_max_num_f32 v2, v5, v4
	s_delay_alu instid0(VALU_DEP_2) | instskip(NEXT) | instid1(VALU_DEP_2)
	v_dual_max_num_f32 v28, v21, v20 :: v_dual_max_num_f32 v29, v23, v22
	v_cvt_f64_f32_e32 v[4:5], v1
	s_delay_alu instid0(VALU_DEP_3) | instskip(NEXT) | instid1(VALU_DEP_3)
	v_cvt_f64_f32_e32 v[20:21], v2
	v_cvt_f64_f32_e32 v[22:23], v28
	v_cmp_neq_f32_e64 s2, 0x7f800000, v2
	v_cvt_f64_f32_e32 v[24:25], v29
	v_cmp_neq_f32_e64 s5, 0x7f800000, v1
	v_cmp_neq_f32_e64 s3, 0x7f800000, v28
	;; [unrolled: 1-line block ×3, first 2 shown]
	v_frexp_exp_i32_f64_e32 v4, v[4:5]
	v_frexp_exp_i32_f64_e32 v20, v[20:21]
	;; [unrolled: 1-line block ×3, first 2 shown]
	v_mov_b32_e32 v23, v3
	v_frexp_exp_i32_f64_e32 v30, v[24:25]
	v_add_nc_u64_e32 v[24:25], s[16:17], v[8:9]
	v_dual_mov_b32 v5, v3 :: v_dual_mov_b32 v21, v3
	s_add_nc_u64 s[16:17], s[16:17], s[20:21]
	v_sub_nc_u32_e32 v26, 0, v4
	v_dual_sub_nc_u32 v27, 0, v20 :: v_dual_sub_nc_u32 v31, 0, v22
	s_delay_alu instid0(VALU_DEP_2) | instskip(SKIP_1) | instid1(VALU_DEP_3)
	v_ldexp_f32 v13, |v13|, v26
	v_sub_nc_u32_e32 v32, 0, v30
	v_ldexp_f32 v15, |v15|, v27
	s_delay_alu instid0(VALU_DEP_4)
	v_ldexp_f32 v17, |v17|, v31
	v_ldexp_f32 v12, |v12|, v26
	v_mul_f32_e32 v13, v13, v13
	v_ldexp_f32 v19, |v19|, v32
	v_ldexp_f32 v14, |v14|, v27
	v_dual_mul_f32 v15, v15, v15 :: v_dual_mul_f32 v17, v17, v17
	v_ldexp_f32 v16, |v16|, v31
	v_ldexp_f32 v18, |v18|, v32
	v_dual_mul_f32 v19, v19, v19 :: v_dual_fmac_f32 v13, v12, v12
	s_delay_alu instid0(VALU_DEP_3) | instskip(NEXT) | instid1(VALU_DEP_2)
	v_dual_fmac_f32 v15, v14, v14 :: v_dual_fmac_f32 v17, v16, v16
	v_fmac_f32_e32 v19, v18, v18
	s_delay_alu instid0(VALU_DEP_3) | instskip(NEXT) | instid1(VALU_DEP_2)
	v_sqrt_f32_e32 v12, v13
	v_sqrt_f32_e32 v13, v15
	s_delay_alu instid0(VALU_DEP_2) | instskip(NEXT) | instid1(VALU_DEP_1)
	v_sqrt_f32_e32 v14, v17
	v_sqrt_f32_e32 v15, v19
	v_ldexp_f32 v4, v12, v4
	s_delay_alu instid0(TRANS32_DEP_3) | instskip(NEXT) | instid1(TRANS32_DEP_2)
	v_ldexp_f32 v12, v13, v20
	v_ldexp_f32 v13, v14, v22
	s_delay_alu instid0(TRANS32_DEP_1) | instskip(NEXT) | instid1(VALU_DEP_4)
	v_ldexp_f32 v14, v15, v30
	v_cndmask_b32_e64 v2, 0x7f800000, v4, s5
	s_delay_alu instid0(VALU_DEP_4) | instskip(NEXT) | instid1(VALU_DEP_4)
	v_cndmask_b32_e64 v4, 0x7f800000, v12, s2
	v_cndmask_b32_e64 v20, 0x7f800000, v13, s3
	s_delay_alu instid0(VALU_DEP_4)
	v_cndmask_b32_e64 v22, 0x7f800000, v14, s4
	s_clause 0x1
	global_store_b128 v[24:25], v[2:5], off
	global_store_b128 v[24:25], v[20:23], off offset:16
	s_wait_xcnt 0x0
	s_and_not1_b32 exec_lo, exec_lo, s23
	s_cbranch_execnz .LBB335_3
.LBB335_4:
	s_or_b32 exec_lo, exec_lo, s22
	s_mov_b32 s2, 0
.LBB335_5:
	s_delay_alu instid0(SALU_CYCLE_1)
	s_and_not1_b32 vcc_lo, exec_lo, s2
	s_cbranch_vccnz .LBB335_25
; %bb.6:
	v_cmp_lt_i64_e64 s2, s[12:13], 1
	s_and_b32 vcc_lo, exec_lo, s2
	s_cbranch_vccnz .LBB335_25
; %bb.7:
	s_load_b32 s0, s[0:1], 0xc5c
	v_min_i64 v[2:3], 0x10000, s[12:13]
	v_min_u64 v[4:5], 0x10000, s[12:13]
	v_dual_mov_b32 v7, 0 :: v_dual_lshlrev_b32 v6, 3, v0
	s_wait_xcnt 0x0
	s_mov_b32 s1, 0
	s_delay_alu instid0(SALU_CYCLE_1) | instskip(NEXT) | instid1(VALU_DEP_1)
	s_mov_b32 s13, s1
	v_mov_b32_e32 v1, v7
	v_add_nc_u64_e32 v[8:9], s[8:9], v[6:7]
	v_add_nc_u64_e32 v[12:13], s[10:11], v[6:7]
	s_mov_b32 s3, s1
	s_mov_b32 s5, s1
	s_wait_kmcnt 0x0
	s_and_b32 s0, s0, 0xffff
	s_delay_alu instid0(SALU_CYCLE_1)
	v_add_nc_u64_e32 v[10:11], s[0:1], v[0:1]
	v_mad_nc_u64_u32 v[24:25], s0, 24, v[6:7]
	s_lshl_b32 s12, s0, 4
	s_mul_i32 s4, s0, 3
	v_add_nc_u64_e32 v[20:21], s[12:13], v[6:7]
	s_lshl_b32 s2, s0, 1
	s_delay_alu instid0(VALU_DEP_3) | instskip(SKIP_3) | instid1(VALU_DEP_4)
	v_lshlrev_b32_e32 v6, 3, v10
	v_add_nc_u64_e32 v[14:15], s[4:5], v[0:1]
	v_add_nc_u64_e32 v[16:17], s[2:3], v[0:1]
	s_lshl_b32 s4, s0, 2
	v_add_nc_u64_e32 v[18:19], s[8:9], v[20:21]
	v_add_nc_u64_e32 v[20:21], s[10:11], v[20:21]
	;; [unrolled: 1-line block ×6, first 2 shown]
	s_lshl_b32 s8, s0, 5
	s_mov_b32 s9, s1
	s_mov_b64 s[10:11], 0
	s_branch .LBB335_9
.LBB335_8:                              ;   in Loop: Header=BB335_9 Depth=1
	s_wait_xcnt 0x0
	s_or_b32 exec_lo, exec_lo, s0
	s_add_nc_u64 s[10:11], s[10:11], s[4:5]
	v_add_nc_u64_e32 v[8:9], s[8:9], v[8:9]
	v_cmp_ge_i64_e32 vcc_lo, s[10:11], v[2:3]
	v_add_nc_u64_e32 v[12:13], s[8:9], v[12:13]
	v_add_nc_u64_e32 v[22:23], s[8:9], v[22:23]
	;; [unrolled: 1-line block ×7, first 2 shown]
	s_cbranch_vccnz .LBB335_25
.LBB335_9:                              ; =>This Inner Loop Header: Depth=1
	v_add_nc_u64_e32 v[30:31], s[10:11], v[0:1]
	v_dual_mov_b32 v6, 0 :: v_dual_mov_b32 v36, 0
	s_delay_alu instid0(VALU_DEP_2)
	v_cmp_lt_u64_e64 s2, v[30:31], v[4:5]
	s_and_saveexec_b32 s0, s2
	s_cbranch_execz .LBB335_11
; %bb.10:                               ;   in Loop: Header=BB335_9 Depth=1
	v_add_nc_u64_e32 v[30:31], s[6:7], v[8:9]
	global_load_b64 v[30:31], v[30:31], off
	s_wait_loadcnt 0x0
	v_and_b32_e32 v6, 0x7fffffff, v30
	v_and_b32_e32 v36, 0x7fffffff, v31
.LBB335_11:                             ;   in Loop: Header=BB335_9 Depth=1
	s_wait_xcnt 0x0
	s_or_b32 exec_lo, exec_lo, s0
	v_add_nc_u64_e32 v[30:31], s[10:11], v[10:11]
	v_dual_mov_b32 v35, 0 :: v_dual_mov_b32 v34, 0
	s_delay_alu instid0(VALU_DEP_2)
	v_cmp_lt_u64_e64 s1, v[30:31], v[4:5]
	v_mov_b32_e32 v30, 0
	s_and_saveexec_b32 s0, s1
	s_cbranch_execz .LBB335_13
; %bb.12:                               ;   in Loop: Header=BB335_9 Depth=1
	v_add_nc_u64_e32 v[32:33], s[6:7], v[26:27]
	global_load_b64 v[32:33], v[32:33], off
	s_wait_loadcnt 0x0
	v_and_b32_e32 v34, 0x7fffffff, v32
	v_and_b32_e32 v35, 0x7fffffff, v33
.LBB335_13:                             ;   in Loop: Header=BB335_9 Depth=1
	s_wait_xcnt 0x0
	s_or_b32 exec_lo, exec_lo, s0
	v_add_nc_u64_e32 v[32:33], s[10:11], v[16:17]
	s_delay_alu instid0(VALU_DEP_1)
	v_cmp_lt_u64_e64 s0, v[32:33], v[4:5]
	v_mov_b32_e32 v33, 0
	s_and_saveexec_b32 s3, s0
	s_cbranch_execz .LBB335_15
; %bb.14:                               ;   in Loop: Header=BB335_9 Depth=1
	v_add_nc_u64_e32 v[30:31], s[6:7], v[18:19]
	global_load_b64 v[30:31], v[30:31], off
	s_wait_loadcnt 0x0
	v_and_b32_e32 v30, 0x7fffffff, v30
	v_and_b32_e32 v33, 0x7fffffff, v31
.LBB335_15:                             ;   in Loop: Header=BB335_9 Depth=1
	s_or_b32 exec_lo, exec_lo, s3
	v_add_nc_u64_e32 v[38:39], s[10:11], v[14:15]
	v_dual_mov_b32 v31, 0 :: v_dual_mov_b32 v32, 0
	s_delay_alu instid0(VALU_DEP_2)
	v_cmp_lt_u64_e32 vcc_lo, v[38:39], v[4:5]
	s_and_saveexec_b32 s3, vcc_lo
	s_cbranch_execnz .LBB335_20
; %bb.16:                               ;   in Loop: Header=BB335_9 Depth=1
	s_or_b32 exec_lo, exec_lo, s3
	s_and_saveexec_b32 s3, s2
	s_cbranch_execnz .LBB335_21
.LBB335_17:                             ;   in Loop: Header=BB335_9 Depth=1
	s_or_b32 exec_lo, exec_lo, s3
	s_and_saveexec_b32 s2, s1
	s_cbranch_execnz .LBB335_22
.LBB335_18:                             ;   in Loop: Header=BB335_9 Depth=1
	s_or_b32 exec_lo, exec_lo, s2
	s_and_saveexec_b32 s1, s0
	s_cbranch_execnz .LBB335_23
.LBB335_19:                             ;   in Loop: Header=BB335_9 Depth=1
	s_or_b32 exec_lo, exec_lo, s1
	s_and_saveexec_b32 s0, vcc_lo
	s_cbranch_execz .LBB335_8
	s_branch .LBB335_24
.LBB335_20:                             ;   in Loop: Header=BB335_9 Depth=1
	v_add_nc_u64_e32 v[38:39], s[6:7], v[22:23]
	global_load_b64 v[38:39], v[38:39], off
	s_wait_loadcnt 0x0
	v_and_b32_e32 v31, 0x7fffffff, v38
	v_and_b32_e32 v32, 0x7fffffff, v39
	s_wait_xcnt 0x0
	s_or_b32 exec_lo, exec_lo, s3
	s_and_saveexec_b32 s3, s2
	s_cbranch_execz .LBB335_17
.LBB335_21:                             ;   in Loop: Header=BB335_9 Depth=1
	v_dual_max_num_f32 v37, v36, v36 :: v_dual_max_num_f32 v38, v6, v6
	s_delay_alu instid0(VALU_DEP_1) | instskip(NEXT) | instid1(VALU_DEP_1)
	v_max_num_f32_e32 v40, v38, v37
	v_cvt_f64_f32_e32 v[38:39], v40
	s_delay_alu instid0(VALU_DEP_1) | instskip(NEXT) | instid1(VALU_DEP_1)
	v_frexp_exp_i32_f64_e32 v37, v[38:39]
	v_sub_nc_u32_e32 v38, 0, v37
	v_cmp_neq_f32_e64 s2, 0x7f800000, v40
	s_delay_alu instid0(VALU_DEP_2) | instskip(SKIP_1) | instid1(VALU_DEP_2)
	v_ldexp_f32 v36, v36, v38
	v_ldexp_f32 v6, v6, v38
	v_mul_f32_e32 v36, v36, v36
	s_delay_alu instid0(VALU_DEP_1) | instskip(NEXT) | instid1(VALU_DEP_1)
	v_fmac_f32_e32 v36, v6, v6
	v_sqrt_f32_e32 v6, v36
	v_nop
	s_delay_alu instid0(TRANS32_DEP_1) | instskip(SKIP_1) | instid1(VALU_DEP_2)
	v_ldexp_f32 v6, v6, v37
	v_add_nc_u64_e32 v[36:37], s[6:7], v[12:13]
	v_cndmask_b32_e64 v6, 0x7f800000, v6, s2
	global_store_b64 v[36:37], v[6:7], off
	s_wait_xcnt 0x0
	s_or_b32 exec_lo, exec_lo, s3
	s_and_saveexec_b32 s2, s1
	s_cbranch_execz .LBB335_18
.LBB335_22:                             ;   in Loop: Header=BB335_9 Depth=1
	v_dual_max_num_f32 v6, v35, v35 :: v_dual_max_num_f32 v36, v34, v34
	s_delay_alu instid0(VALU_DEP_1) | instskip(NEXT) | instid1(VALU_DEP_1)
	v_max_num_f32_e32 v6, v36, v6
	v_cvt_f64_f32_e32 v[36:37], v6
	s_delay_alu instid0(VALU_DEP_1) | instskip(NEXT) | instid1(VALU_DEP_1)
	v_frexp_exp_i32_f64_e32 v36, v[36:37]
	v_sub_nc_u32_e32 v37, 0, v36
	v_cmp_neq_f32_e64 s1, 0x7f800000, v6
	s_delay_alu instid0(VALU_DEP_2) | instskip(SKIP_1) | instid1(VALU_DEP_2)
	v_ldexp_f32 v35, v35, v37
	v_ldexp_f32 v34, v34, v37
	v_mul_f32_e32 v35, v35, v35
	s_delay_alu instid0(VALU_DEP_1) | instskip(NEXT) | instid1(VALU_DEP_1)
	v_fmac_f32_e32 v35, v34, v34
	v_sqrt_f32_e32 v34, v35
	v_nop
	s_delay_alu instid0(TRANS32_DEP_1) | instskip(SKIP_1) | instid1(VALU_DEP_2)
	v_ldexp_f32 v36, v34, v36
	v_add_nc_u64_e32 v[34:35], s[6:7], v[28:29]
	v_cndmask_b32_e64 v6, 0x7f800000, v36, s1
	global_store_b64 v[34:35], v[6:7], off
	s_wait_xcnt 0x0
	s_or_b32 exec_lo, exec_lo, s2
	s_and_saveexec_b32 s1, s0
	s_cbranch_execz .LBB335_19
.LBB335_23:                             ;   in Loop: Header=BB335_9 Depth=1
	v_dual_max_num_f32 v6, v33, v33 :: v_dual_max_num_f32 v34, v30, v30
	s_delay_alu instid0(VALU_DEP_1) | instskip(NEXT) | instid1(VALU_DEP_1)
	v_max_num_f32_e32 v6, v34, v6
	v_cvt_f64_f32_e32 v[34:35], v6
	s_delay_alu instid0(VALU_DEP_1) | instskip(NEXT) | instid1(VALU_DEP_1)
	v_frexp_exp_i32_f64_e32 v34, v[34:35]
	v_sub_nc_u32_e32 v35, 0, v34
	s_delay_alu instid0(VALU_DEP_1) | instskip(SKIP_1) | instid1(VALU_DEP_2)
	v_ldexp_f32 v33, v33, v35
	v_ldexp_f32 v30, v30, v35
	v_mul_f32_e32 v33, v33, v33
	v_cmp_neq_f32_e64 s0, 0x7f800000, v6
	s_delay_alu instid0(VALU_DEP_2) | instskip(NEXT) | instid1(VALU_DEP_1)
	v_fmac_f32_e32 v33, v30, v30
	v_sqrt_f32_e32 v30, v33
	v_nop
	s_delay_alu instid0(TRANS32_DEP_1) | instskip(SKIP_1) | instid1(VALU_DEP_2)
	v_ldexp_f32 v30, v30, v34
	v_add_nc_u64_e32 v[34:35], s[6:7], v[20:21]
	v_cndmask_b32_e64 v6, 0x7f800000, v30, s0
	global_store_b64 v[34:35], v[6:7], off
	s_wait_xcnt 0x0
	s_or_b32 exec_lo, exec_lo, s1
	s_and_saveexec_b32 s0, vcc_lo
	s_cbranch_execz .LBB335_8
.LBB335_24:                             ;   in Loop: Header=BB335_9 Depth=1
	v_dual_max_num_f32 v6, v32, v32 :: v_dual_max_num_f32 v30, v31, v31
	s_delay_alu instid0(VALU_DEP_1) | instskip(NEXT) | instid1(VALU_DEP_1)
	v_max_num_f32_e32 v6, v30, v6
	v_cvt_f64_f32_e32 v[34:35], v6
	s_delay_alu instid0(VALU_DEP_1) | instskip(NEXT) | instid1(VALU_DEP_1)
	v_frexp_exp_i32_f64_e32 v30, v[34:35]
	v_sub_nc_u32_e32 v33, 0, v30
	s_delay_alu instid0(VALU_DEP_1) | instskip(SKIP_1) | instid1(VALU_DEP_2)
	v_ldexp_f32 v32, v32, v33
	v_ldexp_f32 v31, v31, v33
	v_mul_f32_e32 v32, v32, v32
	v_cmp_neq_f32_e32 vcc_lo, 0x7f800000, v6
	s_delay_alu instid0(VALU_DEP_2) | instskip(NEXT) | instid1(VALU_DEP_1)
	v_fmac_f32_e32 v32, v31, v31
	v_sqrt_f32_e32 v31, v32
	v_nop
	s_delay_alu instid0(TRANS32_DEP_1) | instskip(SKIP_1) | instid1(VALU_DEP_2)
	v_ldexp_f32 v32, v31, v30
	v_add_nc_u64_e32 v[30:31], s[6:7], v[24:25]
	v_cndmask_b32_e32 v6, 0x7f800000, v32, vcc_lo
	global_store_b64 v[30:31], v[6:7], off
	s_branch .LBB335_8
.LBB335_25:
	s_endpgm
	.section	.rodata,"a",@progbits
	.p2align	6, 0x0
	.amdhsa_kernel _ZN2at6native12_GLOBAL__N_125multi_tensor_apply_kernelINS1_18TensorListMetadataILi2EEENS1_14UnaryOpFunctorIN3c107complexIfEELi2ELi1ELi1EEEJNS0_3AbsIS8_EEEEEvT_T0_DpT1_
		.amdhsa_group_segment_fixed_size 0
		.amdhsa_private_segment_fixed_size 0
		.amdhsa_kernarg_size 3408
		.amdhsa_user_sgpr_count 2
		.amdhsa_user_sgpr_dispatch_ptr 0
		.amdhsa_user_sgpr_queue_ptr 0
		.amdhsa_user_sgpr_kernarg_segment_ptr 1
		.amdhsa_user_sgpr_dispatch_id 0
		.amdhsa_user_sgpr_kernarg_preload_length 0
		.amdhsa_user_sgpr_kernarg_preload_offset 0
		.amdhsa_user_sgpr_private_segment_size 0
		.amdhsa_wavefront_size32 1
		.amdhsa_uses_dynamic_stack 0
		.amdhsa_enable_private_segment 0
		.amdhsa_system_sgpr_workgroup_id_x 1
		.amdhsa_system_sgpr_workgroup_id_y 0
		.amdhsa_system_sgpr_workgroup_id_z 0
		.amdhsa_system_sgpr_workgroup_info 0
		.amdhsa_system_vgpr_workitem_id 0
		.amdhsa_next_free_vgpr 41
		.amdhsa_next_free_sgpr 24
		.amdhsa_named_barrier_count 0
		.amdhsa_reserve_vcc 1
		.amdhsa_float_round_mode_32 0
		.amdhsa_float_round_mode_16_64 0
		.amdhsa_float_denorm_mode_32 3
		.amdhsa_float_denorm_mode_16_64 3
		.amdhsa_fp16_overflow 0
		.amdhsa_memory_ordered 1
		.amdhsa_forward_progress 1
		.amdhsa_inst_pref_size 16
		.amdhsa_round_robin_scheduling 0
		.amdhsa_exception_fp_ieee_invalid_op 0
		.amdhsa_exception_fp_denorm_src 0
		.amdhsa_exception_fp_ieee_div_zero 0
		.amdhsa_exception_fp_ieee_overflow 0
		.amdhsa_exception_fp_ieee_underflow 0
		.amdhsa_exception_fp_ieee_inexact 0
		.amdhsa_exception_int_div_zero 0
	.end_amdhsa_kernel
	.section	.text._ZN2at6native12_GLOBAL__N_125multi_tensor_apply_kernelINS1_18TensorListMetadataILi2EEENS1_14UnaryOpFunctorIN3c107complexIfEELi2ELi1ELi1EEEJNS0_3AbsIS8_EEEEEvT_T0_DpT1_,"axG",@progbits,_ZN2at6native12_GLOBAL__N_125multi_tensor_apply_kernelINS1_18TensorListMetadataILi2EEENS1_14UnaryOpFunctorIN3c107complexIfEELi2ELi1ELi1EEEJNS0_3AbsIS8_EEEEEvT_T0_DpT1_,comdat
.Lfunc_end335:
	.size	_ZN2at6native12_GLOBAL__N_125multi_tensor_apply_kernelINS1_18TensorListMetadataILi2EEENS1_14UnaryOpFunctorIN3c107complexIfEELi2ELi1ELi1EEEJNS0_3AbsIS8_EEEEEvT_T0_DpT1_, .Lfunc_end335-_ZN2at6native12_GLOBAL__N_125multi_tensor_apply_kernelINS1_18TensorListMetadataILi2EEENS1_14UnaryOpFunctorIN3c107complexIfEELi2ELi1ELi1EEEJNS0_3AbsIS8_EEEEEvT_T0_DpT1_
                                        ; -- End function
	.set _ZN2at6native12_GLOBAL__N_125multi_tensor_apply_kernelINS1_18TensorListMetadataILi2EEENS1_14UnaryOpFunctorIN3c107complexIfEELi2ELi1ELi1EEEJNS0_3AbsIS8_EEEEEvT_T0_DpT1_.num_vgpr, 41
	.set _ZN2at6native12_GLOBAL__N_125multi_tensor_apply_kernelINS1_18TensorListMetadataILi2EEENS1_14UnaryOpFunctorIN3c107complexIfEELi2ELi1ELi1EEEJNS0_3AbsIS8_EEEEEvT_T0_DpT1_.num_agpr, 0
	.set _ZN2at6native12_GLOBAL__N_125multi_tensor_apply_kernelINS1_18TensorListMetadataILi2EEENS1_14UnaryOpFunctorIN3c107complexIfEELi2ELi1ELi1EEEJNS0_3AbsIS8_EEEEEvT_T0_DpT1_.numbered_sgpr, 24
	.set _ZN2at6native12_GLOBAL__N_125multi_tensor_apply_kernelINS1_18TensorListMetadataILi2EEENS1_14UnaryOpFunctorIN3c107complexIfEELi2ELi1ELi1EEEJNS0_3AbsIS8_EEEEEvT_T0_DpT1_.num_named_barrier, 0
	.set _ZN2at6native12_GLOBAL__N_125multi_tensor_apply_kernelINS1_18TensorListMetadataILi2EEENS1_14UnaryOpFunctorIN3c107complexIfEELi2ELi1ELi1EEEJNS0_3AbsIS8_EEEEEvT_T0_DpT1_.private_seg_size, 0
	.set _ZN2at6native12_GLOBAL__N_125multi_tensor_apply_kernelINS1_18TensorListMetadataILi2EEENS1_14UnaryOpFunctorIN3c107complexIfEELi2ELi1ELi1EEEJNS0_3AbsIS8_EEEEEvT_T0_DpT1_.uses_vcc, 1
	.set _ZN2at6native12_GLOBAL__N_125multi_tensor_apply_kernelINS1_18TensorListMetadataILi2EEENS1_14UnaryOpFunctorIN3c107complexIfEELi2ELi1ELi1EEEJNS0_3AbsIS8_EEEEEvT_T0_DpT1_.uses_flat_scratch, 0
	.set _ZN2at6native12_GLOBAL__N_125multi_tensor_apply_kernelINS1_18TensorListMetadataILi2EEENS1_14UnaryOpFunctorIN3c107complexIfEELi2ELi1ELi1EEEJNS0_3AbsIS8_EEEEEvT_T0_DpT1_.has_dyn_sized_stack, 0
	.set _ZN2at6native12_GLOBAL__N_125multi_tensor_apply_kernelINS1_18TensorListMetadataILi2EEENS1_14UnaryOpFunctorIN3c107complexIfEELi2ELi1ELi1EEEJNS0_3AbsIS8_EEEEEvT_T0_DpT1_.has_recursion, 0
	.set _ZN2at6native12_GLOBAL__N_125multi_tensor_apply_kernelINS1_18TensorListMetadataILi2EEENS1_14UnaryOpFunctorIN3c107complexIfEELi2ELi1ELi1EEEJNS0_3AbsIS8_EEEEEvT_T0_DpT1_.has_indirect_call, 0
	.section	.AMDGPU.csdata,"",@progbits
; Kernel info:
; codeLenInByte = 2020
; TotalNumSgprs: 26
; NumVgprs: 41
; ScratchSize: 0
; MemoryBound: 0
; FloatMode: 240
; IeeeMode: 1
; LDSByteSize: 0 bytes/workgroup (compile time only)
; SGPRBlocks: 0
; VGPRBlocks: 2
; NumSGPRsForWavesPerEU: 26
; NumVGPRsForWavesPerEU: 41
; NamedBarCnt: 0
; Occupancy: 16
; WaveLimiterHint : 0
; COMPUTE_PGM_RSRC2:SCRATCH_EN: 0
; COMPUTE_PGM_RSRC2:USER_SGPR: 2
; COMPUTE_PGM_RSRC2:TRAP_HANDLER: 0
; COMPUTE_PGM_RSRC2:TGID_X_EN: 1
; COMPUTE_PGM_RSRC2:TGID_Y_EN: 0
; COMPUTE_PGM_RSRC2:TGID_Z_EN: 0
; COMPUTE_PGM_RSRC2:TIDIG_COMP_CNT: 0
	.section	.text._ZN2at6native12_GLOBAL__N_125multi_tensor_apply_kernelINS1_18TensorListMetadataILi2EEENS1_14UnaryOpFunctorIN3c104HalfELi2ELi1ELi1EEEJNS0_3AbsIfEEEEEvT_T0_DpT1_,"axG",@progbits,_ZN2at6native12_GLOBAL__N_125multi_tensor_apply_kernelINS1_18TensorListMetadataILi2EEENS1_14UnaryOpFunctorIN3c104HalfELi2ELi1ELi1EEEJNS0_3AbsIfEEEEEvT_T0_DpT1_,comdat
	.globl	_ZN2at6native12_GLOBAL__N_125multi_tensor_apply_kernelINS1_18TensorListMetadataILi2EEENS1_14UnaryOpFunctorIN3c104HalfELi2ELi1ELi1EEEJNS0_3AbsIfEEEEEvT_T0_DpT1_ ; -- Begin function _ZN2at6native12_GLOBAL__N_125multi_tensor_apply_kernelINS1_18TensorListMetadataILi2EEENS1_14UnaryOpFunctorIN3c104HalfELi2ELi1ELi1EEEJNS0_3AbsIfEEEEEvT_T0_DpT1_
	.p2align	8
	.type	_ZN2at6native12_GLOBAL__N_125multi_tensor_apply_kernelINS1_18TensorListMetadataILi2EEENS1_14UnaryOpFunctorIN3c104HalfELi2ELi1ELi1EEEJNS0_3AbsIfEEEEEvT_T0_DpT1_,@function
_ZN2at6native12_GLOBAL__N_125multi_tensor_apply_kernelINS1_18TensorListMetadataILi2EEENS1_14UnaryOpFunctorIN3c104HalfELi2ELi1ELi1EEEJNS0_3AbsIfEEEEEvT_T0_DpT1_: ; @_ZN2at6native12_GLOBAL__N_125multi_tensor_apply_kernelINS1_18TensorListMetadataILi2EEENS1_14UnaryOpFunctorIN3c104HalfELi2ELi1ELi1EEEJNS0_3AbsIfEEEEEvT_T0_DpT1_
; %bb.0:
	s_bfe_u32 s2, ttmp6, 0x4000c
	s_and_b32 s3, ttmp6, 15
	s_add_co_i32 s2, s2, 1
	s_getreg_b32 s4, hwreg(HW_REG_IB_STS2, 6, 4)
	s_mul_i32 s2, ttmp9, s2
	s_mov_b32 s7, 0
	s_add_co_i32 s3, s3, s2
	s_cmp_eq_u32 s4, 0
	s_mov_b32 s15, s7
	s_cselect_b32 s6, ttmp9, s3
	s_load_u8 s11, s[0:1], s6 offset:0x600
	s_add_nc_u64 s[2:3], s[0:1], s[6:7]
	s_mul_u64 s[4:5], s[6:7], 3
	s_delay_alu instid0(SALU_CYCLE_1)
	s_add_nc_u64 s[4:5], s[2:3], s[4:5]
	s_load_b32 s10, s[4:5], 0x740
	s_wait_kmcnt 0x0
	s_clause 0x2
	s_load_b64 s[2:3], s[0:1], s11 offset:0x0 scale_offset
	s_load_b64 s[8:9], s[0:1], s11 offset:0x200 scale_offset
	;; [unrolled: 1-line block ×3, first 2 shown]
	s_wait_xcnt 0x0
	s_ashr_i32 s11, s10, 31
	s_delay_alu instid0(SALU_CYCLE_1)
	s_lshl_b64 s[4:5], s[10:11], 17
	s_wait_kmcnt 0x0
	s_and_b64 s[18:19], s[8:9], 7
	s_add_nc_u64 s[16:17], s[2:3], s[4:5]
	s_and_b32 s14, s12, 3
	s_and_b32 s6, s16, 7
	s_or_b64 s[14:15], s[18:19], s[14:15]
	s_lshl_b64 s[10:11], s[10:11], 16
	s_or_b64 s[14:15], s[14:15], s[6:7]
	s_sub_nc_u64 s[6:7], s[12:13], s[10:11]
	s_cmp_eq_u64 s[14:15], 0
	s_mov_b32 s10, -1
	s_cbranch_scc0 .LBB336_5
; %bb.1:
	v_min_i64 v[2:3], 0x10000, s[6:7]
	v_dual_mov_b32 v5, 0 :: v_dual_lshlrev_b32 v4, 2, v0
	s_mov_b32 s14, exec_lo
	s_delay_alu instid0(VALU_DEP_1)
	v_cmpx_lt_i64_e64 v[4:5], v[2:3]
	s_cbranch_execz .LBB336_4
; %bb.2:
	s_load_b32 s10, s[0:1], 0xc5c
	v_dual_mov_b32 v1, v5 :: v_dual_lshlrev_b32 v4, 3, v0
	s_mov_b32 s11, 0
	s_delay_alu instid0(SALU_CYCLE_1) | instskip(NEXT) | instid1(VALU_DEP_1)
	s_mov_b32 s13, s11
	v_add_nc_u64_e32 v[4:5], s[4:5], v[4:5]
	s_delay_alu instid0(VALU_DEP_2) | instskip(SKIP_3) | instid1(SALU_CYCLE_1)
	v_mov_b64_e32 v[6:7], v[0:1]
	s_mov_b32 s15, s11
	s_wait_kmcnt 0x0
	s_and_b32 s10, s10, 0xffff
	s_lshl_b32 s12, s10, 3
.LBB336_3:                              ; =>This Inner Loop Header: Depth=1
	s_delay_alu instid0(VALU_DEP_2) | instskip(NEXT) | instid1(VALU_DEP_2)
	v_add_nc_u64_e32 v[8:9], s[2:3], v[4:5]
	v_add_nc_u64_e32 v[6:7], s[10:11], v[6:7]
	global_load_b64 v[8:9], v[8:9], off
	v_lshlrev_b64_e32 v[10:11], 2, v[6:7]
	s_delay_alu instid0(VALU_DEP_1)
	v_cmp_ge_i64_e32 vcc_lo, v[10:11], v[2:3]
	v_add_nc_u64_e32 v[10:11], s[8:9], v[4:5]
	v_add_nc_u64_e32 v[4:5], s[12:13], v[4:5]
	s_or_b32 s15, vcc_lo, s15
	s_wait_loadcnt 0x0
	s_wait_xcnt 0x0
	v_and_b32_e32 v9, 0x7fff7fff, v9
	v_and_b32_e32 v8, 0x7fff7fff, v8
	global_store_b64 v[10:11], v[8:9], off
	s_wait_xcnt 0x0
	s_and_not1_b32 exec_lo, exec_lo, s15
	s_cbranch_execnz .LBB336_3
.LBB336_4:
	s_or_b32 exec_lo, exec_lo, s14
	s_mov_b32 s10, 0
.LBB336_5:
	s_delay_alu instid0(SALU_CYCLE_1)
	s_and_not1_b32 vcc_lo, exec_lo, s10
	s_cbranch_vccnz .LBB336_25
; %bb.6:
	v_cmp_lt_i64_e64 s10, s[6:7], 1
	s_and_b32 vcc_lo, exec_lo, s10
	s_cbranch_vccnz .LBB336_25
; %bb.7:
	s_load_b32 s0, s[0:1], 0xc5c
	v_min_i64 v[2:3], 0x10000, s[6:7]
	v_min_u64 v[4:5], 0x10000, s[6:7]
	v_dual_mov_b32 v1, 0 :: v_dual_lshlrev_b32 v10, 1, v0
	s_wait_xcnt 0x0
	s_mov_b32 s1, 0
	s_delay_alu instid0(SALU_CYCLE_1) | instskip(NEXT) | instid1(VALU_DEP_1)
	s_mov_b32 s7, s1
	v_dual_mov_b32 v11, v1 :: v_dual_mov_b32 v27, v1
	s_mov_b32 s11, s1
	s_mov_b32 s13, s1
	s_delay_alu instid0(VALU_DEP_1) | instskip(SKIP_2) | instid1(SALU_CYCLE_1)
	v_add_nc_u64_e32 v[6:7], s[2:3], v[10:11]
	s_wait_kmcnt 0x0
	s_and_b32 s0, s0, 0xffff
	v_add_nc_u64_e32 v[8:9], s[0:1], v[0:1]
	v_mad_nc_u64_u32 v[22:23], s0, 6, v[10:11]
	s_lshl_b32 s6, s0, 2
	s_mul_i32 s12, s0, 3
	v_add_nc_u64_e32 v[18:19], s[6:7], v[10:11]
	s_lshl_b32 s10, s0, 1
	v_add_nc_u64_e32 v[10:11], s[8:9], v[10:11]
	v_lshlrev_b32_e32 v26, 1, v8
	v_add_nc_u64_e32 v[12:13], s[12:13], v[0:1]
	v_add_nc_u64_e32 v[14:15], s[10:11], v[0:1]
	s_mov_b64 s[10:11], 0
	v_add_nc_u64_e32 v[16:17], s[2:3], v[18:19]
	v_add_nc_u64_e32 v[18:19], s[8:9], v[18:19]
	;; [unrolled: 1-line block ×6, first 2 shown]
	s_lshl_b32 s8, s0, 3
	s_mov_b32 s9, s1
	s_branch .LBB336_9
.LBB336_8:                              ;   in Loop: Header=BB336_9 Depth=1
	s_wait_xcnt 0x0
	s_or_b32 exec_lo, exec_lo, s0
	s_add_nc_u64 s[10:11], s[10:11], s[6:7]
	v_add_nc_u64_e32 v[6:7], s[8:9], v[6:7]
	v_cmp_ge_i64_e32 vcc_lo, s[10:11], v[2:3]
	v_add_nc_u64_e32 v[10:11], s[8:9], v[10:11]
	v_add_nc_u64_e32 v[20:21], s[8:9], v[20:21]
	;; [unrolled: 1-line block ×7, first 2 shown]
	s_cbranch_vccnz .LBB336_25
.LBB336_9:                              ; =>This Inner Loop Header: Depth=1
	v_add_nc_u64_e32 v[28:29], s[10:11], v[0:1]
	s_delay_alu instid0(VALU_DEP_1)
	v_cmp_lt_u64_e32 vcc_lo, v[28:29], v[4:5]
	v_mov_b32_e32 v29, 0
	s_and_saveexec_b32 s0, vcc_lo
	s_cbranch_execz .LBB336_11
; %bb.10:                               ;   in Loop: Header=BB336_9 Depth=1
	v_add_nc_u64_e32 v[28:29], s[4:5], v[6:7]
	global_load_u16 v28, v[28:29], off
	s_wait_loadcnt 0x0
	v_and_b32_e32 v29, 0x7fff, v28
.LBB336_11:                             ;   in Loop: Header=BB336_9 Depth=1
	s_or_b32 exec_lo, exec_lo, s0
	v_add_nc_u64_e32 v[30:31], s[10:11], v[8:9]
	v_mov_b32_e32 v28, 0
	s_delay_alu instid0(VALU_DEP_2)
	v_cmp_lt_u64_e64 s0, v[30:31], v[4:5]
	v_mov_b32_e32 v30, 0
	s_and_saveexec_b32 s1, s0
	s_cbranch_execz .LBB336_13
; %bb.12:                               ;   in Loop: Header=BB336_9 Depth=1
	v_add_nc_u64_e32 v[30:31], s[4:5], v[24:25]
	global_load_u16 v30, v[30:31], off
	s_wait_loadcnt 0x0
	v_and_b32_e32 v30, 0x7fff, v30
.LBB336_13:                             ;   in Loop: Header=BB336_9 Depth=1
	s_or_b32 exec_lo, exec_lo, s1
	v_add_nc_u64_e32 v[32:33], s[10:11], v[14:15]
	s_delay_alu instid0(VALU_DEP_1)
	v_cmp_lt_u64_e64 s1, v[32:33], v[4:5]
	s_and_saveexec_b32 s2, s1
	s_cbranch_execz .LBB336_15
; %bb.14:                               ;   in Loop: Header=BB336_9 Depth=1
	v_add_nc_u64_e32 v[32:33], s[4:5], v[16:17]
	global_load_u16 v28, v[32:33], off
	s_wait_loadcnt 0x0
	v_and_b32_e32 v28, 0x7fff, v28
.LBB336_15:                             ;   in Loop: Header=BB336_9 Depth=1
	s_wait_xcnt 0x0
	s_or_b32 exec_lo, exec_lo, s2
	v_add_nc_u64_e32 v[32:33], s[10:11], v[12:13]
	v_mov_b32_e32 v31, 0
	s_delay_alu instid0(VALU_DEP_2)
	v_cmp_lt_u64_e64 s2, v[32:33], v[4:5]
	s_and_saveexec_b32 s3, s2
	s_cbranch_execnz .LBB336_20
; %bb.16:                               ;   in Loop: Header=BB336_9 Depth=1
	s_or_b32 exec_lo, exec_lo, s3
	s_and_saveexec_b32 s3, vcc_lo
	s_cbranch_execnz .LBB336_21
.LBB336_17:                             ;   in Loop: Header=BB336_9 Depth=1
	s_or_b32 exec_lo, exec_lo, s3
	s_and_saveexec_b32 s3, s0
	s_cbranch_execnz .LBB336_22
.LBB336_18:                             ;   in Loop: Header=BB336_9 Depth=1
	s_or_b32 exec_lo, exec_lo, s3
	s_and_saveexec_b32 s0, s1
	s_cbranch_execnz .LBB336_23
.LBB336_19:                             ;   in Loop: Header=BB336_9 Depth=1
	s_or_b32 exec_lo, exec_lo, s0
	s_and_saveexec_b32 s0, s2
	s_cbranch_execz .LBB336_8
	s_branch .LBB336_24
.LBB336_20:                             ;   in Loop: Header=BB336_9 Depth=1
	v_add_nc_u64_e32 v[32:33], s[4:5], v[20:21]
	global_load_u16 v31, v[32:33], off
	s_wait_loadcnt 0x0
	v_and_b32_e32 v31, 0x7fff, v31
	s_wait_xcnt 0x0
	s_or_b32 exec_lo, exec_lo, s3
	s_and_saveexec_b32 s3, vcc_lo
	s_cbranch_execz .LBB336_17
.LBB336_21:                             ;   in Loop: Header=BB336_9 Depth=1
	v_add_nc_u64_e32 v[32:33], s[4:5], v[10:11]
	global_store_b16 v[32:33], v29, off
	s_wait_xcnt 0x0
	s_or_b32 exec_lo, exec_lo, s3
	s_and_saveexec_b32 s3, s0
	s_cbranch_execz .LBB336_18
.LBB336_22:                             ;   in Loop: Header=BB336_9 Depth=1
	v_add_nc_u64_e32 v[32:33], s[4:5], v[26:27]
	global_store_b16 v[32:33], v30, off
	s_wait_xcnt 0x0
	s_or_b32 exec_lo, exec_lo, s3
	s_and_saveexec_b32 s0, s1
	s_cbranch_execz .LBB336_19
.LBB336_23:                             ;   in Loop: Header=BB336_9 Depth=1
	v_add_nc_u64_e32 v[32:33], s[4:5], v[18:19]
	global_store_b16 v[32:33], v28, off
	s_wait_xcnt 0x0
	s_or_b32 exec_lo, exec_lo, s0
	s_and_saveexec_b32 s0, s2
	s_cbranch_execz .LBB336_8
.LBB336_24:                             ;   in Loop: Header=BB336_9 Depth=1
	v_add_nc_u64_e32 v[28:29], s[4:5], v[22:23]
	global_store_b16 v[28:29], v31, off
	s_branch .LBB336_8
.LBB336_25:
	s_endpgm
	.section	.rodata,"a",@progbits
	.p2align	6, 0x0
	.amdhsa_kernel _ZN2at6native12_GLOBAL__N_125multi_tensor_apply_kernelINS1_18TensorListMetadataILi2EEENS1_14UnaryOpFunctorIN3c104HalfELi2ELi1ELi1EEEJNS0_3AbsIfEEEEEvT_T0_DpT1_
		.amdhsa_group_segment_fixed_size 0
		.amdhsa_private_segment_fixed_size 0
		.amdhsa_kernarg_size 3408
		.amdhsa_user_sgpr_count 2
		.amdhsa_user_sgpr_dispatch_ptr 0
		.amdhsa_user_sgpr_queue_ptr 0
		.amdhsa_user_sgpr_kernarg_segment_ptr 1
		.amdhsa_user_sgpr_dispatch_id 0
		.amdhsa_user_sgpr_kernarg_preload_length 0
		.amdhsa_user_sgpr_kernarg_preload_offset 0
		.amdhsa_user_sgpr_private_segment_size 0
		.amdhsa_wavefront_size32 1
		.amdhsa_uses_dynamic_stack 0
		.amdhsa_enable_private_segment 0
		.amdhsa_system_sgpr_workgroup_id_x 1
		.amdhsa_system_sgpr_workgroup_id_y 0
		.amdhsa_system_sgpr_workgroup_id_z 0
		.amdhsa_system_sgpr_workgroup_info 0
		.amdhsa_system_vgpr_workitem_id 0
		.amdhsa_next_free_vgpr 34
		.amdhsa_next_free_sgpr 20
		.amdhsa_named_barrier_count 0
		.amdhsa_reserve_vcc 1
		.amdhsa_float_round_mode_32 0
		.amdhsa_float_round_mode_16_64 0
		.amdhsa_float_denorm_mode_32 3
		.amdhsa_float_denorm_mode_16_64 3
		.amdhsa_fp16_overflow 0
		.amdhsa_memory_ordered 1
		.amdhsa_forward_progress 1
		.amdhsa_inst_pref_size 9
		.amdhsa_round_robin_scheduling 0
		.amdhsa_exception_fp_ieee_invalid_op 0
		.amdhsa_exception_fp_denorm_src 0
		.amdhsa_exception_fp_ieee_div_zero 0
		.amdhsa_exception_fp_ieee_overflow 0
		.amdhsa_exception_fp_ieee_underflow 0
		.amdhsa_exception_fp_ieee_inexact 0
		.amdhsa_exception_int_div_zero 0
	.end_amdhsa_kernel
	.section	.text._ZN2at6native12_GLOBAL__N_125multi_tensor_apply_kernelINS1_18TensorListMetadataILi2EEENS1_14UnaryOpFunctorIN3c104HalfELi2ELi1ELi1EEEJNS0_3AbsIfEEEEEvT_T0_DpT1_,"axG",@progbits,_ZN2at6native12_GLOBAL__N_125multi_tensor_apply_kernelINS1_18TensorListMetadataILi2EEENS1_14UnaryOpFunctorIN3c104HalfELi2ELi1ELi1EEEJNS0_3AbsIfEEEEEvT_T0_DpT1_,comdat
.Lfunc_end336:
	.size	_ZN2at6native12_GLOBAL__N_125multi_tensor_apply_kernelINS1_18TensorListMetadataILi2EEENS1_14UnaryOpFunctorIN3c104HalfELi2ELi1ELi1EEEJNS0_3AbsIfEEEEEvT_T0_DpT1_, .Lfunc_end336-_ZN2at6native12_GLOBAL__N_125multi_tensor_apply_kernelINS1_18TensorListMetadataILi2EEENS1_14UnaryOpFunctorIN3c104HalfELi2ELi1ELi1EEEJNS0_3AbsIfEEEEEvT_T0_DpT1_
                                        ; -- End function
	.set _ZN2at6native12_GLOBAL__N_125multi_tensor_apply_kernelINS1_18TensorListMetadataILi2EEENS1_14UnaryOpFunctorIN3c104HalfELi2ELi1ELi1EEEJNS0_3AbsIfEEEEEvT_T0_DpT1_.num_vgpr, 34
	.set _ZN2at6native12_GLOBAL__N_125multi_tensor_apply_kernelINS1_18TensorListMetadataILi2EEENS1_14UnaryOpFunctorIN3c104HalfELi2ELi1ELi1EEEJNS0_3AbsIfEEEEEvT_T0_DpT1_.num_agpr, 0
	.set _ZN2at6native12_GLOBAL__N_125multi_tensor_apply_kernelINS1_18TensorListMetadataILi2EEENS1_14UnaryOpFunctorIN3c104HalfELi2ELi1ELi1EEEJNS0_3AbsIfEEEEEvT_T0_DpT1_.numbered_sgpr, 20
	.set _ZN2at6native12_GLOBAL__N_125multi_tensor_apply_kernelINS1_18TensorListMetadataILi2EEENS1_14UnaryOpFunctorIN3c104HalfELi2ELi1ELi1EEEJNS0_3AbsIfEEEEEvT_T0_DpT1_.num_named_barrier, 0
	.set _ZN2at6native12_GLOBAL__N_125multi_tensor_apply_kernelINS1_18TensorListMetadataILi2EEENS1_14UnaryOpFunctorIN3c104HalfELi2ELi1ELi1EEEJNS0_3AbsIfEEEEEvT_T0_DpT1_.private_seg_size, 0
	.set _ZN2at6native12_GLOBAL__N_125multi_tensor_apply_kernelINS1_18TensorListMetadataILi2EEENS1_14UnaryOpFunctorIN3c104HalfELi2ELi1ELi1EEEJNS0_3AbsIfEEEEEvT_T0_DpT1_.uses_vcc, 1
	.set _ZN2at6native12_GLOBAL__N_125multi_tensor_apply_kernelINS1_18TensorListMetadataILi2EEENS1_14UnaryOpFunctorIN3c104HalfELi2ELi1ELi1EEEJNS0_3AbsIfEEEEEvT_T0_DpT1_.uses_flat_scratch, 0
	.set _ZN2at6native12_GLOBAL__N_125multi_tensor_apply_kernelINS1_18TensorListMetadataILi2EEENS1_14UnaryOpFunctorIN3c104HalfELi2ELi1ELi1EEEJNS0_3AbsIfEEEEEvT_T0_DpT1_.has_dyn_sized_stack, 0
	.set _ZN2at6native12_GLOBAL__N_125multi_tensor_apply_kernelINS1_18TensorListMetadataILi2EEENS1_14UnaryOpFunctorIN3c104HalfELi2ELi1ELi1EEEJNS0_3AbsIfEEEEEvT_T0_DpT1_.has_recursion, 0
	.set _ZN2at6native12_GLOBAL__N_125multi_tensor_apply_kernelINS1_18TensorListMetadataILi2EEENS1_14UnaryOpFunctorIN3c104HalfELi2ELi1ELi1EEEJNS0_3AbsIfEEEEEvT_T0_DpT1_.has_indirect_call, 0
	.section	.AMDGPU.csdata,"",@progbits
; Kernel info:
; codeLenInByte = 1060
; TotalNumSgprs: 22
; NumVgprs: 34
; ScratchSize: 0
; MemoryBound: 0
; FloatMode: 240
; IeeeMode: 1
; LDSByteSize: 0 bytes/workgroup (compile time only)
; SGPRBlocks: 0
; VGPRBlocks: 2
; NumSGPRsForWavesPerEU: 22
; NumVGPRsForWavesPerEU: 34
; NamedBarCnt: 0
; Occupancy: 16
; WaveLimiterHint : 0
; COMPUTE_PGM_RSRC2:SCRATCH_EN: 0
; COMPUTE_PGM_RSRC2:USER_SGPR: 2
; COMPUTE_PGM_RSRC2:TRAP_HANDLER: 0
; COMPUTE_PGM_RSRC2:TGID_X_EN: 1
; COMPUTE_PGM_RSRC2:TGID_Y_EN: 0
; COMPUTE_PGM_RSRC2:TGID_Z_EN: 0
; COMPUTE_PGM_RSRC2:TIDIG_COMP_CNT: 0
	.section	.text._ZN2at6native12_GLOBAL__N_125multi_tensor_apply_kernelINS1_18TensorListMetadataILi2EEENS1_14UnaryOpFunctorIN3c108BFloat16ELi2ELi1ELi1EEEJNS0_3AbsIfEEEEEvT_T0_DpT1_,"axG",@progbits,_ZN2at6native12_GLOBAL__N_125multi_tensor_apply_kernelINS1_18TensorListMetadataILi2EEENS1_14UnaryOpFunctorIN3c108BFloat16ELi2ELi1ELi1EEEJNS0_3AbsIfEEEEEvT_T0_DpT1_,comdat
	.globl	_ZN2at6native12_GLOBAL__N_125multi_tensor_apply_kernelINS1_18TensorListMetadataILi2EEENS1_14UnaryOpFunctorIN3c108BFloat16ELi2ELi1ELi1EEEJNS0_3AbsIfEEEEEvT_T0_DpT1_ ; -- Begin function _ZN2at6native12_GLOBAL__N_125multi_tensor_apply_kernelINS1_18TensorListMetadataILi2EEENS1_14UnaryOpFunctorIN3c108BFloat16ELi2ELi1ELi1EEEJNS0_3AbsIfEEEEEvT_T0_DpT1_
	.p2align	8
	.type	_ZN2at6native12_GLOBAL__N_125multi_tensor_apply_kernelINS1_18TensorListMetadataILi2EEENS1_14UnaryOpFunctorIN3c108BFloat16ELi2ELi1ELi1EEEJNS0_3AbsIfEEEEEvT_T0_DpT1_,@function
_ZN2at6native12_GLOBAL__N_125multi_tensor_apply_kernelINS1_18TensorListMetadataILi2EEENS1_14UnaryOpFunctorIN3c108BFloat16ELi2ELi1ELi1EEEJNS0_3AbsIfEEEEEvT_T0_DpT1_: ; @_ZN2at6native12_GLOBAL__N_125multi_tensor_apply_kernelINS1_18TensorListMetadataILi2EEENS1_14UnaryOpFunctorIN3c108BFloat16ELi2ELi1ELi1EEEJNS0_3AbsIfEEEEEvT_T0_DpT1_
; %bb.0:
	s_bfe_u32 s2, ttmp6, 0x4000c
	s_and_b32 s3, ttmp6, 15
	s_add_co_i32 s2, s2, 1
	s_getreg_b32 s4, hwreg(HW_REG_IB_STS2, 6, 4)
	s_mul_i32 s2, ttmp9, s2
	s_delay_alu instid0(SALU_CYCLE_1)
	s_add_co_i32 s3, s3, s2
	s_cmp_eq_u32 s4, 0
	s_cselect_b32 s2, ttmp9, s3
	s_mov_b32 s3, 0
	s_load_u8 s11, s[0:1], s2 offset:0x600
	s_add_nc_u64 s[4:5], s[0:1], s[2:3]
	s_mul_u64 s[6:7], s[2:3], 3
	s_mov_b32 s15, s3
	s_add_nc_u64 s[4:5], s[4:5], s[6:7]
	s_load_b32 s10, s[4:5], 0x740
	s_wait_kmcnt 0x0
	s_clause 0x2
	s_load_b64 s[6:7], s[0:1], s11 offset:0x0 scale_offset
	s_load_b64 s[8:9], s[0:1], s11 offset:0x200 scale_offset
	;; [unrolled: 1-line block ×3, first 2 shown]
	s_wait_xcnt 0x0
	s_ashr_i32 s11, s10, 31
	s_delay_alu instid0(SALU_CYCLE_1)
	s_lshl_b64 s[4:5], s[10:11], 17
	s_wait_kmcnt 0x0
	s_and_b64 s[18:19], s[8:9], 7
	s_add_nc_u64 s[16:17], s[6:7], s[4:5]
	s_and_b32 s14, s12, 3
	s_and_b32 s2, s16, 7
	s_or_b64 s[14:15], s[18:19], s[14:15]
	s_lshl_b64 s[10:11], s[10:11], 16
	s_or_b64 s[2:3], s[14:15], s[2:3]
	s_sub_nc_u64 s[10:11], s[12:13], s[10:11]
	s_cmp_eq_u64 s[2:3], 0
	s_mov_b32 s2, -1
	s_cbranch_scc0 .LBB337_5
; %bb.1:
	v_min_i64 v[2:3], 0x10000, s[10:11]
	v_dual_mov_b32 v5, 0 :: v_dual_lshlrev_b32 v4, 2, v0
	s_mov_b32 s3, exec_lo
	s_delay_alu instid0(VALU_DEP_1)
	v_cmpx_lt_i64_e64 v[4:5], v[2:3]
	s_cbranch_execz .LBB337_4
; %bb.2:
	s_load_b32 s2, s[0:1], 0xc5c
	v_dual_mov_b32 v1, v5 :: v_dual_lshlrev_b32 v4, 3, v0
	s_mov_b32 s13, 0
	s_delay_alu instid0(SALU_CYCLE_1) | instskip(NEXT) | instid1(VALU_DEP_1)
	s_mov_b32 s15, s13
	v_add_nc_u64_e32 v[4:5], s[4:5], v[4:5]
	s_delay_alu instid0(VALU_DEP_2) | instskip(SKIP_3) | instid1(SALU_CYCLE_1)
	v_mov_b64_e32 v[6:7], v[0:1]
	s_mov_b32 s16, s13
	s_wait_kmcnt 0x0
	s_and_b32 s12, s2, 0xffff
	s_lshl_b32 s14, s12, 3
.LBB337_3:                              ; =>This Inner Loop Header: Depth=1
	s_delay_alu instid0(VALU_DEP_2) | instskip(NEXT) | instid1(VALU_DEP_2)
	v_add_nc_u64_e32 v[8:9], s[6:7], v[4:5]
	v_add_nc_u64_e32 v[6:7], s[12:13], v[6:7]
	global_load_b64 v[8:9], v[8:9], off
	v_lshlrev_b64_e32 v[10:11], 2, v[6:7]
	s_wait_loadcnt 0x0
	v_lshlrev_b32_e32 v1, 16, v8
	v_alignbit_b32 v12, v9, v8, 16
	s_wait_xcnt 0x0
	v_and_b32_e32 v8, 0xffff0000, v8
	v_and_b32_e32 v9, 0xffff0000, v9
	;; [unrolled: 1-line block ×4, first 2 shown]
	s_delay_alu instid0(VALU_DEP_4) | instskip(NEXT) | instid1(VALU_DEP_4)
	v_and_b32_e32 v14, 0x7fffffff, v8
	v_and_b32_e32 v15, 0x7fffffff, v9
	v_cmp_o_f32_e32 vcc_lo, v8, v8
	v_bfe_u32 v16, v13, 16, 1
	v_and_b32_e32 v17, 0x7fffffff, v12
	v_bfe_u32 v18, v14, 16, 1
	v_bfe_u32 v19, v15, 16, 1
	s_delay_alu instid0(VALU_DEP_4) | instskip(NEXT) | instid1(VALU_DEP_4)
	v_add3_u32 v13, v13, v16, 0x7fff
	v_bfe_u32 v16, v17, 16, 1
	s_delay_alu instid0(VALU_DEP_4) | instskip(NEXT) | instid1(VALU_DEP_4)
	v_add3_u32 v14, v14, v18, 0x7fff
	v_add3_u32 v15, v15, v19, 0x7fff
	s_delay_alu instid0(VALU_DEP_4) | instskip(NEXT) | instid1(VALU_DEP_4)
	v_lshrrev_b32_e32 v13, 16, v13
	v_add3_u32 v16, v17, v16, 0x7fff
	s_delay_alu instid0(VALU_DEP_4) | instskip(NEXT) | instid1(VALU_DEP_4)
	v_and_b32_e32 v14, 0xffff0000, v14
	v_and_b32_e32 v15, 0xffff0000, v15
	v_cmp_o_f32_e64 s2, v1, v1
	s_delay_alu instid0(VALU_DEP_3) | instskip(SKIP_1) | instid1(VALU_DEP_3)
	v_dual_cndmask_b32 v8, 0x7fc00000, v14 :: v_dual_lshrrev_b32 v1, 16, v16
	v_cmp_o_f32_e32 vcc_lo, v9, v9
	v_cndmask_b32_e64 v13, 0x7fc0, v13, s2
	v_cndmask_b32_e32 v14, 0x7fc00000, v15, vcc_lo
	v_cmp_o_f32_e32 vcc_lo, v12, v12
	s_delay_alu instid0(VALU_DEP_3)
	v_or_b32_e32 v12, v13, v8
	v_add_nc_u64_e32 v[8:9], s[8:9], v[4:5]
	v_add_nc_u64_e32 v[4:5], s[14:15], v[4:5]
	v_cndmask_b32_e32 v1, 0x7fc0, v1, vcc_lo
	v_cmp_ge_i64_e32 vcc_lo, v[10:11], v[2:3]
	v_or3_b32 v10, v12, 0, 0
	s_delay_alu instid0(VALU_DEP_3)
	v_or3_b32 v11, 0, v1, v14
	s_or_b32 s16, vcc_lo, s16
	global_store_b64 v[8:9], v[10:11], off
	s_wait_xcnt 0x0
	s_and_not1_b32 exec_lo, exec_lo, s16
	s_cbranch_execnz .LBB337_3
.LBB337_4:
	s_or_b32 exec_lo, exec_lo, s3
	s_mov_b32 s2, 0
.LBB337_5:
	s_delay_alu instid0(SALU_CYCLE_1)
	s_and_not1_b32 vcc_lo, exec_lo, s2
	s_cbranch_vccnz .LBB337_25
; %bb.6:
	v_cmp_lt_i64_e64 s2, s[10:11], 1
	s_and_b32 vcc_lo, exec_lo, s2
	s_cbranch_vccnz .LBB337_25
; %bb.7:
	s_load_b32 s0, s[0:1], 0xc5c
	v_min_i64 v[2:3], 0x10000, s[10:11]
	v_min_u64 v[4:5], 0x10000, s[10:11]
	v_dual_mov_b32 v1, 0 :: v_dual_lshlrev_b32 v10, 1, v0
	s_wait_xcnt 0x0
	s_mov_b32 s1, 0
	s_delay_alu instid0(SALU_CYCLE_1) | instskip(NEXT) | instid1(VALU_DEP_1)
	s_mov_b32 s11, s1
	v_dual_mov_b32 v11, v1 :: v_dual_mov_b32 v27, v1
	s_mov_b32 s3, s1
	s_mov_b32 s13, s1
	s_delay_alu instid0(VALU_DEP_1) | instskip(SKIP_2) | instid1(SALU_CYCLE_1)
	v_add_nc_u64_e32 v[6:7], s[6:7], v[10:11]
	s_wait_kmcnt 0x0
	s_and_b32 s0, s0, 0xffff
	v_add_nc_u64_e32 v[8:9], s[0:1], v[0:1]
	v_mad_nc_u64_u32 v[22:23], s0, 6, v[10:11]
	s_lshl_b32 s10, s0, 2
	s_mul_i32 s12, s0, 3
	v_add_nc_u64_e32 v[18:19], s[10:11], v[10:11]
	s_lshl_b32 s2, s0, 1
	v_add_nc_u64_e32 v[10:11], s[8:9], v[10:11]
	v_lshlrev_b32_e32 v26, 1, v8
	v_add_nc_u64_e32 v[12:13], s[12:13], v[0:1]
	v_add_nc_u64_e32 v[14:15], s[2:3], v[0:1]
	;; [unrolled: 1-line block ×8, first 2 shown]
	s_lshl_b32 s6, s0, 3
	s_mov_b32 s7, s1
	s_mov_b64 s[8:9], 0
	s_branch .LBB337_9
.LBB337_8:                              ;   in Loop: Header=BB337_9 Depth=1
	s_wait_xcnt 0x0
	s_or_b32 exec_lo, exec_lo, s0
	s_add_nc_u64 s[8:9], s[8:9], s[10:11]
	v_add_nc_u64_e32 v[6:7], s[6:7], v[6:7]
	v_cmp_ge_i64_e32 vcc_lo, s[8:9], v[2:3]
	v_add_nc_u64_e32 v[10:11], s[6:7], v[10:11]
	v_add_nc_u64_e32 v[20:21], s[6:7], v[20:21]
	;; [unrolled: 1-line block ×7, first 2 shown]
	s_cbranch_vccnz .LBB337_25
.LBB337_9:                              ; =>This Inner Loop Header: Depth=1
	v_add_nc_u64_e32 v[28:29], s[8:9], v[0:1]
	v_mov_b32_e32 v31, 0
	s_delay_alu instid0(VALU_DEP_2)
	v_cmp_lt_u64_e64 s2, v[28:29], v[4:5]
	s_and_saveexec_b32 s0, s2
	s_cbranch_execz .LBB337_11
; %bb.10:                               ;   in Loop: Header=BB337_9 Depth=1
	v_add_nc_u64_e32 v[28:29], s[4:5], v[6:7]
	global_load_u16 v28, v[28:29], off
	s_wait_loadcnt 0x0
	v_lshlrev_b32_e32 v31, 16, v28
.LBB337_11:                             ;   in Loop: Header=BB337_9 Depth=1
	s_wait_xcnt 0x0
	s_or_b32 exec_lo, exec_lo, s0
	v_add_nc_u64_e32 v[28:29], s[8:9], v[8:9]
	v_mov_b32_e32 v30, 0
	s_delay_alu instid0(VALU_DEP_2)
	v_cmp_lt_u64_e64 s1, v[28:29], v[4:5]
	v_mov_b32_e32 v28, 0
	s_and_saveexec_b32 s0, s1
	s_cbranch_execz .LBB337_13
; %bb.12:                               ;   in Loop: Header=BB337_9 Depth=1
	v_add_nc_u64_e32 v[32:33], s[4:5], v[24:25]
	global_load_u16 v29, v[32:33], off
	s_wait_loadcnt 0x0
	v_lshlrev_b32_e32 v30, 16, v29
.LBB337_13:                             ;   in Loop: Header=BB337_9 Depth=1
	s_wait_xcnt 0x0
	s_or_b32 exec_lo, exec_lo, s0
	v_add_nc_u64_e32 v[32:33], s[8:9], v[14:15]
	s_delay_alu instid0(VALU_DEP_1)
	v_cmp_lt_u64_e64 s0, v[32:33], v[4:5]
	s_and_saveexec_b32 s3, s0
	s_cbranch_execz .LBB337_15
; %bb.14:                               ;   in Loop: Header=BB337_9 Depth=1
	v_add_nc_u64_e32 v[28:29], s[4:5], v[16:17]
	global_load_u16 v28, v[28:29], off
	s_wait_loadcnt 0x0
	v_lshlrev_b32_e32 v28, 16, v28
.LBB337_15:                             ;   in Loop: Header=BB337_9 Depth=1
	s_or_b32 exec_lo, exec_lo, s3
	v_add_nc_u64_e32 v[32:33], s[8:9], v[12:13]
	v_mov_b32_e32 v29, 0
	s_delay_alu instid0(VALU_DEP_2)
	v_cmp_lt_u64_e32 vcc_lo, v[32:33], v[4:5]
	s_and_saveexec_b32 s3, vcc_lo
	s_cbranch_execnz .LBB337_20
; %bb.16:                               ;   in Loop: Header=BB337_9 Depth=1
	s_or_b32 exec_lo, exec_lo, s3
	s_and_saveexec_b32 s3, s2
	s_cbranch_execnz .LBB337_21
.LBB337_17:                             ;   in Loop: Header=BB337_9 Depth=1
	s_or_b32 exec_lo, exec_lo, s3
	s_and_saveexec_b32 s2, s1
	s_cbranch_execnz .LBB337_22
.LBB337_18:                             ;   in Loop: Header=BB337_9 Depth=1
	s_or_b32 exec_lo, exec_lo, s2
	s_and_saveexec_b32 s1, s0
	s_cbranch_execnz .LBB337_23
.LBB337_19:                             ;   in Loop: Header=BB337_9 Depth=1
	s_or_b32 exec_lo, exec_lo, s1
	s_and_saveexec_b32 s0, vcc_lo
	s_cbranch_execz .LBB337_8
	s_branch .LBB337_24
.LBB337_20:                             ;   in Loop: Header=BB337_9 Depth=1
	v_add_nc_u64_e32 v[32:33], s[4:5], v[20:21]
	global_load_u16 v29, v[32:33], off
	s_wait_loadcnt 0x0
	v_lshlrev_b32_e32 v29, 16, v29
	s_wait_xcnt 0x0
	s_or_b32 exec_lo, exec_lo, s3
	s_and_saveexec_b32 s3, s2
	s_cbranch_execz .LBB337_17
.LBB337_21:                             ;   in Loop: Header=BB337_9 Depth=1
	v_and_b32_e32 v32, 0x7fffffff, v31
	v_cmp_o_f32_e64 s2, v31, v31
	s_delay_alu instid0(VALU_DEP_2) | instskip(NEXT) | instid1(VALU_DEP_1)
	v_bfe_u32 v33, v32, 16, 1
	v_add3_u32 v32, v32, v33, 0x7fff
	s_delay_alu instid0(VALU_DEP_1) | instskip(SKIP_1) | instid1(VALU_DEP_2)
	v_lshrrev_b32_e32 v34, 16, v32
	v_add_nc_u64_e32 v[32:33], s[4:5], v[10:11]
	v_cndmask_b32_e64 v31, 0x7fc0, v34, s2
	global_store_b16 v[32:33], v31, off
	s_wait_xcnt 0x0
	s_or_b32 exec_lo, exec_lo, s3
	s_and_saveexec_b32 s2, s1
	s_cbranch_execz .LBB337_18
.LBB337_22:                             ;   in Loop: Header=BB337_9 Depth=1
	v_and_b32_e32 v31, 0x7fffffff, v30
	v_cmp_o_f32_e64 s1, v30, v30
	s_delay_alu instid0(VALU_DEP_2) | instskip(NEXT) | instid1(VALU_DEP_1)
	v_bfe_u32 v32, v31, 16, 1
	v_add3_u32 v31, v31, v32, 0x7fff
	v_add_nc_u64_e32 v[32:33], s[4:5], v[26:27]
	s_delay_alu instid0(VALU_DEP_2) | instskip(NEXT) | instid1(VALU_DEP_1)
	v_lshrrev_b32_e32 v31, 16, v31
	v_cndmask_b32_e64 v30, 0x7fc0, v31, s1
	global_store_b16 v[32:33], v30, off
	s_wait_xcnt 0x0
	s_or_b32 exec_lo, exec_lo, s2
	s_and_saveexec_b32 s1, s0
	s_cbranch_execz .LBB337_19
.LBB337_23:                             ;   in Loop: Header=BB337_9 Depth=1
	v_and_b32_e32 v30, 0x7fffffff, v28
	v_cmp_o_f32_e64 s0, v28, v28
	s_delay_alu instid0(VALU_DEP_2) | instskip(NEXT) | instid1(VALU_DEP_1)
	v_bfe_u32 v31, v30, 16, 1
	v_add3_u32 v30, v30, v31, 0x7fff
	s_delay_alu instid0(VALU_DEP_1) | instskip(SKIP_1) | instid1(VALU_DEP_2)
	v_lshrrev_b32_e32 v32, 16, v30
	v_add_nc_u64_e32 v[30:31], s[4:5], v[18:19]
	v_cndmask_b32_e64 v28, 0x7fc0, v32, s0
	global_store_b16 v[30:31], v28, off
	s_wait_xcnt 0x0
	s_or_b32 exec_lo, exec_lo, s1
	s_and_saveexec_b32 s0, vcc_lo
	s_cbranch_execz .LBB337_8
.LBB337_24:                             ;   in Loop: Header=BB337_9 Depth=1
	v_and_b32_e32 v28, 0x7fffffff, v29
	v_cmp_o_f32_e32 vcc_lo, v29, v29
	s_delay_alu instid0(VALU_DEP_2) | instskip(NEXT) | instid1(VALU_DEP_1)
	v_bfe_u32 v30, v28, 16, 1
	v_add3_u32 v28, v28, v30, 0x7fff
	v_add_nc_u64_e32 v[30:31], s[4:5], v[22:23]
	s_delay_alu instid0(VALU_DEP_2) | instskip(NEXT) | instid1(VALU_DEP_1)
	v_lshrrev_b32_e32 v28, 16, v28
	v_cndmask_b32_e32 v28, 0x7fc0, v28, vcc_lo
	global_store_b16 v[30:31], v28, off
	s_branch .LBB337_8
.LBB337_25:
	s_endpgm
	.section	.rodata,"a",@progbits
	.p2align	6, 0x0
	.amdhsa_kernel _ZN2at6native12_GLOBAL__N_125multi_tensor_apply_kernelINS1_18TensorListMetadataILi2EEENS1_14UnaryOpFunctorIN3c108BFloat16ELi2ELi1ELi1EEEJNS0_3AbsIfEEEEEvT_T0_DpT1_
		.amdhsa_group_segment_fixed_size 0
		.amdhsa_private_segment_fixed_size 0
		.amdhsa_kernarg_size 3408
		.amdhsa_user_sgpr_count 2
		.amdhsa_user_sgpr_dispatch_ptr 0
		.amdhsa_user_sgpr_queue_ptr 0
		.amdhsa_user_sgpr_kernarg_segment_ptr 1
		.amdhsa_user_sgpr_dispatch_id 0
		.amdhsa_user_sgpr_kernarg_preload_length 0
		.amdhsa_user_sgpr_kernarg_preload_offset 0
		.amdhsa_user_sgpr_private_segment_size 0
		.amdhsa_wavefront_size32 1
		.amdhsa_uses_dynamic_stack 0
		.amdhsa_enable_private_segment 0
		.amdhsa_system_sgpr_workgroup_id_x 1
		.amdhsa_system_sgpr_workgroup_id_y 0
		.amdhsa_system_sgpr_workgroup_id_z 0
		.amdhsa_system_sgpr_workgroup_info 0
		.amdhsa_system_vgpr_workitem_id 0
		.amdhsa_next_free_vgpr 35
		.amdhsa_next_free_sgpr 20
		.amdhsa_named_barrier_count 0
		.amdhsa_reserve_vcc 1
		.amdhsa_float_round_mode_32 0
		.amdhsa_float_round_mode_16_64 0
		.amdhsa_float_denorm_mode_32 3
		.amdhsa_float_denorm_mode_16_64 3
		.amdhsa_fp16_overflow 0
		.amdhsa_memory_ordered 1
		.amdhsa_forward_progress 1
		.amdhsa_inst_pref_size 13
		.amdhsa_round_robin_scheduling 0
		.amdhsa_exception_fp_ieee_invalid_op 0
		.amdhsa_exception_fp_denorm_src 0
		.amdhsa_exception_fp_ieee_div_zero 0
		.amdhsa_exception_fp_ieee_overflow 0
		.amdhsa_exception_fp_ieee_underflow 0
		.amdhsa_exception_fp_ieee_inexact 0
		.amdhsa_exception_int_div_zero 0
	.end_amdhsa_kernel
	.section	.text._ZN2at6native12_GLOBAL__N_125multi_tensor_apply_kernelINS1_18TensorListMetadataILi2EEENS1_14UnaryOpFunctorIN3c108BFloat16ELi2ELi1ELi1EEEJNS0_3AbsIfEEEEEvT_T0_DpT1_,"axG",@progbits,_ZN2at6native12_GLOBAL__N_125multi_tensor_apply_kernelINS1_18TensorListMetadataILi2EEENS1_14UnaryOpFunctorIN3c108BFloat16ELi2ELi1ELi1EEEJNS0_3AbsIfEEEEEvT_T0_DpT1_,comdat
.Lfunc_end337:
	.size	_ZN2at6native12_GLOBAL__N_125multi_tensor_apply_kernelINS1_18TensorListMetadataILi2EEENS1_14UnaryOpFunctorIN3c108BFloat16ELi2ELi1ELi1EEEJNS0_3AbsIfEEEEEvT_T0_DpT1_, .Lfunc_end337-_ZN2at6native12_GLOBAL__N_125multi_tensor_apply_kernelINS1_18TensorListMetadataILi2EEENS1_14UnaryOpFunctorIN3c108BFloat16ELi2ELi1ELi1EEEJNS0_3AbsIfEEEEEvT_T0_DpT1_
                                        ; -- End function
	.set _ZN2at6native12_GLOBAL__N_125multi_tensor_apply_kernelINS1_18TensorListMetadataILi2EEENS1_14UnaryOpFunctorIN3c108BFloat16ELi2ELi1ELi1EEEJNS0_3AbsIfEEEEEvT_T0_DpT1_.num_vgpr, 35
	.set _ZN2at6native12_GLOBAL__N_125multi_tensor_apply_kernelINS1_18TensorListMetadataILi2EEENS1_14UnaryOpFunctorIN3c108BFloat16ELi2ELi1ELi1EEEJNS0_3AbsIfEEEEEvT_T0_DpT1_.num_agpr, 0
	.set _ZN2at6native12_GLOBAL__N_125multi_tensor_apply_kernelINS1_18TensorListMetadataILi2EEENS1_14UnaryOpFunctorIN3c108BFloat16ELi2ELi1ELi1EEEJNS0_3AbsIfEEEEEvT_T0_DpT1_.numbered_sgpr, 20
	.set _ZN2at6native12_GLOBAL__N_125multi_tensor_apply_kernelINS1_18TensorListMetadataILi2EEENS1_14UnaryOpFunctorIN3c108BFloat16ELi2ELi1ELi1EEEJNS0_3AbsIfEEEEEvT_T0_DpT1_.num_named_barrier, 0
	.set _ZN2at6native12_GLOBAL__N_125multi_tensor_apply_kernelINS1_18TensorListMetadataILi2EEENS1_14UnaryOpFunctorIN3c108BFloat16ELi2ELi1ELi1EEEJNS0_3AbsIfEEEEEvT_T0_DpT1_.private_seg_size, 0
	.set _ZN2at6native12_GLOBAL__N_125multi_tensor_apply_kernelINS1_18TensorListMetadataILi2EEENS1_14UnaryOpFunctorIN3c108BFloat16ELi2ELi1ELi1EEEJNS0_3AbsIfEEEEEvT_T0_DpT1_.uses_vcc, 1
	.set _ZN2at6native12_GLOBAL__N_125multi_tensor_apply_kernelINS1_18TensorListMetadataILi2EEENS1_14UnaryOpFunctorIN3c108BFloat16ELi2ELi1ELi1EEEJNS0_3AbsIfEEEEEvT_T0_DpT1_.uses_flat_scratch, 0
	.set _ZN2at6native12_GLOBAL__N_125multi_tensor_apply_kernelINS1_18TensorListMetadataILi2EEENS1_14UnaryOpFunctorIN3c108BFloat16ELi2ELi1ELi1EEEJNS0_3AbsIfEEEEEvT_T0_DpT1_.has_dyn_sized_stack, 0
	.set _ZN2at6native12_GLOBAL__N_125multi_tensor_apply_kernelINS1_18TensorListMetadataILi2EEENS1_14UnaryOpFunctorIN3c108BFloat16ELi2ELi1ELi1EEEJNS0_3AbsIfEEEEEvT_T0_DpT1_.has_recursion, 0
	.set _ZN2at6native12_GLOBAL__N_125multi_tensor_apply_kernelINS1_18TensorListMetadataILi2EEENS1_14UnaryOpFunctorIN3c108BFloat16ELi2ELi1ELi1EEEJNS0_3AbsIfEEEEEvT_T0_DpT1_.has_indirect_call, 0
	.section	.AMDGPU.csdata,"",@progbits
; Kernel info:
; codeLenInByte = 1540
; TotalNumSgprs: 22
; NumVgprs: 35
; ScratchSize: 0
; MemoryBound: 0
; FloatMode: 240
; IeeeMode: 1
; LDSByteSize: 0 bytes/workgroup (compile time only)
; SGPRBlocks: 0
; VGPRBlocks: 2
; NumSGPRsForWavesPerEU: 22
; NumVGPRsForWavesPerEU: 35
; NamedBarCnt: 0
; Occupancy: 16
; WaveLimiterHint : 0
; COMPUTE_PGM_RSRC2:SCRATCH_EN: 0
; COMPUTE_PGM_RSRC2:USER_SGPR: 2
; COMPUTE_PGM_RSRC2:TRAP_HANDLER: 0
; COMPUTE_PGM_RSRC2:TGID_X_EN: 1
; COMPUTE_PGM_RSRC2:TGID_Y_EN: 0
; COMPUTE_PGM_RSRC2:TGID_Z_EN: 0
; COMPUTE_PGM_RSRC2:TIDIG_COMP_CNT: 0
	.section	.text._ZN2at6native12_GLOBAL__N_125multi_tensor_apply_kernelINS1_18TensorListMetadataILi2EEENS1_14UnaryOpFunctorIbLi2ELi1ELi1EEEJNS0_3AbsIbEEEEEvT_T0_DpT1_,"axG",@progbits,_ZN2at6native12_GLOBAL__N_125multi_tensor_apply_kernelINS1_18TensorListMetadataILi2EEENS1_14UnaryOpFunctorIbLi2ELi1ELi1EEEJNS0_3AbsIbEEEEEvT_T0_DpT1_,comdat
	.globl	_ZN2at6native12_GLOBAL__N_125multi_tensor_apply_kernelINS1_18TensorListMetadataILi2EEENS1_14UnaryOpFunctorIbLi2ELi1ELi1EEEJNS0_3AbsIbEEEEEvT_T0_DpT1_ ; -- Begin function _ZN2at6native12_GLOBAL__N_125multi_tensor_apply_kernelINS1_18TensorListMetadataILi2EEENS1_14UnaryOpFunctorIbLi2ELi1ELi1EEEJNS0_3AbsIbEEEEEvT_T0_DpT1_
	.p2align	8
	.type	_ZN2at6native12_GLOBAL__N_125multi_tensor_apply_kernelINS1_18TensorListMetadataILi2EEENS1_14UnaryOpFunctorIbLi2ELi1ELi1EEEJNS0_3AbsIbEEEEEvT_T0_DpT1_,@function
_ZN2at6native12_GLOBAL__N_125multi_tensor_apply_kernelINS1_18TensorListMetadataILi2EEENS1_14UnaryOpFunctorIbLi2ELi1ELi1EEEJNS0_3AbsIbEEEEEvT_T0_DpT1_: ; @_ZN2at6native12_GLOBAL__N_125multi_tensor_apply_kernelINS1_18TensorListMetadataILi2EEENS1_14UnaryOpFunctorIbLi2ELi1ELi1EEEJNS0_3AbsIbEEEEEvT_T0_DpT1_
; %bb.0:
	s_bfe_u32 s2, ttmp6, 0x4000c
	s_and_b32 s3, ttmp6, 15
	s_add_co_i32 s2, s2, 1
	s_getreg_b32 s4, hwreg(HW_REG_IB_STS2, 6, 4)
	s_mul_i32 s2, ttmp9, s2
	s_delay_alu instid0(SALU_CYCLE_1)
	s_add_co_i32 s3, s3, s2
	s_cmp_eq_u32 s4, 0
	s_cselect_b32 s2, ttmp9, s3
	s_mov_b32 s3, 0
	s_load_u8 s9, s[0:1], s2 offset:0x600
	s_add_nc_u64 s[4:5], s[0:1], s[2:3]
	s_wait_xcnt 0x0
	s_mul_u64 s[2:3], s[2:3], 3
	s_delay_alu instid0(SALU_CYCLE_1)
	s_add_nc_u64 s[6:7], s[4:5], s[2:3]
	s_load_b32 s8, s[6:7], 0x740
	s_wait_kmcnt 0x0
	s_clause 0x2
	s_load_b64 s[10:11], s[0:1], s9 offset:0x400 scale_offset
	s_load_b64 s[2:3], s[0:1], s9 offset:0x0 scale_offset
	;; [unrolled: 1-line block ×3, first 2 shown]
	s_wait_xcnt 0x0
	s_ashr_i32 s9, s8, 31
	s_delay_alu instid0(SALU_CYCLE_1) | instskip(SKIP_3) | instid1(SALU_CYCLE_1)
	s_lshl_b64 s[6:7], s[8:9], 16
	s_wait_kmcnt 0x0
	s_add_nc_u64 s[8:9], s[2:3], s[6:7]
	s_or_b32 s9, s10, s4
	s_or_b32 s8, s9, s8
	s_delay_alu instid0(SALU_CYCLE_1)
	s_and_b32 s12, s8, 3
	s_sub_nc_u64 s[8:9], s[10:11], s[6:7]
	s_cmp_eq_u32 s12, 0
	s_mov_b32 s10, -1
	s_cbranch_scc0 .LBB338_5
; %bb.1:
	v_min_i64 v[2:3], 0x10000, s[8:9]
	v_dual_mov_b32 v5, 0 :: v_dual_lshlrev_b32 v4, 2, v0
	s_mov_b32 s14, exec_lo
	s_delay_alu instid0(VALU_DEP_1)
	v_cmpx_lt_i64_e64 v[4:5], v[2:3]
	s_cbranch_execz .LBB338_4
; %bb.2:
	s_load_b32 s10, s[0:1], 0xc5c
	v_mov_b32_e32 v1, v5
	v_add_nc_u64_e32 v[4:5], s[6:7], v[4:5]
	s_mov_b32 s11, 0
	s_delay_alu instid0(SALU_CYCLE_1) | instskip(NEXT) | instid1(VALU_DEP_2)
	s_mov_b32 s13, s11
	v_mov_b64_e32 v[6:7], v[0:1]
	s_mov_b32 s15, s11
	s_wait_kmcnt 0x0
	s_and_b32 s10, s10, 0xffff
	s_delay_alu instid0(SALU_CYCLE_1)
	s_lshl_b32 s12, s10, 2
.LBB338_3:                              ; =>This Inner Loop Header: Depth=1
	v_add_nc_u64_e32 v[8:9], s[2:3], v[4:5]
	s_delay_alu instid0(VALU_DEP_2) | instskip(SKIP_3) | instid1(VALU_DEP_1)
	v_add_nc_u64_e32 v[6:7], s[10:11], v[6:7]
	global_load_b32 v1, v[8:9], off
	s_wait_xcnt 0x0
	v_lshlrev_b64_e32 v[8:9], 2, v[6:7]
	v_cmp_ge_i64_e32 vcc_lo, v[8:9], v[2:3]
	v_add_nc_u64_e32 v[8:9], s[4:5], v[4:5]
	v_add_nc_u64_e32 v[4:5], s[12:13], v[4:5]
	s_or_b32 s15, vcc_lo, s15
	s_wait_loadcnt 0x0
	v_and_b32_e32 v1, 0x1010101, v1
	global_store_b32 v[8:9], v1, off
	s_wait_xcnt 0x0
	s_and_not1_b32 exec_lo, exec_lo, s15
	s_cbranch_execnz .LBB338_3
.LBB338_4:
	s_or_b32 exec_lo, exec_lo, s14
	s_mov_b32 s10, 0
.LBB338_5:
	s_delay_alu instid0(SALU_CYCLE_1)
	s_and_not1_b32 vcc_lo, exec_lo, s10
	s_cbranch_vccnz .LBB338_25
; %bb.6:
	v_cmp_lt_i64_e64 s10, s[8:9], 1
	s_and_b32 vcc_lo, exec_lo, s10
	s_cbranch_vccnz .LBB338_25
; %bb.7:
	s_load_b32 s0, s[0:1], 0xc5c
	v_min_i64 v[2:3], 0x10000, s[8:9]
	v_min_u64 v[4:5], 0x10000, s[8:9]
	v_mov_b32_e32 v1, 0
	s_wait_xcnt 0x0
	s_mov_b32 s1, 0
	s_delay_alu instid0(SALU_CYCLE_1) | instskip(SKIP_2) | instid1(VALU_DEP_1)
	s_mov_b32 s9, s1
	s_mov_b32 s11, s1
	v_add_nc_u64_e32 v[8:9], s[6:7], v[0:1]
	v_add_nc_u64_e32 v[6:7], s[2:3], v[8:9]
	s_wait_kmcnt 0x0
	s_and_b32 s0, s0, 0xffff
	s_delay_alu instid0(SALU_CYCLE_1)
	s_lshl_b32 s8, s0, 1
	s_mul_i32 s10, s0, 3
	v_add_nc_u64_e32 v[16:17], s[0:1], v[8:9]
	s_add_nc_u64 s[12:13], s[6:7], s[10:11]
	s_add_nc_u64 s[6:7], s[6:7], s[8:9]
	v_add_nc_u64_e32 v[20:21], s[12:13], v[0:1]
	v_add_nc_u64_e32 v[24:25], s[6:7], v[0:1]
	;; [unrolled: 1-line block ×12, first 2 shown]
	s_lshl_b32 s4, s0, 2
	s_mov_b32 s5, s1
	s_mov_b64 s[6:7], 0
	s_branch .LBB338_9
.LBB338_8:                              ;   in Loop: Header=BB338_9 Depth=1
	s_wait_xcnt 0x0
	s_or_b32 exec_lo, exec_lo, s0
	s_add_nc_u64 s[6:7], s[6:7], s[4:5]
	s_delay_alu instid0(SALU_CYCLE_1)
	v_cmp_ge_i64_e32 vcc_lo, s[6:7], v[2:3]
	s_cbranch_vccnz .LBB338_25
.LBB338_9:                              ; =>This Inner Loop Header: Depth=1
	v_add_nc_u64_e32 v[28:29], s[6:7], v[0:1]
	s_delay_alu instid0(VALU_DEP_1)
	v_cmp_lt_u64_e32 vcc_lo, v[28:29], v[4:5]
	v_mov_b32_e32 v28, 0
	s_and_saveexec_b32 s0, vcc_lo
	s_cbranch_execz .LBB338_11
; %bb.10:                               ;   in Loop: Header=BB338_9 Depth=1
	v_add_nc_u64_e32 v[28:29], s[6:7], v[6:7]
	global_load_u8 v28, v[28:29], off
.LBB338_11:                             ;   in Loop: Header=BB338_9 Depth=1
	s_wait_xcnt 0x0
	s_or_b32 exec_lo, exec_lo, s0
	v_add_nc_u64_e32 v[30:31], s[6:7], v[26:27]
	v_mov_b32_e32 v29, 0
	s_delay_alu instid0(VALU_DEP_2)
	v_cmp_lt_u64_e64 s0, v[30:31], v[4:5]
	v_mov_b32_e32 v30, 0
	s_and_saveexec_b32 s1, s0
	s_cbranch_execz .LBB338_13
; %bb.12:                               ;   in Loop: Header=BB338_9 Depth=1
	v_add_nc_u64_e32 v[30:31], s[6:7], v[14:15]
	global_load_u8 v30, v[30:31], off
.LBB338_13:                             ;   in Loop: Header=BB338_9 Depth=1
	s_wait_xcnt 0x0
	s_or_b32 exec_lo, exec_lo, s1
	v_add_nc_u64_e32 v[32:33], s[6:7], v[12:13]
	s_delay_alu instid0(VALU_DEP_1)
	v_cmp_lt_u64_e64 s1, v[32:33], v[4:5]
	s_and_saveexec_b32 s2, s1
	s_cbranch_execz .LBB338_15
; %bb.14:                               ;   in Loop: Header=BB338_9 Depth=1
	v_add_nc_u64_e32 v[32:33], s[6:7], v[22:23]
	global_load_u8 v29, v[32:33], off
.LBB338_15:                             ;   in Loop: Header=BB338_9 Depth=1
	s_wait_xcnt 0x0
	s_or_b32 exec_lo, exec_lo, s2
	v_add_nc_u64_e32 v[32:33], s[6:7], v[10:11]
	v_mov_b32_e32 v31, 0
	s_delay_alu instid0(VALU_DEP_2)
	v_cmp_lt_u64_e64 s2, v[32:33], v[4:5]
	s_and_saveexec_b32 s3, s2
	s_cbranch_execz .LBB338_17
; %bb.16:                               ;   in Loop: Header=BB338_9 Depth=1
	v_add_nc_u64_e32 v[32:33], s[6:7], v[18:19]
	global_load_u8 v31, v[32:33], off
.LBB338_17:                             ;   in Loop: Header=BB338_9 Depth=1
	s_wait_xcnt 0x0
	s_or_b32 exec_lo, exec_lo, s3
	s_wait_loadcnt 0x0
	v_and_b32_e32 v31, 1, v31
	s_delay_alu instid0(VALU_DEP_1) | instskip(NEXT) | instid1(VALU_DEP_1)
	v_lshlrev_b16 v31, 8, v31
	v_bitop3_b16 v29, v29, v31, 1 bitop3:0xec
	s_delay_alu instid0(VALU_DEP_1) | instskip(NEXT) | instid1(VALU_DEP_1)
	v_dual_lshlrev_b32 v29, 16, v29 :: v_dual_bitop2_b32 v30, 1, v30 bitop3:0x40
	v_lshlrev_b16 v30, 8, v30
	s_delay_alu instid0(VALU_DEP_1) | instskip(NEXT) | instid1(VALU_DEP_1)
	v_bitop3_b16 v28, v28, v30, 1 bitop3:0xec
	v_and_b32_e32 v28, 0xffff, v28
	s_delay_alu instid0(VALU_DEP_1)
	v_or_b32_e32 v28, v28, v29
	s_and_saveexec_b32 s3, vcc_lo
	s_cbranch_execnz .LBB338_21
; %bb.18:                               ;   in Loop: Header=BB338_9 Depth=1
	s_or_b32 exec_lo, exec_lo, s3
	s_and_saveexec_b32 s3, s0
	s_cbranch_execnz .LBB338_22
.LBB338_19:                             ;   in Loop: Header=BB338_9 Depth=1
	s_or_b32 exec_lo, exec_lo, s3
	s_and_saveexec_b32 s0, s1
	s_cbranch_execnz .LBB338_23
.LBB338_20:                             ;   in Loop: Header=BB338_9 Depth=1
	s_or_b32 exec_lo, exec_lo, s0
	s_and_saveexec_b32 s0, s2
	s_cbranch_execz .LBB338_8
	s_branch .LBB338_24
.LBB338_21:                             ;   in Loop: Header=BB338_9 Depth=1
	v_add_nc_u64_e32 v[30:31], s[6:7], v[8:9]
	global_store_b8 v[30:31], v28, off
	s_wait_xcnt 0x0
	s_or_b32 exec_lo, exec_lo, s3
	s_and_saveexec_b32 s3, s0
	s_cbranch_execz .LBB338_19
.LBB338_22:                             ;   in Loop: Header=BB338_9 Depth=1
	v_add_nc_u64_e32 v[30:31], s[6:7], v[16:17]
	v_lshrrev_b32_e32 v29, 8, v28
	global_store_b8 v[30:31], v29, off
	s_wait_xcnt 0x0
	s_or_b32 exec_lo, exec_lo, s3
	s_and_saveexec_b32 s0, s1
	s_cbranch_execz .LBB338_20
.LBB338_23:                             ;   in Loop: Header=BB338_9 Depth=1
	v_add_nc_u64_e32 v[30:31], s[6:7], v[24:25]
	global_store_d16_hi_b8 v[30:31], v28, off
	s_wait_xcnt 0x0
	s_or_b32 exec_lo, exec_lo, s0
	s_and_saveexec_b32 s0, s2
	s_cbranch_execz .LBB338_8
.LBB338_24:                             ;   in Loop: Header=BB338_9 Depth=1
	v_add_nc_u64_e32 v[30:31], s[6:7], v[20:21]
	v_lshrrev_b32_e32 v28, 24, v28
	global_store_b8 v[30:31], v28, off
	s_branch .LBB338_8
.LBB338_25:
	s_endpgm
	.section	.rodata,"a",@progbits
	.p2align	6, 0x0
	.amdhsa_kernel _ZN2at6native12_GLOBAL__N_125multi_tensor_apply_kernelINS1_18TensorListMetadataILi2EEENS1_14UnaryOpFunctorIbLi2ELi1ELi1EEEJNS0_3AbsIbEEEEEvT_T0_DpT1_
		.amdhsa_group_segment_fixed_size 0
		.amdhsa_private_segment_fixed_size 0
		.amdhsa_kernarg_size 3408
		.amdhsa_user_sgpr_count 2
		.amdhsa_user_sgpr_dispatch_ptr 0
		.amdhsa_user_sgpr_queue_ptr 0
		.amdhsa_user_sgpr_kernarg_segment_ptr 1
		.amdhsa_user_sgpr_dispatch_id 0
		.amdhsa_user_sgpr_kernarg_preload_length 0
		.amdhsa_user_sgpr_kernarg_preload_offset 0
		.amdhsa_user_sgpr_private_segment_size 0
		.amdhsa_wavefront_size32 1
		.amdhsa_uses_dynamic_stack 0
		.amdhsa_enable_private_segment 0
		.amdhsa_system_sgpr_workgroup_id_x 1
		.amdhsa_system_sgpr_workgroup_id_y 0
		.amdhsa_system_sgpr_workgroup_id_z 0
		.amdhsa_system_sgpr_workgroup_info 0
		.amdhsa_system_vgpr_workitem_id 0
		.amdhsa_next_free_vgpr 34
		.amdhsa_next_free_sgpr 16
		.amdhsa_named_barrier_count 0
		.amdhsa_reserve_vcc 1
		.amdhsa_float_round_mode_32 0
		.amdhsa_float_round_mode_16_64 0
		.amdhsa_float_denorm_mode_32 3
		.amdhsa_float_denorm_mode_16_64 3
		.amdhsa_fp16_overflow 0
		.amdhsa_memory_ordered 1
		.amdhsa_forward_progress 1
		.amdhsa_inst_pref_size 9
		.amdhsa_round_robin_scheduling 0
		.amdhsa_exception_fp_ieee_invalid_op 0
		.amdhsa_exception_fp_denorm_src 0
		.amdhsa_exception_fp_ieee_div_zero 0
		.amdhsa_exception_fp_ieee_overflow 0
		.amdhsa_exception_fp_ieee_underflow 0
		.amdhsa_exception_fp_ieee_inexact 0
		.amdhsa_exception_int_div_zero 0
	.end_amdhsa_kernel
	.section	.text._ZN2at6native12_GLOBAL__N_125multi_tensor_apply_kernelINS1_18TensorListMetadataILi2EEENS1_14UnaryOpFunctorIbLi2ELi1ELi1EEEJNS0_3AbsIbEEEEEvT_T0_DpT1_,"axG",@progbits,_ZN2at6native12_GLOBAL__N_125multi_tensor_apply_kernelINS1_18TensorListMetadataILi2EEENS1_14UnaryOpFunctorIbLi2ELi1ELi1EEEJNS0_3AbsIbEEEEEvT_T0_DpT1_,comdat
.Lfunc_end338:
	.size	_ZN2at6native12_GLOBAL__N_125multi_tensor_apply_kernelINS1_18TensorListMetadataILi2EEENS1_14UnaryOpFunctorIbLi2ELi1ELi1EEEJNS0_3AbsIbEEEEEvT_T0_DpT1_, .Lfunc_end338-_ZN2at6native12_GLOBAL__N_125multi_tensor_apply_kernelINS1_18TensorListMetadataILi2EEENS1_14UnaryOpFunctorIbLi2ELi1ELi1EEEJNS0_3AbsIbEEEEEvT_T0_DpT1_
                                        ; -- End function
	.set _ZN2at6native12_GLOBAL__N_125multi_tensor_apply_kernelINS1_18TensorListMetadataILi2EEENS1_14UnaryOpFunctorIbLi2ELi1ELi1EEEJNS0_3AbsIbEEEEEvT_T0_DpT1_.num_vgpr, 34
	.set _ZN2at6native12_GLOBAL__N_125multi_tensor_apply_kernelINS1_18TensorListMetadataILi2EEENS1_14UnaryOpFunctorIbLi2ELi1ELi1EEEJNS0_3AbsIbEEEEEvT_T0_DpT1_.num_agpr, 0
	.set _ZN2at6native12_GLOBAL__N_125multi_tensor_apply_kernelINS1_18TensorListMetadataILi2EEENS1_14UnaryOpFunctorIbLi2ELi1ELi1EEEJNS0_3AbsIbEEEEEvT_T0_DpT1_.numbered_sgpr, 16
	.set _ZN2at6native12_GLOBAL__N_125multi_tensor_apply_kernelINS1_18TensorListMetadataILi2EEENS1_14UnaryOpFunctorIbLi2ELi1ELi1EEEJNS0_3AbsIbEEEEEvT_T0_DpT1_.num_named_barrier, 0
	.set _ZN2at6native12_GLOBAL__N_125multi_tensor_apply_kernelINS1_18TensorListMetadataILi2EEENS1_14UnaryOpFunctorIbLi2ELi1ELi1EEEJNS0_3AbsIbEEEEEvT_T0_DpT1_.private_seg_size, 0
	.set _ZN2at6native12_GLOBAL__N_125multi_tensor_apply_kernelINS1_18TensorListMetadataILi2EEENS1_14UnaryOpFunctorIbLi2ELi1ELi1EEEJNS0_3AbsIbEEEEEvT_T0_DpT1_.uses_vcc, 1
	.set _ZN2at6native12_GLOBAL__N_125multi_tensor_apply_kernelINS1_18TensorListMetadataILi2EEENS1_14UnaryOpFunctorIbLi2ELi1ELi1EEEJNS0_3AbsIbEEEEEvT_T0_DpT1_.uses_flat_scratch, 0
	.set _ZN2at6native12_GLOBAL__N_125multi_tensor_apply_kernelINS1_18TensorListMetadataILi2EEENS1_14UnaryOpFunctorIbLi2ELi1ELi1EEEJNS0_3AbsIbEEEEEvT_T0_DpT1_.has_dyn_sized_stack, 0
	.set _ZN2at6native12_GLOBAL__N_125multi_tensor_apply_kernelINS1_18TensorListMetadataILi2EEENS1_14UnaryOpFunctorIbLi2ELi1ELi1EEEJNS0_3AbsIbEEEEEvT_T0_DpT1_.has_recursion, 0
	.set _ZN2at6native12_GLOBAL__N_125multi_tensor_apply_kernelINS1_18TensorListMetadataILi2EEENS1_14UnaryOpFunctorIbLi2ELi1ELi1EEEJNS0_3AbsIbEEEEEvT_T0_DpT1_.has_indirect_call, 0
	.section	.AMDGPU.csdata,"",@progbits
; Kernel info:
; codeLenInByte = 1032
; TotalNumSgprs: 18
; NumVgprs: 34
; ScratchSize: 0
; MemoryBound: 0
; FloatMode: 240
; IeeeMode: 1
; LDSByteSize: 0 bytes/workgroup (compile time only)
; SGPRBlocks: 0
; VGPRBlocks: 2
; NumSGPRsForWavesPerEU: 18
; NumVGPRsForWavesPerEU: 34
; NamedBarCnt: 0
; Occupancy: 16
; WaveLimiterHint : 0
; COMPUTE_PGM_RSRC2:SCRATCH_EN: 0
; COMPUTE_PGM_RSRC2:USER_SGPR: 2
; COMPUTE_PGM_RSRC2:TRAP_HANDLER: 0
; COMPUTE_PGM_RSRC2:TGID_X_EN: 1
; COMPUTE_PGM_RSRC2:TGID_Y_EN: 0
; COMPUTE_PGM_RSRC2:TGID_Z_EN: 0
; COMPUTE_PGM_RSRC2:TIDIG_COMP_CNT: 0
	.section	.text._ZN2at6native12_GLOBAL__N_125multi_tensor_apply_kernelINS1_18TensorListMetadataILi1EEENS1_14UnaryOpFunctorIhLi1ELi1ELi0EEEJNS0_3AbsIhEEEEEvT_T0_DpT1_,"axG",@progbits,_ZN2at6native12_GLOBAL__N_125multi_tensor_apply_kernelINS1_18TensorListMetadataILi1EEENS1_14UnaryOpFunctorIhLi1ELi1ELi0EEEJNS0_3AbsIhEEEEEvT_T0_DpT1_,comdat
	.globl	_ZN2at6native12_GLOBAL__N_125multi_tensor_apply_kernelINS1_18TensorListMetadataILi1EEENS1_14UnaryOpFunctorIhLi1ELi1ELi0EEEJNS0_3AbsIhEEEEEvT_T0_DpT1_ ; -- Begin function _ZN2at6native12_GLOBAL__N_125multi_tensor_apply_kernelINS1_18TensorListMetadataILi1EEENS1_14UnaryOpFunctorIhLi1ELi1ELi0EEEJNS0_3AbsIhEEEEEvT_T0_DpT1_
	.p2align	8
	.type	_ZN2at6native12_GLOBAL__N_125multi_tensor_apply_kernelINS1_18TensorListMetadataILi1EEENS1_14UnaryOpFunctorIhLi1ELi1ELi0EEEJNS0_3AbsIhEEEEEvT_T0_DpT1_,@function
_ZN2at6native12_GLOBAL__N_125multi_tensor_apply_kernelINS1_18TensorListMetadataILi1EEENS1_14UnaryOpFunctorIhLi1ELi1ELi0EEEJNS0_3AbsIhEEEEEvT_T0_DpT1_: ; @_ZN2at6native12_GLOBAL__N_125multi_tensor_apply_kernelINS1_18TensorListMetadataILi1EEENS1_14UnaryOpFunctorIhLi1ELi1ELi0EEEJNS0_3AbsIhEEEEEvT_T0_DpT1_
; %bb.0:
	s_bfe_u32 s2, ttmp6, 0x4000c
	s_and_b32 s3, ttmp6, 15
	s_add_co_i32 s2, s2, 1
	s_getreg_b32 s4, hwreg(HW_REG_IB_STS2, 6, 4)
	s_mul_i32 s2, ttmp9, s2
	s_delay_alu instid0(SALU_CYCLE_1)
	s_add_co_i32 s3, s3, s2
	s_cmp_eq_u32 s4, 0
	s_cselect_b32 s4, ttmp9, s3
	s_load_u8 s5, s[0:1], s4 offset:0x6e0
	s_wait_kmcnt 0x0
	s_clause 0x1
	s_load_b64 s[6:7], s[0:1], s5 offset:0x370 scale_offset
	s_load_b64 s[2:3], s[0:1], s5 offset:0x0 scale_offset
	s_wait_kmcnt 0x0
	s_or_b32 s5, s6, s2
	s_delay_alu instid0(SALU_CYCLE_1) | instskip(NEXT) | instid1(SALU_CYCLE_1)
	s_and_b32 s5, s5, 3
	s_cmp_eq_u32 s5, 0
	s_mov_b32 s5, 0
	s_cbranch_scc1 .LBB339_20
; %bb.1:
	s_add_nc_u64 s[8:9], s[0:1], s[4:5]
	s_mul_u64 s[4:5], s[4:5], 3
	s_delay_alu instid0(SALU_CYCLE_1) | instskip(SKIP_3) | instid1(SALU_CYCLE_1)
	s_add_nc_u64 s[4:5], s[8:9], s[4:5]
	s_load_b32 s4, s[4:5], 0x820
	s_wait_kmcnt 0x0
	s_ashr_i32 s5, s4, 31
	s_lshl_b64 s[4:5], s[4:5], 16
	s_delay_alu instid0(SALU_CYCLE_1) | instskip(NEXT) | instid1(SALU_CYCLE_1)
	s_sub_nc_u64 s[6:7], s[6:7], s[4:5]
	v_cmp_lt_i64_e64 s8, s[6:7], 1
	s_and_b32 vcc_lo, exec_lo, s8
	s_cbranch_vccnz .LBB339_20
; %bb.2:
	s_load_b32 s0, s[0:1], 0xd3c
	v_min_i64 v[2:3], 0x10000, s[6:7]
	v_min_u64 v[4:5], 0x10000, s[6:7]
	v_mov_b32_e32 v1, 0
	s_wait_xcnt 0x0
	s_mov_b32 s1, 0
	s_delay_alu instid0(SALU_CYCLE_1) | instskip(SKIP_3) | instid1(VALU_DEP_2)
	s_mov_b32 s7, s1
	s_mov_b32 s9, s1
	v_add_nc_u64_e32 v[12:13], s[4:5], v[0:1]
	v_mov_b32_e32 v28, v1
	v_add_nc_u64_e32 v[6:7], s[2:3], v[12:13]
	s_wait_kmcnt 0x0
	s_and_b32 s0, s0, 0xffff
	s_delay_alu instid0(SALU_CYCLE_1)
	s_lshl_b32 s6, s0, 1
	s_mul_i32 s8, s0, 3
	s_add_nc_u64 s[10:11], s[2:3], s[0:1]
	s_add_nc_u64 s[12:13], s[4:5], s[8:9]
	;; [unrolled: 1-line block ×3, first 2 shown]
	v_add_nc_u64_e32 v[10:11], s[6:7], v[0:1]
	s_add_nc_u64 s[6:7], s[2:3], s[12:13]
	s_add_nc_u64 s[2:3], s[2:3], s[4:5]
	v_add_nc_u64_e32 v[8:9], s[8:9], v[0:1]
	v_add_nc_u64_e32 v[12:13], s[10:11], v[12:13]
	;; [unrolled: 1-line block ×5, first 2 shown]
	s_lshl_b32 s4, s0, 2
	s_mov_b32 s5, s1
	s_mov_b64 s[6:7], 0
	s_branch .LBB339_4
.LBB339_3:                              ;   in Loop: Header=BB339_4 Depth=1
	s_wait_xcnt 0x0
	s_or_b32 exec_lo, exec_lo, s0
	s_add_nc_u64 s[6:7], s[6:7], s[4:5]
	s_delay_alu instid0(SALU_CYCLE_1)
	v_cmp_lt_i64_e32 vcc_lo, s[6:7], v[2:3]
	s_cbranch_vccz .LBB339_20
.LBB339_4:                              ; =>This Inner Loop Header: Depth=1
	v_add_nc_u64_e32 v[20:21], s[6:7], v[0:1]
	v_and_b32_e32 v24, 0xffffff00, v28
	s_delay_alu instid0(VALU_DEP_2)
	v_cmp_lt_u64_e32 vcc_lo, v[20:21], v[4:5]
	v_add_nc_u64_e32 v[20:21], s[6:7], v[6:7]
	s_and_saveexec_b32 s0, vcc_lo
	s_cbranch_execz .LBB339_6
; %bb.5:                                ;   in Loop: Header=BB339_4 Depth=1
	global_load_u8 v22, v[20:21], off
	s_wait_loadcnt 0x0
	v_perm_b32 v24, v22, v24, 0x3020104
.LBB339_6:                              ;   in Loop: Header=BB339_4 Depth=1
	s_wait_xcnt 0x0
	s_or_b32 exec_lo, exec_lo, s0
	v_add_nc_u64_e32 v[22:23], s[6:7], v[18:19]
	s_delay_alu instid0(VALU_DEP_2) | instskip(NEXT) | instid1(VALU_DEP_2)
	v_and_b32_e32 v26, 0xffff00ff, v24
	v_cmp_lt_u64_e64 s0, v[22:23], v[4:5]
	v_add_nc_u64_e32 v[22:23], s[6:7], v[12:13]
	s_and_saveexec_b32 s1, s0
	s_cbranch_execz .LBB339_8
; %bb.7:                                ;   in Loop: Header=BB339_4 Depth=1
	global_load_u8 v24, v[22:23], off
	s_wait_loadcnt 0x0
	v_perm_b32 v26, v26, v24, 0x7060004
.LBB339_8:                              ;   in Loop: Header=BB339_4 Depth=1
	s_wait_xcnt 0x0
	s_or_b32 exec_lo, exec_lo, s1
	v_add_nc_u64_e32 v[24:25], s[6:7], v[10:11]
	s_delay_alu instid0(VALU_DEP_2) | instskip(NEXT) | instid1(VALU_DEP_2)
	v_and_b32_e32 v28, 0xff00ffff, v26
	v_cmp_lt_u64_e64 s1, v[24:25], v[4:5]
	v_add_nc_u64_e32 v[24:25], s[6:7], v[16:17]
	s_and_saveexec_b32 s2, s1
	s_cbranch_execz .LBB339_10
; %bb.9:                                ;   in Loop: Header=BB339_4 Depth=1
	global_load_u8 v26, v[24:25], off
	s_wait_loadcnt 0x0
	v_perm_b32 v28, v28, v26, 0x7000504
.LBB339_10:                             ;   in Loop: Header=BB339_4 Depth=1
	s_wait_xcnt 0x0
	s_or_b32 exec_lo, exec_lo, s2
	v_add_nc_u64_e32 v[26:27], s[6:7], v[8:9]
	s_delay_alu instid0(VALU_DEP_2) | instskip(NEXT) | instid1(VALU_DEP_2)
	v_and_b32_e32 v28, 0xffffff, v28
	v_cmp_lt_u64_e64 s2, v[26:27], v[4:5]
	v_add_nc_u64_e32 v[26:27], s[6:7], v[14:15]
	s_and_saveexec_b32 s3, s2
	s_cbranch_execnz .LBB339_15
; %bb.11:                               ;   in Loop: Header=BB339_4 Depth=1
	s_or_b32 exec_lo, exec_lo, s3
	s_and_saveexec_b32 s3, vcc_lo
	s_cbranch_execnz .LBB339_16
.LBB339_12:                             ;   in Loop: Header=BB339_4 Depth=1
	s_or_b32 exec_lo, exec_lo, s3
	s_and_saveexec_b32 s3, s0
	s_cbranch_execnz .LBB339_17
.LBB339_13:                             ;   in Loop: Header=BB339_4 Depth=1
	s_or_b32 exec_lo, exec_lo, s3
	s_and_saveexec_b32 s0, s1
	s_cbranch_execnz .LBB339_18
.LBB339_14:                             ;   in Loop: Header=BB339_4 Depth=1
	s_or_b32 exec_lo, exec_lo, s0
	s_and_saveexec_b32 s0, s2
	s_cbranch_execz .LBB339_3
	s_branch .LBB339_19
.LBB339_15:                             ;   in Loop: Header=BB339_4 Depth=1
	global_load_u8 v29, v[26:27], off
	v_lshrrev_b32_e32 v30, 16, v28
	s_wait_loadcnt 0x0
	v_lshlrev_b16 v29, 8, v29
	s_delay_alu instid0(VALU_DEP_1) | instskip(NEXT) | instid1(VALU_DEP_1)
	v_or_b32_e32 v29, v30, v29
	v_lshlrev_b32_e32 v29, 16, v29
	s_delay_alu instid0(VALU_DEP_1)
	v_and_or_b32 v28, 0xffff, v28, v29
	s_wait_xcnt 0x0
	s_or_b32 exec_lo, exec_lo, s3
	s_and_saveexec_b32 s3, vcc_lo
	s_cbranch_execz .LBB339_12
.LBB339_16:                             ;   in Loop: Header=BB339_4 Depth=1
	global_store_b8 v[20:21], v28, off
	s_wait_xcnt 0x0
	s_or_b32 exec_lo, exec_lo, s3
	s_and_saveexec_b32 s3, s0
	s_cbranch_execz .LBB339_13
.LBB339_17:                             ;   in Loop: Header=BB339_4 Depth=1
	v_lshrrev_b32_e32 v20, 8, v28
	global_store_b8 v[22:23], v20, off
	s_wait_xcnt 0x0
	s_or_b32 exec_lo, exec_lo, s3
	s_and_saveexec_b32 s0, s1
	s_cbranch_execz .LBB339_14
.LBB339_18:                             ;   in Loop: Header=BB339_4 Depth=1
	global_store_d16_hi_b8 v[24:25], v28, off
	s_wait_xcnt 0x0
	s_or_b32 exec_lo, exec_lo, s0
	s_and_saveexec_b32 s0, s2
	s_cbranch_execz .LBB339_3
.LBB339_19:                             ;   in Loop: Header=BB339_4 Depth=1
	v_lshrrev_b32_e32 v20, 24, v28
	global_store_b8 v[26:27], v20, off
	s_branch .LBB339_3
.LBB339_20:
	s_endpgm
	.section	.rodata,"a",@progbits
	.p2align	6, 0x0
	.amdhsa_kernel _ZN2at6native12_GLOBAL__N_125multi_tensor_apply_kernelINS1_18TensorListMetadataILi1EEENS1_14UnaryOpFunctorIhLi1ELi1ELi0EEEJNS0_3AbsIhEEEEEvT_T0_DpT1_
		.amdhsa_group_segment_fixed_size 0
		.amdhsa_private_segment_fixed_size 0
		.amdhsa_kernarg_size 3632
		.amdhsa_user_sgpr_count 2
		.amdhsa_user_sgpr_dispatch_ptr 0
		.amdhsa_user_sgpr_queue_ptr 0
		.amdhsa_user_sgpr_kernarg_segment_ptr 1
		.amdhsa_user_sgpr_dispatch_id 0
		.amdhsa_user_sgpr_kernarg_preload_length 0
		.amdhsa_user_sgpr_kernarg_preload_offset 0
		.amdhsa_user_sgpr_private_segment_size 0
		.amdhsa_wavefront_size32 1
		.amdhsa_uses_dynamic_stack 0
		.amdhsa_enable_private_segment 0
		.amdhsa_system_sgpr_workgroup_id_x 1
		.amdhsa_system_sgpr_workgroup_id_y 0
		.amdhsa_system_sgpr_workgroup_id_z 0
		.amdhsa_system_sgpr_workgroup_info 0
		.amdhsa_system_vgpr_workitem_id 0
		.amdhsa_next_free_vgpr 31
		.amdhsa_next_free_sgpr 14
		.amdhsa_named_barrier_count 0
		.amdhsa_reserve_vcc 1
		.amdhsa_float_round_mode_32 0
		.amdhsa_float_round_mode_16_64 0
		.amdhsa_float_denorm_mode_32 3
		.amdhsa_float_denorm_mode_16_64 3
		.amdhsa_fp16_overflow 0
		.amdhsa_memory_ordered 1
		.amdhsa_forward_progress 1
		.amdhsa_inst_pref_size 7
		.amdhsa_round_robin_scheduling 0
		.amdhsa_exception_fp_ieee_invalid_op 0
		.amdhsa_exception_fp_denorm_src 0
		.amdhsa_exception_fp_ieee_div_zero 0
		.amdhsa_exception_fp_ieee_overflow 0
		.amdhsa_exception_fp_ieee_underflow 0
		.amdhsa_exception_fp_ieee_inexact 0
		.amdhsa_exception_int_div_zero 0
	.end_amdhsa_kernel
	.section	.text._ZN2at6native12_GLOBAL__N_125multi_tensor_apply_kernelINS1_18TensorListMetadataILi1EEENS1_14UnaryOpFunctorIhLi1ELi1ELi0EEEJNS0_3AbsIhEEEEEvT_T0_DpT1_,"axG",@progbits,_ZN2at6native12_GLOBAL__N_125multi_tensor_apply_kernelINS1_18TensorListMetadataILi1EEENS1_14UnaryOpFunctorIhLi1ELi1ELi0EEEJNS0_3AbsIhEEEEEvT_T0_DpT1_,comdat
.Lfunc_end339:
	.size	_ZN2at6native12_GLOBAL__N_125multi_tensor_apply_kernelINS1_18TensorListMetadataILi1EEENS1_14UnaryOpFunctorIhLi1ELi1ELi0EEEJNS0_3AbsIhEEEEEvT_T0_DpT1_, .Lfunc_end339-_ZN2at6native12_GLOBAL__N_125multi_tensor_apply_kernelINS1_18TensorListMetadataILi1EEENS1_14UnaryOpFunctorIhLi1ELi1ELi0EEEJNS0_3AbsIhEEEEEvT_T0_DpT1_
                                        ; -- End function
	.set _ZN2at6native12_GLOBAL__N_125multi_tensor_apply_kernelINS1_18TensorListMetadataILi1EEENS1_14UnaryOpFunctorIhLi1ELi1ELi0EEEJNS0_3AbsIhEEEEEvT_T0_DpT1_.num_vgpr, 31
	.set _ZN2at6native12_GLOBAL__N_125multi_tensor_apply_kernelINS1_18TensorListMetadataILi1EEENS1_14UnaryOpFunctorIhLi1ELi1ELi0EEEJNS0_3AbsIhEEEEEvT_T0_DpT1_.num_agpr, 0
	.set _ZN2at6native12_GLOBAL__N_125multi_tensor_apply_kernelINS1_18TensorListMetadataILi1EEENS1_14UnaryOpFunctorIhLi1ELi1ELi0EEEJNS0_3AbsIhEEEEEvT_T0_DpT1_.numbered_sgpr, 14
	.set _ZN2at6native12_GLOBAL__N_125multi_tensor_apply_kernelINS1_18TensorListMetadataILi1EEENS1_14UnaryOpFunctorIhLi1ELi1ELi0EEEJNS0_3AbsIhEEEEEvT_T0_DpT1_.num_named_barrier, 0
	.set _ZN2at6native12_GLOBAL__N_125multi_tensor_apply_kernelINS1_18TensorListMetadataILi1EEENS1_14UnaryOpFunctorIhLi1ELi1ELi0EEEJNS0_3AbsIhEEEEEvT_T0_DpT1_.private_seg_size, 0
	.set _ZN2at6native12_GLOBAL__N_125multi_tensor_apply_kernelINS1_18TensorListMetadataILi1EEENS1_14UnaryOpFunctorIhLi1ELi1ELi0EEEJNS0_3AbsIhEEEEEvT_T0_DpT1_.uses_vcc, 1
	.set _ZN2at6native12_GLOBAL__N_125multi_tensor_apply_kernelINS1_18TensorListMetadataILi1EEENS1_14UnaryOpFunctorIhLi1ELi1ELi0EEEJNS0_3AbsIhEEEEEvT_T0_DpT1_.uses_flat_scratch, 0
	.set _ZN2at6native12_GLOBAL__N_125multi_tensor_apply_kernelINS1_18TensorListMetadataILi1EEENS1_14UnaryOpFunctorIhLi1ELi1ELi0EEEJNS0_3AbsIhEEEEEvT_T0_DpT1_.has_dyn_sized_stack, 0
	.set _ZN2at6native12_GLOBAL__N_125multi_tensor_apply_kernelINS1_18TensorListMetadataILi1EEENS1_14UnaryOpFunctorIhLi1ELi1ELi0EEEJNS0_3AbsIhEEEEEvT_T0_DpT1_.has_recursion, 0
	.set _ZN2at6native12_GLOBAL__N_125multi_tensor_apply_kernelINS1_18TensorListMetadataILi1EEENS1_14UnaryOpFunctorIhLi1ELi1ELi0EEEJNS0_3AbsIhEEEEEvT_T0_DpT1_.has_indirect_call, 0
	.section	.AMDGPU.csdata,"",@progbits
; Kernel info:
; codeLenInByte = 820
; TotalNumSgprs: 16
; NumVgprs: 31
; ScratchSize: 0
; MemoryBound: 0
; FloatMode: 240
; IeeeMode: 1
; LDSByteSize: 0 bytes/workgroup (compile time only)
; SGPRBlocks: 0
; VGPRBlocks: 1
; NumSGPRsForWavesPerEU: 16
; NumVGPRsForWavesPerEU: 31
; NamedBarCnt: 0
; Occupancy: 16
; WaveLimiterHint : 0
; COMPUTE_PGM_RSRC2:SCRATCH_EN: 0
; COMPUTE_PGM_RSRC2:USER_SGPR: 2
; COMPUTE_PGM_RSRC2:TRAP_HANDLER: 0
; COMPUTE_PGM_RSRC2:TGID_X_EN: 1
; COMPUTE_PGM_RSRC2:TGID_Y_EN: 0
; COMPUTE_PGM_RSRC2:TGID_Z_EN: 0
; COMPUTE_PGM_RSRC2:TIDIG_COMP_CNT: 0
	.section	.text._ZN2at6native12_GLOBAL__N_125multi_tensor_apply_kernelINS1_18TensorListMetadataILi1EEENS1_14UnaryOpFunctorIaLi1ELi1ELi0EEEJNS0_3AbsIaEEEEEvT_T0_DpT1_,"axG",@progbits,_ZN2at6native12_GLOBAL__N_125multi_tensor_apply_kernelINS1_18TensorListMetadataILi1EEENS1_14UnaryOpFunctorIaLi1ELi1ELi0EEEJNS0_3AbsIaEEEEEvT_T0_DpT1_,comdat
	.globl	_ZN2at6native12_GLOBAL__N_125multi_tensor_apply_kernelINS1_18TensorListMetadataILi1EEENS1_14UnaryOpFunctorIaLi1ELi1ELi0EEEJNS0_3AbsIaEEEEEvT_T0_DpT1_ ; -- Begin function _ZN2at6native12_GLOBAL__N_125multi_tensor_apply_kernelINS1_18TensorListMetadataILi1EEENS1_14UnaryOpFunctorIaLi1ELi1ELi0EEEJNS0_3AbsIaEEEEEvT_T0_DpT1_
	.p2align	8
	.type	_ZN2at6native12_GLOBAL__N_125multi_tensor_apply_kernelINS1_18TensorListMetadataILi1EEENS1_14UnaryOpFunctorIaLi1ELi1ELi0EEEJNS0_3AbsIaEEEEEvT_T0_DpT1_,@function
_ZN2at6native12_GLOBAL__N_125multi_tensor_apply_kernelINS1_18TensorListMetadataILi1EEENS1_14UnaryOpFunctorIaLi1ELi1ELi0EEEJNS0_3AbsIaEEEEEvT_T0_DpT1_: ; @_ZN2at6native12_GLOBAL__N_125multi_tensor_apply_kernelINS1_18TensorListMetadataILi1EEENS1_14UnaryOpFunctorIaLi1ELi1ELi0EEEJNS0_3AbsIaEEEEEvT_T0_DpT1_
; %bb.0:
	s_bfe_u32 s2, ttmp6, 0x4000c
	s_and_b32 s3, ttmp6, 15
	s_add_co_i32 s2, s2, 1
	s_getreg_b32 s4, hwreg(HW_REG_IB_STS2, 6, 4)
	s_mul_i32 s2, ttmp9, s2
	s_delay_alu instid0(SALU_CYCLE_1)
	s_add_co_i32 s3, s3, s2
	s_cmp_eq_u32 s4, 0
	s_cselect_b32 s2, ttmp9, s3
	s_mov_b32 s3, 0
	s_load_u8 s9, s[0:1], s2 offset:0x6e0
	s_add_nc_u64 s[4:5], s[0:1], s[2:3]
	s_wait_xcnt 0x0
	s_mul_u64 s[2:3], s[2:3], 3
	s_delay_alu instid0(SALU_CYCLE_1)
	s_add_nc_u64 s[2:3], s[4:5], s[2:3]
	s_wait_kmcnt 0x0
	s_clause 0x2
	s_load_b64 s[4:5], s[0:1], s9 offset:0x370 scale_offset
	s_load_b64 s[6:7], s[0:1], s9 offset:0x0 scale_offset
	s_load_b32 s8, s[2:3], 0x820
	s_wait_kmcnt 0x0
	s_or_b32 s2, s4, s6
	s_ashr_i32 s9, s8, 31
	s_and_b32 s2, s2, 3
	s_lshl_b64 s[8:9], s[8:9], 16
	s_cmp_eq_u32 s2, 0
	s_sub_nc_u64 s[10:11], s[4:5], s[8:9]
	s_cbranch_scc1 .LBB340_21
; %bb.1:
	v_cmp_lt_i64_e64 s2, s[10:11], 1
	s_and_b32 vcc_lo, exec_lo, s2
	s_cbranch_vccnz .LBB340_20
; %bb.2:
	s_load_b32 s2, s[0:1], 0xd3c
	v_min_i64 v[2:3], 0x10000, s[10:11]
	v_min_u64 v[4:5], 0x10000, s[10:11]
	v_mov_b32_e32 v1, 0
	s_mov_b32 s13, 0
	s_delay_alu instid0(SALU_CYCLE_1) | instskip(SKIP_1) | instid1(VALU_DEP_1)
	s_mov_b32 s3, s13
	s_mov_b32 s5, s13
	v_add_nc_u64_e32 v[12:13], s[8:9], v[0:1]
	v_mov_b32_e32 v28, v1
	s_delay_alu instid0(VALU_DEP_2) | instskip(SKIP_2) | instid1(SALU_CYCLE_1)
	v_add_nc_u64_e32 v[6:7], s[6:7], v[12:13]
	s_wait_kmcnt 0x0
	s_and_b32 s12, s2, 0xffff
	s_lshl_b32 s2, s12, 1
	s_mul_i32 s4, s12, 3
	s_add_nc_u64 s[14:15], s[6:7], s[12:13]
	s_add_nc_u64 s[16:17], s[8:9], s[4:5]
	v_add_nc_u64_e32 v[8:9], s[4:5], v[0:1]
	s_add_nc_u64 s[4:5], s[8:9], s[2:3]
	v_add_nc_u64_e32 v[10:11], s[2:3], v[0:1]
	s_add_nc_u64 s[2:3], s[6:7], s[16:17]
	s_add_nc_u64 s[4:5], s[6:7], s[4:5]
	v_add_nc_u64_e32 v[12:13], s[14:15], v[12:13]
	v_add_nc_u64_e32 v[14:15], s[2:3], v[0:1]
	;; [unrolled: 1-line block ×4, first 2 shown]
	s_lshl_b32 s12, s12, 2
	s_mov_b64 s[14:15], 0
	s_branch .LBB340_4
.LBB340_3:                              ;   in Loop: Header=BB340_4 Depth=1
	s_wait_xcnt 0x0
	s_or_b32 exec_lo, exec_lo, s2
	s_add_nc_u64 s[14:15], s[14:15], s[12:13]
	s_delay_alu instid0(SALU_CYCLE_1)
	v_cmp_lt_i64_e32 vcc_lo, s[14:15], v[2:3]
	s_cbranch_vccz .LBB340_20
.LBB340_4:                              ; =>This Inner Loop Header: Depth=1
	v_add_nc_u64_e32 v[20:21], s[14:15], v[0:1]
	v_and_b32_e32 v24, 0xffffff00, v28
	s_delay_alu instid0(VALU_DEP_2)
	v_cmp_lt_u64_e32 vcc_lo, v[20:21], v[4:5]
	v_add_nc_u64_e32 v[20:21], s[14:15], v[6:7]
	s_and_saveexec_b32 s2, vcc_lo
	s_cbranch_execz .LBB340_6
; %bb.5:                                ;   in Loop: Header=BB340_4 Depth=1
	global_load_u8 v22, v[20:21], off
	s_wait_loadcnt 0x0
	v_perm_b32 v24, v22, v24, 0x3020104
.LBB340_6:                              ;   in Loop: Header=BB340_4 Depth=1
	s_wait_xcnt 0x0
	s_or_b32 exec_lo, exec_lo, s2
	v_add_nc_u64_e32 v[22:23], s[14:15], v[18:19]
	s_delay_alu instid0(VALU_DEP_2) | instskip(NEXT) | instid1(VALU_DEP_2)
	v_and_b32_e32 v26, 0xffff00ff, v24
	v_cmp_lt_u64_e64 s2, v[22:23], v[4:5]
	v_add_nc_u64_e32 v[22:23], s[14:15], v[12:13]
	s_and_saveexec_b32 s3, s2
	s_cbranch_execz .LBB340_8
; %bb.7:                                ;   in Loop: Header=BB340_4 Depth=1
	global_load_u8 v24, v[22:23], off
	s_wait_loadcnt 0x0
	v_perm_b32 v26, v26, v24, 0x7060004
.LBB340_8:                              ;   in Loop: Header=BB340_4 Depth=1
	s_wait_xcnt 0x0
	s_or_b32 exec_lo, exec_lo, s3
	v_add_nc_u64_e32 v[24:25], s[14:15], v[10:11]
	s_delay_alu instid0(VALU_DEP_2) | instskip(NEXT) | instid1(VALU_DEP_2)
	v_and_b32_e32 v28, 0xff00ffff, v26
	v_cmp_lt_u64_e64 s3, v[24:25], v[4:5]
	v_add_nc_u64_e32 v[24:25], s[14:15], v[16:17]
	s_and_saveexec_b32 s4, s3
	s_cbranch_execz .LBB340_10
; %bb.9:                                ;   in Loop: Header=BB340_4 Depth=1
	global_load_u8 v26, v[24:25], off
	s_wait_loadcnt 0x0
	v_perm_b32 v28, v28, v26, 0x7000504
.LBB340_10:                             ;   in Loop: Header=BB340_4 Depth=1
	s_wait_xcnt 0x0
	s_or_b32 exec_lo, exec_lo, s4
	v_add_nc_u64_e32 v[26:27], s[14:15], v[8:9]
	s_delay_alu instid0(VALU_DEP_2) | instskip(NEXT) | instid1(VALU_DEP_2)
	v_and_b32_e32 v28, 0xffffff, v28
	v_cmp_lt_u64_e64 s4, v[26:27], v[4:5]
	v_add_nc_u64_e32 v[26:27], s[14:15], v[14:15]
	s_and_saveexec_b32 s5, s4
	s_cbranch_execz .LBB340_12
; %bb.11:                               ;   in Loop: Header=BB340_4 Depth=1
	global_load_u8 v29, v[26:27], off
	v_lshrrev_b32_e32 v30, 16, v28
	s_wait_loadcnt 0x0
	v_lshlrev_b16 v29, 8, v29
	s_delay_alu instid0(VALU_DEP_1) | instskip(NEXT) | instid1(VALU_DEP_1)
	v_or_b32_e32 v29, v30, v29
	v_lshlrev_b32_e32 v29, 16, v29
	s_delay_alu instid0(VALU_DEP_1)
	v_and_or_b32 v28, 0xffff, v28, v29
.LBB340_12:                             ;   in Loop: Header=BB340_4 Depth=1
	s_wait_xcnt 0x0
	s_or_b32 exec_lo, exec_lo, s5
	s_delay_alu instid0(VALU_DEP_1) | instskip(SKIP_2) | instid1(VALU_DEP_3)
	v_dual_ashrrev_i32 v29, 24, v28 :: v_dual_lshrrev_b32 v30, 16, v28
	v_ashrrev_i16 v31, 8, v28
	v_bfe_i32 v28, v28, 0, 8
	v_sub_nc_u16 v32, 0, v29
	s_delay_alu instid0(VALU_DEP_4) | instskip(NEXT) | instid1(VALU_DEP_4)
	v_bfe_i32 v30, v30, 0, 8
	v_sub_nc_u16 v33, 0, v31
	s_delay_alu instid0(VALU_DEP_4) | instskip(NEXT) | instid1(VALU_DEP_4)
	v_sub_nc_u16 v34, 0, v28
	v_max_i16 v29, v29, v32
	s_delay_alu instid0(VALU_DEP_4) | instskip(NEXT) | instid1(VALU_DEP_4)
	v_sub_nc_u16 v32, 0, v30
	v_max_i16 v31, v31, v33
	s_delay_alu instid0(VALU_DEP_4) | instskip(NEXT) | instid1(VALU_DEP_4)
	v_max_i16 v28, v28, v34
	v_lshlrev_b16 v29, 8, v29
	s_delay_alu instid0(VALU_DEP_4) | instskip(NEXT) | instid1(VALU_DEP_4)
	v_max_i16 v30, v30, v32
	v_lshlrev_b16 v31, 8, v31
	s_delay_alu instid0(VALU_DEP_2) | instskip(NEXT) | instid1(VALU_DEP_1)
	v_or_b32_e32 v29, v30, v29
	v_dual_lshlrev_b32 v29, 16, v29 :: v_dual_bitop2_b32 v28, v28, v31 bitop3:0x54
	s_delay_alu instid0(VALU_DEP_1) | instskip(NEXT) | instid1(VALU_DEP_1)
	v_and_b32_e32 v28, 0xffff, v28
	v_or_b32_e32 v28, v28, v29
	s_and_saveexec_b32 s5, vcc_lo
	s_cbranch_execnz .LBB340_16
; %bb.13:                               ;   in Loop: Header=BB340_4 Depth=1
	s_or_b32 exec_lo, exec_lo, s5
	s_and_saveexec_b32 s5, s2
	s_cbranch_execnz .LBB340_17
.LBB340_14:                             ;   in Loop: Header=BB340_4 Depth=1
	s_or_b32 exec_lo, exec_lo, s5
	s_and_saveexec_b32 s2, s3
	s_cbranch_execnz .LBB340_18
.LBB340_15:                             ;   in Loop: Header=BB340_4 Depth=1
	s_or_b32 exec_lo, exec_lo, s2
	s_and_saveexec_b32 s2, s4
	s_cbranch_execz .LBB340_3
	s_branch .LBB340_19
.LBB340_16:                             ;   in Loop: Header=BB340_4 Depth=1
	global_store_b8 v[20:21], v28, off
	s_wait_xcnt 0x0
	s_or_b32 exec_lo, exec_lo, s5
	s_and_saveexec_b32 s5, s2
	s_cbranch_execz .LBB340_14
.LBB340_17:                             ;   in Loop: Header=BB340_4 Depth=1
	v_lshrrev_b32_e32 v20, 8, v28
	global_store_b8 v[22:23], v20, off
	s_wait_xcnt 0x0
	s_or_b32 exec_lo, exec_lo, s5
	s_and_saveexec_b32 s2, s3
	s_cbranch_execz .LBB340_15
.LBB340_18:                             ;   in Loop: Header=BB340_4 Depth=1
	global_store_d16_hi_b8 v[24:25], v28, off
	s_wait_xcnt 0x0
	s_or_b32 exec_lo, exec_lo, s2
	s_and_saveexec_b32 s2, s4
	s_cbranch_execz .LBB340_3
.LBB340_19:                             ;   in Loop: Header=BB340_4 Depth=1
	v_lshrrev_b32_e32 v20, 24, v28
	global_store_b8 v[26:27], v20, off
	s_branch .LBB340_3
.LBB340_20:
	s_cbranch_execz .LBB340_22
	s_branch .LBB340_25
.LBB340_21:
.LBB340_22:
	v_min_i64 v[2:3], 0x10000, s[10:11]
	v_dual_mov_b32 v5, 0 :: v_dual_lshlrev_b32 v4, 2, v0
	s_mov_b32 s2, exec_lo
	s_delay_alu instid0(VALU_DEP_1)
	v_cmpx_lt_i64_e64 v[4:5], v[2:3]
	s_cbranch_execz .LBB340_25
; %bb.23:
	s_load_b32 s2, s[0:1], 0xd3c
	s_wait_xcnt 0x0
	s_add_nc_u64 s[0:1], s[6:7], s[8:9]
	v_mov_b32_e32 v1, v5
	v_add_nc_u64_e32 v[4:5], s[0:1], v[4:5]
	s_mov_b32 s1, 0
	s_delay_alu instid0(SALU_CYCLE_1) | instskip(SKIP_3) | instid1(SALU_CYCLE_1)
	s_mov_b32 s3, s1
	s_mov_b32 s4, s1
	s_wait_kmcnt 0x0
	s_and_b32 s0, s2, 0xffff
	s_lshl_b32 s2, s0, 2
.LBB340_24:                             ; =>This Inner Loop Header: Depth=1
	global_load_b32 v6, v[4:5], off
	v_add_nc_u64_e32 v[0:1], s[0:1], v[0:1]
	s_wait_loadcnt 0x0
	v_ashrrev_i16 v8, 8, v6
	s_delay_alu instid0(VALU_DEP_1) | instskip(NEXT) | instid1(VALU_DEP_1)
	v_sub_nc_u16 v10, 0, v8
	v_max_i16 v8, v8, v10
	s_delay_alu instid0(VALU_DEP_1) | instskip(SKIP_2) | instid1(VALU_DEP_1)
	v_lshlrev_b16 v8, 8, v8
	v_lshrrev_b32_e32 v7, 16, v6
	v_bfe_i32 v6, v6, 0, 8
	v_sub_nc_u16 v12, 0, v6
	s_delay_alu instid0(VALU_DEP_1) | instskip(NEXT) | instid1(VALU_DEP_1)
	v_max_i16 v6, v6, v12
	v_or_b32_e32 v6, v6, v8
	v_ashrrev_i16 v9, 8, v7
	v_bfe_i32 v7, v7, 0, 8
	s_delay_alu instid0(VALU_DEP_3) | instskip(NEXT) | instid1(VALU_DEP_3)
	v_and_b32_e32 v8, 0xffff, v6
	v_sub_nc_u16 v11, 0, v9
	s_delay_alu instid0(VALU_DEP_3) | instskip(NEXT) | instid1(VALU_DEP_2)
	v_sub_nc_u16 v13, 0, v7
	v_max_i16 v9, v9, v11
	s_delay_alu instid0(VALU_DEP_2) | instskip(NEXT) | instid1(VALU_DEP_2)
	v_max_i16 v7, v7, v13
	v_lshlrev_b16 v9, 8, v9
	s_delay_alu instid0(VALU_DEP_1) | instskip(NEXT) | instid1(VALU_DEP_1)
	v_or_b32_e32 v7, v7, v9
	v_lshlrev_b32_e32 v9, 16, v7
	v_lshlrev_b64_e32 v[6:7], 2, v[0:1]
	s_delay_alu instid0(VALU_DEP_2) | instskip(NEXT) | instid1(VALU_DEP_2)
	v_or_b32_e32 v8, v8, v9
	v_cmp_ge_i64_e32 vcc_lo, v[6:7], v[2:3]
	global_store_b32 v[4:5], v8, off
	s_wait_xcnt 0x0
	v_add_nc_u64_e32 v[4:5], s[2:3], v[4:5]
	s_or_b32 s4, vcc_lo, s4
	s_delay_alu instid0(SALU_CYCLE_1)
	s_and_not1_b32 exec_lo, exec_lo, s4
	s_cbranch_execnz .LBB340_24
.LBB340_25:
	s_endpgm
	.section	.rodata,"a",@progbits
	.p2align	6, 0x0
	.amdhsa_kernel _ZN2at6native12_GLOBAL__N_125multi_tensor_apply_kernelINS1_18TensorListMetadataILi1EEENS1_14UnaryOpFunctorIaLi1ELi1ELi0EEEJNS0_3AbsIaEEEEEvT_T0_DpT1_
		.amdhsa_group_segment_fixed_size 0
		.amdhsa_private_segment_fixed_size 0
		.amdhsa_kernarg_size 3632
		.amdhsa_user_sgpr_count 2
		.amdhsa_user_sgpr_dispatch_ptr 0
		.amdhsa_user_sgpr_queue_ptr 0
		.amdhsa_user_sgpr_kernarg_segment_ptr 1
		.amdhsa_user_sgpr_dispatch_id 0
		.amdhsa_user_sgpr_kernarg_preload_length 0
		.amdhsa_user_sgpr_kernarg_preload_offset 0
		.amdhsa_user_sgpr_private_segment_size 0
		.amdhsa_wavefront_size32 1
		.amdhsa_uses_dynamic_stack 0
		.amdhsa_enable_private_segment 0
		.amdhsa_system_sgpr_workgroup_id_x 1
		.amdhsa_system_sgpr_workgroup_id_y 0
		.amdhsa_system_sgpr_workgroup_id_z 0
		.amdhsa_system_sgpr_workgroup_info 0
		.amdhsa_system_vgpr_workitem_id 0
		.amdhsa_next_free_vgpr 35
		.amdhsa_next_free_sgpr 18
		.amdhsa_named_barrier_count 0
		.amdhsa_reserve_vcc 1
		.amdhsa_float_round_mode_32 0
		.amdhsa_float_round_mode_16_64 0
		.amdhsa_float_denorm_mode_32 3
		.amdhsa_float_denorm_mode_16_64 3
		.amdhsa_fp16_overflow 0
		.amdhsa_memory_ordered 1
		.amdhsa_forward_progress 1
		.amdhsa_inst_pref_size 11
		.amdhsa_round_robin_scheduling 0
		.amdhsa_exception_fp_ieee_invalid_op 0
		.amdhsa_exception_fp_denorm_src 0
		.amdhsa_exception_fp_ieee_div_zero 0
		.amdhsa_exception_fp_ieee_overflow 0
		.amdhsa_exception_fp_ieee_underflow 0
		.amdhsa_exception_fp_ieee_inexact 0
		.amdhsa_exception_int_div_zero 0
	.end_amdhsa_kernel
	.section	.text._ZN2at6native12_GLOBAL__N_125multi_tensor_apply_kernelINS1_18TensorListMetadataILi1EEENS1_14UnaryOpFunctorIaLi1ELi1ELi0EEEJNS0_3AbsIaEEEEEvT_T0_DpT1_,"axG",@progbits,_ZN2at6native12_GLOBAL__N_125multi_tensor_apply_kernelINS1_18TensorListMetadataILi1EEENS1_14UnaryOpFunctorIaLi1ELi1ELi0EEEJNS0_3AbsIaEEEEEvT_T0_DpT1_,comdat
.Lfunc_end340:
	.size	_ZN2at6native12_GLOBAL__N_125multi_tensor_apply_kernelINS1_18TensorListMetadataILi1EEENS1_14UnaryOpFunctorIaLi1ELi1ELi0EEEJNS0_3AbsIaEEEEEvT_T0_DpT1_, .Lfunc_end340-_ZN2at6native12_GLOBAL__N_125multi_tensor_apply_kernelINS1_18TensorListMetadataILi1EEENS1_14UnaryOpFunctorIaLi1ELi1ELi0EEEJNS0_3AbsIaEEEEEvT_T0_DpT1_
                                        ; -- End function
	.set _ZN2at6native12_GLOBAL__N_125multi_tensor_apply_kernelINS1_18TensorListMetadataILi1EEENS1_14UnaryOpFunctorIaLi1ELi1ELi0EEEJNS0_3AbsIaEEEEEvT_T0_DpT1_.num_vgpr, 35
	.set _ZN2at6native12_GLOBAL__N_125multi_tensor_apply_kernelINS1_18TensorListMetadataILi1EEENS1_14UnaryOpFunctorIaLi1ELi1ELi0EEEJNS0_3AbsIaEEEEEvT_T0_DpT1_.num_agpr, 0
	.set _ZN2at6native12_GLOBAL__N_125multi_tensor_apply_kernelINS1_18TensorListMetadataILi1EEENS1_14UnaryOpFunctorIaLi1ELi1ELi0EEEJNS0_3AbsIaEEEEEvT_T0_DpT1_.numbered_sgpr, 18
	.set _ZN2at6native12_GLOBAL__N_125multi_tensor_apply_kernelINS1_18TensorListMetadataILi1EEENS1_14UnaryOpFunctorIaLi1ELi1ELi0EEEJNS0_3AbsIaEEEEEvT_T0_DpT1_.num_named_barrier, 0
	.set _ZN2at6native12_GLOBAL__N_125multi_tensor_apply_kernelINS1_18TensorListMetadataILi1EEENS1_14UnaryOpFunctorIaLi1ELi1ELi0EEEJNS0_3AbsIaEEEEEvT_T0_DpT1_.private_seg_size, 0
	.set _ZN2at6native12_GLOBAL__N_125multi_tensor_apply_kernelINS1_18TensorListMetadataILi1EEENS1_14UnaryOpFunctorIaLi1ELi1ELi0EEEJNS0_3AbsIaEEEEEvT_T0_DpT1_.uses_vcc, 1
	.set _ZN2at6native12_GLOBAL__N_125multi_tensor_apply_kernelINS1_18TensorListMetadataILi1EEENS1_14UnaryOpFunctorIaLi1ELi1ELi0EEEJNS0_3AbsIaEEEEEvT_T0_DpT1_.uses_flat_scratch, 0
	.set _ZN2at6native12_GLOBAL__N_125multi_tensor_apply_kernelINS1_18TensorListMetadataILi1EEENS1_14UnaryOpFunctorIaLi1ELi1ELi0EEEJNS0_3AbsIaEEEEEvT_T0_DpT1_.has_dyn_sized_stack, 0
	.set _ZN2at6native12_GLOBAL__N_125multi_tensor_apply_kernelINS1_18TensorListMetadataILi1EEENS1_14UnaryOpFunctorIaLi1ELi1ELi0EEEJNS0_3AbsIaEEEEEvT_T0_DpT1_.has_recursion, 0
	.set _ZN2at6native12_GLOBAL__N_125multi_tensor_apply_kernelINS1_18TensorListMetadataILi1EEENS1_14UnaryOpFunctorIaLi1ELi1ELi0EEEJNS0_3AbsIaEEEEEvT_T0_DpT1_.has_indirect_call, 0
	.section	.AMDGPU.csdata,"",@progbits
; Kernel info:
; codeLenInByte = 1308
; TotalNumSgprs: 20
; NumVgprs: 35
; ScratchSize: 0
; MemoryBound: 0
; FloatMode: 240
; IeeeMode: 1
; LDSByteSize: 0 bytes/workgroup (compile time only)
; SGPRBlocks: 0
; VGPRBlocks: 2
; NumSGPRsForWavesPerEU: 20
; NumVGPRsForWavesPerEU: 35
; NamedBarCnt: 0
; Occupancy: 16
; WaveLimiterHint : 0
; COMPUTE_PGM_RSRC2:SCRATCH_EN: 0
; COMPUTE_PGM_RSRC2:USER_SGPR: 2
; COMPUTE_PGM_RSRC2:TRAP_HANDLER: 0
; COMPUTE_PGM_RSRC2:TGID_X_EN: 1
; COMPUTE_PGM_RSRC2:TGID_Y_EN: 0
; COMPUTE_PGM_RSRC2:TGID_Z_EN: 0
; COMPUTE_PGM_RSRC2:TIDIG_COMP_CNT: 0
	.section	.text._ZN2at6native12_GLOBAL__N_125multi_tensor_apply_kernelINS1_18TensorListMetadataILi1EEENS1_14UnaryOpFunctorIiLi1ELi1ELi0EEEJNS0_3AbsIiEEEEEvT_T0_DpT1_,"axG",@progbits,_ZN2at6native12_GLOBAL__N_125multi_tensor_apply_kernelINS1_18TensorListMetadataILi1EEENS1_14UnaryOpFunctorIiLi1ELi1ELi0EEEJNS0_3AbsIiEEEEEvT_T0_DpT1_,comdat
	.globl	_ZN2at6native12_GLOBAL__N_125multi_tensor_apply_kernelINS1_18TensorListMetadataILi1EEENS1_14UnaryOpFunctorIiLi1ELi1ELi0EEEJNS0_3AbsIiEEEEEvT_T0_DpT1_ ; -- Begin function _ZN2at6native12_GLOBAL__N_125multi_tensor_apply_kernelINS1_18TensorListMetadataILi1EEENS1_14UnaryOpFunctorIiLi1ELi1ELi0EEEJNS0_3AbsIiEEEEEvT_T0_DpT1_
	.p2align	8
	.type	_ZN2at6native12_GLOBAL__N_125multi_tensor_apply_kernelINS1_18TensorListMetadataILi1EEENS1_14UnaryOpFunctorIiLi1ELi1ELi0EEEJNS0_3AbsIiEEEEEvT_T0_DpT1_,@function
_ZN2at6native12_GLOBAL__N_125multi_tensor_apply_kernelINS1_18TensorListMetadataILi1EEENS1_14UnaryOpFunctorIiLi1ELi1ELi0EEEJNS0_3AbsIiEEEEEvT_T0_DpT1_: ; @_ZN2at6native12_GLOBAL__N_125multi_tensor_apply_kernelINS1_18TensorListMetadataILi1EEENS1_14UnaryOpFunctorIiLi1ELi1ELi0EEEJNS0_3AbsIiEEEEEvT_T0_DpT1_
; %bb.0:
	s_bfe_u32 s2, ttmp6, 0x4000c
	s_and_b32 s3, ttmp6, 15
	s_add_co_i32 s2, s2, 1
	s_getreg_b32 s4, hwreg(HW_REG_IB_STS2, 6, 4)
	s_mul_i32 s2, ttmp9, s2
	s_delay_alu instid0(SALU_CYCLE_1)
	s_add_co_i32 s3, s3, s2
	s_cmp_eq_u32 s4, 0
	s_cselect_b32 s2, ttmp9, s3
	s_mov_b32 s3, 0
	s_load_u8 s8, s[0:1], s2 offset:0x6e0
	s_add_nc_u64 s[4:5], s[0:1], s[2:3]
	s_mul_u64 s[6:7], s[2:3], 3
	s_delay_alu instid0(SALU_CYCLE_1)
	s_add_nc_u64 s[4:5], s[4:5], s[6:7]
	s_load_b32 s10, s[4:5], 0x820
	s_wait_kmcnt 0x0
	s_clause 0x1
	s_load_b64 s[6:7], s[0:1], s8 offset:0x0 scale_offset
	s_load_b64 s[12:13], s[0:1], s8 offset:0x370 scale_offset
	s_ashr_i32 s11, s10, 31
	s_wait_kmcnt 0x0
	s_and_b64 s[4:5], s[6:7], 15
	s_and_b32 s2, s12, 3
	s_lshl_b64 s[8:9], s[10:11], 18
	s_or_b64 s[2:3], s[4:5], s[2:3]
	s_lshl_b64 s[4:5], s[10:11], 16
	s_cmp_eq_u64 s[2:3], 0
	s_sub_nc_u64 s[10:11], s[12:13], s[4:5]
	s_cbranch_scc1 .LBB341_21
; %bb.1:
	v_cmp_lt_i64_e64 s2, s[10:11], 1
	s_and_b32 vcc_lo, exec_lo, s2
	s_cbranch_vccnz .LBB341_20
; %bb.2:
	s_load_b32 s4, s[0:1], 0xd3c
	v_min_i64 v[2:3], 0x10000, s[10:11]
	v_min_u64 v[4:5], 0x10000, s[10:11]
	v_dual_mov_b32 v1, 0 :: v_dual_lshlrev_b32 v8, 2, v0
	s_mov_b32 s19, 0
	s_add_nc_u64 s[2:3], s[6:7], s[8:9]
	s_mov_b32 s5, s19
	s_delay_alu instid0(VALU_DEP_1)
	v_mov_b32_e32 v15, v1
	s_mov_b32 s17, s19
	s_mov_b32 s13, s19
	;; [unrolled: 1-line block ×3, first 2 shown]
	s_mov_b64 s[20:21], 0
	s_wait_kmcnt 0x0
	s_and_b32 s18, s4, 0xffff
	s_delay_alu instid0(SALU_CYCLE_1)
	v_add_nc_u64_e32 v[6:7], s[18:19], v[0:1]
	v_mov_b32_e32 v9, v1
	s_lshl_b32 s4, s18, 1
	s_mul_i32 s16, s18, 3
	v_add_nc_u64_e32 v[12:13], s[4:5], v[0:1]
	v_add_nc_u64_e32 v[10:11], s[16:17], v[0:1]
	s_lshl_b32 s12, s18, 2
	v_lshlrev_b32_e32 v14, 2, v6
	v_add_nc_u64_e32 v[8:9], s[2:3], v[8:9]
	s_lshl_b32 s14, s18, 4
	s_mul_u64 s[16:17], s[18:19], 12
	s_lshl_b32 s18, s18, 3
	v_add_nc_u64_e32 v[14:15], s[2:3], v[14:15]
	s_branch .LBB341_4
.LBB341_3:                              ;   in Loop: Header=BB341_4 Depth=1
	s_wait_xcnt 0x0
	s_or_b32 exec_lo, exec_lo, s2
	s_add_nc_u64 s[20:21], s[20:21], s[12:13]
	v_add_nc_u64_e32 v[8:9], s[14:15], v[8:9]
	v_cmp_lt_i64_e32 vcc_lo, s[20:21], v[2:3]
	v_add_nc_u64_e32 v[14:15], s[14:15], v[14:15]
	s_cbranch_vccz .LBB341_20
.LBB341_4:                              ; =>This Inner Loop Header: Depth=1
	v_add_nc_u64_e32 v[16:17], s[20:21], v[0:1]
	v_mov_b32_e32 v21, 0
	s_delay_alu instid0(VALU_DEP_2)
	v_cmp_lt_u64_e32 vcc_lo, v[16:17], v[4:5]
	s_and_saveexec_b32 s2, vcc_lo
	s_cbranch_execz .LBB341_6
; %bb.5:                                ;   in Loop: Header=BB341_4 Depth=1
	global_load_b32 v16, v[8:9], off
	s_wait_loadcnt 0x0
	v_sub_nc_u32_e32 v17, 0, v16
	s_delay_alu instid0(VALU_DEP_1)
	v_max_i32_e32 v21, v16, v17
.LBB341_6:                              ;   in Loop: Header=BB341_4 Depth=1
	s_wait_xcnt 0x0
	s_or_b32 exec_lo, exec_lo, s2
	v_add_nc_u64_e32 v[16:17], s[20:21], v[6:7]
	v_dual_mov_b32 v20, 0 :: v_dual_mov_b32 v22, 0
	s_delay_alu instid0(VALU_DEP_2)
	v_cmp_lt_u64_e64 s2, v[16:17], v[4:5]
	s_and_saveexec_b32 s3, s2
	s_cbranch_execz .LBB341_8
; %bb.7:                                ;   in Loop: Header=BB341_4 Depth=1
	global_load_b32 v16, v[14:15], off
	s_wait_loadcnt 0x0
	v_sub_nc_u32_e32 v17, 0, v16
	s_delay_alu instid0(VALU_DEP_1)
	v_max_i32_e32 v22, v16, v17
.LBB341_8:                              ;   in Loop: Header=BB341_4 Depth=1
	s_wait_xcnt 0x0
	s_or_b32 exec_lo, exec_lo, s3
	v_add_nc_u64_e32 v[16:17], s[20:21], v[12:13]
	s_delay_alu instid0(VALU_DEP_1)
	v_cmp_lt_u64_e64 s3, v[16:17], v[4:5]
	v_add_nc_u64_e32 v[16:17], s[18:19], v[8:9]
	s_and_saveexec_b32 s4, s3
	s_cbranch_execz .LBB341_10
; %bb.9:                                ;   in Loop: Header=BB341_4 Depth=1
	global_load_b32 v18, v[16:17], off
	s_wait_loadcnt 0x0
	v_sub_nc_u32_e32 v19, 0, v18
	s_delay_alu instid0(VALU_DEP_1)
	v_max_i32_e32 v20, v18, v19
.LBB341_10:                             ;   in Loop: Header=BB341_4 Depth=1
	s_wait_xcnt 0x0
	s_or_b32 exec_lo, exec_lo, s4
	v_add_nc_u64_e32 v[18:19], s[20:21], v[10:11]
	v_mov_b32_e32 v23, 0
	s_delay_alu instid0(VALU_DEP_2)
	v_cmp_lt_u64_e64 s4, v[18:19], v[4:5]
	v_add_nc_u64_e32 v[18:19], s[16:17], v[8:9]
	s_and_saveexec_b32 s5, s4
	s_cbranch_execnz .LBB341_15
; %bb.11:                               ;   in Loop: Header=BB341_4 Depth=1
	s_or_b32 exec_lo, exec_lo, s5
	s_and_saveexec_b32 s5, vcc_lo
	s_cbranch_execnz .LBB341_16
.LBB341_12:                             ;   in Loop: Header=BB341_4 Depth=1
	s_or_b32 exec_lo, exec_lo, s5
	s_and_saveexec_b32 s5, s2
	s_cbranch_execnz .LBB341_17
.LBB341_13:                             ;   in Loop: Header=BB341_4 Depth=1
	s_or_b32 exec_lo, exec_lo, s5
	s_and_saveexec_b32 s2, s3
	s_cbranch_execnz .LBB341_18
.LBB341_14:                             ;   in Loop: Header=BB341_4 Depth=1
	s_or_b32 exec_lo, exec_lo, s2
	s_and_saveexec_b32 s2, s4
	s_cbranch_execz .LBB341_3
	s_branch .LBB341_19
.LBB341_15:                             ;   in Loop: Header=BB341_4 Depth=1
	global_load_b32 v23, v[18:19], off
	s_wait_loadcnt 0x0
	v_sub_nc_u32_e32 v24, 0, v23
	s_delay_alu instid0(VALU_DEP_1)
	v_max_i32_e32 v23, v23, v24
	s_wait_xcnt 0x0
	s_or_b32 exec_lo, exec_lo, s5
	s_and_saveexec_b32 s5, vcc_lo
	s_cbranch_execz .LBB341_12
.LBB341_16:                             ;   in Loop: Header=BB341_4 Depth=1
	global_store_b32 v[8:9], v21, off
	s_wait_xcnt 0x0
	s_or_b32 exec_lo, exec_lo, s5
	s_and_saveexec_b32 s5, s2
	s_cbranch_execz .LBB341_13
.LBB341_17:                             ;   in Loop: Header=BB341_4 Depth=1
	global_store_b32 v[14:15], v22, off
	s_wait_xcnt 0x0
	s_or_b32 exec_lo, exec_lo, s5
	s_and_saveexec_b32 s2, s3
	s_cbranch_execz .LBB341_14
.LBB341_18:                             ;   in Loop: Header=BB341_4 Depth=1
	global_store_b32 v[16:17], v20, off
	s_wait_xcnt 0x0
	s_or_b32 exec_lo, exec_lo, s2
	s_and_saveexec_b32 s2, s4
	s_cbranch_execz .LBB341_3
.LBB341_19:                             ;   in Loop: Header=BB341_4 Depth=1
	global_store_b32 v[18:19], v23, off
	s_branch .LBB341_3
.LBB341_20:
	s_cbranch_execz .LBB341_22
	s_branch .LBB341_30
.LBB341_21:
.LBB341_22:
	v_min_i64 v[2:3], 0x10000, s[10:11]
	v_dual_mov_b32 v5, 0 :: v_dual_lshlrev_b32 v4, 2, v0
	s_mov_b32 s2, exec_lo
	s_delay_alu instid0(VALU_DEP_1)
	v_cmpx_lt_i64_e64 v[4:5], v[2:3]
	s_cbranch_execz .LBB341_30
; %bb.23:
	v_dual_mov_b32 v7, v5 :: v_dual_add_nc_u32 v6, 4, v4
	s_load_b32 s0, s[0:1], 0xd3c
	s_wait_xcnt 0x0
	s_mov_b32 s1, 0
	v_mov_b32_e32 v1, v5
	s_mov_b32 s3, -1
	v_max_i64 v[6:7], v[2:3], v[6:7]
	v_mov_b32_e32 v9, s1
	s_wait_kmcnt 0x0
	s_and_b32 s0, s0, 0xffff
	s_delay_alu instid0(SALU_CYCLE_1) | instskip(SKIP_1) | instid1(VALU_DEP_2)
	s_cmp_eq_u32 s0, 1
	s_cselect_b32 s2, -1, 0
	v_add_nc_u64_e32 v[6:7], -4, v[6:7]
	s_delay_alu instid0(VALU_DEP_1) | instskip(SKIP_1) | instid1(VALU_DEP_1)
	v_cmp_ne_u64_e32 vcc_lo, v[6:7], v[4:5]
	v_cndmask_b32_e64 v8, 0, 1, vcc_lo
	v_or_b32_e32 v4, v4, v8
	s_delay_alu instid0(VALU_DEP_1) | instskip(NEXT) | instid1(VALU_DEP_1)
	v_sub_nc_u64_e32 v[6:7], v[6:7], v[4:5]
	v_lshrrev_b64 v[6:7], 2, v[6:7]
	s_delay_alu instid0(VALU_DEP_1) | instskip(NEXT) | instid1(VALU_DEP_1)
	v_add_nc_u64_e32 v[6:7], v[6:7], v[8:9]
	v_cmp_ne_u64_e32 vcc_lo, 0, v[6:7]
	s_and_b32 s4, vcc_lo, s2
	s_delay_alu instid0(SALU_CYCLE_1)
	s_and_saveexec_b32 s2, s4
	s_cbranch_execz .LBB341_27
; %bb.24:
	v_dual_mov_b32 v9, 0 :: v_dual_lshlrev_b32 v8, 4, v0
	v_add_nc_u64_e32 v[4:5], 1, v[6:7]
	s_add_nc_u64 s[4:5], s[6:7], s[8:9]
	s_delay_alu instid0(VALU_DEP_2) | instid1(SALU_CYCLE_1)
	v_add_nc_u64_e32 v[8:9], s[4:5], v[8:9]
	s_delay_alu instid0(VALU_DEP_2) | instskip(NEXT) | instid1(VALU_DEP_2)
	v_dual_mov_b32 v7, v5 :: v_dual_bitop2_b32 v6, -2, v4 bitop3:0x40
	v_add_nc_u64_e32 v[8:9], 28, v[8:9]
	s_delay_alu instid0(VALU_DEP_2)
	v_mov_b64_e32 v[10:11], v[6:7]
.LBB341_25:                             ; =>This Inner Loop Header: Depth=1
	s_clause 0x1
	global_load_b128 v[12:15], v[8:9], off offset:-12
	global_load_b128 v[16:19], v[8:9], off offset:-28
	v_add_nc_u64_e32 v[10:11], -2, v[10:11]
	s_delay_alu instid0(VALU_DEP_1)
	v_cmp_eq_u64_e32 vcc_lo, 0, v[10:11]
	s_or_b32 s1, vcc_lo, s1
	s_wait_loadcnt 0x1
	v_dual_sub_nc_u32 v20, 0, v12 :: v_dual_sub_nc_u32 v22, 0, v13
	s_wait_loadcnt 0x0
	v_dual_sub_nc_u32 v21, 0, v16 :: v_dual_sub_nc_u32 v23, 0, v17
	v_dual_sub_nc_u32 v25, 0, v18 :: v_dual_sub_nc_u32 v27, 0, v19
	;; [unrolled: 1-line block ×3, first 2 shown]
	s_delay_alu instid0(VALU_DEP_3) | instskip(NEXT) | instid1(VALU_DEP_4)
	v_max_i32_e32 v16, v16, v21
	v_max_i32_e32 v17, v17, v23
	s_delay_alu instid0(VALU_DEP_4)
	v_max_i32_e32 v18, v18, v25
	v_max_i32_e32 v19, v19, v27
	;; [unrolled: 1-line block ×6, first 2 shown]
	s_clause 0x1
	global_store_b128 v[8:9], v[16:19], off offset:-28
	global_store_b128 v[8:9], v[12:15], off offset:-12
	s_wait_xcnt 0x0
	v_add_nc_u64_e32 v[8:9], 32, v[8:9]
	s_and_not1_b32 exec_lo, exec_lo, s1
	s_cbranch_execnz .LBB341_25
; %bb.26:
	s_or_b32 exec_lo, exec_lo, s1
	v_cmp_ne_u64_e32 vcc_lo, v[4:5], v[6:7]
	v_add_nc_u64_e32 v[0:1], v[6:7], v[0:1]
	s_or_not1_b32 s3, vcc_lo, exec_lo
.LBB341_27:
	s_or_b32 exec_lo, exec_lo, s2
	s_delay_alu instid0(SALU_CYCLE_1)
	s_and_b32 exec_lo, exec_lo, s3
	s_cbranch_execz .LBB341_30
; %bb.28:
	s_add_nc_u64 s[2:3], s[6:7], s[8:9]
	s_mov_b32 s1, 0
	v_lshl_add_u64 v[4:5], v[0:1], 4, s[2:3]
	s_lshl_b32 s2, s0, 4
	s_mov_b32 s3, s1
	s_mov_b32 s4, s1
	s_delay_alu instid0(VALU_DEP_1)
	v_add_nc_u64_e32 v[4:5], 8, v[4:5]
.LBB341_29:                             ; =>This Inner Loop Header: Depth=1
	global_load_b128 v[6:9], v[4:5], off offset:-8
	v_add_nc_u64_e32 v[0:1], s[0:1], v[0:1]
	s_delay_alu instid0(VALU_DEP_1) | instskip(NEXT) | instid1(VALU_DEP_1)
	v_lshlrev_b64_e32 v[10:11], 2, v[0:1]
	v_cmp_ge_i64_e32 vcc_lo, v[10:11], v[2:3]
	s_or_b32 s4, vcc_lo, s4
	s_wait_loadcnt 0x0
	v_dual_sub_nc_u32 v12, 0, v7 :: v_dual_sub_nc_u32 v13, 0, v6
	v_dual_sub_nc_u32 v14, 0, v9 :: v_dual_sub_nc_u32 v15, 0, v8
	s_delay_alu instid0(VALU_DEP_2) | instskip(NEXT) | instid1(VALU_DEP_3)
	v_max_i32_e32 v7, v7, v12
	v_max_i32_e32 v6, v6, v13
	s_delay_alu instid0(VALU_DEP_3) | instskip(NEXT) | instid1(VALU_DEP_4)
	v_max_i32_e32 v9, v9, v14
	v_max_i32_e32 v8, v8, v15
	global_store_b128 v[4:5], v[6:9], off offset:-8
	s_wait_xcnt 0x0
	v_add_nc_u64_e32 v[4:5], s[2:3], v[4:5]
	s_and_not1_b32 exec_lo, exec_lo, s4
	s_cbranch_execnz .LBB341_29
.LBB341_30:
	s_endpgm
	.section	.rodata,"a",@progbits
	.p2align	6, 0x0
	.amdhsa_kernel _ZN2at6native12_GLOBAL__N_125multi_tensor_apply_kernelINS1_18TensorListMetadataILi1EEENS1_14UnaryOpFunctorIiLi1ELi1ELi0EEEJNS0_3AbsIiEEEEEvT_T0_DpT1_
		.amdhsa_group_segment_fixed_size 0
		.amdhsa_private_segment_fixed_size 0
		.amdhsa_kernarg_size 3632
		.amdhsa_user_sgpr_count 2
		.amdhsa_user_sgpr_dispatch_ptr 0
		.amdhsa_user_sgpr_queue_ptr 0
		.amdhsa_user_sgpr_kernarg_segment_ptr 1
		.amdhsa_user_sgpr_dispatch_id 0
		.amdhsa_user_sgpr_kernarg_preload_length 0
		.amdhsa_user_sgpr_kernarg_preload_offset 0
		.amdhsa_user_sgpr_private_segment_size 0
		.amdhsa_wavefront_size32 1
		.amdhsa_uses_dynamic_stack 0
		.amdhsa_enable_private_segment 0
		.amdhsa_system_sgpr_workgroup_id_x 1
		.amdhsa_system_sgpr_workgroup_id_y 0
		.amdhsa_system_sgpr_workgroup_id_z 0
		.amdhsa_system_sgpr_workgroup_info 0
		.amdhsa_system_vgpr_workitem_id 0
		.amdhsa_next_free_vgpr 28
		.amdhsa_next_free_sgpr 22
		.amdhsa_named_barrier_count 0
		.amdhsa_reserve_vcc 1
		.amdhsa_float_round_mode_32 0
		.amdhsa_float_round_mode_16_64 0
		.amdhsa_float_denorm_mode_32 3
		.amdhsa_float_denorm_mode_16_64 3
		.amdhsa_fp16_overflow 0
		.amdhsa_memory_ordered 1
		.amdhsa_forward_progress 1
		.amdhsa_inst_pref_size 11
		.amdhsa_round_robin_scheduling 0
		.amdhsa_exception_fp_ieee_invalid_op 0
		.amdhsa_exception_fp_denorm_src 0
		.amdhsa_exception_fp_ieee_div_zero 0
		.amdhsa_exception_fp_ieee_overflow 0
		.amdhsa_exception_fp_ieee_underflow 0
		.amdhsa_exception_fp_ieee_inexact 0
		.amdhsa_exception_int_div_zero 0
	.end_amdhsa_kernel
	.section	.text._ZN2at6native12_GLOBAL__N_125multi_tensor_apply_kernelINS1_18TensorListMetadataILi1EEENS1_14UnaryOpFunctorIiLi1ELi1ELi0EEEJNS0_3AbsIiEEEEEvT_T0_DpT1_,"axG",@progbits,_ZN2at6native12_GLOBAL__N_125multi_tensor_apply_kernelINS1_18TensorListMetadataILi1EEENS1_14UnaryOpFunctorIiLi1ELi1ELi0EEEJNS0_3AbsIiEEEEEvT_T0_DpT1_,comdat
.Lfunc_end341:
	.size	_ZN2at6native12_GLOBAL__N_125multi_tensor_apply_kernelINS1_18TensorListMetadataILi1EEENS1_14UnaryOpFunctorIiLi1ELi1ELi0EEEJNS0_3AbsIiEEEEEvT_T0_DpT1_, .Lfunc_end341-_ZN2at6native12_GLOBAL__N_125multi_tensor_apply_kernelINS1_18TensorListMetadataILi1EEENS1_14UnaryOpFunctorIiLi1ELi1ELi0EEEJNS0_3AbsIiEEEEEvT_T0_DpT1_
                                        ; -- End function
	.set _ZN2at6native12_GLOBAL__N_125multi_tensor_apply_kernelINS1_18TensorListMetadataILi1EEENS1_14UnaryOpFunctorIiLi1ELi1ELi0EEEJNS0_3AbsIiEEEEEvT_T0_DpT1_.num_vgpr, 28
	.set _ZN2at6native12_GLOBAL__N_125multi_tensor_apply_kernelINS1_18TensorListMetadataILi1EEENS1_14UnaryOpFunctorIiLi1ELi1ELi0EEEJNS0_3AbsIiEEEEEvT_T0_DpT1_.num_agpr, 0
	.set _ZN2at6native12_GLOBAL__N_125multi_tensor_apply_kernelINS1_18TensorListMetadataILi1EEENS1_14UnaryOpFunctorIiLi1ELi1ELi0EEEJNS0_3AbsIiEEEEEvT_T0_DpT1_.numbered_sgpr, 22
	.set _ZN2at6native12_GLOBAL__N_125multi_tensor_apply_kernelINS1_18TensorListMetadataILi1EEENS1_14UnaryOpFunctorIiLi1ELi1ELi0EEEJNS0_3AbsIiEEEEEvT_T0_DpT1_.num_named_barrier, 0
	.set _ZN2at6native12_GLOBAL__N_125multi_tensor_apply_kernelINS1_18TensorListMetadataILi1EEENS1_14UnaryOpFunctorIiLi1ELi1ELi0EEEJNS0_3AbsIiEEEEEvT_T0_DpT1_.private_seg_size, 0
	.set _ZN2at6native12_GLOBAL__N_125multi_tensor_apply_kernelINS1_18TensorListMetadataILi1EEENS1_14UnaryOpFunctorIiLi1ELi1ELi0EEEJNS0_3AbsIiEEEEEvT_T0_DpT1_.uses_vcc, 1
	.set _ZN2at6native12_GLOBAL__N_125multi_tensor_apply_kernelINS1_18TensorListMetadataILi1EEENS1_14UnaryOpFunctorIiLi1ELi1ELi0EEEJNS0_3AbsIiEEEEEvT_T0_DpT1_.uses_flat_scratch, 0
	.set _ZN2at6native12_GLOBAL__N_125multi_tensor_apply_kernelINS1_18TensorListMetadataILi1EEENS1_14UnaryOpFunctorIiLi1ELi1ELi0EEEJNS0_3AbsIiEEEEEvT_T0_DpT1_.has_dyn_sized_stack, 0
	.set _ZN2at6native12_GLOBAL__N_125multi_tensor_apply_kernelINS1_18TensorListMetadataILi1EEENS1_14UnaryOpFunctorIiLi1ELi1ELi0EEEJNS0_3AbsIiEEEEEvT_T0_DpT1_.has_recursion, 0
	.set _ZN2at6native12_GLOBAL__N_125multi_tensor_apply_kernelINS1_18TensorListMetadataILi1EEENS1_14UnaryOpFunctorIiLi1ELi1ELi0EEEJNS0_3AbsIiEEEEEvT_T0_DpT1_.has_indirect_call, 0
	.section	.AMDGPU.csdata,"",@progbits
; Kernel info:
; codeLenInByte = 1360
; TotalNumSgprs: 24
; NumVgprs: 28
; ScratchSize: 0
; MemoryBound: 0
; FloatMode: 240
; IeeeMode: 1
; LDSByteSize: 0 bytes/workgroup (compile time only)
; SGPRBlocks: 0
; VGPRBlocks: 1
; NumSGPRsForWavesPerEU: 24
; NumVGPRsForWavesPerEU: 28
; NamedBarCnt: 0
; Occupancy: 16
; WaveLimiterHint : 0
; COMPUTE_PGM_RSRC2:SCRATCH_EN: 0
; COMPUTE_PGM_RSRC2:USER_SGPR: 2
; COMPUTE_PGM_RSRC2:TRAP_HANDLER: 0
; COMPUTE_PGM_RSRC2:TGID_X_EN: 1
; COMPUTE_PGM_RSRC2:TGID_Y_EN: 0
; COMPUTE_PGM_RSRC2:TGID_Z_EN: 0
; COMPUTE_PGM_RSRC2:TIDIG_COMP_CNT: 0
	.section	.text._ZN2at6native12_GLOBAL__N_125multi_tensor_apply_kernelINS1_18TensorListMetadataILi1EEENS1_14UnaryOpFunctorIlLi1ELi1ELi0EEEJNS0_3AbsIlEEEEEvT_T0_DpT1_,"axG",@progbits,_ZN2at6native12_GLOBAL__N_125multi_tensor_apply_kernelINS1_18TensorListMetadataILi1EEENS1_14UnaryOpFunctorIlLi1ELi1ELi0EEEJNS0_3AbsIlEEEEEvT_T0_DpT1_,comdat
	.globl	_ZN2at6native12_GLOBAL__N_125multi_tensor_apply_kernelINS1_18TensorListMetadataILi1EEENS1_14UnaryOpFunctorIlLi1ELi1ELi0EEEJNS0_3AbsIlEEEEEvT_T0_DpT1_ ; -- Begin function _ZN2at6native12_GLOBAL__N_125multi_tensor_apply_kernelINS1_18TensorListMetadataILi1EEENS1_14UnaryOpFunctorIlLi1ELi1ELi0EEEJNS0_3AbsIlEEEEEvT_T0_DpT1_
	.p2align	8
	.type	_ZN2at6native12_GLOBAL__N_125multi_tensor_apply_kernelINS1_18TensorListMetadataILi1EEENS1_14UnaryOpFunctorIlLi1ELi1ELi0EEEJNS0_3AbsIlEEEEEvT_T0_DpT1_,@function
_ZN2at6native12_GLOBAL__N_125multi_tensor_apply_kernelINS1_18TensorListMetadataILi1EEENS1_14UnaryOpFunctorIlLi1ELi1ELi0EEEJNS0_3AbsIlEEEEEvT_T0_DpT1_: ; @_ZN2at6native12_GLOBAL__N_125multi_tensor_apply_kernelINS1_18TensorListMetadataILi1EEENS1_14UnaryOpFunctorIlLi1ELi1ELi0EEEJNS0_3AbsIlEEEEEvT_T0_DpT1_
; %bb.0:
	s_bfe_u32 s2, ttmp6, 0x4000c
	s_and_b32 s3, ttmp6, 15
	s_add_co_i32 s2, s2, 1
	s_getreg_b32 s4, hwreg(HW_REG_IB_STS2, 6, 4)
	s_mul_i32 s2, ttmp9, s2
	s_delay_alu instid0(SALU_CYCLE_1)
	s_add_co_i32 s3, s3, s2
	s_cmp_eq_u32 s4, 0
	s_cselect_b32 s2, ttmp9, s3
	s_mov_b32 s3, 0
	s_load_u8 s8, s[0:1], s2 offset:0x6e0
	s_add_nc_u64 s[4:5], s[0:1], s[2:3]
	s_mul_u64 s[6:7], s[2:3], 3
	s_delay_alu instid0(SALU_CYCLE_1)
	s_add_nc_u64 s[4:5], s[4:5], s[6:7]
	s_load_b32 s10, s[4:5], 0x820
	s_wait_kmcnt 0x0
	s_clause 0x1
	s_load_b64 s[6:7], s[0:1], s8 offset:0x0 scale_offset
	s_load_b64 s[12:13], s[0:1], s8 offset:0x370 scale_offset
	s_ashr_i32 s11, s10, 31
	s_wait_kmcnt 0x0
	s_and_b64 s[4:5], s[6:7], 31
	s_and_b32 s2, s12, 3
	s_lshl_b64 s[8:9], s[10:11], 19
	s_or_b64 s[2:3], s[4:5], s[2:3]
	s_lshl_b64 s[4:5], s[10:11], 16
	s_cmp_eq_u64 s[2:3], 0
	s_sub_nc_u64 s[10:11], s[12:13], s[4:5]
	s_cbranch_scc1 .LBB342_21
; %bb.1:
	v_cmp_lt_i64_e64 s2, s[10:11], 1
	s_and_b32 vcc_lo, exec_lo, s2
	s_cbranch_vccnz .LBB342_20
; %bb.2:
	s_load_b32 s4, s[0:1], 0xd3c
	v_min_i64 v[2:3], 0x10000, s[10:11]
	v_min_u64 v[4:5], 0x10000, s[10:11]
	v_dual_mov_b32 v1, 0 :: v_dual_lshlrev_b32 v8, 3, v0
	s_mov_b32 s19, 0
	s_add_nc_u64 s[2:3], s[6:7], s[8:9]
	s_mov_b32 s5, s19
	s_delay_alu instid0(VALU_DEP_1)
	v_mov_b32_e32 v15, v1
	s_mov_b32 s17, s19
	s_mov_b32 s13, s19
	;; [unrolled: 1-line block ×3, first 2 shown]
	s_mov_b64 s[20:21], 0
	s_wait_kmcnt 0x0
	s_and_b32 s18, s4, 0xffff
	s_delay_alu instid0(SALU_CYCLE_1)
	v_add_nc_u64_e32 v[6:7], s[18:19], v[0:1]
	v_mov_b32_e32 v9, v1
	s_lshl_b32 s4, s18, 1
	s_mul_i32 s16, s18, 3
	v_add_nc_u64_e32 v[12:13], s[4:5], v[0:1]
	v_add_nc_u64_e32 v[10:11], s[16:17], v[0:1]
	s_lshl_b32 s12, s18, 2
	v_lshlrev_b32_e32 v14, 3, v6
	v_add_nc_u64_e32 v[8:9], s[2:3], v[8:9]
	s_lshl_b32 s14, s18, 5
	s_mul_u64 s[16:17], s[18:19], 24
	s_lshl_b32 s18, s18, 4
	v_add_nc_u64_e32 v[14:15], s[2:3], v[14:15]
	s_branch .LBB342_4
.LBB342_3:                              ;   in Loop: Header=BB342_4 Depth=1
	s_wait_xcnt 0x0
	s_or_b32 exec_lo, exec_lo, s2
	s_add_nc_u64 s[20:21], s[20:21], s[12:13]
	v_add_nc_u64_e32 v[8:9], s[14:15], v[8:9]
	v_cmp_lt_i64_e32 vcc_lo, s[20:21], v[2:3]
	v_add_nc_u64_e32 v[14:15], s[14:15], v[14:15]
	s_cbranch_vccz .LBB342_20
.LBB342_4:                              ; =>This Inner Loop Header: Depth=1
	v_add_nc_u64_e32 v[18:19], s[20:21], v[0:1]
	v_mov_b64_e32 v[16:17], 0
	s_delay_alu instid0(VALU_DEP_2)
	v_cmp_lt_u64_e32 vcc_lo, v[18:19], v[4:5]
	v_mov_b64_e32 v[18:19], 0
	s_and_saveexec_b32 s2, vcc_lo
	s_cbranch_execz .LBB342_6
; %bb.5:                                ;   in Loop: Header=BB342_4 Depth=1
	global_load_b64 v[18:19], v[8:9], off
	s_wait_loadcnt 0x0
	v_sub_nc_u64_e32 v[20:21], 0, v[18:19]
	s_delay_alu instid0(VALU_DEP_1)
	v_max_i64 v[18:19], v[18:19], v[20:21]
.LBB342_6:                              ;   in Loop: Header=BB342_4 Depth=1
	s_wait_xcnt 0x0
	s_or_b32 exec_lo, exec_lo, s2
	v_add_nc_u64_e32 v[20:21], s[20:21], v[6:7]
	s_delay_alu instid0(VALU_DEP_1)
	v_cmp_lt_u64_e64 s2, v[20:21], v[4:5]
	s_and_saveexec_b32 s3, s2
	s_cbranch_execz .LBB342_8
; %bb.7:                                ;   in Loop: Header=BB342_4 Depth=1
	global_load_b64 v[16:17], v[14:15], off
	s_wait_loadcnt 0x0
	v_sub_nc_u64_e32 v[20:21], 0, v[16:17]
	s_delay_alu instid0(VALU_DEP_1)
	v_max_i64 v[16:17], v[16:17], v[20:21]
.LBB342_8:                              ;   in Loop: Header=BB342_4 Depth=1
	s_wait_xcnt 0x0
	s_or_b32 exec_lo, exec_lo, s3
	v_add_nc_u64_e32 v[24:25], s[20:21], v[12:13]
	v_mov_b64_e32 v[20:21], 0
	v_add_nc_u64_e32 v[22:23], s[18:19], v[8:9]
	s_delay_alu instid0(VALU_DEP_3)
	v_cmp_lt_u64_e64 s3, v[24:25], v[4:5]
	v_mov_b64_e32 v[24:25], 0
	s_and_saveexec_b32 s4, s3
	s_cbranch_execz .LBB342_10
; %bb.9:                                ;   in Loop: Header=BB342_4 Depth=1
	global_load_b64 v[24:25], v[22:23], off
	s_wait_loadcnt 0x0
	v_sub_nc_u64_e32 v[26:27], 0, v[24:25]
	s_delay_alu instid0(VALU_DEP_1)
	v_max_i64 v[24:25], v[24:25], v[26:27]
.LBB342_10:                             ;   in Loop: Header=BB342_4 Depth=1
	s_wait_xcnt 0x0
	s_or_b32 exec_lo, exec_lo, s4
	v_add_nc_u64_e32 v[26:27], s[20:21], v[10:11]
	s_delay_alu instid0(VALU_DEP_1)
	v_cmp_lt_u64_e64 s4, v[26:27], v[4:5]
	v_add_nc_u64_e32 v[26:27], s[16:17], v[8:9]
	s_and_saveexec_b32 s5, s4
	s_cbranch_execnz .LBB342_15
; %bb.11:                               ;   in Loop: Header=BB342_4 Depth=1
	s_or_b32 exec_lo, exec_lo, s5
	s_and_saveexec_b32 s5, vcc_lo
	s_cbranch_execnz .LBB342_16
.LBB342_12:                             ;   in Loop: Header=BB342_4 Depth=1
	s_or_b32 exec_lo, exec_lo, s5
	s_and_saveexec_b32 s5, s2
	s_cbranch_execnz .LBB342_17
.LBB342_13:                             ;   in Loop: Header=BB342_4 Depth=1
	s_or_b32 exec_lo, exec_lo, s5
	s_and_saveexec_b32 s2, s3
	s_cbranch_execnz .LBB342_18
.LBB342_14:                             ;   in Loop: Header=BB342_4 Depth=1
	s_or_b32 exec_lo, exec_lo, s2
	s_and_saveexec_b32 s2, s4
	s_cbranch_execz .LBB342_3
	s_branch .LBB342_19
.LBB342_15:                             ;   in Loop: Header=BB342_4 Depth=1
	global_load_b64 v[20:21], v[26:27], off
	s_wait_loadcnt 0x0
	v_sub_nc_u64_e32 v[28:29], 0, v[20:21]
	s_delay_alu instid0(VALU_DEP_1)
	v_max_i64 v[20:21], v[20:21], v[28:29]
	s_wait_xcnt 0x0
	s_or_b32 exec_lo, exec_lo, s5
	s_and_saveexec_b32 s5, vcc_lo
	s_cbranch_execz .LBB342_12
.LBB342_16:                             ;   in Loop: Header=BB342_4 Depth=1
	global_store_b64 v[8:9], v[18:19], off
	s_wait_xcnt 0x0
	s_or_b32 exec_lo, exec_lo, s5
	s_and_saveexec_b32 s5, s2
	s_cbranch_execz .LBB342_13
.LBB342_17:                             ;   in Loop: Header=BB342_4 Depth=1
	global_store_b64 v[14:15], v[16:17], off
	s_wait_xcnt 0x0
	s_or_b32 exec_lo, exec_lo, s5
	s_and_saveexec_b32 s2, s3
	s_cbranch_execz .LBB342_14
.LBB342_18:                             ;   in Loop: Header=BB342_4 Depth=1
	global_store_b64 v[22:23], v[24:25], off
	s_wait_xcnt 0x0
	s_or_b32 exec_lo, exec_lo, s2
	s_and_saveexec_b32 s2, s4
	s_cbranch_execz .LBB342_3
.LBB342_19:                             ;   in Loop: Header=BB342_4 Depth=1
	global_store_b64 v[26:27], v[20:21], off
	s_branch .LBB342_3
.LBB342_20:
	s_cbranch_execz .LBB342_22
	s_branch .LBB342_25
.LBB342_21:
.LBB342_22:
	v_min_i64 v[2:3], 0x10000, s[10:11]
	v_dual_mov_b32 v5, 0 :: v_dual_lshlrev_b32 v4, 2, v0
	s_mov_b32 s2, exec_lo
	s_delay_alu instid0(VALU_DEP_1)
	v_cmpx_lt_i64_e64 v[4:5], v[2:3]
	s_cbranch_execz .LBB342_25
; %bb.23:
	s_load_b32 s2, s[0:1], 0xd3c
	v_dual_mov_b32 v1, v5 :: v_dual_lshlrev_b32 v4, 5, v0
	s_wait_xcnt 0x0
	s_add_nc_u64 s[0:1], s[6:7], s[8:9]
	s_delay_alu instid0(VALU_DEP_1) | instid1(SALU_CYCLE_1)
	v_add_nc_u64_e32 v[6:7], s[0:1], v[4:5]
	s_mov_b32 s1, 0
	s_delay_alu instid0(SALU_CYCLE_1) | instskip(SKIP_1) | instid1(VALU_DEP_1)
	s_mov_b32 s3, s1
	s_mov_b32 s4, s1
	v_add_nc_u64_e32 v[4:5], 16, v[6:7]
	s_wait_kmcnt 0x0
	s_and_b32 s0, s2, 0xffff
	s_delay_alu instid0(SALU_CYCLE_1)
	s_lshl_b32 s2, s0, 5
.LBB342_24:                             ; =>This Inner Loop Header: Depth=1
	s_clause 0x1
	global_load_b128 v[6:9], v[4:5], off offset:-16
	global_load_b128 v[10:13], v[4:5], off
	v_add_nc_u64_e32 v[0:1], s[0:1], v[0:1]
	s_wait_loadcnt 0x1
	v_sub_nc_u64_e32 v[14:15], 0, v[6:7]
	v_sub_nc_u64_e32 v[16:17], 0, v[8:9]
	s_wait_loadcnt 0x0
	v_sub_nc_u64_e32 v[18:19], 0, v[10:11]
	v_sub_nc_u64_e32 v[20:21], 0, v[12:13]
	s_delay_alu instid0(VALU_DEP_4) | instskip(NEXT) | instid1(VALU_DEP_4)
	v_max_i64 v[6:7], v[6:7], v[14:15]
	v_max_i64 v[8:9], v[8:9], v[16:17]
	s_delay_alu instid0(VALU_DEP_4) | instskip(NEXT) | instid1(VALU_DEP_4)
	v_max_i64 v[10:11], v[10:11], v[18:19]
	v_max_i64 v[12:13], v[12:13], v[20:21]
	v_lshlrev_b64_e32 v[14:15], 2, v[0:1]
	s_clause 0x1
	global_store_b128 v[4:5], v[6:9], off offset:-16
	global_store_b128 v[4:5], v[10:13], off
	v_cmp_ge_i64_e32 vcc_lo, v[14:15], v[2:3]
	s_wait_xcnt 0x0
	v_add_nc_u64_e32 v[4:5], s[2:3], v[4:5]
	s_or_b32 s4, vcc_lo, s4
	s_delay_alu instid0(SALU_CYCLE_1)
	s_and_not1_b32 exec_lo, exec_lo, s4
	s_cbranch_execnz .LBB342_24
.LBB342_25:
	s_endpgm
	.section	.rodata,"a",@progbits
	.p2align	6, 0x0
	.amdhsa_kernel _ZN2at6native12_GLOBAL__N_125multi_tensor_apply_kernelINS1_18TensorListMetadataILi1EEENS1_14UnaryOpFunctorIlLi1ELi1ELi0EEEJNS0_3AbsIlEEEEEvT_T0_DpT1_
		.amdhsa_group_segment_fixed_size 0
		.amdhsa_private_segment_fixed_size 0
		.amdhsa_kernarg_size 3632
		.amdhsa_user_sgpr_count 2
		.amdhsa_user_sgpr_dispatch_ptr 0
		.amdhsa_user_sgpr_queue_ptr 0
		.amdhsa_user_sgpr_kernarg_segment_ptr 1
		.amdhsa_user_sgpr_dispatch_id 0
		.amdhsa_user_sgpr_kernarg_preload_length 0
		.amdhsa_user_sgpr_kernarg_preload_offset 0
		.amdhsa_user_sgpr_private_segment_size 0
		.amdhsa_wavefront_size32 1
		.amdhsa_uses_dynamic_stack 0
		.amdhsa_enable_private_segment 0
		.amdhsa_system_sgpr_workgroup_id_x 1
		.amdhsa_system_sgpr_workgroup_id_y 0
		.amdhsa_system_sgpr_workgroup_id_z 0
		.amdhsa_system_sgpr_workgroup_info 0
		.amdhsa_system_vgpr_workitem_id 0
		.amdhsa_next_free_vgpr 30
		.amdhsa_next_free_sgpr 22
		.amdhsa_named_barrier_count 0
		.amdhsa_reserve_vcc 1
		.amdhsa_float_round_mode_32 0
		.amdhsa_float_round_mode_16_64 0
		.amdhsa_float_denorm_mode_32 3
		.amdhsa_float_denorm_mode_16_64 3
		.amdhsa_fp16_overflow 0
		.amdhsa_memory_ordered 1
		.amdhsa_forward_progress 1
		.amdhsa_inst_pref_size 9
		.amdhsa_round_robin_scheduling 0
		.amdhsa_exception_fp_ieee_invalid_op 0
		.amdhsa_exception_fp_denorm_src 0
		.amdhsa_exception_fp_ieee_div_zero 0
		.amdhsa_exception_fp_ieee_overflow 0
		.amdhsa_exception_fp_ieee_underflow 0
		.amdhsa_exception_fp_ieee_inexact 0
		.amdhsa_exception_int_div_zero 0
	.end_amdhsa_kernel
	.section	.text._ZN2at6native12_GLOBAL__N_125multi_tensor_apply_kernelINS1_18TensorListMetadataILi1EEENS1_14UnaryOpFunctorIlLi1ELi1ELi0EEEJNS0_3AbsIlEEEEEvT_T0_DpT1_,"axG",@progbits,_ZN2at6native12_GLOBAL__N_125multi_tensor_apply_kernelINS1_18TensorListMetadataILi1EEENS1_14UnaryOpFunctorIlLi1ELi1ELi0EEEJNS0_3AbsIlEEEEEvT_T0_DpT1_,comdat
.Lfunc_end342:
	.size	_ZN2at6native12_GLOBAL__N_125multi_tensor_apply_kernelINS1_18TensorListMetadataILi1EEENS1_14UnaryOpFunctorIlLi1ELi1ELi0EEEJNS0_3AbsIlEEEEEvT_T0_DpT1_, .Lfunc_end342-_ZN2at6native12_GLOBAL__N_125multi_tensor_apply_kernelINS1_18TensorListMetadataILi1EEENS1_14UnaryOpFunctorIlLi1ELi1ELi0EEEJNS0_3AbsIlEEEEEvT_T0_DpT1_
                                        ; -- End function
	.set _ZN2at6native12_GLOBAL__N_125multi_tensor_apply_kernelINS1_18TensorListMetadataILi1EEENS1_14UnaryOpFunctorIlLi1ELi1ELi0EEEJNS0_3AbsIlEEEEEvT_T0_DpT1_.num_vgpr, 30
	.set _ZN2at6native12_GLOBAL__N_125multi_tensor_apply_kernelINS1_18TensorListMetadataILi1EEENS1_14UnaryOpFunctorIlLi1ELi1ELi0EEEJNS0_3AbsIlEEEEEvT_T0_DpT1_.num_agpr, 0
	.set _ZN2at6native12_GLOBAL__N_125multi_tensor_apply_kernelINS1_18TensorListMetadataILi1EEENS1_14UnaryOpFunctorIlLi1ELi1ELi0EEEJNS0_3AbsIlEEEEEvT_T0_DpT1_.numbered_sgpr, 22
	.set _ZN2at6native12_GLOBAL__N_125multi_tensor_apply_kernelINS1_18TensorListMetadataILi1EEENS1_14UnaryOpFunctorIlLi1ELi1ELi0EEEJNS0_3AbsIlEEEEEvT_T0_DpT1_.num_named_barrier, 0
	.set _ZN2at6native12_GLOBAL__N_125multi_tensor_apply_kernelINS1_18TensorListMetadataILi1EEENS1_14UnaryOpFunctorIlLi1ELi1ELi0EEEJNS0_3AbsIlEEEEEvT_T0_DpT1_.private_seg_size, 0
	.set _ZN2at6native12_GLOBAL__N_125multi_tensor_apply_kernelINS1_18TensorListMetadataILi1EEENS1_14UnaryOpFunctorIlLi1ELi1ELi0EEEJNS0_3AbsIlEEEEEvT_T0_DpT1_.uses_vcc, 1
	.set _ZN2at6native12_GLOBAL__N_125multi_tensor_apply_kernelINS1_18TensorListMetadataILi1EEENS1_14UnaryOpFunctorIlLi1ELi1ELi0EEEJNS0_3AbsIlEEEEEvT_T0_DpT1_.uses_flat_scratch, 0
	.set _ZN2at6native12_GLOBAL__N_125multi_tensor_apply_kernelINS1_18TensorListMetadataILi1EEENS1_14UnaryOpFunctorIlLi1ELi1ELi0EEEJNS0_3AbsIlEEEEEvT_T0_DpT1_.has_dyn_sized_stack, 0
	.set _ZN2at6native12_GLOBAL__N_125multi_tensor_apply_kernelINS1_18TensorListMetadataILi1EEENS1_14UnaryOpFunctorIlLi1ELi1ELi0EEEJNS0_3AbsIlEEEEEvT_T0_DpT1_.has_recursion, 0
	.set _ZN2at6native12_GLOBAL__N_125multi_tensor_apply_kernelINS1_18TensorListMetadataILi1EEENS1_14UnaryOpFunctorIlLi1ELi1ELi0EEEJNS0_3AbsIlEEEEEvT_T0_DpT1_.has_indirect_call, 0
	.section	.AMDGPU.csdata,"",@progbits
; Kernel info:
; codeLenInByte = 1048
; TotalNumSgprs: 24
; NumVgprs: 30
; ScratchSize: 0
; MemoryBound: 1
; FloatMode: 240
; IeeeMode: 1
; LDSByteSize: 0 bytes/workgroup (compile time only)
; SGPRBlocks: 0
; VGPRBlocks: 1
; NumSGPRsForWavesPerEU: 24
; NumVGPRsForWavesPerEU: 30
; NamedBarCnt: 0
; Occupancy: 16
; WaveLimiterHint : 0
; COMPUTE_PGM_RSRC2:SCRATCH_EN: 0
; COMPUTE_PGM_RSRC2:USER_SGPR: 2
; COMPUTE_PGM_RSRC2:TRAP_HANDLER: 0
; COMPUTE_PGM_RSRC2:TGID_X_EN: 1
; COMPUTE_PGM_RSRC2:TGID_Y_EN: 0
; COMPUTE_PGM_RSRC2:TGID_Z_EN: 0
; COMPUTE_PGM_RSRC2:TIDIG_COMP_CNT: 0
	.section	.text._ZN2at6native12_GLOBAL__N_125multi_tensor_apply_kernelINS1_18TensorListMetadataILi1EEENS1_14UnaryOpFunctorIsLi1ELi1ELi0EEEJNS0_3AbsIsEEEEEvT_T0_DpT1_,"axG",@progbits,_ZN2at6native12_GLOBAL__N_125multi_tensor_apply_kernelINS1_18TensorListMetadataILi1EEENS1_14UnaryOpFunctorIsLi1ELi1ELi0EEEJNS0_3AbsIsEEEEEvT_T0_DpT1_,comdat
	.globl	_ZN2at6native12_GLOBAL__N_125multi_tensor_apply_kernelINS1_18TensorListMetadataILi1EEENS1_14UnaryOpFunctorIsLi1ELi1ELi0EEEJNS0_3AbsIsEEEEEvT_T0_DpT1_ ; -- Begin function _ZN2at6native12_GLOBAL__N_125multi_tensor_apply_kernelINS1_18TensorListMetadataILi1EEENS1_14UnaryOpFunctorIsLi1ELi1ELi0EEEJNS0_3AbsIsEEEEEvT_T0_DpT1_
	.p2align	8
	.type	_ZN2at6native12_GLOBAL__N_125multi_tensor_apply_kernelINS1_18TensorListMetadataILi1EEENS1_14UnaryOpFunctorIsLi1ELi1ELi0EEEJNS0_3AbsIsEEEEEvT_T0_DpT1_,@function
_ZN2at6native12_GLOBAL__N_125multi_tensor_apply_kernelINS1_18TensorListMetadataILi1EEENS1_14UnaryOpFunctorIsLi1ELi1ELi0EEEJNS0_3AbsIsEEEEEvT_T0_DpT1_: ; @_ZN2at6native12_GLOBAL__N_125multi_tensor_apply_kernelINS1_18TensorListMetadataILi1EEENS1_14UnaryOpFunctorIsLi1ELi1ELi0EEEJNS0_3AbsIsEEEEEvT_T0_DpT1_
; %bb.0:
	s_bfe_u32 s2, ttmp6, 0x4000c
	s_and_b32 s3, ttmp6, 15
	s_add_co_i32 s2, s2, 1
	s_getreg_b32 s4, hwreg(HW_REG_IB_STS2, 6, 4)
	s_mul_i32 s2, ttmp9, s2
	s_delay_alu instid0(SALU_CYCLE_1)
	s_add_co_i32 s3, s3, s2
	s_cmp_eq_u32 s4, 0
	s_cselect_b32 s2, ttmp9, s3
	s_mov_b32 s3, 0
	s_load_u8 s8, s[0:1], s2 offset:0x6e0
	s_add_nc_u64 s[4:5], s[0:1], s[2:3]
	s_mul_u64 s[6:7], s[2:3], 3
	s_delay_alu instid0(SALU_CYCLE_1)
	s_add_nc_u64 s[4:5], s[4:5], s[6:7]
	s_load_b32 s10, s[4:5], 0x820
	s_wait_kmcnt 0x0
	s_clause 0x1
	s_load_b64 s[6:7], s[0:1], s8 offset:0x0 scale_offset
	s_load_b64 s[12:13], s[0:1], s8 offset:0x370 scale_offset
	s_ashr_i32 s11, s10, 31
	s_wait_kmcnt 0x0
	s_and_b64 s[4:5], s[6:7], 7
	s_and_b32 s2, s12, 3
	s_lshl_b64 s[8:9], s[10:11], 17
	s_or_b64 s[2:3], s[4:5], s[2:3]
	s_lshl_b64 s[4:5], s[10:11], 16
	s_cmp_eq_u64 s[2:3], 0
	s_sub_nc_u64 s[10:11], s[12:13], s[4:5]
	s_cbranch_scc1 .LBB343_21
; %bb.1:
	v_cmp_lt_i64_e64 s2, s[10:11], 1
	s_and_b32 vcc_lo, exec_lo, s2
	s_cbranch_vccnz .LBB343_20
; %bb.2:
	s_load_b32 s2, s[0:1], 0xd3c
	v_min_i64 v[2:3], 0x10000, s[10:11]
	v_min_u64 v[4:5], 0x10000, s[10:11]
	v_dual_mov_b32 v1, 0 :: v_dual_lshlrev_b32 v8, 1, v0
	s_mov_b32 s3, 0
	s_add_nc_u64 s[4:5], s[6:7], s[8:9]
	s_mov_b32 s17, s3
	s_delay_alu instid0(VALU_DEP_1)
	v_dual_mov_b32 v15, v1 :: v_dual_mov_b32 v16, v1
	s_mov_b32 s19, s3
	v_mov_b32_e32 v17, v1
	s_mov_b32 s13, s3
	s_mov_b32 s15, s3
	s_wait_kmcnt 0x0
	s_and_b32 s2, s2, 0xffff
	s_delay_alu instid0(SALU_CYCLE_1)
	v_add_nc_u64_e32 v[6:7], s[2:3], v[0:1]
	v_mov_b32_e32 v9, v1
	s_lshl_b32 s16, s2, 1
	s_mul_i32 s18, s2, 3
	v_add_nc_u64_e32 v[12:13], s[16:17], v[0:1]
	v_add_nc_u64_e32 v[10:11], s[18:19], v[0:1]
	s_lshl_b32 s12, s2, 2
	v_lshlrev_b32_e32 v14, 1, v6
	v_add_nc_u64_e32 v[8:9], s[4:5], v[8:9]
	s_lshl_b32 s14, s2, 3
	s_mul_u64 s[16:17], s[2:3], 6
	s_mov_b64 s[18:19], 0
	v_add_nc_u64_e32 v[14:15], s[4:5], v[14:15]
	s_branch .LBB343_4
.LBB343_3:                              ;   in Loop: Header=BB343_4 Depth=1
	s_wait_xcnt 0x0
	s_or_b32 exec_lo, exec_lo, s2
	s_add_nc_u64 s[18:19], s[18:19], s[12:13]
	v_add_nc_u64_e32 v[8:9], s[14:15], v[8:9]
	v_cmp_lt_i64_e32 vcc_lo, s[18:19], v[2:3]
	v_add_nc_u64_e32 v[14:15], s[14:15], v[14:15]
	s_cbranch_vccz .LBB343_20
.LBB343_4:                              ; =>This Inner Loop Header: Depth=1
	v_add_nc_u64_e32 v[18:19], s[18:19], v[0:1]
	v_and_b32_e32 v16, 0xffff0000, v16
	s_delay_alu instid0(VALU_DEP_2)
	v_cmp_lt_u64_e32 vcc_lo, v[18:19], v[4:5]
	s_and_saveexec_b32 s2, vcc_lo
	s_cbranch_execz .LBB343_6
; %bb.5:                                ;   in Loop: Header=BB343_4 Depth=1
	global_load_u16 v18, v[8:9], off
	s_wait_loadcnt 0x0
	v_bfi_b32 v16, 0xffff, v18, v16
.LBB343_6:                              ;   in Loop: Header=BB343_4 Depth=1
	s_wait_xcnt 0x0
	s_or_b32 exec_lo, exec_lo, s2
	v_add_nc_u64_e32 v[18:19], s[18:19], v[6:7]
	s_delay_alu instid0(VALU_DEP_2) | instskip(NEXT) | instid1(VALU_DEP_2)
	v_and_b32_e32 v16, 0xffff, v16
	v_cmp_lt_u64_e64 s2, v[18:19], v[4:5]
	s_and_saveexec_b32 s3, s2
	s_cbranch_execz .LBB343_8
; %bb.7:                                ;   in Loop: Header=BB343_4 Depth=1
	global_load_u16 v18, v[14:15], off
	s_wait_loadcnt 0x0
	v_perm_b32 v16, v18, v16, 0x5040100
.LBB343_8:                              ;   in Loop: Header=BB343_4 Depth=1
	s_wait_xcnt 0x0
	s_or_b32 exec_lo, exec_lo, s3
	v_add_nc_u64_e32 v[18:19], s[18:19], v[12:13]
	v_and_b32_e32 v17, 0xffff0000, v17
	s_delay_alu instid0(VALU_DEP_2)
	v_cmp_lt_u64_e64 s3, v[18:19], v[4:5]
	v_add_nc_u64_e32 v[18:19], s[12:13], v[8:9]
	s_and_saveexec_b32 s4, s3
	s_cbranch_execz .LBB343_10
; %bb.9:                                ;   in Loop: Header=BB343_4 Depth=1
	global_load_u16 v20, v[18:19], off
	s_wait_loadcnt 0x0
	v_bfi_b32 v17, 0xffff, v20, v17
.LBB343_10:                             ;   in Loop: Header=BB343_4 Depth=1
	s_wait_xcnt 0x0
	s_or_b32 exec_lo, exec_lo, s4
	v_add_nc_u64_e32 v[20:21], s[18:19], v[10:11]
	s_delay_alu instid0(VALU_DEP_2) | instskip(NEXT) | instid1(VALU_DEP_2)
	v_and_b32_e32 v17, 0xffff, v17
	v_cmp_lt_u64_e64 s4, v[20:21], v[4:5]
	v_add_nc_u64_e32 v[20:21], s[16:17], v[8:9]
	s_and_saveexec_b32 s5, s4
	s_cbranch_execz .LBB343_12
; %bb.11:                               ;   in Loop: Header=BB343_4 Depth=1
	global_load_u16 v22, v[20:21], off
	s_wait_loadcnt 0x0
	v_perm_b32 v17, v22, v17, 0x5040100
.LBB343_12:                             ;   in Loop: Header=BB343_4 Depth=1
	s_wait_xcnt 0x0
	s_or_b32 exec_lo, exec_lo, s5
	s_delay_alu instid0(VALU_DEP_1) | instskip(SKIP_1) | instid1(VALU_DEP_2)
	v_pk_sub_i16 v22, 0, v17
	v_pk_sub_i16 v23, 0, v16
	v_pk_max_i16 v17, v17, v22
	s_delay_alu instid0(VALU_DEP_2)
	v_pk_max_i16 v16, v16, v23
	s_and_saveexec_b32 s5, vcc_lo
	s_cbranch_execnz .LBB343_16
; %bb.13:                               ;   in Loop: Header=BB343_4 Depth=1
	s_or_b32 exec_lo, exec_lo, s5
	s_and_saveexec_b32 s5, s2
	s_cbranch_execnz .LBB343_17
.LBB343_14:                             ;   in Loop: Header=BB343_4 Depth=1
	s_or_b32 exec_lo, exec_lo, s5
	s_and_saveexec_b32 s2, s3
	s_cbranch_execnz .LBB343_18
.LBB343_15:                             ;   in Loop: Header=BB343_4 Depth=1
	s_or_b32 exec_lo, exec_lo, s2
	s_and_saveexec_b32 s2, s4
	s_cbranch_execz .LBB343_3
	s_branch .LBB343_19
.LBB343_16:                             ;   in Loop: Header=BB343_4 Depth=1
	global_store_b16 v[8:9], v16, off
	s_wait_xcnt 0x0
	s_or_b32 exec_lo, exec_lo, s5
	s_and_saveexec_b32 s5, s2
	s_cbranch_execz .LBB343_14
.LBB343_17:                             ;   in Loop: Header=BB343_4 Depth=1
	global_store_d16_hi_b16 v[14:15], v16, off
	s_wait_xcnt 0x0
	s_or_b32 exec_lo, exec_lo, s5
	s_and_saveexec_b32 s2, s3
	s_cbranch_execz .LBB343_15
.LBB343_18:                             ;   in Loop: Header=BB343_4 Depth=1
	global_store_b16 v[18:19], v17, off
	s_wait_xcnt 0x0
	s_or_b32 exec_lo, exec_lo, s2
	s_and_saveexec_b32 s2, s4
	s_cbranch_execz .LBB343_3
.LBB343_19:                             ;   in Loop: Header=BB343_4 Depth=1
	global_store_d16_hi_b16 v[20:21], v17, off
	s_branch .LBB343_3
.LBB343_20:
	s_cbranch_execz .LBB343_22
	s_branch .LBB343_25
.LBB343_21:
.LBB343_22:
	v_min_i64 v[2:3], 0x10000, s[10:11]
	v_dual_mov_b32 v5, 0 :: v_dual_lshlrev_b32 v4, 2, v0
	s_mov_b32 s2, exec_lo
	s_delay_alu instid0(VALU_DEP_1)
	v_cmpx_lt_i64_e64 v[4:5], v[2:3]
	s_cbranch_execz .LBB343_25
; %bb.23:
	s_load_b32 s2, s[0:1], 0xd3c
	v_dual_mov_b32 v1, v5 :: v_dual_lshlrev_b32 v4, 3, v0
	s_wait_xcnt 0x0
	s_add_nc_u64 s[0:1], s[6:7], s[8:9]
	s_delay_alu instid0(VALU_DEP_1) | instid1(SALU_CYCLE_1)
	v_add_nc_u64_e32 v[4:5], s[0:1], v[4:5]
	s_mov_b32 s1, 0
	s_delay_alu instid0(SALU_CYCLE_1) | instskip(SKIP_3) | instid1(SALU_CYCLE_1)
	s_mov_b32 s3, s1
	s_mov_b32 s4, s1
	s_wait_kmcnt 0x0
	s_and_b32 s0, s2, 0xffff
	s_lshl_b32 s2, s0, 3
.LBB343_24:                             ; =>This Inner Loop Header: Depth=1
	global_load_b64 v[6:7], v[4:5], off
	v_add_nc_u64_e32 v[0:1], s[0:1], v[0:1]
	s_delay_alu instid0(VALU_DEP_1) | instskip(NEXT) | instid1(VALU_DEP_1)
	v_lshlrev_b64_e32 v[8:9], 2, v[0:1]
	v_cmp_ge_i64_e32 vcc_lo, v[8:9], v[2:3]
	s_or_b32 s4, vcc_lo, s4
	s_wait_loadcnt 0x0
	v_pk_sub_i16 v10, 0, v7
	v_pk_sub_i16 v11, 0, v6
	s_delay_alu instid0(VALU_DEP_2) | instskip(NEXT) | instid1(VALU_DEP_2)
	v_pk_max_i16 v7, v7, v10
	v_pk_max_i16 v6, v6, v11
	global_store_b64 v[4:5], v[6:7], off
	s_wait_xcnt 0x0
	v_add_nc_u64_e32 v[4:5], s[2:3], v[4:5]
	s_and_not1_b32 exec_lo, exec_lo, s4
	s_cbranch_execnz .LBB343_24
.LBB343_25:
	s_endpgm
	.section	.rodata,"a",@progbits
	.p2align	6, 0x0
	.amdhsa_kernel _ZN2at6native12_GLOBAL__N_125multi_tensor_apply_kernelINS1_18TensorListMetadataILi1EEENS1_14UnaryOpFunctorIsLi1ELi1ELi0EEEJNS0_3AbsIsEEEEEvT_T0_DpT1_
		.amdhsa_group_segment_fixed_size 0
		.amdhsa_private_segment_fixed_size 0
		.amdhsa_kernarg_size 3632
		.amdhsa_user_sgpr_count 2
		.amdhsa_user_sgpr_dispatch_ptr 0
		.amdhsa_user_sgpr_queue_ptr 0
		.amdhsa_user_sgpr_kernarg_segment_ptr 1
		.amdhsa_user_sgpr_dispatch_id 0
		.amdhsa_user_sgpr_kernarg_preload_length 0
		.amdhsa_user_sgpr_kernarg_preload_offset 0
		.amdhsa_user_sgpr_private_segment_size 0
		.amdhsa_wavefront_size32 1
		.amdhsa_uses_dynamic_stack 0
		.amdhsa_enable_private_segment 0
		.amdhsa_system_sgpr_workgroup_id_x 1
		.amdhsa_system_sgpr_workgroup_id_y 0
		.amdhsa_system_sgpr_workgroup_id_z 0
		.amdhsa_system_sgpr_workgroup_info 0
		.amdhsa_system_vgpr_workitem_id 0
		.amdhsa_next_free_vgpr 24
		.amdhsa_next_free_sgpr 20
		.amdhsa_named_barrier_count 0
		.amdhsa_reserve_vcc 1
		.amdhsa_float_round_mode_32 0
		.amdhsa_float_round_mode_16_64 0
		.amdhsa_float_denorm_mode_32 3
		.amdhsa_float_denorm_mode_16_64 3
		.amdhsa_fp16_overflow 0
		.amdhsa_memory_ordered 1
		.amdhsa_forward_progress 1
		.amdhsa_inst_pref_size 8
		.amdhsa_round_robin_scheduling 0
		.amdhsa_exception_fp_ieee_invalid_op 0
		.amdhsa_exception_fp_denorm_src 0
		.amdhsa_exception_fp_ieee_div_zero 0
		.amdhsa_exception_fp_ieee_overflow 0
		.amdhsa_exception_fp_ieee_underflow 0
		.amdhsa_exception_fp_ieee_inexact 0
		.amdhsa_exception_int_div_zero 0
	.end_amdhsa_kernel
	.section	.text._ZN2at6native12_GLOBAL__N_125multi_tensor_apply_kernelINS1_18TensorListMetadataILi1EEENS1_14UnaryOpFunctorIsLi1ELi1ELi0EEEJNS0_3AbsIsEEEEEvT_T0_DpT1_,"axG",@progbits,_ZN2at6native12_GLOBAL__N_125multi_tensor_apply_kernelINS1_18TensorListMetadataILi1EEENS1_14UnaryOpFunctorIsLi1ELi1ELi0EEEJNS0_3AbsIsEEEEEvT_T0_DpT1_,comdat
.Lfunc_end343:
	.size	_ZN2at6native12_GLOBAL__N_125multi_tensor_apply_kernelINS1_18TensorListMetadataILi1EEENS1_14UnaryOpFunctorIsLi1ELi1ELi0EEEJNS0_3AbsIsEEEEEvT_T0_DpT1_, .Lfunc_end343-_ZN2at6native12_GLOBAL__N_125multi_tensor_apply_kernelINS1_18TensorListMetadataILi1EEENS1_14UnaryOpFunctorIsLi1ELi1ELi0EEEJNS0_3AbsIsEEEEEvT_T0_DpT1_
                                        ; -- End function
	.set _ZN2at6native12_GLOBAL__N_125multi_tensor_apply_kernelINS1_18TensorListMetadataILi1EEENS1_14UnaryOpFunctorIsLi1ELi1ELi0EEEJNS0_3AbsIsEEEEEvT_T0_DpT1_.num_vgpr, 24
	.set _ZN2at6native12_GLOBAL__N_125multi_tensor_apply_kernelINS1_18TensorListMetadataILi1EEENS1_14UnaryOpFunctorIsLi1ELi1ELi0EEEJNS0_3AbsIsEEEEEvT_T0_DpT1_.num_agpr, 0
	.set _ZN2at6native12_GLOBAL__N_125multi_tensor_apply_kernelINS1_18TensorListMetadataILi1EEENS1_14UnaryOpFunctorIsLi1ELi1ELi0EEEJNS0_3AbsIsEEEEEvT_T0_DpT1_.numbered_sgpr, 20
	.set _ZN2at6native12_GLOBAL__N_125multi_tensor_apply_kernelINS1_18TensorListMetadataILi1EEENS1_14UnaryOpFunctorIsLi1ELi1ELi0EEEJNS0_3AbsIsEEEEEvT_T0_DpT1_.num_named_barrier, 0
	.set _ZN2at6native12_GLOBAL__N_125multi_tensor_apply_kernelINS1_18TensorListMetadataILi1EEENS1_14UnaryOpFunctorIsLi1ELi1ELi0EEEJNS0_3AbsIsEEEEEvT_T0_DpT1_.private_seg_size, 0
	.set _ZN2at6native12_GLOBAL__N_125multi_tensor_apply_kernelINS1_18TensorListMetadataILi1EEENS1_14UnaryOpFunctorIsLi1ELi1ELi0EEEJNS0_3AbsIsEEEEEvT_T0_DpT1_.uses_vcc, 1
	.set _ZN2at6native12_GLOBAL__N_125multi_tensor_apply_kernelINS1_18TensorListMetadataILi1EEENS1_14UnaryOpFunctorIsLi1ELi1ELi0EEEJNS0_3AbsIsEEEEEvT_T0_DpT1_.uses_flat_scratch, 0
	.set _ZN2at6native12_GLOBAL__N_125multi_tensor_apply_kernelINS1_18TensorListMetadataILi1EEENS1_14UnaryOpFunctorIsLi1ELi1ELi0EEEJNS0_3AbsIsEEEEEvT_T0_DpT1_.has_dyn_sized_stack, 0
	.set _ZN2at6native12_GLOBAL__N_125multi_tensor_apply_kernelINS1_18TensorListMetadataILi1EEENS1_14UnaryOpFunctorIsLi1ELi1ELi0EEEJNS0_3AbsIsEEEEEvT_T0_DpT1_.has_recursion, 0
	.set _ZN2at6native12_GLOBAL__N_125multi_tensor_apply_kernelINS1_18TensorListMetadataILi1EEENS1_14UnaryOpFunctorIsLi1ELi1ELi0EEEJNS0_3AbsIsEEEEEvT_T0_DpT1_.has_indirect_call, 0
	.section	.AMDGPU.csdata,"",@progbits
; Kernel info:
; codeLenInByte = 1016
; TotalNumSgprs: 22
; NumVgprs: 24
; ScratchSize: 0
; MemoryBound: 0
; FloatMode: 240
; IeeeMode: 1
; LDSByteSize: 0 bytes/workgroup (compile time only)
; SGPRBlocks: 0
; VGPRBlocks: 1
; NumSGPRsForWavesPerEU: 22
; NumVGPRsForWavesPerEU: 24
; NamedBarCnt: 0
; Occupancy: 16
; WaveLimiterHint : 0
; COMPUTE_PGM_RSRC2:SCRATCH_EN: 0
; COMPUTE_PGM_RSRC2:USER_SGPR: 2
; COMPUTE_PGM_RSRC2:TRAP_HANDLER: 0
; COMPUTE_PGM_RSRC2:TGID_X_EN: 1
; COMPUTE_PGM_RSRC2:TGID_Y_EN: 0
; COMPUTE_PGM_RSRC2:TGID_Z_EN: 0
; COMPUTE_PGM_RSRC2:TIDIG_COMP_CNT: 0
	.section	.text._ZN2at6native12_GLOBAL__N_125multi_tensor_apply_kernelINS1_18TensorListMetadataILi1EEENS1_14UnaryOpFunctorIdLi1ELi1ELi0EEEJNS0_3AbsIdEEEEEvT_T0_DpT1_,"axG",@progbits,_ZN2at6native12_GLOBAL__N_125multi_tensor_apply_kernelINS1_18TensorListMetadataILi1EEENS1_14UnaryOpFunctorIdLi1ELi1ELi0EEEJNS0_3AbsIdEEEEEvT_T0_DpT1_,comdat
	.globl	_ZN2at6native12_GLOBAL__N_125multi_tensor_apply_kernelINS1_18TensorListMetadataILi1EEENS1_14UnaryOpFunctorIdLi1ELi1ELi0EEEJNS0_3AbsIdEEEEEvT_T0_DpT1_ ; -- Begin function _ZN2at6native12_GLOBAL__N_125multi_tensor_apply_kernelINS1_18TensorListMetadataILi1EEENS1_14UnaryOpFunctorIdLi1ELi1ELi0EEEJNS0_3AbsIdEEEEEvT_T0_DpT1_
	.p2align	8
	.type	_ZN2at6native12_GLOBAL__N_125multi_tensor_apply_kernelINS1_18TensorListMetadataILi1EEENS1_14UnaryOpFunctorIdLi1ELi1ELi0EEEJNS0_3AbsIdEEEEEvT_T0_DpT1_,@function
_ZN2at6native12_GLOBAL__N_125multi_tensor_apply_kernelINS1_18TensorListMetadataILi1EEENS1_14UnaryOpFunctorIdLi1ELi1ELi0EEEJNS0_3AbsIdEEEEEvT_T0_DpT1_: ; @_ZN2at6native12_GLOBAL__N_125multi_tensor_apply_kernelINS1_18TensorListMetadataILi1EEENS1_14UnaryOpFunctorIdLi1ELi1ELi0EEEJNS0_3AbsIdEEEEEvT_T0_DpT1_
; %bb.0:
	s_bfe_u32 s2, ttmp6, 0x4000c
	s_and_b32 s3, ttmp6, 15
	s_add_co_i32 s2, s2, 1
	s_getreg_b32 s4, hwreg(HW_REG_IB_STS2, 6, 4)
	s_mul_i32 s2, ttmp9, s2
	s_delay_alu instid0(SALU_CYCLE_1)
	s_add_co_i32 s3, s3, s2
	s_cmp_eq_u32 s4, 0
	s_cselect_b32 s2, ttmp9, s3
	s_mov_b32 s3, 0
	s_load_u8 s8, s[0:1], s2 offset:0x6e0
	s_add_nc_u64 s[4:5], s[0:1], s[2:3]
	s_mul_u64 s[6:7], s[2:3], 3
	s_delay_alu instid0(SALU_CYCLE_1)
	s_add_nc_u64 s[4:5], s[4:5], s[6:7]
	s_load_b32 s10, s[4:5], 0x820
	s_wait_kmcnt 0x0
	s_clause 0x1
	s_load_b64 s[6:7], s[0:1], s8 offset:0x0 scale_offset
	s_load_b64 s[12:13], s[0:1], s8 offset:0x370 scale_offset
	s_ashr_i32 s11, s10, 31
	s_wait_kmcnt 0x0
	s_and_b64 s[4:5], s[6:7], 31
	s_and_b32 s2, s12, 3
	s_lshl_b64 s[8:9], s[10:11], 19
	s_or_b64 s[2:3], s[4:5], s[2:3]
	s_lshl_b64 s[4:5], s[10:11], 16
	s_cmp_eq_u64 s[2:3], 0
	s_sub_nc_u64 s[10:11], s[12:13], s[4:5]
	s_cbranch_scc1 .LBB344_21
; %bb.1:
	v_cmp_lt_i64_e64 s2, s[10:11], 1
	s_and_b32 vcc_lo, exec_lo, s2
	s_cbranch_vccnz .LBB344_20
; %bb.2:
	s_load_b32 s4, s[0:1], 0xd3c
	v_min_i64 v[2:3], 0x10000, s[10:11]
	v_min_u64 v[4:5], 0x10000, s[10:11]
	v_dual_mov_b32 v1, 0 :: v_dual_lshlrev_b32 v8, 3, v0
	s_mov_b32 s19, 0
	s_add_nc_u64 s[2:3], s[6:7], s[8:9]
	s_mov_b32 s5, s19
	s_delay_alu instid0(VALU_DEP_1)
	v_mov_b32_e32 v15, v1
	s_mov_b32 s17, s19
	s_mov_b32 s13, s19
	;; [unrolled: 1-line block ×3, first 2 shown]
	s_mov_b64 s[20:21], 0
	s_wait_kmcnt 0x0
	s_and_b32 s18, s4, 0xffff
	s_delay_alu instid0(SALU_CYCLE_1)
	v_add_nc_u64_e32 v[6:7], s[18:19], v[0:1]
	v_mov_b32_e32 v9, v1
	s_lshl_b32 s4, s18, 1
	s_mul_i32 s16, s18, 3
	v_add_nc_u64_e32 v[12:13], s[4:5], v[0:1]
	v_add_nc_u64_e32 v[10:11], s[16:17], v[0:1]
	s_lshl_b32 s12, s18, 2
	v_lshlrev_b32_e32 v14, 3, v6
	v_add_nc_u64_e32 v[8:9], s[2:3], v[8:9]
	s_lshl_b32 s14, s18, 5
	s_mul_u64 s[16:17], s[18:19], 24
	s_lshl_b32 s18, s18, 4
	v_add_nc_u64_e32 v[14:15], s[2:3], v[14:15]
	s_branch .LBB344_4
.LBB344_3:                              ;   in Loop: Header=BB344_4 Depth=1
	s_wait_xcnt 0x0
	s_or_b32 exec_lo, exec_lo, s2
	s_add_nc_u64 s[20:21], s[20:21], s[12:13]
	v_add_nc_u64_e32 v[8:9], s[14:15], v[8:9]
	v_cmp_lt_i64_e32 vcc_lo, s[20:21], v[2:3]
	v_add_nc_u64_e32 v[14:15], s[14:15], v[14:15]
	s_cbranch_vccz .LBB344_20
.LBB344_4:                              ; =>This Inner Loop Header: Depth=1
	v_add_nc_u64_e32 v[18:19], s[20:21], v[0:1]
	v_mov_b64_e32 v[16:17], 0
	s_delay_alu instid0(VALU_DEP_2)
	v_cmp_lt_u64_e32 vcc_lo, v[18:19], v[4:5]
	v_mov_b64_e32 v[18:19], 0
	s_and_saveexec_b32 s2, vcc_lo
	s_cbranch_execz .LBB344_6
; %bb.5:                                ;   in Loop: Header=BB344_4 Depth=1
	global_load_b64 v[18:19], v[8:9], off
	s_wait_loadcnt 0x0
	v_and_b32_e32 v19, 0x7fffffff, v19
.LBB344_6:                              ;   in Loop: Header=BB344_4 Depth=1
	s_wait_xcnt 0x0
	s_or_b32 exec_lo, exec_lo, s2
	v_add_nc_u64_e32 v[20:21], s[20:21], v[6:7]
	s_delay_alu instid0(VALU_DEP_1)
	v_cmp_lt_u64_e64 s2, v[20:21], v[4:5]
	s_and_saveexec_b32 s3, s2
	s_cbranch_execz .LBB344_8
; %bb.7:                                ;   in Loop: Header=BB344_4 Depth=1
	global_load_b64 v[16:17], v[14:15], off
	s_wait_loadcnt 0x0
	v_and_b32_e32 v17, 0x7fffffff, v17
.LBB344_8:                              ;   in Loop: Header=BB344_4 Depth=1
	s_wait_xcnt 0x0
	s_or_b32 exec_lo, exec_lo, s3
	v_add_nc_u64_e32 v[24:25], s[20:21], v[12:13]
	v_mov_b64_e32 v[20:21], 0
	v_add_nc_u64_e32 v[22:23], s[18:19], v[8:9]
	s_delay_alu instid0(VALU_DEP_3)
	v_cmp_lt_u64_e64 s3, v[24:25], v[4:5]
	v_mov_b64_e32 v[24:25], 0
	s_and_saveexec_b32 s4, s3
	s_cbranch_execz .LBB344_10
; %bb.9:                                ;   in Loop: Header=BB344_4 Depth=1
	global_load_b64 v[24:25], v[22:23], off
	s_wait_loadcnt 0x0
	v_and_b32_e32 v25, 0x7fffffff, v25
.LBB344_10:                             ;   in Loop: Header=BB344_4 Depth=1
	s_wait_xcnt 0x0
	s_or_b32 exec_lo, exec_lo, s4
	v_add_nc_u64_e32 v[26:27], s[20:21], v[10:11]
	s_delay_alu instid0(VALU_DEP_1)
	v_cmp_lt_u64_e64 s4, v[26:27], v[4:5]
	v_add_nc_u64_e32 v[26:27], s[16:17], v[8:9]
	s_and_saveexec_b32 s5, s4
	s_cbranch_execnz .LBB344_15
; %bb.11:                               ;   in Loop: Header=BB344_4 Depth=1
	s_or_b32 exec_lo, exec_lo, s5
	s_and_saveexec_b32 s5, vcc_lo
	s_cbranch_execnz .LBB344_16
.LBB344_12:                             ;   in Loop: Header=BB344_4 Depth=1
	s_or_b32 exec_lo, exec_lo, s5
	s_and_saveexec_b32 s5, s2
	s_cbranch_execnz .LBB344_17
.LBB344_13:                             ;   in Loop: Header=BB344_4 Depth=1
	s_or_b32 exec_lo, exec_lo, s5
	s_and_saveexec_b32 s2, s3
	s_cbranch_execnz .LBB344_18
.LBB344_14:                             ;   in Loop: Header=BB344_4 Depth=1
	s_or_b32 exec_lo, exec_lo, s2
	s_and_saveexec_b32 s2, s4
	s_cbranch_execz .LBB344_3
	s_branch .LBB344_19
.LBB344_15:                             ;   in Loop: Header=BB344_4 Depth=1
	global_load_b64 v[20:21], v[26:27], off
	s_wait_loadcnt 0x0
	v_and_b32_e32 v21, 0x7fffffff, v21
	s_wait_xcnt 0x0
	s_or_b32 exec_lo, exec_lo, s5
	s_and_saveexec_b32 s5, vcc_lo
	s_cbranch_execz .LBB344_12
.LBB344_16:                             ;   in Loop: Header=BB344_4 Depth=1
	global_store_b64 v[8:9], v[18:19], off
	s_wait_xcnt 0x0
	s_or_b32 exec_lo, exec_lo, s5
	s_and_saveexec_b32 s5, s2
	s_cbranch_execz .LBB344_13
.LBB344_17:                             ;   in Loop: Header=BB344_4 Depth=1
	global_store_b64 v[14:15], v[16:17], off
	s_wait_xcnt 0x0
	s_or_b32 exec_lo, exec_lo, s5
	s_and_saveexec_b32 s2, s3
	s_cbranch_execz .LBB344_14
.LBB344_18:                             ;   in Loop: Header=BB344_4 Depth=1
	global_store_b64 v[22:23], v[24:25], off
	s_wait_xcnt 0x0
	s_or_b32 exec_lo, exec_lo, s2
	s_and_saveexec_b32 s2, s4
	s_cbranch_execz .LBB344_3
.LBB344_19:                             ;   in Loop: Header=BB344_4 Depth=1
	global_store_b64 v[26:27], v[20:21], off
	s_branch .LBB344_3
.LBB344_20:
	s_cbranch_execz .LBB344_22
	s_branch .LBB344_25
.LBB344_21:
.LBB344_22:
	v_min_i64 v[2:3], 0x10000, s[10:11]
	v_dual_mov_b32 v5, 0 :: v_dual_lshlrev_b32 v4, 2, v0
	s_mov_b32 s2, exec_lo
	s_delay_alu instid0(VALU_DEP_1)
	v_cmpx_lt_i64_e64 v[4:5], v[2:3]
	s_cbranch_execz .LBB344_25
; %bb.23:
	s_load_b32 s2, s[0:1], 0xd3c
	v_dual_mov_b32 v1, v5 :: v_dual_lshlrev_b32 v4, 5, v0
	s_wait_xcnt 0x0
	s_add_nc_u64 s[0:1], s[6:7], s[8:9]
	s_delay_alu instid0(VALU_DEP_1) | instid1(SALU_CYCLE_1)
	v_add_nc_u64_e32 v[6:7], s[0:1], v[4:5]
	s_mov_b32 s1, 0
	s_delay_alu instid0(SALU_CYCLE_1) | instskip(SKIP_1) | instid1(VALU_DEP_1)
	s_mov_b32 s3, s1
	s_mov_b32 s4, s1
	v_add_nc_u64_e32 v[4:5], 16, v[6:7]
	s_wait_kmcnt 0x0
	s_and_b32 s0, s2, 0xffff
	s_delay_alu instid0(SALU_CYCLE_1)
	s_lshl_b32 s2, s0, 5
.LBB344_24:                             ; =>This Inner Loop Header: Depth=1
	s_clause 0x1
	global_load_b128 v[6:9], v[4:5], off offset:-16
	global_load_b128 v[10:13], v[4:5], off
	v_add_nc_u64_e32 v[0:1], s[0:1], v[0:1]
	s_delay_alu instid0(VALU_DEP_1) | instskip(NEXT) | instid1(VALU_DEP_1)
	v_lshlrev_b64_e32 v[14:15], 2, v[0:1]
	v_cmp_ge_i64_e32 vcc_lo, v[14:15], v[2:3]
	s_or_b32 s4, vcc_lo, s4
	s_wait_loadcnt 0x1
	v_and_b32_e32 v7, 0x7fffffff, v7
	v_and_b32_e32 v9, 0x7fffffff, v9
	s_wait_loadcnt 0x0
	v_and_b32_e32 v11, 0x7fffffff, v11
	v_and_b32_e32 v13, 0x7fffffff, v13
	s_clause 0x1
	global_store_b128 v[4:5], v[6:9], off offset:-16
	global_store_b128 v[4:5], v[10:13], off
	s_wait_xcnt 0x0
	v_add_nc_u64_e32 v[4:5], s[2:3], v[4:5]
	s_and_not1_b32 exec_lo, exec_lo, s4
	s_cbranch_execnz .LBB344_24
.LBB344_25:
	s_endpgm
	.section	.rodata,"a",@progbits
	.p2align	6, 0x0
	.amdhsa_kernel _ZN2at6native12_GLOBAL__N_125multi_tensor_apply_kernelINS1_18TensorListMetadataILi1EEENS1_14UnaryOpFunctorIdLi1ELi1ELi0EEEJNS0_3AbsIdEEEEEvT_T0_DpT1_
		.amdhsa_group_segment_fixed_size 0
		.amdhsa_private_segment_fixed_size 0
		.amdhsa_kernarg_size 3632
		.amdhsa_user_sgpr_count 2
		.amdhsa_user_sgpr_dispatch_ptr 0
		.amdhsa_user_sgpr_queue_ptr 0
		.amdhsa_user_sgpr_kernarg_segment_ptr 1
		.amdhsa_user_sgpr_dispatch_id 0
		.amdhsa_user_sgpr_kernarg_preload_length 0
		.amdhsa_user_sgpr_kernarg_preload_offset 0
		.amdhsa_user_sgpr_private_segment_size 0
		.amdhsa_wavefront_size32 1
		.amdhsa_uses_dynamic_stack 0
		.amdhsa_enable_private_segment 0
		.amdhsa_system_sgpr_workgroup_id_x 1
		.amdhsa_system_sgpr_workgroup_id_y 0
		.amdhsa_system_sgpr_workgroup_id_z 0
		.amdhsa_system_sgpr_workgroup_info 0
		.amdhsa_system_vgpr_workitem_id 0
		.amdhsa_next_free_vgpr 28
		.amdhsa_next_free_sgpr 22
		.amdhsa_named_barrier_count 0
		.amdhsa_reserve_vcc 1
		.amdhsa_float_round_mode_32 0
		.amdhsa_float_round_mode_16_64 0
		.amdhsa_float_denorm_mode_32 3
		.amdhsa_float_denorm_mode_16_64 3
		.amdhsa_fp16_overflow 0
		.amdhsa_memory_ordered 1
		.amdhsa_forward_progress 1
		.amdhsa_inst_pref_size 8
		.amdhsa_round_robin_scheduling 0
		.amdhsa_exception_fp_ieee_invalid_op 0
		.amdhsa_exception_fp_denorm_src 0
		.amdhsa_exception_fp_ieee_div_zero 0
		.amdhsa_exception_fp_ieee_overflow 0
		.amdhsa_exception_fp_ieee_underflow 0
		.amdhsa_exception_fp_ieee_inexact 0
		.amdhsa_exception_int_div_zero 0
	.end_amdhsa_kernel
	.section	.text._ZN2at6native12_GLOBAL__N_125multi_tensor_apply_kernelINS1_18TensorListMetadataILi1EEENS1_14UnaryOpFunctorIdLi1ELi1ELi0EEEJNS0_3AbsIdEEEEEvT_T0_DpT1_,"axG",@progbits,_ZN2at6native12_GLOBAL__N_125multi_tensor_apply_kernelINS1_18TensorListMetadataILi1EEENS1_14UnaryOpFunctorIdLi1ELi1ELi0EEEJNS0_3AbsIdEEEEEvT_T0_DpT1_,comdat
.Lfunc_end344:
	.size	_ZN2at6native12_GLOBAL__N_125multi_tensor_apply_kernelINS1_18TensorListMetadataILi1EEENS1_14UnaryOpFunctorIdLi1ELi1ELi0EEEJNS0_3AbsIdEEEEEvT_T0_DpT1_, .Lfunc_end344-_ZN2at6native12_GLOBAL__N_125multi_tensor_apply_kernelINS1_18TensorListMetadataILi1EEENS1_14UnaryOpFunctorIdLi1ELi1ELi0EEEJNS0_3AbsIdEEEEEvT_T0_DpT1_
                                        ; -- End function
	.set _ZN2at6native12_GLOBAL__N_125multi_tensor_apply_kernelINS1_18TensorListMetadataILi1EEENS1_14UnaryOpFunctorIdLi1ELi1ELi0EEEJNS0_3AbsIdEEEEEvT_T0_DpT1_.num_vgpr, 28
	.set _ZN2at6native12_GLOBAL__N_125multi_tensor_apply_kernelINS1_18TensorListMetadataILi1EEENS1_14UnaryOpFunctorIdLi1ELi1ELi0EEEJNS0_3AbsIdEEEEEvT_T0_DpT1_.num_agpr, 0
	.set _ZN2at6native12_GLOBAL__N_125multi_tensor_apply_kernelINS1_18TensorListMetadataILi1EEENS1_14UnaryOpFunctorIdLi1ELi1ELi0EEEJNS0_3AbsIdEEEEEvT_T0_DpT1_.numbered_sgpr, 22
	.set _ZN2at6native12_GLOBAL__N_125multi_tensor_apply_kernelINS1_18TensorListMetadataILi1EEENS1_14UnaryOpFunctorIdLi1ELi1ELi0EEEJNS0_3AbsIdEEEEEvT_T0_DpT1_.num_named_barrier, 0
	.set _ZN2at6native12_GLOBAL__N_125multi_tensor_apply_kernelINS1_18TensorListMetadataILi1EEENS1_14UnaryOpFunctorIdLi1ELi1ELi0EEEJNS0_3AbsIdEEEEEvT_T0_DpT1_.private_seg_size, 0
	.set _ZN2at6native12_GLOBAL__N_125multi_tensor_apply_kernelINS1_18TensorListMetadataILi1EEENS1_14UnaryOpFunctorIdLi1ELi1ELi0EEEJNS0_3AbsIdEEEEEvT_T0_DpT1_.uses_vcc, 1
	.set _ZN2at6native12_GLOBAL__N_125multi_tensor_apply_kernelINS1_18TensorListMetadataILi1EEENS1_14UnaryOpFunctorIdLi1ELi1ELi0EEEJNS0_3AbsIdEEEEEvT_T0_DpT1_.uses_flat_scratch, 0
	.set _ZN2at6native12_GLOBAL__N_125multi_tensor_apply_kernelINS1_18TensorListMetadataILi1EEENS1_14UnaryOpFunctorIdLi1ELi1ELi0EEEJNS0_3AbsIdEEEEEvT_T0_DpT1_.has_dyn_sized_stack, 0
	.set _ZN2at6native12_GLOBAL__N_125multi_tensor_apply_kernelINS1_18TensorListMetadataILi1EEENS1_14UnaryOpFunctorIdLi1ELi1ELi0EEEJNS0_3AbsIdEEEEEvT_T0_DpT1_.has_recursion, 0
	.set _ZN2at6native12_GLOBAL__N_125multi_tensor_apply_kernelINS1_18TensorListMetadataILi1EEENS1_14UnaryOpFunctorIdLi1ELi1ELi0EEEJNS0_3AbsIdEEEEEvT_T0_DpT1_.has_indirect_call, 0
	.section	.AMDGPU.csdata,"",@progbits
; Kernel info:
; codeLenInByte = 992
; TotalNumSgprs: 24
; NumVgprs: 28
; ScratchSize: 0
; MemoryBound: 1
; FloatMode: 240
; IeeeMode: 1
; LDSByteSize: 0 bytes/workgroup (compile time only)
; SGPRBlocks: 0
; VGPRBlocks: 1
; NumSGPRsForWavesPerEU: 24
; NumVGPRsForWavesPerEU: 28
; NamedBarCnt: 0
; Occupancy: 16
; WaveLimiterHint : 0
; COMPUTE_PGM_RSRC2:SCRATCH_EN: 0
; COMPUTE_PGM_RSRC2:USER_SGPR: 2
; COMPUTE_PGM_RSRC2:TRAP_HANDLER: 0
; COMPUTE_PGM_RSRC2:TGID_X_EN: 1
; COMPUTE_PGM_RSRC2:TGID_Y_EN: 0
; COMPUTE_PGM_RSRC2:TGID_Z_EN: 0
; COMPUTE_PGM_RSRC2:TIDIG_COMP_CNT: 0
	.section	.text._ZN2at6native12_GLOBAL__N_125multi_tensor_apply_kernelINS1_18TensorListMetadataILi1EEENS1_14UnaryOpFunctorIfLi1ELi1ELi0EEEJNS0_3AbsIfEEEEEvT_T0_DpT1_,"axG",@progbits,_ZN2at6native12_GLOBAL__N_125multi_tensor_apply_kernelINS1_18TensorListMetadataILi1EEENS1_14UnaryOpFunctorIfLi1ELi1ELi0EEEJNS0_3AbsIfEEEEEvT_T0_DpT1_,comdat
	.globl	_ZN2at6native12_GLOBAL__N_125multi_tensor_apply_kernelINS1_18TensorListMetadataILi1EEENS1_14UnaryOpFunctorIfLi1ELi1ELi0EEEJNS0_3AbsIfEEEEEvT_T0_DpT1_ ; -- Begin function _ZN2at6native12_GLOBAL__N_125multi_tensor_apply_kernelINS1_18TensorListMetadataILi1EEENS1_14UnaryOpFunctorIfLi1ELi1ELi0EEEJNS0_3AbsIfEEEEEvT_T0_DpT1_
	.p2align	8
	.type	_ZN2at6native12_GLOBAL__N_125multi_tensor_apply_kernelINS1_18TensorListMetadataILi1EEENS1_14UnaryOpFunctorIfLi1ELi1ELi0EEEJNS0_3AbsIfEEEEEvT_T0_DpT1_,@function
_ZN2at6native12_GLOBAL__N_125multi_tensor_apply_kernelINS1_18TensorListMetadataILi1EEENS1_14UnaryOpFunctorIfLi1ELi1ELi0EEEJNS0_3AbsIfEEEEEvT_T0_DpT1_: ; @_ZN2at6native12_GLOBAL__N_125multi_tensor_apply_kernelINS1_18TensorListMetadataILi1EEENS1_14UnaryOpFunctorIfLi1ELi1ELi0EEEJNS0_3AbsIfEEEEEvT_T0_DpT1_
; %bb.0:
	s_bfe_u32 s2, ttmp6, 0x4000c
	s_and_b32 s3, ttmp6, 15
	s_add_co_i32 s2, s2, 1
	s_getreg_b32 s4, hwreg(HW_REG_IB_STS2, 6, 4)
	s_mul_i32 s2, ttmp9, s2
	s_delay_alu instid0(SALU_CYCLE_1)
	s_add_co_i32 s3, s3, s2
	s_cmp_eq_u32 s4, 0
	s_cselect_b32 s2, ttmp9, s3
	s_mov_b32 s3, 0
	s_load_u8 s8, s[0:1], s2 offset:0x6e0
	s_add_nc_u64 s[4:5], s[0:1], s[2:3]
	s_mul_u64 s[6:7], s[2:3], 3
	s_delay_alu instid0(SALU_CYCLE_1)
	s_add_nc_u64 s[4:5], s[4:5], s[6:7]
	s_load_b32 s10, s[4:5], 0x820
	s_wait_kmcnt 0x0
	s_clause 0x1
	s_load_b64 s[6:7], s[0:1], s8 offset:0x0 scale_offset
	s_load_b64 s[12:13], s[0:1], s8 offset:0x370 scale_offset
	s_ashr_i32 s11, s10, 31
	s_wait_kmcnt 0x0
	s_and_b64 s[4:5], s[6:7], 15
	s_and_b32 s2, s12, 3
	s_lshl_b64 s[8:9], s[10:11], 18
	s_or_b64 s[2:3], s[4:5], s[2:3]
	s_lshl_b64 s[4:5], s[10:11], 16
	s_cmp_eq_u64 s[2:3], 0
	s_sub_nc_u64 s[10:11], s[12:13], s[4:5]
	s_cbranch_scc1 .LBB345_21
; %bb.1:
	v_cmp_lt_i64_e64 s2, s[10:11], 1
	s_and_b32 vcc_lo, exec_lo, s2
	s_cbranch_vccnz .LBB345_20
; %bb.2:
	s_load_b32 s4, s[0:1], 0xd3c
	v_min_i64 v[2:3], 0x10000, s[10:11]
	v_min_u64 v[4:5], 0x10000, s[10:11]
	v_dual_mov_b32 v1, 0 :: v_dual_lshlrev_b32 v8, 2, v0
	s_mov_b32 s19, 0
	s_add_nc_u64 s[2:3], s[6:7], s[8:9]
	s_mov_b32 s5, s19
	s_delay_alu instid0(VALU_DEP_1)
	v_mov_b32_e32 v15, v1
	s_mov_b32 s17, s19
	s_mov_b32 s13, s19
	;; [unrolled: 1-line block ×3, first 2 shown]
	s_mov_b64 s[20:21], 0
	s_wait_kmcnt 0x0
	s_and_b32 s18, s4, 0xffff
	s_delay_alu instid0(SALU_CYCLE_1)
	v_add_nc_u64_e32 v[6:7], s[18:19], v[0:1]
	v_mov_b32_e32 v9, v1
	s_lshl_b32 s4, s18, 1
	s_mul_i32 s16, s18, 3
	v_add_nc_u64_e32 v[12:13], s[4:5], v[0:1]
	v_add_nc_u64_e32 v[10:11], s[16:17], v[0:1]
	s_lshl_b32 s12, s18, 2
	v_lshlrev_b32_e32 v14, 2, v6
	v_add_nc_u64_e32 v[8:9], s[2:3], v[8:9]
	s_lshl_b32 s14, s18, 4
	s_mul_u64 s[16:17], s[18:19], 12
	s_lshl_b32 s18, s18, 3
	v_add_nc_u64_e32 v[14:15], s[2:3], v[14:15]
	s_branch .LBB345_4
.LBB345_3:                              ;   in Loop: Header=BB345_4 Depth=1
	s_wait_xcnt 0x0
	s_or_b32 exec_lo, exec_lo, s2
	s_add_nc_u64 s[20:21], s[20:21], s[12:13]
	v_add_nc_u64_e32 v[8:9], s[14:15], v[8:9]
	v_cmp_lt_i64_e32 vcc_lo, s[20:21], v[2:3]
	v_add_nc_u64_e32 v[14:15], s[14:15], v[14:15]
	s_cbranch_vccz .LBB345_20
.LBB345_4:                              ; =>This Inner Loop Header: Depth=1
	v_add_nc_u64_e32 v[16:17], s[20:21], v[0:1]
	v_mov_b32_e32 v21, 0
	s_delay_alu instid0(VALU_DEP_2)
	v_cmp_lt_u64_e32 vcc_lo, v[16:17], v[4:5]
	s_and_saveexec_b32 s2, vcc_lo
	s_cbranch_execz .LBB345_6
; %bb.5:                                ;   in Loop: Header=BB345_4 Depth=1
	global_load_b32 v16, v[8:9], off
	s_wait_loadcnt 0x0
	v_and_b32_e32 v21, 0x7fffffff, v16
.LBB345_6:                              ;   in Loop: Header=BB345_4 Depth=1
	s_wait_xcnt 0x0
	s_or_b32 exec_lo, exec_lo, s2
	v_add_nc_u64_e32 v[16:17], s[20:21], v[6:7]
	v_dual_mov_b32 v20, 0 :: v_dual_mov_b32 v22, 0
	s_delay_alu instid0(VALU_DEP_2)
	v_cmp_lt_u64_e64 s2, v[16:17], v[4:5]
	s_and_saveexec_b32 s3, s2
	s_cbranch_execz .LBB345_8
; %bb.7:                                ;   in Loop: Header=BB345_4 Depth=1
	global_load_b32 v16, v[14:15], off
	s_wait_loadcnt 0x0
	v_and_b32_e32 v22, 0x7fffffff, v16
.LBB345_8:                              ;   in Loop: Header=BB345_4 Depth=1
	s_wait_xcnt 0x0
	s_or_b32 exec_lo, exec_lo, s3
	v_add_nc_u64_e32 v[16:17], s[20:21], v[12:13]
	s_delay_alu instid0(VALU_DEP_1)
	v_cmp_lt_u64_e64 s3, v[16:17], v[4:5]
	v_add_nc_u64_e32 v[16:17], s[18:19], v[8:9]
	s_and_saveexec_b32 s4, s3
	s_cbranch_execz .LBB345_10
; %bb.9:                                ;   in Loop: Header=BB345_4 Depth=1
	global_load_b32 v18, v[16:17], off
	s_wait_loadcnt 0x0
	v_and_b32_e32 v20, 0x7fffffff, v18
.LBB345_10:                             ;   in Loop: Header=BB345_4 Depth=1
	s_wait_xcnt 0x0
	s_or_b32 exec_lo, exec_lo, s4
	v_add_nc_u64_e32 v[18:19], s[20:21], v[10:11]
	v_mov_b32_e32 v23, 0
	s_delay_alu instid0(VALU_DEP_2)
	v_cmp_lt_u64_e64 s4, v[18:19], v[4:5]
	v_add_nc_u64_e32 v[18:19], s[16:17], v[8:9]
	s_and_saveexec_b32 s5, s4
	s_cbranch_execnz .LBB345_15
; %bb.11:                               ;   in Loop: Header=BB345_4 Depth=1
	s_or_b32 exec_lo, exec_lo, s5
	s_and_saveexec_b32 s5, vcc_lo
	s_cbranch_execnz .LBB345_16
.LBB345_12:                             ;   in Loop: Header=BB345_4 Depth=1
	s_or_b32 exec_lo, exec_lo, s5
	s_and_saveexec_b32 s5, s2
	s_cbranch_execnz .LBB345_17
.LBB345_13:                             ;   in Loop: Header=BB345_4 Depth=1
	s_or_b32 exec_lo, exec_lo, s5
	s_and_saveexec_b32 s2, s3
	s_cbranch_execnz .LBB345_18
.LBB345_14:                             ;   in Loop: Header=BB345_4 Depth=1
	s_or_b32 exec_lo, exec_lo, s2
	s_and_saveexec_b32 s2, s4
	s_cbranch_execz .LBB345_3
	s_branch .LBB345_19
.LBB345_15:                             ;   in Loop: Header=BB345_4 Depth=1
	global_load_b32 v23, v[18:19], off
	s_wait_loadcnt 0x0
	v_and_b32_e32 v23, 0x7fffffff, v23
	s_wait_xcnt 0x0
	s_or_b32 exec_lo, exec_lo, s5
	s_and_saveexec_b32 s5, vcc_lo
	s_cbranch_execz .LBB345_12
.LBB345_16:                             ;   in Loop: Header=BB345_4 Depth=1
	global_store_b32 v[8:9], v21, off
	s_wait_xcnt 0x0
	s_or_b32 exec_lo, exec_lo, s5
	s_and_saveexec_b32 s5, s2
	s_cbranch_execz .LBB345_13
.LBB345_17:                             ;   in Loop: Header=BB345_4 Depth=1
	global_store_b32 v[14:15], v22, off
	s_wait_xcnt 0x0
	s_or_b32 exec_lo, exec_lo, s5
	s_and_saveexec_b32 s2, s3
	s_cbranch_execz .LBB345_14
.LBB345_18:                             ;   in Loop: Header=BB345_4 Depth=1
	global_store_b32 v[16:17], v20, off
	s_wait_xcnt 0x0
	s_or_b32 exec_lo, exec_lo, s2
	s_and_saveexec_b32 s2, s4
	s_cbranch_execz .LBB345_3
.LBB345_19:                             ;   in Loop: Header=BB345_4 Depth=1
	global_store_b32 v[18:19], v23, off
	s_branch .LBB345_3
.LBB345_20:
	s_cbranch_execz .LBB345_22
	s_branch .LBB345_30
.LBB345_21:
.LBB345_22:
	v_min_i64 v[2:3], 0x10000, s[10:11]
	v_dual_mov_b32 v5, 0 :: v_dual_lshlrev_b32 v4, 2, v0
	s_mov_b32 s2, exec_lo
	s_delay_alu instid0(VALU_DEP_1)
	v_cmpx_lt_i64_e64 v[4:5], v[2:3]
	s_cbranch_execz .LBB345_30
; %bb.23:
	v_dual_mov_b32 v7, v5 :: v_dual_add_nc_u32 v6, 4, v4
	s_load_b32 s0, s[0:1], 0xd3c
	s_wait_xcnt 0x0
	s_mov_b32 s1, 0
	v_mov_b32_e32 v1, v5
	s_mov_b32 s3, -1
	v_max_i64 v[6:7], v[2:3], v[6:7]
	v_mov_b32_e32 v9, s1
	s_wait_kmcnt 0x0
	s_and_b32 s0, s0, 0xffff
	s_delay_alu instid0(SALU_CYCLE_1) | instskip(SKIP_1) | instid1(VALU_DEP_2)
	s_cmp_eq_u32 s0, 1
	s_cselect_b32 s2, -1, 0
	v_add_nc_u64_e32 v[6:7], -4, v[6:7]
	s_delay_alu instid0(VALU_DEP_1) | instskip(SKIP_1) | instid1(VALU_DEP_1)
	v_cmp_ne_u64_e32 vcc_lo, v[6:7], v[4:5]
	v_cndmask_b32_e64 v8, 0, 1, vcc_lo
	v_or_b32_e32 v4, v4, v8
	s_delay_alu instid0(VALU_DEP_1) | instskip(NEXT) | instid1(VALU_DEP_1)
	v_sub_nc_u64_e32 v[6:7], v[6:7], v[4:5]
	v_lshrrev_b64 v[6:7], 2, v[6:7]
	s_delay_alu instid0(VALU_DEP_1) | instskip(NEXT) | instid1(VALU_DEP_1)
	v_add_nc_u64_e32 v[6:7], v[6:7], v[8:9]
	v_cmp_ne_u64_e32 vcc_lo, 0, v[6:7]
	s_and_b32 s4, vcc_lo, s2
	s_delay_alu instid0(SALU_CYCLE_1)
	s_and_saveexec_b32 s2, s4
	s_cbranch_execz .LBB345_27
; %bb.24:
	v_dual_mov_b32 v9, 0 :: v_dual_lshlrev_b32 v8, 4, v0
	v_add_nc_u64_e32 v[4:5], 1, v[6:7]
	s_add_nc_u64 s[4:5], s[6:7], s[8:9]
	s_delay_alu instid0(VALU_DEP_2) | instid1(SALU_CYCLE_1)
	v_add_nc_u64_e32 v[8:9], s[4:5], v[8:9]
	s_delay_alu instid0(VALU_DEP_2) | instskip(NEXT) | instid1(VALU_DEP_2)
	v_dual_mov_b32 v7, v5 :: v_dual_bitop2_b32 v6, -2, v4 bitop3:0x40
	v_add_nc_u64_e32 v[8:9], 28, v[8:9]
	s_delay_alu instid0(VALU_DEP_2)
	v_mov_b64_e32 v[10:11], v[6:7]
.LBB345_25:                             ; =>This Inner Loop Header: Depth=1
	s_clause 0x1
	global_load_b128 v[12:15], v[8:9], off offset:-12
	global_load_b128 v[16:19], v[8:9], off offset:-28
	v_add_nc_u64_e32 v[10:11], -2, v[10:11]
	s_delay_alu instid0(VALU_DEP_1)
	v_cmp_eq_u64_e32 vcc_lo, 0, v[10:11]
	s_or_b32 s1, vcc_lo, s1
	s_wait_loadcnt 0x1
	v_and_b32_e32 v12, 0x7fffffff, v12
	s_wait_loadcnt 0x0
	v_and_b32_e32 v16, 0x7fffffff, v16
	v_and_b32_e32 v17, 0x7fffffff, v17
	;; [unrolled: 1-line block ×7, first 2 shown]
	s_clause 0x1
	global_store_b128 v[8:9], v[16:19], off offset:-28
	global_store_b128 v[8:9], v[12:15], off offset:-12
	s_wait_xcnt 0x0
	v_add_nc_u64_e32 v[8:9], 32, v[8:9]
	s_and_not1_b32 exec_lo, exec_lo, s1
	s_cbranch_execnz .LBB345_25
; %bb.26:
	s_or_b32 exec_lo, exec_lo, s1
	v_cmp_ne_u64_e32 vcc_lo, v[4:5], v[6:7]
	v_add_nc_u64_e32 v[0:1], v[6:7], v[0:1]
	s_or_not1_b32 s3, vcc_lo, exec_lo
.LBB345_27:
	s_or_b32 exec_lo, exec_lo, s2
	s_delay_alu instid0(SALU_CYCLE_1)
	s_and_b32 exec_lo, exec_lo, s3
	s_cbranch_execz .LBB345_30
; %bb.28:
	s_add_nc_u64 s[2:3], s[6:7], s[8:9]
	s_mov_b32 s1, 0
	v_lshl_add_u64 v[4:5], v[0:1], 4, s[2:3]
	s_lshl_b32 s2, s0, 4
	s_mov_b32 s3, s1
	s_mov_b32 s4, s1
	s_delay_alu instid0(VALU_DEP_1)
	v_add_nc_u64_e32 v[4:5], 8, v[4:5]
.LBB345_29:                             ; =>This Inner Loop Header: Depth=1
	global_load_b128 v[6:9], v[4:5], off offset:-8
	v_add_nc_u64_e32 v[0:1], s[0:1], v[0:1]
	s_delay_alu instid0(VALU_DEP_1) | instskip(NEXT) | instid1(VALU_DEP_1)
	v_lshlrev_b64_e32 v[10:11], 2, v[0:1]
	v_cmp_ge_i64_e32 vcc_lo, v[10:11], v[2:3]
	s_or_b32 s4, vcc_lo, s4
	s_wait_loadcnt 0x0
	v_and_b32_e32 v7, 0x7fffffff, v7
	v_and_b32_e32 v6, 0x7fffffff, v6
	;; [unrolled: 1-line block ×4, first 2 shown]
	global_store_b128 v[4:5], v[6:9], off offset:-8
	s_wait_xcnt 0x0
	v_add_nc_u64_e32 v[4:5], s[2:3], v[4:5]
	s_and_not1_b32 exec_lo, exec_lo, s4
	s_cbranch_execnz .LBB345_29
.LBB345_30:
	s_endpgm
	.section	.rodata,"a",@progbits
	.p2align	6, 0x0
	.amdhsa_kernel _ZN2at6native12_GLOBAL__N_125multi_tensor_apply_kernelINS1_18TensorListMetadataILi1EEENS1_14UnaryOpFunctorIfLi1ELi1ELi0EEEJNS0_3AbsIfEEEEEvT_T0_DpT1_
		.amdhsa_group_segment_fixed_size 0
		.amdhsa_private_segment_fixed_size 0
		.amdhsa_kernarg_size 3632
		.amdhsa_user_sgpr_count 2
		.amdhsa_user_sgpr_dispatch_ptr 0
		.amdhsa_user_sgpr_queue_ptr 0
		.amdhsa_user_sgpr_kernarg_segment_ptr 1
		.amdhsa_user_sgpr_dispatch_id 0
		.amdhsa_user_sgpr_kernarg_preload_length 0
		.amdhsa_user_sgpr_kernarg_preload_offset 0
		.amdhsa_user_sgpr_private_segment_size 0
		.amdhsa_wavefront_size32 1
		.amdhsa_uses_dynamic_stack 0
		.amdhsa_enable_private_segment 0
		.amdhsa_system_sgpr_workgroup_id_x 1
		.amdhsa_system_sgpr_workgroup_id_y 0
		.amdhsa_system_sgpr_workgroup_id_z 0
		.amdhsa_system_sgpr_workgroup_info 0
		.amdhsa_system_vgpr_workitem_id 0
		.amdhsa_next_free_vgpr 24
		.amdhsa_next_free_sgpr 22
		.amdhsa_named_barrier_count 0
		.amdhsa_reserve_vcc 1
		.amdhsa_float_round_mode_32 0
		.amdhsa_float_round_mode_16_64 0
		.amdhsa_float_denorm_mode_32 3
		.amdhsa_float_denorm_mode_16_64 3
		.amdhsa_fp16_overflow 0
		.amdhsa_memory_ordered 1
		.amdhsa_forward_progress 1
		.amdhsa_inst_pref_size 11
		.amdhsa_round_robin_scheduling 0
		.amdhsa_exception_fp_ieee_invalid_op 0
		.amdhsa_exception_fp_denorm_src 0
		.amdhsa_exception_fp_ieee_div_zero 0
		.amdhsa_exception_fp_ieee_overflow 0
		.amdhsa_exception_fp_ieee_underflow 0
		.amdhsa_exception_fp_ieee_inexact 0
		.amdhsa_exception_int_div_zero 0
	.end_amdhsa_kernel
	.section	.text._ZN2at6native12_GLOBAL__N_125multi_tensor_apply_kernelINS1_18TensorListMetadataILi1EEENS1_14UnaryOpFunctorIfLi1ELi1ELi0EEEJNS0_3AbsIfEEEEEvT_T0_DpT1_,"axG",@progbits,_ZN2at6native12_GLOBAL__N_125multi_tensor_apply_kernelINS1_18TensorListMetadataILi1EEENS1_14UnaryOpFunctorIfLi1ELi1ELi0EEEJNS0_3AbsIfEEEEEvT_T0_DpT1_,comdat
.Lfunc_end345:
	.size	_ZN2at6native12_GLOBAL__N_125multi_tensor_apply_kernelINS1_18TensorListMetadataILi1EEENS1_14UnaryOpFunctorIfLi1ELi1ELi0EEEJNS0_3AbsIfEEEEEvT_T0_DpT1_, .Lfunc_end345-_ZN2at6native12_GLOBAL__N_125multi_tensor_apply_kernelINS1_18TensorListMetadataILi1EEENS1_14UnaryOpFunctorIfLi1ELi1ELi0EEEJNS0_3AbsIfEEEEEvT_T0_DpT1_
                                        ; -- End function
	.set _ZN2at6native12_GLOBAL__N_125multi_tensor_apply_kernelINS1_18TensorListMetadataILi1EEENS1_14UnaryOpFunctorIfLi1ELi1ELi0EEEJNS0_3AbsIfEEEEEvT_T0_DpT1_.num_vgpr, 24
	.set _ZN2at6native12_GLOBAL__N_125multi_tensor_apply_kernelINS1_18TensorListMetadataILi1EEENS1_14UnaryOpFunctorIfLi1ELi1ELi0EEEJNS0_3AbsIfEEEEEvT_T0_DpT1_.num_agpr, 0
	.set _ZN2at6native12_GLOBAL__N_125multi_tensor_apply_kernelINS1_18TensorListMetadataILi1EEENS1_14UnaryOpFunctorIfLi1ELi1ELi0EEEJNS0_3AbsIfEEEEEvT_T0_DpT1_.numbered_sgpr, 22
	.set _ZN2at6native12_GLOBAL__N_125multi_tensor_apply_kernelINS1_18TensorListMetadataILi1EEENS1_14UnaryOpFunctorIfLi1ELi1ELi0EEEJNS0_3AbsIfEEEEEvT_T0_DpT1_.num_named_barrier, 0
	.set _ZN2at6native12_GLOBAL__N_125multi_tensor_apply_kernelINS1_18TensorListMetadataILi1EEENS1_14UnaryOpFunctorIfLi1ELi1ELi0EEEJNS0_3AbsIfEEEEEvT_T0_DpT1_.private_seg_size, 0
	.set _ZN2at6native12_GLOBAL__N_125multi_tensor_apply_kernelINS1_18TensorListMetadataILi1EEENS1_14UnaryOpFunctorIfLi1ELi1ELi0EEEJNS0_3AbsIfEEEEEvT_T0_DpT1_.uses_vcc, 1
	.set _ZN2at6native12_GLOBAL__N_125multi_tensor_apply_kernelINS1_18TensorListMetadataILi1EEENS1_14UnaryOpFunctorIfLi1ELi1ELi0EEEJNS0_3AbsIfEEEEEvT_T0_DpT1_.uses_flat_scratch, 0
	.set _ZN2at6native12_GLOBAL__N_125multi_tensor_apply_kernelINS1_18TensorListMetadataILi1EEENS1_14UnaryOpFunctorIfLi1ELi1ELi0EEEJNS0_3AbsIfEEEEEvT_T0_DpT1_.has_dyn_sized_stack, 0
	.set _ZN2at6native12_GLOBAL__N_125multi_tensor_apply_kernelINS1_18TensorListMetadataILi1EEENS1_14UnaryOpFunctorIfLi1ELi1ELi0EEEJNS0_3AbsIfEEEEEvT_T0_DpT1_.has_recursion, 0
	.set _ZN2at6native12_GLOBAL__N_125multi_tensor_apply_kernelINS1_18TensorListMetadataILi1EEENS1_14UnaryOpFunctorIfLi1ELi1ELi0EEEJNS0_3AbsIfEEEEEvT_T0_DpT1_.has_indirect_call, 0
	.section	.AMDGPU.csdata,"",@progbits
; Kernel info:
; codeLenInByte = 1304
; TotalNumSgprs: 24
; NumVgprs: 24
; ScratchSize: 0
; MemoryBound: 0
; FloatMode: 240
; IeeeMode: 1
; LDSByteSize: 0 bytes/workgroup (compile time only)
; SGPRBlocks: 0
; VGPRBlocks: 1
; NumSGPRsForWavesPerEU: 24
; NumVGPRsForWavesPerEU: 24
; NamedBarCnt: 0
; Occupancy: 16
; WaveLimiterHint : 0
; COMPUTE_PGM_RSRC2:SCRATCH_EN: 0
; COMPUTE_PGM_RSRC2:USER_SGPR: 2
; COMPUTE_PGM_RSRC2:TRAP_HANDLER: 0
; COMPUTE_PGM_RSRC2:TGID_X_EN: 1
; COMPUTE_PGM_RSRC2:TGID_Y_EN: 0
; COMPUTE_PGM_RSRC2:TGID_Z_EN: 0
; COMPUTE_PGM_RSRC2:TIDIG_COMP_CNT: 0
	.section	.text._ZN2at6native12_GLOBAL__N_125multi_tensor_apply_kernelINS1_18TensorListMetadataILi1EEENS1_14UnaryOpFunctorIN3c107complexIdEELi1ELi1ELi0EEEJNS0_3AbsIS8_EEEEEvT_T0_DpT1_,"axG",@progbits,_ZN2at6native12_GLOBAL__N_125multi_tensor_apply_kernelINS1_18TensorListMetadataILi1EEENS1_14UnaryOpFunctorIN3c107complexIdEELi1ELi1ELi0EEEJNS0_3AbsIS8_EEEEEvT_T0_DpT1_,comdat
	.globl	_ZN2at6native12_GLOBAL__N_125multi_tensor_apply_kernelINS1_18TensorListMetadataILi1EEENS1_14UnaryOpFunctorIN3c107complexIdEELi1ELi1ELi0EEEJNS0_3AbsIS8_EEEEEvT_T0_DpT1_ ; -- Begin function _ZN2at6native12_GLOBAL__N_125multi_tensor_apply_kernelINS1_18TensorListMetadataILi1EEENS1_14UnaryOpFunctorIN3c107complexIdEELi1ELi1ELi0EEEJNS0_3AbsIS8_EEEEEvT_T0_DpT1_
	.p2align	8
	.type	_ZN2at6native12_GLOBAL__N_125multi_tensor_apply_kernelINS1_18TensorListMetadataILi1EEENS1_14UnaryOpFunctorIN3c107complexIdEELi1ELi1ELi0EEEJNS0_3AbsIS8_EEEEEvT_T0_DpT1_,@function
_ZN2at6native12_GLOBAL__N_125multi_tensor_apply_kernelINS1_18TensorListMetadataILi1EEENS1_14UnaryOpFunctorIN3c107complexIdEELi1ELi1ELi0EEEJNS0_3AbsIS8_EEEEEvT_T0_DpT1_: ; @_ZN2at6native12_GLOBAL__N_125multi_tensor_apply_kernelINS1_18TensorListMetadataILi1EEENS1_14UnaryOpFunctorIN3c107complexIdEELi1ELi1ELi0EEEJNS0_3AbsIS8_EEEEEvT_T0_DpT1_
; %bb.0:
	s_bfe_u32 s2, ttmp6, 0x4000c
	s_and_b32 s3, ttmp6, 15
	s_add_co_i32 s2, s2, 1
	s_getreg_b32 s4, hwreg(HW_REG_IB_STS2, 6, 4)
	s_mul_i32 s2, ttmp9, s2
	s_delay_alu instid0(SALU_CYCLE_1)
	s_add_co_i32 s3, s3, s2
	s_cmp_eq_u32 s4, 0
	s_cselect_b32 s2, ttmp9, s3
	s_mov_b32 s3, 0
	s_load_u8 s8, s[0:1], s2 offset:0x6e0
	s_add_nc_u64 s[4:5], s[0:1], s[2:3]
	s_mul_u64 s[6:7], s[2:3], 3
	s_delay_alu instid0(SALU_CYCLE_1)
	s_add_nc_u64 s[4:5], s[4:5], s[6:7]
	s_load_b32 s10, s[4:5], 0x820
	s_wait_kmcnt 0x0
	s_clause 0x1
	s_load_b64 s[6:7], s[0:1], s8 offset:0x0 scale_offset
	s_load_b64 s[14:15], s[0:1], s8 offset:0x370 scale_offset
	s_ashr_i32 s11, s10, 31
	s_wait_xcnt 0x0
	s_lshl_b64 s[8:9], s[10:11], 20
	s_wait_kmcnt 0x0
	s_and_b32 s2, s14, 3
	s_add_nc_u64 s[12:13], s[6:7], s[8:9]
	s_delay_alu instid0(SALU_CYCLE_1) | instskip(NEXT) | instid1(SALU_CYCLE_1)
	s_and_b64 s[4:5], s[12:13], 63
	s_or_b64 s[2:3], s[4:5], s[2:3]
	s_lshl_b64 s[4:5], s[10:11], 16
	s_cmp_eq_u64 s[2:3], 0
	s_sub_nc_u64 s[10:11], s[14:15], s[4:5]
	s_cbranch_scc1 .LBB346_21
; %bb.1:
	v_cmp_lt_i64_e64 s2, s[10:11], 1
	s_and_b32 vcc_lo, exec_lo, s2
	s_cbranch_vccnz .LBB346_20
; %bb.2:
	s_load_b32 s2, s[0:1], 0xd3c
	v_min_i64 v[22:23], 0x10000, s[10:11]
	v_min_u64 v[24:25], 0x10000, s[10:11]
	v_dual_mov_b32 v4, 0 :: v_dual_lshlrev_b32 v26, 4, v0
	s_mov_b32 s3, 0
	s_delay_alu instid0(SALU_CYCLE_1) | instskip(NEXT) | instid1(VALU_DEP_1)
	s_mov_b32 s5, s3
	v_dual_mov_b32 v27, v4 :: v_dual_mov_b32 v1, v4
	s_mov_b32 s19, s3
	s_mov_b32 s15, s3
	;; [unrolled: 1-line block ×3, first 2 shown]
	s_wait_kmcnt 0x0
	s_and_b32 s2, s2, 0xffff
	s_delay_alu instid0(SALU_CYCLE_1)
	v_mad_nc_u64_u32 v[28:29], s2, 48, v[26:27]
	s_lshl_b32 s4, s2, 1
	s_mul_i32 s18, s2, 3
	s_lshl_b32 s14, s2, 2
	s_lshl_b32 s16, s2, 6
	v_add_nc_u64_e32 v[30:31], s[2:3], v[0:1]
	s_lshl_b32 s2, s2, 5
	v_add_nc_u64_e32 v[36:37], s[18:19], v[0:1]
	v_add_nc_u64_e32 v[32:33], s[2:3], v[26:27]
	;; [unrolled: 1-line block ×3, first 2 shown]
	v_dual_mov_b32 v35, v4 :: v_dual_bitop2_b32 v28, 8, v28 bitop3:0x54
	v_lshlrev_b32_e32 v34, 4, v30
	s_mov_b64 s[18:19], 0
	s_delay_alu instid0(VALU_DEP_4)
	v_or_b32_e32 v32, 8, v32
	s_branch .LBB346_4
.LBB346_3:                              ;   in Loop: Header=BB346_4 Depth=1
	s_wait_xcnt 0x0
	s_or_b32 exec_lo, exec_lo, s2
	s_add_nc_u64 s[18:19], s[18:19], s[14:15]
	s_add_nc_u64 s[12:13], s[12:13], s[16:17]
	v_cmp_lt_i64_e32 vcc_lo, s[18:19], v[22:23]
	s_cbranch_vccz .LBB346_20
.LBB346_4:                              ; =>This Inner Loop Header: Depth=1
	v_add_nc_u64_e32 v[2:3], s[18:19], v[0:1]
	s_wait_loadcnt 0x0
	v_mov_b64_e32 v[12:13], 0
	v_add_nc_u64_e32 v[46:47], s[12:13], v[26:27]
	v_mov_b64_e32 v[20:21], 0
	v_mov_b64_e32 v[18:19], 0
	v_cmp_lt_u64_e64 s4, v[2:3], v[24:25]
	s_and_saveexec_b32 s2, s4
	s_cbranch_execz .LBB346_6
; %bb.5:                                ;   in Loop: Header=BB346_4 Depth=1
	global_load_b128 v[18:21], v[46:47], off
.LBB346_6:                              ;   in Loop: Header=BB346_4 Depth=1
	s_wait_xcnt 0x0
	s_or_b32 exec_lo, exec_lo, s2
	v_add_nc_u64_e32 v[2:3], s[18:19], v[30:31]
	v_add_nc_u64_e32 v[44:45], s[12:13], v[34:35]
	v_mov_b64_e32 v[10:11], 0
	s_delay_alu instid0(VALU_DEP_3)
	v_cmp_lt_u64_e64 s3, v[2:3], v[24:25]
	s_and_saveexec_b32 s2, s3
	s_cbranch_execz .LBB346_8
; %bb.7:                                ;   in Loop: Header=BB346_4 Depth=1
	global_load_b128 v[10:13], v[44:45], off
.LBB346_8:                              ;   in Loop: Header=BB346_4 Depth=1
	s_wait_xcnt 0x0
	s_or_b32 exec_lo, exec_lo, s2
	v_add_nc_u64_e32 v[2:3], s[18:19], v[38:39]
	v_mov_b64_e32 v[8:9], 0
	v_add_nc_u64_e32 v[42:43], s[12:13], v[32:33]
	v_mov_b64_e32 v[16:17], 0
	v_mov_b64_e32 v[14:15], 0
	v_cmp_lt_u64_e64 s2, v[2:3], v[24:25]
	s_and_saveexec_b32 s5, s2
	s_cbranch_execz .LBB346_10
; %bb.9:                                ;   in Loop: Header=BB346_4 Depth=1
	global_load_b128 v[14:17], v[42:43], off offset:-8
.LBB346_10:                             ;   in Loop: Header=BB346_4 Depth=1
	s_wait_xcnt 0x0
	s_or_b32 exec_lo, exec_lo, s5
	v_add_nc_u64_e32 v[2:3], s[18:19], v[36:37]
	v_add_nc_u64_e32 v[40:41], s[12:13], v[28:29]
	v_mov_b64_e32 v[6:7], 0
	s_delay_alu instid0(VALU_DEP_3)
	v_cmp_lt_u64_e32 vcc_lo, v[2:3], v[24:25]
	s_and_saveexec_b32 s5, vcc_lo
	s_cbranch_execnz .LBB346_15
; %bb.11:                               ;   in Loop: Header=BB346_4 Depth=1
	s_or_b32 exec_lo, exec_lo, s5
	s_and_saveexec_b32 s5, s4
	s_cbranch_execnz .LBB346_16
.LBB346_12:                             ;   in Loop: Header=BB346_4 Depth=1
	s_or_b32 exec_lo, exec_lo, s5
	s_and_saveexec_b32 s4, s3
	s_cbranch_execnz .LBB346_17
.LBB346_13:                             ;   in Loop: Header=BB346_4 Depth=1
	s_or_b32 exec_lo, exec_lo, s4
	s_and_saveexec_b32 s3, s2
	s_cbranch_execnz .LBB346_18
.LBB346_14:                             ;   in Loop: Header=BB346_4 Depth=1
	s_or_b32 exec_lo, exec_lo, s3
	s_and_saveexec_b32 s2, vcc_lo
	s_cbranch_execz .LBB346_3
	s_branch .LBB346_19
.LBB346_15:                             ;   in Loop: Header=BB346_4 Depth=1
	global_load_b128 v[6:9], v[40:41], off offset:-8
	s_wait_xcnt 0x0
	s_or_b32 exec_lo, exec_lo, s5
	s_and_saveexec_b32 s5, s4
	s_cbranch_execz .LBB346_12
.LBB346_16:                             ;   in Loop: Header=BB346_4 Depth=1
	s_wait_loadcnt 0x0
	v_max_num_f64_e64 v[2:3], |v[20:21]|, |v[20:21]|
	v_max_num_f64_e64 v[48:49], |v[18:19]|, |v[18:19]|
	v_cmp_class_f64_e64 s20, v[18:19], 0x204
	v_cmp_class_f64_e64 s21, v[20:21], 0x204
	s_delay_alu instid0(VALU_DEP_3) | instskip(NEXT) | instid1(VALU_DEP_1)
	v_max_num_f64_e32 v[2:3], v[48:49], v[2:3]
	v_frexp_exp_i32_f64_e32 v5, v[2:3]
	s_delay_alu instid0(VALU_DEP_1) | instskip(NEXT) | instid1(VALU_DEP_1)
	v_sub_nc_u32_e32 v48, 0, v5
	v_ldexp_f64 v[2:3], |v[20:21]|, v48
	v_ldexp_f64 v[48:49], |v[18:19]|, v48
	s_delay_alu instid0(VALU_DEP_2) | instskip(NEXT) | instid1(VALU_DEP_1)
	v_mul_f64_e32 v[2:3], v[2:3], v[2:3]
	v_fmac_f64_e32 v[2:3], v[48:49], v[48:49]
	s_delay_alu instid0(VALU_DEP_1) | instskip(SKIP_1) | instid1(TRANS32_DEP_1)
	v_rsq_f64_e32 v[48:49], v[2:3]
	v_cmp_eq_f64_e64 s4, 0, v[2:3]
	v_mul_f64_e32 v[50:51], v[2:3], v[48:49]
	v_mul_f64_e32 v[48:49], 0.5, v[48:49]
	s_delay_alu instid0(VALU_DEP_1) | instskip(NEXT) | instid1(VALU_DEP_1)
	v_fma_f64 v[52:53], -v[48:49], v[50:51], 0.5
	v_fmac_f64_e32 v[50:51], v[50:51], v[52:53]
	v_fmac_f64_e32 v[48:49], v[48:49], v[52:53]
	s_delay_alu instid0(VALU_DEP_2) | instskip(NEXT) | instid1(VALU_DEP_1)
	v_fma_f64 v[52:53], -v[50:51], v[50:51], v[2:3]
	v_fmac_f64_e32 v[50:51], v[52:53], v[48:49]
	s_delay_alu instid0(VALU_DEP_1) | instskip(SKIP_1) | instid1(VALU_DEP_2)
	v_dual_cndmask_b32 v3, v51, v3, s4 :: v_dual_cndmask_b32 v2, v50, v2, s4
	v_cmp_o_f64_e64 s4, v[18:19], v[20:21]
	v_ldexp_f64 v[2:3], v[2:3], v5
	s_delay_alu instid0(VALU_DEP_1) | instskip(NEXT) | instid1(VALU_DEP_2)
	v_dual_mov_b32 v5, v4 :: v_dual_cndmask_b32 v2, 0, v2, s4
	v_cndmask_b32_e64 v3, 0x7ff80000, v3, s4
	s_or_b32 s4, s21, s20
	s_delay_alu instid0(VALU_DEP_2) | instid1(SALU_CYCLE_1)
	v_cndmask_b32_e64 v2, v2, 0, s4
	s_delay_alu instid0(VALU_DEP_2)
	v_cndmask_b32_e64 v3, v3, 0x7ff00000, s4
	global_store_b128 v[46:47], v[2:5], off
	s_wait_xcnt 0x0
	s_or_b32 exec_lo, exec_lo, s5
	s_and_saveexec_b32 s4, s3
	s_cbranch_execz .LBB346_13
.LBB346_17:                             ;   in Loop: Header=BB346_4 Depth=1
	s_wait_loadcnt 0x0
	v_max_num_f64_e64 v[2:3], |v[12:13]|, |v[12:13]|
	v_max_num_f64_e64 v[18:19], |v[10:11]|, |v[10:11]|
	v_cmp_class_f64_e64 s5, v[10:11], 0x204
	v_cmp_class_f64_e64 s20, v[12:13], 0x204
	s_delay_alu instid0(VALU_DEP_3) | instskip(NEXT) | instid1(VALU_DEP_1)
	v_max_num_f64_e32 v[2:3], v[18:19], v[2:3]
	v_frexp_exp_i32_f64_e32 v5, v[2:3]
	s_delay_alu instid0(VALU_DEP_1) | instskip(NEXT) | instid1(VALU_DEP_1)
	v_sub_nc_u32_e32 v18, 0, v5
	v_ldexp_f64 v[2:3], |v[12:13]|, v18
	v_ldexp_f64 v[18:19], |v[10:11]|, v18
	s_delay_alu instid0(VALU_DEP_2) | instskip(NEXT) | instid1(VALU_DEP_1)
	v_mul_f64_e32 v[2:3], v[2:3], v[2:3]
	v_fmac_f64_e32 v[2:3], v[18:19], v[18:19]
	s_delay_alu instid0(VALU_DEP_1) | instskip(SKIP_1) | instid1(TRANS32_DEP_1)
	v_rsq_f64_e32 v[18:19], v[2:3]
	v_cmp_eq_f64_e64 s3, 0, v[2:3]
	v_mul_f64_e32 v[20:21], v[2:3], v[18:19]
	v_mul_f64_e32 v[18:19], 0.5, v[18:19]
	s_delay_alu instid0(VALU_DEP_1) | instskip(NEXT) | instid1(VALU_DEP_1)
	v_fma_f64 v[46:47], -v[18:19], v[20:21], 0.5
	v_fmac_f64_e32 v[20:21], v[20:21], v[46:47]
	v_fmac_f64_e32 v[18:19], v[18:19], v[46:47]
	s_delay_alu instid0(VALU_DEP_2) | instskip(NEXT) | instid1(VALU_DEP_1)
	v_fma_f64 v[46:47], -v[20:21], v[20:21], v[2:3]
	v_fmac_f64_e32 v[20:21], v[46:47], v[18:19]
	s_delay_alu instid0(VALU_DEP_1) | instskip(SKIP_1) | instid1(VALU_DEP_2)
	v_dual_cndmask_b32 v3, v21, v3, s3 :: v_dual_cndmask_b32 v2, v20, v2, s3
	v_cmp_o_f64_e64 s3, v[10:11], v[12:13]
	v_ldexp_f64 v[2:3], v[2:3], v5
	s_delay_alu instid0(VALU_DEP_1) | instskip(NEXT) | instid1(VALU_DEP_2)
	v_dual_mov_b32 v5, v4 :: v_dual_cndmask_b32 v2, 0, v2, s3
	v_cndmask_b32_e64 v3, 0x7ff80000, v3, s3
	s_or_b32 s3, s20, s5
	s_delay_alu instid0(VALU_DEP_2) | instid1(SALU_CYCLE_1)
	v_cndmask_b32_e64 v2, v2, 0, s3
	s_delay_alu instid0(VALU_DEP_2)
	v_cndmask_b32_e64 v3, v3, 0x7ff00000, s3
	global_store_b128 v[44:45], v[2:5], off
	s_wait_xcnt 0x0
	s_or_b32 exec_lo, exec_lo, s4
	s_and_saveexec_b32 s3, s2
	s_cbranch_execz .LBB346_14
.LBB346_18:                             ;   in Loop: Header=BB346_4 Depth=1
	s_wait_loadcnt 0x0
	v_max_num_f64_e64 v[2:3], |v[16:17]|, |v[16:17]|
	v_max_num_f64_e64 v[10:11], |v[14:15]|, |v[14:15]|
	v_cmp_class_f64_e64 s4, v[14:15], 0x204
	v_cmp_class_f64_e64 s5, v[16:17], 0x204
	s_delay_alu instid0(VALU_DEP_3) | instskip(NEXT) | instid1(VALU_DEP_1)
	v_max_num_f64_e32 v[2:3], v[10:11], v[2:3]
	v_frexp_exp_i32_f64_e32 v5, v[2:3]
	s_delay_alu instid0(VALU_DEP_1) | instskip(NEXT) | instid1(VALU_DEP_1)
	v_sub_nc_u32_e32 v10, 0, v5
	v_ldexp_f64 v[2:3], |v[16:17]|, v10
	v_ldexp_f64 v[10:11], |v[14:15]|, v10
	s_delay_alu instid0(VALU_DEP_2) | instskip(NEXT) | instid1(VALU_DEP_1)
	v_mul_f64_e32 v[2:3], v[2:3], v[2:3]
	v_fmac_f64_e32 v[2:3], v[10:11], v[10:11]
	s_delay_alu instid0(VALU_DEP_1) | instskip(SKIP_1) | instid1(TRANS32_DEP_1)
	v_rsq_f64_e32 v[10:11], v[2:3]
	v_cmp_eq_f64_e64 s2, 0, v[2:3]
	v_mul_f64_e32 v[12:13], v[2:3], v[10:11]
	v_mul_f64_e32 v[10:11], 0.5, v[10:11]
	s_delay_alu instid0(VALU_DEP_1) | instskip(NEXT) | instid1(VALU_DEP_1)
	v_fma_f64 v[18:19], -v[10:11], v[12:13], 0.5
	v_fmac_f64_e32 v[12:13], v[12:13], v[18:19]
	v_fmac_f64_e32 v[10:11], v[10:11], v[18:19]
	s_delay_alu instid0(VALU_DEP_2) | instskip(NEXT) | instid1(VALU_DEP_1)
	v_fma_f64 v[18:19], -v[12:13], v[12:13], v[2:3]
	v_fmac_f64_e32 v[12:13], v[18:19], v[10:11]
	s_delay_alu instid0(VALU_DEP_1) | instskip(SKIP_1) | instid1(VALU_DEP_2)
	v_dual_cndmask_b32 v3, v13, v3, s2 :: v_dual_cndmask_b32 v2, v12, v2, s2
	v_cmp_o_f64_e64 s2, v[14:15], v[16:17]
	v_ldexp_f64 v[2:3], v[2:3], v5
	s_delay_alu instid0(VALU_DEP_1) | instskip(NEXT) | instid1(VALU_DEP_2)
	v_dual_mov_b32 v5, v4 :: v_dual_cndmask_b32 v2, 0, v2, s2
	v_cndmask_b32_e64 v3, 0x7ff80000, v3, s2
	s_or_b32 s2, s5, s4
	s_delay_alu instid0(VALU_DEP_2) | instid1(SALU_CYCLE_1)
	v_cndmask_b32_e64 v2, v2, 0, s2
	s_delay_alu instid0(VALU_DEP_2)
	v_cndmask_b32_e64 v3, v3, 0x7ff00000, s2
	global_store_b128 v[42:43], v[2:5], off offset:-8
	s_wait_xcnt 0x0
	s_or_b32 exec_lo, exec_lo, s3
	s_and_saveexec_b32 s2, vcc_lo
	s_cbranch_execz .LBB346_3
.LBB346_19:                             ;   in Loop: Header=BB346_4 Depth=1
	s_wait_loadcnt 0x0
	v_max_num_f64_e64 v[2:3], |v[8:9]|, |v[8:9]|
	v_max_num_f64_e64 v[10:11], |v[6:7]|, |v[6:7]|
	v_cmp_class_f64_e64 s3, v[6:7], 0x204
	v_cmp_class_f64_e64 s4, v[8:9], 0x204
	s_delay_alu instid0(VALU_DEP_3) | instskip(SKIP_1) | instid1(VALU_DEP_1)
	v_max_num_f64_e32 v[2:3], v[10:11], v[2:3]
	s_or_b32 s3, s4, s3
	v_frexp_exp_i32_f64_e32 v5, v[2:3]
	s_delay_alu instid0(VALU_DEP_1) | instskip(NEXT) | instid1(VALU_DEP_1)
	v_sub_nc_u32_e32 v10, 0, v5
	v_ldexp_f64 v[2:3], |v[8:9]|, v10
	v_ldexp_f64 v[10:11], |v[6:7]|, v10
	s_delay_alu instid0(VALU_DEP_2) | instskip(NEXT) | instid1(VALU_DEP_1)
	v_mul_f64_e32 v[2:3], v[2:3], v[2:3]
	v_fmac_f64_e32 v[2:3], v[10:11], v[10:11]
	s_delay_alu instid0(VALU_DEP_1) | instskip(SKIP_1) | instid1(TRANS32_DEP_1)
	v_rsq_f64_e32 v[10:11], v[2:3]
	v_cmp_eq_f64_e32 vcc_lo, 0, v[2:3]
	v_mul_f64_e32 v[12:13], v[2:3], v[10:11]
	v_mul_f64_e32 v[10:11], 0.5, v[10:11]
	s_delay_alu instid0(VALU_DEP_1) | instskip(NEXT) | instid1(VALU_DEP_1)
	v_fma_f64 v[14:15], -v[10:11], v[12:13], 0.5
	v_fmac_f64_e32 v[12:13], v[12:13], v[14:15]
	v_fmac_f64_e32 v[10:11], v[10:11], v[14:15]
	s_delay_alu instid0(VALU_DEP_2) | instskip(NEXT) | instid1(VALU_DEP_1)
	v_fma_f64 v[14:15], -v[12:13], v[12:13], v[2:3]
	v_fmac_f64_e32 v[12:13], v[14:15], v[10:11]
	s_delay_alu instid0(VALU_DEP_1) | instskip(SKIP_1) | instid1(VALU_DEP_2)
	v_dual_cndmask_b32 v3, v13, v3 :: v_dual_cndmask_b32 v2, v12, v2
	v_cmp_o_f64_e32 vcc_lo, v[6:7], v[8:9]
	v_ldexp_f64 v[2:3], v[2:3], v5
	s_delay_alu instid0(VALU_DEP_1) | instskip(NEXT) | instid1(VALU_DEP_2)
	v_dual_mov_b32 v5, v4 :: v_dual_cndmask_b32 v2, 0, v2
	v_cndmask_b32_e32 v3, 0x7ff80000, v3, vcc_lo
	s_delay_alu instid0(VALU_DEP_2) | instskip(NEXT) | instid1(VALU_DEP_2)
	v_cndmask_b32_e64 v2, v2, 0, s3
	v_cndmask_b32_e64 v3, v3, 0x7ff00000, s3
	global_store_b128 v[40:41], v[2:5], off offset:-8
	s_branch .LBB346_3
.LBB346_20:
	s_cbranch_execz .LBB346_22
	s_branch .LBB346_25
.LBB346_21:
.LBB346_22:
	s_wait_loadcnt 0x0
	v_min_i64 v[6:7], 0x10000, s[10:11]
	v_dual_mov_b32 v4, 0 :: v_dual_lshlrev_b32 v2, 2, v0
	s_mov_b32 s2, exec_lo
	s_delay_alu instid0(VALU_DEP_1) | instskip(NEXT) | instid1(VALU_DEP_1)
	v_mov_b32_e32 v3, v4
	v_cmpx_lt_i64_e64 v[2:3], v[6:7]
	s_cbranch_execz .LBB346_25
; %bb.23:
	s_load_b32 s2, s[0:1], 0xd3c
	v_dual_mov_b32 v3, v4 :: v_dual_lshlrev_b32 v2, 6, v0
	s_wait_xcnt 0x0
	s_add_nc_u64 s[0:1], s[6:7], s[8:9]
	v_mov_b32_e32 v1, v4
	s_mov_b32 s5, 0
	v_add_nc_u64_e32 v[8:9], s[0:1], v[2:3]
	s_mov_b32 s7, s5
	s_mov_b32 s3, s5
	s_wait_kmcnt 0x0
	s_and_b32 s4, s2, 0xffff
	s_delay_alu instid0(SALU_CYCLE_1)
	s_lshl_b32 s6, s4, 6
.LBB346_24:                             ; =>This Inner Loop Header: Depth=1
	s_clause 0x3
	global_load_b128 v[10:13], v[8:9], off
	global_load_b128 v[14:17], v[8:9], off offset:16
	global_load_b128 v[18:21], v[8:9], off offset:32
	;; [unrolled: 1-line block ×3, first 2 shown]
	v_add_nc_u64_e32 v[0:1], s[4:5], v[0:1]
	s_wait_loadcnt 0x3
	v_max_num_f64_e64 v[2:3], |v[12:13]|, |v[12:13]|
	v_max_num_f64_e64 v[26:27], |v[10:11]|, |v[10:11]|
	s_wait_loadcnt 0x2
	v_max_num_f64_e64 v[28:29], |v[16:17]|, |v[16:17]|
	v_max_num_f64_e64 v[30:31], |v[14:15]|, |v[14:15]|
	;; [unrolled: 3-line block ×3, first 2 shown]
	v_max_num_f64_e64 v[34:35], |v[18:19]|, |v[18:19]|
	v_cmp_class_f64_e64 s9, v[12:13], 0x204
	v_cmp_class_f64_e64 s11, v[16:17], 0x204
	;; [unrolled: 1-line block ×8, first 2 shown]
	v_max_num_f64_e32 v[2:3], v[26:27], v[2:3]
	v_max_num_f64_e64 v[26:27], |v[22:23]|, |v[22:23]|
	v_max_num_f64_e32 v[28:29], v[30:31], v[28:29]
	v_max_num_f64_e32 v[30:31], v[34:35], v[32:33]
	s_delay_alu instid0(VALU_DEP_4) | instskip(NEXT) | instid1(VALU_DEP_4)
	v_frexp_exp_i32_f64_e32 v5, v[2:3]
	v_max_num_f64_e32 v[2:3], v[26:27], v[36:37]
	s_delay_alu instid0(VALU_DEP_4) | instskip(NEXT) | instid1(VALU_DEP_4)
	v_frexp_exp_i32_f64_e32 v54, v[28:29]
	v_frexp_exp_i32_f64_e32 v55, v[30:31]
	s_delay_alu instid0(VALU_DEP_4) | instskip(NEXT) | instid1(VALU_DEP_4)
	v_sub_nc_u32_e32 v28, 0, v5
	v_frexp_exp_i32_f64_e32 v56, v[2:3]
	s_delay_alu instid0(VALU_DEP_3) | instskip(NEXT) | instid1(VALU_DEP_3)
	v_dual_sub_nc_u32 v34, 0, v54 :: v_dual_sub_nc_u32 v36, 0, v55
	v_ldexp_f64 v[2:3], |v[12:13]|, v28
	v_ldexp_f64 v[28:29], |v[10:11]|, v28
	s_delay_alu instid0(VALU_DEP_3) | instskip(SKIP_4) | instid1(VALU_DEP_1)
	v_ldexp_f64 v[26:27], |v[16:17]|, v34
	v_ldexp_f64 v[34:35], |v[14:15]|, v34
	;; [unrolled: 1-line block ×4, first 2 shown]
	v_dual_mul_f64 v[2:3], v[2:3], v[2:3] :: v_dual_sub_nc_u32 v38, 0, v56
	v_ldexp_f64 v[32:33], |v[24:25]|, v38
	s_delay_alu instid0(VALU_DEP_4) | instskip(NEXT) | instid1(VALU_DEP_3)
	v_mul_f64_e32 v[30:31], v[30:31], v[30:31]
	v_fmac_f64_e32 v[2:3], v[28:29], v[28:29]
	v_ldexp_f64 v[28:29], |v[22:23]|, v38
	s_delay_alu instid0(VALU_DEP_4) | instskip(NEXT) | instid1(VALU_DEP_3)
	v_mul_f64_e32 v[32:33], v[32:33], v[32:33]
	v_cmp_eq_f64_e32 vcc_lo, 0, v[2:3]
	s_delay_alu instid0(VALU_DEP_2) | instskip(NEXT) | instid1(VALU_DEP_1)
	v_fmac_f64_e32 v[32:33], v[28:29], v[28:29]
	v_cmp_eq_f64_e64 s2, 0, v[32:33]
	v_mul_f64_e32 v[26:27], v[26:27], v[26:27]
	v_rsq_f64_e32 v[38:39], v[32:33]
	s_delay_alu instid0(VALU_DEP_1) | instskip(SKIP_1) | instid1(TRANS32_DEP_2)
	v_fmac_f64_e32 v[26:27], v[34:35], v[34:35]
	v_rsq_f64_e32 v[34:35], v[2:3]
	v_mul_f64_e32 v[48:49], v[32:33], v[38:39]
	v_mul_f64_e32 v[38:39], 0.5, v[38:39]
	s_delay_alu instid0(VALU_DEP_3) | instskip(SKIP_1) | instid1(TRANS32_DEP_2)
	v_rsq_f64_e32 v[28:29], v[26:27]
	v_cmp_eq_f64_e64 s0, 0, v[26:27]
	v_mul_f64_e32 v[40:41], v[2:3], v[34:35]
	v_mul_f64_e32 v[34:35], 0.5, v[34:35]
	s_delay_alu instid0(TRANS32_DEP_1) | instskip(SKIP_1) | instid1(VALU_DEP_3)
	v_mul_f64_e32 v[42:43], v[26:27], v[28:29]
	v_mul_f64_e32 v[28:29], 0.5, v[28:29]
	v_fma_f64 v[46:47], -v[34:35], v[40:41], 0.5
	s_delay_alu instid0(VALU_DEP_2) | instskip(NEXT) | instid1(VALU_DEP_2)
	v_fma_f64 v[50:51], -v[28:29], v[42:43], 0.5
	v_fmac_f64_e32 v[40:41], v[40:41], v[46:47]
	v_fmac_f64_e32 v[34:35], v[34:35], v[46:47]
	s_delay_alu instid0(VALU_DEP_3) | instskip(SKIP_1) | instid1(VALU_DEP_4)
	v_fmac_f64_e32 v[42:43], v[42:43], v[50:51]
	v_fmac_f64_e32 v[28:29], v[28:29], v[50:51]
	v_fma_f64 v[50:51], -v[40:41], v[40:41], v[2:3]
	s_delay_alu instid0(VALU_DEP_1) | instskip(NEXT) | instid1(VALU_DEP_1)
	v_fmac_f64_e32 v[40:41], v[50:51], v[34:35]
	v_dual_cndmask_b32 v3, v41, v3 :: v_dual_cndmask_b32 v2, v40, v2
	v_cmp_o_f64_e32 vcc_lo, v[10:11], v[12:13]
	v_dual_mov_b32 v12, v4 :: v_dual_mov_b32 v13, v4
	s_delay_alu instid0(VALU_DEP_3) | instskip(SKIP_2) | instid1(VALU_DEP_3)
	v_ldexp_f64 v[2:3], v[2:3], v5
	v_mov_b32_e32 v5, v4
	v_fmac_f64_e32 v[30:31], v[36:37], v[36:37]
	v_cndmask_b32_e32 v2, 0, v2, vcc_lo
	s_delay_alu instid0(VALU_DEP_4) | instskip(NEXT) | instid1(VALU_DEP_3)
	v_cndmask_b32_e32 v3, 0x7ff80000, v3, vcc_lo
	v_rsq_f64_e32 v[36:37], v[30:31]
	v_cmp_eq_f64_e64 s1, 0, v[30:31]
	s_delay_alu instid0(TRANS32_DEP_1) | instskip(SKIP_1) | instid1(VALU_DEP_1)
	v_mul_f64_e32 v[44:45], v[30:31], v[36:37]
	v_mul_f64_e32 v[36:37], 0.5, v[36:37]
	v_fma_f64 v[52:53], -v[36:37], v[44:45], 0.5
	s_delay_alu instid0(VALU_DEP_1) | instskip(SKIP_2) | instid1(VALU_DEP_1)
	v_fmac_f64_e32 v[44:45], v[44:45], v[52:53]
	v_fmac_f64_e32 v[36:37], v[36:37], v[52:53]
	v_fma_f64 v[52:53], -v[42:43], v[42:43], v[26:27]
	v_fmac_f64_e32 v[42:43], v[52:53], v[28:29]
	s_delay_alu instid0(VALU_DEP_1)
	v_dual_cndmask_b32 v27, v43, v27, s0 :: v_dual_cndmask_b32 v26, v42, v26, s0
	v_cmp_o_f64_e64 s0, v[14:15], v[16:17]
	v_mov_b32_e32 v16, v4
	v_fma_f64 v[46:47], -v[38:39], v[48:49], 0.5
	v_mov_b32_e32 v17, v4
	v_ldexp_f64 v[10:11], v[26:27], v54
	s_delay_alu instid0(VALU_DEP_3) | instskip(SKIP_1) | instid1(VALU_DEP_3)
	v_fmac_f64_e32 v[48:49], v[48:49], v[46:47]
	v_fmac_f64_e32 v[38:39], v[38:39], v[46:47]
	v_dual_fma_f64 v[46:47], -v[44:45], v[44:45], v[30:31] :: v_dual_cndmask_b32 v10, 0, v10, s0
	s_delay_alu instid0(VALU_DEP_4) | instskip(SKIP_1) | instid1(SALU_CYCLE_1)
	v_cndmask_b32_e64 v11, 0x7ff80000, v11, s0
	s_or_b32 s0, s8, s9
	v_cndmask_b32_e64 v3, v3, 0x7ff00000, s0
	v_cndmask_b32_e64 v2, v2, 0, s0
	s_or_b32 s0, s10, s11
	s_delay_alu instid0(SALU_CYCLE_1) | instskip(SKIP_3) | instid1(VALU_DEP_1)
	v_cndmask_b32_e64 v11, v11, 0x7ff00000, s0
	v_cndmask_b32_e64 v10, v10, 0, s0
	s_or_b32 s0, s12, s13
	v_fmac_f64_e32 v[44:45], v[46:47], v[36:37]
	v_dual_cndmask_b32 v29, v45, v31, s1 :: v_dual_cndmask_b32 v28, v44, v30, s1
	v_cmp_o_f64_e64 s1, v[18:19], v[20:21]
	v_dual_mov_b32 v20, v4 :: v_dual_mov_b32 v21, v4
	s_delay_alu instid0(VALU_DEP_3) | instskip(NEXT) | instid1(VALU_DEP_1)
	v_ldexp_f64 v[26:27], v[28:29], v55
	v_dual_fma_f64 v[34:35], -v[48:49], v[48:49], v[32:33] :: v_dual_cndmask_b32 v14, 0, v26, s1
	s_delay_alu instid0(VALU_DEP_1) | instskip(NEXT) | instid1(VALU_DEP_3)
	v_fmac_f64_e32 v[48:49], v[34:35], v[38:39]
	v_cndmask_b32_e64 v15, 0x7ff80000, v27, s1
	s_delay_alu instid0(VALU_DEP_3) | instskip(NEXT) | instid1(VALU_DEP_2)
	v_cndmask_b32_e64 v14, v14, 0, s0
	v_cndmask_b32_e64 v15, v15, 0x7ff00000, s0
	s_or_b32 s0, s14, s15
	s_delay_alu instid0(VALU_DEP_4) | instskip(SKIP_2) | instid1(VALU_DEP_3)
	v_dual_cndmask_b32 v31, v49, v33, s2 :: v_dual_cndmask_b32 v30, v48, v32, s2
	v_cmp_o_f64_e64 s2, v[22:23], v[24:25]
	v_lshlrev_b64_e32 v[22:23], 2, v[0:1]
	v_ldexp_f64 v[28:29], v[30:31], v56
	s_delay_alu instid0(VALU_DEP_2) | instskip(SKIP_1) | instid1(VALU_DEP_2)
	v_cmp_ge_i64_e32 vcc_lo, v[22:23], v[6:7]
	s_or_b32 s3, vcc_lo, s3
	v_cndmask_b32_e64 v18, 0, v28, s2
	s_delay_alu instid0(VALU_DEP_3) | instskip(NEXT) | instid1(VALU_DEP_2)
	v_cndmask_b32_e64 v19, 0x7ff80000, v29, s2
	v_cndmask_b32_e64 v18, v18, 0, s0
	s_delay_alu instid0(VALU_DEP_2)
	v_cndmask_b32_e64 v19, v19, 0x7ff00000, s0
	s_clause 0x3
	global_store_b128 v[8:9], v[2:5], off
	global_store_b128 v[8:9], v[10:13], off offset:16
	global_store_b128 v[8:9], v[14:17], off offset:32
	;; [unrolled: 1-line block ×3, first 2 shown]
	s_wait_xcnt 0x0
	v_add_nc_u64_e32 v[8:9], s[6:7], v[8:9]
	s_and_not1_b32 exec_lo, exec_lo, s3
	s_cbranch_execnz .LBB346_24
.LBB346_25:
	s_endpgm
	.section	.rodata,"a",@progbits
	.p2align	6, 0x0
	.amdhsa_kernel _ZN2at6native12_GLOBAL__N_125multi_tensor_apply_kernelINS1_18TensorListMetadataILi1EEENS1_14UnaryOpFunctorIN3c107complexIdEELi1ELi1ELi0EEEJNS0_3AbsIS8_EEEEEvT_T0_DpT1_
		.amdhsa_group_segment_fixed_size 0
		.amdhsa_private_segment_fixed_size 0
		.amdhsa_kernarg_size 3632
		.amdhsa_user_sgpr_count 2
		.amdhsa_user_sgpr_dispatch_ptr 0
		.amdhsa_user_sgpr_queue_ptr 0
		.amdhsa_user_sgpr_kernarg_segment_ptr 1
		.amdhsa_user_sgpr_dispatch_id 0
		.amdhsa_user_sgpr_kernarg_preload_length 0
		.amdhsa_user_sgpr_kernarg_preload_offset 0
		.amdhsa_user_sgpr_private_segment_size 0
		.amdhsa_wavefront_size32 1
		.amdhsa_uses_dynamic_stack 0
		.amdhsa_enable_private_segment 0
		.amdhsa_system_sgpr_workgroup_id_x 1
		.amdhsa_system_sgpr_workgroup_id_y 0
		.amdhsa_system_sgpr_workgroup_id_z 0
		.amdhsa_system_sgpr_workgroup_info 0
		.amdhsa_system_vgpr_workitem_id 0
		.amdhsa_next_free_vgpr 57
		.amdhsa_next_free_sgpr 22
		.amdhsa_named_barrier_count 0
		.amdhsa_reserve_vcc 1
		.amdhsa_float_round_mode_32 0
		.amdhsa_float_round_mode_16_64 0
		.amdhsa_float_denorm_mode_32 3
		.amdhsa_float_denorm_mode_16_64 3
		.amdhsa_fp16_overflow 0
		.amdhsa_memory_ordered 1
		.amdhsa_forward_progress 1
		.amdhsa_inst_pref_size 23
		.amdhsa_round_robin_scheduling 0
		.amdhsa_exception_fp_ieee_invalid_op 0
		.amdhsa_exception_fp_denorm_src 0
		.amdhsa_exception_fp_ieee_div_zero 0
		.amdhsa_exception_fp_ieee_overflow 0
		.amdhsa_exception_fp_ieee_underflow 0
		.amdhsa_exception_fp_ieee_inexact 0
		.amdhsa_exception_int_div_zero 0
	.end_amdhsa_kernel
	.section	.text._ZN2at6native12_GLOBAL__N_125multi_tensor_apply_kernelINS1_18TensorListMetadataILi1EEENS1_14UnaryOpFunctorIN3c107complexIdEELi1ELi1ELi0EEEJNS0_3AbsIS8_EEEEEvT_T0_DpT1_,"axG",@progbits,_ZN2at6native12_GLOBAL__N_125multi_tensor_apply_kernelINS1_18TensorListMetadataILi1EEENS1_14UnaryOpFunctorIN3c107complexIdEELi1ELi1ELi0EEEJNS0_3AbsIS8_EEEEEvT_T0_DpT1_,comdat
.Lfunc_end346:
	.size	_ZN2at6native12_GLOBAL__N_125multi_tensor_apply_kernelINS1_18TensorListMetadataILi1EEENS1_14UnaryOpFunctorIN3c107complexIdEELi1ELi1ELi0EEEJNS0_3AbsIS8_EEEEEvT_T0_DpT1_, .Lfunc_end346-_ZN2at6native12_GLOBAL__N_125multi_tensor_apply_kernelINS1_18TensorListMetadataILi1EEENS1_14UnaryOpFunctorIN3c107complexIdEELi1ELi1ELi0EEEJNS0_3AbsIS8_EEEEEvT_T0_DpT1_
                                        ; -- End function
	.set _ZN2at6native12_GLOBAL__N_125multi_tensor_apply_kernelINS1_18TensorListMetadataILi1EEENS1_14UnaryOpFunctorIN3c107complexIdEELi1ELi1ELi0EEEJNS0_3AbsIS8_EEEEEvT_T0_DpT1_.num_vgpr, 57
	.set _ZN2at6native12_GLOBAL__N_125multi_tensor_apply_kernelINS1_18TensorListMetadataILi1EEENS1_14UnaryOpFunctorIN3c107complexIdEELi1ELi1ELi0EEEJNS0_3AbsIS8_EEEEEvT_T0_DpT1_.num_agpr, 0
	.set _ZN2at6native12_GLOBAL__N_125multi_tensor_apply_kernelINS1_18TensorListMetadataILi1EEENS1_14UnaryOpFunctorIN3c107complexIdEELi1ELi1ELi0EEEJNS0_3AbsIS8_EEEEEvT_T0_DpT1_.numbered_sgpr, 22
	.set _ZN2at6native12_GLOBAL__N_125multi_tensor_apply_kernelINS1_18TensorListMetadataILi1EEENS1_14UnaryOpFunctorIN3c107complexIdEELi1ELi1ELi0EEEJNS0_3AbsIS8_EEEEEvT_T0_DpT1_.num_named_barrier, 0
	.set _ZN2at6native12_GLOBAL__N_125multi_tensor_apply_kernelINS1_18TensorListMetadataILi1EEENS1_14UnaryOpFunctorIN3c107complexIdEELi1ELi1ELi0EEEJNS0_3AbsIS8_EEEEEvT_T0_DpT1_.private_seg_size, 0
	.set _ZN2at6native12_GLOBAL__N_125multi_tensor_apply_kernelINS1_18TensorListMetadataILi1EEENS1_14UnaryOpFunctorIN3c107complexIdEELi1ELi1ELi0EEEJNS0_3AbsIS8_EEEEEvT_T0_DpT1_.uses_vcc, 1
	.set _ZN2at6native12_GLOBAL__N_125multi_tensor_apply_kernelINS1_18TensorListMetadataILi1EEENS1_14UnaryOpFunctorIN3c107complexIdEELi1ELi1ELi0EEEJNS0_3AbsIS8_EEEEEvT_T0_DpT1_.uses_flat_scratch, 0
	.set _ZN2at6native12_GLOBAL__N_125multi_tensor_apply_kernelINS1_18TensorListMetadataILi1EEENS1_14UnaryOpFunctorIN3c107complexIdEELi1ELi1ELi0EEEJNS0_3AbsIS8_EEEEEvT_T0_DpT1_.has_dyn_sized_stack, 0
	.set _ZN2at6native12_GLOBAL__N_125multi_tensor_apply_kernelINS1_18TensorListMetadataILi1EEENS1_14UnaryOpFunctorIN3c107complexIdEELi1ELi1ELi0EEEJNS0_3AbsIS8_EEEEEvT_T0_DpT1_.has_recursion, 0
	.set _ZN2at6native12_GLOBAL__N_125multi_tensor_apply_kernelINS1_18TensorListMetadataILi1EEENS1_14UnaryOpFunctorIN3c107complexIdEELi1ELi1ELi0EEEJNS0_3AbsIS8_EEEEEvT_T0_DpT1_.has_indirect_call, 0
	.section	.AMDGPU.csdata,"",@progbits
; Kernel info:
; codeLenInByte = 2876
; TotalNumSgprs: 24
; NumVgprs: 57
; ScratchSize: 0
; MemoryBound: 1
; FloatMode: 240
; IeeeMode: 1
; LDSByteSize: 0 bytes/workgroup (compile time only)
; SGPRBlocks: 0
; VGPRBlocks: 3
; NumSGPRsForWavesPerEU: 24
; NumVGPRsForWavesPerEU: 57
; NamedBarCnt: 0
; Occupancy: 16
; WaveLimiterHint : 0
; COMPUTE_PGM_RSRC2:SCRATCH_EN: 0
; COMPUTE_PGM_RSRC2:USER_SGPR: 2
; COMPUTE_PGM_RSRC2:TRAP_HANDLER: 0
; COMPUTE_PGM_RSRC2:TGID_X_EN: 1
; COMPUTE_PGM_RSRC2:TGID_Y_EN: 0
; COMPUTE_PGM_RSRC2:TGID_Z_EN: 0
; COMPUTE_PGM_RSRC2:TIDIG_COMP_CNT: 0
	.section	.text._ZN2at6native12_GLOBAL__N_125multi_tensor_apply_kernelINS1_18TensorListMetadataILi1EEENS1_14UnaryOpFunctorIN3c107complexIfEELi1ELi1ELi0EEEJNS0_3AbsIS8_EEEEEvT_T0_DpT1_,"axG",@progbits,_ZN2at6native12_GLOBAL__N_125multi_tensor_apply_kernelINS1_18TensorListMetadataILi1EEENS1_14UnaryOpFunctorIN3c107complexIfEELi1ELi1ELi0EEEJNS0_3AbsIS8_EEEEEvT_T0_DpT1_,comdat
	.globl	_ZN2at6native12_GLOBAL__N_125multi_tensor_apply_kernelINS1_18TensorListMetadataILi1EEENS1_14UnaryOpFunctorIN3c107complexIfEELi1ELi1ELi0EEEJNS0_3AbsIS8_EEEEEvT_T0_DpT1_ ; -- Begin function _ZN2at6native12_GLOBAL__N_125multi_tensor_apply_kernelINS1_18TensorListMetadataILi1EEENS1_14UnaryOpFunctorIN3c107complexIfEELi1ELi1ELi0EEEJNS0_3AbsIS8_EEEEEvT_T0_DpT1_
	.p2align	8
	.type	_ZN2at6native12_GLOBAL__N_125multi_tensor_apply_kernelINS1_18TensorListMetadataILi1EEENS1_14UnaryOpFunctorIN3c107complexIfEELi1ELi1ELi0EEEJNS0_3AbsIS8_EEEEEvT_T0_DpT1_,@function
_ZN2at6native12_GLOBAL__N_125multi_tensor_apply_kernelINS1_18TensorListMetadataILi1EEENS1_14UnaryOpFunctorIN3c107complexIfEELi1ELi1ELi0EEEJNS0_3AbsIS8_EEEEEvT_T0_DpT1_: ; @_ZN2at6native12_GLOBAL__N_125multi_tensor_apply_kernelINS1_18TensorListMetadataILi1EEENS1_14UnaryOpFunctorIN3c107complexIfEELi1ELi1ELi0EEEJNS0_3AbsIS8_EEEEEvT_T0_DpT1_
; %bb.0:
	s_bfe_u32 s2, ttmp6, 0x4000c
	s_and_b32 s3, ttmp6, 15
	s_add_co_i32 s2, s2, 1
	s_getreg_b32 s4, hwreg(HW_REG_IB_STS2, 6, 4)
	s_mul_i32 s2, ttmp9, s2
	s_delay_alu instid0(SALU_CYCLE_1)
	s_add_co_i32 s3, s3, s2
	s_cmp_eq_u32 s4, 0
	s_cselect_b32 s2, ttmp9, s3
	s_mov_b32 s3, 0
	s_load_u8 s8, s[0:1], s2 offset:0x6e0
	s_add_nc_u64 s[4:5], s[0:1], s[2:3]
	s_mul_u64 s[6:7], s[2:3], 3
	s_delay_alu instid0(SALU_CYCLE_1)
	s_add_nc_u64 s[4:5], s[4:5], s[6:7]
	s_load_b32 s10, s[4:5], 0x820
	s_wait_kmcnt 0x0
	s_clause 0x1
	s_load_b64 s[6:7], s[0:1], s8 offset:0x0 scale_offset
	s_load_b64 s[14:15], s[0:1], s8 offset:0x370 scale_offset
	s_ashr_i32 s11, s10, 31
	s_wait_xcnt 0x0
	s_lshl_b64 s[8:9], s[10:11], 19
	s_wait_kmcnt 0x0
	s_and_b32 s2, s14, 3
	s_add_nc_u64 s[12:13], s[6:7], s[8:9]
	s_delay_alu instid0(SALU_CYCLE_1) | instskip(NEXT) | instid1(SALU_CYCLE_1)
	s_and_b64 s[4:5], s[12:13], 31
	s_or_b64 s[2:3], s[4:5], s[2:3]
	s_lshl_b64 s[4:5], s[10:11], 16
	s_cmp_eq_u64 s[2:3], 0
	s_sub_nc_u64 s[10:11], s[14:15], s[4:5]
	s_cbranch_scc1 .LBB347_21
; %bb.1:
	v_cmp_lt_i64_e64 s2, s[10:11], 1
	s_and_b32 vcc_lo, exec_lo, s2
	s_cbranch_vccnz .LBB347_20
; %bb.2:
	s_load_b32 s2, s[0:1], 0xd3c
	v_min_i64 v[2:3], 0x10000, s[10:11]
	v_min_u64 v[4:5], 0x10000, s[10:11]
	v_dual_mov_b32 v7, 0 :: v_dual_lshlrev_b32 v8, 3, v0
	s_mov_b32 s17, 0
	s_delay_alu instid0(SALU_CYCLE_1) | instskip(NEXT) | instid1(VALU_DEP_1)
	s_mov_b32 s3, s17
	v_dual_mov_b32 v1, v7 :: v_dual_mov_b32 v9, v7
	s_mov_b32 s5, s17
	s_mov_b32 s19, s17
	;; [unrolled: 1-line block ×3, first 2 shown]
	v_mov_b32_e32 v21, v7
	s_wait_kmcnt 0x0
	s_and_b32 s16, s2, 0xffff
	s_delay_alu instid0(SALU_CYCLE_1)
	v_add_nc_u64_e32 v[10:11], s[16:17], v[0:1]
	v_mad_nc_u64_u32 v[12:13], s16, 24, v[8:9]
	s_lshl_b32 s2, s16, 1
	s_mul_i32 s4, s16, 3
	s_lshl_b32 s18, s16, 4
	v_add_nc_u64_e32 v[14:15], s[4:5], v[0:1]
	v_add_nc_u64_e32 v[16:17], s[18:19], v[8:9]
	;; [unrolled: 1-line block ×3, first 2 shown]
	v_lshlrev_b32_e32 v20, 3, v10
	s_lshl_b32 s14, s16, 2
	s_lshl_b32 s16, s16, 5
	s_mov_b64 s[18:19], 0
	s_branch .LBB347_4
.LBB347_3:                              ;   in Loop: Header=BB347_4 Depth=1
	s_wait_xcnt 0x0
	s_or_b32 exec_lo, exec_lo, s2
	s_add_nc_u64 s[18:19], s[18:19], s[14:15]
	s_add_nc_u64 s[12:13], s[12:13], s[16:17]
	v_cmp_lt_i64_e32 vcc_lo, s[18:19], v[2:3]
	s_cbranch_vccz .LBB347_20
.LBB347_4:                              ; =>This Inner Loop Header: Depth=1
	v_add_nc_u64_e32 v[22:23], s[18:19], v[0:1]
	v_add_nc_u64_e32 v[28:29], s[12:13], v[8:9]
	v_dual_mov_b32 v6, 0 :: v_dual_mov_b32 v36, 0
	s_delay_alu instid0(VALU_DEP_3)
	v_cmp_lt_u64_e64 s4, v[22:23], v[4:5]
	s_and_saveexec_b32 s2, s4
	s_cbranch_execz .LBB347_6
; %bb.5:                                ;   in Loop: Header=BB347_4 Depth=1
	global_load_b64 v[22:23], v[28:29], off
	s_wait_loadcnt 0x0
	v_and_b32_e32 v6, 0x7fffffff, v22
	v_and_b32_e32 v36, 0x7fffffff, v23
.LBB347_6:                              ;   in Loop: Header=BB347_4 Depth=1
	s_wait_xcnt 0x0
	s_or_b32 exec_lo, exec_lo, s2
	v_add_nc_u64_e32 v[22:23], s[18:19], v[10:11]
	v_add_nc_u64_e32 v[26:27], s[12:13], v[20:21]
	v_dual_mov_b32 v30, 0 :: v_dual_mov_b32 v34, 0
	v_mov_b32_e32 v35, 0
	s_delay_alu instid0(VALU_DEP_4)
	v_cmp_lt_u64_e64 s3, v[22:23], v[4:5]
	s_and_saveexec_b32 s2, s3
	s_cbranch_execz .LBB347_8
; %bb.7:                                ;   in Loop: Header=BB347_4 Depth=1
	global_load_b64 v[22:23], v[26:27], off
	s_wait_loadcnt 0x0
	v_and_b32_e32 v34, 0x7fffffff, v22
	v_and_b32_e32 v35, 0x7fffffff, v23
.LBB347_8:                              ;   in Loop: Header=BB347_4 Depth=1
	s_wait_xcnt 0x0
	s_or_b32 exec_lo, exec_lo, s2
	v_add_nc_u64_e32 v[22:23], s[18:19], v[18:19]
	v_add_nc_u64_e32 v[24:25], s[12:13], v[16:17]
	v_mov_b32_e32 v33, 0
	s_delay_alu instid0(VALU_DEP_3)
	v_cmp_lt_u64_e64 s2, v[22:23], v[4:5]
	s_and_saveexec_b32 s5, s2
	s_cbranch_execz .LBB347_10
; %bb.9:                                ;   in Loop: Header=BB347_4 Depth=1
	global_load_b64 v[22:23], v[24:25], off
	s_wait_loadcnt 0x0
	v_and_b32_e32 v30, 0x7fffffff, v22
	v_and_b32_e32 v33, 0x7fffffff, v23
.LBB347_10:                             ;   in Loop: Header=BB347_4 Depth=1
	s_wait_xcnt 0x0
	s_or_b32 exec_lo, exec_lo, s5
	v_add_nc_u64_e32 v[22:23], s[18:19], v[14:15]
	v_dual_mov_b32 v31, 0 :: v_dual_mov_b32 v32, 0
	s_delay_alu instid0(VALU_DEP_2)
	v_cmp_lt_u64_e32 vcc_lo, v[22:23], v[4:5]
	v_add_nc_u64_e32 v[22:23], s[12:13], v[12:13]
	s_and_saveexec_b32 s5, vcc_lo
	s_cbranch_execnz .LBB347_15
; %bb.11:                               ;   in Loop: Header=BB347_4 Depth=1
	s_or_b32 exec_lo, exec_lo, s5
	s_and_saveexec_b32 s5, s4
	s_cbranch_execnz .LBB347_16
.LBB347_12:                             ;   in Loop: Header=BB347_4 Depth=1
	s_or_b32 exec_lo, exec_lo, s5
	s_and_saveexec_b32 s4, s3
	s_cbranch_execnz .LBB347_17
.LBB347_13:                             ;   in Loop: Header=BB347_4 Depth=1
	s_or_b32 exec_lo, exec_lo, s4
	s_and_saveexec_b32 s3, s2
	s_cbranch_execnz .LBB347_18
.LBB347_14:                             ;   in Loop: Header=BB347_4 Depth=1
	s_or_b32 exec_lo, exec_lo, s3
	s_and_saveexec_b32 s2, vcc_lo
	s_cbranch_execz .LBB347_3
	s_branch .LBB347_19
.LBB347_15:                             ;   in Loop: Header=BB347_4 Depth=1
	global_load_b64 v[38:39], v[22:23], off
	s_wait_loadcnt 0x0
	v_and_b32_e32 v31, 0x7fffffff, v38
	v_and_b32_e32 v32, 0x7fffffff, v39
	s_wait_xcnt 0x0
	s_or_b32 exec_lo, exec_lo, s5
	s_and_saveexec_b32 s5, s4
	s_cbranch_execz .LBB347_12
.LBB347_16:                             ;   in Loop: Header=BB347_4 Depth=1
	v_dual_max_num_f32 v37, v36, v36 :: v_dual_max_num_f32 v38, v6, v6
	s_delay_alu instid0(VALU_DEP_1) | instskip(NEXT) | instid1(VALU_DEP_1)
	v_max_num_f32_e32 v37, v38, v37
	v_cvt_f64_f32_e32 v[38:39], v37
	s_delay_alu instid0(VALU_DEP_1) | instskip(NEXT) | instid1(VALU_DEP_1)
	v_frexp_exp_i32_f64_e32 v38, v[38:39]
	v_sub_nc_u32_e32 v39, 0, v38
	v_cmp_neq_f32_e64 s4, 0x7f800000, v37
	s_delay_alu instid0(VALU_DEP_2) | instskip(SKIP_1) | instid1(VALU_DEP_2)
	v_ldexp_f32 v36, v36, v39
	v_ldexp_f32 v6, v6, v39
	v_mul_f32_e32 v36, v36, v36
	s_delay_alu instid0(VALU_DEP_1) | instskip(NEXT) | instid1(VALU_DEP_1)
	v_fmac_f32_e32 v36, v6, v6
	v_sqrt_f32_e32 v6, v36
	v_nop
	s_delay_alu instid0(TRANS32_DEP_1) | instskip(NEXT) | instid1(VALU_DEP_1)
	v_ldexp_f32 v6, v6, v38
	v_cndmask_b32_e64 v6, 0x7f800000, v6, s4
	global_store_b64 v[28:29], v[6:7], off
	s_wait_xcnt 0x0
	s_or_b32 exec_lo, exec_lo, s5
	s_and_saveexec_b32 s4, s3
	s_cbranch_execz .LBB347_13
.LBB347_17:                             ;   in Loop: Header=BB347_4 Depth=1
	v_dual_max_num_f32 v6, v35, v35 :: v_dual_max_num_f32 v28, v34, v34
	s_delay_alu instid0(VALU_DEP_1) | instskip(NEXT) | instid1(VALU_DEP_1)
	v_max_num_f32_e32 v6, v28, v6
	v_cvt_f64_f32_e32 v[28:29], v6
	s_delay_alu instid0(VALU_DEP_1) | instskip(NEXT) | instid1(VALU_DEP_1)
	v_frexp_exp_i32_f64_e32 v28, v[28:29]
	v_sub_nc_u32_e32 v29, 0, v28
	v_cmp_neq_f32_e64 s3, 0x7f800000, v6
	s_delay_alu instid0(VALU_DEP_2) | instskip(SKIP_1) | instid1(VALU_DEP_2)
	v_ldexp_f32 v35, v35, v29
	v_ldexp_f32 v29, v34, v29
	v_mul_f32_e32 v34, v35, v35
	s_delay_alu instid0(VALU_DEP_1) | instskip(NEXT) | instid1(VALU_DEP_1)
	v_fmac_f32_e32 v34, v29, v29
	v_sqrt_f32_e32 v29, v34
	v_nop
	s_delay_alu instid0(TRANS32_DEP_1) | instskip(NEXT) | instid1(VALU_DEP_1)
	v_ldexp_f32 v28, v29, v28
	v_cndmask_b32_e64 v6, 0x7f800000, v28, s3
	global_store_b64 v[26:27], v[6:7], off
	s_wait_xcnt 0x0
	s_or_b32 exec_lo, exec_lo, s4
	s_and_saveexec_b32 s3, s2
	s_cbranch_execz .LBB347_14
.LBB347_18:                             ;   in Loop: Header=BB347_4 Depth=1
	v_dual_max_num_f32 v6, v33, v33 :: v_dual_max_num_f32 v26, v30, v30
	s_delay_alu instid0(VALU_DEP_1) | instskip(NEXT) | instid1(VALU_DEP_1)
	v_max_num_f32_e32 v6, v26, v6
	v_cvt_f64_f32_e32 v[26:27], v6
	s_delay_alu instid0(VALU_DEP_1) | instskip(NEXT) | instid1(VALU_DEP_1)
	v_frexp_exp_i32_f64_e32 v26, v[26:27]
	v_sub_nc_u32_e32 v27, 0, v26
	s_delay_alu instid0(VALU_DEP_1) | instskip(SKIP_1) | instid1(VALU_DEP_2)
	v_ldexp_f32 v28, v33, v27
	v_ldexp_f32 v27, v30, v27
	v_mul_f32_e32 v28, v28, v28
	v_cmp_neq_f32_e64 s2, 0x7f800000, v6
	s_delay_alu instid0(VALU_DEP_2) | instskip(NEXT) | instid1(VALU_DEP_1)
	v_fmac_f32_e32 v28, v27, v27
	v_sqrt_f32_e32 v27, v28
	v_nop
	s_delay_alu instid0(TRANS32_DEP_1) | instskip(NEXT) | instid1(VALU_DEP_1)
	v_ldexp_f32 v26, v27, v26
	v_cndmask_b32_e64 v6, 0x7f800000, v26, s2
	global_store_b64 v[24:25], v[6:7], off
	s_wait_xcnt 0x0
	s_or_b32 exec_lo, exec_lo, s3
	s_and_saveexec_b32 s2, vcc_lo
	s_cbranch_execz .LBB347_3
.LBB347_19:                             ;   in Loop: Header=BB347_4 Depth=1
	v_dual_max_num_f32 v6, v32, v32 :: v_dual_max_num_f32 v24, v31, v31
	s_delay_alu instid0(VALU_DEP_1) | instskip(NEXT) | instid1(VALU_DEP_1)
	v_max_num_f32_e32 v6, v24, v6
	v_cvt_f64_f32_e32 v[24:25], v6
	s_delay_alu instid0(VALU_DEP_1) | instskip(NEXT) | instid1(VALU_DEP_1)
	v_frexp_exp_i32_f64_e32 v24, v[24:25]
	v_sub_nc_u32_e32 v25, 0, v24
	v_cmp_neq_f32_e32 vcc_lo, 0x7f800000, v6
	s_delay_alu instid0(VALU_DEP_2) | instskip(SKIP_1) | instid1(VALU_DEP_2)
	v_ldexp_f32 v26, v32, v25
	v_ldexp_f32 v25, v31, v25
	v_mul_f32_e32 v26, v26, v26
	s_delay_alu instid0(VALU_DEP_1) | instskip(NEXT) | instid1(VALU_DEP_1)
	v_fmac_f32_e32 v26, v25, v25
	v_sqrt_f32_e32 v25, v26
	v_nop
	s_delay_alu instid0(TRANS32_DEP_1) | instskip(NEXT) | instid1(VALU_DEP_1)
	v_ldexp_f32 v24, v25, v24
	v_cndmask_b32_e32 v6, 0x7f800000, v24, vcc_lo
	global_store_b64 v[22:23], v[6:7], off
	s_branch .LBB347_3
.LBB347_20:
	s_cbranch_execz .LBB347_22
	s_branch .LBB347_25
.LBB347_21:
.LBB347_22:
	v_min_i64 v[6:7], 0x10000, s[10:11]
	v_dual_mov_b32 v3, 0 :: v_dual_lshlrev_b32 v2, 2, v0
	s_mov_b32 s2, exec_lo
	s_delay_alu instid0(VALU_DEP_1)
	v_cmpx_lt_i64_e64 v[2:3], v[6:7]
	s_cbranch_execz .LBB347_25
; %bb.23:
	s_load_b32 s2, s[0:1], 0xd3c
	v_dual_mov_b32 v1, v3 :: v_dual_lshlrev_b32 v2, 5, v0
	s_wait_xcnt 0x0
	s_add_nc_u64 s[0:1], s[6:7], s[8:9]
	s_delay_alu instid0(VALU_DEP_1) | instid1(SALU_CYCLE_1)
	v_add_nc_u64_e32 v[8:9], s[0:1], v[2:3]
	s_mov_b32 s1, 0
	s_delay_alu instid0(SALU_CYCLE_1) | instskip(SKIP_3) | instid1(SALU_CYCLE_1)
	s_mov_b32 s3, s1
	s_mov_b32 s4, s1
	s_wait_kmcnt 0x0
	s_and_b32 s0, s2, 0xffff
	s_lshl_b32 s2, s0, 5
.LBB347_24:                             ; =>This Inner Loop Header: Depth=1
	s_clause 0x1
	global_load_b128 v[10:13], v[8:9], off
	global_load_b128 v[14:17], v[8:9], off offset:16
	v_add_nc_u64_e32 v[0:1], s[0:1], v[0:1]
	s_wait_loadcnt 0x1
	v_max_num_f32_e64 v2, |v11|, |v11|
	v_max_num_f32_e64 v4, |v10|, |v10|
	;; [unrolled: 1-line block ×4, first 2 shown]
	s_wait_loadcnt 0x0
	v_max_num_f32_e64 v19, |v15|, |v15|
	v_max_num_f32_e64 v20, |v14|, |v14|
	;; [unrolled: 1-line block ×4, first 2 shown]
	v_dual_max_num_f32 v2, v4, v2 :: v_dual_max_num_f32 v24, v18, v5
	s_delay_alu instid0(VALU_DEP_2) | instskip(NEXT) | instid1(VALU_DEP_2)
	v_dual_max_num_f32 v25, v20, v19 :: v_dual_max_num_f32 v26, v22, v21
	v_cvt_f64_f32_e32 v[4:5], v2
	s_delay_alu instid0(VALU_DEP_3) | instskip(NEXT) | instid1(VALU_DEP_3)
	v_cvt_f64_f32_e32 v[18:19], v24
	v_cvt_f64_f32_e32 v[20:21], v25
	v_cmp_neq_f32_e32 vcc_lo, 0x7f800000, v2
	v_cvt_f64_f32_e32 v[22:23], v26
	v_frexp_exp_i32_f64_e32 v4, v[4:5]
	v_frexp_exp_i32_f64_e32 v18, v[18:19]
	;; [unrolled: 1-line block ×3, first 2 shown]
	s_delay_alu instid0(VALU_DEP_4) | instskip(NEXT) | instid1(VALU_DEP_3)
	v_frexp_exp_i32_f64_e32 v20, v[22:23]
	v_dual_sub_nc_u32 v5, 0, v4 :: v_dual_sub_nc_u32 v21, 0, v18
	s_delay_alu instid0(VALU_DEP_2) | instskip(NEXT) | instid1(VALU_DEP_2)
	v_dual_sub_nc_u32 v22, 0, v19 :: v_dual_sub_nc_u32 v23, 0, v20
	v_ldexp_f32 v10, |v10|, v5
	v_ldexp_f32 v5, |v11|, v5
	s_delay_alu instid0(VALU_DEP_4) | instskip(SKIP_4) | instid1(VALU_DEP_4)
	v_ldexp_f32 v11, |v12|, v21
	v_ldexp_f32 v12, |v13|, v21
	v_ldexp_f32 v13, |v14|, v22
	v_ldexp_f32 v14, |v15|, v22
	v_ldexp_f32 v15, |v17|, v23
	v_dual_mul_f32 v17, v5, v5 :: v_dual_mul_f32 v12, v12, v12
	s_delay_alu instid0(VALU_DEP_3) | instskip(NEXT) | instid1(VALU_DEP_2)
	v_dual_mov_b32 v5, v3 :: v_dual_mul_f32 v14, v14, v14
	v_dual_mul_f32 v15, v15, v15 :: v_dual_fmac_f32 v17, v10, v10
	s_delay_alu instid0(VALU_DEP_3) | instskip(SKIP_1) | instid1(VALU_DEP_4)
	v_fmac_f32_e32 v12, v11, v11
	v_ldexp_f32 v16, |v16|, v23
	v_dual_fmac_f32 v14, v13, v13 :: v_dual_mov_b32 v11, v3
	s_delay_alu instid0(VALU_DEP_4) | instskip(NEXT) | instid1(VALU_DEP_3)
	v_sqrt_f32_e32 v10, v17
	v_sqrt_f32_e32 v12, v12
	s_delay_alu instid0(VALU_DEP_2) | instskip(NEXT) | instid1(VALU_DEP_2)
	v_fmac_f32_e32 v15, v16, v16
	v_sqrt_f32_e32 v16, v14
	s_delay_alu instid0(TRANS32_DEP_3) | instskip(SKIP_1) | instid1(TRANS32_DEP_2)
	v_ldexp_f32 v4, v10, v4
	v_mov_b32_e32 v13, v3
	v_ldexp_f32 v10, v12, v18
	v_sqrt_f32_e32 v17, v15
	s_delay_alu instid0(TRANS32_DEP_2) | instskip(SKIP_3) | instid1(TRANS32_DEP_1)
	v_ldexp_f32 v12, v16, v19
	v_cndmask_b32_e32 v2, 0x7f800000, v4, vcc_lo
	v_cmp_neq_f32_e32 vcc_lo, 0x7f800000, v24
	v_lshlrev_b64_e32 v[14:15], 2, v[0:1]
	v_ldexp_f32 v16, v17, v20
	v_cndmask_b32_e32 v4, 0x7f800000, v10, vcc_lo
	v_cmp_neq_f32_e32 vcc_lo, 0x7f800000, v25
	v_cndmask_b32_e32 v10, 0x7f800000, v12, vcc_lo
	v_cmp_neq_f32_e32 vcc_lo, 0x7f800000, v26
	v_cndmask_b32_e32 v12, 0x7f800000, v16, vcc_lo
	v_cmp_ge_i64_e32 vcc_lo, v[14:15], v[6:7]
	s_clause 0x1
	global_store_b128 v[8:9], v[2:5], off
	global_store_b128 v[8:9], v[10:13], off offset:16
	s_wait_xcnt 0x0
	v_add_nc_u64_e32 v[8:9], s[2:3], v[8:9]
	s_or_b32 s4, vcc_lo, s4
	s_delay_alu instid0(SALU_CYCLE_1)
	s_and_not1_b32 exec_lo, exec_lo, s4
	s_cbranch_execnz .LBB347_24
.LBB347_25:
	s_endpgm
	.section	.rodata,"a",@progbits
	.p2align	6, 0x0
	.amdhsa_kernel _ZN2at6native12_GLOBAL__N_125multi_tensor_apply_kernelINS1_18TensorListMetadataILi1EEENS1_14UnaryOpFunctorIN3c107complexIfEELi1ELi1ELi0EEEJNS0_3AbsIS8_EEEEEvT_T0_DpT1_
		.amdhsa_group_segment_fixed_size 0
		.amdhsa_private_segment_fixed_size 0
		.amdhsa_kernarg_size 3632
		.amdhsa_user_sgpr_count 2
		.amdhsa_user_sgpr_dispatch_ptr 0
		.amdhsa_user_sgpr_queue_ptr 0
		.amdhsa_user_sgpr_kernarg_segment_ptr 1
		.amdhsa_user_sgpr_dispatch_id 0
		.amdhsa_user_sgpr_kernarg_preload_length 0
		.amdhsa_user_sgpr_kernarg_preload_offset 0
		.amdhsa_user_sgpr_private_segment_size 0
		.amdhsa_wavefront_size32 1
		.amdhsa_uses_dynamic_stack 0
		.amdhsa_enable_private_segment 0
		.amdhsa_system_sgpr_workgroup_id_x 1
		.amdhsa_system_sgpr_workgroup_id_y 0
		.amdhsa_system_sgpr_workgroup_id_z 0
		.amdhsa_system_sgpr_workgroup_info 0
		.amdhsa_system_vgpr_workitem_id 0
		.amdhsa_next_free_vgpr 40
		.amdhsa_next_free_sgpr 20
		.amdhsa_named_barrier_count 0
		.amdhsa_reserve_vcc 1
		.amdhsa_float_round_mode_32 0
		.amdhsa_float_round_mode_16_64 0
		.amdhsa_float_denorm_mode_32 3
		.amdhsa_float_denorm_mode_16_64 3
		.amdhsa_fp16_overflow 0
		.amdhsa_memory_ordered 1
		.amdhsa_forward_progress 1
		.amdhsa_inst_pref_size 15
		.amdhsa_round_robin_scheduling 0
		.amdhsa_exception_fp_ieee_invalid_op 0
		.amdhsa_exception_fp_denorm_src 0
		.amdhsa_exception_fp_ieee_div_zero 0
		.amdhsa_exception_fp_ieee_overflow 0
		.amdhsa_exception_fp_ieee_underflow 0
		.amdhsa_exception_fp_ieee_inexact 0
		.amdhsa_exception_int_div_zero 0
	.end_amdhsa_kernel
	.section	.text._ZN2at6native12_GLOBAL__N_125multi_tensor_apply_kernelINS1_18TensorListMetadataILi1EEENS1_14UnaryOpFunctorIN3c107complexIfEELi1ELi1ELi0EEEJNS0_3AbsIS8_EEEEEvT_T0_DpT1_,"axG",@progbits,_ZN2at6native12_GLOBAL__N_125multi_tensor_apply_kernelINS1_18TensorListMetadataILi1EEENS1_14UnaryOpFunctorIN3c107complexIfEELi1ELi1ELi0EEEJNS0_3AbsIS8_EEEEEvT_T0_DpT1_,comdat
.Lfunc_end347:
	.size	_ZN2at6native12_GLOBAL__N_125multi_tensor_apply_kernelINS1_18TensorListMetadataILi1EEENS1_14UnaryOpFunctorIN3c107complexIfEELi1ELi1ELi0EEEJNS0_3AbsIS8_EEEEEvT_T0_DpT1_, .Lfunc_end347-_ZN2at6native12_GLOBAL__N_125multi_tensor_apply_kernelINS1_18TensorListMetadataILi1EEENS1_14UnaryOpFunctorIN3c107complexIfEELi1ELi1ELi0EEEJNS0_3AbsIS8_EEEEEvT_T0_DpT1_
                                        ; -- End function
	.set _ZN2at6native12_GLOBAL__N_125multi_tensor_apply_kernelINS1_18TensorListMetadataILi1EEENS1_14UnaryOpFunctorIN3c107complexIfEELi1ELi1ELi0EEEJNS0_3AbsIS8_EEEEEvT_T0_DpT1_.num_vgpr, 40
	.set _ZN2at6native12_GLOBAL__N_125multi_tensor_apply_kernelINS1_18TensorListMetadataILi1EEENS1_14UnaryOpFunctorIN3c107complexIfEELi1ELi1ELi0EEEJNS0_3AbsIS8_EEEEEvT_T0_DpT1_.num_agpr, 0
	.set _ZN2at6native12_GLOBAL__N_125multi_tensor_apply_kernelINS1_18TensorListMetadataILi1EEENS1_14UnaryOpFunctorIN3c107complexIfEELi1ELi1ELi0EEEJNS0_3AbsIS8_EEEEEvT_T0_DpT1_.numbered_sgpr, 20
	.set _ZN2at6native12_GLOBAL__N_125multi_tensor_apply_kernelINS1_18TensorListMetadataILi1EEENS1_14UnaryOpFunctorIN3c107complexIfEELi1ELi1ELi0EEEJNS0_3AbsIS8_EEEEEvT_T0_DpT1_.num_named_barrier, 0
	.set _ZN2at6native12_GLOBAL__N_125multi_tensor_apply_kernelINS1_18TensorListMetadataILi1EEENS1_14UnaryOpFunctorIN3c107complexIfEELi1ELi1ELi0EEEJNS0_3AbsIS8_EEEEEvT_T0_DpT1_.private_seg_size, 0
	.set _ZN2at6native12_GLOBAL__N_125multi_tensor_apply_kernelINS1_18TensorListMetadataILi1EEENS1_14UnaryOpFunctorIN3c107complexIfEELi1ELi1ELi0EEEJNS0_3AbsIS8_EEEEEvT_T0_DpT1_.uses_vcc, 1
	.set _ZN2at6native12_GLOBAL__N_125multi_tensor_apply_kernelINS1_18TensorListMetadataILi1EEENS1_14UnaryOpFunctorIN3c107complexIfEELi1ELi1ELi0EEEJNS0_3AbsIS8_EEEEEvT_T0_DpT1_.uses_flat_scratch, 0
	.set _ZN2at6native12_GLOBAL__N_125multi_tensor_apply_kernelINS1_18TensorListMetadataILi1EEENS1_14UnaryOpFunctorIN3c107complexIfEELi1ELi1ELi0EEEJNS0_3AbsIS8_EEEEEvT_T0_DpT1_.has_dyn_sized_stack, 0
	.set _ZN2at6native12_GLOBAL__N_125multi_tensor_apply_kernelINS1_18TensorListMetadataILi1EEENS1_14UnaryOpFunctorIN3c107complexIfEELi1ELi1ELi0EEEJNS0_3AbsIS8_EEEEEvT_T0_DpT1_.has_recursion, 0
	.set _ZN2at6native12_GLOBAL__N_125multi_tensor_apply_kernelINS1_18TensorListMetadataILi1EEENS1_14UnaryOpFunctorIN3c107complexIfEELi1ELi1ELi0EEEJNS0_3AbsIS8_EEEEEvT_T0_DpT1_.has_indirect_call, 0
	.section	.AMDGPU.csdata,"",@progbits
; Kernel info:
; codeLenInByte = 1872
; TotalNumSgprs: 22
; NumVgprs: 40
; ScratchSize: 0
; MemoryBound: 0
; FloatMode: 240
; IeeeMode: 1
; LDSByteSize: 0 bytes/workgroup (compile time only)
; SGPRBlocks: 0
; VGPRBlocks: 2
; NumSGPRsForWavesPerEU: 22
; NumVGPRsForWavesPerEU: 40
; NamedBarCnt: 0
; Occupancy: 16
; WaveLimiterHint : 0
; COMPUTE_PGM_RSRC2:SCRATCH_EN: 0
; COMPUTE_PGM_RSRC2:USER_SGPR: 2
; COMPUTE_PGM_RSRC2:TRAP_HANDLER: 0
; COMPUTE_PGM_RSRC2:TGID_X_EN: 1
; COMPUTE_PGM_RSRC2:TGID_Y_EN: 0
; COMPUTE_PGM_RSRC2:TGID_Z_EN: 0
; COMPUTE_PGM_RSRC2:TIDIG_COMP_CNT: 0
	.section	.text._ZN2at6native12_GLOBAL__N_125multi_tensor_apply_kernelINS1_18TensorListMetadataILi1EEENS1_14UnaryOpFunctorIN3c104HalfELi1ELi1ELi0EEEJNS0_3AbsIfEEEEEvT_T0_DpT1_,"axG",@progbits,_ZN2at6native12_GLOBAL__N_125multi_tensor_apply_kernelINS1_18TensorListMetadataILi1EEENS1_14UnaryOpFunctorIN3c104HalfELi1ELi1ELi0EEEJNS0_3AbsIfEEEEEvT_T0_DpT1_,comdat
	.globl	_ZN2at6native12_GLOBAL__N_125multi_tensor_apply_kernelINS1_18TensorListMetadataILi1EEENS1_14UnaryOpFunctorIN3c104HalfELi1ELi1ELi0EEEJNS0_3AbsIfEEEEEvT_T0_DpT1_ ; -- Begin function _ZN2at6native12_GLOBAL__N_125multi_tensor_apply_kernelINS1_18TensorListMetadataILi1EEENS1_14UnaryOpFunctorIN3c104HalfELi1ELi1ELi0EEEJNS0_3AbsIfEEEEEvT_T0_DpT1_
	.p2align	8
	.type	_ZN2at6native12_GLOBAL__N_125multi_tensor_apply_kernelINS1_18TensorListMetadataILi1EEENS1_14UnaryOpFunctorIN3c104HalfELi1ELi1ELi0EEEJNS0_3AbsIfEEEEEvT_T0_DpT1_,@function
_ZN2at6native12_GLOBAL__N_125multi_tensor_apply_kernelINS1_18TensorListMetadataILi1EEENS1_14UnaryOpFunctorIN3c104HalfELi1ELi1ELi0EEEJNS0_3AbsIfEEEEEvT_T0_DpT1_: ; @_ZN2at6native12_GLOBAL__N_125multi_tensor_apply_kernelINS1_18TensorListMetadataILi1EEENS1_14UnaryOpFunctorIN3c104HalfELi1ELi1ELi0EEEJNS0_3AbsIfEEEEEvT_T0_DpT1_
; %bb.0:
	s_bfe_u32 s2, ttmp6, 0x4000c
	s_and_b32 s3, ttmp6, 15
	s_add_co_i32 s2, s2, 1
	s_getreg_b32 s4, hwreg(HW_REG_IB_STS2, 6, 4)
	s_mul_i32 s2, ttmp9, s2
	s_delay_alu instid0(SALU_CYCLE_1)
	s_add_co_i32 s3, s3, s2
	s_cmp_eq_u32 s4, 0
	s_cselect_b32 s2, ttmp9, s3
	s_mov_b32 s3, 0
	s_load_u8 s8, s[0:1], s2 offset:0x6e0
	s_add_nc_u64 s[4:5], s[0:1], s[2:3]
	s_mul_u64 s[6:7], s[2:3], 3
	s_delay_alu instid0(SALU_CYCLE_1)
	s_add_nc_u64 s[4:5], s[4:5], s[6:7]
	s_load_b32 s10, s[4:5], 0x820
	s_wait_kmcnt 0x0
	s_clause 0x1
	s_load_b64 s[6:7], s[0:1], s8 offset:0x0 scale_offset
	s_load_b64 s[12:13], s[0:1], s8 offset:0x370 scale_offset
	s_ashr_i32 s11, s10, 31
	s_wait_kmcnt 0x0
	s_and_b64 s[4:5], s[6:7], 7
	s_and_b32 s2, s12, 3
	s_lshl_b64 s[8:9], s[10:11], 17
	s_or_b64 s[2:3], s[4:5], s[2:3]
	s_lshl_b64 s[4:5], s[10:11], 16
	s_cmp_eq_u64 s[2:3], 0
	s_sub_nc_u64 s[10:11], s[12:13], s[4:5]
	s_cbranch_scc1 .LBB348_21
; %bb.1:
	v_cmp_lt_i64_e64 s2, s[10:11], 1
	s_and_b32 vcc_lo, exec_lo, s2
	s_cbranch_vccnz .LBB348_20
; %bb.2:
	s_load_b32 s2, s[0:1], 0xd3c
	v_min_i64 v[2:3], 0x10000, s[10:11]
	v_min_u64 v[4:5], 0x10000, s[10:11]
	v_dual_mov_b32 v1, 0 :: v_dual_lshlrev_b32 v8, 1, v0
	s_mov_b32 s3, 0
	s_add_nc_u64 s[4:5], s[6:7], s[8:9]
	s_mov_b32 s15, s3
	s_delay_alu instid0(VALU_DEP_1)
	v_mov_b32_e32 v15, v1
	s_mov_b32 s17, s3
	s_mov_b32 s13, s3
	s_mov_b64 s[18:19], 0
	s_wait_kmcnt 0x0
	s_and_b32 s2, s2, 0xffff
	s_delay_alu instid0(SALU_CYCLE_1)
	v_add_nc_u64_e32 v[6:7], s[2:3], v[0:1]
	v_mov_b32_e32 v9, v1
	s_lshl_b32 s14, s2, 1
	s_mul_i32 s16, s2, 3
	v_add_nc_u64_e32 v[12:13], s[14:15], v[0:1]
	v_add_nc_u64_e32 v[10:11], s[16:17], v[0:1]
	s_lshl_b32 s12, s2, 2
	v_lshlrev_b32_e32 v14, 1, v6
	v_add_nc_u64_e32 v[8:9], s[4:5], v[8:9]
	s_lshl_b32 s14, s2, 3
	s_mul_u64 s[16:17], s[2:3], 6
	s_delay_alu instid0(VALU_DEP_2)
	v_add_nc_u64_e32 v[14:15], s[4:5], v[14:15]
	s_branch .LBB348_4
.LBB348_3:                              ;   in Loop: Header=BB348_4 Depth=1
	s_wait_xcnt 0x0
	s_or_b32 exec_lo, exec_lo, s2
	s_add_nc_u64 s[18:19], s[18:19], s[12:13]
	v_add_nc_u64_e32 v[8:9], s[14:15], v[8:9]
	v_cmp_lt_i64_e32 vcc_lo, s[18:19], v[2:3]
	v_add_nc_u64_e32 v[14:15], s[14:15], v[14:15]
	s_cbranch_vccz .LBB348_20
.LBB348_4:                              ; =>This Inner Loop Header: Depth=1
	v_add_nc_u64_e32 v[16:17], s[18:19], v[0:1]
	v_mov_b32_e32 v21, 0
	s_delay_alu instid0(VALU_DEP_2)
	v_cmp_lt_u64_e32 vcc_lo, v[16:17], v[4:5]
	s_and_saveexec_b32 s2, vcc_lo
	s_cbranch_execz .LBB348_6
; %bb.5:                                ;   in Loop: Header=BB348_4 Depth=1
	global_load_u16 v16, v[8:9], off
	s_wait_loadcnt 0x0
	v_and_b32_e32 v21, 0x7fff, v16
.LBB348_6:                              ;   in Loop: Header=BB348_4 Depth=1
	s_wait_xcnt 0x0
	s_or_b32 exec_lo, exec_lo, s2
	v_add_nc_u64_e32 v[16:17], s[18:19], v[6:7]
	v_dual_mov_b32 v20, 0 :: v_dual_mov_b32 v22, 0
	s_delay_alu instid0(VALU_DEP_2)
	v_cmp_lt_u64_e64 s2, v[16:17], v[4:5]
	s_and_saveexec_b32 s3, s2
	s_cbranch_execz .LBB348_8
; %bb.7:                                ;   in Loop: Header=BB348_4 Depth=1
	global_load_u16 v16, v[14:15], off
	s_wait_loadcnt 0x0
	v_and_b32_e32 v22, 0x7fff, v16
.LBB348_8:                              ;   in Loop: Header=BB348_4 Depth=1
	s_wait_xcnt 0x0
	s_or_b32 exec_lo, exec_lo, s3
	v_add_nc_u64_e32 v[16:17], s[18:19], v[12:13]
	s_delay_alu instid0(VALU_DEP_1)
	v_cmp_lt_u64_e64 s3, v[16:17], v[4:5]
	v_add_nc_u64_e32 v[16:17], s[12:13], v[8:9]
	s_and_saveexec_b32 s4, s3
	s_cbranch_execz .LBB348_10
; %bb.9:                                ;   in Loop: Header=BB348_4 Depth=1
	global_load_u16 v18, v[16:17], off
	s_wait_loadcnt 0x0
	v_and_b32_e32 v20, 0x7fff, v18
.LBB348_10:                             ;   in Loop: Header=BB348_4 Depth=1
	s_wait_xcnt 0x0
	s_or_b32 exec_lo, exec_lo, s4
	v_add_nc_u64_e32 v[18:19], s[18:19], v[10:11]
	v_mov_b32_e32 v23, 0
	s_delay_alu instid0(VALU_DEP_2)
	v_cmp_lt_u64_e64 s4, v[18:19], v[4:5]
	v_add_nc_u64_e32 v[18:19], s[16:17], v[8:9]
	s_and_saveexec_b32 s5, s4
	s_cbranch_execnz .LBB348_15
; %bb.11:                               ;   in Loop: Header=BB348_4 Depth=1
	s_or_b32 exec_lo, exec_lo, s5
	s_and_saveexec_b32 s5, vcc_lo
	s_cbranch_execnz .LBB348_16
.LBB348_12:                             ;   in Loop: Header=BB348_4 Depth=1
	s_or_b32 exec_lo, exec_lo, s5
	s_and_saveexec_b32 s5, s2
	s_cbranch_execnz .LBB348_17
.LBB348_13:                             ;   in Loop: Header=BB348_4 Depth=1
	s_or_b32 exec_lo, exec_lo, s5
	s_and_saveexec_b32 s2, s3
	s_cbranch_execnz .LBB348_18
.LBB348_14:                             ;   in Loop: Header=BB348_4 Depth=1
	s_or_b32 exec_lo, exec_lo, s2
	s_and_saveexec_b32 s2, s4
	s_cbranch_execz .LBB348_3
	s_branch .LBB348_19
.LBB348_15:                             ;   in Loop: Header=BB348_4 Depth=1
	global_load_u16 v23, v[18:19], off
	s_wait_loadcnt 0x0
	v_and_b32_e32 v23, 0x7fff, v23
	s_wait_xcnt 0x0
	s_or_b32 exec_lo, exec_lo, s5
	s_and_saveexec_b32 s5, vcc_lo
	s_cbranch_execz .LBB348_12
.LBB348_16:                             ;   in Loop: Header=BB348_4 Depth=1
	global_store_b16 v[8:9], v21, off
	s_wait_xcnt 0x0
	s_or_b32 exec_lo, exec_lo, s5
	s_and_saveexec_b32 s5, s2
	s_cbranch_execz .LBB348_13
.LBB348_17:                             ;   in Loop: Header=BB348_4 Depth=1
	global_store_b16 v[14:15], v22, off
	s_wait_xcnt 0x0
	s_or_b32 exec_lo, exec_lo, s5
	s_and_saveexec_b32 s2, s3
	s_cbranch_execz .LBB348_14
.LBB348_18:                             ;   in Loop: Header=BB348_4 Depth=1
	global_store_b16 v[16:17], v20, off
	s_wait_xcnt 0x0
	s_or_b32 exec_lo, exec_lo, s2
	s_and_saveexec_b32 s2, s4
	s_cbranch_execz .LBB348_3
.LBB348_19:                             ;   in Loop: Header=BB348_4 Depth=1
	global_store_b16 v[18:19], v23, off
	s_branch .LBB348_3
.LBB348_20:
	s_cbranch_execz .LBB348_22
	s_branch .LBB348_30
.LBB348_21:
.LBB348_22:
	v_min_i64 v[2:3], 0x10000, s[10:11]
	v_dual_mov_b32 v5, 0 :: v_dual_lshlrev_b32 v4, 2, v0
	s_mov_b32 s2, exec_lo
	s_delay_alu instid0(VALU_DEP_1)
	v_cmpx_lt_i64_e64 v[4:5], v[2:3]
	s_cbranch_execz .LBB348_30
; %bb.23:
	v_dual_mov_b32 v7, v5 :: v_dual_add_nc_u32 v6, 4, v4
	s_load_b32 s0, s[0:1], 0xd3c
	s_wait_xcnt 0x0
	s_mov_b32 s1, 0
	v_mov_b32_e32 v1, v5
	s_mov_b32 s3, -1
	v_max_i64 v[6:7], v[2:3], v[6:7]
	v_mov_b32_e32 v9, s1
	s_wait_kmcnt 0x0
	s_and_b32 s0, s0, 0xffff
	s_delay_alu instid0(SALU_CYCLE_1) | instskip(SKIP_1) | instid1(VALU_DEP_2)
	s_cmp_eq_u32 s0, 1
	s_cselect_b32 s2, -1, 0
	v_add_nc_u64_e32 v[6:7], -4, v[6:7]
	s_delay_alu instid0(VALU_DEP_1) | instskip(SKIP_1) | instid1(VALU_DEP_1)
	v_cmp_ne_u64_e32 vcc_lo, v[6:7], v[4:5]
	v_cndmask_b32_e64 v8, 0, 1, vcc_lo
	v_or_b32_e32 v4, v4, v8
	s_delay_alu instid0(VALU_DEP_1) | instskip(NEXT) | instid1(VALU_DEP_1)
	v_sub_nc_u64_e32 v[6:7], v[6:7], v[4:5]
	v_lshrrev_b64 v[6:7], 2, v[6:7]
	s_delay_alu instid0(VALU_DEP_1) | instskip(NEXT) | instid1(VALU_DEP_1)
	v_add_nc_u64_e32 v[6:7], v[6:7], v[8:9]
	v_cmp_lt_u64_e32 vcc_lo, 2, v[6:7]
	s_and_b32 s4, vcc_lo, s2
	s_delay_alu instid0(SALU_CYCLE_1)
	s_and_saveexec_b32 s2, s4
	s_cbranch_execz .LBB348_27
; %bb.24:
	v_dual_mov_b32 v9, 0 :: v_dual_lshlrev_b32 v8, 3, v0
	v_add_nc_u64_e32 v[4:5], 1, v[6:7]
	s_add_nc_u64 s[4:5], s[6:7], s[8:9]
	s_delay_alu instid0(VALU_DEP_2) | instid1(SALU_CYCLE_1)
	v_add_nc_u64_e32 v[8:9], s[4:5], v[8:9]
	s_delay_alu instid0(VALU_DEP_2) | instskip(NEXT) | instid1(VALU_DEP_2)
	v_dual_mov_b32 v7, v5 :: v_dual_bitop2_b32 v6, -4, v4 bitop3:0x40
	v_add_nc_u64_e32 v[8:9], 16, v[8:9]
	s_delay_alu instid0(VALU_DEP_2)
	v_mov_b64_e32 v[10:11], v[6:7]
.LBB348_25:                             ; =>This Inner Loop Header: Depth=1
	s_clause 0x1
	global_load_b128 v[12:15], v[8:9], off offset:-16
	global_load_b128 v[16:19], v[8:9], off
	v_add_nc_u64_e32 v[10:11], -4, v[10:11]
	s_delay_alu instid0(VALU_DEP_1)
	v_cmp_eq_u64_e32 vcc_lo, 0, v[10:11]
	s_or_b32 s1, vcc_lo, s1
	s_wait_loadcnt 0x1
	v_dual_lshrrev_b32 v20, 16, v12 :: v_dual_lshrrev_b32 v21, 16, v13
	v_dual_lshrrev_b32 v22, 16, v14 :: v_dual_lshrrev_b32 v23, 16, v15
	s_wait_loadcnt 0x0
	v_dual_lshrrev_b32 v24, 16, v16 :: v_dual_lshrrev_b32 v25, 16, v17
	v_dual_lshrrev_b32 v26, 16, v18 :: v_dual_lshrrev_b32 v27, 16, v19
	v_and_b32_e32 v14, 0x7fff, v14
	v_and_b32_e32 v15, 0x7fff, v15
	;; [unrolled: 1-line block ×16, first 2 shown]
	v_perm_b32 v14, v22, v14, 0x5040100
	v_perm_b32 v15, v23, v15, 0x5040100
	;; [unrolled: 1-line block ×8, first 2 shown]
	s_clause 0x1
	global_store_b128 v[8:9], v[12:15], off offset:-16
	global_store_b128 v[8:9], v[16:19], off
	s_wait_xcnt 0x0
	v_add_nc_u64_e32 v[8:9], 32, v[8:9]
	s_and_not1_b32 exec_lo, exec_lo, s1
	s_cbranch_execnz .LBB348_25
; %bb.26:
	s_or_b32 exec_lo, exec_lo, s1
	v_cmp_ne_u64_e32 vcc_lo, v[4:5], v[6:7]
	v_add_nc_u64_e32 v[0:1], v[6:7], v[0:1]
	s_or_not1_b32 s3, vcc_lo, exec_lo
.LBB348_27:
	s_or_b32 exec_lo, exec_lo, s2
	s_delay_alu instid0(SALU_CYCLE_1)
	s_and_b32 exec_lo, exec_lo, s3
	s_cbranch_execz .LBB348_30
; %bb.28:
	s_add_nc_u64 s[2:3], s[6:7], s[8:9]
	s_mov_b32 s1, 0
	v_lshl_add_u64 v[4:5], v[0:1], 3, s[2:3]
	s_lshl_b32 s2, s0, 3
	s_mov_b32 s3, s1
	s_mov_b32 s4, s1
.LBB348_29:                             ; =>This Inner Loop Header: Depth=1
	global_load_b64 v[6:7], v[4:5], off
	v_add_nc_u64_e32 v[0:1], s[0:1], v[0:1]
	s_delay_alu instid0(VALU_DEP_1) | instskip(NEXT) | instid1(VALU_DEP_1)
	v_lshlrev_b64_e32 v[8:9], 2, v[0:1]
	v_cmp_ge_i64_e32 vcc_lo, v[8:9], v[2:3]
	s_or_b32 s4, vcc_lo, s4
	s_wait_loadcnt 0x0
	v_and_b32_e32 v7, 0x7fff7fff, v7
	v_and_b32_e32 v6, 0x7fff7fff, v6
	global_store_b64 v[4:5], v[6:7], off
	s_wait_xcnt 0x0
	v_add_nc_u64_e32 v[4:5], s[2:3], v[4:5]
	s_and_not1_b32 exec_lo, exec_lo, s4
	s_cbranch_execnz .LBB348_29
.LBB348_30:
	s_endpgm
	.section	.rodata,"a",@progbits
	.p2align	6, 0x0
	.amdhsa_kernel _ZN2at6native12_GLOBAL__N_125multi_tensor_apply_kernelINS1_18TensorListMetadataILi1EEENS1_14UnaryOpFunctorIN3c104HalfELi1ELi1ELi0EEEJNS0_3AbsIfEEEEEvT_T0_DpT1_
		.amdhsa_group_segment_fixed_size 0
		.amdhsa_private_segment_fixed_size 0
		.amdhsa_kernarg_size 3632
		.amdhsa_user_sgpr_count 2
		.amdhsa_user_sgpr_dispatch_ptr 0
		.amdhsa_user_sgpr_queue_ptr 0
		.amdhsa_user_sgpr_kernarg_segment_ptr 1
		.amdhsa_user_sgpr_dispatch_id 0
		.amdhsa_user_sgpr_kernarg_preload_length 0
		.amdhsa_user_sgpr_kernarg_preload_offset 0
		.amdhsa_user_sgpr_private_segment_size 0
		.amdhsa_wavefront_size32 1
		.amdhsa_uses_dynamic_stack 0
		.amdhsa_enable_private_segment 0
		.amdhsa_system_sgpr_workgroup_id_x 1
		.amdhsa_system_sgpr_workgroup_id_y 0
		.amdhsa_system_sgpr_workgroup_id_z 0
		.amdhsa_system_sgpr_workgroup_info 0
		.amdhsa_system_vgpr_workitem_id 0
		.amdhsa_next_free_vgpr 28
		.amdhsa_next_free_sgpr 20
		.amdhsa_named_barrier_count 0
		.amdhsa_reserve_vcc 1
		.amdhsa_float_round_mode_32 0
		.amdhsa_float_round_mode_16_64 0
		.amdhsa_float_denorm_mode_32 3
		.amdhsa_float_denorm_mode_16_64 3
		.amdhsa_fp16_overflow 0
		.amdhsa_memory_ordered 1
		.amdhsa_forward_progress 1
		.amdhsa_inst_pref_size 12
		.amdhsa_round_robin_scheduling 0
		.amdhsa_exception_fp_ieee_invalid_op 0
		.amdhsa_exception_fp_denorm_src 0
		.amdhsa_exception_fp_ieee_div_zero 0
		.amdhsa_exception_fp_ieee_overflow 0
		.amdhsa_exception_fp_ieee_underflow 0
		.amdhsa_exception_fp_ieee_inexact 0
		.amdhsa_exception_int_div_zero 0
	.end_amdhsa_kernel
	.section	.text._ZN2at6native12_GLOBAL__N_125multi_tensor_apply_kernelINS1_18TensorListMetadataILi1EEENS1_14UnaryOpFunctorIN3c104HalfELi1ELi1ELi0EEEJNS0_3AbsIfEEEEEvT_T0_DpT1_,"axG",@progbits,_ZN2at6native12_GLOBAL__N_125multi_tensor_apply_kernelINS1_18TensorListMetadataILi1EEENS1_14UnaryOpFunctorIN3c104HalfELi1ELi1ELi0EEEJNS0_3AbsIfEEEEEvT_T0_DpT1_,comdat
.Lfunc_end348:
	.size	_ZN2at6native12_GLOBAL__N_125multi_tensor_apply_kernelINS1_18TensorListMetadataILi1EEENS1_14UnaryOpFunctorIN3c104HalfELi1ELi1ELi0EEEJNS0_3AbsIfEEEEEvT_T0_DpT1_, .Lfunc_end348-_ZN2at6native12_GLOBAL__N_125multi_tensor_apply_kernelINS1_18TensorListMetadataILi1EEENS1_14UnaryOpFunctorIN3c104HalfELi1ELi1ELi0EEEJNS0_3AbsIfEEEEEvT_T0_DpT1_
                                        ; -- End function
	.set _ZN2at6native12_GLOBAL__N_125multi_tensor_apply_kernelINS1_18TensorListMetadataILi1EEENS1_14UnaryOpFunctorIN3c104HalfELi1ELi1ELi0EEEJNS0_3AbsIfEEEEEvT_T0_DpT1_.num_vgpr, 28
	.set _ZN2at6native12_GLOBAL__N_125multi_tensor_apply_kernelINS1_18TensorListMetadataILi1EEENS1_14UnaryOpFunctorIN3c104HalfELi1ELi1ELi0EEEJNS0_3AbsIfEEEEEvT_T0_DpT1_.num_agpr, 0
	.set _ZN2at6native12_GLOBAL__N_125multi_tensor_apply_kernelINS1_18TensorListMetadataILi1EEENS1_14UnaryOpFunctorIN3c104HalfELi1ELi1ELi0EEEJNS0_3AbsIfEEEEEvT_T0_DpT1_.numbered_sgpr, 20
	.set _ZN2at6native12_GLOBAL__N_125multi_tensor_apply_kernelINS1_18TensorListMetadataILi1EEENS1_14UnaryOpFunctorIN3c104HalfELi1ELi1ELi0EEEJNS0_3AbsIfEEEEEvT_T0_DpT1_.num_named_barrier, 0
	.set _ZN2at6native12_GLOBAL__N_125multi_tensor_apply_kernelINS1_18TensorListMetadataILi1EEENS1_14UnaryOpFunctorIN3c104HalfELi1ELi1ELi0EEEJNS0_3AbsIfEEEEEvT_T0_DpT1_.private_seg_size, 0
	.set _ZN2at6native12_GLOBAL__N_125multi_tensor_apply_kernelINS1_18TensorListMetadataILi1EEENS1_14UnaryOpFunctorIN3c104HalfELi1ELi1ELi0EEEJNS0_3AbsIfEEEEEvT_T0_DpT1_.uses_vcc, 1
	.set _ZN2at6native12_GLOBAL__N_125multi_tensor_apply_kernelINS1_18TensorListMetadataILi1EEENS1_14UnaryOpFunctorIN3c104HalfELi1ELi1ELi0EEEJNS0_3AbsIfEEEEEvT_T0_DpT1_.uses_flat_scratch, 0
	.set _ZN2at6native12_GLOBAL__N_125multi_tensor_apply_kernelINS1_18TensorListMetadataILi1EEENS1_14UnaryOpFunctorIN3c104HalfELi1ELi1ELi0EEEJNS0_3AbsIfEEEEEvT_T0_DpT1_.has_dyn_sized_stack, 0
	.set _ZN2at6native12_GLOBAL__N_125multi_tensor_apply_kernelINS1_18TensorListMetadataILi1EEENS1_14UnaryOpFunctorIN3c104HalfELi1ELi1ELi0EEEJNS0_3AbsIfEEEEEvT_T0_DpT1_.has_recursion, 0
	.set _ZN2at6native12_GLOBAL__N_125multi_tensor_apply_kernelINS1_18TensorListMetadataILi1EEENS1_14UnaryOpFunctorIN3c104HalfELi1ELi1ELi0EEEJNS0_3AbsIfEEEEEvT_T0_DpT1_.has_indirect_call, 0
	.section	.AMDGPU.csdata,"",@progbits
; Kernel info:
; codeLenInByte = 1484
; TotalNumSgprs: 22
; NumVgprs: 28
; ScratchSize: 0
; MemoryBound: 0
; FloatMode: 240
; IeeeMode: 1
; LDSByteSize: 0 bytes/workgroup (compile time only)
; SGPRBlocks: 0
; VGPRBlocks: 1
; NumSGPRsForWavesPerEU: 22
; NumVGPRsForWavesPerEU: 28
; NamedBarCnt: 0
; Occupancy: 16
; WaveLimiterHint : 0
; COMPUTE_PGM_RSRC2:SCRATCH_EN: 0
; COMPUTE_PGM_RSRC2:USER_SGPR: 2
; COMPUTE_PGM_RSRC2:TRAP_HANDLER: 0
; COMPUTE_PGM_RSRC2:TGID_X_EN: 1
; COMPUTE_PGM_RSRC2:TGID_Y_EN: 0
; COMPUTE_PGM_RSRC2:TGID_Z_EN: 0
; COMPUTE_PGM_RSRC2:TIDIG_COMP_CNT: 0
	.section	.text._ZN2at6native12_GLOBAL__N_125multi_tensor_apply_kernelINS1_18TensorListMetadataILi1EEENS1_14UnaryOpFunctorIN3c108BFloat16ELi1ELi1ELi0EEEJNS0_3AbsIfEEEEEvT_T0_DpT1_,"axG",@progbits,_ZN2at6native12_GLOBAL__N_125multi_tensor_apply_kernelINS1_18TensorListMetadataILi1EEENS1_14UnaryOpFunctorIN3c108BFloat16ELi1ELi1ELi0EEEJNS0_3AbsIfEEEEEvT_T0_DpT1_,comdat
	.globl	_ZN2at6native12_GLOBAL__N_125multi_tensor_apply_kernelINS1_18TensorListMetadataILi1EEENS1_14UnaryOpFunctorIN3c108BFloat16ELi1ELi1ELi0EEEJNS0_3AbsIfEEEEEvT_T0_DpT1_ ; -- Begin function _ZN2at6native12_GLOBAL__N_125multi_tensor_apply_kernelINS1_18TensorListMetadataILi1EEENS1_14UnaryOpFunctorIN3c108BFloat16ELi1ELi1ELi0EEEJNS0_3AbsIfEEEEEvT_T0_DpT1_
	.p2align	8
	.type	_ZN2at6native12_GLOBAL__N_125multi_tensor_apply_kernelINS1_18TensorListMetadataILi1EEENS1_14UnaryOpFunctorIN3c108BFloat16ELi1ELi1ELi0EEEJNS0_3AbsIfEEEEEvT_T0_DpT1_,@function
_ZN2at6native12_GLOBAL__N_125multi_tensor_apply_kernelINS1_18TensorListMetadataILi1EEENS1_14UnaryOpFunctorIN3c108BFloat16ELi1ELi1ELi0EEEJNS0_3AbsIfEEEEEvT_T0_DpT1_: ; @_ZN2at6native12_GLOBAL__N_125multi_tensor_apply_kernelINS1_18TensorListMetadataILi1EEENS1_14UnaryOpFunctorIN3c108BFloat16ELi1ELi1ELi0EEEJNS0_3AbsIfEEEEEvT_T0_DpT1_
; %bb.0:
	s_bfe_u32 s2, ttmp6, 0x4000c
	s_and_b32 s3, ttmp6, 15
	s_add_co_i32 s2, s2, 1
	s_getreg_b32 s4, hwreg(HW_REG_IB_STS2, 6, 4)
	s_mul_i32 s2, ttmp9, s2
	s_delay_alu instid0(SALU_CYCLE_1)
	s_add_co_i32 s3, s3, s2
	s_cmp_eq_u32 s4, 0
	s_cselect_b32 s2, ttmp9, s3
	s_mov_b32 s3, 0
	s_load_u8 s8, s[0:1], s2 offset:0x6e0
	s_add_nc_u64 s[4:5], s[0:1], s[2:3]
	s_mul_u64 s[6:7], s[2:3], 3
	s_delay_alu instid0(SALU_CYCLE_1)
	s_add_nc_u64 s[4:5], s[4:5], s[6:7]
	s_load_b32 s10, s[4:5], 0x820
	s_wait_kmcnt 0x0
	s_clause 0x1
	s_load_b64 s[6:7], s[0:1], s8 offset:0x0 scale_offset
	s_load_b64 s[12:13], s[0:1], s8 offset:0x370 scale_offset
	s_ashr_i32 s11, s10, 31
	s_wait_kmcnt 0x0
	s_and_b64 s[4:5], s[6:7], 7
	s_and_b32 s2, s12, 3
	s_lshl_b64 s[8:9], s[10:11], 17
	s_or_b64 s[2:3], s[4:5], s[2:3]
	s_lshl_b64 s[4:5], s[10:11], 16
	s_cmp_eq_u64 s[2:3], 0
	s_sub_nc_u64 s[10:11], s[12:13], s[4:5]
	s_cbranch_scc1 .LBB349_21
; %bb.1:
	v_cmp_lt_i64_e64 s2, s[10:11], 1
	s_and_b32 vcc_lo, exec_lo, s2
	s_cbranch_vccnz .LBB349_20
; %bb.2:
	s_load_b32 s2, s[0:1], 0xd3c
	v_min_i64 v[2:3], 0x10000, s[10:11]
	v_min_u64 v[4:5], 0x10000, s[10:11]
	v_dual_mov_b32 v1, 0 :: v_dual_lshlrev_b32 v8, 1, v0
	s_mov_b32 s3, 0
	s_add_nc_u64 s[4:5], s[6:7], s[8:9]
	s_mov_b32 s15, s3
	s_delay_alu instid0(VALU_DEP_1)
	v_mov_b32_e32 v15, v1
	s_mov_b32 s17, s3
	s_mov_b32 s13, s3
	s_mov_b64 s[18:19], 0
	s_wait_kmcnt 0x0
	s_and_b32 s2, s2, 0xffff
	s_delay_alu instid0(SALU_CYCLE_1)
	v_add_nc_u64_e32 v[6:7], s[2:3], v[0:1]
	v_mov_b32_e32 v9, v1
	s_lshl_b32 s14, s2, 1
	s_mul_i32 s16, s2, 3
	v_add_nc_u64_e32 v[12:13], s[14:15], v[0:1]
	v_add_nc_u64_e32 v[10:11], s[16:17], v[0:1]
	s_lshl_b32 s12, s2, 2
	v_lshlrev_b32_e32 v14, 1, v6
	v_add_nc_u64_e32 v[8:9], s[4:5], v[8:9]
	s_lshl_b32 s14, s2, 3
	s_mul_u64 s[16:17], s[2:3], 6
	s_delay_alu instid0(VALU_DEP_2)
	v_add_nc_u64_e32 v[14:15], s[4:5], v[14:15]
	s_branch .LBB349_4
.LBB349_3:                              ;   in Loop: Header=BB349_4 Depth=1
	s_wait_xcnt 0x0
	s_or_b32 exec_lo, exec_lo, s2
	s_add_nc_u64 s[18:19], s[18:19], s[12:13]
	v_add_nc_u64_e32 v[8:9], s[14:15], v[8:9]
	v_cmp_lt_i64_e32 vcc_lo, s[18:19], v[2:3]
	v_add_nc_u64_e32 v[14:15], s[14:15], v[14:15]
	s_cbranch_vccz .LBB349_20
.LBB349_4:                              ; =>This Inner Loop Header: Depth=1
	v_add_nc_u64_e32 v[16:17], s[18:19], v[0:1]
	v_mov_b32_e32 v21, 0
	s_delay_alu instid0(VALU_DEP_2)
	v_cmp_lt_u64_e32 vcc_lo, v[16:17], v[4:5]
	s_and_saveexec_b32 s2, vcc_lo
	s_cbranch_execz .LBB349_6
; %bb.5:                                ;   in Loop: Header=BB349_4 Depth=1
	global_load_u16 v16, v[8:9], off
	s_wait_loadcnt 0x0
	v_lshlrev_b32_e32 v21, 16, v16
.LBB349_6:                              ;   in Loop: Header=BB349_4 Depth=1
	s_wait_xcnt 0x0
	s_or_b32 exec_lo, exec_lo, s2
	v_add_nc_u64_e32 v[16:17], s[18:19], v[6:7]
	v_dual_mov_b32 v20, 0 :: v_dual_mov_b32 v22, 0
	s_delay_alu instid0(VALU_DEP_2)
	v_cmp_lt_u64_e64 s2, v[16:17], v[4:5]
	s_and_saveexec_b32 s3, s2
	s_cbranch_execz .LBB349_8
; %bb.7:                                ;   in Loop: Header=BB349_4 Depth=1
	global_load_u16 v16, v[14:15], off
	s_wait_loadcnt 0x0
	v_lshlrev_b32_e32 v22, 16, v16
.LBB349_8:                              ;   in Loop: Header=BB349_4 Depth=1
	s_wait_xcnt 0x0
	s_or_b32 exec_lo, exec_lo, s3
	v_add_nc_u64_e32 v[16:17], s[18:19], v[12:13]
	s_delay_alu instid0(VALU_DEP_1)
	v_cmp_lt_u64_e64 s3, v[16:17], v[4:5]
	v_add_nc_u64_e32 v[16:17], s[12:13], v[8:9]
	s_and_saveexec_b32 s4, s3
	s_cbranch_execz .LBB349_10
; %bb.9:                                ;   in Loop: Header=BB349_4 Depth=1
	global_load_u16 v18, v[16:17], off
	s_wait_loadcnt 0x0
	v_lshlrev_b32_e32 v20, 16, v18
.LBB349_10:                             ;   in Loop: Header=BB349_4 Depth=1
	s_wait_xcnt 0x0
	s_or_b32 exec_lo, exec_lo, s4
	v_add_nc_u64_e32 v[18:19], s[18:19], v[10:11]
	v_mov_b32_e32 v23, 0
	s_delay_alu instid0(VALU_DEP_2)
	v_cmp_lt_u64_e64 s4, v[18:19], v[4:5]
	v_add_nc_u64_e32 v[18:19], s[16:17], v[8:9]
	s_and_saveexec_b32 s5, s4
	s_cbranch_execnz .LBB349_15
; %bb.11:                               ;   in Loop: Header=BB349_4 Depth=1
	s_or_b32 exec_lo, exec_lo, s5
	s_and_saveexec_b32 s5, vcc_lo
	s_cbranch_execnz .LBB349_16
.LBB349_12:                             ;   in Loop: Header=BB349_4 Depth=1
	s_or_b32 exec_lo, exec_lo, s5
	s_and_saveexec_b32 s5, s2
	s_cbranch_execnz .LBB349_17
.LBB349_13:                             ;   in Loop: Header=BB349_4 Depth=1
	s_or_b32 exec_lo, exec_lo, s5
	s_and_saveexec_b32 s2, s3
	s_cbranch_execnz .LBB349_18
.LBB349_14:                             ;   in Loop: Header=BB349_4 Depth=1
	s_or_b32 exec_lo, exec_lo, s2
	s_and_saveexec_b32 s2, s4
	s_cbranch_execz .LBB349_3
	s_branch .LBB349_19
.LBB349_15:                             ;   in Loop: Header=BB349_4 Depth=1
	global_load_u16 v23, v[18:19], off
	s_wait_loadcnt 0x0
	v_lshlrev_b32_e32 v23, 16, v23
	s_wait_xcnt 0x0
	s_or_b32 exec_lo, exec_lo, s5
	s_and_saveexec_b32 s5, vcc_lo
	s_cbranch_execz .LBB349_12
.LBB349_16:                             ;   in Loop: Header=BB349_4 Depth=1
	v_and_b32_e32 v24, 0x7fffffff, v21
	v_cmp_o_f32_e32 vcc_lo, v21, v21
	s_delay_alu instid0(VALU_DEP_2) | instskip(NEXT) | instid1(VALU_DEP_1)
	v_bfe_u32 v25, v24, 16, 1
	v_add3_u32 v24, v24, v25, 0x7fff
	s_delay_alu instid0(VALU_DEP_1) | instskip(NEXT) | instid1(VALU_DEP_1)
	v_lshrrev_b32_e32 v24, 16, v24
	v_cndmask_b32_e32 v21, 0x7fc0, v24, vcc_lo
	global_store_b16 v[8:9], v21, off
	s_wait_xcnt 0x0
	s_or_b32 exec_lo, exec_lo, s5
	s_and_saveexec_b32 s5, s2
	s_cbranch_execz .LBB349_13
.LBB349_17:                             ;   in Loop: Header=BB349_4 Depth=1
	v_and_b32_e32 v21, 0x7fffffff, v22
	v_cmp_o_f32_e32 vcc_lo, v22, v22
	s_delay_alu instid0(VALU_DEP_2) | instskip(NEXT) | instid1(VALU_DEP_1)
	v_bfe_u32 v24, v21, 16, 1
	v_add3_u32 v21, v21, v24, 0x7fff
	s_delay_alu instid0(VALU_DEP_1) | instskip(NEXT) | instid1(VALU_DEP_1)
	v_lshrrev_b32_e32 v21, 16, v21
	v_cndmask_b32_e32 v21, 0x7fc0, v21, vcc_lo
	global_store_b16 v[14:15], v21, off
	s_wait_xcnt 0x0
	s_or_b32 exec_lo, exec_lo, s5
	s_and_saveexec_b32 s2, s3
	s_cbranch_execz .LBB349_14
.LBB349_18:                             ;   in Loop: Header=BB349_4 Depth=1
	v_and_b32_e32 v21, 0x7fffffff, v20
	v_cmp_o_f32_e32 vcc_lo, v20, v20
	s_delay_alu instid0(VALU_DEP_2) | instskip(NEXT) | instid1(VALU_DEP_1)
	v_bfe_u32 v22, v21, 16, 1
	v_add3_u32 v21, v21, v22, 0x7fff
	s_delay_alu instid0(VALU_DEP_1) | instskip(NEXT) | instid1(VALU_DEP_1)
	v_lshrrev_b32_e32 v21, 16, v21
	v_cndmask_b32_e32 v20, 0x7fc0, v21, vcc_lo
	global_store_b16 v[16:17], v20, off
	s_wait_xcnt 0x0
	s_or_b32 exec_lo, exec_lo, s2
	s_and_saveexec_b32 s2, s4
	s_cbranch_execz .LBB349_3
.LBB349_19:                             ;   in Loop: Header=BB349_4 Depth=1
	v_and_b32_e32 v16, 0x7fffffff, v23
	v_cmp_o_f32_e32 vcc_lo, v23, v23
	s_delay_alu instid0(VALU_DEP_2) | instskip(NEXT) | instid1(VALU_DEP_1)
	v_bfe_u32 v17, v16, 16, 1
	v_add3_u32 v16, v16, v17, 0x7fff
	s_delay_alu instid0(VALU_DEP_1) | instskip(NEXT) | instid1(VALU_DEP_1)
	v_lshrrev_b32_e32 v16, 16, v16
	v_cndmask_b32_e32 v16, 0x7fc0, v16, vcc_lo
	global_store_b16 v[18:19], v16, off
	s_branch .LBB349_3
.LBB349_20:
	s_cbranch_execz .LBB349_22
	s_branch .LBB349_25
.LBB349_21:
.LBB349_22:
	v_min_i64 v[2:3], 0x10000, s[10:11]
	v_dual_mov_b32 v5, 0 :: v_dual_lshlrev_b32 v4, 2, v0
	s_mov_b32 s2, exec_lo
	s_delay_alu instid0(VALU_DEP_1)
	v_cmpx_lt_i64_e64 v[4:5], v[2:3]
	s_cbranch_execz .LBB349_25
; %bb.23:
	s_load_b32 s2, s[0:1], 0xd3c
	v_dual_mov_b32 v1, v5 :: v_dual_lshlrev_b32 v4, 3, v0
	s_wait_xcnt 0x0
	s_add_nc_u64 s[0:1], s[6:7], s[8:9]
	s_delay_alu instid0(VALU_DEP_1) | instid1(SALU_CYCLE_1)
	v_add_nc_u64_e32 v[4:5], s[0:1], v[4:5]
	s_mov_b32 s1, 0
	s_delay_alu instid0(SALU_CYCLE_1) | instskip(SKIP_3) | instid1(SALU_CYCLE_1)
	s_mov_b32 s3, s1
	s_mov_b32 s4, s1
	s_wait_kmcnt 0x0
	s_and_b32 s0, s2, 0xffff
	s_lshl_b32 s2, s0, 3
.LBB349_24:                             ; =>This Inner Loop Header: Depth=1
	global_load_b64 v[6:7], v[4:5], off
	v_add_nc_u64_e32 v[0:1], s[0:1], v[0:1]
	s_wait_loadcnt 0x0
	v_and_b32_e32 v9, 0xffff0000, v6
	v_alignbit_b32 v8, v7, v6, 16
	v_lshlrev_b32_e32 v6, 16, v6
	v_and_b32_e32 v7, 0xffff0000, v7
	s_delay_alu instid0(VALU_DEP_4) | instskip(NEXT) | instid1(VALU_DEP_4)
	v_and_b32_e32 v10, 0x7fffffff, v9
	v_and_b32_e32 v8, 0xffff0000, v8
	s_delay_alu instid0(VALU_DEP_4) | instskip(NEXT) | instid1(VALU_DEP_4)
	v_and_b32_e32 v11, 0x7fffffff, v6
	v_and_b32_e32 v12, 0x7fffffff, v7
	v_cmp_o_f32_e32 vcc_lo, v9, v9
	v_bfe_u32 v14, v10, 16, 1
	v_and_b32_e32 v13, 0x7fffffff, v8
	v_bfe_u32 v15, v11, 16, 1
	v_bfe_u32 v16, v12, 16, 1
	s_delay_alu instid0(VALU_DEP_4) | instskip(NEXT) | instid1(VALU_DEP_4)
	v_add3_u32 v10, v10, v14, 0x7fff
	v_bfe_u32 v17, v13, 16, 1
	s_delay_alu instid0(VALU_DEP_4) | instskip(NEXT) | instid1(VALU_DEP_4)
	v_add3_u32 v11, v11, v15, 0x7fff
	v_add3_u32 v12, v12, v16, 0x7fff
	s_delay_alu instid0(VALU_DEP_4) | instskip(NEXT) | instid1(VALU_DEP_4)
	v_and_b32_e32 v10, 0xffff0000, v10
	v_add3_u32 v13, v13, v17, 0x7fff
	s_delay_alu instid0(VALU_DEP_4) | instskip(NEXT) | instid1(VALU_DEP_4)
	v_lshrrev_b32_e32 v11, 16, v11
	v_and_b32_e32 v12, 0xffff0000, v12
	s_delay_alu instid0(VALU_DEP_4) | instskip(SKIP_1) | instid1(VALU_DEP_4)
	v_cndmask_b32_e32 v9, 0x7fc00000, v10, vcc_lo
	v_cmp_o_f32_e32 vcc_lo, v6, v6
	v_dual_cndmask_b32 v6, 0x7fc0, v11 :: v_dual_lshrrev_b32 v13, 16, v13
	v_cmp_o_f32_e32 vcc_lo, v7, v7
	s_delay_alu instid0(VALU_DEP_2) | instskip(SKIP_4) | instid1(VALU_DEP_2)
	v_or_b32_e32 v11, v6, v9
	v_cndmask_b32_e32 v10, 0x7fc00000, v12, vcc_lo
	v_cmp_o_f32_e32 vcc_lo, v8, v8
	v_lshlrev_b64_e32 v[6:7], 2, v[0:1]
	v_cndmask_b32_e32 v8, 0x7fc0, v13, vcc_lo
	v_cmp_ge_i64_e32 vcc_lo, v[6:7], v[2:3]
	s_delay_alu instid0(VALU_DEP_2)
	v_or3_b32 v9, 0, v8, v10
	v_or3_b32 v8, v11, 0, 0
	s_or_b32 s4, vcc_lo, s4
	global_store_b64 v[4:5], v[8:9], off
	s_wait_xcnt 0x0
	v_add_nc_u64_e32 v[4:5], s[2:3], v[4:5]
	s_and_not1_b32 exec_lo, exec_lo, s4
	s_cbranch_execnz .LBB349_24
.LBB349_25:
	s_endpgm
	.section	.rodata,"a",@progbits
	.p2align	6, 0x0
	.amdhsa_kernel _ZN2at6native12_GLOBAL__N_125multi_tensor_apply_kernelINS1_18TensorListMetadataILi1EEENS1_14UnaryOpFunctorIN3c108BFloat16ELi1ELi1ELi0EEEJNS0_3AbsIfEEEEEvT_T0_DpT1_
		.amdhsa_group_segment_fixed_size 0
		.amdhsa_private_segment_fixed_size 0
		.amdhsa_kernarg_size 3632
		.amdhsa_user_sgpr_count 2
		.amdhsa_user_sgpr_dispatch_ptr 0
		.amdhsa_user_sgpr_queue_ptr 0
		.amdhsa_user_sgpr_kernarg_segment_ptr 1
		.amdhsa_user_sgpr_dispatch_id 0
		.amdhsa_user_sgpr_kernarg_preload_length 0
		.amdhsa_user_sgpr_kernarg_preload_offset 0
		.amdhsa_user_sgpr_private_segment_size 0
		.amdhsa_wavefront_size32 1
		.amdhsa_uses_dynamic_stack 0
		.amdhsa_enable_private_segment 0
		.amdhsa_system_sgpr_workgroup_id_x 1
		.amdhsa_system_sgpr_workgroup_id_y 0
		.amdhsa_system_sgpr_workgroup_id_z 0
		.amdhsa_system_sgpr_workgroup_info 0
		.amdhsa_system_vgpr_workitem_id 0
		.amdhsa_next_free_vgpr 26
		.amdhsa_next_free_sgpr 20
		.amdhsa_named_barrier_count 0
		.amdhsa_reserve_vcc 1
		.amdhsa_float_round_mode_32 0
		.amdhsa_float_round_mode_16_64 0
		.amdhsa_float_denorm_mode_32 3
		.amdhsa_float_denorm_mode_16_64 3
		.amdhsa_fp16_overflow 0
		.amdhsa_memory_ordered 1
		.amdhsa_forward_progress 1
		.amdhsa_inst_pref_size 11
		.amdhsa_round_robin_scheduling 0
		.amdhsa_exception_fp_ieee_invalid_op 0
		.amdhsa_exception_fp_denorm_src 0
		.amdhsa_exception_fp_ieee_div_zero 0
		.amdhsa_exception_fp_ieee_overflow 0
		.amdhsa_exception_fp_ieee_underflow 0
		.amdhsa_exception_fp_ieee_inexact 0
		.amdhsa_exception_int_div_zero 0
	.end_amdhsa_kernel
	.section	.text._ZN2at6native12_GLOBAL__N_125multi_tensor_apply_kernelINS1_18TensorListMetadataILi1EEENS1_14UnaryOpFunctorIN3c108BFloat16ELi1ELi1ELi0EEEJNS0_3AbsIfEEEEEvT_T0_DpT1_,"axG",@progbits,_ZN2at6native12_GLOBAL__N_125multi_tensor_apply_kernelINS1_18TensorListMetadataILi1EEENS1_14UnaryOpFunctorIN3c108BFloat16ELi1ELi1ELi0EEEJNS0_3AbsIfEEEEEvT_T0_DpT1_,comdat
.Lfunc_end349:
	.size	_ZN2at6native12_GLOBAL__N_125multi_tensor_apply_kernelINS1_18TensorListMetadataILi1EEENS1_14UnaryOpFunctorIN3c108BFloat16ELi1ELi1ELi0EEEJNS0_3AbsIfEEEEEvT_T0_DpT1_, .Lfunc_end349-_ZN2at6native12_GLOBAL__N_125multi_tensor_apply_kernelINS1_18TensorListMetadataILi1EEENS1_14UnaryOpFunctorIN3c108BFloat16ELi1ELi1ELi0EEEJNS0_3AbsIfEEEEEvT_T0_DpT1_
                                        ; -- End function
	.set _ZN2at6native12_GLOBAL__N_125multi_tensor_apply_kernelINS1_18TensorListMetadataILi1EEENS1_14UnaryOpFunctorIN3c108BFloat16ELi1ELi1ELi0EEEJNS0_3AbsIfEEEEEvT_T0_DpT1_.num_vgpr, 26
	.set _ZN2at6native12_GLOBAL__N_125multi_tensor_apply_kernelINS1_18TensorListMetadataILi1EEENS1_14UnaryOpFunctorIN3c108BFloat16ELi1ELi1ELi0EEEJNS0_3AbsIfEEEEEvT_T0_DpT1_.num_agpr, 0
	.set _ZN2at6native12_GLOBAL__N_125multi_tensor_apply_kernelINS1_18TensorListMetadataILi1EEENS1_14UnaryOpFunctorIN3c108BFloat16ELi1ELi1ELi0EEEJNS0_3AbsIfEEEEEvT_T0_DpT1_.numbered_sgpr, 20
	.set _ZN2at6native12_GLOBAL__N_125multi_tensor_apply_kernelINS1_18TensorListMetadataILi1EEENS1_14UnaryOpFunctorIN3c108BFloat16ELi1ELi1ELi0EEEJNS0_3AbsIfEEEEEvT_T0_DpT1_.num_named_barrier, 0
	.set _ZN2at6native12_GLOBAL__N_125multi_tensor_apply_kernelINS1_18TensorListMetadataILi1EEENS1_14UnaryOpFunctorIN3c108BFloat16ELi1ELi1ELi0EEEJNS0_3AbsIfEEEEEvT_T0_DpT1_.private_seg_size, 0
	.set _ZN2at6native12_GLOBAL__N_125multi_tensor_apply_kernelINS1_18TensorListMetadataILi1EEENS1_14UnaryOpFunctorIN3c108BFloat16ELi1ELi1ELi0EEEJNS0_3AbsIfEEEEEvT_T0_DpT1_.uses_vcc, 1
	.set _ZN2at6native12_GLOBAL__N_125multi_tensor_apply_kernelINS1_18TensorListMetadataILi1EEENS1_14UnaryOpFunctorIN3c108BFloat16ELi1ELi1ELi0EEEJNS0_3AbsIfEEEEEvT_T0_DpT1_.uses_flat_scratch, 0
	.set _ZN2at6native12_GLOBAL__N_125multi_tensor_apply_kernelINS1_18TensorListMetadataILi1EEENS1_14UnaryOpFunctorIN3c108BFloat16ELi1ELi1ELi0EEEJNS0_3AbsIfEEEEEvT_T0_DpT1_.has_dyn_sized_stack, 0
	.set _ZN2at6native12_GLOBAL__N_125multi_tensor_apply_kernelINS1_18TensorListMetadataILi1EEENS1_14UnaryOpFunctorIN3c108BFloat16ELi1ELi1ELi0EEEJNS0_3AbsIfEEEEEvT_T0_DpT1_.has_recursion, 0
	.set _ZN2at6native12_GLOBAL__N_125multi_tensor_apply_kernelINS1_18TensorListMetadataILi1EEENS1_14UnaryOpFunctorIN3c108BFloat16ELi1ELi1ELi0EEEJNS0_3AbsIfEEEEEvT_T0_DpT1_.has_indirect_call, 0
	.section	.AMDGPU.csdata,"",@progbits
; Kernel info:
; codeLenInByte = 1380
; TotalNumSgprs: 22
; NumVgprs: 26
; ScratchSize: 0
; MemoryBound: 0
; FloatMode: 240
; IeeeMode: 1
; LDSByteSize: 0 bytes/workgroup (compile time only)
; SGPRBlocks: 0
; VGPRBlocks: 1
; NumSGPRsForWavesPerEU: 22
; NumVGPRsForWavesPerEU: 26
; NamedBarCnt: 0
; Occupancy: 16
; WaveLimiterHint : 0
; COMPUTE_PGM_RSRC2:SCRATCH_EN: 0
; COMPUTE_PGM_RSRC2:USER_SGPR: 2
; COMPUTE_PGM_RSRC2:TRAP_HANDLER: 0
; COMPUTE_PGM_RSRC2:TGID_X_EN: 1
; COMPUTE_PGM_RSRC2:TGID_Y_EN: 0
; COMPUTE_PGM_RSRC2:TGID_Z_EN: 0
; COMPUTE_PGM_RSRC2:TIDIG_COMP_CNT: 0
	.section	.text._ZN2at6native12_GLOBAL__N_125multi_tensor_apply_kernelINS1_18TensorListMetadataILi1EEENS1_14UnaryOpFunctorIbLi1ELi1ELi0EEEJNS0_3AbsIbEEEEEvT_T0_DpT1_,"axG",@progbits,_ZN2at6native12_GLOBAL__N_125multi_tensor_apply_kernelINS1_18TensorListMetadataILi1EEENS1_14UnaryOpFunctorIbLi1ELi1ELi0EEEJNS0_3AbsIbEEEEEvT_T0_DpT1_,comdat
	.globl	_ZN2at6native12_GLOBAL__N_125multi_tensor_apply_kernelINS1_18TensorListMetadataILi1EEENS1_14UnaryOpFunctorIbLi1ELi1ELi0EEEJNS0_3AbsIbEEEEEvT_T0_DpT1_ ; -- Begin function _ZN2at6native12_GLOBAL__N_125multi_tensor_apply_kernelINS1_18TensorListMetadataILi1EEENS1_14UnaryOpFunctorIbLi1ELi1ELi0EEEJNS0_3AbsIbEEEEEvT_T0_DpT1_
	.p2align	8
	.type	_ZN2at6native12_GLOBAL__N_125multi_tensor_apply_kernelINS1_18TensorListMetadataILi1EEENS1_14UnaryOpFunctorIbLi1ELi1ELi0EEEJNS0_3AbsIbEEEEEvT_T0_DpT1_,@function
_ZN2at6native12_GLOBAL__N_125multi_tensor_apply_kernelINS1_18TensorListMetadataILi1EEENS1_14UnaryOpFunctorIbLi1ELi1ELi0EEEJNS0_3AbsIbEEEEEvT_T0_DpT1_: ; @_ZN2at6native12_GLOBAL__N_125multi_tensor_apply_kernelINS1_18TensorListMetadataILi1EEENS1_14UnaryOpFunctorIbLi1ELi1ELi0EEEJNS0_3AbsIbEEEEEvT_T0_DpT1_
; %bb.0:
	s_bfe_u32 s2, ttmp6, 0x4000c
	s_and_b32 s3, ttmp6, 15
	s_add_co_i32 s2, s2, 1
	s_getreg_b32 s4, hwreg(HW_REG_IB_STS2, 6, 4)
	s_mul_i32 s2, ttmp9, s2
	s_delay_alu instid0(SALU_CYCLE_1)
	s_add_co_i32 s3, s3, s2
	s_cmp_eq_u32 s4, 0
	s_cselect_b32 s2, ttmp9, s3
	s_mov_b32 s3, 0
	s_load_u8 s9, s[0:1], s2 offset:0x6e0
	s_add_nc_u64 s[4:5], s[0:1], s[2:3]
	s_wait_xcnt 0x0
	s_mul_u64 s[2:3], s[2:3], 3
	s_delay_alu instid0(SALU_CYCLE_1)
	s_add_nc_u64 s[2:3], s[4:5], s[2:3]
	s_wait_kmcnt 0x0
	s_clause 0x2
	s_load_b64 s[4:5], s[0:1], s9 offset:0x370 scale_offset
	s_load_b64 s[6:7], s[0:1], s9 offset:0x0 scale_offset
	s_load_b32 s8, s[2:3], 0x820
	s_wait_kmcnt 0x0
	s_or_b32 s2, s4, s6
	s_ashr_i32 s9, s8, 31
	s_and_b32 s2, s2, 3
	s_lshl_b64 s[8:9], s[8:9], 16
	s_cmp_eq_u32 s2, 0
	s_sub_nc_u64 s[10:11], s[4:5], s[8:9]
	s_cbranch_scc1 .LBB350_21
; %bb.1:
	v_cmp_lt_i64_e64 s2, s[10:11], 1
	s_and_b32 vcc_lo, exec_lo, s2
	s_cbranch_vccnz .LBB350_20
; %bb.2:
	s_load_b32 s2, s[0:1], 0xd3c
	v_min_i64 v[2:3], 0x10000, s[10:11]
	v_min_u64 v[4:5], 0x10000, s[10:11]
	v_mov_b32_e32 v1, 0
	s_mov_b32 s13, 0
	s_delay_alu instid0(SALU_CYCLE_1) | instskip(SKIP_1) | instid1(VALU_DEP_1)
	s_mov_b32 s3, s13
	s_mov_b32 s5, s13
	v_add_nc_u64_e32 v[12:13], s[8:9], v[0:1]
	s_delay_alu instid0(VALU_DEP_1) | instskip(SKIP_2) | instid1(SALU_CYCLE_1)
	v_add_nc_u64_e32 v[6:7], s[6:7], v[12:13]
	s_wait_kmcnt 0x0
	s_and_b32 s12, s2, 0xffff
	s_lshl_b32 s2, s12, 1
	s_mul_i32 s4, s12, 3
	s_add_nc_u64 s[14:15], s[6:7], s[12:13]
	s_add_nc_u64 s[16:17], s[8:9], s[4:5]
	v_add_nc_u64_e32 v[8:9], s[4:5], v[0:1]
	s_add_nc_u64 s[4:5], s[8:9], s[2:3]
	v_add_nc_u64_e32 v[10:11], s[2:3], v[0:1]
	s_add_nc_u64 s[2:3], s[6:7], s[16:17]
	s_add_nc_u64 s[4:5], s[6:7], s[4:5]
	v_add_nc_u64_e32 v[12:13], s[14:15], v[12:13]
	v_add_nc_u64_e32 v[14:15], s[2:3], v[0:1]
	;; [unrolled: 1-line block ×4, first 2 shown]
	s_lshl_b32 s12, s12, 2
	s_mov_b64 s[14:15], 0
	s_branch .LBB350_4
.LBB350_3:                              ;   in Loop: Header=BB350_4 Depth=1
	s_wait_xcnt 0x0
	s_or_b32 exec_lo, exec_lo, s2
	s_add_nc_u64 s[14:15], s[14:15], s[12:13]
	s_delay_alu instid0(SALU_CYCLE_1)
	v_cmp_lt_i64_e32 vcc_lo, s[14:15], v[2:3]
	s_cbranch_vccz .LBB350_20
.LBB350_4:                              ; =>This Inner Loop Header: Depth=1
	v_add_nc_u64_e32 v[20:21], s[14:15], v[0:1]
	v_mov_b32_e32 v28, 0
	s_delay_alu instid0(VALU_DEP_2)
	v_cmp_lt_u64_e32 vcc_lo, v[20:21], v[4:5]
	v_add_nc_u64_e32 v[20:21], s[14:15], v[6:7]
	s_and_saveexec_b32 s2, vcc_lo
	s_cbranch_execz .LBB350_6
; %bb.5:                                ;   in Loop: Header=BB350_4 Depth=1
	global_load_u8 v28, v[20:21], off
.LBB350_6:                              ;   in Loop: Header=BB350_4 Depth=1
	s_wait_xcnt 0x0
	s_or_b32 exec_lo, exec_lo, s2
	v_add_nc_u64_e32 v[22:23], s[14:15], v[18:19]
	v_dual_mov_b32 v29, 0 :: v_dual_mov_b32 v30, 0
	s_delay_alu instid0(VALU_DEP_2)
	v_cmp_lt_u64_e64 s2, v[22:23], v[4:5]
	v_add_nc_u64_e32 v[22:23], s[14:15], v[12:13]
	s_and_saveexec_b32 s3, s2
	s_cbranch_execz .LBB350_8
; %bb.7:                                ;   in Loop: Header=BB350_4 Depth=1
	global_load_u8 v30, v[22:23], off
.LBB350_8:                              ;   in Loop: Header=BB350_4 Depth=1
	s_wait_xcnt 0x0
	s_or_b32 exec_lo, exec_lo, s3
	v_add_nc_u64_e32 v[24:25], s[14:15], v[10:11]
	s_delay_alu instid0(VALU_DEP_1)
	v_cmp_lt_u64_e64 s3, v[24:25], v[4:5]
	v_add_nc_u64_e32 v[24:25], s[14:15], v[16:17]
	s_and_saveexec_b32 s4, s3
	s_cbranch_execz .LBB350_10
; %bb.9:                                ;   in Loop: Header=BB350_4 Depth=1
	global_load_u8 v29, v[24:25], off
.LBB350_10:                             ;   in Loop: Header=BB350_4 Depth=1
	s_wait_xcnt 0x0
	s_or_b32 exec_lo, exec_lo, s4
	v_add_nc_u64_e32 v[26:27], s[14:15], v[8:9]
	v_mov_b32_e32 v31, 0
	s_delay_alu instid0(VALU_DEP_2)
	v_cmp_lt_u64_e64 s4, v[26:27], v[4:5]
	v_add_nc_u64_e32 v[26:27], s[14:15], v[14:15]
	s_and_saveexec_b32 s5, s4
	s_cbranch_execz .LBB350_12
; %bb.11:                               ;   in Loop: Header=BB350_4 Depth=1
	global_load_u8 v31, v[26:27], off
.LBB350_12:                             ;   in Loop: Header=BB350_4 Depth=1
	s_wait_xcnt 0x0
	s_or_b32 exec_lo, exec_lo, s5
	s_wait_loadcnt 0x0
	v_and_b32_e32 v31, 1, v31
	s_delay_alu instid0(VALU_DEP_1) | instskip(NEXT) | instid1(VALU_DEP_1)
	v_lshlrev_b16 v31, 8, v31
	v_bitop3_b16 v29, v29, v31, 1 bitop3:0xec
	s_delay_alu instid0(VALU_DEP_1) | instskip(NEXT) | instid1(VALU_DEP_1)
	v_dual_lshlrev_b32 v29, 16, v29 :: v_dual_bitop2_b32 v30, 1, v30 bitop3:0x40
	v_lshlrev_b16 v30, 8, v30
	s_delay_alu instid0(VALU_DEP_1) | instskip(NEXT) | instid1(VALU_DEP_1)
	v_bitop3_b16 v28, v28, v30, 1 bitop3:0xec
	v_and_b32_e32 v28, 0xffff, v28
	s_delay_alu instid0(VALU_DEP_1)
	v_or_b32_e32 v28, v28, v29
	s_and_saveexec_b32 s5, vcc_lo
	s_cbranch_execnz .LBB350_16
; %bb.13:                               ;   in Loop: Header=BB350_4 Depth=1
	s_or_b32 exec_lo, exec_lo, s5
	s_and_saveexec_b32 s5, s2
	s_cbranch_execnz .LBB350_17
.LBB350_14:                             ;   in Loop: Header=BB350_4 Depth=1
	s_or_b32 exec_lo, exec_lo, s5
	s_and_saveexec_b32 s2, s3
	s_cbranch_execnz .LBB350_18
.LBB350_15:                             ;   in Loop: Header=BB350_4 Depth=1
	s_or_b32 exec_lo, exec_lo, s2
	s_and_saveexec_b32 s2, s4
	s_cbranch_execz .LBB350_3
	s_branch .LBB350_19
.LBB350_16:                             ;   in Loop: Header=BB350_4 Depth=1
	global_store_b8 v[20:21], v28, off
	s_wait_xcnt 0x0
	s_or_b32 exec_lo, exec_lo, s5
	s_and_saveexec_b32 s5, s2
	s_cbranch_execz .LBB350_14
.LBB350_17:                             ;   in Loop: Header=BB350_4 Depth=1
	v_lshrrev_b32_e32 v20, 8, v28
	global_store_b8 v[22:23], v20, off
	s_wait_xcnt 0x0
	s_or_b32 exec_lo, exec_lo, s5
	s_and_saveexec_b32 s2, s3
	s_cbranch_execz .LBB350_15
.LBB350_18:                             ;   in Loop: Header=BB350_4 Depth=1
	global_store_d16_hi_b8 v[24:25], v28, off
	s_wait_xcnt 0x0
	s_or_b32 exec_lo, exec_lo, s2
	s_and_saveexec_b32 s2, s4
	s_cbranch_execz .LBB350_3
.LBB350_19:                             ;   in Loop: Header=BB350_4 Depth=1
	v_lshrrev_b32_e32 v20, 24, v28
	global_store_b8 v[26:27], v20, off
	s_branch .LBB350_3
.LBB350_20:
	s_cbranch_execz .LBB350_22
	s_branch .LBB350_25
.LBB350_21:
.LBB350_22:
	v_min_i64 v[2:3], 0x10000, s[10:11]
	v_dual_mov_b32 v5, 0 :: v_dual_lshlrev_b32 v4, 2, v0
	s_mov_b32 s2, exec_lo
	s_delay_alu instid0(VALU_DEP_1)
	v_cmpx_lt_i64_e64 v[4:5], v[2:3]
	s_cbranch_execz .LBB350_25
; %bb.23:
	s_load_b32 s2, s[0:1], 0xd3c
	s_wait_xcnt 0x0
	s_add_nc_u64 s[0:1], s[6:7], s[8:9]
	v_mov_b32_e32 v1, v5
	v_add_nc_u64_e32 v[4:5], s[0:1], v[4:5]
	s_mov_b32 s1, 0
	s_delay_alu instid0(SALU_CYCLE_1) | instskip(SKIP_3) | instid1(SALU_CYCLE_1)
	s_mov_b32 s3, s1
	s_mov_b32 s4, s1
	s_wait_kmcnt 0x0
	s_and_b32 s0, s2, 0xffff
	s_lshl_b32 s2, s0, 2
.LBB350_24:                             ; =>This Inner Loop Header: Depth=1
	global_load_b32 v8, v[4:5], off
	v_add_nc_u64_e32 v[0:1], s[0:1], v[0:1]
	s_delay_alu instid0(VALU_DEP_1) | instskip(NEXT) | instid1(VALU_DEP_1)
	v_lshlrev_b64_e32 v[6:7], 2, v[0:1]
	v_cmp_ge_i64_e32 vcc_lo, v[6:7], v[2:3]
	s_or_b32 s4, vcc_lo, s4
	s_wait_loadcnt 0x0
	v_and_b32_e32 v8, 0x1010101, v8
	global_store_b32 v[4:5], v8, off
	s_wait_xcnt 0x0
	v_add_nc_u64_e32 v[4:5], s[2:3], v[4:5]
	s_and_not1_b32 exec_lo, exec_lo, s4
	s_cbranch_execnz .LBB350_24
.LBB350_25:
	s_endpgm
	.section	.rodata,"a",@progbits
	.p2align	6, 0x0
	.amdhsa_kernel _ZN2at6native12_GLOBAL__N_125multi_tensor_apply_kernelINS1_18TensorListMetadataILi1EEENS1_14UnaryOpFunctorIbLi1ELi1ELi0EEEJNS0_3AbsIbEEEEEvT_T0_DpT1_
		.amdhsa_group_segment_fixed_size 0
		.amdhsa_private_segment_fixed_size 0
		.amdhsa_kernarg_size 3632
		.amdhsa_user_sgpr_count 2
		.amdhsa_user_sgpr_dispatch_ptr 0
		.amdhsa_user_sgpr_queue_ptr 0
		.amdhsa_user_sgpr_kernarg_segment_ptr 1
		.amdhsa_user_sgpr_dispatch_id 0
		.amdhsa_user_sgpr_kernarg_preload_length 0
		.amdhsa_user_sgpr_kernarg_preload_offset 0
		.amdhsa_user_sgpr_private_segment_size 0
		.amdhsa_wavefront_size32 1
		.amdhsa_uses_dynamic_stack 0
		.amdhsa_enable_private_segment 0
		.amdhsa_system_sgpr_workgroup_id_x 1
		.amdhsa_system_sgpr_workgroup_id_y 0
		.amdhsa_system_sgpr_workgroup_id_z 0
		.amdhsa_system_sgpr_workgroup_info 0
		.amdhsa_system_vgpr_workitem_id 0
		.amdhsa_next_free_vgpr 32
		.amdhsa_next_free_sgpr 18
		.amdhsa_named_barrier_count 0
		.amdhsa_reserve_vcc 1
		.amdhsa_float_round_mode_32 0
		.amdhsa_float_round_mode_16_64 0
		.amdhsa_float_denorm_mode_32 3
		.amdhsa_float_denorm_mode_16_64 3
		.amdhsa_fp16_overflow 0
		.amdhsa_memory_ordered 1
		.amdhsa_forward_progress 1
		.amdhsa_inst_pref_size 8
		.amdhsa_round_robin_scheduling 0
		.amdhsa_exception_fp_ieee_invalid_op 0
		.amdhsa_exception_fp_denorm_src 0
		.amdhsa_exception_fp_ieee_div_zero 0
		.amdhsa_exception_fp_ieee_overflow 0
		.amdhsa_exception_fp_ieee_underflow 0
		.amdhsa_exception_fp_ieee_inexact 0
		.amdhsa_exception_int_div_zero 0
	.end_amdhsa_kernel
	.section	.text._ZN2at6native12_GLOBAL__N_125multi_tensor_apply_kernelINS1_18TensorListMetadataILi1EEENS1_14UnaryOpFunctorIbLi1ELi1ELi0EEEJNS0_3AbsIbEEEEEvT_T0_DpT1_,"axG",@progbits,_ZN2at6native12_GLOBAL__N_125multi_tensor_apply_kernelINS1_18TensorListMetadataILi1EEENS1_14UnaryOpFunctorIbLi1ELi1ELi0EEEJNS0_3AbsIbEEEEEvT_T0_DpT1_,comdat
.Lfunc_end350:
	.size	_ZN2at6native12_GLOBAL__N_125multi_tensor_apply_kernelINS1_18TensorListMetadataILi1EEENS1_14UnaryOpFunctorIbLi1ELi1ELi0EEEJNS0_3AbsIbEEEEEvT_T0_DpT1_, .Lfunc_end350-_ZN2at6native12_GLOBAL__N_125multi_tensor_apply_kernelINS1_18TensorListMetadataILi1EEENS1_14UnaryOpFunctorIbLi1ELi1ELi0EEEJNS0_3AbsIbEEEEEvT_T0_DpT1_
                                        ; -- End function
	.set _ZN2at6native12_GLOBAL__N_125multi_tensor_apply_kernelINS1_18TensorListMetadataILi1EEENS1_14UnaryOpFunctorIbLi1ELi1ELi0EEEJNS0_3AbsIbEEEEEvT_T0_DpT1_.num_vgpr, 32
	.set _ZN2at6native12_GLOBAL__N_125multi_tensor_apply_kernelINS1_18TensorListMetadataILi1EEENS1_14UnaryOpFunctorIbLi1ELi1ELi0EEEJNS0_3AbsIbEEEEEvT_T0_DpT1_.num_agpr, 0
	.set _ZN2at6native12_GLOBAL__N_125multi_tensor_apply_kernelINS1_18TensorListMetadataILi1EEENS1_14UnaryOpFunctorIbLi1ELi1ELi0EEEJNS0_3AbsIbEEEEEvT_T0_DpT1_.numbered_sgpr, 18
	.set _ZN2at6native12_GLOBAL__N_125multi_tensor_apply_kernelINS1_18TensorListMetadataILi1EEENS1_14UnaryOpFunctorIbLi1ELi1ELi0EEEJNS0_3AbsIbEEEEEvT_T0_DpT1_.num_named_barrier, 0
	.set _ZN2at6native12_GLOBAL__N_125multi_tensor_apply_kernelINS1_18TensorListMetadataILi1EEENS1_14UnaryOpFunctorIbLi1ELi1ELi0EEEJNS0_3AbsIbEEEEEvT_T0_DpT1_.private_seg_size, 0
	.set _ZN2at6native12_GLOBAL__N_125multi_tensor_apply_kernelINS1_18TensorListMetadataILi1EEENS1_14UnaryOpFunctorIbLi1ELi1ELi0EEEJNS0_3AbsIbEEEEEvT_T0_DpT1_.uses_vcc, 1
	.set _ZN2at6native12_GLOBAL__N_125multi_tensor_apply_kernelINS1_18TensorListMetadataILi1EEENS1_14UnaryOpFunctorIbLi1ELi1ELi0EEEJNS0_3AbsIbEEEEEvT_T0_DpT1_.uses_flat_scratch, 0
	.set _ZN2at6native12_GLOBAL__N_125multi_tensor_apply_kernelINS1_18TensorListMetadataILi1EEENS1_14UnaryOpFunctorIbLi1ELi1ELi0EEEJNS0_3AbsIbEEEEEvT_T0_DpT1_.has_dyn_sized_stack, 0
	.set _ZN2at6native12_GLOBAL__N_125multi_tensor_apply_kernelINS1_18TensorListMetadataILi1EEENS1_14UnaryOpFunctorIbLi1ELi1ELi0EEEJNS0_3AbsIbEEEEEvT_T0_DpT1_.has_recursion, 0
	.set _ZN2at6native12_GLOBAL__N_125multi_tensor_apply_kernelINS1_18TensorListMetadataILi1EEENS1_14UnaryOpFunctorIbLi1ELi1ELi0EEEJNS0_3AbsIbEEEEEvT_T0_DpT1_.has_indirect_call, 0
	.section	.AMDGPU.csdata,"",@progbits
; Kernel info:
; codeLenInByte = 936
; TotalNumSgprs: 20
; NumVgprs: 32
; ScratchSize: 0
; MemoryBound: 0
; FloatMode: 240
; IeeeMode: 1
; LDSByteSize: 0 bytes/workgroup (compile time only)
; SGPRBlocks: 0
; VGPRBlocks: 1
; NumSGPRsForWavesPerEU: 20
; NumVGPRsForWavesPerEU: 32
; NamedBarCnt: 0
; Occupancy: 16
; WaveLimiterHint : 0
; COMPUTE_PGM_RSRC2:SCRATCH_EN: 0
; COMPUTE_PGM_RSRC2:USER_SGPR: 2
; COMPUTE_PGM_RSRC2:TRAP_HANDLER: 0
; COMPUTE_PGM_RSRC2:TGID_X_EN: 1
; COMPUTE_PGM_RSRC2:TGID_Y_EN: 0
; COMPUTE_PGM_RSRC2:TGID_Z_EN: 0
; COMPUTE_PGM_RSRC2:TIDIG_COMP_CNT: 0
	.section	.text._ZN2at6native12_GLOBAL__N_125multi_tensor_apply_kernelINS1_18TensorListMetadataILi1EEENS1_11ZeroFunctorIhLi1ELi1ELi0EEEJEEEvT_T0_DpT1_,"axG",@progbits,_ZN2at6native12_GLOBAL__N_125multi_tensor_apply_kernelINS1_18TensorListMetadataILi1EEENS1_11ZeroFunctorIhLi1ELi1ELi0EEEJEEEvT_T0_DpT1_,comdat
	.globl	_ZN2at6native12_GLOBAL__N_125multi_tensor_apply_kernelINS1_18TensorListMetadataILi1EEENS1_11ZeroFunctorIhLi1ELi1ELi0EEEJEEEvT_T0_DpT1_ ; -- Begin function _ZN2at6native12_GLOBAL__N_125multi_tensor_apply_kernelINS1_18TensorListMetadataILi1EEENS1_11ZeroFunctorIhLi1ELi1ELi0EEEJEEEvT_T0_DpT1_
	.p2align	8
	.type	_ZN2at6native12_GLOBAL__N_125multi_tensor_apply_kernelINS1_18TensorListMetadataILi1EEENS1_11ZeroFunctorIhLi1ELi1ELi0EEEJEEEvT_T0_DpT1_,@function
_ZN2at6native12_GLOBAL__N_125multi_tensor_apply_kernelINS1_18TensorListMetadataILi1EEENS1_11ZeroFunctorIhLi1ELi1ELi0EEEJEEEvT_T0_DpT1_: ; @_ZN2at6native12_GLOBAL__N_125multi_tensor_apply_kernelINS1_18TensorListMetadataILi1EEENS1_11ZeroFunctorIhLi1ELi1ELi0EEEJEEEvT_T0_DpT1_
; %bb.0:
	s_bfe_u32 s2, ttmp6, 0x4000c
	s_and_b32 s3, ttmp6, 15
	s_add_co_i32 s2, s2, 1
	s_getreg_b32 s4, hwreg(HW_REG_IB_STS2, 6, 4)
	s_mul_i32 s2, ttmp9, s2
	s_delay_alu instid0(SALU_CYCLE_1)
	s_add_co_i32 s3, s3, s2
	s_cmp_eq_u32 s4, 0
	s_cselect_b32 s2, ttmp9, s3
	s_mov_b32 s3, 0
	s_load_u8 s9, s[0:1], s2 offset:0x6e0
	s_add_nc_u64 s[4:5], s[0:1], s[2:3]
	s_wait_xcnt 0x0
	s_mul_u64 s[2:3], s[2:3], 3
	s_delay_alu instid0(SALU_CYCLE_1)
	s_add_nc_u64 s[4:5], s[4:5], s[2:3]
	s_wait_kmcnt 0x0
	s_clause 0x2
	s_load_b64 s[6:7], s[0:1], s9 offset:0x370 scale_offset
	s_load_b64 s[2:3], s[0:1], s9 offset:0x0 scale_offset
	s_load_b32 s8, s[4:5], 0x820
	s_wait_kmcnt 0x0
	s_or_b32 s4, s6, s2
	s_ashr_i32 s9, s8, 31
	s_and_b32 s10, s4, 3
	s_lshl_b64 s[4:5], s[8:9], 16
	s_cmp_eq_u32 s10, 0
	s_sub_nc_u64 s[6:7], s[6:7], s[4:5]
	s_cbranch_scc1 .LBB351_13
; %bb.1:
	v_cmp_lt_i64_e64 s8, s[6:7], 1
	s_and_b32 vcc_lo, exec_lo, s8
	s_cbranch_vccnz .LBB351_12
; %bb.2:
	s_load_b32 s8, s[0:1], 0xd3c
	v_min_i64 v[2:3], 0x10000, s[6:7]
	v_min_u64 v[4:5], 0x10000, s[6:7]
	v_mov_b32_e32 v1, 0
	s_mov_b32 s9, 0
	s_delay_alu instid0(SALU_CYCLE_1) | instskip(SKIP_1) | instid1(VALU_DEP_1)
	s_mov_b32 s11, s9
	s_mov_b32 s13, s9
	v_add_nc_u64_e32 v[12:13], s[4:5], v[0:1]
	s_delay_alu instid0(VALU_DEP_1) | instskip(SKIP_2) | instid1(SALU_CYCLE_1)
	v_add_nc_u64_e32 v[6:7], s[2:3], v[12:13]
	s_wait_kmcnt 0x0
	s_and_b32 s8, s8, 0xffff
	s_lshl_b32 s10, s8, 1
	s_mul_i32 s12, s8, 3
	s_add_nc_u64 s[14:15], s[2:3], s[8:9]
	s_add_nc_u64 s[16:17], s[4:5], s[12:13]
	v_add_nc_u64_e32 v[8:9], s[12:13], v[0:1]
	s_add_nc_u64 s[12:13], s[4:5], s[10:11]
	v_add_nc_u64_e32 v[10:11], s[10:11], v[0:1]
	s_add_nc_u64 s[10:11], s[2:3], s[16:17]
	s_add_nc_u64 s[12:13], s[2:3], s[12:13]
	v_add_nc_u64_e32 v[12:13], s[14:15], v[12:13]
	v_add_nc_u64_e32 v[14:15], s[10:11], v[0:1]
	;; [unrolled: 1-line block ×4, first 2 shown]
	s_lshl_b32 s8, s8, 2
	s_mov_b64 s[10:11], 0
	s_branch .LBB351_4
.LBB351_3:                              ;   in Loop: Header=BB351_4 Depth=1
	s_wait_xcnt 0x0
	s_or_b32 exec_lo, exec_lo, s12
	s_add_nc_u64 s[10:11], s[10:11], s[8:9]
	s_delay_alu instid0(SALU_CYCLE_1)
	v_cmp_lt_i64_e32 vcc_lo, s[10:11], v[2:3]
	s_cbranch_vccz .LBB351_12
.LBB351_4:                              ; =>This Inner Loop Header: Depth=1
	v_add_nc_u64_e32 v[20:21], s[10:11], v[0:1]
	s_mov_b32 s12, exec_lo
	s_delay_alu instid0(VALU_DEP_1)
	v_cmpx_lt_u64_e64 v[20:21], v[4:5]
	s_cbranch_execz .LBB351_6
; %bb.5:                                ;   in Loop: Header=BB351_4 Depth=1
	v_add_nc_u64_e32 v[20:21], s[10:11], v[6:7]
	global_store_b8 v[20:21], v1, off
.LBB351_6:                              ;   in Loop: Header=BB351_4 Depth=1
	s_wait_xcnt 0x0
	s_or_b32 exec_lo, exec_lo, s12
	v_add_nc_u64_e32 v[20:21], s[10:11], v[18:19]
	s_mov_b32 s12, exec_lo
	s_delay_alu instid0(VALU_DEP_1)
	v_cmpx_lt_u64_e64 v[20:21], v[4:5]
	s_cbranch_execz .LBB351_8
; %bb.7:                                ;   in Loop: Header=BB351_4 Depth=1
	v_add_nc_u64_e32 v[20:21], s[10:11], v[12:13]
	global_store_b8 v[20:21], v1, off
.LBB351_8:                              ;   in Loop: Header=BB351_4 Depth=1
	s_wait_xcnt 0x0
	s_or_b32 exec_lo, exec_lo, s12
	v_add_nc_u64_e32 v[20:21], s[10:11], v[10:11]
	s_mov_b32 s12, exec_lo
	s_delay_alu instid0(VALU_DEP_1)
	v_cmpx_lt_u64_e64 v[20:21], v[4:5]
	s_cbranch_execz .LBB351_10
; %bb.9:                                ;   in Loop: Header=BB351_4 Depth=1
	v_add_nc_u64_e32 v[20:21], s[10:11], v[16:17]
	global_store_b8 v[20:21], v1, off
.LBB351_10:                             ;   in Loop: Header=BB351_4 Depth=1
	s_wait_xcnt 0x0
	s_or_b32 exec_lo, exec_lo, s12
	v_add_nc_u64_e32 v[20:21], s[10:11], v[8:9]
	s_mov_b32 s12, exec_lo
	s_delay_alu instid0(VALU_DEP_1)
	v_cmpx_lt_u64_e64 v[20:21], v[4:5]
	s_cbranch_execz .LBB351_3
; %bb.11:                               ;   in Loop: Header=BB351_4 Depth=1
	v_add_nc_u64_e32 v[20:21], s[10:11], v[14:15]
	global_store_b8 v[20:21], v1, off
	s_branch .LBB351_3
.LBB351_12:
	s_cbranch_execz .LBB351_14
	s_branch .LBB351_17
.LBB351_13:
.LBB351_14:
	v_min_i64 v[2:3], 0x10000, s[6:7]
	v_dual_mov_b32 v5, 0 :: v_dual_lshlrev_b32 v4, 2, v0
	s_mov_b32 s6, exec_lo
	s_delay_alu instid0(VALU_DEP_1)
	v_cmpx_lt_i64_e64 v[4:5], v[2:3]
	s_cbranch_execz .LBB351_17
; %bb.15:
	s_load_b32 s6, s[0:1], 0xd3c
	s_wait_xcnt 0x0
	s_add_nc_u64 s[0:1], s[2:3], s[4:5]
	v_mov_b32_e32 v1, v5
	v_add_nc_u64_e32 v[6:7], s[0:1], v[4:5]
	s_mov_b32 s1, 0
	s_delay_alu instid0(SALU_CYCLE_1) | instskip(SKIP_3) | instid1(SALU_CYCLE_1)
	s_mov_b32 s3, s1
	s_mov_b32 s4, s1
	s_wait_kmcnt 0x0
	s_and_b32 s0, s6, 0xffff
	s_lshl_b32 s2, s0, 2
.LBB351_16:                             ; =>This Inner Loop Header: Depth=1
	v_add_nc_u64_e32 v[0:1], s[0:1], v[0:1]
	global_store_b32 v[6:7], v5, off
	s_wait_xcnt 0x0
	v_add_nc_u64_e32 v[6:7], s[2:3], v[6:7]
	v_lshlrev_b64_e32 v[8:9], 2, v[0:1]
	s_delay_alu instid0(VALU_DEP_1) | instskip(SKIP_1) | instid1(SALU_CYCLE_1)
	v_cmp_ge_i64_e32 vcc_lo, v[8:9], v[2:3]
	s_or_b32 s4, vcc_lo, s4
	s_and_not1_b32 exec_lo, exec_lo, s4
	s_cbranch_execnz .LBB351_16
.LBB351_17:
	s_endpgm
	.section	.rodata,"a",@progbits
	.p2align	6, 0x0
	.amdhsa_kernel _ZN2at6native12_GLOBAL__N_125multi_tensor_apply_kernelINS1_18TensorListMetadataILi1EEENS1_11ZeroFunctorIhLi1ELi1ELi0EEEJEEEvT_T0_DpT1_
		.amdhsa_group_segment_fixed_size 0
		.amdhsa_private_segment_fixed_size 0
		.amdhsa_kernarg_size 3632
		.amdhsa_user_sgpr_count 2
		.amdhsa_user_sgpr_dispatch_ptr 0
		.amdhsa_user_sgpr_queue_ptr 0
		.amdhsa_user_sgpr_kernarg_segment_ptr 1
		.amdhsa_user_sgpr_dispatch_id 0
		.amdhsa_user_sgpr_kernarg_preload_length 0
		.amdhsa_user_sgpr_kernarg_preload_offset 0
		.amdhsa_user_sgpr_private_segment_size 0
		.amdhsa_wavefront_size32 1
		.amdhsa_uses_dynamic_stack 0
		.amdhsa_enable_private_segment 0
		.amdhsa_system_sgpr_workgroup_id_x 1
		.amdhsa_system_sgpr_workgroup_id_y 0
		.amdhsa_system_sgpr_workgroup_id_z 0
		.amdhsa_system_sgpr_workgroup_info 0
		.amdhsa_system_vgpr_workitem_id 0
		.amdhsa_next_free_vgpr 22
		.amdhsa_next_free_sgpr 18
		.amdhsa_named_barrier_count 0
		.amdhsa_reserve_vcc 1
		.amdhsa_float_round_mode_32 0
		.amdhsa_float_round_mode_16_64 0
		.amdhsa_float_denorm_mode_32 3
		.amdhsa_float_denorm_mode_16_64 3
		.amdhsa_fp16_overflow 0
		.amdhsa_memory_ordered 1
		.amdhsa_forward_progress 1
		.amdhsa_inst_pref_size 6
		.amdhsa_round_robin_scheduling 0
		.amdhsa_exception_fp_ieee_invalid_op 0
		.amdhsa_exception_fp_denorm_src 0
		.amdhsa_exception_fp_ieee_div_zero 0
		.amdhsa_exception_fp_ieee_overflow 0
		.amdhsa_exception_fp_ieee_underflow 0
		.amdhsa_exception_fp_ieee_inexact 0
		.amdhsa_exception_int_div_zero 0
	.end_amdhsa_kernel
	.section	.text._ZN2at6native12_GLOBAL__N_125multi_tensor_apply_kernelINS1_18TensorListMetadataILi1EEENS1_11ZeroFunctorIhLi1ELi1ELi0EEEJEEEvT_T0_DpT1_,"axG",@progbits,_ZN2at6native12_GLOBAL__N_125multi_tensor_apply_kernelINS1_18TensorListMetadataILi1EEENS1_11ZeroFunctorIhLi1ELi1ELi0EEEJEEEvT_T0_DpT1_,comdat
.Lfunc_end351:
	.size	_ZN2at6native12_GLOBAL__N_125multi_tensor_apply_kernelINS1_18TensorListMetadataILi1EEENS1_11ZeroFunctorIhLi1ELi1ELi0EEEJEEEvT_T0_DpT1_, .Lfunc_end351-_ZN2at6native12_GLOBAL__N_125multi_tensor_apply_kernelINS1_18TensorListMetadataILi1EEENS1_11ZeroFunctorIhLi1ELi1ELi0EEEJEEEvT_T0_DpT1_
                                        ; -- End function
	.set _ZN2at6native12_GLOBAL__N_125multi_tensor_apply_kernelINS1_18TensorListMetadataILi1EEENS1_11ZeroFunctorIhLi1ELi1ELi0EEEJEEEvT_T0_DpT1_.num_vgpr, 22
	.set _ZN2at6native12_GLOBAL__N_125multi_tensor_apply_kernelINS1_18TensorListMetadataILi1EEENS1_11ZeroFunctorIhLi1ELi1ELi0EEEJEEEvT_T0_DpT1_.num_agpr, 0
	.set _ZN2at6native12_GLOBAL__N_125multi_tensor_apply_kernelINS1_18TensorListMetadataILi1EEENS1_11ZeroFunctorIhLi1ELi1ELi0EEEJEEEvT_T0_DpT1_.numbered_sgpr, 18
	.set _ZN2at6native12_GLOBAL__N_125multi_tensor_apply_kernelINS1_18TensorListMetadataILi1EEENS1_11ZeroFunctorIhLi1ELi1ELi0EEEJEEEvT_T0_DpT1_.num_named_barrier, 0
	.set _ZN2at6native12_GLOBAL__N_125multi_tensor_apply_kernelINS1_18TensorListMetadataILi1EEENS1_11ZeroFunctorIhLi1ELi1ELi0EEEJEEEvT_T0_DpT1_.private_seg_size, 0
	.set _ZN2at6native12_GLOBAL__N_125multi_tensor_apply_kernelINS1_18TensorListMetadataILi1EEENS1_11ZeroFunctorIhLi1ELi1ELi0EEEJEEEvT_T0_DpT1_.uses_vcc, 1
	.set _ZN2at6native12_GLOBAL__N_125multi_tensor_apply_kernelINS1_18TensorListMetadataILi1EEENS1_11ZeroFunctorIhLi1ELi1ELi0EEEJEEEvT_T0_DpT1_.uses_flat_scratch, 0
	.set _ZN2at6native12_GLOBAL__N_125multi_tensor_apply_kernelINS1_18TensorListMetadataILi1EEENS1_11ZeroFunctorIhLi1ELi1ELi0EEEJEEEvT_T0_DpT1_.has_dyn_sized_stack, 0
	.set _ZN2at6native12_GLOBAL__N_125multi_tensor_apply_kernelINS1_18TensorListMetadataILi1EEENS1_11ZeroFunctorIhLi1ELi1ELi0EEEJEEEvT_T0_DpT1_.has_recursion, 0
	.set _ZN2at6native12_GLOBAL__N_125multi_tensor_apply_kernelINS1_18TensorListMetadataILi1EEENS1_11ZeroFunctorIhLi1ELi1ELi0EEEJEEEvT_T0_DpT1_.has_indirect_call, 0
	.section	.AMDGPU.csdata,"",@progbits
; Kernel info:
; codeLenInByte = 660
; TotalNumSgprs: 20
; NumVgprs: 22
; ScratchSize: 0
; MemoryBound: 0
; FloatMode: 240
; IeeeMode: 1
; LDSByteSize: 0 bytes/workgroup (compile time only)
; SGPRBlocks: 0
; VGPRBlocks: 1
; NumSGPRsForWavesPerEU: 20
; NumVGPRsForWavesPerEU: 22
; NamedBarCnt: 0
; Occupancy: 16
; WaveLimiterHint : 0
; COMPUTE_PGM_RSRC2:SCRATCH_EN: 0
; COMPUTE_PGM_RSRC2:USER_SGPR: 2
; COMPUTE_PGM_RSRC2:TRAP_HANDLER: 0
; COMPUTE_PGM_RSRC2:TGID_X_EN: 1
; COMPUTE_PGM_RSRC2:TGID_Y_EN: 0
; COMPUTE_PGM_RSRC2:TGID_Z_EN: 0
; COMPUTE_PGM_RSRC2:TIDIG_COMP_CNT: 0
	.section	.text._ZN2at6native12_GLOBAL__N_125multi_tensor_apply_kernelINS1_18TensorListMetadataILi1EEENS1_11ZeroFunctorIaLi1ELi1ELi0EEEJEEEvT_T0_DpT1_,"axG",@progbits,_ZN2at6native12_GLOBAL__N_125multi_tensor_apply_kernelINS1_18TensorListMetadataILi1EEENS1_11ZeroFunctorIaLi1ELi1ELi0EEEJEEEvT_T0_DpT1_,comdat
	.globl	_ZN2at6native12_GLOBAL__N_125multi_tensor_apply_kernelINS1_18TensorListMetadataILi1EEENS1_11ZeroFunctorIaLi1ELi1ELi0EEEJEEEvT_T0_DpT1_ ; -- Begin function _ZN2at6native12_GLOBAL__N_125multi_tensor_apply_kernelINS1_18TensorListMetadataILi1EEENS1_11ZeroFunctorIaLi1ELi1ELi0EEEJEEEvT_T0_DpT1_
	.p2align	8
	.type	_ZN2at6native12_GLOBAL__N_125multi_tensor_apply_kernelINS1_18TensorListMetadataILi1EEENS1_11ZeroFunctorIaLi1ELi1ELi0EEEJEEEvT_T0_DpT1_,@function
_ZN2at6native12_GLOBAL__N_125multi_tensor_apply_kernelINS1_18TensorListMetadataILi1EEENS1_11ZeroFunctorIaLi1ELi1ELi0EEEJEEEvT_T0_DpT1_: ; @_ZN2at6native12_GLOBAL__N_125multi_tensor_apply_kernelINS1_18TensorListMetadataILi1EEENS1_11ZeroFunctorIaLi1ELi1ELi0EEEJEEEvT_T0_DpT1_
; %bb.0:
	s_bfe_u32 s2, ttmp6, 0x4000c
	s_and_b32 s3, ttmp6, 15
	s_add_co_i32 s2, s2, 1
	s_getreg_b32 s4, hwreg(HW_REG_IB_STS2, 6, 4)
	s_mul_i32 s2, ttmp9, s2
	s_delay_alu instid0(SALU_CYCLE_1)
	s_add_co_i32 s3, s3, s2
	s_cmp_eq_u32 s4, 0
	s_cselect_b32 s2, ttmp9, s3
	s_mov_b32 s3, 0
	s_load_u8 s9, s[0:1], s2 offset:0x6e0
	s_add_nc_u64 s[4:5], s[0:1], s[2:3]
	s_wait_xcnt 0x0
	s_mul_u64 s[2:3], s[2:3], 3
	s_delay_alu instid0(SALU_CYCLE_1)
	s_add_nc_u64 s[4:5], s[4:5], s[2:3]
	s_wait_kmcnt 0x0
	s_clause 0x2
	s_load_b64 s[6:7], s[0:1], s9 offset:0x370 scale_offset
	s_load_b64 s[2:3], s[0:1], s9 offset:0x0 scale_offset
	s_load_b32 s8, s[4:5], 0x820
	s_wait_kmcnt 0x0
	s_or_b32 s4, s6, s2
	s_ashr_i32 s9, s8, 31
	s_and_b32 s10, s4, 3
	s_lshl_b64 s[4:5], s[8:9], 16
	s_cmp_eq_u32 s10, 0
	s_sub_nc_u64 s[6:7], s[6:7], s[4:5]
	s_cbranch_scc1 .LBB352_13
; %bb.1:
	v_cmp_lt_i64_e64 s8, s[6:7], 1
	s_and_b32 vcc_lo, exec_lo, s8
	s_cbranch_vccnz .LBB352_12
; %bb.2:
	s_load_b32 s8, s[0:1], 0xd3c
	v_min_i64 v[2:3], 0x10000, s[6:7]
	v_min_u64 v[4:5], 0x10000, s[6:7]
	v_mov_b32_e32 v1, 0
	s_mov_b32 s9, 0
	s_delay_alu instid0(SALU_CYCLE_1) | instskip(SKIP_1) | instid1(VALU_DEP_1)
	s_mov_b32 s11, s9
	s_mov_b32 s13, s9
	v_add_nc_u64_e32 v[12:13], s[4:5], v[0:1]
	s_delay_alu instid0(VALU_DEP_1) | instskip(SKIP_2) | instid1(SALU_CYCLE_1)
	v_add_nc_u64_e32 v[6:7], s[2:3], v[12:13]
	s_wait_kmcnt 0x0
	s_and_b32 s8, s8, 0xffff
	s_lshl_b32 s10, s8, 1
	s_mul_i32 s12, s8, 3
	s_add_nc_u64 s[14:15], s[2:3], s[8:9]
	s_add_nc_u64 s[16:17], s[4:5], s[12:13]
	v_add_nc_u64_e32 v[8:9], s[12:13], v[0:1]
	s_add_nc_u64 s[12:13], s[4:5], s[10:11]
	v_add_nc_u64_e32 v[10:11], s[10:11], v[0:1]
	s_add_nc_u64 s[10:11], s[2:3], s[16:17]
	s_add_nc_u64 s[12:13], s[2:3], s[12:13]
	v_add_nc_u64_e32 v[12:13], s[14:15], v[12:13]
	v_add_nc_u64_e32 v[14:15], s[10:11], v[0:1]
	;; [unrolled: 1-line block ×4, first 2 shown]
	s_lshl_b32 s8, s8, 2
	s_mov_b64 s[10:11], 0
	s_branch .LBB352_4
.LBB352_3:                              ;   in Loop: Header=BB352_4 Depth=1
	s_wait_xcnt 0x0
	s_or_b32 exec_lo, exec_lo, s12
	s_add_nc_u64 s[10:11], s[10:11], s[8:9]
	s_delay_alu instid0(SALU_CYCLE_1)
	v_cmp_lt_i64_e32 vcc_lo, s[10:11], v[2:3]
	s_cbranch_vccz .LBB352_12
.LBB352_4:                              ; =>This Inner Loop Header: Depth=1
	v_add_nc_u64_e32 v[20:21], s[10:11], v[0:1]
	s_mov_b32 s12, exec_lo
	s_delay_alu instid0(VALU_DEP_1)
	v_cmpx_lt_u64_e64 v[20:21], v[4:5]
	s_cbranch_execz .LBB352_6
; %bb.5:                                ;   in Loop: Header=BB352_4 Depth=1
	v_add_nc_u64_e32 v[20:21], s[10:11], v[6:7]
	global_store_b8 v[20:21], v1, off
.LBB352_6:                              ;   in Loop: Header=BB352_4 Depth=1
	s_wait_xcnt 0x0
	s_or_b32 exec_lo, exec_lo, s12
	v_add_nc_u64_e32 v[20:21], s[10:11], v[18:19]
	s_mov_b32 s12, exec_lo
	s_delay_alu instid0(VALU_DEP_1)
	v_cmpx_lt_u64_e64 v[20:21], v[4:5]
	s_cbranch_execz .LBB352_8
; %bb.7:                                ;   in Loop: Header=BB352_4 Depth=1
	v_add_nc_u64_e32 v[20:21], s[10:11], v[12:13]
	global_store_b8 v[20:21], v1, off
.LBB352_8:                              ;   in Loop: Header=BB352_4 Depth=1
	s_wait_xcnt 0x0
	s_or_b32 exec_lo, exec_lo, s12
	v_add_nc_u64_e32 v[20:21], s[10:11], v[10:11]
	s_mov_b32 s12, exec_lo
	s_delay_alu instid0(VALU_DEP_1)
	v_cmpx_lt_u64_e64 v[20:21], v[4:5]
	s_cbranch_execz .LBB352_10
; %bb.9:                                ;   in Loop: Header=BB352_4 Depth=1
	v_add_nc_u64_e32 v[20:21], s[10:11], v[16:17]
	global_store_b8 v[20:21], v1, off
.LBB352_10:                             ;   in Loop: Header=BB352_4 Depth=1
	s_wait_xcnt 0x0
	s_or_b32 exec_lo, exec_lo, s12
	v_add_nc_u64_e32 v[20:21], s[10:11], v[8:9]
	s_mov_b32 s12, exec_lo
	s_delay_alu instid0(VALU_DEP_1)
	v_cmpx_lt_u64_e64 v[20:21], v[4:5]
	s_cbranch_execz .LBB352_3
; %bb.11:                               ;   in Loop: Header=BB352_4 Depth=1
	v_add_nc_u64_e32 v[20:21], s[10:11], v[14:15]
	global_store_b8 v[20:21], v1, off
	s_branch .LBB352_3
.LBB352_12:
	s_cbranch_execz .LBB352_14
	s_branch .LBB352_17
.LBB352_13:
.LBB352_14:
	v_min_i64 v[2:3], 0x10000, s[6:7]
	v_dual_mov_b32 v5, 0 :: v_dual_lshlrev_b32 v4, 2, v0
	s_mov_b32 s6, exec_lo
	s_delay_alu instid0(VALU_DEP_1)
	v_cmpx_lt_i64_e64 v[4:5], v[2:3]
	s_cbranch_execz .LBB352_17
; %bb.15:
	s_load_b32 s6, s[0:1], 0xd3c
	s_wait_xcnt 0x0
	s_add_nc_u64 s[0:1], s[2:3], s[4:5]
	v_mov_b32_e32 v1, v5
	v_add_nc_u64_e32 v[6:7], s[0:1], v[4:5]
	s_mov_b32 s1, 0
	s_delay_alu instid0(SALU_CYCLE_1) | instskip(SKIP_3) | instid1(SALU_CYCLE_1)
	s_mov_b32 s3, s1
	s_mov_b32 s4, s1
	s_wait_kmcnt 0x0
	s_and_b32 s0, s6, 0xffff
	s_lshl_b32 s2, s0, 2
.LBB352_16:                             ; =>This Inner Loop Header: Depth=1
	v_add_nc_u64_e32 v[0:1], s[0:1], v[0:1]
	global_store_b32 v[6:7], v5, off
	s_wait_xcnt 0x0
	v_add_nc_u64_e32 v[6:7], s[2:3], v[6:7]
	v_lshlrev_b64_e32 v[8:9], 2, v[0:1]
	s_delay_alu instid0(VALU_DEP_1) | instskip(SKIP_1) | instid1(SALU_CYCLE_1)
	v_cmp_ge_i64_e32 vcc_lo, v[8:9], v[2:3]
	s_or_b32 s4, vcc_lo, s4
	s_and_not1_b32 exec_lo, exec_lo, s4
	s_cbranch_execnz .LBB352_16
.LBB352_17:
	s_endpgm
	.section	.rodata,"a",@progbits
	.p2align	6, 0x0
	.amdhsa_kernel _ZN2at6native12_GLOBAL__N_125multi_tensor_apply_kernelINS1_18TensorListMetadataILi1EEENS1_11ZeroFunctorIaLi1ELi1ELi0EEEJEEEvT_T0_DpT1_
		.amdhsa_group_segment_fixed_size 0
		.amdhsa_private_segment_fixed_size 0
		.amdhsa_kernarg_size 3632
		.amdhsa_user_sgpr_count 2
		.amdhsa_user_sgpr_dispatch_ptr 0
		.amdhsa_user_sgpr_queue_ptr 0
		.amdhsa_user_sgpr_kernarg_segment_ptr 1
		.amdhsa_user_sgpr_dispatch_id 0
		.amdhsa_user_sgpr_kernarg_preload_length 0
		.amdhsa_user_sgpr_kernarg_preload_offset 0
		.amdhsa_user_sgpr_private_segment_size 0
		.amdhsa_wavefront_size32 1
		.amdhsa_uses_dynamic_stack 0
		.amdhsa_enable_private_segment 0
		.amdhsa_system_sgpr_workgroup_id_x 1
		.amdhsa_system_sgpr_workgroup_id_y 0
		.amdhsa_system_sgpr_workgroup_id_z 0
		.amdhsa_system_sgpr_workgroup_info 0
		.amdhsa_system_vgpr_workitem_id 0
		.amdhsa_next_free_vgpr 22
		.amdhsa_next_free_sgpr 18
		.amdhsa_named_barrier_count 0
		.amdhsa_reserve_vcc 1
		.amdhsa_float_round_mode_32 0
		.amdhsa_float_round_mode_16_64 0
		.amdhsa_float_denorm_mode_32 3
		.amdhsa_float_denorm_mode_16_64 3
		.amdhsa_fp16_overflow 0
		.amdhsa_memory_ordered 1
		.amdhsa_forward_progress 1
		.amdhsa_inst_pref_size 6
		.amdhsa_round_robin_scheduling 0
		.amdhsa_exception_fp_ieee_invalid_op 0
		.amdhsa_exception_fp_denorm_src 0
		.amdhsa_exception_fp_ieee_div_zero 0
		.amdhsa_exception_fp_ieee_overflow 0
		.amdhsa_exception_fp_ieee_underflow 0
		.amdhsa_exception_fp_ieee_inexact 0
		.amdhsa_exception_int_div_zero 0
	.end_amdhsa_kernel
	.section	.text._ZN2at6native12_GLOBAL__N_125multi_tensor_apply_kernelINS1_18TensorListMetadataILi1EEENS1_11ZeroFunctorIaLi1ELi1ELi0EEEJEEEvT_T0_DpT1_,"axG",@progbits,_ZN2at6native12_GLOBAL__N_125multi_tensor_apply_kernelINS1_18TensorListMetadataILi1EEENS1_11ZeroFunctorIaLi1ELi1ELi0EEEJEEEvT_T0_DpT1_,comdat
.Lfunc_end352:
	.size	_ZN2at6native12_GLOBAL__N_125multi_tensor_apply_kernelINS1_18TensorListMetadataILi1EEENS1_11ZeroFunctorIaLi1ELi1ELi0EEEJEEEvT_T0_DpT1_, .Lfunc_end352-_ZN2at6native12_GLOBAL__N_125multi_tensor_apply_kernelINS1_18TensorListMetadataILi1EEENS1_11ZeroFunctorIaLi1ELi1ELi0EEEJEEEvT_T0_DpT1_
                                        ; -- End function
	.set _ZN2at6native12_GLOBAL__N_125multi_tensor_apply_kernelINS1_18TensorListMetadataILi1EEENS1_11ZeroFunctorIaLi1ELi1ELi0EEEJEEEvT_T0_DpT1_.num_vgpr, 22
	.set _ZN2at6native12_GLOBAL__N_125multi_tensor_apply_kernelINS1_18TensorListMetadataILi1EEENS1_11ZeroFunctorIaLi1ELi1ELi0EEEJEEEvT_T0_DpT1_.num_agpr, 0
	.set _ZN2at6native12_GLOBAL__N_125multi_tensor_apply_kernelINS1_18TensorListMetadataILi1EEENS1_11ZeroFunctorIaLi1ELi1ELi0EEEJEEEvT_T0_DpT1_.numbered_sgpr, 18
	.set _ZN2at6native12_GLOBAL__N_125multi_tensor_apply_kernelINS1_18TensorListMetadataILi1EEENS1_11ZeroFunctorIaLi1ELi1ELi0EEEJEEEvT_T0_DpT1_.num_named_barrier, 0
	.set _ZN2at6native12_GLOBAL__N_125multi_tensor_apply_kernelINS1_18TensorListMetadataILi1EEENS1_11ZeroFunctorIaLi1ELi1ELi0EEEJEEEvT_T0_DpT1_.private_seg_size, 0
	.set _ZN2at6native12_GLOBAL__N_125multi_tensor_apply_kernelINS1_18TensorListMetadataILi1EEENS1_11ZeroFunctorIaLi1ELi1ELi0EEEJEEEvT_T0_DpT1_.uses_vcc, 1
	.set _ZN2at6native12_GLOBAL__N_125multi_tensor_apply_kernelINS1_18TensorListMetadataILi1EEENS1_11ZeroFunctorIaLi1ELi1ELi0EEEJEEEvT_T0_DpT1_.uses_flat_scratch, 0
	.set _ZN2at6native12_GLOBAL__N_125multi_tensor_apply_kernelINS1_18TensorListMetadataILi1EEENS1_11ZeroFunctorIaLi1ELi1ELi0EEEJEEEvT_T0_DpT1_.has_dyn_sized_stack, 0
	.set _ZN2at6native12_GLOBAL__N_125multi_tensor_apply_kernelINS1_18TensorListMetadataILi1EEENS1_11ZeroFunctorIaLi1ELi1ELi0EEEJEEEvT_T0_DpT1_.has_recursion, 0
	.set _ZN2at6native12_GLOBAL__N_125multi_tensor_apply_kernelINS1_18TensorListMetadataILi1EEENS1_11ZeroFunctorIaLi1ELi1ELi0EEEJEEEvT_T0_DpT1_.has_indirect_call, 0
	.section	.AMDGPU.csdata,"",@progbits
; Kernel info:
; codeLenInByte = 660
; TotalNumSgprs: 20
; NumVgprs: 22
; ScratchSize: 0
; MemoryBound: 0
; FloatMode: 240
; IeeeMode: 1
; LDSByteSize: 0 bytes/workgroup (compile time only)
; SGPRBlocks: 0
; VGPRBlocks: 1
; NumSGPRsForWavesPerEU: 20
; NumVGPRsForWavesPerEU: 22
; NamedBarCnt: 0
; Occupancy: 16
; WaveLimiterHint : 0
; COMPUTE_PGM_RSRC2:SCRATCH_EN: 0
; COMPUTE_PGM_RSRC2:USER_SGPR: 2
; COMPUTE_PGM_RSRC2:TRAP_HANDLER: 0
; COMPUTE_PGM_RSRC2:TGID_X_EN: 1
; COMPUTE_PGM_RSRC2:TGID_Y_EN: 0
; COMPUTE_PGM_RSRC2:TGID_Z_EN: 0
; COMPUTE_PGM_RSRC2:TIDIG_COMP_CNT: 0
	.section	.text._ZN2at6native12_GLOBAL__N_125multi_tensor_apply_kernelINS1_18TensorListMetadataILi1EEENS1_11ZeroFunctorIiLi1ELi1ELi0EEEJEEEvT_T0_DpT1_,"axG",@progbits,_ZN2at6native12_GLOBAL__N_125multi_tensor_apply_kernelINS1_18TensorListMetadataILi1EEENS1_11ZeroFunctorIiLi1ELi1ELi0EEEJEEEvT_T0_DpT1_,comdat
	.globl	_ZN2at6native12_GLOBAL__N_125multi_tensor_apply_kernelINS1_18TensorListMetadataILi1EEENS1_11ZeroFunctorIiLi1ELi1ELi0EEEJEEEvT_T0_DpT1_ ; -- Begin function _ZN2at6native12_GLOBAL__N_125multi_tensor_apply_kernelINS1_18TensorListMetadataILi1EEENS1_11ZeroFunctorIiLi1ELi1ELi0EEEJEEEvT_T0_DpT1_
	.p2align	8
	.type	_ZN2at6native12_GLOBAL__N_125multi_tensor_apply_kernelINS1_18TensorListMetadataILi1EEENS1_11ZeroFunctorIiLi1ELi1ELi0EEEJEEEvT_T0_DpT1_,@function
_ZN2at6native12_GLOBAL__N_125multi_tensor_apply_kernelINS1_18TensorListMetadataILi1EEENS1_11ZeroFunctorIiLi1ELi1ELi0EEEJEEEvT_T0_DpT1_: ; @_ZN2at6native12_GLOBAL__N_125multi_tensor_apply_kernelINS1_18TensorListMetadataILi1EEENS1_11ZeroFunctorIiLi1ELi1ELi0EEEJEEEvT_T0_DpT1_
; %bb.0:
	s_bfe_u32 s2, ttmp6, 0x4000c
	s_and_b32 s3, ttmp6, 15
	s_add_co_i32 s2, s2, 1
	s_getreg_b32 s4, hwreg(HW_REG_IB_STS2, 6, 4)
	s_mul_i32 s2, ttmp9, s2
	s_mov_b32 s7, 0
	s_add_co_i32 s3, s3, s2
	s_cmp_eq_u32 s4, 0
	s_cselect_b32 s6, ttmp9, s3
	s_load_u8 s9, s[0:1], s6 offset:0x6e0
	s_add_nc_u64 s[2:3], s[0:1], s[6:7]
	s_mul_u64 s[4:5], s[6:7], 3
	s_delay_alu instid0(SALU_CYCLE_1)
	s_add_nc_u64 s[4:5], s[2:3], s[4:5]
	s_load_b32 s8, s[4:5], 0x820
	s_wait_kmcnt 0x0
	s_clause 0x1
	s_load_b64 s[2:3], s[0:1], s9 offset:0x0 scale_offset
	s_load_b64 s[10:11], s[0:1], s9 offset:0x370 scale_offset
	s_wait_xcnt 0x0
	s_ashr_i32 s9, s8, 31
	s_wait_kmcnt 0x0
	s_and_b64 s[12:13], s[2:3], 15
	s_and_b32 s6, s10, 3
	s_lshl_b64 s[4:5], s[8:9], 18
	s_or_b64 s[6:7], s[12:13], s[6:7]
	s_lshl_b64 s[8:9], s[8:9], 16
	s_cmp_eq_u64 s[6:7], 0
	s_sub_nc_u64 s[6:7], s[10:11], s[8:9]
	s_cbranch_scc1 .LBB353_13
; %bb.1:
	v_cmp_lt_i64_e64 s8, s[6:7], 1
	s_and_b32 vcc_lo, exec_lo, s8
	s_cbranch_vccnz .LBB353_12
; %bb.2:
	s_load_b32 s8, s[0:1], 0xd3c
	v_min_i64 v[2:3], 0x10000, s[6:7]
	v_min_u64 v[4:5], 0x10000, s[6:7]
	v_dual_mov_b32 v1, 0 :: v_dual_lshlrev_b32 v8, 2, v0
	s_mov_b32 s15, 0
	s_add_nc_u64 s[12:13], s[2:3], s[4:5]
	s_mov_b32 s17, s15
	s_delay_alu instid0(VALU_DEP_1)
	v_mov_b32_e32 v15, v1
	s_mov_b32 s19, s15
	s_mov_b32 s9, s15
	;; [unrolled: 1-line block ×3, first 2 shown]
	s_wait_kmcnt 0x0
	s_and_b32 s14, s8, 0xffff
	s_delay_alu instid0(SALU_CYCLE_1)
	v_add_nc_u64_e32 v[6:7], s[14:15], v[0:1]
	v_mov_b32_e32 v9, v1
	s_lshl_b32 s16, s14, 1
	s_mul_i32 s18, s14, 3
	v_add_nc_u64_e32 v[12:13], s[16:17], v[0:1]
	v_add_nc_u64_e32 v[10:11], s[18:19], v[0:1]
	s_lshl_b32 s8, s14, 2
	v_lshlrev_b32_e32 v14, 2, v6
	v_add_nc_u64_e32 v[8:9], s[12:13], v[8:9]
	s_lshl_b32 s10, s14, 4
	s_mov_b64 s[16:17], 0
	s_delay_alu instid0(VALU_DEP_2)
	v_add_nc_u64_e32 v[14:15], s[12:13], v[14:15]
	s_mul_u64 s[12:13], s[14:15], 12
	s_lshl_b32 s14, s14, 3
	s_branch .LBB353_4
.LBB353_3:                              ;   in Loop: Header=BB353_4 Depth=1
	s_wait_xcnt 0x0
	s_or_b32 exec_lo, exec_lo, s18
	s_add_nc_u64 s[16:17], s[16:17], s[8:9]
	v_add_nc_u64_e32 v[8:9], s[10:11], v[8:9]
	v_cmp_lt_i64_e32 vcc_lo, s[16:17], v[2:3]
	v_add_nc_u64_e32 v[14:15], s[10:11], v[14:15]
	s_cbranch_vccz .LBB353_12
.LBB353_4:                              ; =>This Inner Loop Header: Depth=1
	v_add_nc_u64_e32 v[16:17], s[16:17], v[0:1]
	s_mov_b32 s18, exec_lo
	s_delay_alu instid0(VALU_DEP_1)
	v_cmpx_lt_u64_e64 v[16:17], v[4:5]
	s_cbranch_execz .LBB353_6
; %bb.5:                                ;   in Loop: Header=BB353_4 Depth=1
	global_store_b32 v[8:9], v1, off
.LBB353_6:                              ;   in Loop: Header=BB353_4 Depth=1
	s_wait_xcnt 0x0
	s_or_b32 exec_lo, exec_lo, s18
	v_add_nc_u64_e32 v[16:17], s[16:17], v[6:7]
	s_mov_b32 s18, exec_lo
	s_delay_alu instid0(VALU_DEP_1)
	v_cmpx_lt_u64_e64 v[16:17], v[4:5]
	s_cbranch_execz .LBB353_8
; %bb.7:                                ;   in Loop: Header=BB353_4 Depth=1
	global_store_b32 v[14:15], v1, off
.LBB353_8:                              ;   in Loop: Header=BB353_4 Depth=1
	s_wait_xcnt 0x0
	s_or_b32 exec_lo, exec_lo, s18
	v_add_nc_u64_e32 v[16:17], s[16:17], v[12:13]
	s_mov_b32 s18, exec_lo
	s_delay_alu instid0(VALU_DEP_1)
	v_cmpx_lt_u64_e64 v[16:17], v[4:5]
	s_cbranch_execz .LBB353_10
; %bb.9:                                ;   in Loop: Header=BB353_4 Depth=1
	v_add_nc_u64_e32 v[16:17], s[14:15], v[8:9]
	global_store_b32 v[16:17], v1, off
.LBB353_10:                             ;   in Loop: Header=BB353_4 Depth=1
	s_wait_xcnt 0x0
	s_or_b32 exec_lo, exec_lo, s18
	v_add_nc_u64_e32 v[16:17], s[16:17], v[10:11]
	s_mov_b32 s18, exec_lo
	s_delay_alu instid0(VALU_DEP_1)
	v_cmpx_lt_u64_e64 v[16:17], v[4:5]
	s_cbranch_execz .LBB353_3
; %bb.11:                               ;   in Loop: Header=BB353_4 Depth=1
	v_add_nc_u64_e32 v[16:17], s[12:13], v[8:9]
	global_store_b32 v[16:17], v1, off
	s_branch .LBB353_3
.LBB353_12:
	s_cbranch_execz .LBB353_14
	s_branch .LBB353_17
.LBB353_13:
.LBB353_14:
	v_min_i64 v[6:7], 0x10000, s[6:7]
	v_dual_mov_b32 v2, 0 :: v_dual_lshlrev_b32 v4, 2, v0
	s_mov_b32 s6, exec_lo
	s_delay_alu instid0(VALU_DEP_1) | instskip(NEXT) | instid1(VALU_DEP_1)
	v_mov_b32_e32 v5, v2
	v_cmpx_lt_i64_e64 v[4:5], v[6:7]
	s_cbranch_execz .LBB353_17
; %bb.15:
	s_load_b32 s6, s[0:1], 0xd3c
	v_dual_mov_b32 v5, v2 :: v_dual_lshlrev_b32 v4, 4, v0
	s_wait_xcnt 0x0
	s_add_nc_u64 s[0:1], s[2:3], s[4:5]
	v_dual_mov_b32 v1, v2 :: v_dual_mov_b32 v3, v2
	s_delay_alu instid0(VALU_DEP_2) | instskip(SKIP_2) | instid1(SALU_CYCLE_1)
	v_add_nc_u64_e32 v[8:9], s[0:1], v[4:5]
	v_mov_b32_e32 v4, v2
	s_mov_b32 s1, 0
	s_mov_b32 s3, s1
	;; [unrolled: 1-line block ×3, first 2 shown]
	s_delay_alu instid0(VALU_DEP_2) | instskip(SKIP_2) | instid1(SALU_CYCLE_1)
	v_add_nc_u64_e32 v[8:9], 8, v[8:9]
	s_wait_kmcnt 0x0
	s_and_b32 s0, s6, 0xffff
	s_lshl_b32 s2, s0, 4
.LBB353_16:                             ; =>This Inner Loop Header: Depth=1
	v_add_nc_u64_e32 v[0:1], s[0:1], v[0:1]
	global_store_b128 v[8:9], v[2:5], off offset:-8
	s_wait_xcnt 0x0
	v_add_nc_u64_e32 v[8:9], s[2:3], v[8:9]
	v_lshlrev_b64_e32 v[10:11], 2, v[0:1]
	s_delay_alu instid0(VALU_DEP_1) | instskip(SKIP_1) | instid1(SALU_CYCLE_1)
	v_cmp_ge_i64_e32 vcc_lo, v[10:11], v[6:7]
	s_or_b32 s4, vcc_lo, s4
	s_and_not1_b32 exec_lo, exec_lo, s4
	s_cbranch_execnz .LBB353_16
.LBB353_17:
	s_endpgm
	.section	.rodata,"a",@progbits
	.p2align	6, 0x0
	.amdhsa_kernel _ZN2at6native12_GLOBAL__N_125multi_tensor_apply_kernelINS1_18TensorListMetadataILi1EEENS1_11ZeroFunctorIiLi1ELi1ELi0EEEJEEEvT_T0_DpT1_
		.amdhsa_group_segment_fixed_size 0
		.amdhsa_private_segment_fixed_size 0
		.amdhsa_kernarg_size 3632
		.amdhsa_user_sgpr_count 2
		.amdhsa_user_sgpr_dispatch_ptr 0
		.amdhsa_user_sgpr_queue_ptr 0
		.amdhsa_user_sgpr_kernarg_segment_ptr 1
		.amdhsa_user_sgpr_dispatch_id 0
		.amdhsa_user_sgpr_kernarg_preload_length 0
		.amdhsa_user_sgpr_kernarg_preload_offset 0
		.amdhsa_user_sgpr_private_segment_size 0
		.amdhsa_wavefront_size32 1
		.amdhsa_uses_dynamic_stack 0
		.amdhsa_enable_private_segment 0
		.amdhsa_system_sgpr_workgroup_id_x 1
		.amdhsa_system_sgpr_workgroup_id_y 0
		.amdhsa_system_sgpr_workgroup_id_z 0
		.amdhsa_system_sgpr_workgroup_info 0
		.amdhsa_system_vgpr_workitem_id 0
		.amdhsa_next_free_vgpr 18
		.amdhsa_next_free_sgpr 20
		.amdhsa_named_barrier_count 0
		.amdhsa_reserve_vcc 1
		.amdhsa_float_round_mode_32 0
		.amdhsa_float_round_mode_16_64 0
		.amdhsa_float_denorm_mode_32 3
		.amdhsa_float_denorm_mode_16_64 3
		.amdhsa_fp16_overflow 0
		.amdhsa_memory_ordered 1
		.amdhsa_forward_progress 1
		.amdhsa_inst_pref_size 6
		.amdhsa_round_robin_scheduling 0
		.amdhsa_exception_fp_ieee_invalid_op 0
		.amdhsa_exception_fp_denorm_src 0
		.amdhsa_exception_fp_ieee_div_zero 0
		.amdhsa_exception_fp_ieee_overflow 0
		.amdhsa_exception_fp_ieee_underflow 0
		.amdhsa_exception_fp_ieee_inexact 0
		.amdhsa_exception_int_div_zero 0
	.end_amdhsa_kernel
	.section	.text._ZN2at6native12_GLOBAL__N_125multi_tensor_apply_kernelINS1_18TensorListMetadataILi1EEENS1_11ZeroFunctorIiLi1ELi1ELi0EEEJEEEvT_T0_DpT1_,"axG",@progbits,_ZN2at6native12_GLOBAL__N_125multi_tensor_apply_kernelINS1_18TensorListMetadataILi1EEENS1_11ZeroFunctorIiLi1ELi1ELi0EEEJEEEvT_T0_DpT1_,comdat
.Lfunc_end353:
	.size	_ZN2at6native12_GLOBAL__N_125multi_tensor_apply_kernelINS1_18TensorListMetadataILi1EEENS1_11ZeroFunctorIiLi1ELi1ELi0EEEJEEEvT_T0_DpT1_, .Lfunc_end353-_ZN2at6native12_GLOBAL__N_125multi_tensor_apply_kernelINS1_18TensorListMetadataILi1EEENS1_11ZeroFunctorIiLi1ELi1ELi0EEEJEEEvT_T0_DpT1_
                                        ; -- End function
	.set _ZN2at6native12_GLOBAL__N_125multi_tensor_apply_kernelINS1_18TensorListMetadataILi1EEENS1_11ZeroFunctorIiLi1ELi1ELi0EEEJEEEvT_T0_DpT1_.num_vgpr, 18
	.set _ZN2at6native12_GLOBAL__N_125multi_tensor_apply_kernelINS1_18TensorListMetadataILi1EEENS1_11ZeroFunctorIiLi1ELi1ELi0EEEJEEEvT_T0_DpT1_.num_agpr, 0
	.set _ZN2at6native12_GLOBAL__N_125multi_tensor_apply_kernelINS1_18TensorListMetadataILi1EEENS1_11ZeroFunctorIiLi1ELi1ELi0EEEJEEEvT_T0_DpT1_.numbered_sgpr, 20
	.set _ZN2at6native12_GLOBAL__N_125multi_tensor_apply_kernelINS1_18TensorListMetadataILi1EEENS1_11ZeroFunctorIiLi1ELi1ELi0EEEJEEEvT_T0_DpT1_.num_named_barrier, 0
	.set _ZN2at6native12_GLOBAL__N_125multi_tensor_apply_kernelINS1_18TensorListMetadataILi1EEENS1_11ZeroFunctorIiLi1ELi1ELi0EEEJEEEvT_T0_DpT1_.private_seg_size, 0
	.set _ZN2at6native12_GLOBAL__N_125multi_tensor_apply_kernelINS1_18TensorListMetadataILi1EEENS1_11ZeroFunctorIiLi1ELi1ELi0EEEJEEEvT_T0_DpT1_.uses_vcc, 1
	.set _ZN2at6native12_GLOBAL__N_125multi_tensor_apply_kernelINS1_18TensorListMetadataILi1EEENS1_11ZeroFunctorIiLi1ELi1ELi0EEEJEEEvT_T0_DpT1_.uses_flat_scratch, 0
	.set _ZN2at6native12_GLOBAL__N_125multi_tensor_apply_kernelINS1_18TensorListMetadataILi1EEENS1_11ZeroFunctorIiLi1ELi1ELi0EEEJEEEvT_T0_DpT1_.has_dyn_sized_stack, 0
	.set _ZN2at6native12_GLOBAL__N_125multi_tensor_apply_kernelINS1_18TensorListMetadataILi1EEENS1_11ZeroFunctorIiLi1ELi1ELi0EEEJEEEvT_T0_DpT1_.has_recursion, 0
	.set _ZN2at6native12_GLOBAL__N_125multi_tensor_apply_kernelINS1_18TensorListMetadataILi1EEENS1_11ZeroFunctorIiLi1ELi1ELi0EEEJEEEvT_T0_DpT1_.has_indirect_call, 0
	.section	.AMDGPU.csdata,"",@progbits
; Kernel info:
; codeLenInByte = 708
; TotalNumSgprs: 22
; NumVgprs: 18
; ScratchSize: 0
; MemoryBound: 0
; FloatMode: 240
; IeeeMode: 1
; LDSByteSize: 0 bytes/workgroup (compile time only)
; SGPRBlocks: 0
; VGPRBlocks: 1
; NumSGPRsForWavesPerEU: 22
; NumVGPRsForWavesPerEU: 18
; NamedBarCnt: 0
; Occupancy: 16
; WaveLimiterHint : 0
; COMPUTE_PGM_RSRC2:SCRATCH_EN: 0
; COMPUTE_PGM_RSRC2:USER_SGPR: 2
; COMPUTE_PGM_RSRC2:TRAP_HANDLER: 0
; COMPUTE_PGM_RSRC2:TGID_X_EN: 1
; COMPUTE_PGM_RSRC2:TGID_Y_EN: 0
; COMPUTE_PGM_RSRC2:TGID_Z_EN: 0
; COMPUTE_PGM_RSRC2:TIDIG_COMP_CNT: 0
	.section	.text._ZN2at6native12_GLOBAL__N_125multi_tensor_apply_kernelINS1_18TensorListMetadataILi1EEENS1_11ZeroFunctorIlLi1ELi1ELi0EEEJEEEvT_T0_DpT1_,"axG",@progbits,_ZN2at6native12_GLOBAL__N_125multi_tensor_apply_kernelINS1_18TensorListMetadataILi1EEENS1_11ZeroFunctorIlLi1ELi1ELi0EEEJEEEvT_T0_DpT1_,comdat
	.globl	_ZN2at6native12_GLOBAL__N_125multi_tensor_apply_kernelINS1_18TensorListMetadataILi1EEENS1_11ZeroFunctorIlLi1ELi1ELi0EEEJEEEvT_T0_DpT1_ ; -- Begin function _ZN2at6native12_GLOBAL__N_125multi_tensor_apply_kernelINS1_18TensorListMetadataILi1EEENS1_11ZeroFunctorIlLi1ELi1ELi0EEEJEEEvT_T0_DpT1_
	.p2align	8
	.type	_ZN2at6native12_GLOBAL__N_125multi_tensor_apply_kernelINS1_18TensorListMetadataILi1EEENS1_11ZeroFunctorIlLi1ELi1ELi0EEEJEEEvT_T0_DpT1_,@function
_ZN2at6native12_GLOBAL__N_125multi_tensor_apply_kernelINS1_18TensorListMetadataILi1EEENS1_11ZeroFunctorIlLi1ELi1ELi0EEEJEEEvT_T0_DpT1_: ; @_ZN2at6native12_GLOBAL__N_125multi_tensor_apply_kernelINS1_18TensorListMetadataILi1EEENS1_11ZeroFunctorIlLi1ELi1ELi0EEEJEEEvT_T0_DpT1_
; %bb.0:
	s_bfe_u32 s2, ttmp6, 0x4000c
	s_and_b32 s3, ttmp6, 15
	s_add_co_i32 s2, s2, 1
	s_getreg_b32 s4, hwreg(HW_REG_IB_STS2, 6, 4)
	s_mul_i32 s2, ttmp9, s2
	s_mov_b32 s7, 0
	s_add_co_i32 s3, s3, s2
	s_cmp_eq_u32 s4, 0
	s_cselect_b32 s6, ttmp9, s3
	s_load_u8 s9, s[0:1], s6 offset:0x6e0
	s_add_nc_u64 s[2:3], s[0:1], s[6:7]
	s_mul_u64 s[4:5], s[6:7], 3
	s_delay_alu instid0(SALU_CYCLE_1)
	s_add_nc_u64 s[4:5], s[2:3], s[4:5]
	s_load_b32 s8, s[4:5], 0x820
	s_wait_kmcnt 0x0
	s_clause 0x1
	s_load_b64 s[2:3], s[0:1], s9 offset:0x0 scale_offset
	s_load_b64 s[10:11], s[0:1], s9 offset:0x370 scale_offset
	s_wait_xcnt 0x0
	s_ashr_i32 s9, s8, 31
	s_wait_kmcnt 0x0
	s_and_b64 s[12:13], s[2:3], 31
	s_and_b32 s6, s10, 3
	s_lshl_b64 s[4:5], s[8:9], 19
	s_or_b64 s[6:7], s[12:13], s[6:7]
	s_lshl_b64 s[8:9], s[8:9], 16
	s_cmp_eq_u64 s[6:7], 0
	s_sub_nc_u64 s[6:7], s[10:11], s[8:9]
	s_cbranch_scc1 .LBB354_13
; %bb.1:
	v_cmp_lt_i64_e64 s8, s[6:7], 1
	s_and_b32 vcc_lo, exec_lo, s8
	s_cbranch_vccnz .LBB354_12
; %bb.2:
	s_load_b32 s8, s[0:1], 0xd3c
	v_min_i64 v[2:3], 0x10000, s[6:7]
	v_min_u64 v[4:5], 0x10000, s[6:7]
	v_dual_mov_b32 v1, 0 :: v_dual_lshlrev_b32 v8, 3, v0
	s_mov_b32 s15, 0
	s_add_nc_u64 s[12:13], s[2:3], s[4:5]
	s_mov_b32 s17, s15
	s_delay_alu instid0(VALU_DEP_1) | instskip(SKIP_3) | instid1(VALU_DEP_2)
	v_dual_mov_b32 v9, v1 :: v_dual_mov_b32 v15, v1
	s_mov_b32 s19, s15
	v_mov_b64_e32 v[16:17], 0
	s_mov_b32 s9, s15
	v_add_nc_u64_e32 v[8:9], s[12:13], v[8:9]
	s_mov_b32 s11, s15
	s_wait_kmcnt 0x0
	s_and_b32 s14, s8, 0xffff
	s_delay_alu instid0(SALU_CYCLE_1)
	v_add_nc_u64_e32 v[6:7], s[14:15], v[0:1]
	s_lshl_b32 s16, s14, 1
	s_mul_i32 s18, s14, 3
	v_add_nc_u64_e32 v[12:13], s[16:17], v[0:1]
	v_add_nc_u64_e32 v[10:11], s[18:19], v[0:1]
	s_lshl_b32 s8, s14, 2
	s_lshl_b32 s10, s14, 5
	v_lshlrev_b32_e32 v14, 3, v6
	s_mov_b64 s[16:17], 0
	s_delay_alu instid0(VALU_DEP_1)
	v_add_nc_u64_e32 v[14:15], s[12:13], v[14:15]
	s_mul_u64 s[12:13], s[14:15], 24
	s_lshl_b32 s14, s14, 4
	s_branch .LBB354_4
.LBB354_3:                              ;   in Loop: Header=BB354_4 Depth=1
	s_wait_xcnt 0x0
	s_or_b32 exec_lo, exec_lo, s18
	s_add_nc_u64 s[16:17], s[16:17], s[8:9]
	v_add_nc_u64_e32 v[8:9], s[10:11], v[8:9]
	v_cmp_lt_i64_e32 vcc_lo, s[16:17], v[2:3]
	v_add_nc_u64_e32 v[14:15], s[10:11], v[14:15]
	s_cbranch_vccz .LBB354_12
.LBB354_4:                              ; =>This Inner Loop Header: Depth=1
	v_add_nc_u64_e32 v[18:19], s[16:17], v[0:1]
	s_mov_b32 s18, exec_lo
	s_delay_alu instid0(VALU_DEP_1)
	v_cmpx_lt_u64_e64 v[18:19], v[4:5]
	s_cbranch_execz .LBB354_6
; %bb.5:                                ;   in Loop: Header=BB354_4 Depth=1
	global_store_b64 v[8:9], v[16:17], off
.LBB354_6:                              ;   in Loop: Header=BB354_4 Depth=1
	s_wait_xcnt 0x0
	s_or_b32 exec_lo, exec_lo, s18
	v_add_nc_u64_e32 v[18:19], s[16:17], v[6:7]
	s_mov_b32 s18, exec_lo
	s_delay_alu instid0(VALU_DEP_1)
	v_cmpx_lt_u64_e64 v[18:19], v[4:5]
	s_cbranch_execz .LBB354_8
; %bb.7:                                ;   in Loop: Header=BB354_4 Depth=1
	global_store_b64 v[14:15], v[16:17], off
.LBB354_8:                              ;   in Loop: Header=BB354_4 Depth=1
	s_wait_xcnt 0x0
	s_or_b32 exec_lo, exec_lo, s18
	v_add_nc_u64_e32 v[18:19], s[16:17], v[12:13]
	s_mov_b32 s18, exec_lo
	s_delay_alu instid0(VALU_DEP_1)
	v_cmpx_lt_u64_e64 v[18:19], v[4:5]
	s_cbranch_execz .LBB354_10
; %bb.9:                                ;   in Loop: Header=BB354_4 Depth=1
	v_add_nc_u64_e32 v[18:19], s[14:15], v[8:9]
	global_store_b64 v[18:19], v[16:17], off
.LBB354_10:                             ;   in Loop: Header=BB354_4 Depth=1
	s_wait_xcnt 0x0
	s_or_b32 exec_lo, exec_lo, s18
	v_add_nc_u64_e32 v[18:19], s[16:17], v[10:11]
	s_mov_b32 s18, exec_lo
	s_delay_alu instid0(VALU_DEP_1)
	v_cmpx_lt_u64_e64 v[18:19], v[4:5]
	s_cbranch_execz .LBB354_3
; %bb.11:                               ;   in Loop: Header=BB354_4 Depth=1
	v_add_nc_u64_e32 v[18:19], s[12:13], v[8:9]
	global_store_b64 v[18:19], v[16:17], off
	s_branch .LBB354_3
.LBB354_12:
	s_cbranch_execz .LBB354_14
	s_branch .LBB354_17
.LBB354_13:
.LBB354_14:
	v_min_i64 v[6:7], 0x10000, s[6:7]
	v_dual_mov_b32 v3, 0 :: v_dual_lshlrev_b32 v2, 2, v0
	s_mov_b32 s6, exec_lo
	s_delay_alu instid0(VALU_DEP_1)
	v_cmpx_lt_i64_e64 v[2:3], v[6:7]
	s_cbranch_execz .LBB354_17
; %bb.15:
	s_load_b32 s8, s[0:1], 0xd3c
	v_dual_mov_b32 v1, v3 :: v_dual_lshlrev_b32 v2, 5, v0
	s_wait_xcnt 0x0
	s_add_nc_u64 s[0:1], s[2:3], s[4:5]
	s_delay_alu instid0(VALU_DEP_1) | instid1(SALU_CYCLE_1)
	v_add_nc_u64_e32 v[4:5], s[0:1], v[2:3]
	s_mov_b32 s1, 0
	s_delay_alu instid0(SALU_CYCLE_1) | instskip(SKIP_3) | instid1(VALU_DEP_1)
	s_mov_b32 s4, s1
	s_mov_b32 s5, s1
	;; [unrolled: 1-line block ×4, first 2 shown]
	v_add_nc_u64_e32 v[8:9], 16, v[4:5]
	v_mov_b64_e32 v[2:3], s[4:5]
	v_mov_b64_e32 v[4:5], s[6:7]
	s_mov_b32 s3, s1
	s_wait_kmcnt 0x0
	s_and_b32 s0, s8, 0xffff
	s_delay_alu instid0(SALU_CYCLE_1)
	s_lshl_b32 s2, s0, 5
.LBB354_16:                             ; =>This Inner Loop Header: Depth=1
	v_add_nc_u64_e32 v[0:1], s[0:1], v[0:1]
	s_clause 0x1
	global_store_b128 v[8:9], v[2:5], off offset:-16
	global_store_b128 v[8:9], v[2:5], off
	s_wait_xcnt 0x0
	v_add_nc_u64_e32 v[8:9], s[2:3], v[8:9]
	v_lshlrev_b64_e32 v[10:11], 2, v[0:1]
	s_delay_alu instid0(VALU_DEP_1) | instskip(SKIP_1) | instid1(SALU_CYCLE_1)
	v_cmp_ge_i64_e32 vcc_lo, v[10:11], v[6:7]
	s_or_b32 s4, vcc_lo, s4
	s_and_not1_b32 exec_lo, exec_lo, s4
	s_cbranch_execnz .LBB354_16
.LBB354_17:
	s_endpgm
	.section	.rodata,"a",@progbits
	.p2align	6, 0x0
	.amdhsa_kernel _ZN2at6native12_GLOBAL__N_125multi_tensor_apply_kernelINS1_18TensorListMetadataILi1EEENS1_11ZeroFunctorIlLi1ELi1ELi0EEEJEEEvT_T0_DpT1_
		.amdhsa_group_segment_fixed_size 0
		.amdhsa_private_segment_fixed_size 0
		.amdhsa_kernarg_size 3632
		.amdhsa_user_sgpr_count 2
		.amdhsa_user_sgpr_dispatch_ptr 0
		.amdhsa_user_sgpr_queue_ptr 0
		.amdhsa_user_sgpr_kernarg_segment_ptr 1
		.amdhsa_user_sgpr_dispatch_id 0
		.amdhsa_user_sgpr_kernarg_preload_length 0
		.amdhsa_user_sgpr_kernarg_preload_offset 0
		.amdhsa_user_sgpr_private_segment_size 0
		.amdhsa_wavefront_size32 1
		.amdhsa_uses_dynamic_stack 0
		.amdhsa_enable_private_segment 0
		.amdhsa_system_sgpr_workgroup_id_x 1
		.amdhsa_system_sgpr_workgroup_id_y 0
		.amdhsa_system_sgpr_workgroup_id_z 0
		.amdhsa_system_sgpr_workgroup_info 0
		.amdhsa_system_vgpr_workitem_id 0
		.amdhsa_next_free_vgpr 20
		.amdhsa_next_free_sgpr 20
		.amdhsa_named_barrier_count 0
		.amdhsa_reserve_vcc 1
		.amdhsa_float_round_mode_32 0
		.amdhsa_float_round_mode_16_64 0
		.amdhsa_float_denorm_mode_32 3
		.amdhsa_float_denorm_mode_16_64 3
		.amdhsa_fp16_overflow 0
		.amdhsa_memory_ordered 1
		.amdhsa_forward_progress 1
		.amdhsa_inst_pref_size 6
		.amdhsa_round_robin_scheduling 0
		.amdhsa_exception_fp_ieee_invalid_op 0
		.amdhsa_exception_fp_denorm_src 0
		.amdhsa_exception_fp_ieee_div_zero 0
		.amdhsa_exception_fp_ieee_overflow 0
		.amdhsa_exception_fp_ieee_underflow 0
		.amdhsa_exception_fp_ieee_inexact 0
		.amdhsa_exception_int_div_zero 0
	.end_amdhsa_kernel
	.section	.text._ZN2at6native12_GLOBAL__N_125multi_tensor_apply_kernelINS1_18TensorListMetadataILi1EEENS1_11ZeroFunctorIlLi1ELi1ELi0EEEJEEEvT_T0_DpT1_,"axG",@progbits,_ZN2at6native12_GLOBAL__N_125multi_tensor_apply_kernelINS1_18TensorListMetadataILi1EEENS1_11ZeroFunctorIlLi1ELi1ELi0EEEJEEEvT_T0_DpT1_,comdat
.Lfunc_end354:
	.size	_ZN2at6native12_GLOBAL__N_125multi_tensor_apply_kernelINS1_18TensorListMetadataILi1EEENS1_11ZeroFunctorIlLi1ELi1ELi0EEEJEEEvT_T0_DpT1_, .Lfunc_end354-_ZN2at6native12_GLOBAL__N_125multi_tensor_apply_kernelINS1_18TensorListMetadataILi1EEENS1_11ZeroFunctorIlLi1ELi1ELi0EEEJEEEvT_T0_DpT1_
                                        ; -- End function
	.set _ZN2at6native12_GLOBAL__N_125multi_tensor_apply_kernelINS1_18TensorListMetadataILi1EEENS1_11ZeroFunctorIlLi1ELi1ELi0EEEJEEEvT_T0_DpT1_.num_vgpr, 20
	.set _ZN2at6native12_GLOBAL__N_125multi_tensor_apply_kernelINS1_18TensorListMetadataILi1EEENS1_11ZeroFunctorIlLi1ELi1ELi0EEEJEEEvT_T0_DpT1_.num_agpr, 0
	.set _ZN2at6native12_GLOBAL__N_125multi_tensor_apply_kernelINS1_18TensorListMetadataILi1EEENS1_11ZeroFunctorIlLi1ELi1ELi0EEEJEEEvT_T0_DpT1_.numbered_sgpr, 20
	.set _ZN2at6native12_GLOBAL__N_125multi_tensor_apply_kernelINS1_18TensorListMetadataILi1EEENS1_11ZeroFunctorIlLi1ELi1ELi0EEEJEEEvT_T0_DpT1_.num_named_barrier, 0
	.set _ZN2at6native12_GLOBAL__N_125multi_tensor_apply_kernelINS1_18TensorListMetadataILi1EEENS1_11ZeroFunctorIlLi1ELi1ELi0EEEJEEEvT_T0_DpT1_.private_seg_size, 0
	.set _ZN2at6native12_GLOBAL__N_125multi_tensor_apply_kernelINS1_18TensorListMetadataILi1EEENS1_11ZeroFunctorIlLi1ELi1ELi0EEEJEEEvT_T0_DpT1_.uses_vcc, 1
	.set _ZN2at6native12_GLOBAL__N_125multi_tensor_apply_kernelINS1_18TensorListMetadataILi1EEENS1_11ZeroFunctorIlLi1ELi1ELi0EEEJEEEvT_T0_DpT1_.uses_flat_scratch, 0
	.set _ZN2at6native12_GLOBAL__N_125multi_tensor_apply_kernelINS1_18TensorListMetadataILi1EEENS1_11ZeroFunctorIlLi1ELi1ELi0EEEJEEEvT_T0_DpT1_.has_dyn_sized_stack, 0
	.set _ZN2at6native12_GLOBAL__N_125multi_tensor_apply_kernelINS1_18TensorListMetadataILi1EEENS1_11ZeroFunctorIlLi1ELi1ELi0EEEJEEEvT_T0_DpT1_.has_recursion, 0
	.set _ZN2at6native12_GLOBAL__N_125multi_tensor_apply_kernelINS1_18TensorListMetadataILi1EEENS1_11ZeroFunctorIlLi1ELi1ELi0EEEJEEEvT_T0_DpT1_.has_indirect_call, 0
	.section	.AMDGPU.csdata,"",@progbits
; Kernel info:
; codeLenInByte = 732
; TotalNumSgprs: 22
; NumVgprs: 20
; ScratchSize: 0
; MemoryBound: 0
; FloatMode: 240
; IeeeMode: 1
; LDSByteSize: 0 bytes/workgroup (compile time only)
; SGPRBlocks: 0
; VGPRBlocks: 1
; NumSGPRsForWavesPerEU: 22
; NumVGPRsForWavesPerEU: 20
; NamedBarCnt: 0
; Occupancy: 16
; WaveLimiterHint : 0
; COMPUTE_PGM_RSRC2:SCRATCH_EN: 0
; COMPUTE_PGM_RSRC2:USER_SGPR: 2
; COMPUTE_PGM_RSRC2:TRAP_HANDLER: 0
; COMPUTE_PGM_RSRC2:TGID_X_EN: 1
; COMPUTE_PGM_RSRC2:TGID_Y_EN: 0
; COMPUTE_PGM_RSRC2:TGID_Z_EN: 0
; COMPUTE_PGM_RSRC2:TIDIG_COMP_CNT: 0
	.section	.text._ZN2at6native12_GLOBAL__N_125multi_tensor_apply_kernelINS1_18TensorListMetadataILi1EEENS1_11ZeroFunctorIsLi1ELi1ELi0EEEJEEEvT_T0_DpT1_,"axG",@progbits,_ZN2at6native12_GLOBAL__N_125multi_tensor_apply_kernelINS1_18TensorListMetadataILi1EEENS1_11ZeroFunctorIsLi1ELi1ELi0EEEJEEEvT_T0_DpT1_,comdat
	.globl	_ZN2at6native12_GLOBAL__N_125multi_tensor_apply_kernelINS1_18TensorListMetadataILi1EEENS1_11ZeroFunctorIsLi1ELi1ELi0EEEJEEEvT_T0_DpT1_ ; -- Begin function _ZN2at6native12_GLOBAL__N_125multi_tensor_apply_kernelINS1_18TensorListMetadataILi1EEENS1_11ZeroFunctorIsLi1ELi1ELi0EEEJEEEvT_T0_DpT1_
	.p2align	8
	.type	_ZN2at6native12_GLOBAL__N_125multi_tensor_apply_kernelINS1_18TensorListMetadataILi1EEENS1_11ZeroFunctorIsLi1ELi1ELi0EEEJEEEvT_T0_DpT1_,@function
_ZN2at6native12_GLOBAL__N_125multi_tensor_apply_kernelINS1_18TensorListMetadataILi1EEENS1_11ZeroFunctorIsLi1ELi1ELi0EEEJEEEvT_T0_DpT1_: ; @_ZN2at6native12_GLOBAL__N_125multi_tensor_apply_kernelINS1_18TensorListMetadataILi1EEENS1_11ZeroFunctorIsLi1ELi1ELi0EEEJEEEvT_T0_DpT1_
; %bb.0:
	s_bfe_u32 s2, ttmp6, 0x4000c
	s_and_b32 s3, ttmp6, 15
	s_add_co_i32 s2, s2, 1
	s_getreg_b32 s4, hwreg(HW_REG_IB_STS2, 6, 4)
	s_mul_i32 s2, ttmp9, s2
	s_mov_b32 s7, 0
	s_add_co_i32 s3, s3, s2
	s_cmp_eq_u32 s4, 0
	s_cselect_b32 s6, ttmp9, s3
	s_load_u8 s9, s[0:1], s6 offset:0x6e0
	s_add_nc_u64 s[2:3], s[0:1], s[6:7]
	s_mul_u64 s[4:5], s[6:7], 3
	s_delay_alu instid0(SALU_CYCLE_1)
	s_add_nc_u64 s[4:5], s[2:3], s[4:5]
	s_load_b32 s8, s[4:5], 0x820
	s_wait_kmcnt 0x0
	s_clause 0x1
	s_load_b64 s[2:3], s[0:1], s9 offset:0x0 scale_offset
	s_load_b64 s[10:11], s[0:1], s9 offset:0x370 scale_offset
	s_wait_xcnt 0x0
	s_ashr_i32 s9, s8, 31
	s_wait_kmcnt 0x0
	s_and_b64 s[12:13], s[2:3], 7
	s_and_b32 s6, s10, 3
	s_lshl_b64 s[4:5], s[8:9], 17
	s_or_b64 s[6:7], s[12:13], s[6:7]
	s_lshl_b64 s[8:9], s[8:9], 16
	s_cmp_eq_u64 s[6:7], 0
	s_sub_nc_u64 s[6:7], s[10:11], s[8:9]
	s_cbranch_scc1 .LBB355_13
; %bb.1:
	v_cmp_lt_i64_e64 s8, s[6:7], 1
	s_and_b32 vcc_lo, exec_lo, s8
	s_cbranch_vccnz .LBB355_12
; %bb.2:
	s_load_b32 s8, s[0:1], 0xd3c
	v_min_i64 v[2:3], 0x10000, s[6:7]
	v_min_u64 v[4:5], 0x10000, s[6:7]
	v_dual_mov_b32 v1, 0 :: v_dual_lshlrev_b32 v8, 1, v0
	s_mov_b32 s13, 0
	s_add_nc_u64 s[10:11], s[2:3], s[4:5]
	s_mov_b32 s15, s13
	s_delay_alu instid0(VALU_DEP_1) | instskip(SKIP_4) | instid1(SALU_CYCLE_1)
	v_mov_b32_e32 v15, v1
	s_mov_b32 s17, s13
	s_mov_b32 s9, s13
	s_wait_kmcnt 0x0
	s_and_b32 s12, s8, 0xffff
	v_add_nc_u64_e32 v[6:7], s[12:13], v[0:1]
	v_mov_b32_e32 v9, v1
	s_lshl_b32 s14, s12, 1
	s_mul_i32 s16, s12, 3
	v_add_nc_u64_e32 v[12:13], s[14:15], v[0:1]
	v_add_nc_u64_e32 v[10:11], s[16:17], v[0:1]
	s_lshl_b32 s8, s12, 2
	v_lshlrev_b32_e32 v14, 1, v6
	v_add_nc_u64_e32 v[8:9], s[10:11], v[8:9]
	s_mov_b64 s[14:15], 0
	s_delay_alu instid0(VALU_DEP_2)
	v_add_nc_u64_e32 v[14:15], s[10:11], v[14:15]
	s_lshl_b32 s10, s12, 3
	s_mov_b32 s11, s13
	s_mul_u64 s[12:13], s[12:13], 6
	s_branch .LBB355_4
.LBB355_3:                              ;   in Loop: Header=BB355_4 Depth=1
	s_wait_xcnt 0x0
	s_or_b32 exec_lo, exec_lo, s16
	s_add_nc_u64 s[14:15], s[14:15], s[8:9]
	v_add_nc_u64_e32 v[8:9], s[10:11], v[8:9]
	v_cmp_lt_i64_e32 vcc_lo, s[14:15], v[2:3]
	v_add_nc_u64_e32 v[14:15], s[10:11], v[14:15]
	s_cbranch_vccz .LBB355_12
.LBB355_4:                              ; =>This Inner Loop Header: Depth=1
	v_add_nc_u64_e32 v[16:17], s[14:15], v[0:1]
	s_mov_b32 s16, exec_lo
	s_delay_alu instid0(VALU_DEP_1)
	v_cmpx_lt_u64_e64 v[16:17], v[4:5]
	s_cbranch_execz .LBB355_6
; %bb.5:                                ;   in Loop: Header=BB355_4 Depth=1
	global_store_b16 v[8:9], v1, off
.LBB355_6:                              ;   in Loop: Header=BB355_4 Depth=1
	s_wait_xcnt 0x0
	s_or_b32 exec_lo, exec_lo, s16
	v_add_nc_u64_e32 v[16:17], s[14:15], v[6:7]
	s_mov_b32 s16, exec_lo
	s_delay_alu instid0(VALU_DEP_1)
	v_cmpx_lt_u64_e64 v[16:17], v[4:5]
	s_cbranch_execz .LBB355_8
; %bb.7:                                ;   in Loop: Header=BB355_4 Depth=1
	global_store_b16 v[14:15], v1, off
.LBB355_8:                              ;   in Loop: Header=BB355_4 Depth=1
	s_wait_xcnt 0x0
	s_or_b32 exec_lo, exec_lo, s16
	v_add_nc_u64_e32 v[16:17], s[14:15], v[12:13]
	s_mov_b32 s16, exec_lo
	s_delay_alu instid0(VALU_DEP_1)
	v_cmpx_lt_u64_e64 v[16:17], v[4:5]
	s_cbranch_execz .LBB355_10
; %bb.9:                                ;   in Loop: Header=BB355_4 Depth=1
	v_add_nc_u64_e32 v[16:17], s[8:9], v[8:9]
	global_store_b16 v[16:17], v1, off
.LBB355_10:                             ;   in Loop: Header=BB355_4 Depth=1
	s_wait_xcnt 0x0
	s_or_b32 exec_lo, exec_lo, s16
	v_add_nc_u64_e32 v[16:17], s[14:15], v[10:11]
	s_mov_b32 s16, exec_lo
	s_delay_alu instid0(VALU_DEP_1)
	v_cmpx_lt_u64_e64 v[16:17], v[4:5]
	s_cbranch_execz .LBB355_3
; %bb.11:                               ;   in Loop: Header=BB355_4 Depth=1
	v_add_nc_u64_e32 v[16:17], s[12:13], v[8:9]
	global_store_b16 v[16:17], v1, off
	s_branch .LBB355_3
.LBB355_12:
	s_cbranch_execz .LBB355_14
	s_branch .LBB355_17
.LBB355_13:
.LBB355_14:
	v_min_i64 v[2:3], 0x10000, s[6:7]
	v_dual_mov_b32 v4, 0 :: v_dual_lshlrev_b32 v6, 2, v0
	s_mov_b32 s6, exec_lo
	s_delay_alu instid0(VALU_DEP_1) | instskip(NEXT) | instid1(VALU_DEP_1)
	v_mov_b32_e32 v7, v4
	v_cmpx_lt_i64_e64 v[6:7], v[2:3]
	s_cbranch_execz .LBB355_17
; %bb.15:
	s_load_b32 s0, s[0:1], 0xd3c
	v_dual_mov_b32 v7, v4 :: v_dual_lshlrev_b32 v6, 3, v0
	s_add_nc_u64 s[2:3], s[2:3], s[4:5]
	v_dual_mov_b32 v1, v4 :: v_dual_mov_b32 v5, v4
	s_wait_xcnt 0x0
	s_mov_b32 s1, 0
	v_add_nc_u64_e32 v[6:7], s[2:3], v[6:7]
	s_mov_b32 s3, s1
	s_mov_b32 s4, s1
	s_wait_kmcnt 0x0
	s_and_b32 s0, s0, 0xffff
	s_delay_alu instid0(SALU_CYCLE_1)
	s_lshl_b32 s2, s0, 3
.LBB355_16:                             ; =>This Inner Loop Header: Depth=1
	v_add_nc_u64_e32 v[0:1], s[0:1], v[0:1]
	global_store_b64 v[6:7], v[4:5], off
	s_wait_xcnt 0x0
	v_add_nc_u64_e32 v[6:7], s[2:3], v[6:7]
	v_lshlrev_b64_e32 v[8:9], 2, v[0:1]
	s_delay_alu instid0(VALU_DEP_1) | instskip(SKIP_1) | instid1(SALU_CYCLE_1)
	v_cmp_ge_i64_e32 vcc_lo, v[8:9], v[2:3]
	s_or_b32 s4, vcc_lo, s4
	s_and_not1_b32 exec_lo, exec_lo, s4
	s_cbranch_execnz .LBB355_16
.LBB355_17:
	s_endpgm
	.section	.rodata,"a",@progbits
	.p2align	6, 0x0
	.amdhsa_kernel _ZN2at6native12_GLOBAL__N_125multi_tensor_apply_kernelINS1_18TensorListMetadataILi1EEENS1_11ZeroFunctorIsLi1ELi1ELi0EEEJEEEvT_T0_DpT1_
		.amdhsa_group_segment_fixed_size 0
		.amdhsa_private_segment_fixed_size 0
		.amdhsa_kernarg_size 3632
		.amdhsa_user_sgpr_count 2
		.amdhsa_user_sgpr_dispatch_ptr 0
		.amdhsa_user_sgpr_queue_ptr 0
		.amdhsa_user_sgpr_kernarg_segment_ptr 1
		.amdhsa_user_sgpr_dispatch_id 0
		.amdhsa_user_sgpr_kernarg_preload_length 0
		.amdhsa_user_sgpr_kernarg_preload_offset 0
		.amdhsa_user_sgpr_private_segment_size 0
		.amdhsa_wavefront_size32 1
		.amdhsa_uses_dynamic_stack 0
		.amdhsa_enable_private_segment 0
		.amdhsa_system_sgpr_workgroup_id_x 1
		.amdhsa_system_sgpr_workgroup_id_y 0
		.amdhsa_system_sgpr_workgroup_id_z 0
		.amdhsa_system_sgpr_workgroup_info 0
		.amdhsa_system_vgpr_workitem_id 0
		.amdhsa_next_free_vgpr 18
		.amdhsa_next_free_sgpr 18
		.amdhsa_named_barrier_count 0
		.amdhsa_reserve_vcc 1
		.amdhsa_float_round_mode_32 0
		.amdhsa_float_round_mode_16_64 0
		.amdhsa_float_denorm_mode_32 3
		.amdhsa_float_denorm_mode_16_64 3
		.amdhsa_fp16_overflow 0
		.amdhsa_memory_ordered 1
		.amdhsa_forward_progress 1
		.amdhsa_inst_pref_size 6
		.amdhsa_round_robin_scheduling 0
		.amdhsa_exception_fp_ieee_invalid_op 0
		.amdhsa_exception_fp_denorm_src 0
		.amdhsa_exception_fp_ieee_div_zero 0
		.amdhsa_exception_fp_ieee_overflow 0
		.amdhsa_exception_fp_ieee_underflow 0
		.amdhsa_exception_fp_ieee_inexact 0
		.amdhsa_exception_int_div_zero 0
	.end_amdhsa_kernel
	.section	.text._ZN2at6native12_GLOBAL__N_125multi_tensor_apply_kernelINS1_18TensorListMetadataILi1EEENS1_11ZeroFunctorIsLi1ELi1ELi0EEEJEEEvT_T0_DpT1_,"axG",@progbits,_ZN2at6native12_GLOBAL__N_125multi_tensor_apply_kernelINS1_18TensorListMetadataILi1EEENS1_11ZeroFunctorIsLi1ELi1ELi0EEEJEEEvT_T0_DpT1_,comdat
.Lfunc_end355:
	.size	_ZN2at6native12_GLOBAL__N_125multi_tensor_apply_kernelINS1_18TensorListMetadataILi1EEENS1_11ZeroFunctorIsLi1ELi1ELi0EEEJEEEvT_T0_DpT1_, .Lfunc_end355-_ZN2at6native12_GLOBAL__N_125multi_tensor_apply_kernelINS1_18TensorListMetadataILi1EEENS1_11ZeroFunctorIsLi1ELi1ELi0EEEJEEEvT_T0_DpT1_
                                        ; -- End function
	.set _ZN2at6native12_GLOBAL__N_125multi_tensor_apply_kernelINS1_18TensorListMetadataILi1EEENS1_11ZeroFunctorIsLi1ELi1ELi0EEEJEEEvT_T0_DpT1_.num_vgpr, 18
	.set _ZN2at6native12_GLOBAL__N_125multi_tensor_apply_kernelINS1_18TensorListMetadataILi1EEENS1_11ZeroFunctorIsLi1ELi1ELi0EEEJEEEvT_T0_DpT1_.num_agpr, 0
	.set _ZN2at6native12_GLOBAL__N_125multi_tensor_apply_kernelINS1_18TensorListMetadataILi1EEENS1_11ZeroFunctorIsLi1ELi1ELi0EEEJEEEvT_T0_DpT1_.numbered_sgpr, 18
	.set _ZN2at6native12_GLOBAL__N_125multi_tensor_apply_kernelINS1_18TensorListMetadataILi1EEENS1_11ZeroFunctorIsLi1ELi1ELi0EEEJEEEvT_T0_DpT1_.num_named_barrier, 0
	.set _ZN2at6native12_GLOBAL__N_125multi_tensor_apply_kernelINS1_18TensorListMetadataILi1EEENS1_11ZeroFunctorIsLi1ELi1ELi0EEEJEEEvT_T0_DpT1_.private_seg_size, 0
	.set _ZN2at6native12_GLOBAL__N_125multi_tensor_apply_kernelINS1_18TensorListMetadataILi1EEENS1_11ZeroFunctorIsLi1ELi1ELi0EEEJEEEvT_T0_DpT1_.uses_vcc, 1
	.set _ZN2at6native12_GLOBAL__N_125multi_tensor_apply_kernelINS1_18TensorListMetadataILi1EEENS1_11ZeroFunctorIsLi1ELi1ELi0EEEJEEEvT_T0_DpT1_.uses_flat_scratch, 0
	.set _ZN2at6native12_GLOBAL__N_125multi_tensor_apply_kernelINS1_18TensorListMetadataILi1EEENS1_11ZeroFunctorIsLi1ELi1ELi0EEEJEEEvT_T0_DpT1_.has_dyn_sized_stack, 0
	.set _ZN2at6native12_GLOBAL__N_125multi_tensor_apply_kernelINS1_18TensorListMetadataILi1EEENS1_11ZeroFunctorIsLi1ELi1ELi0EEEJEEEvT_T0_DpT1_.has_recursion, 0
	.set _ZN2at6native12_GLOBAL__N_125multi_tensor_apply_kernelINS1_18TensorListMetadataILi1EEENS1_11ZeroFunctorIsLi1ELi1ELi0EEEJEEEvT_T0_DpT1_.has_indirect_call, 0
	.section	.AMDGPU.csdata,"",@progbits
; Kernel info:
; codeLenInByte = 688
; TotalNumSgprs: 20
; NumVgprs: 18
; ScratchSize: 0
; MemoryBound: 0
; FloatMode: 240
; IeeeMode: 1
; LDSByteSize: 0 bytes/workgroup (compile time only)
; SGPRBlocks: 0
; VGPRBlocks: 1
; NumSGPRsForWavesPerEU: 20
; NumVGPRsForWavesPerEU: 18
; NamedBarCnt: 0
; Occupancy: 16
; WaveLimiterHint : 0
; COMPUTE_PGM_RSRC2:SCRATCH_EN: 0
; COMPUTE_PGM_RSRC2:USER_SGPR: 2
; COMPUTE_PGM_RSRC2:TRAP_HANDLER: 0
; COMPUTE_PGM_RSRC2:TGID_X_EN: 1
; COMPUTE_PGM_RSRC2:TGID_Y_EN: 0
; COMPUTE_PGM_RSRC2:TGID_Z_EN: 0
; COMPUTE_PGM_RSRC2:TIDIG_COMP_CNT: 0
	.section	.text._ZN2at6native12_GLOBAL__N_125multi_tensor_apply_kernelINS1_18TensorListMetadataILi1EEENS1_11ZeroFunctorIdLi1ELi1ELi0EEEJEEEvT_T0_DpT1_,"axG",@progbits,_ZN2at6native12_GLOBAL__N_125multi_tensor_apply_kernelINS1_18TensorListMetadataILi1EEENS1_11ZeroFunctorIdLi1ELi1ELi0EEEJEEEvT_T0_DpT1_,comdat
	.globl	_ZN2at6native12_GLOBAL__N_125multi_tensor_apply_kernelINS1_18TensorListMetadataILi1EEENS1_11ZeroFunctorIdLi1ELi1ELi0EEEJEEEvT_T0_DpT1_ ; -- Begin function _ZN2at6native12_GLOBAL__N_125multi_tensor_apply_kernelINS1_18TensorListMetadataILi1EEENS1_11ZeroFunctorIdLi1ELi1ELi0EEEJEEEvT_T0_DpT1_
	.p2align	8
	.type	_ZN2at6native12_GLOBAL__N_125multi_tensor_apply_kernelINS1_18TensorListMetadataILi1EEENS1_11ZeroFunctorIdLi1ELi1ELi0EEEJEEEvT_T0_DpT1_,@function
_ZN2at6native12_GLOBAL__N_125multi_tensor_apply_kernelINS1_18TensorListMetadataILi1EEENS1_11ZeroFunctorIdLi1ELi1ELi0EEEJEEEvT_T0_DpT1_: ; @_ZN2at6native12_GLOBAL__N_125multi_tensor_apply_kernelINS1_18TensorListMetadataILi1EEENS1_11ZeroFunctorIdLi1ELi1ELi0EEEJEEEvT_T0_DpT1_
; %bb.0:
	s_bfe_u32 s2, ttmp6, 0x4000c
	s_and_b32 s3, ttmp6, 15
	s_add_co_i32 s2, s2, 1
	s_getreg_b32 s4, hwreg(HW_REG_IB_STS2, 6, 4)
	s_mul_i32 s2, ttmp9, s2
	s_mov_b32 s7, 0
	s_add_co_i32 s3, s3, s2
	s_cmp_eq_u32 s4, 0
	s_cselect_b32 s6, ttmp9, s3
	s_load_u8 s9, s[0:1], s6 offset:0x6e0
	s_add_nc_u64 s[2:3], s[0:1], s[6:7]
	s_mul_u64 s[4:5], s[6:7], 3
	s_delay_alu instid0(SALU_CYCLE_1)
	s_add_nc_u64 s[4:5], s[2:3], s[4:5]
	s_load_b32 s8, s[4:5], 0x820
	s_wait_kmcnt 0x0
	s_clause 0x1
	s_load_b64 s[2:3], s[0:1], s9 offset:0x0 scale_offset
	s_load_b64 s[10:11], s[0:1], s9 offset:0x370 scale_offset
	s_wait_xcnt 0x0
	s_ashr_i32 s9, s8, 31
	s_wait_kmcnt 0x0
	s_and_b64 s[12:13], s[2:3], 31
	s_and_b32 s6, s10, 3
	s_lshl_b64 s[4:5], s[8:9], 19
	s_or_b64 s[6:7], s[12:13], s[6:7]
	s_lshl_b64 s[8:9], s[8:9], 16
	s_cmp_eq_u64 s[6:7], 0
	s_sub_nc_u64 s[6:7], s[10:11], s[8:9]
	s_cbranch_scc1 .LBB356_13
; %bb.1:
	v_cmp_lt_i64_e64 s8, s[6:7], 1
	s_and_b32 vcc_lo, exec_lo, s8
	s_cbranch_vccnz .LBB356_12
; %bb.2:
	s_load_b32 s8, s[0:1], 0xd3c
	v_min_i64 v[2:3], 0x10000, s[6:7]
	v_min_u64 v[4:5], 0x10000, s[6:7]
	v_dual_mov_b32 v1, 0 :: v_dual_lshlrev_b32 v8, 3, v0
	s_mov_b32 s15, 0
	s_add_nc_u64 s[12:13], s[2:3], s[4:5]
	s_mov_b32 s17, s15
	s_delay_alu instid0(VALU_DEP_1) | instskip(SKIP_3) | instid1(VALU_DEP_2)
	v_dual_mov_b32 v9, v1 :: v_dual_mov_b32 v15, v1
	s_mov_b32 s19, s15
	v_mov_b64_e32 v[16:17], 0
	s_mov_b32 s9, s15
	v_add_nc_u64_e32 v[8:9], s[12:13], v[8:9]
	s_mov_b32 s11, s15
	s_wait_kmcnt 0x0
	s_and_b32 s14, s8, 0xffff
	s_delay_alu instid0(SALU_CYCLE_1)
	v_add_nc_u64_e32 v[6:7], s[14:15], v[0:1]
	s_lshl_b32 s16, s14, 1
	s_mul_i32 s18, s14, 3
	v_add_nc_u64_e32 v[12:13], s[16:17], v[0:1]
	v_add_nc_u64_e32 v[10:11], s[18:19], v[0:1]
	s_lshl_b32 s8, s14, 2
	s_lshl_b32 s10, s14, 5
	v_lshlrev_b32_e32 v14, 3, v6
	s_mov_b64 s[16:17], 0
	s_delay_alu instid0(VALU_DEP_1)
	v_add_nc_u64_e32 v[14:15], s[12:13], v[14:15]
	s_mul_u64 s[12:13], s[14:15], 24
	s_lshl_b32 s14, s14, 4
	s_branch .LBB356_4
.LBB356_3:                              ;   in Loop: Header=BB356_4 Depth=1
	s_wait_xcnt 0x0
	s_or_b32 exec_lo, exec_lo, s18
	s_add_nc_u64 s[16:17], s[16:17], s[8:9]
	v_add_nc_u64_e32 v[8:9], s[10:11], v[8:9]
	v_cmp_lt_i64_e32 vcc_lo, s[16:17], v[2:3]
	v_add_nc_u64_e32 v[14:15], s[10:11], v[14:15]
	s_cbranch_vccz .LBB356_12
.LBB356_4:                              ; =>This Inner Loop Header: Depth=1
	v_add_nc_u64_e32 v[18:19], s[16:17], v[0:1]
	s_mov_b32 s18, exec_lo
	s_delay_alu instid0(VALU_DEP_1)
	v_cmpx_lt_u64_e64 v[18:19], v[4:5]
	s_cbranch_execz .LBB356_6
; %bb.5:                                ;   in Loop: Header=BB356_4 Depth=1
	global_store_b64 v[8:9], v[16:17], off
.LBB356_6:                              ;   in Loop: Header=BB356_4 Depth=1
	s_wait_xcnt 0x0
	s_or_b32 exec_lo, exec_lo, s18
	v_add_nc_u64_e32 v[18:19], s[16:17], v[6:7]
	s_mov_b32 s18, exec_lo
	s_delay_alu instid0(VALU_DEP_1)
	v_cmpx_lt_u64_e64 v[18:19], v[4:5]
	s_cbranch_execz .LBB356_8
; %bb.7:                                ;   in Loop: Header=BB356_4 Depth=1
	global_store_b64 v[14:15], v[16:17], off
.LBB356_8:                              ;   in Loop: Header=BB356_4 Depth=1
	s_wait_xcnt 0x0
	s_or_b32 exec_lo, exec_lo, s18
	v_add_nc_u64_e32 v[18:19], s[16:17], v[12:13]
	s_mov_b32 s18, exec_lo
	s_delay_alu instid0(VALU_DEP_1)
	v_cmpx_lt_u64_e64 v[18:19], v[4:5]
	s_cbranch_execz .LBB356_10
; %bb.9:                                ;   in Loop: Header=BB356_4 Depth=1
	v_add_nc_u64_e32 v[18:19], s[14:15], v[8:9]
	global_store_b64 v[18:19], v[16:17], off
.LBB356_10:                             ;   in Loop: Header=BB356_4 Depth=1
	s_wait_xcnt 0x0
	s_or_b32 exec_lo, exec_lo, s18
	v_add_nc_u64_e32 v[18:19], s[16:17], v[10:11]
	s_mov_b32 s18, exec_lo
	s_delay_alu instid0(VALU_DEP_1)
	v_cmpx_lt_u64_e64 v[18:19], v[4:5]
	s_cbranch_execz .LBB356_3
; %bb.11:                               ;   in Loop: Header=BB356_4 Depth=1
	v_add_nc_u64_e32 v[18:19], s[12:13], v[8:9]
	global_store_b64 v[18:19], v[16:17], off
	s_branch .LBB356_3
.LBB356_12:
	s_cbranch_execz .LBB356_14
	s_branch .LBB356_17
.LBB356_13:
.LBB356_14:
	v_min_i64 v[6:7], 0x10000, s[6:7]
	v_dual_mov_b32 v3, 0 :: v_dual_lshlrev_b32 v2, 2, v0
	s_mov_b32 s6, exec_lo
	s_delay_alu instid0(VALU_DEP_1)
	v_cmpx_lt_i64_e64 v[2:3], v[6:7]
	s_cbranch_execz .LBB356_17
; %bb.15:
	s_load_b32 s8, s[0:1], 0xd3c
	v_dual_mov_b32 v1, v3 :: v_dual_lshlrev_b32 v2, 5, v0
	s_wait_xcnt 0x0
	s_add_nc_u64 s[0:1], s[2:3], s[4:5]
	s_delay_alu instid0(VALU_DEP_1) | instid1(SALU_CYCLE_1)
	v_add_nc_u64_e32 v[4:5], s[0:1], v[2:3]
	s_mov_b32 s1, 0
	s_delay_alu instid0(SALU_CYCLE_1) | instskip(SKIP_3) | instid1(VALU_DEP_1)
	s_mov_b32 s4, s1
	s_mov_b32 s5, s1
	;; [unrolled: 1-line block ×4, first 2 shown]
	v_add_nc_u64_e32 v[8:9], 16, v[4:5]
	v_mov_b64_e32 v[2:3], s[4:5]
	v_mov_b64_e32 v[4:5], s[6:7]
	s_mov_b32 s3, s1
	s_wait_kmcnt 0x0
	s_and_b32 s0, s8, 0xffff
	s_delay_alu instid0(SALU_CYCLE_1)
	s_lshl_b32 s2, s0, 5
.LBB356_16:                             ; =>This Inner Loop Header: Depth=1
	v_add_nc_u64_e32 v[0:1], s[0:1], v[0:1]
	s_clause 0x1
	global_store_b128 v[8:9], v[2:5], off offset:-16
	global_store_b128 v[8:9], v[2:5], off
	s_wait_xcnt 0x0
	v_add_nc_u64_e32 v[8:9], s[2:3], v[8:9]
	v_lshlrev_b64_e32 v[10:11], 2, v[0:1]
	s_delay_alu instid0(VALU_DEP_1) | instskip(SKIP_1) | instid1(SALU_CYCLE_1)
	v_cmp_ge_i64_e32 vcc_lo, v[10:11], v[6:7]
	s_or_b32 s4, vcc_lo, s4
	s_and_not1_b32 exec_lo, exec_lo, s4
	s_cbranch_execnz .LBB356_16
.LBB356_17:
	s_endpgm
	.section	.rodata,"a",@progbits
	.p2align	6, 0x0
	.amdhsa_kernel _ZN2at6native12_GLOBAL__N_125multi_tensor_apply_kernelINS1_18TensorListMetadataILi1EEENS1_11ZeroFunctorIdLi1ELi1ELi0EEEJEEEvT_T0_DpT1_
		.amdhsa_group_segment_fixed_size 0
		.amdhsa_private_segment_fixed_size 0
		.amdhsa_kernarg_size 3632
		.amdhsa_user_sgpr_count 2
		.amdhsa_user_sgpr_dispatch_ptr 0
		.amdhsa_user_sgpr_queue_ptr 0
		.amdhsa_user_sgpr_kernarg_segment_ptr 1
		.amdhsa_user_sgpr_dispatch_id 0
		.amdhsa_user_sgpr_kernarg_preload_length 0
		.amdhsa_user_sgpr_kernarg_preload_offset 0
		.amdhsa_user_sgpr_private_segment_size 0
		.amdhsa_wavefront_size32 1
		.amdhsa_uses_dynamic_stack 0
		.amdhsa_enable_private_segment 0
		.amdhsa_system_sgpr_workgroup_id_x 1
		.amdhsa_system_sgpr_workgroup_id_y 0
		.amdhsa_system_sgpr_workgroup_id_z 0
		.amdhsa_system_sgpr_workgroup_info 0
		.amdhsa_system_vgpr_workitem_id 0
		.amdhsa_next_free_vgpr 20
		.amdhsa_next_free_sgpr 20
		.amdhsa_named_barrier_count 0
		.amdhsa_reserve_vcc 1
		.amdhsa_float_round_mode_32 0
		.amdhsa_float_round_mode_16_64 0
		.amdhsa_float_denorm_mode_32 3
		.amdhsa_float_denorm_mode_16_64 3
		.amdhsa_fp16_overflow 0
		.amdhsa_memory_ordered 1
		.amdhsa_forward_progress 1
		.amdhsa_inst_pref_size 6
		.amdhsa_round_robin_scheduling 0
		.amdhsa_exception_fp_ieee_invalid_op 0
		.amdhsa_exception_fp_denorm_src 0
		.amdhsa_exception_fp_ieee_div_zero 0
		.amdhsa_exception_fp_ieee_overflow 0
		.amdhsa_exception_fp_ieee_underflow 0
		.amdhsa_exception_fp_ieee_inexact 0
		.amdhsa_exception_int_div_zero 0
	.end_amdhsa_kernel
	.section	.text._ZN2at6native12_GLOBAL__N_125multi_tensor_apply_kernelINS1_18TensorListMetadataILi1EEENS1_11ZeroFunctorIdLi1ELi1ELi0EEEJEEEvT_T0_DpT1_,"axG",@progbits,_ZN2at6native12_GLOBAL__N_125multi_tensor_apply_kernelINS1_18TensorListMetadataILi1EEENS1_11ZeroFunctorIdLi1ELi1ELi0EEEJEEEvT_T0_DpT1_,comdat
.Lfunc_end356:
	.size	_ZN2at6native12_GLOBAL__N_125multi_tensor_apply_kernelINS1_18TensorListMetadataILi1EEENS1_11ZeroFunctorIdLi1ELi1ELi0EEEJEEEvT_T0_DpT1_, .Lfunc_end356-_ZN2at6native12_GLOBAL__N_125multi_tensor_apply_kernelINS1_18TensorListMetadataILi1EEENS1_11ZeroFunctorIdLi1ELi1ELi0EEEJEEEvT_T0_DpT1_
                                        ; -- End function
	.set _ZN2at6native12_GLOBAL__N_125multi_tensor_apply_kernelINS1_18TensorListMetadataILi1EEENS1_11ZeroFunctorIdLi1ELi1ELi0EEEJEEEvT_T0_DpT1_.num_vgpr, 20
	.set _ZN2at6native12_GLOBAL__N_125multi_tensor_apply_kernelINS1_18TensorListMetadataILi1EEENS1_11ZeroFunctorIdLi1ELi1ELi0EEEJEEEvT_T0_DpT1_.num_agpr, 0
	.set _ZN2at6native12_GLOBAL__N_125multi_tensor_apply_kernelINS1_18TensorListMetadataILi1EEENS1_11ZeroFunctorIdLi1ELi1ELi0EEEJEEEvT_T0_DpT1_.numbered_sgpr, 20
	.set _ZN2at6native12_GLOBAL__N_125multi_tensor_apply_kernelINS1_18TensorListMetadataILi1EEENS1_11ZeroFunctorIdLi1ELi1ELi0EEEJEEEvT_T0_DpT1_.num_named_barrier, 0
	.set _ZN2at6native12_GLOBAL__N_125multi_tensor_apply_kernelINS1_18TensorListMetadataILi1EEENS1_11ZeroFunctorIdLi1ELi1ELi0EEEJEEEvT_T0_DpT1_.private_seg_size, 0
	.set _ZN2at6native12_GLOBAL__N_125multi_tensor_apply_kernelINS1_18TensorListMetadataILi1EEENS1_11ZeroFunctorIdLi1ELi1ELi0EEEJEEEvT_T0_DpT1_.uses_vcc, 1
	.set _ZN2at6native12_GLOBAL__N_125multi_tensor_apply_kernelINS1_18TensorListMetadataILi1EEENS1_11ZeroFunctorIdLi1ELi1ELi0EEEJEEEvT_T0_DpT1_.uses_flat_scratch, 0
	.set _ZN2at6native12_GLOBAL__N_125multi_tensor_apply_kernelINS1_18TensorListMetadataILi1EEENS1_11ZeroFunctorIdLi1ELi1ELi0EEEJEEEvT_T0_DpT1_.has_dyn_sized_stack, 0
	.set _ZN2at6native12_GLOBAL__N_125multi_tensor_apply_kernelINS1_18TensorListMetadataILi1EEENS1_11ZeroFunctorIdLi1ELi1ELi0EEEJEEEvT_T0_DpT1_.has_recursion, 0
	.set _ZN2at6native12_GLOBAL__N_125multi_tensor_apply_kernelINS1_18TensorListMetadataILi1EEENS1_11ZeroFunctorIdLi1ELi1ELi0EEEJEEEvT_T0_DpT1_.has_indirect_call, 0
	.section	.AMDGPU.csdata,"",@progbits
; Kernel info:
; codeLenInByte = 732
; TotalNumSgprs: 22
; NumVgprs: 20
; ScratchSize: 0
; MemoryBound: 0
; FloatMode: 240
; IeeeMode: 1
; LDSByteSize: 0 bytes/workgroup (compile time only)
; SGPRBlocks: 0
; VGPRBlocks: 1
; NumSGPRsForWavesPerEU: 22
; NumVGPRsForWavesPerEU: 20
; NamedBarCnt: 0
; Occupancy: 16
; WaveLimiterHint : 0
; COMPUTE_PGM_RSRC2:SCRATCH_EN: 0
; COMPUTE_PGM_RSRC2:USER_SGPR: 2
; COMPUTE_PGM_RSRC2:TRAP_HANDLER: 0
; COMPUTE_PGM_RSRC2:TGID_X_EN: 1
; COMPUTE_PGM_RSRC2:TGID_Y_EN: 0
; COMPUTE_PGM_RSRC2:TGID_Z_EN: 0
; COMPUTE_PGM_RSRC2:TIDIG_COMP_CNT: 0
	.section	.text._ZN2at6native12_GLOBAL__N_125multi_tensor_apply_kernelINS1_18TensorListMetadataILi1EEENS1_11ZeroFunctorIfLi1ELi1ELi0EEEJEEEvT_T0_DpT1_,"axG",@progbits,_ZN2at6native12_GLOBAL__N_125multi_tensor_apply_kernelINS1_18TensorListMetadataILi1EEENS1_11ZeroFunctorIfLi1ELi1ELi0EEEJEEEvT_T0_DpT1_,comdat
	.globl	_ZN2at6native12_GLOBAL__N_125multi_tensor_apply_kernelINS1_18TensorListMetadataILi1EEENS1_11ZeroFunctorIfLi1ELi1ELi0EEEJEEEvT_T0_DpT1_ ; -- Begin function _ZN2at6native12_GLOBAL__N_125multi_tensor_apply_kernelINS1_18TensorListMetadataILi1EEENS1_11ZeroFunctorIfLi1ELi1ELi0EEEJEEEvT_T0_DpT1_
	.p2align	8
	.type	_ZN2at6native12_GLOBAL__N_125multi_tensor_apply_kernelINS1_18TensorListMetadataILi1EEENS1_11ZeroFunctorIfLi1ELi1ELi0EEEJEEEvT_T0_DpT1_,@function
_ZN2at6native12_GLOBAL__N_125multi_tensor_apply_kernelINS1_18TensorListMetadataILi1EEENS1_11ZeroFunctorIfLi1ELi1ELi0EEEJEEEvT_T0_DpT1_: ; @_ZN2at6native12_GLOBAL__N_125multi_tensor_apply_kernelINS1_18TensorListMetadataILi1EEENS1_11ZeroFunctorIfLi1ELi1ELi0EEEJEEEvT_T0_DpT1_
; %bb.0:
	s_bfe_u32 s2, ttmp6, 0x4000c
	s_and_b32 s3, ttmp6, 15
	s_add_co_i32 s2, s2, 1
	s_getreg_b32 s4, hwreg(HW_REG_IB_STS2, 6, 4)
	s_mul_i32 s2, ttmp9, s2
	s_mov_b32 s7, 0
	s_add_co_i32 s3, s3, s2
	s_cmp_eq_u32 s4, 0
	s_cselect_b32 s6, ttmp9, s3
	s_load_u8 s9, s[0:1], s6 offset:0x6e0
	s_add_nc_u64 s[2:3], s[0:1], s[6:7]
	s_mul_u64 s[4:5], s[6:7], 3
	s_delay_alu instid0(SALU_CYCLE_1)
	s_add_nc_u64 s[4:5], s[2:3], s[4:5]
	s_load_b32 s8, s[4:5], 0x820
	s_wait_kmcnt 0x0
	s_clause 0x1
	s_load_b64 s[2:3], s[0:1], s9 offset:0x0 scale_offset
	s_load_b64 s[10:11], s[0:1], s9 offset:0x370 scale_offset
	s_wait_xcnt 0x0
	s_ashr_i32 s9, s8, 31
	s_wait_kmcnt 0x0
	s_and_b64 s[12:13], s[2:3], 15
	s_and_b32 s6, s10, 3
	s_lshl_b64 s[4:5], s[8:9], 18
	s_or_b64 s[6:7], s[12:13], s[6:7]
	s_lshl_b64 s[8:9], s[8:9], 16
	s_cmp_eq_u64 s[6:7], 0
	s_sub_nc_u64 s[6:7], s[10:11], s[8:9]
	s_cbranch_scc1 .LBB357_13
; %bb.1:
	v_cmp_lt_i64_e64 s8, s[6:7], 1
	s_and_b32 vcc_lo, exec_lo, s8
	s_cbranch_vccnz .LBB357_12
; %bb.2:
	s_load_b32 s8, s[0:1], 0xd3c
	v_min_i64 v[2:3], 0x10000, s[6:7]
	v_min_u64 v[4:5], 0x10000, s[6:7]
	v_dual_mov_b32 v1, 0 :: v_dual_lshlrev_b32 v8, 2, v0
	s_mov_b32 s15, 0
	s_add_nc_u64 s[12:13], s[2:3], s[4:5]
	s_mov_b32 s17, s15
	s_delay_alu instid0(VALU_DEP_1)
	v_mov_b32_e32 v15, v1
	s_mov_b32 s19, s15
	s_mov_b32 s9, s15
	;; [unrolled: 1-line block ×3, first 2 shown]
	s_wait_kmcnt 0x0
	s_and_b32 s14, s8, 0xffff
	s_delay_alu instid0(SALU_CYCLE_1)
	v_add_nc_u64_e32 v[6:7], s[14:15], v[0:1]
	v_mov_b32_e32 v9, v1
	s_lshl_b32 s16, s14, 1
	s_mul_i32 s18, s14, 3
	v_add_nc_u64_e32 v[12:13], s[16:17], v[0:1]
	v_add_nc_u64_e32 v[10:11], s[18:19], v[0:1]
	s_lshl_b32 s8, s14, 2
	v_lshlrev_b32_e32 v14, 2, v6
	v_add_nc_u64_e32 v[8:9], s[12:13], v[8:9]
	s_lshl_b32 s10, s14, 4
	s_mov_b64 s[16:17], 0
	s_delay_alu instid0(VALU_DEP_2)
	v_add_nc_u64_e32 v[14:15], s[12:13], v[14:15]
	s_mul_u64 s[12:13], s[14:15], 12
	s_lshl_b32 s14, s14, 3
	s_branch .LBB357_4
.LBB357_3:                              ;   in Loop: Header=BB357_4 Depth=1
	s_wait_xcnt 0x0
	s_or_b32 exec_lo, exec_lo, s18
	s_add_nc_u64 s[16:17], s[16:17], s[8:9]
	v_add_nc_u64_e32 v[8:9], s[10:11], v[8:9]
	v_cmp_lt_i64_e32 vcc_lo, s[16:17], v[2:3]
	v_add_nc_u64_e32 v[14:15], s[10:11], v[14:15]
	s_cbranch_vccz .LBB357_12
.LBB357_4:                              ; =>This Inner Loop Header: Depth=1
	v_add_nc_u64_e32 v[16:17], s[16:17], v[0:1]
	s_mov_b32 s18, exec_lo
	s_delay_alu instid0(VALU_DEP_1)
	v_cmpx_lt_u64_e64 v[16:17], v[4:5]
	s_cbranch_execz .LBB357_6
; %bb.5:                                ;   in Loop: Header=BB357_4 Depth=1
	global_store_b32 v[8:9], v1, off
.LBB357_6:                              ;   in Loop: Header=BB357_4 Depth=1
	s_wait_xcnt 0x0
	s_or_b32 exec_lo, exec_lo, s18
	v_add_nc_u64_e32 v[16:17], s[16:17], v[6:7]
	s_mov_b32 s18, exec_lo
	s_delay_alu instid0(VALU_DEP_1)
	v_cmpx_lt_u64_e64 v[16:17], v[4:5]
	s_cbranch_execz .LBB357_8
; %bb.7:                                ;   in Loop: Header=BB357_4 Depth=1
	global_store_b32 v[14:15], v1, off
.LBB357_8:                              ;   in Loop: Header=BB357_4 Depth=1
	s_wait_xcnt 0x0
	s_or_b32 exec_lo, exec_lo, s18
	v_add_nc_u64_e32 v[16:17], s[16:17], v[12:13]
	s_mov_b32 s18, exec_lo
	s_delay_alu instid0(VALU_DEP_1)
	v_cmpx_lt_u64_e64 v[16:17], v[4:5]
	s_cbranch_execz .LBB357_10
; %bb.9:                                ;   in Loop: Header=BB357_4 Depth=1
	v_add_nc_u64_e32 v[16:17], s[14:15], v[8:9]
	global_store_b32 v[16:17], v1, off
.LBB357_10:                             ;   in Loop: Header=BB357_4 Depth=1
	s_wait_xcnt 0x0
	s_or_b32 exec_lo, exec_lo, s18
	v_add_nc_u64_e32 v[16:17], s[16:17], v[10:11]
	s_mov_b32 s18, exec_lo
	s_delay_alu instid0(VALU_DEP_1)
	v_cmpx_lt_u64_e64 v[16:17], v[4:5]
	s_cbranch_execz .LBB357_3
; %bb.11:                               ;   in Loop: Header=BB357_4 Depth=1
	v_add_nc_u64_e32 v[16:17], s[12:13], v[8:9]
	global_store_b32 v[16:17], v1, off
	s_branch .LBB357_3
.LBB357_12:
	s_cbranch_execz .LBB357_14
	s_branch .LBB357_17
.LBB357_13:
.LBB357_14:
	v_min_i64 v[6:7], 0x10000, s[6:7]
	v_dual_mov_b32 v2, 0 :: v_dual_lshlrev_b32 v4, 2, v0
	s_mov_b32 s6, exec_lo
	s_delay_alu instid0(VALU_DEP_1) | instskip(NEXT) | instid1(VALU_DEP_1)
	v_mov_b32_e32 v5, v2
	v_cmpx_lt_i64_e64 v[4:5], v[6:7]
	s_cbranch_execz .LBB357_17
; %bb.15:
	s_load_b32 s6, s[0:1], 0xd3c
	v_dual_mov_b32 v5, v2 :: v_dual_lshlrev_b32 v4, 4, v0
	s_wait_xcnt 0x0
	s_add_nc_u64 s[0:1], s[2:3], s[4:5]
	v_dual_mov_b32 v1, v2 :: v_dual_mov_b32 v3, v2
	s_delay_alu instid0(VALU_DEP_2) | instskip(SKIP_2) | instid1(SALU_CYCLE_1)
	v_add_nc_u64_e32 v[8:9], s[0:1], v[4:5]
	v_mov_b32_e32 v4, v2
	s_mov_b32 s1, 0
	s_mov_b32 s3, s1
	s_mov_b32 s4, s1
	s_delay_alu instid0(VALU_DEP_2) | instskip(SKIP_2) | instid1(SALU_CYCLE_1)
	v_add_nc_u64_e32 v[8:9], 8, v[8:9]
	s_wait_kmcnt 0x0
	s_and_b32 s0, s6, 0xffff
	s_lshl_b32 s2, s0, 4
.LBB357_16:                             ; =>This Inner Loop Header: Depth=1
	v_add_nc_u64_e32 v[0:1], s[0:1], v[0:1]
	global_store_b128 v[8:9], v[2:5], off offset:-8
	s_wait_xcnt 0x0
	v_add_nc_u64_e32 v[8:9], s[2:3], v[8:9]
	v_lshlrev_b64_e32 v[10:11], 2, v[0:1]
	s_delay_alu instid0(VALU_DEP_1) | instskip(SKIP_1) | instid1(SALU_CYCLE_1)
	v_cmp_ge_i64_e32 vcc_lo, v[10:11], v[6:7]
	s_or_b32 s4, vcc_lo, s4
	s_and_not1_b32 exec_lo, exec_lo, s4
	s_cbranch_execnz .LBB357_16
.LBB357_17:
	s_endpgm
	.section	.rodata,"a",@progbits
	.p2align	6, 0x0
	.amdhsa_kernel _ZN2at6native12_GLOBAL__N_125multi_tensor_apply_kernelINS1_18TensorListMetadataILi1EEENS1_11ZeroFunctorIfLi1ELi1ELi0EEEJEEEvT_T0_DpT1_
		.amdhsa_group_segment_fixed_size 0
		.amdhsa_private_segment_fixed_size 0
		.amdhsa_kernarg_size 3632
		.amdhsa_user_sgpr_count 2
		.amdhsa_user_sgpr_dispatch_ptr 0
		.amdhsa_user_sgpr_queue_ptr 0
		.amdhsa_user_sgpr_kernarg_segment_ptr 1
		.amdhsa_user_sgpr_dispatch_id 0
		.amdhsa_user_sgpr_kernarg_preload_length 0
		.amdhsa_user_sgpr_kernarg_preload_offset 0
		.amdhsa_user_sgpr_private_segment_size 0
		.amdhsa_wavefront_size32 1
		.amdhsa_uses_dynamic_stack 0
		.amdhsa_enable_private_segment 0
		.amdhsa_system_sgpr_workgroup_id_x 1
		.amdhsa_system_sgpr_workgroup_id_y 0
		.amdhsa_system_sgpr_workgroup_id_z 0
		.amdhsa_system_sgpr_workgroup_info 0
		.amdhsa_system_vgpr_workitem_id 0
		.amdhsa_next_free_vgpr 18
		.amdhsa_next_free_sgpr 20
		.amdhsa_named_barrier_count 0
		.amdhsa_reserve_vcc 1
		.amdhsa_float_round_mode_32 0
		.amdhsa_float_round_mode_16_64 0
		.amdhsa_float_denorm_mode_32 3
		.amdhsa_float_denorm_mode_16_64 3
		.amdhsa_fp16_overflow 0
		.amdhsa_memory_ordered 1
		.amdhsa_forward_progress 1
		.amdhsa_inst_pref_size 6
		.amdhsa_round_robin_scheduling 0
		.amdhsa_exception_fp_ieee_invalid_op 0
		.amdhsa_exception_fp_denorm_src 0
		.amdhsa_exception_fp_ieee_div_zero 0
		.amdhsa_exception_fp_ieee_overflow 0
		.amdhsa_exception_fp_ieee_underflow 0
		.amdhsa_exception_fp_ieee_inexact 0
		.amdhsa_exception_int_div_zero 0
	.end_amdhsa_kernel
	.section	.text._ZN2at6native12_GLOBAL__N_125multi_tensor_apply_kernelINS1_18TensorListMetadataILi1EEENS1_11ZeroFunctorIfLi1ELi1ELi0EEEJEEEvT_T0_DpT1_,"axG",@progbits,_ZN2at6native12_GLOBAL__N_125multi_tensor_apply_kernelINS1_18TensorListMetadataILi1EEENS1_11ZeroFunctorIfLi1ELi1ELi0EEEJEEEvT_T0_DpT1_,comdat
.Lfunc_end357:
	.size	_ZN2at6native12_GLOBAL__N_125multi_tensor_apply_kernelINS1_18TensorListMetadataILi1EEENS1_11ZeroFunctorIfLi1ELi1ELi0EEEJEEEvT_T0_DpT1_, .Lfunc_end357-_ZN2at6native12_GLOBAL__N_125multi_tensor_apply_kernelINS1_18TensorListMetadataILi1EEENS1_11ZeroFunctorIfLi1ELi1ELi0EEEJEEEvT_T0_DpT1_
                                        ; -- End function
	.set _ZN2at6native12_GLOBAL__N_125multi_tensor_apply_kernelINS1_18TensorListMetadataILi1EEENS1_11ZeroFunctorIfLi1ELi1ELi0EEEJEEEvT_T0_DpT1_.num_vgpr, 18
	.set _ZN2at6native12_GLOBAL__N_125multi_tensor_apply_kernelINS1_18TensorListMetadataILi1EEENS1_11ZeroFunctorIfLi1ELi1ELi0EEEJEEEvT_T0_DpT1_.num_agpr, 0
	.set _ZN2at6native12_GLOBAL__N_125multi_tensor_apply_kernelINS1_18TensorListMetadataILi1EEENS1_11ZeroFunctorIfLi1ELi1ELi0EEEJEEEvT_T0_DpT1_.numbered_sgpr, 20
	.set _ZN2at6native12_GLOBAL__N_125multi_tensor_apply_kernelINS1_18TensorListMetadataILi1EEENS1_11ZeroFunctorIfLi1ELi1ELi0EEEJEEEvT_T0_DpT1_.num_named_barrier, 0
	.set _ZN2at6native12_GLOBAL__N_125multi_tensor_apply_kernelINS1_18TensorListMetadataILi1EEENS1_11ZeroFunctorIfLi1ELi1ELi0EEEJEEEvT_T0_DpT1_.private_seg_size, 0
	.set _ZN2at6native12_GLOBAL__N_125multi_tensor_apply_kernelINS1_18TensorListMetadataILi1EEENS1_11ZeroFunctorIfLi1ELi1ELi0EEEJEEEvT_T0_DpT1_.uses_vcc, 1
	.set _ZN2at6native12_GLOBAL__N_125multi_tensor_apply_kernelINS1_18TensorListMetadataILi1EEENS1_11ZeroFunctorIfLi1ELi1ELi0EEEJEEEvT_T0_DpT1_.uses_flat_scratch, 0
	.set _ZN2at6native12_GLOBAL__N_125multi_tensor_apply_kernelINS1_18TensorListMetadataILi1EEENS1_11ZeroFunctorIfLi1ELi1ELi0EEEJEEEvT_T0_DpT1_.has_dyn_sized_stack, 0
	.set _ZN2at6native12_GLOBAL__N_125multi_tensor_apply_kernelINS1_18TensorListMetadataILi1EEENS1_11ZeroFunctorIfLi1ELi1ELi0EEEJEEEvT_T0_DpT1_.has_recursion, 0
	.set _ZN2at6native12_GLOBAL__N_125multi_tensor_apply_kernelINS1_18TensorListMetadataILi1EEENS1_11ZeroFunctorIfLi1ELi1ELi0EEEJEEEvT_T0_DpT1_.has_indirect_call, 0
	.section	.AMDGPU.csdata,"",@progbits
; Kernel info:
; codeLenInByte = 708
; TotalNumSgprs: 22
; NumVgprs: 18
; ScratchSize: 0
; MemoryBound: 0
; FloatMode: 240
; IeeeMode: 1
; LDSByteSize: 0 bytes/workgroup (compile time only)
; SGPRBlocks: 0
; VGPRBlocks: 1
; NumSGPRsForWavesPerEU: 22
; NumVGPRsForWavesPerEU: 18
; NamedBarCnt: 0
; Occupancy: 16
; WaveLimiterHint : 0
; COMPUTE_PGM_RSRC2:SCRATCH_EN: 0
; COMPUTE_PGM_RSRC2:USER_SGPR: 2
; COMPUTE_PGM_RSRC2:TRAP_HANDLER: 0
; COMPUTE_PGM_RSRC2:TGID_X_EN: 1
; COMPUTE_PGM_RSRC2:TGID_Y_EN: 0
; COMPUTE_PGM_RSRC2:TGID_Z_EN: 0
; COMPUTE_PGM_RSRC2:TIDIG_COMP_CNT: 0
	.section	.text._ZN2at6native12_GLOBAL__N_125multi_tensor_apply_kernelINS1_18TensorListMetadataILi1EEENS1_11ZeroFunctorIN3c107complexIdEELi1ELi1ELi0EEEJEEEvT_T0_DpT1_,"axG",@progbits,_ZN2at6native12_GLOBAL__N_125multi_tensor_apply_kernelINS1_18TensorListMetadataILi1EEENS1_11ZeroFunctorIN3c107complexIdEELi1ELi1ELi0EEEJEEEvT_T0_DpT1_,comdat
	.globl	_ZN2at6native12_GLOBAL__N_125multi_tensor_apply_kernelINS1_18TensorListMetadataILi1EEENS1_11ZeroFunctorIN3c107complexIdEELi1ELi1ELi0EEEJEEEvT_T0_DpT1_ ; -- Begin function _ZN2at6native12_GLOBAL__N_125multi_tensor_apply_kernelINS1_18TensorListMetadataILi1EEENS1_11ZeroFunctorIN3c107complexIdEELi1ELi1ELi0EEEJEEEvT_T0_DpT1_
	.p2align	8
	.type	_ZN2at6native12_GLOBAL__N_125multi_tensor_apply_kernelINS1_18TensorListMetadataILi1EEENS1_11ZeroFunctorIN3c107complexIdEELi1ELi1ELi0EEEJEEEvT_T0_DpT1_,@function
_ZN2at6native12_GLOBAL__N_125multi_tensor_apply_kernelINS1_18TensorListMetadataILi1EEENS1_11ZeroFunctorIN3c107complexIdEELi1ELi1ELi0EEEJEEEvT_T0_DpT1_: ; @_ZN2at6native12_GLOBAL__N_125multi_tensor_apply_kernelINS1_18TensorListMetadataILi1EEENS1_11ZeroFunctorIN3c107complexIdEELi1ELi1ELi0EEEJEEEvT_T0_DpT1_
; %bb.0:
	s_bfe_u32 s2, ttmp6, 0x4000c
	s_and_b32 s3, ttmp6, 15
	s_add_co_i32 s2, s2, 1
	s_getreg_b32 s4, hwreg(HW_REG_IB_STS2, 6, 4)
	s_mul_i32 s2, ttmp9, s2
	s_mov_b32 s7, 0
	s_add_co_i32 s3, s3, s2
	s_cmp_eq_u32 s4, 0
	s_cselect_b32 s6, ttmp9, s3
	s_load_u8 s8, s[0:1], s6 offset:0x6e0
	s_add_nc_u64 s[2:3], s[0:1], s[6:7]
	s_mul_u64 s[4:5], s[6:7], 3
	s_delay_alu instid0(SALU_CYCLE_1)
	s_add_nc_u64 s[4:5], s[2:3], s[4:5]
	s_load_b32 s10, s[4:5], 0x820
	s_wait_kmcnt 0x0
	s_clause 0x1
	s_load_b64 s[2:3], s[0:1], s8 offset:0x0 scale_offset
	s_load_b64 s[12:13], s[0:1], s8 offset:0x370 scale_offset
	s_ashr_i32 s11, s10, 31
	s_delay_alu instid0(SALU_CYCLE_1)
	s_lshl_b64 s[4:5], s[10:11], 20
	s_wait_kmcnt 0x0
	s_and_b32 s6, s12, 3
	s_add_nc_u64 s[8:9], s[2:3], s[4:5]
	s_lshl_b64 s[10:11], s[10:11], 16
	s_and_b64 s[14:15], s[8:9], 63
	s_delay_alu instid0(SALU_CYCLE_1) | instskip(NEXT) | instid1(SALU_CYCLE_1)
	s_or_b64 s[6:7], s[14:15], s[6:7]
	s_cmp_eq_u64 s[6:7], 0
	s_sub_nc_u64 s[6:7], s[12:13], s[10:11]
	s_cbranch_scc1 .LBB358_13
; %bb.1:
	v_cmp_lt_i64_e64 s10, s[6:7], 1
	s_and_b32 vcc_lo, exec_lo, s10
	s_cbranch_vccnz .LBB358_12
; %bb.2:
	s_load_b32 s10, s[0:1], 0xd3c
	v_min_i64 v[6:7], 0x10000, s[6:7]
	v_min_u64 v[8:9], 0x10000, s[6:7]
	v_dual_mov_b32 v2, 0 :: v_dual_lshlrev_b32 v10, 4, v0
	s_mov_b32 s15, 0
	s_delay_alu instid0(SALU_CYCLE_1) | instskip(NEXT) | instid1(VALU_DEP_1)
	s_mov_b32 s17, s15
	v_dual_mov_b32 v11, v2 :: v_dual_mov_b32 v1, v2
	s_mov_b32 s19, s15
	s_mov_b32 s11, s15
	;; [unrolled: 1-line block ×3, first 2 shown]
	s_wait_kmcnt 0x0
	s_and_b32 s14, s10, 0xffff
	s_delay_alu instid0(SALU_CYCLE_1)
	v_mad_nc_u64_u32 v[12:13], s14, 48, v[10:11]
	s_lshl_b32 s16, s14, 1
	s_mul_i32 s18, s14, 3
	s_lshl_b32 s10, s14, 2
	s_lshl_b32 s12, s14, 6
	v_add_nc_u64_e32 v[14:15], s[14:15], v[0:1]
	s_lshl_b32 s14, s14, 5
	v_add_nc_u64_e32 v[20:21], s[18:19], v[0:1]
	v_add_nc_u64_e32 v[16:17], s[14:15], v[10:11]
	;; [unrolled: 1-line block ×3, first 2 shown]
	v_dual_mov_b32 v19, v2 :: v_dual_bitop2_b32 v12, 8, v12 bitop3:0x54
	v_lshlrev_b32_e32 v18, 4, v14
	s_mov_b64 s[14:15], 0
	s_delay_alu instid0(VALU_DEP_4)
	v_or_b32_e32 v16, 8, v16
	s_branch .LBB358_4
.LBB358_3:                              ;   in Loop: Header=BB358_4 Depth=1
	s_wait_xcnt 0x0
	s_or_b32 exec_lo, exec_lo, s16
	s_add_nc_u64 s[14:15], s[14:15], s[10:11]
	s_add_nc_u64 s[8:9], s[8:9], s[12:13]
	v_cmp_lt_i64_e32 vcc_lo, s[14:15], v[6:7]
	s_cbranch_vccz .LBB358_12
.LBB358_4:                              ; =>This Inner Loop Header: Depth=1
	v_add_nc_u64_e32 v[4:5], s[14:15], v[0:1]
	s_mov_b32 s16, exec_lo
	s_delay_alu instid0(VALU_DEP_1)
	v_cmpx_lt_u64_e64 v[4:5], v[8:9]
	s_cbranch_execz .LBB358_6
; %bb.5:                                ;   in Loop: Header=BB358_4 Depth=1
	v_add_nc_u64_e32 v[24:25], s[8:9], v[10:11]
	v_dual_mov_b32 v3, v2 :: v_dual_mov_b32 v4, v2
	v_mov_b32_e32 v5, v2
	global_store_b128 v[24:25], v[2:5], off
.LBB358_6:                              ;   in Loop: Header=BB358_4 Depth=1
	s_wait_xcnt 0x0
	s_or_b32 exec_lo, exec_lo, s16
	v_add_nc_u64_e32 v[4:5], s[14:15], v[14:15]
	s_mov_b32 s16, exec_lo
	s_delay_alu instid0(VALU_DEP_1)
	v_cmpx_lt_u64_e64 v[4:5], v[8:9]
	s_cbranch_execz .LBB358_8
; %bb.7:                                ;   in Loop: Header=BB358_4 Depth=1
	v_add_nc_u64_e32 v[24:25], s[8:9], v[18:19]
	v_dual_mov_b32 v3, v2 :: v_dual_mov_b32 v4, v2
	v_mov_b32_e32 v5, v2
	global_store_b128 v[24:25], v[2:5], off
.LBB358_8:                              ;   in Loop: Header=BB358_4 Depth=1
	s_wait_xcnt 0x0
	s_or_b32 exec_lo, exec_lo, s16
	v_add_nc_u64_e32 v[4:5], s[14:15], v[22:23]
	s_mov_b32 s16, exec_lo
	s_delay_alu instid0(VALU_DEP_1)
	v_cmpx_lt_u64_e64 v[4:5], v[8:9]
	s_cbranch_execz .LBB358_10
; %bb.9:                                ;   in Loop: Header=BB358_4 Depth=1
	v_add_nc_u64_e32 v[24:25], s[8:9], v[16:17]
	v_dual_mov_b32 v3, v2 :: v_dual_mov_b32 v4, v2
	v_mov_b32_e32 v5, v2
	global_store_b128 v[24:25], v[2:5], off offset:-8
.LBB358_10:                             ;   in Loop: Header=BB358_4 Depth=1
	s_wait_xcnt 0x0
	s_or_b32 exec_lo, exec_lo, s16
	v_add_nc_u64_e32 v[4:5], s[14:15], v[20:21]
	s_mov_b32 s16, exec_lo
	s_delay_alu instid0(VALU_DEP_1)
	v_cmpx_lt_u64_e64 v[4:5], v[8:9]
	s_cbranch_execz .LBB358_3
; %bb.11:                               ;   in Loop: Header=BB358_4 Depth=1
	v_add_nc_u64_e32 v[24:25], s[8:9], v[12:13]
	v_dual_mov_b32 v3, v2 :: v_dual_mov_b32 v4, v2
	v_mov_b32_e32 v5, v2
	global_store_b128 v[24:25], v[2:5], off offset:-8
	s_branch .LBB358_3
.LBB358_12:
	s_cbranch_execz .LBB358_14
	s_branch .LBB358_17
.LBB358_13:
.LBB358_14:
	v_min_i64 v[6:7], 0x10000, s[6:7]
	v_dual_mov_b32 v3, 0 :: v_dual_lshlrev_b32 v2, 2, v0
	s_mov_b32 s6, exec_lo
	s_delay_alu instid0(VALU_DEP_1)
	v_cmpx_lt_i64_e64 v[2:3], v[6:7]
	s_cbranch_execz .LBB358_17
; %bb.15:
	s_load_b32 s0, s[0:1], 0xd3c
	v_dual_mov_b32 v1, v3 :: v_dual_lshlrev_b32 v2, 6, v0
	s_wait_xcnt 0x0
	s_mov_b32 s1, 0
	s_add_nc_u64 s[2:3], s[2:3], s[4:5]
	s_mov_b32 s4, s1
	s_mov_b32 s5, s1
	s_mov_b32 s6, s1
	s_mov_b32 s7, s1
	v_add_nc_u64_e32 v[8:9], s[2:3], v[2:3]
	v_mov_b64_e32 v[2:3], s[4:5]
	v_mov_b64_e32 v[4:5], s[6:7]
	s_mov_b32 s3, s1
	s_wait_kmcnt 0x0
	s_and_b32 s0, s0, 0xffff
	s_delay_alu instid0(SALU_CYCLE_1)
	s_lshl_b32 s2, s0, 6
.LBB358_16:                             ; =>This Inner Loop Header: Depth=1
	v_add_nc_u64_e32 v[0:1], s[0:1], v[0:1]
	s_clause 0x3
	global_store_b128 v[8:9], v[2:5], off
	global_store_b128 v[8:9], v[2:5], off offset:16
	global_store_b128 v[8:9], v[2:5], off offset:32
	;; [unrolled: 1-line block ×3, first 2 shown]
	s_wait_xcnt 0x0
	v_add_nc_u64_e32 v[8:9], s[2:3], v[8:9]
	v_lshlrev_b64_e32 v[10:11], 2, v[0:1]
	s_delay_alu instid0(VALU_DEP_1) | instskip(SKIP_1) | instid1(SALU_CYCLE_1)
	v_cmp_ge_i64_e32 vcc_lo, v[10:11], v[6:7]
	s_or_b32 s4, vcc_lo, s4
	s_and_not1_b32 exec_lo, exec_lo, s4
	s_cbranch_execnz .LBB358_16
.LBB358_17:
	s_endpgm
	.section	.rodata,"a",@progbits
	.p2align	6, 0x0
	.amdhsa_kernel _ZN2at6native12_GLOBAL__N_125multi_tensor_apply_kernelINS1_18TensorListMetadataILi1EEENS1_11ZeroFunctorIN3c107complexIdEELi1ELi1ELi0EEEJEEEvT_T0_DpT1_
		.amdhsa_group_segment_fixed_size 0
		.amdhsa_private_segment_fixed_size 0
		.amdhsa_kernarg_size 3632
		.amdhsa_user_sgpr_count 2
		.amdhsa_user_sgpr_dispatch_ptr 0
		.amdhsa_user_sgpr_queue_ptr 0
		.amdhsa_user_sgpr_kernarg_segment_ptr 1
		.amdhsa_user_sgpr_dispatch_id 0
		.amdhsa_user_sgpr_kernarg_preload_length 0
		.amdhsa_user_sgpr_kernarg_preload_offset 0
		.amdhsa_user_sgpr_private_segment_size 0
		.amdhsa_wavefront_size32 1
		.amdhsa_uses_dynamic_stack 0
		.amdhsa_enable_private_segment 0
		.amdhsa_system_sgpr_workgroup_id_x 1
		.amdhsa_system_sgpr_workgroup_id_y 0
		.amdhsa_system_sgpr_workgroup_id_z 0
		.amdhsa_system_sgpr_workgroup_info 0
		.amdhsa_system_vgpr_workitem_id 0
		.amdhsa_next_free_vgpr 26
		.amdhsa_next_free_sgpr 20
		.amdhsa_named_barrier_count 0
		.amdhsa_reserve_vcc 1
		.amdhsa_float_round_mode_32 0
		.amdhsa_float_round_mode_16_64 0
		.amdhsa_float_denorm_mode_32 3
		.amdhsa_float_denorm_mode_16_64 3
		.amdhsa_fp16_overflow 0
		.amdhsa_memory_ordered 1
		.amdhsa_forward_progress 1
		.amdhsa_inst_pref_size 7
		.amdhsa_round_robin_scheduling 0
		.amdhsa_exception_fp_ieee_invalid_op 0
		.amdhsa_exception_fp_denorm_src 0
		.amdhsa_exception_fp_ieee_div_zero 0
		.amdhsa_exception_fp_ieee_overflow 0
		.amdhsa_exception_fp_ieee_underflow 0
		.amdhsa_exception_fp_ieee_inexact 0
		.amdhsa_exception_int_div_zero 0
	.end_amdhsa_kernel
	.section	.text._ZN2at6native12_GLOBAL__N_125multi_tensor_apply_kernelINS1_18TensorListMetadataILi1EEENS1_11ZeroFunctorIN3c107complexIdEELi1ELi1ELi0EEEJEEEvT_T0_DpT1_,"axG",@progbits,_ZN2at6native12_GLOBAL__N_125multi_tensor_apply_kernelINS1_18TensorListMetadataILi1EEENS1_11ZeroFunctorIN3c107complexIdEELi1ELi1ELi0EEEJEEEvT_T0_DpT1_,comdat
.Lfunc_end358:
	.size	_ZN2at6native12_GLOBAL__N_125multi_tensor_apply_kernelINS1_18TensorListMetadataILi1EEENS1_11ZeroFunctorIN3c107complexIdEELi1ELi1ELi0EEEJEEEvT_T0_DpT1_, .Lfunc_end358-_ZN2at6native12_GLOBAL__N_125multi_tensor_apply_kernelINS1_18TensorListMetadataILi1EEENS1_11ZeroFunctorIN3c107complexIdEELi1ELi1ELi0EEEJEEEvT_T0_DpT1_
                                        ; -- End function
	.set _ZN2at6native12_GLOBAL__N_125multi_tensor_apply_kernelINS1_18TensorListMetadataILi1EEENS1_11ZeroFunctorIN3c107complexIdEELi1ELi1ELi0EEEJEEEvT_T0_DpT1_.num_vgpr, 26
	.set _ZN2at6native12_GLOBAL__N_125multi_tensor_apply_kernelINS1_18TensorListMetadataILi1EEENS1_11ZeroFunctorIN3c107complexIdEELi1ELi1ELi0EEEJEEEvT_T0_DpT1_.num_agpr, 0
	.set _ZN2at6native12_GLOBAL__N_125multi_tensor_apply_kernelINS1_18TensorListMetadataILi1EEENS1_11ZeroFunctorIN3c107complexIdEELi1ELi1ELi0EEEJEEEvT_T0_DpT1_.numbered_sgpr, 20
	.set _ZN2at6native12_GLOBAL__N_125multi_tensor_apply_kernelINS1_18TensorListMetadataILi1EEENS1_11ZeroFunctorIN3c107complexIdEELi1ELi1ELi0EEEJEEEvT_T0_DpT1_.num_named_barrier, 0
	.set _ZN2at6native12_GLOBAL__N_125multi_tensor_apply_kernelINS1_18TensorListMetadataILi1EEENS1_11ZeroFunctorIN3c107complexIdEELi1ELi1ELi0EEEJEEEvT_T0_DpT1_.private_seg_size, 0
	.set _ZN2at6native12_GLOBAL__N_125multi_tensor_apply_kernelINS1_18TensorListMetadataILi1EEENS1_11ZeroFunctorIN3c107complexIdEELi1ELi1ELi0EEEJEEEvT_T0_DpT1_.uses_vcc, 1
	.set _ZN2at6native12_GLOBAL__N_125multi_tensor_apply_kernelINS1_18TensorListMetadataILi1EEENS1_11ZeroFunctorIN3c107complexIdEELi1ELi1ELi0EEEJEEEvT_T0_DpT1_.uses_flat_scratch, 0
	.set _ZN2at6native12_GLOBAL__N_125multi_tensor_apply_kernelINS1_18TensorListMetadataILi1EEENS1_11ZeroFunctorIN3c107complexIdEELi1ELi1ELi0EEEJEEEvT_T0_DpT1_.has_dyn_sized_stack, 0
	.set _ZN2at6native12_GLOBAL__N_125multi_tensor_apply_kernelINS1_18TensorListMetadataILi1EEENS1_11ZeroFunctorIN3c107complexIdEELi1ELi1ELi0EEEJEEEvT_T0_DpT1_.has_recursion, 0
	.set _ZN2at6native12_GLOBAL__N_125multi_tensor_apply_kernelINS1_18TensorListMetadataILi1EEENS1_11ZeroFunctorIN3c107complexIdEELi1ELi1ELi0EEEJEEEvT_T0_DpT1_.has_indirect_call, 0
	.section	.AMDGPU.csdata,"",@progbits
; Kernel info:
; codeLenInByte = 816
; TotalNumSgprs: 22
; NumVgprs: 26
; ScratchSize: 0
; MemoryBound: 0
; FloatMode: 240
; IeeeMode: 1
; LDSByteSize: 0 bytes/workgroup (compile time only)
; SGPRBlocks: 0
; VGPRBlocks: 1
; NumSGPRsForWavesPerEU: 22
; NumVGPRsForWavesPerEU: 26
; NamedBarCnt: 0
; Occupancy: 16
; WaveLimiterHint : 0
; COMPUTE_PGM_RSRC2:SCRATCH_EN: 0
; COMPUTE_PGM_RSRC2:USER_SGPR: 2
; COMPUTE_PGM_RSRC2:TRAP_HANDLER: 0
; COMPUTE_PGM_RSRC2:TGID_X_EN: 1
; COMPUTE_PGM_RSRC2:TGID_Y_EN: 0
; COMPUTE_PGM_RSRC2:TGID_Z_EN: 0
; COMPUTE_PGM_RSRC2:TIDIG_COMP_CNT: 0
	.section	.text._ZN2at6native12_GLOBAL__N_125multi_tensor_apply_kernelINS1_18TensorListMetadataILi1EEENS1_11ZeroFunctorIN3c107complexIfEELi1ELi1ELi0EEEJEEEvT_T0_DpT1_,"axG",@progbits,_ZN2at6native12_GLOBAL__N_125multi_tensor_apply_kernelINS1_18TensorListMetadataILi1EEENS1_11ZeroFunctorIN3c107complexIfEELi1ELi1ELi0EEEJEEEvT_T0_DpT1_,comdat
	.globl	_ZN2at6native12_GLOBAL__N_125multi_tensor_apply_kernelINS1_18TensorListMetadataILi1EEENS1_11ZeroFunctorIN3c107complexIfEELi1ELi1ELi0EEEJEEEvT_T0_DpT1_ ; -- Begin function _ZN2at6native12_GLOBAL__N_125multi_tensor_apply_kernelINS1_18TensorListMetadataILi1EEENS1_11ZeroFunctorIN3c107complexIfEELi1ELi1ELi0EEEJEEEvT_T0_DpT1_
	.p2align	8
	.type	_ZN2at6native12_GLOBAL__N_125multi_tensor_apply_kernelINS1_18TensorListMetadataILi1EEENS1_11ZeroFunctorIN3c107complexIfEELi1ELi1ELi0EEEJEEEvT_T0_DpT1_,@function
_ZN2at6native12_GLOBAL__N_125multi_tensor_apply_kernelINS1_18TensorListMetadataILi1EEENS1_11ZeroFunctorIN3c107complexIfEELi1ELi1ELi0EEEJEEEvT_T0_DpT1_: ; @_ZN2at6native12_GLOBAL__N_125multi_tensor_apply_kernelINS1_18TensorListMetadataILi1EEENS1_11ZeroFunctorIN3c107complexIfEELi1ELi1ELi0EEEJEEEvT_T0_DpT1_
; %bb.0:
	s_bfe_u32 s2, ttmp6, 0x4000c
	s_and_b32 s3, ttmp6, 15
	s_add_co_i32 s2, s2, 1
	s_getreg_b32 s4, hwreg(HW_REG_IB_STS2, 6, 4)
	s_mul_i32 s2, ttmp9, s2
	s_mov_b32 s7, 0
	s_add_co_i32 s3, s3, s2
	s_cmp_eq_u32 s4, 0
	s_cselect_b32 s6, ttmp9, s3
	s_load_u8 s9, s[0:1], s6 offset:0x6e0
	s_add_nc_u64 s[2:3], s[0:1], s[6:7]
	s_mul_u64 s[4:5], s[6:7], 3
	s_delay_alu instid0(SALU_CYCLE_1)
	s_add_nc_u64 s[4:5], s[2:3], s[4:5]
	s_load_b32 s8, s[4:5], 0x820
	s_wait_kmcnt 0x0
	s_clause 0x1
	s_load_b64 s[2:3], s[0:1], s9 offset:0x0 scale_offset
	s_load_b64 s[10:11], s[0:1], s9 offset:0x370 scale_offset
	s_wait_xcnt 0x0
	s_ashr_i32 s9, s8, 31
	s_wait_kmcnt 0x0
	s_and_b64 s[12:13], s[2:3], 31
	s_and_b32 s6, s10, 3
	s_lshl_b64 s[4:5], s[8:9], 19
	s_or_b64 s[6:7], s[12:13], s[6:7]
	s_lshl_b64 s[8:9], s[8:9], 16
	s_cmp_eq_u64 s[6:7], 0
	s_sub_nc_u64 s[6:7], s[10:11], s[8:9]
	s_cbranch_scc1 .LBB359_13
; %bb.1:
	v_cmp_lt_i64_e64 s8, s[6:7], 1
	s_and_b32 vcc_lo, exec_lo, s8
	s_cbranch_vccnz .LBB359_12
; %bb.2:
	s_load_b32 s8, s[0:1], 0xd3c
	v_min_i64 v[2:3], 0x10000, s[6:7]
	v_min_u64 v[4:5], 0x10000, s[6:7]
	v_dual_mov_b32 v1, 0 :: v_dual_lshlrev_b32 v8, 3, v0
	s_mov_b32 s15, 0
	s_add_nc_u64 s[12:13], s[2:3], s[4:5]
	s_mov_b32 s17, s15
	s_delay_alu instid0(VALU_DEP_1) | instskip(SKIP_3) | instid1(VALU_DEP_2)
	v_dual_mov_b32 v9, v1 :: v_dual_mov_b32 v15, v1
	s_mov_b32 s19, s15
	v_mov_b64_e32 v[16:17], 0
	s_mov_b32 s9, s15
	v_add_nc_u64_e32 v[8:9], s[12:13], v[8:9]
	s_mov_b32 s11, s15
	s_wait_kmcnt 0x0
	s_and_b32 s14, s8, 0xffff
	s_delay_alu instid0(SALU_CYCLE_1)
	v_add_nc_u64_e32 v[6:7], s[14:15], v[0:1]
	s_lshl_b32 s16, s14, 1
	s_mul_i32 s18, s14, 3
	v_add_nc_u64_e32 v[12:13], s[16:17], v[0:1]
	v_add_nc_u64_e32 v[10:11], s[18:19], v[0:1]
	s_lshl_b32 s8, s14, 2
	s_lshl_b32 s10, s14, 5
	v_lshlrev_b32_e32 v14, 3, v6
	s_mov_b64 s[16:17], 0
	s_delay_alu instid0(VALU_DEP_1)
	v_add_nc_u64_e32 v[14:15], s[12:13], v[14:15]
	s_mul_u64 s[12:13], s[14:15], 24
	s_lshl_b32 s14, s14, 4
	s_branch .LBB359_4
.LBB359_3:                              ;   in Loop: Header=BB359_4 Depth=1
	s_wait_xcnt 0x0
	s_or_b32 exec_lo, exec_lo, s18
	s_add_nc_u64 s[16:17], s[16:17], s[8:9]
	v_add_nc_u64_e32 v[8:9], s[10:11], v[8:9]
	v_cmp_lt_i64_e32 vcc_lo, s[16:17], v[2:3]
	v_add_nc_u64_e32 v[14:15], s[10:11], v[14:15]
	s_cbranch_vccz .LBB359_12
.LBB359_4:                              ; =>This Inner Loop Header: Depth=1
	v_add_nc_u64_e32 v[18:19], s[16:17], v[0:1]
	s_mov_b32 s18, exec_lo
	s_delay_alu instid0(VALU_DEP_1)
	v_cmpx_lt_u64_e64 v[18:19], v[4:5]
	s_cbranch_execz .LBB359_6
; %bb.5:                                ;   in Loop: Header=BB359_4 Depth=1
	global_store_b64 v[8:9], v[16:17], off
.LBB359_6:                              ;   in Loop: Header=BB359_4 Depth=1
	s_wait_xcnt 0x0
	s_or_b32 exec_lo, exec_lo, s18
	v_add_nc_u64_e32 v[18:19], s[16:17], v[6:7]
	s_mov_b32 s18, exec_lo
	s_delay_alu instid0(VALU_DEP_1)
	v_cmpx_lt_u64_e64 v[18:19], v[4:5]
	s_cbranch_execz .LBB359_8
; %bb.7:                                ;   in Loop: Header=BB359_4 Depth=1
	global_store_b64 v[14:15], v[16:17], off
.LBB359_8:                              ;   in Loop: Header=BB359_4 Depth=1
	s_wait_xcnt 0x0
	s_or_b32 exec_lo, exec_lo, s18
	v_add_nc_u64_e32 v[18:19], s[16:17], v[12:13]
	s_mov_b32 s18, exec_lo
	s_delay_alu instid0(VALU_DEP_1)
	v_cmpx_lt_u64_e64 v[18:19], v[4:5]
	s_cbranch_execz .LBB359_10
; %bb.9:                                ;   in Loop: Header=BB359_4 Depth=1
	v_add_nc_u64_e32 v[18:19], s[14:15], v[8:9]
	global_store_b64 v[18:19], v[16:17], off
.LBB359_10:                             ;   in Loop: Header=BB359_4 Depth=1
	s_wait_xcnt 0x0
	s_or_b32 exec_lo, exec_lo, s18
	v_add_nc_u64_e32 v[18:19], s[16:17], v[10:11]
	s_mov_b32 s18, exec_lo
	s_delay_alu instid0(VALU_DEP_1)
	v_cmpx_lt_u64_e64 v[18:19], v[4:5]
	s_cbranch_execz .LBB359_3
; %bb.11:                               ;   in Loop: Header=BB359_4 Depth=1
	v_add_nc_u64_e32 v[18:19], s[12:13], v[8:9]
	global_store_b64 v[18:19], v[16:17], off
	s_branch .LBB359_3
.LBB359_12:
	s_cbranch_execz .LBB359_14
	s_branch .LBB359_17
.LBB359_13:
.LBB359_14:
	v_min_i64 v[6:7], 0x10000, s[6:7]
	v_dual_mov_b32 v3, 0 :: v_dual_lshlrev_b32 v2, 2, v0
	s_mov_b32 s6, exec_lo
	s_delay_alu instid0(VALU_DEP_1)
	v_cmpx_lt_i64_e64 v[2:3], v[6:7]
	s_cbranch_execz .LBB359_17
; %bb.15:
	s_load_b32 s8, s[0:1], 0xd3c
	v_dual_mov_b32 v1, v3 :: v_dual_lshlrev_b32 v2, 5, v0
	s_wait_xcnt 0x0
	s_add_nc_u64 s[0:1], s[2:3], s[4:5]
	s_delay_alu instid0(VALU_DEP_1) | instid1(SALU_CYCLE_1)
	v_add_nc_u64_e32 v[4:5], s[0:1], v[2:3]
	s_mov_b32 s1, 0
	s_delay_alu instid0(SALU_CYCLE_1) | instskip(SKIP_3) | instid1(VALU_DEP_1)
	s_mov_b32 s4, s1
	s_mov_b32 s5, s1
	;; [unrolled: 1-line block ×4, first 2 shown]
	v_add_nc_u64_e32 v[8:9], 16, v[4:5]
	v_mov_b64_e32 v[2:3], s[4:5]
	v_mov_b64_e32 v[4:5], s[6:7]
	s_mov_b32 s3, s1
	s_wait_kmcnt 0x0
	s_and_b32 s0, s8, 0xffff
	s_delay_alu instid0(SALU_CYCLE_1)
	s_lshl_b32 s2, s0, 5
.LBB359_16:                             ; =>This Inner Loop Header: Depth=1
	v_add_nc_u64_e32 v[0:1], s[0:1], v[0:1]
	s_clause 0x1
	global_store_b128 v[8:9], v[2:5], off offset:-16
	global_store_b128 v[8:9], v[2:5], off
	s_wait_xcnt 0x0
	v_add_nc_u64_e32 v[8:9], s[2:3], v[8:9]
	v_lshlrev_b64_e32 v[10:11], 2, v[0:1]
	s_delay_alu instid0(VALU_DEP_1) | instskip(SKIP_1) | instid1(SALU_CYCLE_1)
	v_cmp_ge_i64_e32 vcc_lo, v[10:11], v[6:7]
	s_or_b32 s4, vcc_lo, s4
	s_and_not1_b32 exec_lo, exec_lo, s4
	s_cbranch_execnz .LBB359_16
.LBB359_17:
	s_endpgm
	.section	.rodata,"a",@progbits
	.p2align	6, 0x0
	.amdhsa_kernel _ZN2at6native12_GLOBAL__N_125multi_tensor_apply_kernelINS1_18TensorListMetadataILi1EEENS1_11ZeroFunctorIN3c107complexIfEELi1ELi1ELi0EEEJEEEvT_T0_DpT1_
		.amdhsa_group_segment_fixed_size 0
		.amdhsa_private_segment_fixed_size 0
		.amdhsa_kernarg_size 3632
		.amdhsa_user_sgpr_count 2
		.amdhsa_user_sgpr_dispatch_ptr 0
		.amdhsa_user_sgpr_queue_ptr 0
		.amdhsa_user_sgpr_kernarg_segment_ptr 1
		.amdhsa_user_sgpr_dispatch_id 0
		.amdhsa_user_sgpr_kernarg_preload_length 0
		.amdhsa_user_sgpr_kernarg_preload_offset 0
		.amdhsa_user_sgpr_private_segment_size 0
		.amdhsa_wavefront_size32 1
		.amdhsa_uses_dynamic_stack 0
		.amdhsa_enable_private_segment 0
		.amdhsa_system_sgpr_workgroup_id_x 1
		.amdhsa_system_sgpr_workgroup_id_y 0
		.amdhsa_system_sgpr_workgroup_id_z 0
		.amdhsa_system_sgpr_workgroup_info 0
		.amdhsa_system_vgpr_workitem_id 0
		.amdhsa_next_free_vgpr 20
		.amdhsa_next_free_sgpr 20
		.amdhsa_named_barrier_count 0
		.amdhsa_reserve_vcc 1
		.amdhsa_float_round_mode_32 0
		.amdhsa_float_round_mode_16_64 0
		.amdhsa_float_denorm_mode_32 3
		.amdhsa_float_denorm_mode_16_64 3
		.amdhsa_fp16_overflow 0
		.amdhsa_memory_ordered 1
		.amdhsa_forward_progress 1
		.amdhsa_inst_pref_size 6
		.amdhsa_round_robin_scheduling 0
		.amdhsa_exception_fp_ieee_invalid_op 0
		.amdhsa_exception_fp_denorm_src 0
		.amdhsa_exception_fp_ieee_div_zero 0
		.amdhsa_exception_fp_ieee_overflow 0
		.amdhsa_exception_fp_ieee_underflow 0
		.amdhsa_exception_fp_ieee_inexact 0
		.amdhsa_exception_int_div_zero 0
	.end_amdhsa_kernel
	.section	.text._ZN2at6native12_GLOBAL__N_125multi_tensor_apply_kernelINS1_18TensorListMetadataILi1EEENS1_11ZeroFunctorIN3c107complexIfEELi1ELi1ELi0EEEJEEEvT_T0_DpT1_,"axG",@progbits,_ZN2at6native12_GLOBAL__N_125multi_tensor_apply_kernelINS1_18TensorListMetadataILi1EEENS1_11ZeroFunctorIN3c107complexIfEELi1ELi1ELi0EEEJEEEvT_T0_DpT1_,comdat
.Lfunc_end359:
	.size	_ZN2at6native12_GLOBAL__N_125multi_tensor_apply_kernelINS1_18TensorListMetadataILi1EEENS1_11ZeroFunctorIN3c107complexIfEELi1ELi1ELi0EEEJEEEvT_T0_DpT1_, .Lfunc_end359-_ZN2at6native12_GLOBAL__N_125multi_tensor_apply_kernelINS1_18TensorListMetadataILi1EEENS1_11ZeroFunctorIN3c107complexIfEELi1ELi1ELi0EEEJEEEvT_T0_DpT1_
                                        ; -- End function
	.set _ZN2at6native12_GLOBAL__N_125multi_tensor_apply_kernelINS1_18TensorListMetadataILi1EEENS1_11ZeroFunctorIN3c107complexIfEELi1ELi1ELi0EEEJEEEvT_T0_DpT1_.num_vgpr, 20
	.set _ZN2at6native12_GLOBAL__N_125multi_tensor_apply_kernelINS1_18TensorListMetadataILi1EEENS1_11ZeroFunctorIN3c107complexIfEELi1ELi1ELi0EEEJEEEvT_T0_DpT1_.num_agpr, 0
	.set _ZN2at6native12_GLOBAL__N_125multi_tensor_apply_kernelINS1_18TensorListMetadataILi1EEENS1_11ZeroFunctorIN3c107complexIfEELi1ELi1ELi0EEEJEEEvT_T0_DpT1_.numbered_sgpr, 20
	.set _ZN2at6native12_GLOBAL__N_125multi_tensor_apply_kernelINS1_18TensorListMetadataILi1EEENS1_11ZeroFunctorIN3c107complexIfEELi1ELi1ELi0EEEJEEEvT_T0_DpT1_.num_named_barrier, 0
	.set _ZN2at6native12_GLOBAL__N_125multi_tensor_apply_kernelINS1_18TensorListMetadataILi1EEENS1_11ZeroFunctorIN3c107complexIfEELi1ELi1ELi0EEEJEEEvT_T0_DpT1_.private_seg_size, 0
	.set _ZN2at6native12_GLOBAL__N_125multi_tensor_apply_kernelINS1_18TensorListMetadataILi1EEENS1_11ZeroFunctorIN3c107complexIfEELi1ELi1ELi0EEEJEEEvT_T0_DpT1_.uses_vcc, 1
	.set _ZN2at6native12_GLOBAL__N_125multi_tensor_apply_kernelINS1_18TensorListMetadataILi1EEENS1_11ZeroFunctorIN3c107complexIfEELi1ELi1ELi0EEEJEEEvT_T0_DpT1_.uses_flat_scratch, 0
	.set _ZN2at6native12_GLOBAL__N_125multi_tensor_apply_kernelINS1_18TensorListMetadataILi1EEENS1_11ZeroFunctorIN3c107complexIfEELi1ELi1ELi0EEEJEEEvT_T0_DpT1_.has_dyn_sized_stack, 0
	.set _ZN2at6native12_GLOBAL__N_125multi_tensor_apply_kernelINS1_18TensorListMetadataILi1EEENS1_11ZeroFunctorIN3c107complexIfEELi1ELi1ELi0EEEJEEEvT_T0_DpT1_.has_recursion, 0
	.set _ZN2at6native12_GLOBAL__N_125multi_tensor_apply_kernelINS1_18TensorListMetadataILi1EEENS1_11ZeroFunctorIN3c107complexIfEELi1ELi1ELi0EEEJEEEvT_T0_DpT1_.has_indirect_call, 0
	.section	.AMDGPU.csdata,"",@progbits
; Kernel info:
; codeLenInByte = 732
; TotalNumSgprs: 22
; NumVgprs: 20
; ScratchSize: 0
; MemoryBound: 0
; FloatMode: 240
; IeeeMode: 1
; LDSByteSize: 0 bytes/workgroup (compile time only)
; SGPRBlocks: 0
; VGPRBlocks: 1
; NumSGPRsForWavesPerEU: 22
; NumVGPRsForWavesPerEU: 20
; NamedBarCnt: 0
; Occupancy: 16
; WaveLimiterHint : 0
; COMPUTE_PGM_RSRC2:SCRATCH_EN: 0
; COMPUTE_PGM_RSRC2:USER_SGPR: 2
; COMPUTE_PGM_RSRC2:TRAP_HANDLER: 0
; COMPUTE_PGM_RSRC2:TGID_X_EN: 1
; COMPUTE_PGM_RSRC2:TGID_Y_EN: 0
; COMPUTE_PGM_RSRC2:TGID_Z_EN: 0
; COMPUTE_PGM_RSRC2:TIDIG_COMP_CNT: 0
	.section	.text._ZN2at6native12_GLOBAL__N_125multi_tensor_apply_kernelINS1_18TensorListMetadataILi1EEENS1_11ZeroFunctorIN3c104HalfELi1ELi1ELi0EEEJEEEvT_T0_DpT1_,"axG",@progbits,_ZN2at6native12_GLOBAL__N_125multi_tensor_apply_kernelINS1_18TensorListMetadataILi1EEENS1_11ZeroFunctorIN3c104HalfELi1ELi1ELi0EEEJEEEvT_T0_DpT1_,comdat
	.globl	_ZN2at6native12_GLOBAL__N_125multi_tensor_apply_kernelINS1_18TensorListMetadataILi1EEENS1_11ZeroFunctorIN3c104HalfELi1ELi1ELi0EEEJEEEvT_T0_DpT1_ ; -- Begin function _ZN2at6native12_GLOBAL__N_125multi_tensor_apply_kernelINS1_18TensorListMetadataILi1EEENS1_11ZeroFunctorIN3c104HalfELi1ELi1ELi0EEEJEEEvT_T0_DpT1_
	.p2align	8
	.type	_ZN2at6native12_GLOBAL__N_125multi_tensor_apply_kernelINS1_18TensorListMetadataILi1EEENS1_11ZeroFunctorIN3c104HalfELi1ELi1ELi0EEEJEEEvT_T0_DpT1_,@function
_ZN2at6native12_GLOBAL__N_125multi_tensor_apply_kernelINS1_18TensorListMetadataILi1EEENS1_11ZeroFunctorIN3c104HalfELi1ELi1ELi0EEEJEEEvT_T0_DpT1_: ; @_ZN2at6native12_GLOBAL__N_125multi_tensor_apply_kernelINS1_18TensorListMetadataILi1EEENS1_11ZeroFunctorIN3c104HalfELi1ELi1ELi0EEEJEEEvT_T0_DpT1_
; %bb.0:
	s_bfe_u32 s2, ttmp6, 0x4000c
	s_and_b32 s3, ttmp6, 15
	s_add_co_i32 s2, s2, 1
	s_getreg_b32 s4, hwreg(HW_REG_IB_STS2, 6, 4)
	s_mul_i32 s2, ttmp9, s2
	s_mov_b32 s7, 0
	s_add_co_i32 s3, s3, s2
	s_cmp_eq_u32 s4, 0
	s_cselect_b32 s6, ttmp9, s3
	s_load_u8 s9, s[0:1], s6 offset:0x6e0
	s_add_nc_u64 s[2:3], s[0:1], s[6:7]
	s_mul_u64 s[4:5], s[6:7], 3
	s_delay_alu instid0(SALU_CYCLE_1)
	s_add_nc_u64 s[4:5], s[2:3], s[4:5]
	s_load_b32 s8, s[4:5], 0x820
	s_wait_kmcnt 0x0
	s_clause 0x1
	s_load_b64 s[2:3], s[0:1], s9 offset:0x0 scale_offset
	s_load_b64 s[10:11], s[0:1], s9 offset:0x370 scale_offset
	s_wait_xcnt 0x0
	s_ashr_i32 s9, s8, 31
	s_wait_kmcnt 0x0
	s_and_b64 s[12:13], s[2:3], 7
	s_and_b32 s6, s10, 3
	s_lshl_b64 s[4:5], s[8:9], 17
	s_or_b64 s[6:7], s[12:13], s[6:7]
	s_lshl_b64 s[8:9], s[8:9], 16
	s_cmp_eq_u64 s[6:7], 0
	s_sub_nc_u64 s[6:7], s[10:11], s[8:9]
	s_cbranch_scc1 .LBB360_13
; %bb.1:
	v_cmp_lt_i64_e64 s8, s[6:7], 1
	s_and_b32 vcc_lo, exec_lo, s8
	s_cbranch_vccnz .LBB360_12
; %bb.2:
	s_load_b32 s8, s[0:1], 0xd3c
	v_min_i64 v[2:3], 0x10000, s[6:7]
	v_min_u64 v[4:5], 0x10000, s[6:7]
	v_dual_mov_b32 v1, 0 :: v_dual_lshlrev_b32 v8, 1, v0
	s_mov_b32 s13, 0
	s_add_nc_u64 s[10:11], s[2:3], s[4:5]
	s_mov_b32 s15, s13
	s_delay_alu instid0(VALU_DEP_1) | instskip(SKIP_4) | instid1(SALU_CYCLE_1)
	v_mov_b32_e32 v15, v1
	s_mov_b32 s17, s13
	s_mov_b32 s9, s13
	s_wait_kmcnt 0x0
	s_and_b32 s12, s8, 0xffff
	v_add_nc_u64_e32 v[6:7], s[12:13], v[0:1]
	v_mov_b32_e32 v9, v1
	s_lshl_b32 s14, s12, 1
	s_mul_i32 s16, s12, 3
	v_add_nc_u64_e32 v[12:13], s[14:15], v[0:1]
	v_add_nc_u64_e32 v[10:11], s[16:17], v[0:1]
	s_lshl_b32 s8, s12, 2
	v_lshlrev_b32_e32 v14, 1, v6
	v_add_nc_u64_e32 v[8:9], s[10:11], v[8:9]
	s_mov_b64 s[14:15], 0
	s_delay_alu instid0(VALU_DEP_2)
	v_add_nc_u64_e32 v[14:15], s[10:11], v[14:15]
	s_lshl_b32 s10, s12, 3
	s_mov_b32 s11, s13
	s_mul_u64 s[12:13], s[12:13], 6
	s_branch .LBB360_4
.LBB360_3:                              ;   in Loop: Header=BB360_4 Depth=1
	s_wait_xcnt 0x0
	s_or_b32 exec_lo, exec_lo, s16
	s_add_nc_u64 s[14:15], s[14:15], s[8:9]
	v_add_nc_u64_e32 v[8:9], s[10:11], v[8:9]
	v_cmp_lt_i64_e32 vcc_lo, s[14:15], v[2:3]
	v_add_nc_u64_e32 v[14:15], s[10:11], v[14:15]
	s_cbranch_vccz .LBB360_12
.LBB360_4:                              ; =>This Inner Loop Header: Depth=1
	v_add_nc_u64_e32 v[16:17], s[14:15], v[0:1]
	s_mov_b32 s16, exec_lo
	s_delay_alu instid0(VALU_DEP_1)
	v_cmpx_lt_u64_e64 v[16:17], v[4:5]
	s_cbranch_execz .LBB360_6
; %bb.5:                                ;   in Loop: Header=BB360_4 Depth=1
	global_store_b16 v[8:9], v1, off
.LBB360_6:                              ;   in Loop: Header=BB360_4 Depth=1
	s_wait_xcnt 0x0
	s_or_b32 exec_lo, exec_lo, s16
	v_add_nc_u64_e32 v[16:17], s[14:15], v[6:7]
	s_mov_b32 s16, exec_lo
	s_delay_alu instid0(VALU_DEP_1)
	v_cmpx_lt_u64_e64 v[16:17], v[4:5]
	s_cbranch_execz .LBB360_8
; %bb.7:                                ;   in Loop: Header=BB360_4 Depth=1
	global_store_b16 v[14:15], v1, off
.LBB360_8:                              ;   in Loop: Header=BB360_4 Depth=1
	s_wait_xcnt 0x0
	s_or_b32 exec_lo, exec_lo, s16
	v_add_nc_u64_e32 v[16:17], s[14:15], v[12:13]
	s_mov_b32 s16, exec_lo
	s_delay_alu instid0(VALU_DEP_1)
	v_cmpx_lt_u64_e64 v[16:17], v[4:5]
	s_cbranch_execz .LBB360_10
; %bb.9:                                ;   in Loop: Header=BB360_4 Depth=1
	v_add_nc_u64_e32 v[16:17], s[8:9], v[8:9]
	global_store_b16 v[16:17], v1, off
.LBB360_10:                             ;   in Loop: Header=BB360_4 Depth=1
	s_wait_xcnt 0x0
	s_or_b32 exec_lo, exec_lo, s16
	v_add_nc_u64_e32 v[16:17], s[14:15], v[10:11]
	s_mov_b32 s16, exec_lo
	s_delay_alu instid0(VALU_DEP_1)
	v_cmpx_lt_u64_e64 v[16:17], v[4:5]
	s_cbranch_execz .LBB360_3
; %bb.11:                               ;   in Loop: Header=BB360_4 Depth=1
	v_add_nc_u64_e32 v[16:17], s[12:13], v[8:9]
	global_store_b16 v[16:17], v1, off
	s_branch .LBB360_3
.LBB360_12:
	s_cbranch_execz .LBB360_14
	s_branch .LBB360_17
.LBB360_13:
.LBB360_14:
	v_min_i64 v[2:3], 0x10000, s[6:7]
	v_dual_mov_b32 v5, 0 :: v_dual_lshlrev_b32 v4, 2, v0
	s_mov_b32 s6, exec_lo
	s_delay_alu instid0(VALU_DEP_1)
	v_cmpx_lt_i64_e64 v[4:5], v[2:3]
	s_cbranch_execz .LBB360_17
; %bb.15:
	s_load_b32 s6, s[0:1], 0xd3c
	v_dual_mov_b32 v1, v5 :: v_dual_lshlrev_b32 v4, 3, v0
	s_wait_xcnt 0x0
	s_add_nc_u64 s[0:1], s[2:3], s[4:5]
	v_mov_b64_e32 v[6:7], 0
	s_delay_alu instid0(VALU_DEP_2) | instskip(SKIP_1) | instid1(SALU_CYCLE_1)
	v_add_nc_u64_e32 v[4:5], s[0:1], v[4:5]
	s_mov_b32 s1, 0
	s_mov_b32 s3, s1
	;; [unrolled: 1-line block ×3, first 2 shown]
	s_wait_kmcnt 0x0
	s_and_b32 s0, s6, 0xffff
	s_delay_alu instid0(SALU_CYCLE_1)
	s_lshl_b32 s2, s0, 3
.LBB360_16:                             ; =>This Inner Loop Header: Depth=1
	v_add_nc_u64_e32 v[0:1], s[0:1], v[0:1]
	global_store_b64 v[4:5], v[6:7], off
	s_wait_xcnt 0x0
	v_add_nc_u64_e32 v[4:5], s[2:3], v[4:5]
	v_lshlrev_b64_e32 v[8:9], 2, v[0:1]
	s_delay_alu instid0(VALU_DEP_1) | instskip(SKIP_1) | instid1(SALU_CYCLE_1)
	v_cmp_ge_i64_e32 vcc_lo, v[8:9], v[2:3]
	s_or_b32 s4, vcc_lo, s4
	s_and_not1_b32 exec_lo, exec_lo, s4
	s_cbranch_execnz .LBB360_16
.LBB360_17:
	s_endpgm
	.section	.rodata,"a",@progbits
	.p2align	6, 0x0
	.amdhsa_kernel _ZN2at6native12_GLOBAL__N_125multi_tensor_apply_kernelINS1_18TensorListMetadataILi1EEENS1_11ZeroFunctorIN3c104HalfELi1ELi1ELi0EEEJEEEvT_T0_DpT1_
		.amdhsa_group_segment_fixed_size 0
		.amdhsa_private_segment_fixed_size 0
		.amdhsa_kernarg_size 3632
		.amdhsa_user_sgpr_count 2
		.amdhsa_user_sgpr_dispatch_ptr 0
		.amdhsa_user_sgpr_queue_ptr 0
		.amdhsa_user_sgpr_kernarg_segment_ptr 1
		.amdhsa_user_sgpr_dispatch_id 0
		.amdhsa_user_sgpr_kernarg_preload_length 0
		.amdhsa_user_sgpr_kernarg_preload_offset 0
		.amdhsa_user_sgpr_private_segment_size 0
		.amdhsa_wavefront_size32 1
		.amdhsa_uses_dynamic_stack 0
		.amdhsa_enable_private_segment 0
		.amdhsa_system_sgpr_workgroup_id_x 1
		.amdhsa_system_sgpr_workgroup_id_y 0
		.amdhsa_system_sgpr_workgroup_id_z 0
		.amdhsa_system_sgpr_workgroup_info 0
		.amdhsa_system_vgpr_workitem_id 0
		.amdhsa_next_free_vgpr 18
		.amdhsa_next_free_sgpr 18
		.amdhsa_named_barrier_count 0
		.amdhsa_reserve_vcc 1
		.amdhsa_float_round_mode_32 0
		.amdhsa_float_round_mode_16_64 0
		.amdhsa_float_denorm_mode_32 3
		.amdhsa_float_denorm_mode_16_64 3
		.amdhsa_fp16_overflow 0
		.amdhsa_memory_ordered 1
		.amdhsa_forward_progress 1
		.amdhsa_inst_pref_size 6
		.amdhsa_round_robin_scheduling 0
		.amdhsa_exception_fp_ieee_invalid_op 0
		.amdhsa_exception_fp_denorm_src 0
		.amdhsa_exception_fp_ieee_div_zero 0
		.amdhsa_exception_fp_ieee_overflow 0
		.amdhsa_exception_fp_ieee_underflow 0
		.amdhsa_exception_fp_ieee_inexact 0
		.amdhsa_exception_int_div_zero 0
	.end_amdhsa_kernel
	.section	.text._ZN2at6native12_GLOBAL__N_125multi_tensor_apply_kernelINS1_18TensorListMetadataILi1EEENS1_11ZeroFunctorIN3c104HalfELi1ELi1ELi0EEEJEEEvT_T0_DpT1_,"axG",@progbits,_ZN2at6native12_GLOBAL__N_125multi_tensor_apply_kernelINS1_18TensorListMetadataILi1EEENS1_11ZeroFunctorIN3c104HalfELi1ELi1ELi0EEEJEEEvT_T0_DpT1_,comdat
.Lfunc_end360:
	.size	_ZN2at6native12_GLOBAL__N_125multi_tensor_apply_kernelINS1_18TensorListMetadataILi1EEENS1_11ZeroFunctorIN3c104HalfELi1ELi1ELi0EEEJEEEvT_T0_DpT1_, .Lfunc_end360-_ZN2at6native12_GLOBAL__N_125multi_tensor_apply_kernelINS1_18TensorListMetadataILi1EEENS1_11ZeroFunctorIN3c104HalfELi1ELi1ELi0EEEJEEEvT_T0_DpT1_
                                        ; -- End function
	.set _ZN2at6native12_GLOBAL__N_125multi_tensor_apply_kernelINS1_18TensorListMetadataILi1EEENS1_11ZeroFunctorIN3c104HalfELi1ELi1ELi0EEEJEEEvT_T0_DpT1_.num_vgpr, 18
	.set _ZN2at6native12_GLOBAL__N_125multi_tensor_apply_kernelINS1_18TensorListMetadataILi1EEENS1_11ZeroFunctorIN3c104HalfELi1ELi1ELi0EEEJEEEvT_T0_DpT1_.num_agpr, 0
	.set _ZN2at6native12_GLOBAL__N_125multi_tensor_apply_kernelINS1_18TensorListMetadataILi1EEENS1_11ZeroFunctorIN3c104HalfELi1ELi1ELi0EEEJEEEvT_T0_DpT1_.numbered_sgpr, 18
	.set _ZN2at6native12_GLOBAL__N_125multi_tensor_apply_kernelINS1_18TensorListMetadataILi1EEENS1_11ZeroFunctorIN3c104HalfELi1ELi1ELi0EEEJEEEvT_T0_DpT1_.num_named_barrier, 0
	.set _ZN2at6native12_GLOBAL__N_125multi_tensor_apply_kernelINS1_18TensorListMetadataILi1EEENS1_11ZeroFunctorIN3c104HalfELi1ELi1ELi0EEEJEEEvT_T0_DpT1_.private_seg_size, 0
	.set _ZN2at6native12_GLOBAL__N_125multi_tensor_apply_kernelINS1_18TensorListMetadataILi1EEENS1_11ZeroFunctorIN3c104HalfELi1ELi1ELi0EEEJEEEvT_T0_DpT1_.uses_vcc, 1
	.set _ZN2at6native12_GLOBAL__N_125multi_tensor_apply_kernelINS1_18TensorListMetadataILi1EEENS1_11ZeroFunctorIN3c104HalfELi1ELi1ELi0EEEJEEEvT_T0_DpT1_.uses_flat_scratch, 0
	.set _ZN2at6native12_GLOBAL__N_125multi_tensor_apply_kernelINS1_18TensorListMetadataILi1EEENS1_11ZeroFunctorIN3c104HalfELi1ELi1ELi0EEEJEEEvT_T0_DpT1_.has_dyn_sized_stack, 0
	.set _ZN2at6native12_GLOBAL__N_125multi_tensor_apply_kernelINS1_18TensorListMetadataILi1EEENS1_11ZeroFunctorIN3c104HalfELi1ELi1ELi0EEEJEEEvT_T0_DpT1_.has_recursion, 0
	.set _ZN2at6native12_GLOBAL__N_125multi_tensor_apply_kernelINS1_18TensorListMetadataILi1EEENS1_11ZeroFunctorIN3c104HalfELi1ELi1ELi0EEEJEEEvT_T0_DpT1_.has_indirect_call, 0
	.section	.AMDGPU.csdata,"",@progbits
; Kernel info:
; codeLenInByte = 676
; TotalNumSgprs: 20
; NumVgprs: 18
; ScratchSize: 0
; MemoryBound: 0
; FloatMode: 240
; IeeeMode: 1
; LDSByteSize: 0 bytes/workgroup (compile time only)
; SGPRBlocks: 0
; VGPRBlocks: 1
; NumSGPRsForWavesPerEU: 20
; NumVGPRsForWavesPerEU: 18
; NamedBarCnt: 0
; Occupancy: 16
; WaveLimiterHint : 0
; COMPUTE_PGM_RSRC2:SCRATCH_EN: 0
; COMPUTE_PGM_RSRC2:USER_SGPR: 2
; COMPUTE_PGM_RSRC2:TRAP_HANDLER: 0
; COMPUTE_PGM_RSRC2:TGID_X_EN: 1
; COMPUTE_PGM_RSRC2:TGID_Y_EN: 0
; COMPUTE_PGM_RSRC2:TGID_Z_EN: 0
; COMPUTE_PGM_RSRC2:TIDIG_COMP_CNT: 0
	.section	.text._ZN2at6native12_GLOBAL__N_125multi_tensor_apply_kernelINS1_18TensorListMetadataILi1EEENS1_11ZeroFunctorIN3c108BFloat16ELi1ELi1ELi0EEEJEEEvT_T0_DpT1_,"axG",@progbits,_ZN2at6native12_GLOBAL__N_125multi_tensor_apply_kernelINS1_18TensorListMetadataILi1EEENS1_11ZeroFunctorIN3c108BFloat16ELi1ELi1ELi0EEEJEEEvT_T0_DpT1_,comdat
	.globl	_ZN2at6native12_GLOBAL__N_125multi_tensor_apply_kernelINS1_18TensorListMetadataILi1EEENS1_11ZeroFunctorIN3c108BFloat16ELi1ELi1ELi0EEEJEEEvT_T0_DpT1_ ; -- Begin function _ZN2at6native12_GLOBAL__N_125multi_tensor_apply_kernelINS1_18TensorListMetadataILi1EEENS1_11ZeroFunctorIN3c108BFloat16ELi1ELi1ELi0EEEJEEEvT_T0_DpT1_
	.p2align	8
	.type	_ZN2at6native12_GLOBAL__N_125multi_tensor_apply_kernelINS1_18TensorListMetadataILi1EEENS1_11ZeroFunctorIN3c108BFloat16ELi1ELi1ELi0EEEJEEEvT_T0_DpT1_,@function
_ZN2at6native12_GLOBAL__N_125multi_tensor_apply_kernelINS1_18TensorListMetadataILi1EEENS1_11ZeroFunctorIN3c108BFloat16ELi1ELi1ELi0EEEJEEEvT_T0_DpT1_: ; @_ZN2at6native12_GLOBAL__N_125multi_tensor_apply_kernelINS1_18TensorListMetadataILi1EEENS1_11ZeroFunctorIN3c108BFloat16ELi1ELi1ELi0EEEJEEEvT_T0_DpT1_
; %bb.0:
	s_bfe_u32 s2, ttmp6, 0x4000c
	s_and_b32 s3, ttmp6, 15
	s_add_co_i32 s2, s2, 1
	s_getreg_b32 s4, hwreg(HW_REG_IB_STS2, 6, 4)
	s_mul_i32 s2, ttmp9, s2
	s_mov_b32 s7, 0
	s_add_co_i32 s3, s3, s2
	s_cmp_eq_u32 s4, 0
	s_cselect_b32 s6, ttmp9, s3
	s_load_u8 s9, s[0:1], s6 offset:0x6e0
	s_add_nc_u64 s[2:3], s[0:1], s[6:7]
	s_mul_u64 s[4:5], s[6:7], 3
	s_delay_alu instid0(SALU_CYCLE_1)
	s_add_nc_u64 s[4:5], s[2:3], s[4:5]
	s_load_b32 s8, s[4:5], 0x820
	s_wait_kmcnt 0x0
	s_clause 0x1
	s_load_b64 s[2:3], s[0:1], s9 offset:0x0 scale_offset
	s_load_b64 s[10:11], s[0:1], s9 offset:0x370 scale_offset
	s_wait_xcnt 0x0
	s_ashr_i32 s9, s8, 31
	s_wait_kmcnt 0x0
	s_and_b64 s[12:13], s[2:3], 7
	s_and_b32 s6, s10, 3
	s_lshl_b64 s[4:5], s[8:9], 17
	s_or_b64 s[6:7], s[12:13], s[6:7]
	s_lshl_b64 s[8:9], s[8:9], 16
	s_cmp_eq_u64 s[6:7], 0
	s_sub_nc_u64 s[6:7], s[10:11], s[8:9]
	s_cbranch_scc1 .LBB361_13
; %bb.1:
	v_cmp_lt_i64_e64 s8, s[6:7], 1
	s_and_b32 vcc_lo, exec_lo, s8
	s_cbranch_vccnz .LBB361_12
; %bb.2:
	s_load_b32 s8, s[0:1], 0xd3c
	v_min_i64 v[2:3], 0x10000, s[6:7]
	v_min_u64 v[4:5], 0x10000, s[6:7]
	v_dual_mov_b32 v1, 0 :: v_dual_lshlrev_b32 v8, 1, v0
	s_mov_b32 s13, 0
	s_add_nc_u64 s[10:11], s[2:3], s[4:5]
	s_mov_b32 s15, s13
	s_delay_alu instid0(VALU_DEP_1) | instskip(SKIP_4) | instid1(SALU_CYCLE_1)
	v_mov_b32_e32 v15, v1
	s_mov_b32 s17, s13
	s_mov_b32 s9, s13
	s_wait_kmcnt 0x0
	s_and_b32 s12, s8, 0xffff
	v_add_nc_u64_e32 v[6:7], s[12:13], v[0:1]
	v_mov_b32_e32 v9, v1
	s_lshl_b32 s14, s12, 1
	s_mul_i32 s16, s12, 3
	v_add_nc_u64_e32 v[12:13], s[14:15], v[0:1]
	v_add_nc_u64_e32 v[10:11], s[16:17], v[0:1]
	s_lshl_b32 s8, s12, 2
	v_lshlrev_b32_e32 v14, 1, v6
	v_add_nc_u64_e32 v[8:9], s[10:11], v[8:9]
	s_mov_b64 s[14:15], 0
	s_delay_alu instid0(VALU_DEP_2)
	v_add_nc_u64_e32 v[14:15], s[10:11], v[14:15]
	s_lshl_b32 s10, s12, 3
	s_mov_b32 s11, s13
	s_mul_u64 s[12:13], s[12:13], 6
	s_branch .LBB361_4
.LBB361_3:                              ;   in Loop: Header=BB361_4 Depth=1
	s_wait_xcnt 0x0
	s_or_b32 exec_lo, exec_lo, s16
	s_add_nc_u64 s[14:15], s[14:15], s[8:9]
	v_add_nc_u64_e32 v[8:9], s[10:11], v[8:9]
	v_cmp_lt_i64_e32 vcc_lo, s[14:15], v[2:3]
	v_add_nc_u64_e32 v[14:15], s[10:11], v[14:15]
	s_cbranch_vccz .LBB361_12
.LBB361_4:                              ; =>This Inner Loop Header: Depth=1
	v_add_nc_u64_e32 v[16:17], s[14:15], v[0:1]
	s_mov_b32 s16, exec_lo
	s_delay_alu instid0(VALU_DEP_1)
	v_cmpx_lt_u64_e64 v[16:17], v[4:5]
	s_cbranch_execz .LBB361_6
; %bb.5:                                ;   in Loop: Header=BB361_4 Depth=1
	global_store_b16 v[8:9], v1, off
.LBB361_6:                              ;   in Loop: Header=BB361_4 Depth=1
	s_wait_xcnt 0x0
	s_or_b32 exec_lo, exec_lo, s16
	v_add_nc_u64_e32 v[16:17], s[14:15], v[6:7]
	s_mov_b32 s16, exec_lo
	s_delay_alu instid0(VALU_DEP_1)
	v_cmpx_lt_u64_e64 v[16:17], v[4:5]
	s_cbranch_execz .LBB361_8
; %bb.7:                                ;   in Loop: Header=BB361_4 Depth=1
	global_store_b16 v[14:15], v1, off
.LBB361_8:                              ;   in Loop: Header=BB361_4 Depth=1
	s_wait_xcnt 0x0
	s_or_b32 exec_lo, exec_lo, s16
	v_add_nc_u64_e32 v[16:17], s[14:15], v[12:13]
	s_mov_b32 s16, exec_lo
	s_delay_alu instid0(VALU_DEP_1)
	v_cmpx_lt_u64_e64 v[16:17], v[4:5]
	s_cbranch_execz .LBB361_10
; %bb.9:                                ;   in Loop: Header=BB361_4 Depth=1
	v_add_nc_u64_e32 v[16:17], s[8:9], v[8:9]
	global_store_b16 v[16:17], v1, off
.LBB361_10:                             ;   in Loop: Header=BB361_4 Depth=1
	s_wait_xcnt 0x0
	s_or_b32 exec_lo, exec_lo, s16
	v_add_nc_u64_e32 v[16:17], s[14:15], v[10:11]
	s_mov_b32 s16, exec_lo
	s_delay_alu instid0(VALU_DEP_1)
	v_cmpx_lt_u64_e64 v[16:17], v[4:5]
	s_cbranch_execz .LBB361_3
; %bb.11:                               ;   in Loop: Header=BB361_4 Depth=1
	v_add_nc_u64_e32 v[16:17], s[12:13], v[8:9]
	global_store_b16 v[16:17], v1, off
	s_branch .LBB361_3
.LBB361_12:
	s_cbranch_execz .LBB361_14
	s_branch .LBB361_17
.LBB361_13:
.LBB361_14:
	v_min_i64 v[2:3], 0x10000, s[6:7]
	v_dual_mov_b32 v5, 0 :: v_dual_lshlrev_b32 v4, 2, v0
	s_mov_b32 s6, exec_lo
	s_delay_alu instid0(VALU_DEP_1)
	v_cmpx_lt_i64_e64 v[4:5], v[2:3]
	s_cbranch_execz .LBB361_17
; %bb.15:
	s_load_b32 s6, s[0:1], 0xd3c
	v_dual_mov_b32 v1, v5 :: v_dual_lshlrev_b32 v4, 3, v0
	s_wait_xcnt 0x0
	s_add_nc_u64 s[0:1], s[2:3], s[4:5]
	v_mov_b64_e32 v[6:7], 0
	s_delay_alu instid0(VALU_DEP_2) | instskip(SKIP_1) | instid1(SALU_CYCLE_1)
	v_add_nc_u64_e32 v[4:5], s[0:1], v[4:5]
	s_mov_b32 s1, 0
	s_mov_b32 s3, s1
	;; [unrolled: 1-line block ×3, first 2 shown]
	s_wait_kmcnt 0x0
	s_and_b32 s0, s6, 0xffff
	s_delay_alu instid0(SALU_CYCLE_1)
	s_lshl_b32 s2, s0, 3
.LBB361_16:                             ; =>This Inner Loop Header: Depth=1
	v_add_nc_u64_e32 v[0:1], s[0:1], v[0:1]
	global_store_b64 v[4:5], v[6:7], off
	s_wait_xcnt 0x0
	v_add_nc_u64_e32 v[4:5], s[2:3], v[4:5]
	v_lshlrev_b64_e32 v[8:9], 2, v[0:1]
	s_delay_alu instid0(VALU_DEP_1) | instskip(SKIP_1) | instid1(SALU_CYCLE_1)
	v_cmp_ge_i64_e32 vcc_lo, v[8:9], v[2:3]
	s_or_b32 s4, vcc_lo, s4
	s_and_not1_b32 exec_lo, exec_lo, s4
	s_cbranch_execnz .LBB361_16
.LBB361_17:
	s_endpgm
	.section	.rodata,"a",@progbits
	.p2align	6, 0x0
	.amdhsa_kernel _ZN2at6native12_GLOBAL__N_125multi_tensor_apply_kernelINS1_18TensorListMetadataILi1EEENS1_11ZeroFunctorIN3c108BFloat16ELi1ELi1ELi0EEEJEEEvT_T0_DpT1_
		.amdhsa_group_segment_fixed_size 0
		.amdhsa_private_segment_fixed_size 0
		.amdhsa_kernarg_size 3632
		.amdhsa_user_sgpr_count 2
		.amdhsa_user_sgpr_dispatch_ptr 0
		.amdhsa_user_sgpr_queue_ptr 0
		.amdhsa_user_sgpr_kernarg_segment_ptr 1
		.amdhsa_user_sgpr_dispatch_id 0
		.amdhsa_user_sgpr_kernarg_preload_length 0
		.amdhsa_user_sgpr_kernarg_preload_offset 0
		.amdhsa_user_sgpr_private_segment_size 0
		.amdhsa_wavefront_size32 1
		.amdhsa_uses_dynamic_stack 0
		.amdhsa_enable_private_segment 0
		.amdhsa_system_sgpr_workgroup_id_x 1
		.amdhsa_system_sgpr_workgroup_id_y 0
		.amdhsa_system_sgpr_workgroup_id_z 0
		.amdhsa_system_sgpr_workgroup_info 0
		.amdhsa_system_vgpr_workitem_id 0
		.amdhsa_next_free_vgpr 18
		.amdhsa_next_free_sgpr 18
		.amdhsa_named_barrier_count 0
		.amdhsa_reserve_vcc 1
		.amdhsa_float_round_mode_32 0
		.amdhsa_float_round_mode_16_64 0
		.amdhsa_float_denorm_mode_32 3
		.amdhsa_float_denorm_mode_16_64 3
		.amdhsa_fp16_overflow 0
		.amdhsa_memory_ordered 1
		.amdhsa_forward_progress 1
		.amdhsa_inst_pref_size 6
		.amdhsa_round_robin_scheduling 0
		.amdhsa_exception_fp_ieee_invalid_op 0
		.amdhsa_exception_fp_denorm_src 0
		.amdhsa_exception_fp_ieee_div_zero 0
		.amdhsa_exception_fp_ieee_overflow 0
		.amdhsa_exception_fp_ieee_underflow 0
		.amdhsa_exception_fp_ieee_inexact 0
		.amdhsa_exception_int_div_zero 0
	.end_amdhsa_kernel
	.section	.text._ZN2at6native12_GLOBAL__N_125multi_tensor_apply_kernelINS1_18TensorListMetadataILi1EEENS1_11ZeroFunctorIN3c108BFloat16ELi1ELi1ELi0EEEJEEEvT_T0_DpT1_,"axG",@progbits,_ZN2at6native12_GLOBAL__N_125multi_tensor_apply_kernelINS1_18TensorListMetadataILi1EEENS1_11ZeroFunctorIN3c108BFloat16ELi1ELi1ELi0EEEJEEEvT_T0_DpT1_,comdat
.Lfunc_end361:
	.size	_ZN2at6native12_GLOBAL__N_125multi_tensor_apply_kernelINS1_18TensorListMetadataILi1EEENS1_11ZeroFunctorIN3c108BFloat16ELi1ELi1ELi0EEEJEEEvT_T0_DpT1_, .Lfunc_end361-_ZN2at6native12_GLOBAL__N_125multi_tensor_apply_kernelINS1_18TensorListMetadataILi1EEENS1_11ZeroFunctorIN3c108BFloat16ELi1ELi1ELi0EEEJEEEvT_T0_DpT1_
                                        ; -- End function
	.set _ZN2at6native12_GLOBAL__N_125multi_tensor_apply_kernelINS1_18TensorListMetadataILi1EEENS1_11ZeroFunctorIN3c108BFloat16ELi1ELi1ELi0EEEJEEEvT_T0_DpT1_.num_vgpr, 18
	.set _ZN2at6native12_GLOBAL__N_125multi_tensor_apply_kernelINS1_18TensorListMetadataILi1EEENS1_11ZeroFunctorIN3c108BFloat16ELi1ELi1ELi0EEEJEEEvT_T0_DpT1_.num_agpr, 0
	.set _ZN2at6native12_GLOBAL__N_125multi_tensor_apply_kernelINS1_18TensorListMetadataILi1EEENS1_11ZeroFunctorIN3c108BFloat16ELi1ELi1ELi0EEEJEEEvT_T0_DpT1_.numbered_sgpr, 18
	.set _ZN2at6native12_GLOBAL__N_125multi_tensor_apply_kernelINS1_18TensorListMetadataILi1EEENS1_11ZeroFunctorIN3c108BFloat16ELi1ELi1ELi0EEEJEEEvT_T0_DpT1_.num_named_barrier, 0
	.set _ZN2at6native12_GLOBAL__N_125multi_tensor_apply_kernelINS1_18TensorListMetadataILi1EEENS1_11ZeroFunctorIN3c108BFloat16ELi1ELi1ELi0EEEJEEEvT_T0_DpT1_.private_seg_size, 0
	.set _ZN2at6native12_GLOBAL__N_125multi_tensor_apply_kernelINS1_18TensorListMetadataILi1EEENS1_11ZeroFunctorIN3c108BFloat16ELi1ELi1ELi0EEEJEEEvT_T0_DpT1_.uses_vcc, 1
	.set _ZN2at6native12_GLOBAL__N_125multi_tensor_apply_kernelINS1_18TensorListMetadataILi1EEENS1_11ZeroFunctorIN3c108BFloat16ELi1ELi1ELi0EEEJEEEvT_T0_DpT1_.uses_flat_scratch, 0
	.set _ZN2at6native12_GLOBAL__N_125multi_tensor_apply_kernelINS1_18TensorListMetadataILi1EEENS1_11ZeroFunctorIN3c108BFloat16ELi1ELi1ELi0EEEJEEEvT_T0_DpT1_.has_dyn_sized_stack, 0
	.set _ZN2at6native12_GLOBAL__N_125multi_tensor_apply_kernelINS1_18TensorListMetadataILi1EEENS1_11ZeroFunctorIN3c108BFloat16ELi1ELi1ELi0EEEJEEEvT_T0_DpT1_.has_recursion, 0
	.set _ZN2at6native12_GLOBAL__N_125multi_tensor_apply_kernelINS1_18TensorListMetadataILi1EEENS1_11ZeroFunctorIN3c108BFloat16ELi1ELi1ELi0EEEJEEEvT_T0_DpT1_.has_indirect_call, 0
	.section	.AMDGPU.csdata,"",@progbits
; Kernel info:
; codeLenInByte = 676
; TotalNumSgprs: 20
; NumVgprs: 18
; ScratchSize: 0
; MemoryBound: 0
; FloatMode: 240
; IeeeMode: 1
; LDSByteSize: 0 bytes/workgroup (compile time only)
; SGPRBlocks: 0
; VGPRBlocks: 1
; NumSGPRsForWavesPerEU: 20
; NumVGPRsForWavesPerEU: 18
; NamedBarCnt: 0
; Occupancy: 16
; WaveLimiterHint : 0
; COMPUTE_PGM_RSRC2:SCRATCH_EN: 0
; COMPUTE_PGM_RSRC2:USER_SGPR: 2
; COMPUTE_PGM_RSRC2:TRAP_HANDLER: 0
; COMPUTE_PGM_RSRC2:TGID_X_EN: 1
; COMPUTE_PGM_RSRC2:TGID_Y_EN: 0
; COMPUTE_PGM_RSRC2:TGID_Z_EN: 0
; COMPUTE_PGM_RSRC2:TIDIG_COMP_CNT: 0
	.section	.text._ZN2at6native12_GLOBAL__N_125multi_tensor_apply_kernelINS1_18TensorListMetadataILi1EEENS1_11ZeroFunctorIbLi1ELi1ELi0EEEJEEEvT_T0_DpT1_,"axG",@progbits,_ZN2at6native12_GLOBAL__N_125multi_tensor_apply_kernelINS1_18TensorListMetadataILi1EEENS1_11ZeroFunctorIbLi1ELi1ELi0EEEJEEEvT_T0_DpT1_,comdat
	.globl	_ZN2at6native12_GLOBAL__N_125multi_tensor_apply_kernelINS1_18TensorListMetadataILi1EEENS1_11ZeroFunctorIbLi1ELi1ELi0EEEJEEEvT_T0_DpT1_ ; -- Begin function _ZN2at6native12_GLOBAL__N_125multi_tensor_apply_kernelINS1_18TensorListMetadataILi1EEENS1_11ZeroFunctorIbLi1ELi1ELi0EEEJEEEvT_T0_DpT1_
	.p2align	8
	.type	_ZN2at6native12_GLOBAL__N_125multi_tensor_apply_kernelINS1_18TensorListMetadataILi1EEENS1_11ZeroFunctorIbLi1ELi1ELi0EEEJEEEvT_T0_DpT1_,@function
_ZN2at6native12_GLOBAL__N_125multi_tensor_apply_kernelINS1_18TensorListMetadataILi1EEENS1_11ZeroFunctorIbLi1ELi1ELi0EEEJEEEvT_T0_DpT1_: ; @_ZN2at6native12_GLOBAL__N_125multi_tensor_apply_kernelINS1_18TensorListMetadataILi1EEENS1_11ZeroFunctorIbLi1ELi1ELi0EEEJEEEvT_T0_DpT1_
; %bb.0:
	s_bfe_u32 s2, ttmp6, 0x4000c
	s_and_b32 s3, ttmp6, 15
	s_add_co_i32 s2, s2, 1
	s_getreg_b32 s4, hwreg(HW_REG_IB_STS2, 6, 4)
	s_mul_i32 s2, ttmp9, s2
	s_delay_alu instid0(SALU_CYCLE_1)
	s_add_co_i32 s3, s3, s2
	s_cmp_eq_u32 s4, 0
	s_cselect_b32 s2, ttmp9, s3
	s_mov_b32 s3, 0
	s_load_u8 s9, s[0:1], s2 offset:0x6e0
	s_add_nc_u64 s[4:5], s[0:1], s[2:3]
	s_wait_xcnt 0x0
	s_mul_u64 s[2:3], s[2:3], 3
	s_delay_alu instid0(SALU_CYCLE_1)
	s_add_nc_u64 s[4:5], s[4:5], s[2:3]
	s_wait_kmcnt 0x0
	s_clause 0x2
	s_load_b64 s[6:7], s[0:1], s9 offset:0x370 scale_offset
	s_load_b64 s[2:3], s[0:1], s9 offset:0x0 scale_offset
	s_load_b32 s8, s[4:5], 0x820
	s_wait_kmcnt 0x0
	s_or_b32 s4, s6, s2
	s_ashr_i32 s9, s8, 31
	s_and_b32 s10, s4, 3
	s_lshl_b64 s[4:5], s[8:9], 16
	s_cmp_eq_u32 s10, 0
	s_sub_nc_u64 s[6:7], s[6:7], s[4:5]
	s_cbranch_scc1 .LBB362_13
; %bb.1:
	v_cmp_lt_i64_e64 s8, s[6:7], 1
	s_and_b32 vcc_lo, exec_lo, s8
	s_cbranch_vccnz .LBB362_12
; %bb.2:
	s_load_b32 s8, s[0:1], 0xd3c
	v_min_i64 v[2:3], 0x10000, s[6:7]
	v_min_u64 v[4:5], 0x10000, s[6:7]
	v_mov_b32_e32 v1, 0
	s_mov_b32 s9, 0
	s_delay_alu instid0(SALU_CYCLE_1) | instskip(SKIP_1) | instid1(VALU_DEP_1)
	s_mov_b32 s11, s9
	s_mov_b32 s13, s9
	v_add_nc_u64_e32 v[12:13], s[4:5], v[0:1]
	s_delay_alu instid0(VALU_DEP_1) | instskip(SKIP_2) | instid1(SALU_CYCLE_1)
	v_add_nc_u64_e32 v[6:7], s[2:3], v[12:13]
	s_wait_kmcnt 0x0
	s_and_b32 s8, s8, 0xffff
	s_lshl_b32 s10, s8, 1
	s_mul_i32 s12, s8, 3
	s_add_nc_u64 s[14:15], s[2:3], s[8:9]
	s_add_nc_u64 s[16:17], s[4:5], s[12:13]
	v_add_nc_u64_e32 v[8:9], s[12:13], v[0:1]
	s_add_nc_u64 s[12:13], s[4:5], s[10:11]
	v_add_nc_u64_e32 v[10:11], s[10:11], v[0:1]
	s_add_nc_u64 s[10:11], s[2:3], s[16:17]
	s_add_nc_u64 s[12:13], s[2:3], s[12:13]
	v_add_nc_u64_e32 v[12:13], s[14:15], v[12:13]
	v_add_nc_u64_e32 v[14:15], s[10:11], v[0:1]
	;; [unrolled: 1-line block ×4, first 2 shown]
	s_lshl_b32 s8, s8, 2
	s_mov_b64 s[10:11], 0
	s_branch .LBB362_4
.LBB362_3:                              ;   in Loop: Header=BB362_4 Depth=1
	s_wait_xcnt 0x0
	s_or_b32 exec_lo, exec_lo, s12
	s_add_nc_u64 s[10:11], s[10:11], s[8:9]
	s_delay_alu instid0(SALU_CYCLE_1)
	v_cmp_lt_i64_e32 vcc_lo, s[10:11], v[2:3]
	s_cbranch_vccz .LBB362_12
.LBB362_4:                              ; =>This Inner Loop Header: Depth=1
	v_add_nc_u64_e32 v[20:21], s[10:11], v[0:1]
	s_mov_b32 s12, exec_lo
	s_delay_alu instid0(VALU_DEP_1)
	v_cmpx_lt_u64_e64 v[20:21], v[4:5]
	s_cbranch_execz .LBB362_6
; %bb.5:                                ;   in Loop: Header=BB362_4 Depth=1
	v_add_nc_u64_e32 v[20:21], s[10:11], v[6:7]
	global_store_b8 v[20:21], v1, off
.LBB362_6:                              ;   in Loop: Header=BB362_4 Depth=1
	s_wait_xcnt 0x0
	s_or_b32 exec_lo, exec_lo, s12
	v_add_nc_u64_e32 v[20:21], s[10:11], v[18:19]
	s_mov_b32 s12, exec_lo
	s_delay_alu instid0(VALU_DEP_1)
	v_cmpx_lt_u64_e64 v[20:21], v[4:5]
	s_cbranch_execz .LBB362_8
; %bb.7:                                ;   in Loop: Header=BB362_4 Depth=1
	v_add_nc_u64_e32 v[20:21], s[10:11], v[12:13]
	global_store_b8 v[20:21], v1, off
.LBB362_8:                              ;   in Loop: Header=BB362_4 Depth=1
	s_wait_xcnt 0x0
	s_or_b32 exec_lo, exec_lo, s12
	v_add_nc_u64_e32 v[20:21], s[10:11], v[10:11]
	s_mov_b32 s12, exec_lo
	s_delay_alu instid0(VALU_DEP_1)
	v_cmpx_lt_u64_e64 v[20:21], v[4:5]
	s_cbranch_execz .LBB362_10
; %bb.9:                                ;   in Loop: Header=BB362_4 Depth=1
	v_add_nc_u64_e32 v[20:21], s[10:11], v[16:17]
	global_store_b8 v[20:21], v1, off
.LBB362_10:                             ;   in Loop: Header=BB362_4 Depth=1
	s_wait_xcnt 0x0
	s_or_b32 exec_lo, exec_lo, s12
	v_add_nc_u64_e32 v[20:21], s[10:11], v[8:9]
	s_mov_b32 s12, exec_lo
	s_delay_alu instid0(VALU_DEP_1)
	v_cmpx_lt_u64_e64 v[20:21], v[4:5]
	s_cbranch_execz .LBB362_3
; %bb.11:                               ;   in Loop: Header=BB362_4 Depth=1
	v_add_nc_u64_e32 v[20:21], s[10:11], v[14:15]
	global_store_b8 v[20:21], v1, off
	s_branch .LBB362_3
.LBB362_12:
	s_cbranch_execz .LBB362_14
	s_branch .LBB362_17
.LBB362_13:
.LBB362_14:
	v_min_i64 v[2:3], 0x10000, s[6:7]
	v_dual_mov_b32 v5, 0 :: v_dual_lshlrev_b32 v4, 2, v0
	s_mov_b32 s6, exec_lo
	s_delay_alu instid0(VALU_DEP_1)
	v_cmpx_lt_i64_e64 v[4:5], v[2:3]
	s_cbranch_execz .LBB362_17
; %bb.15:
	s_load_b32 s6, s[0:1], 0xd3c
	s_wait_xcnt 0x0
	s_add_nc_u64 s[0:1], s[2:3], s[4:5]
	v_mov_b32_e32 v1, v5
	v_add_nc_u64_e32 v[6:7], s[0:1], v[4:5]
	s_mov_b32 s1, 0
	s_delay_alu instid0(SALU_CYCLE_1) | instskip(SKIP_3) | instid1(SALU_CYCLE_1)
	s_mov_b32 s3, s1
	s_mov_b32 s4, s1
	s_wait_kmcnt 0x0
	s_and_b32 s0, s6, 0xffff
	s_lshl_b32 s2, s0, 2
.LBB362_16:                             ; =>This Inner Loop Header: Depth=1
	v_add_nc_u64_e32 v[0:1], s[0:1], v[0:1]
	global_store_b32 v[6:7], v5, off
	s_wait_xcnt 0x0
	v_add_nc_u64_e32 v[6:7], s[2:3], v[6:7]
	v_lshlrev_b64_e32 v[8:9], 2, v[0:1]
	s_delay_alu instid0(VALU_DEP_1) | instskip(SKIP_1) | instid1(SALU_CYCLE_1)
	v_cmp_ge_i64_e32 vcc_lo, v[8:9], v[2:3]
	s_or_b32 s4, vcc_lo, s4
	s_and_not1_b32 exec_lo, exec_lo, s4
	s_cbranch_execnz .LBB362_16
.LBB362_17:
	s_endpgm
	.section	.rodata,"a",@progbits
	.p2align	6, 0x0
	.amdhsa_kernel _ZN2at6native12_GLOBAL__N_125multi_tensor_apply_kernelINS1_18TensorListMetadataILi1EEENS1_11ZeroFunctorIbLi1ELi1ELi0EEEJEEEvT_T0_DpT1_
		.amdhsa_group_segment_fixed_size 0
		.amdhsa_private_segment_fixed_size 0
		.amdhsa_kernarg_size 3632
		.amdhsa_user_sgpr_count 2
		.amdhsa_user_sgpr_dispatch_ptr 0
		.amdhsa_user_sgpr_queue_ptr 0
		.amdhsa_user_sgpr_kernarg_segment_ptr 1
		.amdhsa_user_sgpr_dispatch_id 0
		.amdhsa_user_sgpr_kernarg_preload_length 0
		.amdhsa_user_sgpr_kernarg_preload_offset 0
		.amdhsa_user_sgpr_private_segment_size 0
		.amdhsa_wavefront_size32 1
		.amdhsa_uses_dynamic_stack 0
		.amdhsa_enable_private_segment 0
		.amdhsa_system_sgpr_workgroup_id_x 1
		.amdhsa_system_sgpr_workgroup_id_y 0
		.amdhsa_system_sgpr_workgroup_id_z 0
		.amdhsa_system_sgpr_workgroup_info 0
		.amdhsa_system_vgpr_workitem_id 0
		.amdhsa_next_free_vgpr 22
		.amdhsa_next_free_sgpr 18
		.amdhsa_named_barrier_count 0
		.amdhsa_reserve_vcc 1
		.amdhsa_float_round_mode_32 0
		.amdhsa_float_round_mode_16_64 0
		.amdhsa_float_denorm_mode_32 3
		.amdhsa_float_denorm_mode_16_64 3
		.amdhsa_fp16_overflow 0
		.amdhsa_memory_ordered 1
		.amdhsa_forward_progress 1
		.amdhsa_inst_pref_size 6
		.amdhsa_round_robin_scheduling 0
		.amdhsa_exception_fp_ieee_invalid_op 0
		.amdhsa_exception_fp_denorm_src 0
		.amdhsa_exception_fp_ieee_div_zero 0
		.amdhsa_exception_fp_ieee_overflow 0
		.amdhsa_exception_fp_ieee_underflow 0
		.amdhsa_exception_fp_ieee_inexact 0
		.amdhsa_exception_int_div_zero 0
	.end_amdhsa_kernel
	.section	.text._ZN2at6native12_GLOBAL__N_125multi_tensor_apply_kernelINS1_18TensorListMetadataILi1EEENS1_11ZeroFunctorIbLi1ELi1ELi0EEEJEEEvT_T0_DpT1_,"axG",@progbits,_ZN2at6native12_GLOBAL__N_125multi_tensor_apply_kernelINS1_18TensorListMetadataILi1EEENS1_11ZeroFunctorIbLi1ELi1ELi0EEEJEEEvT_T0_DpT1_,comdat
.Lfunc_end362:
	.size	_ZN2at6native12_GLOBAL__N_125multi_tensor_apply_kernelINS1_18TensorListMetadataILi1EEENS1_11ZeroFunctorIbLi1ELi1ELi0EEEJEEEvT_T0_DpT1_, .Lfunc_end362-_ZN2at6native12_GLOBAL__N_125multi_tensor_apply_kernelINS1_18TensorListMetadataILi1EEENS1_11ZeroFunctorIbLi1ELi1ELi0EEEJEEEvT_T0_DpT1_
                                        ; -- End function
	.set _ZN2at6native12_GLOBAL__N_125multi_tensor_apply_kernelINS1_18TensorListMetadataILi1EEENS1_11ZeroFunctorIbLi1ELi1ELi0EEEJEEEvT_T0_DpT1_.num_vgpr, 22
	.set _ZN2at6native12_GLOBAL__N_125multi_tensor_apply_kernelINS1_18TensorListMetadataILi1EEENS1_11ZeroFunctorIbLi1ELi1ELi0EEEJEEEvT_T0_DpT1_.num_agpr, 0
	.set _ZN2at6native12_GLOBAL__N_125multi_tensor_apply_kernelINS1_18TensorListMetadataILi1EEENS1_11ZeroFunctorIbLi1ELi1ELi0EEEJEEEvT_T0_DpT1_.numbered_sgpr, 18
	.set _ZN2at6native12_GLOBAL__N_125multi_tensor_apply_kernelINS1_18TensorListMetadataILi1EEENS1_11ZeroFunctorIbLi1ELi1ELi0EEEJEEEvT_T0_DpT1_.num_named_barrier, 0
	.set _ZN2at6native12_GLOBAL__N_125multi_tensor_apply_kernelINS1_18TensorListMetadataILi1EEENS1_11ZeroFunctorIbLi1ELi1ELi0EEEJEEEvT_T0_DpT1_.private_seg_size, 0
	.set _ZN2at6native12_GLOBAL__N_125multi_tensor_apply_kernelINS1_18TensorListMetadataILi1EEENS1_11ZeroFunctorIbLi1ELi1ELi0EEEJEEEvT_T0_DpT1_.uses_vcc, 1
	.set _ZN2at6native12_GLOBAL__N_125multi_tensor_apply_kernelINS1_18TensorListMetadataILi1EEENS1_11ZeroFunctorIbLi1ELi1ELi0EEEJEEEvT_T0_DpT1_.uses_flat_scratch, 0
	.set _ZN2at6native12_GLOBAL__N_125multi_tensor_apply_kernelINS1_18TensorListMetadataILi1EEENS1_11ZeroFunctorIbLi1ELi1ELi0EEEJEEEvT_T0_DpT1_.has_dyn_sized_stack, 0
	.set _ZN2at6native12_GLOBAL__N_125multi_tensor_apply_kernelINS1_18TensorListMetadataILi1EEENS1_11ZeroFunctorIbLi1ELi1ELi0EEEJEEEvT_T0_DpT1_.has_recursion, 0
	.set _ZN2at6native12_GLOBAL__N_125multi_tensor_apply_kernelINS1_18TensorListMetadataILi1EEENS1_11ZeroFunctorIbLi1ELi1ELi0EEEJEEEvT_T0_DpT1_.has_indirect_call, 0
	.section	.AMDGPU.csdata,"",@progbits
; Kernel info:
; codeLenInByte = 660
; TotalNumSgprs: 20
; NumVgprs: 22
; ScratchSize: 0
; MemoryBound: 0
; FloatMode: 240
; IeeeMode: 1
; LDSByteSize: 0 bytes/workgroup (compile time only)
; SGPRBlocks: 0
; VGPRBlocks: 1
; NumSGPRsForWavesPerEU: 20
; NumVGPRsForWavesPerEU: 22
; NamedBarCnt: 0
; Occupancy: 16
; WaveLimiterHint : 0
; COMPUTE_PGM_RSRC2:SCRATCH_EN: 0
; COMPUTE_PGM_RSRC2:USER_SGPR: 2
; COMPUTE_PGM_RSRC2:TRAP_HANDLER: 0
; COMPUTE_PGM_RSRC2:TGID_X_EN: 1
; COMPUTE_PGM_RSRC2:TGID_Y_EN: 0
; COMPUTE_PGM_RSRC2:TGID_Z_EN: 0
; COMPUTE_PGM_RSRC2:TIDIG_COMP_CNT: 0
	.text
	.p2alignl 7, 3214868480
	.fill 96, 4, 3214868480
	.section	.AMDGPU.gpr_maximums,"",@progbits
	.set amdgpu.max_num_vgpr, 84
	.set amdgpu.max_num_agpr, 0
	.set amdgpu.max_num_sgpr, 33
	.text
	.type	__hip_cuid_5aeb9823636a7436,@object ; @__hip_cuid_5aeb9823636a7436
	.section	.bss,"aw",@nobits
	.globl	__hip_cuid_5aeb9823636a7436
__hip_cuid_5aeb9823636a7436:
	.byte	0                               ; 0x0
	.size	__hip_cuid_5aeb9823636a7436, 1

	.ident	"AMD clang version 22.0.0git (https://github.com/RadeonOpenCompute/llvm-project roc-7.2.4 26084 f58b06dce1f9c15707c5f808fd002e18c2accf7e)"
	.section	".note.GNU-stack","",@progbits
	.addrsig
	.addrsig_sym __hip_cuid_5aeb9823636a7436
	.amdgpu_metadata
---
amdhsa.kernels:
  - .args:
      - .offset:         0
        .size:           3144
        .value_kind:     by_value
      - .offset:         3144
        .size:           1
        .value_kind:     by_value
      - .offset:         3145
        .size:           1
        .value_kind:     by_value
      - .offset:         3152
        .size:           4
        .value_kind:     hidden_block_count_x
      - .offset:         3156
        .size:           4
        .value_kind:     hidden_block_count_y
      - .offset:         3160
        .size:           4
        .value_kind:     hidden_block_count_z
      - .offset:         3164
        .size:           2
        .value_kind:     hidden_group_size_x
      - .offset:         3166
        .size:           2
        .value_kind:     hidden_group_size_y
      - .offset:         3168
        .size:           2
        .value_kind:     hidden_group_size_z
      - .offset:         3170
        .size:           2
        .value_kind:     hidden_remainder_x
      - .offset:         3172
        .size:           2
        .value_kind:     hidden_remainder_y
      - .offset:         3174
        .size:           2
        .value_kind:     hidden_remainder_z
      - .offset:         3192
        .size:           8
        .value_kind:     hidden_global_offset_x
      - .offset:         3200
        .size:           8
        .value_kind:     hidden_global_offset_y
      - .offset:         3208
        .size:           8
        .value_kind:     hidden_global_offset_z
      - .offset:         3216
        .size:           2
        .value_kind:     hidden_grid_dims
    .group_segment_fixed_size: 0
    .kernarg_segment_align: 8
    .kernarg_segment_size: 3408
    .language:       OpenCL C
    .language_version:
      - 2
      - 0
    .max_flat_workgroup_size: 512
    .name:           _ZN2at6native12_GLOBAL__N_125multi_tensor_apply_kernelINS1_18TensorListMetadataILi2EEENS1_14UnaryOpFunctorIdLi2ELi1ELi1EEEJNS0_4ErfcIdEEEEEvT_T0_DpT1_
    .private_segment_fixed_size: 0
    .sgpr_count:     22
    .sgpr_spill_count: 0
    .symbol:         _ZN2at6native12_GLOBAL__N_125multi_tensor_apply_kernelINS1_18TensorListMetadataILi2EEENS1_14UnaryOpFunctorIdLi2ELi1ELi1EEEJNS0_4ErfcIdEEEEEvT_T0_DpT1_.kd
    .uniform_work_group_size: 1
    .uses_dynamic_stack: false
    .vgpr_count:     60
    .vgpr_spill_count: 0
    .wavefront_size: 32
  - .args:
      - .offset:         0
        .size:           3144
        .value_kind:     by_value
      - .offset:         3144
        .size:           1
        .value_kind:     by_value
      - .offset:         3145
        .size:           1
        .value_kind:     by_value
      - .offset:         3152
        .size:           4
        .value_kind:     hidden_block_count_x
      - .offset:         3156
        .size:           4
        .value_kind:     hidden_block_count_y
      - .offset:         3160
        .size:           4
        .value_kind:     hidden_block_count_z
      - .offset:         3164
        .size:           2
        .value_kind:     hidden_group_size_x
      - .offset:         3166
        .size:           2
        .value_kind:     hidden_group_size_y
      - .offset:         3168
        .size:           2
        .value_kind:     hidden_group_size_z
      - .offset:         3170
        .size:           2
        .value_kind:     hidden_remainder_x
      - .offset:         3172
        .size:           2
        .value_kind:     hidden_remainder_y
      - .offset:         3174
        .size:           2
        .value_kind:     hidden_remainder_z
      - .offset:         3192
        .size:           8
        .value_kind:     hidden_global_offset_x
      - .offset:         3200
        .size:           8
        .value_kind:     hidden_global_offset_y
      - .offset:         3208
        .size:           8
        .value_kind:     hidden_global_offset_z
      - .offset:         3216
        .size:           2
        .value_kind:     hidden_grid_dims
    .group_segment_fixed_size: 0
    .kernarg_segment_align: 8
    .kernarg_segment_size: 3408
    .language:       OpenCL C
    .language_version:
      - 2
      - 0
    .max_flat_workgroup_size: 512
    .name:           _ZN2at6native12_GLOBAL__N_125multi_tensor_apply_kernelINS1_18TensorListMetadataILi2EEENS1_14UnaryOpFunctorIfLi2ELi1ELi1EEEJNS0_4ErfcIfEEEEEvT_T0_DpT1_
    .private_segment_fixed_size: 0
    .sgpr_count:     44
    .sgpr_spill_count: 0
    .symbol:         _ZN2at6native12_GLOBAL__N_125multi_tensor_apply_kernelINS1_18TensorListMetadataILi2EEENS1_14UnaryOpFunctorIfLi2ELi1ELi1EEEJNS0_4ErfcIfEEEEEvT_T0_DpT1_.kd
    .uniform_work_group_size: 1
    .uses_dynamic_stack: false
    .vgpr_count:     58
    .vgpr_spill_count: 0
    .wavefront_size: 32
  - .args:
      - .offset:         0
        .size:           3144
        .value_kind:     by_value
      - .offset:         3144
        .size:           1
        .value_kind:     by_value
      - .offset:         3145
        .size:           1
        .value_kind:     by_value
      - .offset:         3152
        .size:           4
        .value_kind:     hidden_block_count_x
      - .offset:         3156
        .size:           4
        .value_kind:     hidden_block_count_y
      - .offset:         3160
        .size:           4
        .value_kind:     hidden_block_count_z
      - .offset:         3164
        .size:           2
        .value_kind:     hidden_group_size_x
      - .offset:         3166
        .size:           2
        .value_kind:     hidden_group_size_y
      - .offset:         3168
        .size:           2
        .value_kind:     hidden_group_size_z
      - .offset:         3170
        .size:           2
        .value_kind:     hidden_remainder_x
      - .offset:         3172
        .size:           2
        .value_kind:     hidden_remainder_y
      - .offset:         3174
        .size:           2
        .value_kind:     hidden_remainder_z
      - .offset:         3192
        .size:           8
        .value_kind:     hidden_global_offset_x
      - .offset:         3200
        .size:           8
        .value_kind:     hidden_global_offset_y
      - .offset:         3208
        .size:           8
        .value_kind:     hidden_global_offset_z
      - .offset:         3216
        .size:           2
        .value_kind:     hidden_grid_dims
    .group_segment_fixed_size: 0
    .kernarg_segment_align: 8
    .kernarg_segment_size: 3408
    .language:       OpenCL C
    .language_version:
      - 2
      - 0
    .max_flat_workgroup_size: 512
    .name:           _ZN2at6native12_GLOBAL__N_125multi_tensor_apply_kernelINS1_18TensorListMetadataILi2EEENS1_14UnaryOpFunctorIN3c104HalfELi2ELi1ELi1EEEJNS0_4ErfcIfEEEEEvT_T0_DpT1_
    .private_segment_fixed_size: 0
    .sgpr_count:     42
    .sgpr_spill_count: 0
    .symbol:         _ZN2at6native12_GLOBAL__N_125multi_tensor_apply_kernelINS1_18TensorListMetadataILi2EEENS1_14UnaryOpFunctorIN3c104HalfELi2ELi1ELi1EEEJNS0_4ErfcIfEEEEEvT_T0_DpT1_.kd
    .uniform_work_group_size: 1
    .uses_dynamic_stack: false
    .vgpr_count:     61
    .vgpr_spill_count: 0
    .wavefront_size: 32
  - .args:
      - .offset:         0
        .size:           3144
        .value_kind:     by_value
      - .offset:         3144
        .size:           1
        .value_kind:     by_value
      - .offset:         3145
        .size:           1
        .value_kind:     by_value
      - .offset:         3152
        .size:           4
        .value_kind:     hidden_block_count_x
      - .offset:         3156
        .size:           4
        .value_kind:     hidden_block_count_y
      - .offset:         3160
        .size:           4
        .value_kind:     hidden_block_count_z
      - .offset:         3164
        .size:           2
        .value_kind:     hidden_group_size_x
      - .offset:         3166
        .size:           2
        .value_kind:     hidden_group_size_y
      - .offset:         3168
        .size:           2
        .value_kind:     hidden_group_size_z
      - .offset:         3170
        .size:           2
        .value_kind:     hidden_remainder_x
      - .offset:         3172
        .size:           2
        .value_kind:     hidden_remainder_y
      - .offset:         3174
        .size:           2
        .value_kind:     hidden_remainder_z
      - .offset:         3192
        .size:           8
        .value_kind:     hidden_global_offset_x
      - .offset:         3200
        .size:           8
        .value_kind:     hidden_global_offset_y
      - .offset:         3208
        .size:           8
        .value_kind:     hidden_global_offset_z
      - .offset:         3216
        .size:           2
        .value_kind:     hidden_grid_dims
    .group_segment_fixed_size: 0
    .kernarg_segment_align: 8
    .kernarg_segment_size: 3408
    .language:       OpenCL C
    .language_version:
      - 2
      - 0
    .max_flat_workgroup_size: 512
    .name:           _ZN2at6native12_GLOBAL__N_125multi_tensor_apply_kernelINS1_18TensorListMetadataILi2EEENS1_14UnaryOpFunctorIN3c108BFloat16ELi2ELi1ELi1EEEJNS0_4ErfcIfEEEEEvT_T0_DpT1_
    .private_segment_fixed_size: 0
    .sgpr_count:     42
    .sgpr_spill_count: 0
    .symbol:         _ZN2at6native12_GLOBAL__N_125multi_tensor_apply_kernelINS1_18TensorListMetadataILi2EEENS1_14UnaryOpFunctorIN3c108BFloat16ELi2ELi1ELi1EEEJNS0_4ErfcIfEEEEEvT_T0_DpT1_.kd
    .uniform_work_group_size: 1
    .uses_dynamic_stack: false
    .vgpr_count:     58
    .vgpr_spill_count: 0
    .wavefront_size: 32
  - .args:
      - .offset:         0
        .size:           3368
        .value_kind:     by_value
      - .offset:         3368
        .size:           1
        .value_kind:     by_value
      - .offset:         3369
        .size:           1
        .value_kind:     by_value
      - .offset:         3376
        .size:           4
        .value_kind:     hidden_block_count_x
      - .offset:         3380
        .size:           4
        .value_kind:     hidden_block_count_y
      - .offset:         3384
        .size:           4
        .value_kind:     hidden_block_count_z
      - .offset:         3388
        .size:           2
        .value_kind:     hidden_group_size_x
      - .offset:         3390
        .size:           2
        .value_kind:     hidden_group_size_y
      - .offset:         3392
        .size:           2
        .value_kind:     hidden_group_size_z
      - .offset:         3394
        .size:           2
        .value_kind:     hidden_remainder_x
      - .offset:         3396
        .size:           2
        .value_kind:     hidden_remainder_y
      - .offset:         3398
        .size:           2
        .value_kind:     hidden_remainder_z
      - .offset:         3416
        .size:           8
        .value_kind:     hidden_global_offset_x
      - .offset:         3424
        .size:           8
        .value_kind:     hidden_global_offset_y
      - .offset:         3432
        .size:           8
        .value_kind:     hidden_global_offset_z
      - .offset:         3440
        .size:           2
        .value_kind:     hidden_grid_dims
    .group_segment_fixed_size: 0
    .kernarg_segment_align: 8
    .kernarg_segment_size: 3632
    .language:       OpenCL C
    .language_version:
      - 2
      - 0
    .max_flat_workgroup_size: 512
    .name:           _ZN2at6native12_GLOBAL__N_125multi_tensor_apply_kernelINS1_18TensorListMetadataILi1EEENS1_14UnaryOpFunctorIdLi1ELi1ELi0EEEJNS0_4ErfcIdEEEEEvT_T0_DpT1_
    .private_segment_fixed_size: 0
    .sgpr_count:     27
    .sgpr_spill_count: 0
    .symbol:         _ZN2at6native12_GLOBAL__N_125multi_tensor_apply_kernelINS1_18TensorListMetadataILi1EEENS1_14UnaryOpFunctorIdLi1ELi1ELi0EEEJNS0_4ErfcIdEEEEEvT_T0_DpT1_.kd
    .uniform_work_group_size: 1
    .uses_dynamic_stack: false
    .vgpr_count:     52
    .vgpr_spill_count: 0
    .wavefront_size: 32
  - .args:
      - .offset:         0
        .size:           3368
        .value_kind:     by_value
      - .offset:         3368
        .size:           1
        .value_kind:     by_value
      - .offset:         3369
        .size:           1
        .value_kind:     by_value
      - .offset:         3376
        .size:           4
        .value_kind:     hidden_block_count_x
      - .offset:         3380
        .size:           4
        .value_kind:     hidden_block_count_y
      - .offset:         3384
        .size:           4
        .value_kind:     hidden_block_count_z
      - .offset:         3388
        .size:           2
        .value_kind:     hidden_group_size_x
      - .offset:         3390
        .size:           2
        .value_kind:     hidden_group_size_y
      - .offset:         3392
        .size:           2
        .value_kind:     hidden_group_size_z
      - .offset:         3394
        .size:           2
        .value_kind:     hidden_remainder_x
      - .offset:         3396
        .size:           2
        .value_kind:     hidden_remainder_y
      - .offset:         3398
        .size:           2
        .value_kind:     hidden_remainder_z
      - .offset:         3416
        .size:           8
        .value_kind:     hidden_global_offset_x
      - .offset:         3424
        .size:           8
        .value_kind:     hidden_global_offset_y
      - .offset:         3432
        .size:           8
        .value_kind:     hidden_global_offset_z
      - .offset:         3440
        .size:           2
        .value_kind:     hidden_grid_dims
    .group_segment_fixed_size: 0
    .kernarg_segment_align: 8
    .kernarg_segment_size: 3632
    .language:       OpenCL C
    .language_version:
      - 2
      - 0
    .max_flat_workgroup_size: 512
    .name:           _ZN2at6native12_GLOBAL__N_125multi_tensor_apply_kernelINS1_18TensorListMetadataILi1EEENS1_14UnaryOpFunctorIfLi1ELi1ELi0EEEJNS0_4ErfcIfEEEEEvT_T0_DpT1_
    .private_segment_fixed_size: 0
    .sgpr_count:     26
    .sgpr_spill_count: 0
    .symbol:         _ZN2at6native12_GLOBAL__N_125multi_tensor_apply_kernelINS1_18TensorListMetadataILi1EEENS1_14UnaryOpFunctorIfLi1ELi1ELi0EEEJNS0_4ErfcIfEEEEEvT_T0_DpT1_.kd
    .uniform_work_group_size: 1
    .uses_dynamic_stack: false
    .vgpr_count:     54
    .vgpr_spill_count: 0
    .wavefront_size: 32
  - .args:
      - .offset:         0
        .size:           3368
        .value_kind:     by_value
      - .offset:         3368
        .size:           1
        .value_kind:     by_value
      - .offset:         3369
        .size:           1
        .value_kind:     by_value
      - .offset:         3376
        .size:           4
        .value_kind:     hidden_block_count_x
      - .offset:         3380
        .size:           4
        .value_kind:     hidden_block_count_y
      - .offset:         3384
        .size:           4
        .value_kind:     hidden_block_count_z
      - .offset:         3388
        .size:           2
        .value_kind:     hidden_group_size_x
      - .offset:         3390
        .size:           2
        .value_kind:     hidden_group_size_y
      - .offset:         3392
        .size:           2
        .value_kind:     hidden_group_size_z
      - .offset:         3394
        .size:           2
        .value_kind:     hidden_remainder_x
      - .offset:         3396
        .size:           2
        .value_kind:     hidden_remainder_y
      - .offset:         3398
        .size:           2
        .value_kind:     hidden_remainder_z
      - .offset:         3416
        .size:           8
        .value_kind:     hidden_global_offset_x
      - .offset:         3424
        .size:           8
        .value_kind:     hidden_global_offset_y
      - .offset:         3432
        .size:           8
        .value_kind:     hidden_global_offset_z
      - .offset:         3440
        .size:           2
        .value_kind:     hidden_grid_dims
    .group_segment_fixed_size: 0
    .kernarg_segment_align: 8
    .kernarg_segment_size: 3632
    .language:       OpenCL C
    .language_version:
      - 2
      - 0
    .max_flat_workgroup_size: 512
    .name:           _ZN2at6native12_GLOBAL__N_125multi_tensor_apply_kernelINS1_18TensorListMetadataILi1EEENS1_14UnaryOpFunctorIN3c104HalfELi1ELi1ELi0EEEJNS0_4ErfcIfEEEEEvT_T0_DpT1_
    .private_segment_fixed_size: 0
    .sgpr_count:     26
    .sgpr_spill_count: 0
    .symbol:         _ZN2at6native12_GLOBAL__N_125multi_tensor_apply_kernelINS1_18TensorListMetadataILi1EEENS1_14UnaryOpFunctorIN3c104HalfELi1ELi1ELi0EEEJNS0_4ErfcIfEEEEEvT_T0_DpT1_.kd
    .uniform_work_group_size: 1
    .uses_dynamic_stack: false
    .vgpr_count:     56
    .vgpr_spill_count: 0
    .wavefront_size: 32
  - .args:
      - .offset:         0
        .size:           3368
        .value_kind:     by_value
      - .offset:         3368
        .size:           1
        .value_kind:     by_value
      - .offset:         3369
        .size:           1
        .value_kind:     by_value
      - .offset:         3376
        .size:           4
        .value_kind:     hidden_block_count_x
      - .offset:         3380
        .size:           4
        .value_kind:     hidden_block_count_y
      - .offset:         3384
        .size:           4
        .value_kind:     hidden_block_count_z
      - .offset:         3388
        .size:           2
        .value_kind:     hidden_group_size_x
      - .offset:         3390
        .size:           2
        .value_kind:     hidden_group_size_y
      - .offset:         3392
        .size:           2
        .value_kind:     hidden_group_size_z
      - .offset:         3394
        .size:           2
        .value_kind:     hidden_remainder_x
      - .offset:         3396
        .size:           2
        .value_kind:     hidden_remainder_y
      - .offset:         3398
        .size:           2
        .value_kind:     hidden_remainder_z
      - .offset:         3416
        .size:           8
        .value_kind:     hidden_global_offset_x
      - .offset:         3424
        .size:           8
        .value_kind:     hidden_global_offset_y
      - .offset:         3432
        .size:           8
        .value_kind:     hidden_global_offset_z
      - .offset:         3440
        .size:           2
        .value_kind:     hidden_grid_dims
    .group_segment_fixed_size: 0
    .kernarg_segment_align: 8
    .kernarg_segment_size: 3632
    .language:       OpenCL C
    .language_version:
      - 2
      - 0
    .max_flat_workgroup_size: 512
    .name:           _ZN2at6native12_GLOBAL__N_125multi_tensor_apply_kernelINS1_18TensorListMetadataILi1EEENS1_14UnaryOpFunctorIN3c108BFloat16ELi1ELi1ELi0EEEJNS0_4ErfcIfEEEEEvT_T0_DpT1_
    .private_segment_fixed_size: 0
    .sgpr_count:     26
    .sgpr_spill_count: 0
    .symbol:         _ZN2at6native12_GLOBAL__N_125multi_tensor_apply_kernelINS1_18TensorListMetadataILi1EEENS1_14UnaryOpFunctorIN3c108BFloat16ELi1ELi1ELi0EEEJNS0_4ErfcIfEEEEEvT_T0_DpT1_.kd
    .uniform_work_group_size: 1
    .uses_dynamic_stack: false
    .vgpr_count:     50
    .vgpr_spill_count: 0
    .wavefront_size: 32
  - .args:
      - .offset:         0
        .size:           3144
        .value_kind:     by_value
      - .offset:         3144
        .size:           1
        .value_kind:     by_value
      - .offset:         3145
        .size:           1
        .value_kind:     by_value
      - .offset:         3152
        .size:           4
        .value_kind:     hidden_block_count_x
      - .offset:         3156
        .size:           4
        .value_kind:     hidden_block_count_y
      - .offset:         3160
        .size:           4
        .value_kind:     hidden_block_count_z
      - .offset:         3164
        .size:           2
        .value_kind:     hidden_group_size_x
      - .offset:         3166
        .size:           2
        .value_kind:     hidden_group_size_y
      - .offset:         3168
        .size:           2
        .value_kind:     hidden_group_size_z
      - .offset:         3170
        .size:           2
        .value_kind:     hidden_remainder_x
      - .offset:         3172
        .size:           2
        .value_kind:     hidden_remainder_y
      - .offset:         3174
        .size:           2
        .value_kind:     hidden_remainder_z
      - .offset:         3192
        .size:           8
        .value_kind:     hidden_global_offset_x
      - .offset:         3200
        .size:           8
        .value_kind:     hidden_global_offset_y
      - .offset:         3208
        .size:           8
        .value_kind:     hidden_global_offset_z
      - .offset:         3216
        .size:           2
        .value_kind:     hidden_grid_dims
    .group_segment_fixed_size: 0
    .kernarg_segment_align: 8
    .kernarg_segment_size: 3408
    .language:       OpenCL C
    .language_version:
      - 2
      - 0
    .max_flat_workgroup_size: 512
    .name:           _ZN2at6native12_GLOBAL__N_125multi_tensor_apply_kernelINS1_18TensorListMetadataILi2EEENS1_14UnaryOpFunctorIdLi2ELi1ELi1EEEJNS0_6LgammaIdEEEEEvT_T0_DpT1_
    .private_segment_fixed_size: 0
    .sgpr_count:     55
    .sgpr_spill_count: 0
    .symbol:         _ZN2at6native12_GLOBAL__N_125multi_tensor_apply_kernelINS1_18TensorListMetadataILi2EEENS1_14UnaryOpFunctorIdLi2ELi1ELi1EEEJNS0_6LgammaIdEEEEEvT_T0_DpT1_.kd
    .uniform_work_group_size: 1
    .uses_dynamic_stack: false
    .vgpr_count:     108
    .vgpr_spill_count: 0
    .wavefront_size: 32
  - .args:
      - .offset:         0
        .size:           3144
        .value_kind:     by_value
      - .offset:         3144
        .size:           1
        .value_kind:     by_value
      - .offset:         3145
        .size:           1
        .value_kind:     by_value
      - .offset:         3152
        .size:           4
        .value_kind:     hidden_block_count_x
      - .offset:         3156
        .size:           4
        .value_kind:     hidden_block_count_y
      - .offset:         3160
        .size:           4
        .value_kind:     hidden_block_count_z
      - .offset:         3164
        .size:           2
        .value_kind:     hidden_group_size_x
      - .offset:         3166
        .size:           2
        .value_kind:     hidden_group_size_y
      - .offset:         3168
        .size:           2
        .value_kind:     hidden_group_size_z
      - .offset:         3170
        .size:           2
        .value_kind:     hidden_remainder_x
      - .offset:         3172
        .size:           2
        .value_kind:     hidden_remainder_y
      - .offset:         3174
        .size:           2
        .value_kind:     hidden_remainder_z
      - .offset:         3192
        .size:           8
        .value_kind:     hidden_global_offset_x
      - .offset:         3200
        .size:           8
        .value_kind:     hidden_global_offset_y
      - .offset:         3208
        .size:           8
        .value_kind:     hidden_global_offset_z
      - .offset:         3216
        .size:           2
        .value_kind:     hidden_grid_dims
    .group_segment_fixed_size: 0
    .kernarg_segment_align: 8
    .kernarg_segment_size: 3408
    .language:       OpenCL C
    .language_version:
      - 2
      - 0
    .max_flat_workgroup_size: 512
    .name:           _ZN2at6native12_GLOBAL__N_125multi_tensor_apply_kernelINS1_18TensorListMetadataILi2EEENS1_14UnaryOpFunctorIfLi2ELi1ELi1EEEJNS0_6LgammaIfEEEEEvT_T0_DpT1_
    .private_segment_fixed_size: 0
    .sgpr_count:     40
    .sgpr_spill_count: 0
    .symbol:         _ZN2at6native12_GLOBAL__N_125multi_tensor_apply_kernelINS1_18TensorListMetadataILi2EEENS1_14UnaryOpFunctorIfLi2ELi1ELi1EEEJNS0_6LgammaIfEEEEEvT_T0_DpT1_.kd
    .uniform_work_group_size: 1
    .uses_dynamic_stack: false
    .vgpr_count:     45
    .vgpr_spill_count: 0
    .wavefront_size: 32
  - .args:
      - .offset:         0
        .size:           3144
        .value_kind:     by_value
      - .offset:         3144
        .size:           1
        .value_kind:     by_value
      - .offset:         3145
        .size:           1
        .value_kind:     by_value
      - .offset:         3152
        .size:           4
        .value_kind:     hidden_block_count_x
      - .offset:         3156
        .size:           4
        .value_kind:     hidden_block_count_y
      - .offset:         3160
        .size:           4
        .value_kind:     hidden_block_count_z
      - .offset:         3164
        .size:           2
        .value_kind:     hidden_group_size_x
      - .offset:         3166
        .size:           2
        .value_kind:     hidden_group_size_y
      - .offset:         3168
        .size:           2
        .value_kind:     hidden_group_size_z
      - .offset:         3170
        .size:           2
        .value_kind:     hidden_remainder_x
      - .offset:         3172
        .size:           2
        .value_kind:     hidden_remainder_y
      - .offset:         3174
        .size:           2
        .value_kind:     hidden_remainder_z
      - .offset:         3192
        .size:           8
        .value_kind:     hidden_global_offset_x
      - .offset:         3200
        .size:           8
        .value_kind:     hidden_global_offset_y
      - .offset:         3208
        .size:           8
        .value_kind:     hidden_global_offset_z
      - .offset:         3216
        .size:           2
        .value_kind:     hidden_grid_dims
    .group_segment_fixed_size: 0
    .kernarg_segment_align: 8
    .kernarg_segment_size: 3408
    .language:       OpenCL C
    .language_version:
      - 2
      - 0
    .max_flat_workgroup_size: 512
    .name:           _ZN2at6native12_GLOBAL__N_125multi_tensor_apply_kernelINS1_18TensorListMetadataILi2EEENS1_14UnaryOpFunctorIN3c104HalfELi2ELi1ELi1EEEJNS0_6LgammaIfEEEEEvT_T0_DpT1_
    .private_segment_fixed_size: 0
    .sgpr_count:     40
    .sgpr_spill_count: 0
    .symbol:         _ZN2at6native12_GLOBAL__N_125multi_tensor_apply_kernelINS1_18TensorListMetadataILi2EEENS1_14UnaryOpFunctorIN3c104HalfELi2ELi1ELi1EEEJNS0_6LgammaIfEEEEEvT_T0_DpT1_.kd
    .uniform_work_group_size: 1
    .uses_dynamic_stack: false
    .vgpr_count:     49
    .vgpr_spill_count: 0
    .wavefront_size: 32
  - .args:
      - .offset:         0
        .size:           3144
        .value_kind:     by_value
      - .offset:         3144
        .size:           1
        .value_kind:     by_value
      - .offset:         3145
        .size:           1
        .value_kind:     by_value
      - .offset:         3152
        .size:           4
        .value_kind:     hidden_block_count_x
      - .offset:         3156
        .size:           4
        .value_kind:     hidden_block_count_y
      - .offset:         3160
        .size:           4
        .value_kind:     hidden_block_count_z
      - .offset:         3164
        .size:           2
        .value_kind:     hidden_group_size_x
      - .offset:         3166
        .size:           2
        .value_kind:     hidden_group_size_y
      - .offset:         3168
        .size:           2
        .value_kind:     hidden_group_size_z
      - .offset:         3170
        .size:           2
        .value_kind:     hidden_remainder_x
      - .offset:         3172
        .size:           2
        .value_kind:     hidden_remainder_y
      - .offset:         3174
        .size:           2
        .value_kind:     hidden_remainder_z
      - .offset:         3192
        .size:           8
        .value_kind:     hidden_global_offset_x
      - .offset:         3200
        .size:           8
        .value_kind:     hidden_global_offset_y
      - .offset:         3208
        .size:           8
        .value_kind:     hidden_global_offset_z
      - .offset:         3216
        .size:           2
        .value_kind:     hidden_grid_dims
    .group_segment_fixed_size: 0
    .kernarg_segment_align: 8
    .kernarg_segment_size: 3408
    .language:       OpenCL C
    .language_version:
      - 2
      - 0
    .max_flat_workgroup_size: 512
    .name:           _ZN2at6native12_GLOBAL__N_125multi_tensor_apply_kernelINS1_18TensorListMetadataILi2EEENS1_14UnaryOpFunctorIN3c108BFloat16ELi2ELi1ELi1EEEJNS0_6LgammaIfEEEEEvT_T0_DpT1_
    .private_segment_fixed_size: 0
    .sgpr_count:     40
    .sgpr_spill_count: 0
    .symbol:         _ZN2at6native12_GLOBAL__N_125multi_tensor_apply_kernelINS1_18TensorListMetadataILi2EEENS1_14UnaryOpFunctorIN3c108BFloat16ELi2ELi1ELi1EEEJNS0_6LgammaIfEEEEEvT_T0_DpT1_.kd
    .uniform_work_group_size: 1
    .uses_dynamic_stack: false
    .vgpr_count:     45
    .vgpr_spill_count: 0
    .wavefront_size: 32
  - .args:
      - .offset:         0
        .size:           3368
        .value_kind:     by_value
      - .offset:         3368
        .size:           1
        .value_kind:     by_value
      - .offset:         3369
        .size:           1
        .value_kind:     by_value
      - .offset:         3376
        .size:           4
        .value_kind:     hidden_block_count_x
      - .offset:         3380
        .size:           4
        .value_kind:     hidden_block_count_y
      - .offset:         3384
        .size:           4
        .value_kind:     hidden_block_count_z
      - .offset:         3388
        .size:           2
        .value_kind:     hidden_group_size_x
      - .offset:         3390
        .size:           2
        .value_kind:     hidden_group_size_y
      - .offset:         3392
        .size:           2
        .value_kind:     hidden_group_size_z
      - .offset:         3394
        .size:           2
        .value_kind:     hidden_remainder_x
      - .offset:         3396
        .size:           2
        .value_kind:     hidden_remainder_y
      - .offset:         3398
        .size:           2
        .value_kind:     hidden_remainder_z
      - .offset:         3416
        .size:           8
        .value_kind:     hidden_global_offset_x
      - .offset:         3424
        .size:           8
        .value_kind:     hidden_global_offset_y
      - .offset:         3432
        .size:           8
        .value_kind:     hidden_global_offset_z
      - .offset:         3440
        .size:           2
        .value_kind:     hidden_grid_dims
    .group_segment_fixed_size: 0
    .kernarg_segment_align: 8
    .kernarg_segment_size: 3632
    .language:       OpenCL C
    .language_version:
      - 2
      - 0
    .max_flat_workgroup_size: 512
    .name:           _ZN2at6native12_GLOBAL__N_125multi_tensor_apply_kernelINS1_18TensorListMetadataILi1EEENS1_14UnaryOpFunctorIdLi1ELi1ELi0EEEJNS0_6LgammaIdEEEEEvT_T0_DpT1_
    .private_segment_fixed_size: 0
    .sgpr_count:     51
    .sgpr_spill_count: 0
    .symbol:         _ZN2at6native12_GLOBAL__N_125multi_tensor_apply_kernelINS1_18TensorListMetadataILi1EEENS1_14UnaryOpFunctorIdLi1ELi1ELi0EEEJNS0_6LgammaIdEEEEEvT_T0_DpT1_.kd
    .uniform_work_group_size: 1
    .uses_dynamic_stack: false
    .vgpr_count:     98
    .vgpr_spill_count: 0
    .wavefront_size: 32
  - .args:
      - .offset:         0
        .size:           3368
        .value_kind:     by_value
      - .offset:         3368
        .size:           1
        .value_kind:     by_value
      - .offset:         3369
        .size:           1
        .value_kind:     by_value
      - .offset:         3376
        .size:           4
        .value_kind:     hidden_block_count_x
      - .offset:         3380
        .size:           4
        .value_kind:     hidden_block_count_y
      - .offset:         3384
        .size:           4
        .value_kind:     hidden_block_count_z
      - .offset:         3388
        .size:           2
        .value_kind:     hidden_group_size_x
      - .offset:         3390
        .size:           2
        .value_kind:     hidden_group_size_y
      - .offset:         3392
        .size:           2
        .value_kind:     hidden_group_size_z
      - .offset:         3394
        .size:           2
        .value_kind:     hidden_remainder_x
      - .offset:         3396
        .size:           2
        .value_kind:     hidden_remainder_y
      - .offset:         3398
        .size:           2
        .value_kind:     hidden_remainder_z
      - .offset:         3416
        .size:           8
        .value_kind:     hidden_global_offset_x
      - .offset:         3424
        .size:           8
        .value_kind:     hidden_global_offset_y
      - .offset:         3432
        .size:           8
        .value_kind:     hidden_global_offset_z
      - .offset:         3440
        .size:           2
        .value_kind:     hidden_grid_dims
    .group_segment_fixed_size: 0
    .kernarg_segment_align: 8
    .kernarg_segment_size: 3632
    .language:       OpenCL C
    .language_version:
      - 2
      - 0
    .max_flat_workgroup_size: 512
    .name:           _ZN2at6native12_GLOBAL__N_125multi_tensor_apply_kernelINS1_18TensorListMetadataILi1EEENS1_14UnaryOpFunctorIfLi1ELi1ELi0EEEJNS0_6LgammaIfEEEEEvT_T0_DpT1_
    .private_segment_fixed_size: 0
    .sgpr_count:     46
    .sgpr_spill_count: 0
    .symbol:         _ZN2at6native12_GLOBAL__N_125multi_tensor_apply_kernelINS1_18TensorListMetadataILi1EEENS1_14UnaryOpFunctorIfLi1ELi1ELi0EEEJNS0_6LgammaIfEEEEEvT_T0_DpT1_.kd
    .uniform_work_group_size: 1
    .uses_dynamic_stack: false
    .vgpr_count:     37
    .vgpr_spill_count: 0
    .wavefront_size: 32
  - .args:
      - .offset:         0
        .size:           3368
        .value_kind:     by_value
      - .offset:         3368
        .size:           1
        .value_kind:     by_value
      - .offset:         3369
        .size:           1
        .value_kind:     by_value
      - .offset:         3376
        .size:           4
        .value_kind:     hidden_block_count_x
      - .offset:         3380
        .size:           4
        .value_kind:     hidden_block_count_y
      - .offset:         3384
        .size:           4
        .value_kind:     hidden_block_count_z
      - .offset:         3388
        .size:           2
        .value_kind:     hidden_group_size_x
      - .offset:         3390
        .size:           2
        .value_kind:     hidden_group_size_y
      - .offset:         3392
        .size:           2
        .value_kind:     hidden_group_size_z
      - .offset:         3394
        .size:           2
        .value_kind:     hidden_remainder_x
      - .offset:         3396
        .size:           2
        .value_kind:     hidden_remainder_y
      - .offset:         3398
        .size:           2
        .value_kind:     hidden_remainder_z
      - .offset:         3416
        .size:           8
        .value_kind:     hidden_global_offset_x
      - .offset:         3424
        .size:           8
        .value_kind:     hidden_global_offset_y
      - .offset:         3432
        .size:           8
        .value_kind:     hidden_global_offset_z
      - .offset:         3440
        .size:           2
        .value_kind:     hidden_grid_dims
    .group_segment_fixed_size: 0
    .kernarg_segment_align: 8
    .kernarg_segment_size: 3632
    .language:       OpenCL C
    .language_version:
      - 2
      - 0
    .max_flat_workgroup_size: 512
    .name:           _ZN2at6native12_GLOBAL__N_125multi_tensor_apply_kernelINS1_18TensorListMetadataILi1EEENS1_14UnaryOpFunctorIN3c104HalfELi1ELi1ELi0EEEJNS0_6LgammaIfEEEEEvT_T0_DpT1_
    .private_segment_fixed_size: 0
    .sgpr_count:     44
    .sgpr_spill_count: 0
    .symbol:         _ZN2at6native12_GLOBAL__N_125multi_tensor_apply_kernelINS1_18TensorListMetadataILi1EEENS1_14UnaryOpFunctorIN3c104HalfELi1ELi1ELi0EEEJNS0_6LgammaIfEEEEEvT_T0_DpT1_.kd
    .uniform_work_group_size: 1
    .uses_dynamic_stack: false
    .vgpr_count:     41
    .vgpr_spill_count: 0
    .wavefront_size: 32
  - .args:
      - .offset:         0
        .size:           3368
        .value_kind:     by_value
      - .offset:         3368
        .size:           1
        .value_kind:     by_value
      - .offset:         3369
        .size:           1
        .value_kind:     by_value
      - .offset:         3376
        .size:           4
        .value_kind:     hidden_block_count_x
      - .offset:         3380
        .size:           4
        .value_kind:     hidden_block_count_y
      - .offset:         3384
        .size:           4
        .value_kind:     hidden_block_count_z
      - .offset:         3388
        .size:           2
        .value_kind:     hidden_group_size_x
      - .offset:         3390
        .size:           2
        .value_kind:     hidden_group_size_y
      - .offset:         3392
        .size:           2
        .value_kind:     hidden_group_size_z
      - .offset:         3394
        .size:           2
        .value_kind:     hidden_remainder_x
      - .offset:         3396
        .size:           2
        .value_kind:     hidden_remainder_y
      - .offset:         3398
        .size:           2
        .value_kind:     hidden_remainder_z
      - .offset:         3416
        .size:           8
        .value_kind:     hidden_global_offset_x
      - .offset:         3424
        .size:           8
        .value_kind:     hidden_global_offset_y
      - .offset:         3432
        .size:           8
        .value_kind:     hidden_global_offset_z
      - .offset:         3440
        .size:           2
        .value_kind:     hidden_grid_dims
    .group_segment_fixed_size: 0
    .kernarg_segment_align: 8
    .kernarg_segment_size: 3632
    .language:       OpenCL C
    .language_version:
      - 2
      - 0
    .max_flat_workgroup_size: 512
    .name:           _ZN2at6native12_GLOBAL__N_125multi_tensor_apply_kernelINS1_18TensorListMetadataILi1EEENS1_14UnaryOpFunctorIN3c108BFloat16ELi1ELi1ELi0EEEJNS0_6LgammaIfEEEEEvT_T0_DpT1_
    .private_segment_fixed_size: 0
    .sgpr_count:     44
    .sgpr_spill_count: 0
    .symbol:         _ZN2at6native12_GLOBAL__N_125multi_tensor_apply_kernelINS1_18TensorListMetadataILi1EEENS1_14UnaryOpFunctorIN3c108BFloat16ELi1ELi1ELi0EEEJNS0_6LgammaIfEEEEEvT_T0_DpT1_.kd
    .uniform_work_group_size: 1
    .uses_dynamic_stack: false
    .vgpr_count:     37
    .vgpr_spill_count: 0
    .wavefront_size: 32
  - .args:
      - .offset:         0
        .size:           3144
        .value_kind:     by_value
      - .offset:         3144
        .size:           1
        .value_kind:     by_value
      - .offset:         3145
        .size:           1
        .value_kind:     by_value
      - .offset:         3152
        .size:           4
        .value_kind:     hidden_block_count_x
      - .offset:         3156
        .size:           4
        .value_kind:     hidden_block_count_y
      - .offset:         3160
        .size:           4
        .value_kind:     hidden_block_count_z
      - .offset:         3164
        .size:           2
        .value_kind:     hidden_group_size_x
      - .offset:         3166
        .size:           2
        .value_kind:     hidden_group_size_y
      - .offset:         3168
        .size:           2
        .value_kind:     hidden_group_size_z
      - .offset:         3170
        .size:           2
        .value_kind:     hidden_remainder_x
      - .offset:         3172
        .size:           2
        .value_kind:     hidden_remainder_y
      - .offset:         3174
        .size:           2
        .value_kind:     hidden_remainder_z
      - .offset:         3192
        .size:           8
        .value_kind:     hidden_global_offset_x
      - .offset:         3200
        .size:           8
        .value_kind:     hidden_global_offset_y
      - .offset:         3208
        .size:           8
        .value_kind:     hidden_global_offset_z
      - .offset:         3216
        .size:           2
        .value_kind:     hidden_grid_dims
    .group_segment_fixed_size: 0
    .kernarg_segment_align: 8
    .kernarg_segment_size: 3408
    .language:       OpenCL C
    .language_version:
      - 2
      - 0
    .max_flat_workgroup_size: 512
    .name:           _ZN2at6native12_GLOBAL__N_125multi_tensor_apply_kernelINS1_18TensorListMetadataILi2EEENS1_14UnaryOpFunctorIdLi2ELi1ELi1EEEJNS0_6TruncfIdEEEEEvT_T0_DpT1_
    .private_segment_fixed_size: 0
    .sgpr_count:     22
    .sgpr_spill_count: 0
    .symbol:         _ZN2at6native12_GLOBAL__N_125multi_tensor_apply_kernelINS1_18TensorListMetadataILi2EEENS1_14UnaryOpFunctorIdLi2ELi1ELi1EEEJNS0_6TruncfIdEEEEEvT_T0_DpT1_.kd
    .uniform_work_group_size: 1
    .uses_dynamic_stack: false
    .vgpr_count:     38
    .vgpr_spill_count: 0
    .wavefront_size: 32
  - .args:
      - .offset:         0
        .size:           3144
        .value_kind:     by_value
      - .offset:         3144
        .size:           1
        .value_kind:     by_value
      - .offset:         3145
        .size:           1
        .value_kind:     by_value
      - .offset:         3152
        .size:           4
        .value_kind:     hidden_block_count_x
      - .offset:         3156
        .size:           4
        .value_kind:     hidden_block_count_y
      - .offset:         3160
        .size:           4
        .value_kind:     hidden_block_count_z
      - .offset:         3164
        .size:           2
        .value_kind:     hidden_group_size_x
      - .offset:         3166
        .size:           2
        .value_kind:     hidden_group_size_y
      - .offset:         3168
        .size:           2
        .value_kind:     hidden_group_size_z
      - .offset:         3170
        .size:           2
        .value_kind:     hidden_remainder_x
      - .offset:         3172
        .size:           2
        .value_kind:     hidden_remainder_y
      - .offset:         3174
        .size:           2
        .value_kind:     hidden_remainder_z
      - .offset:         3192
        .size:           8
        .value_kind:     hidden_global_offset_x
      - .offset:         3200
        .size:           8
        .value_kind:     hidden_global_offset_y
      - .offset:         3208
        .size:           8
        .value_kind:     hidden_global_offset_z
      - .offset:         3216
        .size:           2
        .value_kind:     hidden_grid_dims
    .group_segment_fixed_size: 0
    .kernarg_segment_align: 8
    .kernarg_segment_size: 3408
    .language:       OpenCL C
    .language_version:
      - 2
      - 0
    .max_flat_workgroup_size: 512
    .name:           _ZN2at6native12_GLOBAL__N_125multi_tensor_apply_kernelINS1_18TensorListMetadataILi2EEENS1_14UnaryOpFunctorIfLi2ELi1ELi1EEEJNS0_6TruncfIfEEEEEvT_T0_DpT1_
    .private_segment_fixed_size: 0
    .sgpr_count:     22
    .sgpr_spill_count: 0
    .symbol:         _ZN2at6native12_GLOBAL__N_125multi_tensor_apply_kernelINS1_18TensorListMetadataILi2EEENS1_14UnaryOpFunctorIfLi2ELi1ELi1EEEJNS0_6TruncfIfEEEEEvT_T0_DpT1_.kd
    .uniform_work_group_size: 1
    .uses_dynamic_stack: false
    .vgpr_count:     34
    .vgpr_spill_count: 0
    .wavefront_size: 32
  - .args:
      - .offset:         0
        .size:           3144
        .value_kind:     by_value
      - .offset:         3144
        .size:           1
        .value_kind:     by_value
      - .offset:         3145
        .size:           1
        .value_kind:     by_value
      - .offset:         3152
        .size:           4
        .value_kind:     hidden_block_count_x
      - .offset:         3156
        .size:           4
        .value_kind:     hidden_block_count_y
      - .offset:         3160
        .size:           4
        .value_kind:     hidden_block_count_z
      - .offset:         3164
        .size:           2
        .value_kind:     hidden_group_size_x
      - .offset:         3166
        .size:           2
        .value_kind:     hidden_group_size_y
      - .offset:         3168
        .size:           2
        .value_kind:     hidden_group_size_z
      - .offset:         3170
        .size:           2
        .value_kind:     hidden_remainder_x
      - .offset:         3172
        .size:           2
        .value_kind:     hidden_remainder_y
      - .offset:         3174
        .size:           2
        .value_kind:     hidden_remainder_z
      - .offset:         3192
        .size:           8
        .value_kind:     hidden_global_offset_x
      - .offset:         3200
        .size:           8
        .value_kind:     hidden_global_offset_y
      - .offset:         3208
        .size:           8
        .value_kind:     hidden_global_offset_z
      - .offset:         3216
        .size:           2
        .value_kind:     hidden_grid_dims
    .group_segment_fixed_size: 0
    .kernarg_segment_align: 8
    .kernarg_segment_size: 3408
    .language:       OpenCL C
    .language_version:
      - 2
      - 0
    .max_flat_workgroup_size: 512
    .name:           _ZN2at6native12_GLOBAL__N_125multi_tensor_apply_kernelINS1_18TensorListMetadataILi2EEENS1_14UnaryOpFunctorIN3c104HalfELi2ELi1ELi1EEEJNS0_6TruncfIfEEEEEvT_T0_DpT1_
    .private_segment_fixed_size: 0
    .sgpr_count:     22
    .sgpr_spill_count: 0
    .symbol:         _ZN2at6native12_GLOBAL__N_125multi_tensor_apply_kernelINS1_18TensorListMetadataILi2EEENS1_14UnaryOpFunctorIN3c104HalfELi2ELi1ELi1EEEJNS0_6TruncfIfEEEEEvT_T0_DpT1_.kd
    .uniform_work_group_size: 1
    .uses_dynamic_stack: false
    .vgpr_count:     34
    .vgpr_spill_count: 0
    .wavefront_size: 32
  - .args:
      - .offset:         0
        .size:           3144
        .value_kind:     by_value
      - .offset:         3144
        .size:           1
        .value_kind:     by_value
      - .offset:         3145
        .size:           1
        .value_kind:     by_value
      - .offset:         3152
        .size:           4
        .value_kind:     hidden_block_count_x
      - .offset:         3156
        .size:           4
        .value_kind:     hidden_block_count_y
      - .offset:         3160
        .size:           4
        .value_kind:     hidden_block_count_z
      - .offset:         3164
        .size:           2
        .value_kind:     hidden_group_size_x
      - .offset:         3166
        .size:           2
        .value_kind:     hidden_group_size_y
      - .offset:         3168
        .size:           2
        .value_kind:     hidden_group_size_z
      - .offset:         3170
        .size:           2
        .value_kind:     hidden_remainder_x
      - .offset:         3172
        .size:           2
        .value_kind:     hidden_remainder_y
      - .offset:         3174
        .size:           2
        .value_kind:     hidden_remainder_z
      - .offset:         3192
        .size:           8
        .value_kind:     hidden_global_offset_x
      - .offset:         3200
        .size:           8
        .value_kind:     hidden_global_offset_y
      - .offset:         3208
        .size:           8
        .value_kind:     hidden_global_offset_z
      - .offset:         3216
        .size:           2
        .value_kind:     hidden_grid_dims
    .group_segment_fixed_size: 0
    .kernarg_segment_align: 8
    .kernarg_segment_size: 3408
    .language:       OpenCL C
    .language_version:
      - 2
      - 0
    .max_flat_workgroup_size: 512
    .name:           _ZN2at6native12_GLOBAL__N_125multi_tensor_apply_kernelINS1_18TensorListMetadataILi2EEENS1_14UnaryOpFunctorIN3c108BFloat16ELi2ELi1ELi1EEEJNS0_6TruncfIfEEEEEvT_T0_DpT1_
    .private_segment_fixed_size: 0
    .sgpr_count:     22
    .sgpr_spill_count: 0
    .symbol:         _ZN2at6native12_GLOBAL__N_125multi_tensor_apply_kernelINS1_18TensorListMetadataILi2EEENS1_14UnaryOpFunctorIN3c108BFloat16ELi2ELi1ELi1EEEJNS0_6TruncfIfEEEEEvT_T0_DpT1_.kd
    .uniform_work_group_size: 1
    .uses_dynamic_stack: false
    .vgpr_count:     35
    .vgpr_spill_count: 0
    .wavefront_size: 32
  - .args:
      - .offset:         0
        .size:           3368
        .value_kind:     by_value
      - .offset:         3368
        .size:           1
        .value_kind:     by_value
      - .offset:         3369
        .size:           1
        .value_kind:     by_value
      - .offset:         3376
        .size:           4
        .value_kind:     hidden_block_count_x
      - .offset:         3380
        .size:           4
        .value_kind:     hidden_block_count_y
      - .offset:         3384
        .size:           4
        .value_kind:     hidden_block_count_z
      - .offset:         3388
        .size:           2
        .value_kind:     hidden_group_size_x
      - .offset:         3390
        .size:           2
        .value_kind:     hidden_group_size_y
      - .offset:         3392
        .size:           2
        .value_kind:     hidden_group_size_z
      - .offset:         3394
        .size:           2
        .value_kind:     hidden_remainder_x
      - .offset:         3396
        .size:           2
        .value_kind:     hidden_remainder_y
      - .offset:         3398
        .size:           2
        .value_kind:     hidden_remainder_z
      - .offset:         3416
        .size:           8
        .value_kind:     hidden_global_offset_x
      - .offset:         3424
        .size:           8
        .value_kind:     hidden_global_offset_y
      - .offset:         3432
        .size:           8
        .value_kind:     hidden_global_offset_z
      - .offset:         3440
        .size:           2
        .value_kind:     hidden_grid_dims
    .group_segment_fixed_size: 0
    .kernarg_segment_align: 8
    .kernarg_segment_size: 3632
    .language:       OpenCL C
    .language_version:
      - 2
      - 0
    .max_flat_workgroup_size: 512
    .name:           _ZN2at6native12_GLOBAL__N_125multi_tensor_apply_kernelINS1_18TensorListMetadataILi1EEENS1_14UnaryOpFunctorIdLi1ELi1ELi0EEEJNS0_6TruncfIdEEEEEvT_T0_DpT1_
    .private_segment_fixed_size: 0
    .sgpr_count:     24
    .sgpr_spill_count: 0
    .symbol:         _ZN2at6native12_GLOBAL__N_125multi_tensor_apply_kernelINS1_18TensorListMetadataILi1EEENS1_14UnaryOpFunctorIdLi1ELi1ELi0EEEJNS0_6TruncfIdEEEEEvT_T0_DpT1_.kd
    .uniform_work_group_size: 1
    .uses_dynamic_stack: false
    .vgpr_count:     28
    .vgpr_spill_count: 0
    .wavefront_size: 32
  - .args:
      - .offset:         0
        .size:           3368
        .value_kind:     by_value
      - .offset:         3368
        .size:           1
        .value_kind:     by_value
      - .offset:         3369
        .size:           1
        .value_kind:     by_value
      - .offset:         3376
        .size:           4
        .value_kind:     hidden_block_count_x
      - .offset:         3380
        .size:           4
        .value_kind:     hidden_block_count_y
      - .offset:         3384
        .size:           4
        .value_kind:     hidden_block_count_z
      - .offset:         3388
        .size:           2
        .value_kind:     hidden_group_size_x
      - .offset:         3390
        .size:           2
        .value_kind:     hidden_group_size_y
      - .offset:         3392
        .size:           2
        .value_kind:     hidden_group_size_z
      - .offset:         3394
        .size:           2
        .value_kind:     hidden_remainder_x
      - .offset:         3396
        .size:           2
        .value_kind:     hidden_remainder_y
      - .offset:         3398
        .size:           2
        .value_kind:     hidden_remainder_z
      - .offset:         3416
        .size:           8
        .value_kind:     hidden_global_offset_x
      - .offset:         3424
        .size:           8
        .value_kind:     hidden_global_offset_y
      - .offset:         3432
        .size:           8
        .value_kind:     hidden_global_offset_z
      - .offset:         3440
        .size:           2
        .value_kind:     hidden_grid_dims
    .group_segment_fixed_size: 0
    .kernarg_segment_align: 8
    .kernarg_segment_size: 3632
    .language:       OpenCL C
    .language_version:
      - 2
      - 0
    .max_flat_workgroup_size: 512
    .name:           _ZN2at6native12_GLOBAL__N_125multi_tensor_apply_kernelINS1_18TensorListMetadataILi1EEENS1_14UnaryOpFunctorIfLi1ELi1ELi0EEEJNS0_6TruncfIfEEEEEvT_T0_DpT1_
    .private_segment_fixed_size: 0
    .sgpr_count:     24
    .sgpr_spill_count: 0
    .symbol:         _ZN2at6native12_GLOBAL__N_125multi_tensor_apply_kernelINS1_18TensorListMetadataILi1EEENS1_14UnaryOpFunctorIfLi1ELi1ELi0EEEJNS0_6TruncfIfEEEEEvT_T0_DpT1_.kd
    .uniform_work_group_size: 1
    .uses_dynamic_stack: false
    .vgpr_count:     24
    .vgpr_spill_count: 0
    .wavefront_size: 32
  - .args:
      - .offset:         0
        .size:           3368
        .value_kind:     by_value
      - .offset:         3368
        .size:           1
        .value_kind:     by_value
      - .offset:         3369
        .size:           1
        .value_kind:     by_value
      - .offset:         3376
        .size:           4
        .value_kind:     hidden_block_count_x
      - .offset:         3380
        .size:           4
        .value_kind:     hidden_block_count_y
      - .offset:         3384
        .size:           4
        .value_kind:     hidden_block_count_z
      - .offset:         3388
        .size:           2
        .value_kind:     hidden_group_size_x
      - .offset:         3390
        .size:           2
        .value_kind:     hidden_group_size_y
      - .offset:         3392
        .size:           2
        .value_kind:     hidden_group_size_z
      - .offset:         3394
        .size:           2
        .value_kind:     hidden_remainder_x
      - .offset:         3396
        .size:           2
        .value_kind:     hidden_remainder_y
      - .offset:         3398
        .size:           2
        .value_kind:     hidden_remainder_z
      - .offset:         3416
        .size:           8
        .value_kind:     hidden_global_offset_x
      - .offset:         3424
        .size:           8
        .value_kind:     hidden_global_offset_y
      - .offset:         3432
        .size:           8
        .value_kind:     hidden_global_offset_z
      - .offset:         3440
        .size:           2
        .value_kind:     hidden_grid_dims
    .group_segment_fixed_size: 0
    .kernarg_segment_align: 8
    .kernarg_segment_size: 3632
    .language:       OpenCL C
    .language_version:
      - 2
      - 0
    .max_flat_workgroup_size: 512
    .name:           _ZN2at6native12_GLOBAL__N_125multi_tensor_apply_kernelINS1_18TensorListMetadataILi1EEENS1_14UnaryOpFunctorIN3c104HalfELi1ELi1ELi0EEEJNS0_6TruncfIfEEEEEvT_T0_DpT1_
    .private_segment_fixed_size: 0
    .sgpr_count:     22
    .sgpr_spill_count: 0
    .symbol:         _ZN2at6native12_GLOBAL__N_125multi_tensor_apply_kernelINS1_18TensorListMetadataILi1EEENS1_14UnaryOpFunctorIN3c104HalfELi1ELi1ELi0EEEJNS0_6TruncfIfEEEEEvT_T0_DpT1_.kd
    .uniform_work_group_size: 1
    .uses_dynamic_stack: false
    .vgpr_count:     24
    .vgpr_spill_count: 0
    .wavefront_size: 32
  - .args:
      - .offset:         0
        .size:           3368
        .value_kind:     by_value
      - .offset:         3368
        .size:           1
        .value_kind:     by_value
      - .offset:         3369
        .size:           1
        .value_kind:     by_value
      - .offset:         3376
        .size:           4
        .value_kind:     hidden_block_count_x
      - .offset:         3380
        .size:           4
        .value_kind:     hidden_block_count_y
      - .offset:         3384
        .size:           4
        .value_kind:     hidden_block_count_z
      - .offset:         3388
        .size:           2
        .value_kind:     hidden_group_size_x
      - .offset:         3390
        .size:           2
        .value_kind:     hidden_group_size_y
      - .offset:         3392
        .size:           2
        .value_kind:     hidden_group_size_z
      - .offset:         3394
        .size:           2
        .value_kind:     hidden_remainder_x
      - .offset:         3396
        .size:           2
        .value_kind:     hidden_remainder_y
      - .offset:         3398
        .size:           2
        .value_kind:     hidden_remainder_z
      - .offset:         3416
        .size:           8
        .value_kind:     hidden_global_offset_x
      - .offset:         3424
        .size:           8
        .value_kind:     hidden_global_offset_y
      - .offset:         3432
        .size:           8
        .value_kind:     hidden_global_offset_z
      - .offset:         3440
        .size:           2
        .value_kind:     hidden_grid_dims
    .group_segment_fixed_size: 0
    .kernarg_segment_align: 8
    .kernarg_segment_size: 3632
    .language:       OpenCL C
    .language_version:
      - 2
      - 0
    .max_flat_workgroup_size: 512
    .name:           _ZN2at6native12_GLOBAL__N_125multi_tensor_apply_kernelINS1_18TensorListMetadataILi1EEENS1_14UnaryOpFunctorIN3c108BFloat16ELi1ELi1ELi0EEEJNS0_6TruncfIfEEEEEvT_T0_DpT1_
    .private_segment_fixed_size: 0
    .sgpr_count:     22
    .sgpr_spill_count: 0
    .symbol:         _ZN2at6native12_GLOBAL__N_125multi_tensor_apply_kernelINS1_18TensorListMetadataILi1EEENS1_14UnaryOpFunctorIN3c108BFloat16ELi1ELi1ELi0EEEJNS0_6TruncfIfEEEEEvT_T0_DpT1_.kd
    .uniform_work_group_size: 1
    .uses_dynamic_stack: false
    .vgpr_count:     25
    .vgpr_spill_count: 0
    .wavefront_size: 32
  - .args:
      - .offset:         0
        .size:           3144
        .value_kind:     by_value
      - .offset:         3144
        .size:           1
        .value_kind:     by_value
      - .offset:         3145
        .size:           1
        .value_kind:     by_value
      - .offset:         3152
        .size:           4
        .value_kind:     hidden_block_count_x
      - .offset:         3156
        .size:           4
        .value_kind:     hidden_block_count_y
      - .offset:         3160
        .size:           4
        .value_kind:     hidden_block_count_z
      - .offset:         3164
        .size:           2
        .value_kind:     hidden_group_size_x
      - .offset:         3166
        .size:           2
        .value_kind:     hidden_group_size_y
      - .offset:         3168
        .size:           2
        .value_kind:     hidden_group_size_z
      - .offset:         3170
        .size:           2
        .value_kind:     hidden_remainder_x
      - .offset:         3172
        .size:           2
        .value_kind:     hidden_remainder_y
      - .offset:         3174
        .size:           2
        .value_kind:     hidden_remainder_z
      - .offset:         3192
        .size:           8
        .value_kind:     hidden_global_offset_x
      - .offset:         3200
        .size:           8
        .value_kind:     hidden_global_offset_y
      - .offset:         3208
        .size:           8
        .value_kind:     hidden_global_offset_z
      - .offset:         3216
        .size:           2
        .value_kind:     hidden_grid_dims
    .group_segment_fixed_size: 0
    .kernarg_segment_align: 8
    .kernarg_segment_size: 3408
    .language:       OpenCL C
    .language_version:
      - 2
      - 0
    .max_flat_workgroup_size: 512
    .name:           _ZN2at6native12_GLOBAL__N_125multi_tensor_apply_kernelINS1_18TensorListMetadataILi2EEENS1_14UnaryOpFunctorIdLi2ELi1ELi1EEEJNS0_5FloorIdEEEEEvT_T0_DpT1_
    .private_segment_fixed_size: 0
    .sgpr_count:     22
    .sgpr_spill_count: 0
    .symbol:         _ZN2at6native12_GLOBAL__N_125multi_tensor_apply_kernelINS1_18TensorListMetadataILi2EEENS1_14UnaryOpFunctorIdLi2ELi1ELi1EEEJNS0_5FloorIdEEEEEvT_T0_DpT1_.kd
    .uniform_work_group_size: 1
    .uses_dynamic_stack: false
    .vgpr_count:     38
    .vgpr_spill_count: 0
    .wavefront_size: 32
  - .args:
      - .offset:         0
        .size:           3144
        .value_kind:     by_value
      - .offset:         3144
        .size:           1
        .value_kind:     by_value
      - .offset:         3145
        .size:           1
        .value_kind:     by_value
      - .offset:         3152
        .size:           4
        .value_kind:     hidden_block_count_x
      - .offset:         3156
        .size:           4
        .value_kind:     hidden_block_count_y
      - .offset:         3160
        .size:           4
        .value_kind:     hidden_block_count_z
      - .offset:         3164
        .size:           2
        .value_kind:     hidden_group_size_x
      - .offset:         3166
        .size:           2
        .value_kind:     hidden_group_size_y
      - .offset:         3168
        .size:           2
        .value_kind:     hidden_group_size_z
      - .offset:         3170
        .size:           2
        .value_kind:     hidden_remainder_x
      - .offset:         3172
        .size:           2
        .value_kind:     hidden_remainder_y
      - .offset:         3174
        .size:           2
        .value_kind:     hidden_remainder_z
      - .offset:         3192
        .size:           8
        .value_kind:     hidden_global_offset_x
      - .offset:         3200
        .size:           8
        .value_kind:     hidden_global_offset_y
      - .offset:         3208
        .size:           8
        .value_kind:     hidden_global_offset_z
      - .offset:         3216
        .size:           2
        .value_kind:     hidden_grid_dims
    .group_segment_fixed_size: 0
    .kernarg_segment_align: 8
    .kernarg_segment_size: 3408
    .language:       OpenCL C
    .language_version:
      - 2
      - 0
    .max_flat_workgroup_size: 512
    .name:           _ZN2at6native12_GLOBAL__N_125multi_tensor_apply_kernelINS1_18TensorListMetadataILi2EEENS1_14UnaryOpFunctorIfLi2ELi1ELi1EEEJNS0_5FloorIfEEEEEvT_T0_DpT1_
    .private_segment_fixed_size: 0
    .sgpr_count:     22
    .sgpr_spill_count: 0
    .symbol:         _ZN2at6native12_GLOBAL__N_125multi_tensor_apply_kernelINS1_18TensorListMetadataILi2EEENS1_14UnaryOpFunctorIfLi2ELi1ELi1EEEJNS0_5FloorIfEEEEEvT_T0_DpT1_.kd
    .uniform_work_group_size: 1
    .uses_dynamic_stack: false
    .vgpr_count:     34
    .vgpr_spill_count: 0
    .wavefront_size: 32
  - .args:
      - .offset:         0
        .size:           3144
        .value_kind:     by_value
      - .offset:         3144
        .size:           1
        .value_kind:     by_value
      - .offset:         3145
        .size:           1
        .value_kind:     by_value
      - .offset:         3152
        .size:           4
        .value_kind:     hidden_block_count_x
      - .offset:         3156
        .size:           4
        .value_kind:     hidden_block_count_y
      - .offset:         3160
        .size:           4
        .value_kind:     hidden_block_count_z
      - .offset:         3164
        .size:           2
        .value_kind:     hidden_group_size_x
      - .offset:         3166
        .size:           2
        .value_kind:     hidden_group_size_y
      - .offset:         3168
        .size:           2
        .value_kind:     hidden_group_size_z
      - .offset:         3170
        .size:           2
        .value_kind:     hidden_remainder_x
      - .offset:         3172
        .size:           2
        .value_kind:     hidden_remainder_y
      - .offset:         3174
        .size:           2
        .value_kind:     hidden_remainder_z
      - .offset:         3192
        .size:           8
        .value_kind:     hidden_global_offset_x
      - .offset:         3200
        .size:           8
        .value_kind:     hidden_global_offset_y
      - .offset:         3208
        .size:           8
        .value_kind:     hidden_global_offset_z
      - .offset:         3216
        .size:           2
        .value_kind:     hidden_grid_dims
    .group_segment_fixed_size: 0
    .kernarg_segment_align: 8
    .kernarg_segment_size: 3408
    .language:       OpenCL C
    .language_version:
      - 2
      - 0
    .max_flat_workgroup_size: 512
    .name:           _ZN2at6native12_GLOBAL__N_125multi_tensor_apply_kernelINS1_18TensorListMetadataILi2EEENS1_14UnaryOpFunctorIN3c104HalfELi2ELi1ELi1EEEJNS0_5FloorIfEEEEEvT_T0_DpT1_
    .private_segment_fixed_size: 0
    .sgpr_count:     22
    .sgpr_spill_count: 0
    .symbol:         _ZN2at6native12_GLOBAL__N_125multi_tensor_apply_kernelINS1_18TensorListMetadataILi2EEENS1_14UnaryOpFunctorIN3c104HalfELi2ELi1ELi1EEEJNS0_5FloorIfEEEEEvT_T0_DpT1_.kd
    .uniform_work_group_size: 1
    .uses_dynamic_stack: false
    .vgpr_count:     34
    .vgpr_spill_count: 0
    .wavefront_size: 32
  - .args:
      - .offset:         0
        .size:           3144
        .value_kind:     by_value
      - .offset:         3144
        .size:           1
        .value_kind:     by_value
      - .offset:         3145
        .size:           1
        .value_kind:     by_value
      - .offset:         3152
        .size:           4
        .value_kind:     hidden_block_count_x
      - .offset:         3156
        .size:           4
        .value_kind:     hidden_block_count_y
      - .offset:         3160
        .size:           4
        .value_kind:     hidden_block_count_z
      - .offset:         3164
        .size:           2
        .value_kind:     hidden_group_size_x
      - .offset:         3166
        .size:           2
        .value_kind:     hidden_group_size_y
      - .offset:         3168
        .size:           2
        .value_kind:     hidden_group_size_z
      - .offset:         3170
        .size:           2
        .value_kind:     hidden_remainder_x
      - .offset:         3172
        .size:           2
        .value_kind:     hidden_remainder_y
      - .offset:         3174
        .size:           2
        .value_kind:     hidden_remainder_z
      - .offset:         3192
        .size:           8
        .value_kind:     hidden_global_offset_x
      - .offset:         3200
        .size:           8
        .value_kind:     hidden_global_offset_y
      - .offset:         3208
        .size:           8
        .value_kind:     hidden_global_offset_z
      - .offset:         3216
        .size:           2
        .value_kind:     hidden_grid_dims
    .group_segment_fixed_size: 0
    .kernarg_segment_align: 8
    .kernarg_segment_size: 3408
    .language:       OpenCL C
    .language_version:
      - 2
      - 0
    .max_flat_workgroup_size: 512
    .name:           _ZN2at6native12_GLOBAL__N_125multi_tensor_apply_kernelINS1_18TensorListMetadataILi2EEENS1_14UnaryOpFunctorIN3c108BFloat16ELi2ELi1ELi1EEEJNS0_5FloorIfEEEEEvT_T0_DpT1_
    .private_segment_fixed_size: 0
    .sgpr_count:     22
    .sgpr_spill_count: 0
    .symbol:         _ZN2at6native12_GLOBAL__N_125multi_tensor_apply_kernelINS1_18TensorListMetadataILi2EEENS1_14UnaryOpFunctorIN3c108BFloat16ELi2ELi1ELi1EEEJNS0_5FloorIfEEEEEvT_T0_DpT1_.kd
    .uniform_work_group_size: 1
    .uses_dynamic_stack: false
    .vgpr_count:     35
    .vgpr_spill_count: 0
    .wavefront_size: 32
  - .args:
      - .offset:         0
        .size:           3368
        .value_kind:     by_value
      - .offset:         3368
        .size:           1
        .value_kind:     by_value
      - .offset:         3369
        .size:           1
        .value_kind:     by_value
      - .offset:         3376
        .size:           4
        .value_kind:     hidden_block_count_x
      - .offset:         3380
        .size:           4
        .value_kind:     hidden_block_count_y
      - .offset:         3384
        .size:           4
        .value_kind:     hidden_block_count_z
      - .offset:         3388
        .size:           2
        .value_kind:     hidden_group_size_x
      - .offset:         3390
        .size:           2
        .value_kind:     hidden_group_size_y
      - .offset:         3392
        .size:           2
        .value_kind:     hidden_group_size_z
      - .offset:         3394
        .size:           2
        .value_kind:     hidden_remainder_x
      - .offset:         3396
        .size:           2
        .value_kind:     hidden_remainder_y
      - .offset:         3398
        .size:           2
        .value_kind:     hidden_remainder_z
      - .offset:         3416
        .size:           8
        .value_kind:     hidden_global_offset_x
      - .offset:         3424
        .size:           8
        .value_kind:     hidden_global_offset_y
      - .offset:         3432
        .size:           8
        .value_kind:     hidden_global_offset_z
      - .offset:         3440
        .size:           2
        .value_kind:     hidden_grid_dims
    .group_segment_fixed_size: 0
    .kernarg_segment_align: 8
    .kernarg_segment_size: 3632
    .language:       OpenCL C
    .language_version:
      - 2
      - 0
    .max_flat_workgroup_size: 512
    .name:           _ZN2at6native12_GLOBAL__N_125multi_tensor_apply_kernelINS1_18TensorListMetadataILi1EEENS1_14UnaryOpFunctorIdLi1ELi1ELi0EEEJNS0_5FloorIdEEEEEvT_T0_DpT1_
    .private_segment_fixed_size: 0
    .sgpr_count:     24
    .sgpr_spill_count: 0
    .symbol:         _ZN2at6native12_GLOBAL__N_125multi_tensor_apply_kernelINS1_18TensorListMetadataILi1EEENS1_14UnaryOpFunctorIdLi1ELi1ELi0EEEJNS0_5FloorIdEEEEEvT_T0_DpT1_.kd
    .uniform_work_group_size: 1
    .uses_dynamic_stack: false
    .vgpr_count:     28
    .vgpr_spill_count: 0
    .wavefront_size: 32
  - .args:
      - .offset:         0
        .size:           3368
        .value_kind:     by_value
      - .offset:         3368
        .size:           1
        .value_kind:     by_value
      - .offset:         3369
        .size:           1
        .value_kind:     by_value
      - .offset:         3376
        .size:           4
        .value_kind:     hidden_block_count_x
      - .offset:         3380
        .size:           4
        .value_kind:     hidden_block_count_y
      - .offset:         3384
        .size:           4
        .value_kind:     hidden_block_count_z
      - .offset:         3388
        .size:           2
        .value_kind:     hidden_group_size_x
      - .offset:         3390
        .size:           2
        .value_kind:     hidden_group_size_y
      - .offset:         3392
        .size:           2
        .value_kind:     hidden_group_size_z
      - .offset:         3394
        .size:           2
        .value_kind:     hidden_remainder_x
      - .offset:         3396
        .size:           2
        .value_kind:     hidden_remainder_y
      - .offset:         3398
        .size:           2
        .value_kind:     hidden_remainder_z
      - .offset:         3416
        .size:           8
        .value_kind:     hidden_global_offset_x
      - .offset:         3424
        .size:           8
        .value_kind:     hidden_global_offset_y
      - .offset:         3432
        .size:           8
        .value_kind:     hidden_global_offset_z
      - .offset:         3440
        .size:           2
        .value_kind:     hidden_grid_dims
    .group_segment_fixed_size: 0
    .kernarg_segment_align: 8
    .kernarg_segment_size: 3632
    .language:       OpenCL C
    .language_version:
      - 2
      - 0
    .max_flat_workgroup_size: 512
    .name:           _ZN2at6native12_GLOBAL__N_125multi_tensor_apply_kernelINS1_18TensorListMetadataILi1EEENS1_14UnaryOpFunctorIfLi1ELi1ELi0EEEJNS0_5FloorIfEEEEEvT_T0_DpT1_
    .private_segment_fixed_size: 0
    .sgpr_count:     24
    .sgpr_spill_count: 0
    .symbol:         _ZN2at6native12_GLOBAL__N_125multi_tensor_apply_kernelINS1_18TensorListMetadataILi1EEENS1_14UnaryOpFunctorIfLi1ELi1ELi0EEEJNS0_5FloorIfEEEEEvT_T0_DpT1_.kd
    .uniform_work_group_size: 1
    .uses_dynamic_stack: false
    .vgpr_count:     24
    .vgpr_spill_count: 0
    .wavefront_size: 32
  - .args:
      - .offset:         0
        .size:           3368
        .value_kind:     by_value
      - .offset:         3368
        .size:           1
        .value_kind:     by_value
      - .offset:         3369
        .size:           1
        .value_kind:     by_value
      - .offset:         3376
        .size:           4
        .value_kind:     hidden_block_count_x
      - .offset:         3380
        .size:           4
        .value_kind:     hidden_block_count_y
      - .offset:         3384
        .size:           4
        .value_kind:     hidden_block_count_z
      - .offset:         3388
        .size:           2
        .value_kind:     hidden_group_size_x
      - .offset:         3390
        .size:           2
        .value_kind:     hidden_group_size_y
      - .offset:         3392
        .size:           2
        .value_kind:     hidden_group_size_z
      - .offset:         3394
        .size:           2
        .value_kind:     hidden_remainder_x
      - .offset:         3396
        .size:           2
        .value_kind:     hidden_remainder_y
      - .offset:         3398
        .size:           2
        .value_kind:     hidden_remainder_z
      - .offset:         3416
        .size:           8
        .value_kind:     hidden_global_offset_x
      - .offset:         3424
        .size:           8
        .value_kind:     hidden_global_offset_y
      - .offset:         3432
        .size:           8
        .value_kind:     hidden_global_offset_z
      - .offset:         3440
        .size:           2
        .value_kind:     hidden_grid_dims
    .group_segment_fixed_size: 0
    .kernarg_segment_align: 8
    .kernarg_segment_size: 3632
    .language:       OpenCL C
    .language_version:
      - 2
      - 0
    .max_flat_workgroup_size: 512
    .name:           _ZN2at6native12_GLOBAL__N_125multi_tensor_apply_kernelINS1_18TensorListMetadataILi1EEENS1_14UnaryOpFunctorIN3c104HalfELi1ELi1ELi0EEEJNS0_5FloorIfEEEEEvT_T0_DpT1_
    .private_segment_fixed_size: 0
    .sgpr_count:     22
    .sgpr_spill_count: 0
    .symbol:         _ZN2at6native12_GLOBAL__N_125multi_tensor_apply_kernelINS1_18TensorListMetadataILi1EEENS1_14UnaryOpFunctorIN3c104HalfELi1ELi1ELi0EEEJNS0_5FloorIfEEEEEvT_T0_DpT1_.kd
    .uniform_work_group_size: 1
    .uses_dynamic_stack: false
    .vgpr_count:     24
    .vgpr_spill_count: 0
    .wavefront_size: 32
  - .args:
      - .offset:         0
        .size:           3368
        .value_kind:     by_value
      - .offset:         3368
        .size:           1
        .value_kind:     by_value
      - .offset:         3369
        .size:           1
        .value_kind:     by_value
      - .offset:         3376
        .size:           4
        .value_kind:     hidden_block_count_x
      - .offset:         3380
        .size:           4
        .value_kind:     hidden_block_count_y
      - .offset:         3384
        .size:           4
        .value_kind:     hidden_block_count_z
      - .offset:         3388
        .size:           2
        .value_kind:     hidden_group_size_x
      - .offset:         3390
        .size:           2
        .value_kind:     hidden_group_size_y
      - .offset:         3392
        .size:           2
        .value_kind:     hidden_group_size_z
      - .offset:         3394
        .size:           2
        .value_kind:     hidden_remainder_x
      - .offset:         3396
        .size:           2
        .value_kind:     hidden_remainder_y
      - .offset:         3398
        .size:           2
        .value_kind:     hidden_remainder_z
      - .offset:         3416
        .size:           8
        .value_kind:     hidden_global_offset_x
      - .offset:         3424
        .size:           8
        .value_kind:     hidden_global_offset_y
      - .offset:         3432
        .size:           8
        .value_kind:     hidden_global_offset_z
      - .offset:         3440
        .size:           2
        .value_kind:     hidden_grid_dims
    .group_segment_fixed_size: 0
    .kernarg_segment_align: 8
    .kernarg_segment_size: 3632
    .language:       OpenCL C
    .language_version:
      - 2
      - 0
    .max_flat_workgroup_size: 512
    .name:           _ZN2at6native12_GLOBAL__N_125multi_tensor_apply_kernelINS1_18TensorListMetadataILi1EEENS1_14UnaryOpFunctorIN3c108BFloat16ELi1ELi1ELi0EEEJNS0_5FloorIfEEEEEvT_T0_DpT1_
    .private_segment_fixed_size: 0
    .sgpr_count:     22
    .sgpr_spill_count: 0
    .symbol:         _ZN2at6native12_GLOBAL__N_125multi_tensor_apply_kernelINS1_18TensorListMetadataILi1EEENS1_14UnaryOpFunctorIN3c108BFloat16ELi1ELi1ELi0EEEJNS0_5FloorIfEEEEEvT_T0_DpT1_.kd
    .uniform_work_group_size: 1
    .uses_dynamic_stack: false
    .vgpr_count:     25
    .vgpr_spill_count: 0
    .wavefront_size: 32
  - .args:
      - .offset:         0
        .size:           3144
        .value_kind:     by_value
      - .offset:         3144
        .size:           1
        .value_kind:     by_value
      - .offset:         3145
        .size:           1
        .value_kind:     by_value
      - .offset:         3152
        .size:           4
        .value_kind:     hidden_block_count_x
      - .offset:         3156
        .size:           4
        .value_kind:     hidden_block_count_y
      - .offset:         3160
        .size:           4
        .value_kind:     hidden_block_count_z
      - .offset:         3164
        .size:           2
        .value_kind:     hidden_group_size_x
      - .offset:         3166
        .size:           2
        .value_kind:     hidden_group_size_y
      - .offset:         3168
        .size:           2
        .value_kind:     hidden_group_size_z
      - .offset:         3170
        .size:           2
        .value_kind:     hidden_remainder_x
      - .offset:         3172
        .size:           2
        .value_kind:     hidden_remainder_y
      - .offset:         3174
        .size:           2
        .value_kind:     hidden_remainder_z
      - .offset:         3192
        .size:           8
        .value_kind:     hidden_global_offset_x
      - .offset:         3200
        .size:           8
        .value_kind:     hidden_global_offset_y
      - .offset:         3208
        .size:           8
        .value_kind:     hidden_global_offset_z
      - .offset:         3216
        .size:           2
        .value_kind:     hidden_grid_dims
    .group_segment_fixed_size: 0
    .kernarg_segment_align: 8
    .kernarg_segment_size: 3408
    .language:       OpenCL C
    .language_version:
      - 2
      - 0
    .max_flat_workgroup_size: 512
    .name:           _ZN2at6native12_GLOBAL__N_125multi_tensor_apply_kernelINS1_18TensorListMetadataILi2EEENS1_14UnaryOpFunctorIdLi2ELi1ELi1EEEJNS0_4CeilIdEEEEEvT_T0_DpT1_
    .private_segment_fixed_size: 0
    .sgpr_count:     22
    .sgpr_spill_count: 0
    .symbol:         _ZN2at6native12_GLOBAL__N_125multi_tensor_apply_kernelINS1_18TensorListMetadataILi2EEENS1_14UnaryOpFunctorIdLi2ELi1ELi1EEEJNS0_4CeilIdEEEEEvT_T0_DpT1_.kd
    .uniform_work_group_size: 1
    .uses_dynamic_stack: false
    .vgpr_count:     38
    .vgpr_spill_count: 0
    .wavefront_size: 32
  - .args:
      - .offset:         0
        .size:           3144
        .value_kind:     by_value
      - .offset:         3144
        .size:           1
        .value_kind:     by_value
      - .offset:         3145
        .size:           1
        .value_kind:     by_value
      - .offset:         3152
        .size:           4
        .value_kind:     hidden_block_count_x
      - .offset:         3156
        .size:           4
        .value_kind:     hidden_block_count_y
      - .offset:         3160
        .size:           4
        .value_kind:     hidden_block_count_z
      - .offset:         3164
        .size:           2
        .value_kind:     hidden_group_size_x
      - .offset:         3166
        .size:           2
        .value_kind:     hidden_group_size_y
      - .offset:         3168
        .size:           2
        .value_kind:     hidden_group_size_z
      - .offset:         3170
        .size:           2
        .value_kind:     hidden_remainder_x
      - .offset:         3172
        .size:           2
        .value_kind:     hidden_remainder_y
      - .offset:         3174
        .size:           2
        .value_kind:     hidden_remainder_z
      - .offset:         3192
        .size:           8
        .value_kind:     hidden_global_offset_x
      - .offset:         3200
        .size:           8
        .value_kind:     hidden_global_offset_y
      - .offset:         3208
        .size:           8
        .value_kind:     hidden_global_offset_z
      - .offset:         3216
        .size:           2
        .value_kind:     hidden_grid_dims
    .group_segment_fixed_size: 0
    .kernarg_segment_align: 8
    .kernarg_segment_size: 3408
    .language:       OpenCL C
    .language_version:
      - 2
      - 0
    .max_flat_workgroup_size: 512
    .name:           _ZN2at6native12_GLOBAL__N_125multi_tensor_apply_kernelINS1_18TensorListMetadataILi2EEENS1_14UnaryOpFunctorIfLi2ELi1ELi1EEEJNS0_4CeilIfEEEEEvT_T0_DpT1_
    .private_segment_fixed_size: 0
    .sgpr_count:     22
    .sgpr_spill_count: 0
    .symbol:         _ZN2at6native12_GLOBAL__N_125multi_tensor_apply_kernelINS1_18TensorListMetadataILi2EEENS1_14UnaryOpFunctorIfLi2ELi1ELi1EEEJNS0_4CeilIfEEEEEvT_T0_DpT1_.kd
    .uniform_work_group_size: 1
    .uses_dynamic_stack: false
    .vgpr_count:     34
    .vgpr_spill_count: 0
    .wavefront_size: 32
  - .args:
      - .offset:         0
        .size:           3144
        .value_kind:     by_value
      - .offset:         3144
        .size:           1
        .value_kind:     by_value
      - .offset:         3145
        .size:           1
        .value_kind:     by_value
      - .offset:         3152
        .size:           4
        .value_kind:     hidden_block_count_x
      - .offset:         3156
        .size:           4
        .value_kind:     hidden_block_count_y
      - .offset:         3160
        .size:           4
        .value_kind:     hidden_block_count_z
      - .offset:         3164
        .size:           2
        .value_kind:     hidden_group_size_x
      - .offset:         3166
        .size:           2
        .value_kind:     hidden_group_size_y
      - .offset:         3168
        .size:           2
        .value_kind:     hidden_group_size_z
      - .offset:         3170
        .size:           2
        .value_kind:     hidden_remainder_x
      - .offset:         3172
        .size:           2
        .value_kind:     hidden_remainder_y
      - .offset:         3174
        .size:           2
        .value_kind:     hidden_remainder_z
      - .offset:         3192
        .size:           8
        .value_kind:     hidden_global_offset_x
      - .offset:         3200
        .size:           8
        .value_kind:     hidden_global_offset_y
      - .offset:         3208
        .size:           8
        .value_kind:     hidden_global_offset_z
      - .offset:         3216
        .size:           2
        .value_kind:     hidden_grid_dims
    .group_segment_fixed_size: 0
    .kernarg_segment_align: 8
    .kernarg_segment_size: 3408
    .language:       OpenCL C
    .language_version:
      - 2
      - 0
    .max_flat_workgroup_size: 512
    .name:           _ZN2at6native12_GLOBAL__N_125multi_tensor_apply_kernelINS1_18TensorListMetadataILi2EEENS1_14UnaryOpFunctorIN3c104HalfELi2ELi1ELi1EEEJNS0_4CeilIfEEEEEvT_T0_DpT1_
    .private_segment_fixed_size: 0
    .sgpr_count:     22
    .sgpr_spill_count: 0
    .symbol:         _ZN2at6native12_GLOBAL__N_125multi_tensor_apply_kernelINS1_18TensorListMetadataILi2EEENS1_14UnaryOpFunctorIN3c104HalfELi2ELi1ELi1EEEJNS0_4CeilIfEEEEEvT_T0_DpT1_.kd
    .uniform_work_group_size: 1
    .uses_dynamic_stack: false
    .vgpr_count:     34
    .vgpr_spill_count: 0
    .wavefront_size: 32
  - .args:
      - .offset:         0
        .size:           3144
        .value_kind:     by_value
      - .offset:         3144
        .size:           1
        .value_kind:     by_value
      - .offset:         3145
        .size:           1
        .value_kind:     by_value
      - .offset:         3152
        .size:           4
        .value_kind:     hidden_block_count_x
      - .offset:         3156
        .size:           4
        .value_kind:     hidden_block_count_y
      - .offset:         3160
        .size:           4
        .value_kind:     hidden_block_count_z
      - .offset:         3164
        .size:           2
        .value_kind:     hidden_group_size_x
      - .offset:         3166
        .size:           2
        .value_kind:     hidden_group_size_y
      - .offset:         3168
        .size:           2
        .value_kind:     hidden_group_size_z
      - .offset:         3170
        .size:           2
        .value_kind:     hidden_remainder_x
      - .offset:         3172
        .size:           2
        .value_kind:     hidden_remainder_y
      - .offset:         3174
        .size:           2
        .value_kind:     hidden_remainder_z
      - .offset:         3192
        .size:           8
        .value_kind:     hidden_global_offset_x
      - .offset:         3200
        .size:           8
        .value_kind:     hidden_global_offset_y
      - .offset:         3208
        .size:           8
        .value_kind:     hidden_global_offset_z
      - .offset:         3216
        .size:           2
        .value_kind:     hidden_grid_dims
    .group_segment_fixed_size: 0
    .kernarg_segment_align: 8
    .kernarg_segment_size: 3408
    .language:       OpenCL C
    .language_version:
      - 2
      - 0
    .max_flat_workgroup_size: 512
    .name:           _ZN2at6native12_GLOBAL__N_125multi_tensor_apply_kernelINS1_18TensorListMetadataILi2EEENS1_14UnaryOpFunctorIN3c108BFloat16ELi2ELi1ELi1EEEJNS0_4CeilIfEEEEEvT_T0_DpT1_
    .private_segment_fixed_size: 0
    .sgpr_count:     22
    .sgpr_spill_count: 0
    .symbol:         _ZN2at6native12_GLOBAL__N_125multi_tensor_apply_kernelINS1_18TensorListMetadataILi2EEENS1_14UnaryOpFunctorIN3c108BFloat16ELi2ELi1ELi1EEEJNS0_4CeilIfEEEEEvT_T0_DpT1_.kd
    .uniform_work_group_size: 1
    .uses_dynamic_stack: false
    .vgpr_count:     35
    .vgpr_spill_count: 0
    .wavefront_size: 32
  - .args:
      - .offset:         0
        .size:           3368
        .value_kind:     by_value
      - .offset:         3368
        .size:           1
        .value_kind:     by_value
      - .offset:         3369
        .size:           1
        .value_kind:     by_value
      - .offset:         3376
        .size:           4
        .value_kind:     hidden_block_count_x
      - .offset:         3380
        .size:           4
        .value_kind:     hidden_block_count_y
      - .offset:         3384
        .size:           4
        .value_kind:     hidden_block_count_z
      - .offset:         3388
        .size:           2
        .value_kind:     hidden_group_size_x
      - .offset:         3390
        .size:           2
        .value_kind:     hidden_group_size_y
      - .offset:         3392
        .size:           2
        .value_kind:     hidden_group_size_z
      - .offset:         3394
        .size:           2
        .value_kind:     hidden_remainder_x
      - .offset:         3396
        .size:           2
        .value_kind:     hidden_remainder_y
      - .offset:         3398
        .size:           2
        .value_kind:     hidden_remainder_z
      - .offset:         3416
        .size:           8
        .value_kind:     hidden_global_offset_x
      - .offset:         3424
        .size:           8
        .value_kind:     hidden_global_offset_y
      - .offset:         3432
        .size:           8
        .value_kind:     hidden_global_offset_z
      - .offset:         3440
        .size:           2
        .value_kind:     hidden_grid_dims
    .group_segment_fixed_size: 0
    .kernarg_segment_align: 8
    .kernarg_segment_size: 3632
    .language:       OpenCL C
    .language_version:
      - 2
      - 0
    .max_flat_workgroup_size: 512
    .name:           _ZN2at6native12_GLOBAL__N_125multi_tensor_apply_kernelINS1_18TensorListMetadataILi1EEENS1_14UnaryOpFunctorIdLi1ELi1ELi0EEEJNS0_4CeilIdEEEEEvT_T0_DpT1_
    .private_segment_fixed_size: 0
    .sgpr_count:     24
    .sgpr_spill_count: 0
    .symbol:         _ZN2at6native12_GLOBAL__N_125multi_tensor_apply_kernelINS1_18TensorListMetadataILi1EEENS1_14UnaryOpFunctorIdLi1ELi1ELi0EEEJNS0_4CeilIdEEEEEvT_T0_DpT1_.kd
    .uniform_work_group_size: 1
    .uses_dynamic_stack: false
    .vgpr_count:     28
    .vgpr_spill_count: 0
    .wavefront_size: 32
  - .args:
      - .offset:         0
        .size:           3368
        .value_kind:     by_value
      - .offset:         3368
        .size:           1
        .value_kind:     by_value
      - .offset:         3369
        .size:           1
        .value_kind:     by_value
      - .offset:         3376
        .size:           4
        .value_kind:     hidden_block_count_x
      - .offset:         3380
        .size:           4
        .value_kind:     hidden_block_count_y
      - .offset:         3384
        .size:           4
        .value_kind:     hidden_block_count_z
      - .offset:         3388
        .size:           2
        .value_kind:     hidden_group_size_x
      - .offset:         3390
        .size:           2
        .value_kind:     hidden_group_size_y
      - .offset:         3392
        .size:           2
        .value_kind:     hidden_group_size_z
      - .offset:         3394
        .size:           2
        .value_kind:     hidden_remainder_x
      - .offset:         3396
        .size:           2
        .value_kind:     hidden_remainder_y
      - .offset:         3398
        .size:           2
        .value_kind:     hidden_remainder_z
      - .offset:         3416
        .size:           8
        .value_kind:     hidden_global_offset_x
      - .offset:         3424
        .size:           8
        .value_kind:     hidden_global_offset_y
      - .offset:         3432
        .size:           8
        .value_kind:     hidden_global_offset_z
      - .offset:         3440
        .size:           2
        .value_kind:     hidden_grid_dims
    .group_segment_fixed_size: 0
    .kernarg_segment_align: 8
    .kernarg_segment_size: 3632
    .language:       OpenCL C
    .language_version:
      - 2
      - 0
    .max_flat_workgroup_size: 512
    .name:           _ZN2at6native12_GLOBAL__N_125multi_tensor_apply_kernelINS1_18TensorListMetadataILi1EEENS1_14UnaryOpFunctorIfLi1ELi1ELi0EEEJNS0_4CeilIfEEEEEvT_T0_DpT1_
    .private_segment_fixed_size: 0
    .sgpr_count:     24
    .sgpr_spill_count: 0
    .symbol:         _ZN2at6native12_GLOBAL__N_125multi_tensor_apply_kernelINS1_18TensorListMetadataILi1EEENS1_14UnaryOpFunctorIfLi1ELi1ELi0EEEJNS0_4CeilIfEEEEEvT_T0_DpT1_.kd
    .uniform_work_group_size: 1
    .uses_dynamic_stack: false
    .vgpr_count:     24
    .vgpr_spill_count: 0
    .wavefront_size: 32
  - .args:
      - .offset:         0
        .size:           3368
        .value_kind:     by_value
      - .offset:         3368
        .size:           1
        .value_kind:     by_value
      - .offset:         3369
        .size:           1
        .value_kind:     by_value
      - .offset:         3376
        .size:           4
        .value_kind:     hidden_block_count_x
      - .offset:         3380
        .size:           4
        .value_kind:     hidden_block_count_y
      - .offset:         3384
        .size:           4
        .value_kind:     hidden_block_count_z
      - .offset:         3388
        .size:           2
        .value_kind:     hidden_group_size_x
      - .offset:         3390
        .size:           2
        .value_kind:     hidden_group_size_y
      - .offset:         3392
        .size:           2
        .value_kind:     hidden_group_size_z
      - .offset:         3394
        .size:           2
        .value_kind:     hidden_remainder_x
      - .offset:         3396
        .size:           2
        .value_kind:     hidden_remainder_y
      - .offset:         3398
        .size:           2
        .value_kind:     hidden_remainder_z
      - .offset:         3416
        .size:           8
        .value_kind:     hidden_global_offset_x
      - .offset:         3424
        .size:           8
        .value_kind:     hidden_global_offset_y
      - .offset:         3432
        .size:           8
        .value_kind:     hidden_global_offset_z
      - .offset:         3440
        .size:           2
        .value_kind:     hidden_grid_dims
    .group_segment_fixed_size: 0
    .kernarg_segment_align: 8
    .kernarg_segment_size: 3632
    .language:       OpenCL C
    .language_version:
      - 2
      - 0
    .max_flat_workgroup_size: 512
    .name:           _ZN2at6native12_GLOBAL__N_125multi_tensor_apply_kernelINS1_18TensorListMetadataILi1EEENS1_14UnaryOpFunctorIN3c104HalfELi1ELi1ELi0EEEJNS0_4CeilIfEEEEEvT_T0_DpT1_
    .private_segment_fixed_size: 0
    .sgpr_count:     22
    .sgpr_spill_count: 0
    .symbol:         _ZN2at6native12_GLOBAL__N_125multi_tensor_apply_kernelINS1_18TensorListMetadataILi1EEENS1_14UnaryOpFunctorIN3c104HalfELi1ELi1ELi0EEEJNS0_4CeilIfEEEEEvT_T0_DpT1_.kd
    .uniform_work_group_size: 1
    .uses_dynamic_stack: false
    .vgpr_count:     24
    .vgpr_spill_count: 0
    .wavefront_size: 32
  - .args:
      - .offset:         0
        .size:           3368
        .value_kind:     by_value
      - .offset:         3368
        .size:           1
        .value_kind:     by_value
      - .offset:         3369
        .size:           1
        .value_kind:     by_value
      - .offset:         3376
        .size:           4
        .value_kind:     hidden_block_count_x
      - .offset:         3380
        .size:           4
        .value_kind:     hidden_block_count_y
      - .offset:         3384
        .size:           4
        .value_kind:     hidden_block_count_z
      - .offset:         3388
        .size:           2
        .value_kind:     hidden_group_size_x
      - .offset:         3390
        .size:           2
        .value_kind:     hidden_group_size_y
      - .offset:         3392
        .size:           2
        .value_kind:     hidden_group_size_z
      - .offset:         3394
        .size:           2
        .value_kind:     hidden_remainder_x
      - .offset:         3396
        .size:           2
        .value_kind:     hidden_remainder_y
      - .offset:         3398
        .size:           2
        .value_kind:     hidden_remainder_z
      - .offset:         3416
        .size:           8
        .value_kind:     hidden_global_offset_x
      - .offset:         3424
        .size:           8
        .value_kind:     hidden_global_offset_y
      - .offset:         3432
        .size:           8
        .value_kind:     hidden_global_offset_z
      - .offset:         3440
        .size:           2
        .value_kind:     hidden_grid_dims
    .group_segment_fixed_size: 0
    .kernarg_segment_align: 8
    .kernarg_segment_size: 3632
    .language:       OpenCL C
    .language_version:
      - 2
      - 0
    .max_flat_workgroup_size: 512
    .name:           _ZN2at6native12_GLOBAL__N_125multi_tensor_apply_kernelINS1_18TensorListMetadataILi1EEENS1_14UnaryOpFunctorIN3c108BFloat16ELi1ELi1ELi0EEEJNS0_4CeilIfEEEEEvT_T0_DpT1_
    .private_segment_fixed_size: 0
    .sgpr_count:     22
    .sgpr_spill_count: 0
    .symbol:         _ZN2at6native12_GLOBAL__N_125multi_tensor_apply_kernelINS1_18TensorListMetadataILi1EEENS1_14UnaryOpFunctorIN3c108BFloat16ELi1ELi1ELi0EEEJNS0_4CeilIfEEEEEvT_T0_DpT1_.kd
    .uniform_work_group_size: 1
    .uses_dynamic_stack: false
    .vgpr_count:     25
    .vgpr_spill_count: 0
    .wavefront_size: 32
  - .args:
      - .offset:         0
        .size:           3144
        .value_kind:     by_value
      - .offset:         3144
        .size:           1
        .value_kind:     by_value
      - .offset:         3145
        .size:           1
        .value_kind:     by_value
      - .offset:         3152
        .size:           4
        .value_kind:     hidden_block_count_x
      - .offset:         3156
        .size:           4
        .value_kind:     hidden_block_count_y
      - .offset:         3160
        .size:           4
        .value_kind:     hidden_block_count_z
      - .offset:         3164
        .size:           2
        .value_kind:     hidden_group_size_x
      - .offset:         3166
        .size:           2
        .value_kind:     hidden_group_size_y
      - .offset:         3168
        .size:           2
        .value_kind:     hidden_group_size_z
      - .offset:         3170
        .size:           2
        .value_kind:     hidden_remainder_x
      - .offset:         3172
        .size:           2
        .value_kind:     hidden_remainder_y
      - .offset:         3174
        .size:           2
        .value_kind:     hidden_remainder_z
      - .offset:         3192
        .size:           8
        .value_kind:     hidden_global_offset_x
      - .offset:         3200
        .size:           8
        .value_kind:     hidden_global_offset_y
      - .offset:         3208
        .size:           8
        .value_kind:     hidden_global_offset_z
      - .offset:         3216
        .size:           2
        .value_kind:     hidden_grid_dims
    .group_segment_fixed_size: 0
    .kernarg_segment_align: 8
    .kernarg_segment_size: 3408
    .language:       OpenCL C
    .language_version:
      - 2
      - 0
    .max_flat_workgroup_size: 512
    .name:           _ZN2at6native12_GLOBAL__N_125multi_tensor_apply_kernelINS1_18TensorListMetadataILi2EEENS1_14UnaryOpFunctorIdLi2ELi1ELi1EEEJNS0_4AcosIdEEEEEvT_T0_DpT1_
    .private_segment_fixed_size: 0
    .sgpr_count:     25
    .sgpr_spill_count: 0
    .symbol:         _ZN2at6native12_GLOBAL__N_125multi_tensor_apply_kernelINS1_18TensorListMetadataILi2EEENS1_14UnaryOpFunctorIdLi2ELi1ELi1EEEJNS0_4AcosIdEEEEEvT_T0_DpT1_.kd
    .uniform_work_group_size: 1
    .uses_dynamic_stack: false
    .vgpr_count:     56
    .vgpr_spill_count: 0
    .wavefront_size: 32
  - .args:
      - .offset:         0
        .size:           3144
        .value_kind:     by_value
      - .offset:         3144
        .size:           1
        .value_kind:     by_value
      - .offset:         3145
        .size:           1
        .value_kind:     by_value
      - .offset:         3152
        .size:           4
        .value_kind:     hidden_block_count_x
      - .offset:         3156
        .size:           4
        .value_kind:     hidden_block_count_y
      - .offset:         3160
        .size:           4
        .value_kind:     hidden_block_count_z
      - .offset:         3164
        .size:           2
        .value_kind:     hidden_group_size_x
      - .offset:         3166
        .size:           2
        .value_kind:     hidden_group_size_y
      - .offset:         3168
        .size:           2
        .value_kind:     hidden_group_size_z
      - .offset:         3170
        .size:           2
        .value_kind:     hidden_remainder_x
      - .offset:         3172
        .size:           2
        .value_kind:     hidden_remainder_y
      - .offset:         3174
        .size:           2
        .value_kind:     hidden_remainder_z
      - .offset:         3192
        .size:           8
        .value_kind:     hidden_global_offset_x
      - .offset:         3200
        .size:           8
        .value_kind:     hidden_global_offset_y
      - .offset:         3208
        .size:           8
        .value_kind:     hidden_global_offset_z
      - .offset:         3216
        .size:           2
        .value_kind:     hidden_grid_dims
    .group_segment_fixed_size: 0
    .kernarg_segment_align: 8
    .kernarg_segment_size: 3408
    .language:       OpenCL C
    .language_version:
      - 2
      - 0
    .max_flat_workgroup_size: 512
    .name:           _ZN2at6native12_GLOBAL__N_125multi_tensor_apply_kernelINS1_18TensorListMetadataILi2EEENS1_14UnaryOpFunctorIfLi2ELi1ELi1EEEJNS0_4AcosIfEEEEEvT_T0_DpT1_
    .private_segment_fixed_size: 0
    .sgpr_count:     44
    .sgpr_spill_count: 0
    .symbol:         _ZN2at6native12_GLOBAL__N_125multi_tensor_apply_kernelINS1_18TensorListMetadataILi2EEENS1_14UnaryOpFunctorIfLi2ELi1ELi1EEEJNS0_4AcosIfEEEEEvT_T0_DpT1_.kd
    .uniform_work_group_size: 1
    .uses_dynamic_stack: false
    .vgpr_count:     35
    .vgpr_spill_count: 0
    .wavefront_size: 32
  - .args:
      - .offset:         0
        .size:           3144
        .value_kind:     by_value
      - .offset:         3144
        .size:           1
        .value_kind:     by_value
      - .offset:         3145
        .size:           1
        .value_kind:     by_value
      - .offset:         3152
        .size:           4
        .value_kind:     hidden_block_count_x
      - .offset:         3156
        .size:           4
        .value_kind:     hidden_block_count_y
      - .offset:         3160
        .size:           4
        .value_kind:     hidden_block_count_z
      - .offset:         3164
        .size:           2
        .value_kind:     hidden_group_size_x
      - .offset:         3166
        .size:           2
        .value_kind:     hidden_group_size_y
      - .offset:         3168
        .size:           2
        .value_kind:     hidden_group_size_z
      - .offset:         3170
        .size:           2
        .value_kind:     hidden_remainder_x
      - .offset:         3172
        .size:           2
        .value_kind:     hidden_remainder_y
      - .offset:         3174
        .size:           2
        .value_kind:     hidden_remainder_z
      - .offset:         3192
        .size:           8
        .value_kind:     hidden_global_offset_x
      - .offset:         3200
        .size:           8
        .value_kind:     hidden_global_offset_y
      - .offset:         3208
        .size:           8
        .value_kind:     hidden_global_offset_z
      - .offset:         3216
        .size:           2
        .value_kind:     hidden_grid_dims
    .group_segment_fixed_size: 0
    .kernarg_segment_align: 8
    .kernarg_segment_size: 3408
    .language:       OpenCL C
    .language_version:
      - 2
      - 0
    .max_flat_workgroup_size: 512
    .name:           _ZN2at6native12_GLOBAL__N_125multi_tensor_apply_kernelINS1_18TensorListMetadataILi2EEENS1_14UnaryOpFunctorIN3c107complexIdEELi2ELi1ELi1EEEJNS0_4AcosIS8_EEEEEvT_T0_DpT1_
    .private_segment_fixed_size: 24
    .sgpr_count:     54
    .sgpr_spill_count: 0
    .symbol:         _ZN2at6native12_GLOBAL__N_125multi_tensor_apply_kernelINS1_18TensorListMetadataILi2EEENS1_14UnaryOpFunctorIN3c107complexIdEELi2ELi1ELi1EEEJNS0_4AcosIS8_EEEEEvT_T0_DpT1_.kd
    .uniform_work_group_size: 1
    .uses_dynamic_stack: false
    .vgpr_count:     84
    .vgpr_spill_count: 0
    .wavefront_size: 32
  - .args:
      - .offset:         0
        .size:           3144
        .value_kind:     by_value
      - .offset:         3144
        .size:           1
        .value_kind:     by_value
      - .offset:         3145
        .size:           1
        .value_kind:     by_value
      - .offset:         3152
        .size:           4
        .value_kind:     hidden_block_count_x
      - .offset:         3156
        .size:           4
        .value_kind:     hidden_block_count_y
      - .offset:         3160
        .size:           4
        .value_kind:     hidden_block_count_z
      - .offset:         3164
        .size:           2
        .value_kind:     hidden_group_size_x
      - .offset:         3166
        .size:           2
        .value_kind:     hidden_group_size_y
      - .offset:         3168
        .size:           2
        .value_kind:     hidden_group_size_z
      - .offset:         3170
        .size:           2
        .value_kind:     hidden_remainder_x
      - .offset:         3172
        .size:           2
        .value_kind:     hidden_remainder_y
      - .offset:         3174
        .size:           2
        .value_kind:     hidden_remainder_z
      - .offset:         3192
        .size:           8
        .value_kind:     hidden_global_offset_x
      - .offset:         3200
        .size:           8
        .value_kind:     hidden_global_offset_y
      - .offset:         3208
        .size:           8
        .value_kind:     hidden_global_offset_z
      - .offset:         3216
        .size:           2
        .value_kind:     hidden_grid_dims
    .group_segment_fixed_size: 0
    .kernarg_segment_align: 8
    .kernarg_segment_size: 3408
    .language:       OpenCL C
    .language_version:
      - 2
      - 0
    .max_flat_workgroup_size: 512
    .name:           _ZN2at6native12_GLOBAL__N_125multi_tensor_apply_kernelINS1_18TensorListMetadataILi2EEENS1_14UnaryOpFunctorIN3c107complexIfEELi2ELi1ELi1EEEJNS0_4AcosIS8_EEEEEvT_T0_DpT1_
    .private_segment_fixed_size: 16
    .sgpr_count:     38
    .sgpr_spill_count: 0
    .symbol:         _ZN2at6native12_GLOBAL__N_125multi_tensor_apply_kernelINS1_18TensorListMetadataILi2EEENS1_14UnaryOpFunctorIN3c107complexIfEELi2ELi1ELi1EEEJNS0_4AcosIS8_EEEEEvT_T0_DpT1_.kd
    .uniform_work_group_size: 1
    .uses_dynamic_stack: false
    .vgpr_count:     60
    .vgpr_spill_count: 0
    .wavefront_size: 32
  - .args:
      - .offset:         0
        .size:           3144
        .value_kind:     by_value
      - .offset:         3144
        .size:           1
        .value_kind:     by_value
      - .offset:         3145
        .size:           1
        .value_kind:     by_value
      - .offset:         3152
        .size:           4
        .value_kind:     hidden_block_count_x
      - .offset:         3156
        .size:           4
        .value_kind:     hidden_block_count_y
      - .offset:         3160
        .size:           4
        .value_kind:     hidden_block_count_z
      - .offset:         3164
        .size:           2
        .value_kind:     hidden_group_size_x
      - .offset:         3166
        .size:           2
        .value_kind:     hidden_group_size_y
      - .offset:         3168
        .size:           2
        .value_kind:     hidden_group_size_z
      - .offset:         3170
        .size:           2
        .value_kind:     hidden_remainder_x
      - .offset:         3172
        .size:           2
        .value_kind:     hidden_remainder_y
      - .offset:         3174
        .size:           2
        .value_kind:     hidden_remainder_z
      - .offset:         3192
        .size:           8
        .value_kind:     hidden_global_offset_x
      - .offset:         3200
        .size:           8
        .value_kind:     hidden_global_offset_y
      - .offset:         3208
        .size:           8
        .value_kind:     hidden_global_offset_z
      - .offset:         3216
        .size:           2
        .value_kind:     hidden_grid_dims
    .group_segment_fixed_size: 0
    .kernarg_segment_align: 8
    .kernarg_segment_size: 3408
    .language:       OpenCL C
    .language_version:
      - 2
      - 0
    .max_flat_workgroup_size: 512
    .name:           _ZN2at6native12_GLOBAL__N_125multi_tensor_apply_kernelINS1_18TensorListMetadataILi2EEENS1_14UnaryOpFunctorIN3c104HalfELi2ELi1ELi1EEEJNS0_4AcosIfEEEEEvT_T0_DpT1_
    .private_segment_fixed_size: 0
    .sgpr_count:     38
    .sgpr_spill_count: 0
    .symbol:         _ZN2at6native12_GLOBAL__N_125multi_tensor_apply_kernelINS1_18TensorListMetadataILi2EEENS1_14UnaryOpFunctorIN3c104HalfELi2ELi1ELi1EEEJNS0_4AcosIfEEEEEvT_T0_DpT1_.kd
    .uniform_work_group_size: 1
    .uses_dynamic_stack: false
    .vgpr_count:     35
    .vgpr_spill_count: 0
    .wavefront_size: 32
  - .args:
      - .offset:         0
        .size:           3144
        .value_kind:     by_value
      - .offset:         3144
        .size:           1
        .value_kind:     by_value
      - .offset:         3145
        .size:           1
        .value_kind:     by_value
      - .offset:         3152
        .size:           4
        .value_kind:     hidden_block_count_x
      - .offset:         3156
        .size:           4
        .value_kind:     hidden_block_count_y
      - .offset:         3160
        .size:           4
        .value_kind:     hidden_block_count_z
      - .offset:         3164
        .size:           2
        .value_kind:     hidden_group_size_x
      - .offset:         3166
        .size:           2
        .value_kind:     hidden_group_size_y
      - .offset:         3168
        .size:           2
        .value_kind:     hidden_group_size_z
      - .offset:         3170
        .size:           2
        .value_kind:     hidden_remainder_x
      - .offset:         3172
        .size:           2
        .value_kind:     hidden_remainder_y
      - .offset:         3174
        .size:           2
        .value_kind:     hidden_remainder_z
      - .offset:         3192
        .size:           8
        .value_kind:     hidden_global_offset_x
      - .offset:         3200
        .size:           8
        .value_kind:     hidden_global_offset_y
      - .offset:         3208
        .size:           8
        .value_kind:     hidden_global_offset_z
      - .offset:         3216
        .size:           2
        .value_kind:     hidden_grid_dims
    .group_segment_fixed_size: 0
    .kernarg_segment_align: 8
    .kernarg_segment_size: 3408
    .language:       OpenCL C
    .language_version:
      - 2
      - 0
    .max_flat_workgroup_size: 512
    .name:           _ZN2at6native12_GLOBAL__N_125multi_tensor_apply_kernelINS1_18TensorListMetadataILi2EEENS1_14UnaryOpFunctorIN3c108BFloat16ELi2ELi1ELi1EEEJNS0_4AcosIfEEEEEvT_T0_DpT1_
    .private_segment_fixed_size: 0
    .sgpr_count:     34
    .sgpr_spill_count: 0
    .symbol:         _ZN2at6native12_GLOBAL__N_125multi_tensor_apply_kernelINS1_18TensorListMetadataILi2EEENS1_14UnaryOpFunctorIN3c108BFloat16ELi2ELi1ELi1EEEJNS0_4AcosIfEEEEEvT_T0_DpT1_.kd
    .uniform_work_group_size: 1
    .uses_dynamic_stack: false
    .vgpr_count:     36
    .vgpr_spill_count: 0
    .wavefront_size: 32
  - .args:
      - .offset:         0
        .size:           3368
        .value_kind:     by_value
      - .offset:         3368
        .size:           1
        .value_kind:     by_value
      - .offset:         3369
        .size:           1
        .value_kind:     by_value
      - .offset:         3376
        .size:           4
        .value_kind:     hidden_block_count_x
      - .offset:         3380
        .size:           4
        .value_kind:     hidden_block_count_y
      - .offset:         3384
        .size:           4
        .value_kind:     hidden_block_count_z
      - .offset:         3388
        .size:           2
        .value_kind:     hidden_group_size_x
      - .offset:         3390
        .size:           2
        .value_kind:     hidden_group_size_y
      - .offset:         3392
        .size:           2
        .value_kind:     hidden_group_size_z
      - .offset:         3394
        .size:           2
        .value_kind:     hidden_remainder_x
      - .offset:         3396
        .size:           2
        .value_kind:     hidden_remainder_y
      - .offset:         3398
        .size:           2
        .value_kind:     hidden_remainder_z
      - .offset:         3416
        .size:           8
        .value_kind:     hidden_global_offset_x
      - .offset:         3424
        .size:           8
        .value_kind:     hidden_global_offset_y
      - .offset:         3432
        .size:           8
        .value_kind:     hidden_global_offset_z
      - .offset:         3440
        .size:           2
        .value_kind:     hidden_grid_dims
    .group_segment_fixed_size: 0
    .kernarg_segment_align: 8
    .kernarg_segment_size: 3632
    .language:       OpenCL C
    .language_version:
      - 2
      - 0
    .max_flat_workgroup_size: 512
    .name:           _ZN2at6native12_GLOBAL__N_125multi_tensor_apply_kernelINS1_18TensorListMetadataILi1EEENS1_14UnaryOpFunctorIdLi1ELi1ELi0EEEJNS0_4AcosIdEEEEEvT_T0_DpT1_
    .private_segment_fixed_size: 0
    .sgpr_count:     31
    .sgpr_spill_count: 0
    .symbol:         _ZN2at6native12_GLOBAL__N_125multi_tensor_apply_kernelINS1_18TensorListMetadataILi1EEENS1_14UnaryOpFunctorIdLi1ELi1ELi0EEEJNS0_4AcosIdEEEEEvT_T0_DpT1_.kd
    .uniform_work_group_size: 1
    .uses_dynamic_stack: false
    .vgpr_count:     48
    .vgpr_spill_count: 0
    .wavefront_size: 32
  - .args:
      - .offset:         0
        .size:           3368
        .value_kind:     by_value
      - .offset:         3368
        .size:           1
        .value_kind:     by_value
      - .offset:         3369
        .size:           1
        .value_kind:     by_value
      - .offset:         3376
        .size:           4
        .value_kind:     hidden_block_count_x
      - .offset:         3380
        .size:           4
        .value_kind:     hidden_block_count_y
      - .offset:         3384
        .size:           4
        .value_kind:     hidden_block_count_z
      - .offset:         3388
        .size:           2
        .value_kind:     hidden_group_size_x
      - .offset:         3390
        .size:           2
        .value_kind:     hidden_group_size_y
      - .offset:         3392
        .size:           2
        .value_kind:     hidden_group_size_z
      - .offset:         3394
        .size:           2
        .value_kind:     hidden_remainder_x
      - .offset:         3396
        .size:           2
        .value_kind:     hidden_remainder_y
      - .offset:         3398
        .size:           2
        .value_kind:     hidden_remainder_z
      - .offset:         3416
        .size:           8
        .value_kind:     hidden_global_offset_x
      - .offset:         3424
        .size:           8
        .value_kind:     hidden_global_offset_y
      - .offset:         3432
        .size:           8
        .value_kind:     hidden_global_offset_z
      - .offset:         3440
        .size:           2
        .value_kind:     hidden_grid_dims
    .group_segment_fixed_size: 0
    .kernarg_segment_align: 8
    .kernarg_segment_size: 3632
    .language:       OpenCL C
    .language_version:
      - 2
      - 0
    .max_flat_workgroup_size: 512
    .name:           _ZN2at6native12_GLOBAL__N_125multi_tensor_apply_kernelINS1_18TensorListMetadataILi1EEENS1_14UnaryOpFunctorIfLi1ELi1ELi0EEEJNS0_4AcosIfEEEEEvT_T0_DpT1_
    .private_segment_fixed_size: 0
    .sgpr_count:     26
    .sgpr_spill_count: 0
    .symbol:         _ZN2at6native12_GLOBAL__N_125multi_tensor_apply_kernelINS1_18TensorListMetadataILi1EEENS1_14UnaryOpFunctorIfLi1ELi1ELi0EEEJNS0_4AcosIfEEEEEvT_T0_DpT1_.kd
    .uniform_work_group_size: 1
    .uses_dynamic_stack: false
    .vgpr_count:     27
    .vgpr_spill_count: 0
    .wavefront_size: 32
  - .args:
      - .offset:         0
        .size:           3368
        .value_kind:     by_value
      - .offset:         3368
        .size:           1
        .value_kind:     by_value
      - .offset:         3369
        .size:           1
        .value_kind:     by_value
      - .offset:         3376
        .size:           4
        .value_kind:     hidden_block_count_x
      - .offset:         3380
        .size:           4
        .value_kind:     hidden_block_count_y
      - .offset:         3384
        .size:           4
        .value_kind:     hidden_block_count_z
      - .offset:         3388
        .size:           2
        .value_kind:     hidden_group_size_x
      - .offset:         3390
        .size:           2
        .value_kind:     hidden_group_size_y
      - .offset:         3392
        .size:           2
        .value_kind:     hidden_group_size_z
      - .offset:         3394
        .size:           2
        .value_kind:     hidden_remainder_x
      - .offset:         3396
        .size:           2
        .value_kind:     hidden_remainder_y
      - .offset:         3398
        .size:           2
        .value_kind:     hidden_remainder_z
      - .offset:         3416
        .size:           8
        .value_kind:     hidden_global_offset_x
      - .offset:         3424
        .size:           8
        .value_kind:     hidden_global_offset_y
      - .offset:         3432
        .size:           8
        .value_kind:     hidden_global_offset_z
      - .offset:         3440
        .size:           2
        .value_kind:     hidden_grid_dims
    .group_segment_fixed_size: 0
    .kernarg_segment_align: 8
    .kernarg_segment_size: 3632
    .language:       OpenCL C
    .language_version:
      - 2
      - 0
    .max_flat_workgroup_size: 512
    .name:           _ZN2at6native12_GLOBAL__N_125multi_tensor_apply_kernelINS1_18TensorListMetadataILi1EEENS1_14UnaryOpFunctorIN3c107complexIdEELi1ELi1ELi0EEEJNS0_4AcosIS8_EEEEEvT_T0_DpT1_
    .private_segment_fixed_size: 24
    .sgpr_count:     54
    .sgpr_spill_count: 0
    .symbol:         _ZN2at6native12_GLOBAL__N_125multi_tensor_apply_kernelINS1_18TensorListMetadataILi1EEENS1_14UnaryOpFunctorIN3c107complexIdEELi1ELi1ELi0EEEJNS0_4AcosIS8_EEEEEvT_T0_DpT1_.kd
    .uniform_work_group_size: 1
    .uses_dynamic_stack: false
    .vgpr_count:     98
    .vgpr_spill_count: 0
    .wavefront_size: 32
  - .args:
      - .offset:         0
        .size:           3368
        .value_kind:     by_value
      - .offset:         3368
        .size:           1
        .value_kind:     by_value
      - .offset:         3369
        .size:           1
        .value_kind:     by_value
      - .offset:         3376
        .size:           4
        .value_kind:     hidden_block_count_x
      - .offset:         3380
        .size:           4
        .value_kind:     hidden_block_count_y
      - .offset:         3384
        .size:           4
        .value_kind:     hidden_block_count_z
      - .offset:         3388
        .size:           2
        .value_kind:     hidden_group_size_x
      - .offset:         3390
        .size:           2
        .value_kind:     hidden_group_size_y
      - .offset:         3392
        .size:           2
        .value_kind:     hidden_group_size_z
      - .offset:         3394
        .size:           2
        .value_kind:     hidden_remainder_x
      - .offset:         3396
        .size:           2
        .value_kind:     hidden_remainder_y
      - .offset:         3398
        .size:           2
        .value_kind:     hidden_remainder_z
      - .offset:         3416
        .size:           8
        .value_kind:     hidden_global_offset_x
      - .offset:         3424
        .size:           8
        .value_kind:     hidden_global_offset_y
      - .offset:         3432
        .size:           8
        .value_kind:     hidden_global_offset_z
      - .offset:         3440
        .size:           2
        .value_kind:     hidden_grid_dims
    .group_segment_fixed_size: 0
    .kernarg_segment_align: 8
    .kernarg_segment_size: 3632
    .language:       OpenCL C
    .language_version:
      - 2
      - 0
    .max_flat_workgroup_size: 512
    .name:           _ZN2at6native12_GLOBAL__N_125multi_tensor_apply_kernelINS1_18TensorListMetadataILi1EEENS1_14UnaryOpFunctorIN3c107complexIfEELi1ELi1ELi0EEEJNS0_4AcosIS8_EEEEEvT_T0_DpT1_
    .private_segment_fixed_size: 16
    .sgpr_count:     38
    .sgpr_spill_count: 0
    .symbol:         _ZN2at6native12_GLOBAL__N_125multi_tensor_apply_kernelINS1_18TensorListMetadataILi1EEENS1_14UnaryOpFunctorIN3c107complexIfEELi1ELi1ELi0EEEJNS0_4AcosIS8_EEEEEvT_T0_DpT1_.kd
    .uniform_work_group_size: 1
    .uses_dynamic_stack: false
    .vgpr_count:     76
    .vgpr_spill_count: 0
    .wavefront_size: 32
  - .args:
      - .offset:         0
        .size:           3368
        .value_kind:     by_value
      - .offset:         3368
        .size:           1
        .value_kind:     by_value
      - .offset:         3369
        .size:           1
        .value_kind:     by_value
      - .offset:         3376
        .size:           4
        .value_kind:     hidden_block_count_x
      - .offset:         3380
        .size:           4
        .value_kind:     hidden_block_count_y
      - .offset:         3384
        .size:           4
        .value_kind:     hidden_block_count_z
      - .offset:         3388
        .size:           2
        .value_kind:     hidden_group_size_x
      - .offset:         3390
        .size:           2
        .value_kind:     hidden_group_size_y
      - .offset:         3392
        .size:           2
        .value_kind:     hidden_group_size_z
      - .offset:         3394
        .size:           2
        .value_kind:     hidden_remainder_x
      - .offset:         3396
        .size:           2
        .value_kind:     hidden_remainder_y
      - .offset:         3398
        .size:           2
        .value_kind:     hidden_remainder_z
      - .offset:         3416
        .size:           8
        .value_kind:     hidden_global_offset_x
      - .offset:         3424
        .size:           8
        .value_kind:     hidden_global_offset_y
      - .offset:         3432
        .size:           8
        .value_kind:     hidden_global_offset_z
      - .offset:         3440
        .size:           2
        .value_kind:     hidden_grid_dims
    .group_segment_fixed_size: 0
    .kernarg_segment_align: 8
    .kernarg_segment_size: 3632
    .language:       OpenCL C
    .language_version:
      - 2
      - 0
    .max_flat_workgroup_size: 512
    .name:           _ZN2at6native12_GLOBAL__N_125multi_tensor_apply_kernelINS1_18TensorListMetadataILi1EEENS1_14UnaryOpFunctorIN3c104HalfELi1ELi1ELi0EEEJNS0_4AcosIfEEEEEvT_T0_DpT1_
    .private_segment_fixed_size: 0
    .sgpr_count:     26
    .sgpr_spill_count: 0
    .symbol:         _ZN2at6native12_GLOBAL__N_125multi_tensor_apply_kernelINS1_18TensorListMetadataILi1EEENS1_14UnaryOpFunctorIN3c104HalfELi1ELi1ELi0EEEJNS0_4AcosIfEEEEEvT_T0_DpT1_.kd
    .uniform_work_group_size: 1
    .uses_dynamic_stack: false
    .vgpr_count:     27
    .vgpr_spill_count: 0
    .wavefront_size: 32
  - .args:
      - .offset:         0
        .size:           3368
        .value_kind:     by_value
      - .offset:         3368
        .size:           1
        .value_kind:     by_value
      - .offset:         3369
        .size:           1
        .value_kind:     by_value
      - .offset:         3376
        .size:           4
        .value_kind:     hidden_block_count_x
      - .offset:         3380
        .size:           4
        .value_kind:     hidden_block_count_y
      - .offset:         3384
        .size:           4
        .value_kind:     hidden_block_count_z
      - .offset:         3388
        .size:           2
        .value_kind:     hidden_group_size_x
      - .offset:         3390
        .size:           2
        .value_kind:     hidden_group_size_y
      - .offset:         3392
        .size:           2
        .value_kind:     hidden_group_size_z
      - .offset:         3394
        .size:           2
        .value_kind:     hidden_remainder_x
      - .offset:         3396
        .size:           2
        .value_kind:     hidden_remainder_y
      - .offset:         3398
        .size:           2
        .value_kind:     hidden_remainder_z
      - .offset:         3416
        .size:           8
        .value_kind:     hidden_global_offset_x
      - .offset:         3424
        .size:           8
        .value_kind:     hidden_global_offset_y
      - .offset:         3432
        .size:           8
        .value_kind:     hidden_global_offset_z
      - .offset:         3440
        .size:           2
        .value_kind:     hidden_grid_dims
    .group_segment_fixed_size: 0
    .kernarg_segment_align: 8
    .kernarg_segment_size: 3632
    .language:       OpenCL C
    .language_version:
      - 2
      - 0
    .max_flat_workgroup_size: 512
    .name:           _ZN2at6native12_GLOBAL__N_125multi_tensor_apply_kernelINS1_18TensorListMetadataILi1EEENS1_14UnaryOpFunctorIN3c108BFloat16ELi1ELi1ELi0EEEJNS0_4AcosIfEEEEEvT_T0_DpT1_
    .private_segment_fixed_size: 0
    .sgpr_count:     40
    .sgpr_spill_count: 0
    .symbol:         _ZN2at6native12_GLOBAL__N_125multi_tensor_apply_kernelINS1_18TensorListMetadataILi1EEENS1_14UnaryOpFunctorIN3c108BFloat16ELi1ELi1ELi0EEEJNS0_4AcosIfEEEEEvT_T0_DpT1_.kd
    .uniform_work_group_size: 1
    .uses_dynamic_stack: false
    .vgpr_count:     28
    .vgpr_spill_count: 0
    .wavefront_size: 32
  - .args:
      - .offset:         0
        .size:           3144
        .value_kind:     by_value
      - .offset:         3144
        .size:           1
        .value_kind:     by_value
      - .offset:         3145
        .size:           1
        .value_kind:     by_value
      - .offset:         3152
        .size:           4
        .value_kind:     hidden_block_count_x
      - .offset:         3156
        .size:           4
        .value_kind:     hidden_block_count_y
      - .offset:         3160
        .size:           4
        .value_kind:     hidden_block_count_z
      - .offset:         3164
        .size:           2
        .value_kind:     hidden_group_size_x
      - .offset:         3166
        .size:           2
        .value_kind:     hidden_group_size_y
      - .offset:         3168
        .size:           2
        .value_kind:     hidden_group_size_z
      - .offset:         3170
        .size:           2
        .value_kind:     hidden_remainder_x
      - .offset:         3172
        .size:           2
        .value_kind:     hidden_remainder_y
      - .offset:         3174
        .size:           2
        .value_kind:     hidden_remainder_z
      - .offset:         3192
        .size:           8
        .value_kind:     hidden_global_offset_x
      - .offset:         3200
        .size:           8
        .value_kind:     hidden_global_offset_y
      - .offset:         3208
        .size:           8
        .value_kind:     hidden_global_offset_z
      - .offset:         3216
        .size:           2
        .value_kind:     hidden_grid_dims
    .group_segment_fixed_size: 0
    .kernarg_segment_align: 8
    .kernarg_segment_size: 3408
    .language:       OpenCL C
    .language_version:
      - 2
      - 0
    .max_flat_workgroup_size: 512
    .name:           _ZN2at6native12_GLOBAL__N_125multi_tensor_apply_kernelINS1_18TensorListMetadataILi2EEENS1_14UnaryOpFunctorIdLi2ELi1ELi1EEEJNS0_4AsinIdEEEEEvT_T0_DpT1_
    .private_segment_fixed_size: 0
    .sgpr_count:     22
    .sgpr_spill_count: 0
    .symbol:         _ZN2at6native12_GLOBAL__N_125multi_tensor_apply_kernelINS1_18TensorListMetadataILi2EEENS1_14UnaryOpFunctorIdLi2ELi1ELi1EEEJNS0_4AsinIdEEEEEvT_T0_DpT1_.kd
    .uniform_work_group_size: 1
    .uses_dynamic_stack: false
    .vgpr_count:     62
    .vgpr_spill_count: 0
    .wavefront_size: 32
  - .args:
      - .offset:         0
        .size:           3144
        .value_kind:     by_value
      - .offset:         3144
        .size:           1
        .value_kind:     by_value
      - .offset:         3145
        .size:           1
        .value_kind:     by_value
      - .offset:         3152
        .size:           4
        .value_kind:     hidden_block_count_x
      - .offset:         3156
        .size:           4
        .value_kind:     hidden_block_count_y
      - .offset:         3160
        .size:           4
        .value_kind:     hidden_block_count_z
      - .offset:         3164
        .size:           2
        .value_kind:     hidden_group_size_x
      - .offset:         3166
        .size:           2
        .value_kind:     hidden_group_size_y
      - .offset:         3168
        .size:           2
        .value_kind:     hidden_group_size_z
      - .offset:         3170
        .size:           2
        .value_kind:     hidden_remainder_x
      - .offset:         3172
        .size:           2
        .value_kind:     hidden_remainder_y
      - .offset:         3174
        .size:           2
        .value_kind:     hidden_remainder_z
      - .offset:         3192
        .size:           8
        .value_kind:     hidden_global_offset_x
      - .offset:         3200
        .size:           8
        .value_kind:     hidden_global_offset_y
      - .offset:         3208
        .size:           8
        .value_kind:     hidden_global_offset_z
      - .offset:         3216
        .size:           2
        .value_kind:     hidden_grid_dims
    .group_segment_fixed_size: 0
    .kernarg_segment_align: 8
    .kernarg_segment_size: 3408
    .language:       OpenCL C
    .language_version:
      - 2
      - 0
    .max_flat_workgroup_size: 512
    .name:           _ZN2at6native12_GLOBAL__N_125multi_tensor_apply_kernelINS1_18TensorListMetadataILi2EEENS1_14UnaryOpFunctorIfLi2ELi1ELi1EEEJNS0_4AsinIfEEEEEvT_T0_DpT1_
    .private_segment_fixed_size: 0
    .sgpr_count:     38
    .sgpr_spill_count: 0
    .symbol:         _ZN2at6native12_GLOBAL__N_125multi_tensor_apply_kernelINS1_18TensorListMetadataILi2EEENS1_14UnaryOpFunctorIfLi2ELi1ELi1EEEJNS0_4AsinIfEEEEEvT_T0_DpT1_.kd
    .uniform_work_group_size: 1
    .uses_dynamic_stack: false
    .vgpr_count:     35
    .vgpr_spill_count: 0
    .wavefront_size: 32
  - .args:
      - .offset:         0
        .size:           3144
        .value_kind:     by_value
      - .offset:         3144
        .size:           1
        .value_kind:     by_value
      - .offset:         3145
        .size:           1
        .value_kind:     by_value
      - .offset:         3152
        .size:           4
        .value_kind:     hidden_block_count_x
      - .offset:         3156
        .size:           4
        .value_kind:     hidden_block_count_y
      - .offset:         3160
        .size:           4
        .value_kind:     hidden_block_count_z
      - .offset:         3164
        .size:           2
        .value_kind:     hidden_group_size_x
      - .offset:         3166
        .size:           2
        .value_kind:     hidden_group_size_y
      - .offset:         3168
        .size:           2
        .value_kind:     hidden_group_size_z
      - .offset:         3170
        .size:           2
        .value_kind:     hidden_remainder_x
      - .offset:         3172
        .size:           2
        .value_kind:     hidden_remainder_y
      - .offset:         3174
        .size:           2
        .value_kind:     hidden_remainder_z
      - .offset:         3192
        .size:           8
        .value_kind:     hidden_global_offset_x
      - .offset:         3200
        .size:           8
        .value_kind:     hidden_global_offset_y
      - .offset:         3208
        .size:           8
        .value_kind:     hidden_global_offset_z
      - .offset:         3216
        .size:           2
        .value_kind:     hidden_grid_dims
    .group_segment_fixed_size: 0
    .kernarg_segment_align: 8
    .kernarg_segment_size: 3408
    .language:       OpenCL C
    .language_version:
      - 2
      - 0
    .max_flat_workgroup_size: 512
    .name:           _ZN2at6native12_GLOBAL__N_125multi_tensor_apply_kernelINS1_18TensorListMetadataILi2EEENS1_14UnaryOpFunctorIN3c107complexIdEELi2ELi1ELi1EEEJNS0_4AsinIS8_EEEEEvT_T0_DpT1_
    .private_segment_fixed_size: 12
    .sgpr_count:     38
    .sgpr_spill_count: 0
    .symbol:         _ZN2at6native12_GLOBAL__N_125multi_tensor_apply_kernelINS1_18TensorListMetadataILi2EEENS1_14UnaryOpFunctorIN3c107complexIdEELi2ELi1ELi1EEEJNS0_4AsinIS8_EEEEEvT_T0_DpT1_.kd
    .uniform_work_group_size: 1
    .uses_dynamic_stack: false
    .vgpr_count:     72
    .vgpr_spill_count: 0
    .wavefront_size: 32
  - .args:
      - .offset:         0
        .size:           3144
        .value_kind:     by_value
      - .offset:         3144
        .size:           1
        .value_kind:     by_value
      - .offset:         3145
        .size:           1
        .value_kind:     by_value
      - .offset:         3152
        .size:           4
        .value_kind:     hidden_block_count_x
      - .offset:         3156
        .size:           4
        .value_kind:     hidden_block_count_y
      - .offset:         3160
        .size:           4
        .value_kind:     hidden_block_count_z
      - .offset:         3164
        .size:           2
        .value_kind:     hidden_group_size_x
      - .offset:         3166
        .size:           2
        .value_kind:     hidden_group_size_y
      - .offset:         3168
        .size:           2
        .value_kind:     hidden_group_size_z
      - .offset:         3170
        .size:           2
        .value_kind:     hidden_remainder_x
      - .offset:         3172
        .size:           2
        .value_kind:     hidden_remainder_y
      - .offset:         3174
        .size:           2
        .value_kind:     hidden_remainder_z
      - .offset:         3192
        .size:           8
        .value_kind:     hidden_global_offset_x
      - .offset:         3200
        .size:           8
        .value_kind:     hidden_global_offset_y
      - .offset:         3208
        .size:           8
        .value_kind:     hidden_global_offset_z
      - .offset:         3216
        .size:           2
        .value_kind:     hidden_grid_dims
    .group_segment_fixed_size: 0
    .kernarg_segment_align: 8
    .kernarg_segment_size: 3408
    .language:       OpenCL C
    .language_version:
      - 2
      - 0
    .max_flat_workgroup_size: 512
    .name:           _ZN2at6native12_GLOBAL__N_125multi_tensor_apply_kernelINS1_18TensorListMetadataILi2EEENS1_14UnaryOpFunctorIN3c107complexIfEELi2ELi1ELi1EEEJNS0_4AsinIS8_EEEEEvT_T0_DpT1_
    .private_segment_fixed_size: 12
    .sgpr_count:     36
    .sgpr_spill_count: 0
    .symbol:         _ZN2at6native12_GLOBAL__N_125multi_tensor_apply_kernelINS1_18TensorListMetadataILi2EEENS1_14UnaryOpFunctorIN3c107complexIfEELi2ELi1ELi1EEEJNS0_4AsinIS8_EEEEEvT_T0_DpT1_.kd
    .uniform_work_group_size: 1
    .uses_dynamic_stack: false
    .vgpr_count:     72
    .vgpr_spill_count: 0
    .wavefront_size: 32
  - .args:
      - .offset:         0
        .size:           3144
        .value_kind:     by_value
      - .offset:         3144
        .size:           1
        .value_kind:     by_value
      - .offset:         3145
        .size:           1
        .value_kind:     by_value
      - .offset:         3152
        .size:           4
        .value_kind:     hidden_block_count_x
      - .offset:         3156
        .size:           4
        .value_kind:     hidden_block_count_y
      - .offset:         3160
        .size:           4
        .value_kind:     hidden_block_count_z
      - .offset:         3164
        .size:           2
        .value_kind:     hidden_group_size_x
      - .offset:         3166
        .size:           2
        .value_kind:     hidden_group_size_y
      - .offset:         3168
        .size:           2
        .value_kind:     hidden_group_size_z
      - .offset:         3170
        .size:           2
        .value_kind:     hidden_remainder_x
      - .offset:         3172
        .size:           2
        .value_kind:     hidden_remainder_y
      - .offset:         3174
        .size:           2
        .value_kind:     hidden_remainder_z
      - .offset:         3192
        .size:           8
        .value_kind:     hidden_global_offset_x
      - .offset:         3200
        .size:           8
        .value_kind:     hidden_global_offset_y
      - .offset:         3208
        .size:           8
        .value_kind:     hidden_global_offset_z
      - .offset:         3216
        .size:           2
        .value_kind:     hidden_grid_dims
    .group_segment_fixed_size: 0
    .kernarg_segment_align: 8
    .kernarg_segment_size: 3408
    .language:       OpenCL C
    .language_version:
      - 2
      - 0
    .max_flat_workgroup_size: 512
    .name:           _ZN2at6native12_GLOBAL__N_125multi_tensor_apply_kernelINS1_18TensorListMetadataILi2EEENS1_14UnaryOpFunctorIN3c104HalfELi2ELi1ELi1EEEJNS0_4AsinIfEEEEEvT_T0_DpT1_
    .private_segment_fixed_size: 0
    .sgpr_count:     32
    .sgpr_spill_count: 0
    .symbol:         _ZN2at6native12_GLOBAL__N_125multi_tensor_apply_kernelINS1_18TensorListMetadataILi2EEENS1_14UnaryOpFunctorIN3c104HalfELi2ELi1ELi1EEEJNS0_4AsinIfEEEEEvT_T0_DpT1_.kd
    .uniform_work_group_size: 1
    .uses_dynamic_stack: false
    .vgpr_count:     35
    .vgpr_spill_count: 0
    .wavefront_size: 32
  - .args:
      - .offset:         0
        .size:           3144
        .value_kind:     by_value
      - .offset:         3144
        .size:           1
        .value_kind:     by_value
      - .offset:         3145
        .size:           1
        .value_kind:     by_value
      - .offset:         3152
        .size:           4
        .value_kind:     hidden_block_count_x
      - .offset:         3156
        .size:           4
        .value_kind:     hidden_block_count_y
      - .offset:         3160
        .size:           4
        .value_kind:     hidden_block_count_z
      - .offset:         3164
        .size:           2
        .value_kind:     hidden_group_size_x
      - .offset:         3166
        .size:           2
        .value_kind:     hidden_group_size_y
      - .offset:         3168
        .size:           2
        .value_kind:     hidden_group_size_z
      - .offset:         3170
        .size:           2
        .value_kind:     hidden_remainder_x
      - .offset:         3172
        .size:           2
        .value_kind:     hidden_remainder_y
      - .offset:         3174
        .size:           2
        .value_kind:     hidden_remainder_z
      - .offset:         3192
        .size:           8
        .value_kind:     hidden_global_offset_x
      - .offset:         3200
        .size:           8
        .value_kind:     hidden_global_offset_y
      - .offset:         3208
        .size:           8
        .value_kind:     hidden_global_offset_z
      - .offset:         3216
        .size:           2
        .value_kind:     hidden_grid_dims
    .group_segment_fixed_size: 0
    .kernarg_segment_align: 8
    .kernarg_segment_size: 3408
    .language:       OpenCL C
    .language_version:
      - 2
      - 0
    .max_flat_workgroup_size: 512
    .name:           _ZN2at6native12_GLOBAL__N_125multi_tensor_apply_kernelINS1_18TensorListMetadataILi2EEENS1_14UnaryOpFunctorIN3c108BFloat16ELi2ELi1ELi1EEEJNS0_4AsinIfEEEEEvT_T0_DpT1_
    .private_segment_fixed_size: 0
    .sgpr_count:     30
    .sgpr_spill_count: 0
    .symbol:         _ZN2at6native12_GLOBAL__N_125multi_tensor_apply_kernelINS1_18TensorListMetadataILi2EEENS1_14UnaryOpFunctorIN3c108BFloat16ELi2ELi1ELi1EEEJNS0_4AsinIfEEEEEvT_T0_DpT1_.kd
    .uniform_work_group_size: 1
    .uses_dynamic_stack: false
    .vgpr_count:     38
    .vgpr_spill_count: 0
    .wavefront_size: 32
  - .args:
      - .offset:         0
        .size:           3368
        .value_kind:     by_value
      - .offset:         3368
        .size:           1
        .value_kind:     by_value
      - .offset:         3369
        .size:           1
        .value_kind:     by_value
      - .offset:         3376
        .size:           4
        .value_kind:     hidden_block_count_x
      - .offset:         3380
        .size:           4
        .value_kind:     hidden_block_count_y
      - .offset:         3384
        .size:           4
        .value_kind:     hidden_block_count_z
      - .offset:         3388
        .size:           2
        .value_kind:     hidden_group_size_x
      - .offset:         3390
        .size:           2
        .value_kind:     hidden_group_size_y
      - .offset:         3392
        .size:           2
        .value_kind:     hidden_group_size_z
      - .offset:         3394
        .size:           2
        .value_kind:     hidden_remainder_x
      - .offset:         3396
        .size:           2
        .value_kind:     hidden_remainder_y
      - .offset:         3398
        .size:           2
        .value_kind:     hidden_remainder_z
      - .offset:         3416
        .size:           8
        .value_kind:     hidden_global_offset_x
      - .offset:         3424
        .size:           8
        .value_kind:     hidden_global_offset_y
      - .offset:         3432
        .size:           8
        .value_kind:     hidden_global_offset_z
      - .offset:         3440
        .size:           2
        .value_kind:     hidden_grid_dims
    .group_segment_fixed_size: 0
    .kernarg_segment_align: 8
    .kernarg_segment_size: 3632
    .language:       OpenCL C
    .language_version:
      - 2
      - 0
    .max_flat_workgroup_size: 512
    .name:           _ZN2at6native12_GLOBAL__N_125multi_tensor_apply_kernelINS1_18TensorListMetadataILi1EEENS1_14UnaryOpFunctorIdLi1ELi1ELi0EEEJNS0_4AsinIdEEEEEvT_T0_DpT1_
    .private_segment_fixed_size: 0
    .sgpr_count:     27
    .sgpr_spill_count: 0
    .symbol:         _ZN2at6native12_GLOBAL__N_125multi_tensor_apply_kernelINS1_18TensorListMetadataILi1EEENS1_14UnaryOpFunctorIdLi1ELi1ELi0EEEJNS0_4AsinIdEEEEEvT_T0_DpT1_.kd
    .uniform_work_group_size: 1
    .uses_dynamic_stack: false
    .vgpr_count:     54
    .vgpr_spill_count: 0
    .wavefront_size: 32
  - .args:
      - .offset:         0
        .size:           3368
        .value_kind:     by_value
      - .offset:         3368
        .size:           1
        .value_kind:     by_value
      - .offset:         3369
        .size:           1
        .value_kind:     by_value
      - .offset:         3376
        .size:           4
        .value_kind:     hidden_block_count_x
      - .offset:         3380
        .size:           4
        .value_kind:     hidden_block_count_y
      - .offset:         3384
        .size:           4
        .value_kind:     hidden_block_count_z
      - .offset:         3388
        .size:           2
        .value_kind:     hidden_group_size_x
      - .offset:         3390
        .size:           2
        .value_kind:     hidden_group_size_y
      - .offset:         3392
        .size:           2
        .value_kind:     hidden_group_size_z
      - .offset:         3394
        .size:           2
        .value_kind:     hidden_remainder_x
      - .offset:         3396
        .size:           2
        .value_kind:     hidden_remainder_y
      - .offset:         3398
        .size:           2
        .value_kind:     hidden_remainder_z
      - .offset:         3416
        .size:           8
        .value_kind:     hidden_global_offset_x
      - .offset:         3424
        .size:           8
        .value_kind:     hidden_global_offset_y
      - .offset:         3432
        .size:           8
        .value_kind:     hidden_global_offset_z
      - .offset:         3440
        .size:           2
        .value_kind:     hidden_grid_dims
    .group_segment_fixed_size: 0
    .kernarg_segment_align: 8
    .kernarg_segment_size: 3632
    .language:       OpenCL C
    .language_version:
      - 2
      - 0
    .max_flat_workgroup_size: 512
    .name:           _ZN2at6native12_GLOBAL__N_125multi_tensor_apply_kernelINS1_18TensorListMetadataILi1EEENS1_14UnaryOpFunctorIfLi1ELi1ELi0EEEJNS0_4AsinIfEEEEEvT_T0_DpT1_
    .private_segment_fixed_size: 0
    .sgpr_count:     25
    .sgpr_spill_count: 0
    .symbol:         _ZN2at6native12_GLOBAL__N_125multi_tensor_apply_kernelINS1_18TensorListMetadataILi1EEENS1_14UnaryOpFunctorIfLi1ELi1ELi0EEEJNS0_4AsinIfEEEEEvT_T0_DpT1_.kd
    .uniform_work_group_size: 1
    .uses_dynamic_stack: false
    .vgpr_count:     27
    .vgpr_spill_count: 0
    .wavefront_size: 32
  - .args:
      - .offset:         0
        .size:           3368
        .value_kind:     by_value
      - .offset:         3368
        .size:           1
        .value_kind:     by_value
      - .offset:         3369
        .size:           1
        .value_kind:     by_value
      - .offset:         3376
        .size:           4
        .value_kind:     hidden_block_count_x
      - .offset:         3380
        .size:           4
        .value_kind:     hidden_block_count_y
      - .offset:         3384
        .size:           4
        .value_kind:     hidden_block_count_z
      - .offset:         3388
        .size:           2
        .value_kind:     hidden_group_size_x
      - .offset:         3390
        .size:           2
        .value_kind:     hidden_group_size_y
      - .offset:         3392
        .size:           2
        .value_kind:     hidden_group_size_z
      - .offset:         3394
        .size:           2
        .value_kind:     hidden_remainder_x
      - .offset:         3396
        .size:           2
        .value_kind:     hidden_remainder_y
      - .offset:         3398
        .size:           2
        .value_kind:     hidden_remainder_z
      - .offset:         3416
        .size:           8
        .value_kind:     hidden_global_offset_x
      - .offset:         3424
        .size:           8
        .value_kind:     hidden_global_offset_y
      - .offset:         3432
        .size:           8
        .value_kind:     hidden_global_offset_z
      - .offset:         3440
        .size:           2
        .value_kind:     hidden_grid_dims
    .group_segment_fixed_size: 0
    .kernarg_segment_align: 8
    .kernarg_segment_size: 3632
    .language:       OpenCL C
    .language_version:
      - 2
      - 0
    .max_flat_workgroup_size: 512
    .name:           _ZN2at6native12_GLOBAL__N_125multi_tensor_apply_kernelINS1_18TensorListMetadataILi1EEENS1_14UnaryOpFunctorIN3c107complexIdEELi1ELi1ELi0EEEJNS0_4AsinIS8_EEEEEvT_T0_DpT1_
    .private_segment_fixed_size: 12
    .sgpr_count:     38
    .sgpr_spill_count: 0
    .symbol:         _ZN2at6native12_GLOBAL__N_125multi_tensor_apply_kernelINS1_18TensorListMetadataILi1EEENS1_14UnaryOpFunctorIN3c107complexIdEELi1ELi1ELi0EEEJNS0_4AsinIS8_EEEEEvT_T0_DpT1_.kd
    .uniform_work_group_size: 1
    .uses_dynamic_stack: false
    .vgpr_count:     86
    .vgpr_spill_count: 0
    .wavefront_size: 32
  - .args:
      - .offset:         0
        .size:           3368
        .value_kind:     by_value
      - .offset:         3368
        .size:           1
        .value_kind:     by_value
      - .offset:         3369
        .size:           1
        .value_kind:     by_value
      - .offset:         3376
        .size:           4
        .value_kind:     hidden_block_count_x
      - .offset:         3380
        .size:           4
        .value_kind:     hidden_block_count_y
      - .offset:         3384
        .size:           4
        .value_kind:     hidden_block_count_z
      - .offset:         3388
        .size:           2
        .value_kind:     hidden_group_size_x
      - .offset:         3390
        .size:           2
        .value_kind:     hidden_group_size_y
      - .offset:         3392
        .size:           2
        .value_kind:     hidden_group_size_z
      - .offset:         3394
        .size:           2
        .value_kind:     hidden_remainder_x
      - .offset:         3396
        .size:           2
        .value_kind:     hidden_remainder_y
      - .offset:         3398
        .size:           2
        .value_kind:     hidden_remainder_z
      - .offset:         3416
        .size:           8
        .value_kind:     hidden_global_offset_x
      - .offset:         3424
        .size:           8
        .value_kind:     hidden_global_offset_y
      - .offset:         3432
        .size:           8
        .value_kind:     hidden_global_offset_z
      - .offset:         3440
        .size:           2
        .value_kind:     hidden_grid_dims
    .group_segment_fixed_size: 0
    .kernarg_segment_align: 8
    .kernarg_segment_size: 3632
    .language:       OpenCL C
    .language_version:
      - 2
      - 0
    .max_flat_workgroup_size: 512
    .name:           _ZN2at6native12_GLOBAL__N_125multi_tensor_apply_kernelINS1_18TensorListMetadataILi1EEENS1_14UnaryOpFunctorIN3c107complexIfEELi1ELi1ELi0EEEJNS0_4AsinIS8_EEEEEvT_T0_DpT1_
    .private_segment_fixed_size: 12
    .sgpr_count:     37
    .sgpr_spill_count: 0
    .symbol:         _ZN2at6native12_GLOBAL__N_125multi_tensor_apply_kernelINS1_18TensorListMetadataILi1EEENS1_14UnaryOpFunctorIN3c107complexIfEELi1ELi1ELi0EEEJNS0_4AsinIS8_EEEEEvT_T0_DpT1_.kd
    .uniform_work_group_size: 1
    .uses_dynamic_stack: false
    .vgpr_count:     64
    .vgpr_spill_count: 0
    .wavefront_size: 32
  - .args:
      - .offset:         0
        .size:           3368
        .value_kind:     by_value
      - .offset:         3368
        .size:           1
        .value_kind:     by_value
      - .offset:         3369
        .size:           1
        .value_kind:     by_value
      - .offset:         3376
        .size:           4
        .value_kind:     hidden_block_count_x
      - .offset:         3380
        .size:           4
        .value_kind:     hidden_block_count_y
      - .offset:         3384
        .size:           4
        .value_kind:     hidden_block_count_z
      - .offset:         3388
        .size:           2
        .value_kind:     hidden_group_size_x
      - .offset:         3390
        .size:           2
        .value_kind:     hidden_group_size_y
      - .offset:         3392
        .size:           2
        .value_kind:     hidden_group_size_z
      - .offset:         3394
        .size:           2
        .value_kind:     hidden_remainder_x
      - .offset:         3396
        .size:           2
        .value_kind:     hidden_remainder_y
      - .offset:         3398
        .size:           2
        .value_kind:     hidden_remainder_z
      - .offset:         3416
        .size:           8
        .value_kind:     hidden_global_offset_x
      - .offset:         3424
        .size:           8
        .value_kind:     hidden_global_offset_y
      - .offset:         3432
        .size:           8
        .value_kind:     hidden_global_offset_z
      - .offset:         3440
        .size:           2
        .value_kind:     hidden_grid_dims
    .group_segment_fixed_size: 0
    .kernarg_segment_align: 8
    .kernarg_segment_size: 3632
    .language:       OpenCL C
    .language_version:
      - 2
      - 0
    .max_flat_workgroup_size: 512
    .name:           _ZN2at6native12_GLOBAL__N_125multi_tensor_apply_kernelINS1_18TensorListMetadataILi1EEENS1_14UnaryOpFunctorIN3c104HalfELi1ELi1ELi0EEEJNS0_4AsinIfEEEEEvT_T0_DpT1_
    .private_segment_fixed_size: 0
    .sgpr_count:     23
    .sgpr_spill_count: 0
    .symbol:         _ZN2at6native12_GLOBAL__N_125multi_tensor_apply_kernelINS1_18TensorListMetadataILi1EEENS1_14UnaryOpFunctorIN3c104HalfELi1ELi1ELi0EEEJNS0_4AsinIfEEEEEvT_T0_DpT1_.kd
    .uniform_work_group_size: 1
    .uses_dynamic_stack: false
    .vgpr_count:     30
    .vgpr_spill_count: 0
    .wavefront_size: 32
  - .args:
      - .offset:         0
        .size:           3368
        .value_kind:     by_value
      - .offset:         3368
        .size:           1
        .value_kind:     by_value
      - .offset:         3369
        .size:           1
        .value_kind:     by_value
      - .offset:         3376
        .size:           4
        .value_kind:     hidden_block_count_x
      - .offset:         3380
        .size:           4
        .value_kind:     hidden_block_count_y
      - .offset:         3384
        .size:           4
        .value_kind:     hidden_block_count_z
      - .offset:         3388
        .size:           2
        .value_kind:     hidden_group_size_x
      - .offset:         3390
        .size:           2
        .value_kind:     hidden_group_size_y
      - .offset:         3392
        .size:           2
        .value_kind:     hidden_group_size_z
      - .offset:         3394
        .size:           2
        .value_kind:     hidden_remainder_x
      - .offset:         3396
        .size:           2
        .value_kind:     hidden_remainder_y
      - .offset:         3398
        .size:           2
        .value_kind:     hidden_remainder_z
      - .offset:         3416
        .size:           8
        .value_kind:     hidden_global_offset_x
      - .offset:         3424
        .size:           8
        .value_kind:     hidden_global_offset_y
      - .offset:         3432
        .size:           8
        .value_kind:     hidden_global_offset_z
      - .offset:         3440
        .size:           2
        .value_kind:     hidden_grid_dims
    .group_segment_fixed_size: 0
    .kernarg_segment_align: 8
    .kernarg_segment_size: 3632
    .language:       OpenCL C
    .language_version:
      - 2
      - 0
    .max_flat_workgroup_size: 512
    .name:           _ZN2at6native12_GLOBAL__N_125multi_tensor_apply_kernelINS1_18TensorListMetadataILi1EEENS1_14UnaryOpFunctorIN3c108BFloat16ELi1ELi1ELi0EEEJNS0_4AsinIfEEEEEvT_T0_DpT1_
    .private_segment_fixed_size: 0
    .sgpr_count:     38
    .sgpr_spill_count: 0
    .symbol:         _ZN2at6native12_GLOBAL__N_125multi_tensor_apply_kernelINS1_18TensorListMetadataILi1EEENS1_14UnaryOpFunctorIN3c108BFloat16ELi1ELi1ELi0EEEJNS0_4AsinIfEEEEEvT_T0_DpT1_.kd
    .uniform_work_group_size: 1
    .uses_dynamic_stack: false
    .vgpr_count:     30
    .vgpr_spill_count: 0
    .wavefront_size: 32
  - .args:
      - .offset:         0
        .size:           3144
        .value_kind:     by_value
      - .offset:         3144
        .size:           1
        .value_kind:     by_value
      - .offset:         3145
        .size:           1
        .value_kind:     by_value
      - .offset:         3152
        .size:           4
        .value_kind:     hidden_block_count_x
      - .offset:         3156
        .size:           4
        .value_kind:     hidden_block_count_y
      - .offset:         3160
        .size:           4
        .value_kind:     hidden_block_count_z
      - .offset:         3164
        .size:           2
        .value_kind:     hidden_group_size_x
      - .offset:         3166
        .size:           2
        .value_kind:     hidden_group_size_y
      - .offset:         3168
        .size:           2
        .value_kind:     hidden_group_size_z
      - .offset:         3170
        .size:           2
        .value_kind:     hidden_remainder_x
      - .offset:         3172
        .size:           2
        .value_kind:     hidden_remainder_y
      - .offset:         3174
        .size:           2
        .value_kind:     hidden_remainder_z
      - .offset:         3192
        .size:           8
        .value_kind:     hidden_global_offset_x
      - .offset:         3200
        .size:           8
        .value_kind:     hidden_global_offset_y
      - .offset:         3208
        .size:           8
        .value_kind:     hidden_global_offset_z
      - .offset:         3216
        .size:           2
        .value_kind:     hidden_grid_dims
    .group_segment_fixed_size: 0
    .kernarg_segment_align: 8
    .kernarg_segment_size: 3408
    .language:       OpenCL C
    .language_version:
      - 2
      - 0
    .max_flat_workgroup_size: 512
    .name:           _ZN2at6native12_GLOBAL__N_125multi_tensor_apply_kernelINS1_18TensorListMetadataILi2EEENS1_14UnaryOpFunctorIdLi2ELi1ELi1EEEJNS0_4AtanIdEEEEEvT_T0_DpT1_
    .private_segment_fixed_size: 0
    .sgpr_count:     26
    .sgpr_spill_count: 0
    .symbol:         _ZN2at6native12_GLOBAL__N_125multi_tensor_apply_kernelINS1_18TensorListMetadataILi2EEENS1_14UnaryOpFunctorIdLi2ELi1ELi1EEEJNS0_4AtanIdEEEEEvT_T0_DpT1_.kd
    .uniform_work_group_size: 1
    .uses_dynamic_stack: false
    .vgpr_count:     58
    .vgpr_spill_count: 0
    .wavefront_size: 32
  - .args:
      - .offset:         0
        .size:           3144
        .value_kind:     by_value
      - .offset:         3144
        .size:           1
        .value_kind:     by_value
      - .offset:         3145
        .size:           1
        .value_kind:     by_value
      - .offset:         3152
        .size:           4
        .value_kind:     hidden_block_count_x
      - .offset:         3156
        .size:           4
        .value_kind:     hidden_block_count_y
      - .offset:         3160
        .size:           4
        .value_kind:     hidden_block_count_z
      - .offset:         3164
        .size:           2
        .value_kind:     hidden_group_size_x
      - .offset:         3166
        .size:           2
        .value_kind:     hidden_group_size_y
      - .offset:         3168
        .size:           2
        .value_kind:     hidden_group_size_z
      - .offset:         3170
        .size:           2
        .value_kind:     hidden_remainder_x
      - .offset:         3172
        .size:           2
        .value_kind:     hidden_remainder_y
      - .offset:         3174
        .size:           2
        .value_kind:     hidden_remainder_z
      - .offset:         3192
        .size:           8
        .value_kind:     hidden_global_offset_x
      - .offset:         3200
        .size:           8
        .value_kind:     hidden_global_offset_y
      - .offset:         3208
        .size:           8
        .value_kind:     hidden_global_offset_z
      - .offset:         3216
        .size:           2
        .value_kind:     hidden_grid_dims
    .group_segment_fixed_size: 0
    .kernarg_segment_align: 8
    .kernarg_segment_size: 3408
    .language:       OpenCL C
    .language_version:
      - 2
      - 0
    .max_flat_workgroup_size: 512
    .name:           _ZN2at6native12_GLOBAL__N_125multi_tensor_apply_kernelINS1_18TensorListMetadataILi2EEENS1_14UnaryOpFunctorIfLi2ELi1ELi1EEEJNS0_4AtanIfEEEEEvT_T0_DpT1_
    .private_segment_fixed_size: 0
    .sgpr_count:     42
    .sgpr_spill_count: 0
    .symbol:         _ZN2at6native12_GLOBAL__N_125multi_tensor_apply_kernelINS1_18TensorListMetadataILi2EEENS1_14UnaryOpFunctorIfLi2ELi1ELi1EEEJNS0_4AtanIfEEEEEvT_T0_DpT1_.kd
    .uniform_work_group_size: 1
    .uses_dynamic_stack: false
    .vgpr_count:     35
    .vgpr_spill_count: 0
    .wavefront_size: 32
  - .args:
      - .offset:         0
        .size:           3144
        .value_kind:     by_value
      - .offset:         3144
        .size:           1
        .value_kind:     by_value
      - .offset:         3145
        .size:           1
        .value_kind:     by_value
      - .offset:         3152
        .size:           4
        .value_kind:     hidden_block_count_x
      - .offset:         3156
        .size:           4
        .value_kind:     hidden_block_count_y
      - .offset:         3160
        .size:           4
        .value_kind:     hidden_block_count_z
      - .offset:         3164
        .size:           2
        .value_kind:     hidden_group_size_x
      - .offset:         3166
        .size:           2
        .value_kind:     hidden_group_size_y
      - .offset:         3168
        .size:           2
        .value_kind:     hidden_group_size_z
      - .offset:         3170
        .size:           2
        .value_kind:     hidden_remainder_x
      - .offset:         3172
        .size:           2
        .value_kind:     hidden_remainder_y
      - .offset:         3174
        .size:           2
        .value_kind:     hidden_remainder_z
      - .offset:         3192
        .size:           8
        .value_kind:     hidden_global_offset_x
      - .offset:         3200
        .size:           8
        .value_kind:     hidden_global_offset_y
      - .offset:         3208
        .size:           8
        .value_kind:     hidden_global_offset_z
      - .offset:         3216
        .size:           2
        .value_kind:     hidden_grid_dims
    .group_segment_fixed_size: 0
    .kernarg_segment_align: 8
    .kernarg_segment_size: 3408
    .language:       OpenCL C
    .language_version:
      - 2
      - 0
    .max_flat_workgroup_size: 512
    .name:           _ZN2at6native12_GLOBAL__N_125multi_tensor_apply_kernelINS1_18TensorListMetadataILi2EEENS1_14UnaryOpFunctorIN3c107complexIdEELi2ELi1ELi1EEEJNS0_4AtanIS8_EEEEEvT_T0_DpT1_
    .private_segment_fixed_size: 0
    .sgpr_count:     52
    .sgpr_spill_count: 0
    .symbol:         _ZN2at6native12_GLOBAL__N_125multi_tensor_apply_kernelINS1_18TensorListMetadataILi2EEENS1_14UnaryOpFunctorIN3c107complexIdEELi2ELi1ELi1EEEJNS0_4AtanIS8_EEEEEvT_T0_DpT1_.kd
    .uniform_work_group_size: 1
    .uses_dynamic_stack: false
    .vgpr_count:     214
    .vgpr_spill_count: 0
    .wavefront_size: 32
  - .args:
      - .offset:         0
        .size:           3144
        .value_kind:     by_value
      - .offset:         3144
        .size:           1
        .value_kind:     by_value
      - .offset:         3145
        .size:           1
        .value_kind:     by_value
      - .offset:         3152
        .size:           4
        .value_kind:     hidden_block_count_x
      - .offset:         3156
        .size:           4
        .value_kind:     hidden_block_count_y
      - .offset:         3160
        .size:           4
        .value_kind:     hidden_block_count_z
      - .offset:         3164
        .size:           2
        .value_kind:     hidden_group_size_x
      - .offset:         3166
        .size:           2
        .value_kind:     hidden_group_size_y
      - .offset:         3168
        .size:           2
        .value_kind:     hidden_group_size_z
      - .offset:         3170
        .size:           2
        .value_kind:     hidden_remainder_x
      - .offset:         3172
        .size:           2
        .value_kind:     hidden_remainder_y
      - .offset:         3174
        .size:           2
        .value_kind:     hidden_remainder_z
      - .offset:         3192
        .size:           8
        .value_kind:     hidden_global_offset_x
      - .offset:         3200
        .size:           8
        .value_kind:     hidden_global_offset_y
      - .offset:         3208
        .size:           8
        .value_kind:     hidden_global_offset_z
      - .offset:         3216
        .size:           2
        .value_kind:     hidden_grid_dims
    .group_segment_fixed_size: 0
    .kernarg_segment_align: 8
    .kernarg_segment_size: 3408
    .language:       OpenCL C
    .language_version:
      - 2
      - 0
    .max_flat_workgroup_size: 512
    .name:           _ZN2at6native12_GLOBAL__N_125multi_tensor_apply_kernelINS1_18TensorListMetadataILi2EEENS1_14UnaryOpFunctorIN3c107complexIfEELi2ELi1ELi1EEEJNS0_4AtanIS8_EEEEEvT_T0_DpT1_
    .private_segment_fixed_size: 16
    .sgpr_count:     32
    .sgpr_spill_count: 0
    .symbol:         _ZN2at6native12_GLOBAL__N_125multi_tensor_apply_kernelINS1_18TensorListMetadataILi2EEENS1_14UnaryOpFunctorIN3c107complexIfEELi2ELi1ELi1EEEJNS0_4AtanIS8_EEEEEvT_T0_DpT1_.kd
    .uniform_work_group_size: 1
    .uses_dynamic_stack: false
    .vgpr_count:     68
    .vgpr_spill_count: 0
    .wavefront_size: 32
  - .args:
      - .offset:         0
        .size:           3144
        .value_kind:     by_value
      - .offset:         3144
        .size:           1
        .value_kind:     by_value
      - .offset:         3145
        .size:           1
        .value_kind:     by_value
      - .offset:         3152
        .size:           4
        .value_kind:     hidden_block_count_x
      - .offset:         3156
        .size:           4
        .value_kind:     hidden_block_count_y
      - .offset:         3160
        .size:           4
        .value_kind:     hidden_block_count_z
      - .offset:         3164
        .size:           2
        .value_kind:     hidden_group_size_x
      - .offset:         3166
        .size:           2
        .value_kind:     hidden_group_size_y
      - .offset:         3168
        .size:           2
        .value_kind:     hidden_group_size_z
      - .offset:         3170
        .size:           2
        .value_kind:     hidden_remainder_x
      - .offset:         3172
        .size:           2
        .value_kind:     hidden_remainder_y
      - .offset:         3174
        .size:           2
        .value_kind:     hidden_remainder_z
      - .offset:         3192
        .size:           8
        .value_kind:     hidden_global_offset_x
      - .offset:         3200
        .size:           8
        .value_kind:     hidden_global_offset_y
      - .offset:         3208
        .size:           8
        .value_kind:     hidden_global_offset_z
      - .offset:         3216
        .size:           2
        .value_kind:     hidden_grid_dims
    .group_segment_fixed_size: 0
    .kernarg_segment_align: 8
    .kernarg_segment_size: 3408
    .language:       OpenCL C
    .language_version:
      - 2
      - 0
    .max_flat_workgroup_size: 512
    .name:           _ZN2at6native12_GLOBAL__N_125multi_tensor_apply_kernelINS1_18TensorListMetadataILi2EEENS1_14UnaryOpFunctorIN3c104HalfELi2ELi1ELi1EEEJNS0_4AtanIfEEEEEvT_T0_DpT1_
    .private_segment_fixed_size: 0
    .sgpr_count:     38
    .sgpr_spill_count: 0
    .symbol:         _ZN2at6native12_GLOBAL__N_125multi_tensor_apply_kernelINS1_18TensorListMetadataILi2EEENS1_14UnaryOpFunctorIN3c104HalfELi2ELi1ELi1EEEJNS0_4AtanIfEEEEEvT_T0_DpT1_.kd
    .uniform_work_group_size: 1
    .uses_dynamic_stack: false
    .vgpr_count:     35
    .vgpr_spill_count: 0
    .wavefront_size: 32
  - .args:
      - .offset:         0
        .size:           3144
        .value_kind:     by_value
      - .offset:         3144
        .size:           1
        .value_kind:     by_value
      - .offset:         3145
        .size:           1
        .value_kind:     by_value
      - .offset:         3152
        .size:           4
        .value_kind:     hidden_block_count_x
      - .offset:         3156
        .size:           4
        .value_kind:     hidden_block_count_y
      - .offset:         3160
        .size:           4
        .value_kind:     hidden_block_count_z
      - .offset:         3164
        .size:           2
        .value_kind:     hidden_group_size_x
      - .offset:         3166
        .size:           2
        .value_kind:     hidden_group_size_y
      - .offset:         3168
        .size:           2
        .value_kind:     hidden_group_size_z
      - .offset:         3170
        .size:           2
        .value_kind:     hidden_remainder_x
      - .offset:         3172
        .size:           2
        .value_kind:     hidden_remainder_y
      - .offset:         3174
        .size:           2
        .value_kind:     hidden_remainder_z
      - .offset:         3192
        .size:           8
        .value_kind:     hidden_global_offset_x
      - .offset:         3200
        .size:           8
        .value_kind:     hidden_global_offset_y
      - .offset:         3208
        .size:           8
        .value_kind:     hidden_global_offset_z
      - .offset:         3216
        .size:           2
        .value_kind:     hidden_grid_dims
    .group_segment_fixed_size: 0
    .kernarg_segment_align: 8
    .kernarg_segment_size: 3408
    .language:       OpenCL C
    .language_version:
      - 2
      - 0
    .max_flat_workgroup_size: 512
    .name:           _ZN2at6native12_GLOBAL__N_125multi_tensor_apply_kernelINS1_18TensorListMetadataILi2EEENS1_14UnaryOpFunctorIN3c108BFloat16ELi2ELi1ELi1EEEJNS0_4AtanIfEEEEEvT_T0_DpT1_
    .private_segment_fixed_size: 0
    .sgpr_count:     38
    .sgpr_spill_count: 0
    .symbol:         _ZN2at6native12_GLOBAL__N_125multi_tensor_apply_kernelINS1_18TensorListMetadataILi2EEENS1_14UnaryOpFunctorIN3c108BFloat16ELi2ELi1ELi1EEEJNS0_4AtanIfEEEEEvT_T0_DpT1_.kd
    .uniform_work_group_size: 1
    .uses_dynamic_stack: false
    .vgpr_count:     36
    .vgpr_spill_count: 0
    .wavefront_size: 32
  - .args:
      - .offset:         0
        .size:           3368
        .value_kind:     by_value
      - .offset:         3368
        .size:           1
        .value_kind:     by_value
      - .offset:         3369
        .size:           1
        .value_kind:     by_value
      - .offset:         3376
        .size:           4
        .value_kind:     hidden_block_count_x
      - .offset:         3380
        .size:           4
        .value_kind:     hidden_block_count_y
      - .offset:         3384
        .size:           4
        .value_kind:     hidden_block_count_z
      - .offset:         3388
        .size:           2
        .value_kind:     hidden_group_size_x
      - .offset:         3390
        .size:           2
        .value_kind:     hidden_group_size_y
      - .offset:         3392
        .size:           2
        .value_kind:     hidden_group_size_z
      - .offset:         3394
        .size:           2
        .value_kind:     hidden_remainder_x
      - .offset:         3396
        .size:           2
        .value_kind:     hidden_remainder_y
      - .offset:         3398
        .size:           2
        .value_kind:     hidden_remainder_z
      - .offset:         3416
        .size:           8
        .value_kind:     hidden_global_offset_x
      - .offset:         3424
        .size:           8
        .value_kind:     hidden_global_offset_y
      - .offset:         3432
        .size:           8
        .value_kind:     hidden_global_offset_z
      - .offset:         3440
        .size:           2
        .value_kind:     hidden_grid_dims
    .group_segment_fixed_size: 0
    .kernarg_segment_align: 8
    .kernarg_segment_size: 3632
    .language:       OpenCL C
    .language_version:
      - 2
      - 0
    .max_flat_workgroup_size: 512
    .name:           _ZN2at6native12_GLOBAL__N_125multi_tensor_apply_kernelINS1_18TensorListMetadataILi1EEENS1_14UnaryOpFunctorIdLi1ELi1ELi0EEEJNS0_4AtanIdEEEEEvT_T0_DpT1_
    .private_segment_fixed_size: 0
    .sgpr_count:     28
    .sgpr_spill_count: 0
    .symbol:         _ZN2at6native12_GLOBAL__N_125multi_tensor_apply_kernelINS1_18TensorListMetadataILi1EEENS1_14UnaryOpFunctorIdLi1ELi1ELi0EEEJNS0_4AtanIdEEEEEvT_T0_DpT1_.kd
    .uniform_work_group_size: 1
    .uses_dynamic_stack: false
    .vgpr_count:     56
    .vgpr_spill_count: 0
    .wavefront_size: 32
  - .args:
      - .offset:         0
        .size:           3368
        .value_kind:     by_value
      - .offset:         3368
        .size:           1
        .value_kind:     by_value
      - .offset:         3369
        .size:           1
        .value_kind:     by_value
      - .offset:         3376
        .size:           4
        .value_kind:     hidden_block_count_x
      - .offset:         3380
        .size:           4
        .value_kind:     hidden_block_count_y
      - .offset:         3384
        .size:           4
        .value_kind:     hidden_block_count_z
      - .offset:         3388
        .size:           2
        .value_kind:     hidden_group_size_x
      - .offset:         3390
        .size:           2
        .value_kind:     hidden_group_size_y
      - .offset:         3392
        .size:           2
        .value_kind:     hidden_group_size_z
      - .offset:         3394
        .size:           2
        .value_kind:     hidden_remainder_x
      - .offset:         3396
        .size:           2
        .value_kind:     hidden_remainder_y
      - .offset:         3398
        .size:           2
        .value_kind:     hidden_remainder_z
      - .offset:         3416
        .size:           8
        .value_kind:     hidden_global_offset_x
      - .offset:         3424
        .size:           8
        .value_kind:     hidden_global_offset_y
      - .offset:         3432
        .size:           8
        .value_kind:     hidden_global_offset_z
      - .offset:         3440
        .size:           2
        .value_kind:     hidden_grid_dims
    .group_segment_fixed_size: 0
    .kernarg_segment_align: 8
    .kernarg_segment_size: 3632
    .language:       OpenCL C
    .language_version:
      - 2
      - 0
    .max_flat_workgroup_size: 512
    .name:           _ZN2at6native12_GLOBAL__N_125multi_tensor_apply_kernelINS1_18TensorListMetadataILi1EEENS1_14UnaryOpFunctorIfLi1ELi1ELi0EEEJNS0_4AtanIfEEEEEvT_T0_DpT1_
    .private_segment_fixed_size: 0
    .sgpr_count:     28
    .sgpr_spill_count: 0
    .symbol:         _ZN2at6native12_GLOBAL__N_125multi_tensor_apply_kernelINS1_18TensorListMetadataILi1EEENS1_14UnaryOpFunctorIfLi1ELi1ELi0EEEJNS0_4AtanIfEEEEEvT_T0_DpT1_.kd
    .uniform_work_group_size: 1
    .uses_dynamic_stack: false
    .vgpr_count:     27
    .vgpr_spill_count: 0
    .wavefront_size: 32
  - .args:
      - .offset:         0
        .size:           3368
        .value_kind:     by_value
      - .offset:         3368
        .size:           1
        .value_kind:     by_value
      - .offset:         3369
        .size:           1
        .value_kind:     by_value
      - .offset:         3376
        .size:           4
        .value_kind:     hidden_block_count_x
      - .offset:         3380
        .size:           4
        .value_kind:     hidden_block_count_y
      - .offset:         3384
        .size:           4
        .value_kind:     hidden_block_count_z
      - .offset:         3388
        .size:           2
        .value_kind:     hidden_group_size_x
      - .offset:         3390
        .size:           2
        .value_kind:     hidden_group_size_y
      - .offset:         3392
        .size:           2
        .value_kind:     hidden_group_size_z
      - .offset:         3394
        .size:           2
        .value_kind:     hidden_remainder_x
      - .offset:         3396
        .size:           2
        .value_kind:     hidden_remainder_y
      - .offset:         3398
        .size:           2
        .value_kind:     hidden_remainder_z
      - .offset:         3416
        .size:           8
        .value_kind:     hidden_global_offset_x
      - .offset:         3424
        .size:           8
        .value_kind:     hidden_global_offset_y
      - .offset:         3432
        .size:           8
        .value_kind:     hidden_global_offset_z
      - .offset:         3440
        .size:           2
        .value_kind:     hidden_grid_dims
    .group_segment_fixed_size: 0
    .kernarg_segment_align: 8
    .kernarg_segment_size: 3632
    .language:       OpenCL C
    .language_version:
      - 2
      - 0
    .max_flat_workgroup_size: 512
    .name:           _ZN2at6native12_GLOBAL__N_125multi_tensor_apply_kernelINS1_18TensorListMetadataILi1EEENS1_14UnaryOpFunctorIN3c107complexIdEELi1ELi1ELi0EEEJNS0_4AtanIS8_EEEEEvT_T0_DpT1_
    .private_segment_fixed_size: 0
    .sgpr_count:     36
    .sgpr_spill_count: 0
    .symbol:         _ZN2at6native12_GLOBAL__N_125multi_tensor_apply_kernelINS1_18TensorListMetadataILi1EEENS1_14UnaryOpFunctorIN3c107complexIdEELi1ELi1ELi0EEEJNS0_4AtanIS8_EEEEEvT_T0_DpT1_.kd
    .uniform_work_group_size: 1
    .uses_dynamic_stack: false
    .vgpr_count:     196
    .vgpr_spill_count: 0
    .wavefront_size: 32
  - .args:
      - .offset:         0
        .size:           3368
        .value_kind:     by_value
      - .offset:         3368
        .size:           1
        .value_kind:     by_value
      - .offset:         3369
        .size:           1
        .value_kind:     by_value
      - .offset:         3376
        .size:           4
        .value_kind:     hidden_block_count_x
      - .offset:         3380
        .size:           4
        .value_kind:     hidden_block_count_y
      - .offset:         3384
        .size:           4
        .value_kind:     hidden_block_count_z
      - .offset:         3388
        .size:           2
        .value_kind:     hidden_group_size_x
      - .offset:         3390
        .size:           2
        .value_kind:     hidden_group_size_y
      - .offset:         3392
        .size:           2
        .value_kind:     hidden_group_size_z
      - .offset:         3394
        .size:           2
        .value_kind:     hidden_remainder_x
      - .offset:         3396
        .size:           2
        .value_kind:     hidden_remainder_y
      - .offset:         3398
        .size:           2
        .value_kind:     hidden_remainder_z
      - .offset:         3416
        .size:           8
        .value_kind:     hidden_global_offset_x
      - .offset:         3424
        .size:           8
        .value_kind:     hidden_global_offset_y
      - .offset:         3432
        .size:           8
        .value_kind:     hidden_global_offset_z
      - .offset:         3440
        .size:           2
        .value_kind:     hidden_grid_dims
    .group_segment_fixed_size: 0
    .kernarg_segment_align: 8
    .kernarg_segment_size: 3632
    .language:       OpenCL C
    .language_version:
      - 2
      - 0
    .max_flat_workgroup_size: 512
    .name:           _ZN2at6native12_GLOBAL__N_125multi_tensor_apply_kernelINS1_18TensorListMetadataILi1EEENS1_14UnaryOpFunctorIN3c107complexIfEELi1ELi1ELi0EEEJNS0_4AtanIS8_EEEEEvT_T0_DpT1_
    .private_segment_fixed_size: 16
    .sgpr_count:     33
    .sgpr_spill_count: 0
    .symbol:         _ZN2at6native12_GLOBAL__N_125multi_tensor_apply_kernelINS1_18TensorListMetadataILi1EEENS1_14UnaryOpFunctorIN3c107complexIfEELi1ELi1ELi0EEEJNS0_4AtanIS8_EEEEEvT_T0_DpT1_.kd
    .uniform_work_group_size: 1
    .uses_dynamic_stack: false
    .vgpr_count:     60
    .vgpr_spill_count: 0
    .wavefront_size: 32
  - .args:
      - .offset:         0
        .size:           3368
        .value_kind:     by_value
      - .offset:         3368
        .size:           1
        .value_kind:     by_value
      - .offset:         3369
        .size:           1
        .value_kind:     by_value
      - .offset:         3376
        .size:           4
        .value_kind:     hidden_block_count_x
      - .offset:         3380
        .size:           4
        .value_kind:     hidden_block_count_y
      - .offset:         3384
        .size:           4
        .value_kind:     hidden_block_count_z
      - .offset:         3388
        .size:           2
        .value_kind:     hidden_group_size_x
      - .offset:         3390
        .size:           2
        .value_kind:     hidden_group_size_y
      - .offset:         3392
        .size:           2
        .value_kind:     hidden_group_size_z
      - .offset:         3394
        .size:           2
        .value_kind:     hidden_remainder_x
      - .offset:         3396
        .size:           2
        .value_kind:     hidden_remainder_y
      - .offset:         3398
        .size:           2
        .value_kind:     hidden_remainder_z
      - .offset:         3416
        .size:           8
        .value_kind:     hidden_global_offset_x
      - .offset:         3424
        .size:           8
        .value_kind:     hidden_global_offset_y
      - .offset:         3432
        .size:           8
        .value_kind:     hidden_global_offset_z
      - .offset:         3440
        .size:           2
        .value_kind:     hidden_grid_dims
    .group_segment_fixed_size: 0
    .kernarg_segment_align: 8
    .kernarg_segment_size: 3632
    .language:       OpenCL C
    .language_version:
      - 2
      - 0
    .max_flat_workgroup_size: 512
    .name:           _ZN2at6native12_GLOBAL__N_125multi_tensor_apply_kernelINS1_18TensorListMetadataILi1EEENS1_14UnaryOpFunctorIN3c104HalfELi1ELi1ELi0EEEJNS0_4AtanIfEEEEEvT_T0_DpT1_
    .private_segment_fixed_size: 0
    .sgpr_count:     26
    .sgpr_spill_count: 0
    .symbol:         _ZN2at6native12_GLOBAL__N_125multi_tensor_apply_kernelINS1_18TensorListMetadataILi1EEENS1_14UnaryOpFunctorIN3c104HalfELi1ELi1ELi0EEEJNS0_4AtanIfEEEEEvT_T0_DpT1_.kd
    .uniform_work_group_size: 1
    .uses_dynamic_stack: false
    .vgpr_count:     27
    .vgpr_spill_count: 0
    .wavefront_size: 32
  - .args:
      - .offset:         0
        .size:           3368
        .value_kind:     by_value
      - .offset:         3368
        .size:           1
        .value_kind:     by_value
      - .offset:         3369
        .size:           1
        .value_kind:     by_value
      - .offset:         3376
        .size:           4
        .value_kind:     hidden_block_count_x
      - .offset:         3380
        .size:           4
        .value_kind:     hidden_block_count_y
      - .offset:         3384
        .size:           4
        .value_kind:     hidden_block_count_z
      - .offset:         3388
        .size:           2
        .value_kind:     hidden_group_size_x
      - .offset:         3390
        .size:           2
        .value_kind:     hidden_group_size_y
      - .offset:         3392
        .size:           2
        .value_kind:     hidden_group_size_z
      - .offset:         3394
        .size:           2
        .value_kind:     hidden_remainder_x
      - .offset:         3396
        .size:           2
        .value_kind:     hidden_remainder_y
      - .offset:         3398
        .size:           2
        .value_kind:     hidden_remainder_z
      - .offset:         3416
        .size:           8
        .value_kind:     hidden_global_offset_x
      - .offset:         3424
        .size:           8
        .value_kind:     hidden_global_offset_y
      - .offset:         3432
        .size:           8
        .value_kind:     hidden_global_offset_z
      - .offset:         3440
        .size:           2
        .value_kind:     hidden_grid_dims
    .group_segment_fixed_size: 0
    .kernarg_segment_align: 8
    .kernarg_segment_size: 3632
    .language:       OpenCL C
    .language_version:
      - 2
      - 0
    .max_flat_workgroup_size: 512
    .name:           _ZN2at6native12_GLOBAL__N_125multi_tensor_apply_kernelINS1_18TensorListMetadataILi1EEENS1_14UnaryOpFunctorIN3c108BFloat16ELi1ELi1ELi0EEEJNS0_4AtanIfEEEEEvT_T0_DpT1_
    .private_segment_fixed_size: 0
    .sgpr_count:     42
    .sgpr_spill_count: 0
    .symbol:         _ZN2at6native12_GLOBAL__N_125multi_tensor_apply_kernelINS1_18TensorListMetadataILi1EEENS1_14UnaryOpFunctorIN3c108BFloat16ELi1ELi1ELi0EEEJNS0_4AtanIfEEEEEvT_T0_DpT1_.kd
    .uniform_work_group_size: 1
    .uses_dynamic_stack: false
    .vgpr_count:     30
    .vgpr_spill_count: 0
    .wavefront_size: 32
  - .args:
      - .offset:         0
        .size:           3144
        .value_kind:     by_value
      - .offset:         3144
        .size:           1
        .value_kind:     by_value
      - .offset:         3145
        .size:           1
        .value_kind:     by_value
      - .offset:         3152
        .size:           4
        .value_kind:     hidden_block_count_x
      - .offset:         3156
        .size:           4
        .value_kind:     hidden_block_count_y
      - .offset:         3160
        .size:           4
        .value_kind:     hidden_block_count_z
      - .offset:         3164
        .size:           2
        .value_kind:     hidden_group_size_x
      - .offset:         3166
        .size:           2
        .value_kind:     hidden_group_size_y
      - .offset:         3168
        .size:           2
        .value_kind:     hidden_group_size_z
      - .offset:         3170
        .size:           2
        .value_kind:     hidden_remainder_x
      - .offset:         3172
        .size:           2
        .value_kind:     hidden_remainder_y
      - .offset:         3174
        .size:           2
        .value_kind:     hidden_remainder_z
      - .offset:         3192
        .size:           8
        .value_kind:     hidden_global_offset_x
      - .offset:         3200
        .size:           8
        .value_kind:     hidden_global_offset_y
      - .offset:         3208
        .size:           8
        .value_kind:     hidden_global_offset_z
      - .offset:         3216
        .size:           2
        .value_kind:     hidden_grid_dims
    .group_segment_fixed_size: 0
    .kernarg_segment_align: 8
    .kernarg_segment_size: 3408
    .language:       OpenCL C
    .language_version:
      - 2
      - 0
    .max_flat_workgroup_size: 512
    .name:           _ZN2at6native12_GLOBAL__N_125multi_tensor_apply_kernelINS1_18TensorListMetadataILi2EEENS1_14UnaryOpFunctorIdLi2ELi1ELi1EEEJNS0_4CoshIdEEEEEvT_T0_DpT1_
    .private_segment_fixed_size: 0
    .sgpr_count:     22
    .sgpr_spill_count: 0
    .symbol:         _ZN2at6native12_GLOBAL__N_125multi_tensor_apply_kernelINS1_18TensorListMetadataILi2EEENS1_14UnaryOpFunctorIdLi2ELi1ELi1EEEJNS0_4CoshIdEEEEEvT_T0_DpT1_.kd
    .uniform_work_group_size: 1
    .uses_dynamic_stack: false
    .vgpr_count:     60
    .vgpr_spill_count: 0
    .wavefront_size: 32
  - .args:
      - .offset:         0
        .size:           3144
        .value_kind:     by_value
      - .offset:         3144
        .size:           1
        .value_kind:     by_value
      - .offset:         3145
        .size:           1
        .value_kind:     by_value
      - .offset:         3152
        .size:           4
        .value_kind:     hidden_block_count_x
      - .offset:         3156
        .size:           4
        .value_kind:     hidden_block_count_y
      - .offset:         3160
        .size:           4
        .value_kind:     hidden_block_count_z
      - .offset:         3164
        .size:           2
        .value_kind:     hidden_group_size_x
      - .offset:         3166
        .size:           2
        .value_kind:     hidden_group_size_y
      - .offset:         3168
        .size:           2
        .value_kind:     hidden_group_size_z
      - .offset:         3170
        .size:           2
        .value_kind:     hidden_remainder_x
      - .offset:         3172
        .size:           2
        .value_kind:     hidden_remainder_y
      - .offset:         3174
        .size:           2
        .value_kind:     hidden_remainder_z
      - .offset:         3192
        .size:           8
        .value_kind:     hidden_global_offset_x
      - .offset:         3200
        .size:           8
        .value_kind:     hidden_global_offset_y
      - .offset:         3208
        .size:           8
        .value_kind:     hidden_global_offset_z
      - .offset:         3216
        .size:           2
        .value_kind:     hidden_grid_dims
    .group_segment_fixed_size: 0
    .kernarg_segment_align: 8
    .kernarg_segment_size: 3408
    .language:       OpenCL C
    .language_version:
      - 2
      - 0
    .max_flat_workgroup_size: 512
    .name:           _ZN2at6native12_GLOBAL__N_125multi_tensor_apply_kernelINS1_18TensorListMetadataILi2EEENS1_14UnaryOpFunctorIfLi2ELi1ELi1EEEJNS0_4CoshIfEEEEEvT_T0_DpT1_
    .private_segment_fixed_size: 0
    .sgpr_count:     23
    .sgpr_spill_count: 0
    .symbol:         _ZN2at6native12_GLOBAL__N_125multi_tensor_apply_kernelINS1_18TensorListMetadataILi2EEENS1_14UnaryOpFunctorIfLi2ELi1ELi1EEEJNS0_4CoshIfEEEEEvT_T0_DpT1_.kd
    .uniform_work_group_size: 1
    .uses_dynamic_stack: false
    .vgpr_count:     53
    .vgpr_spill_count: 0
    .wavefront_size: 32
  - .args:
      - .offset:         0
        .size:           3144
        .value_kind:     by_value
      - .offset:         3144
        .size:           1
        .value_kind:     by_value
      - .offset:         3145
        .size:           1
        .value_kind:     by_value
      - .offset:         3152
        .size:           4
        .value_kind:     hidden_block_count_x
      - .offset:         3156
        .size:           4
        .value_kind:     hidden_block_count_y
      - .offset:         3160
        .size:           4
        .value_kind:     hidden_block_count_z
      - .offset:         3164
        .size:           2
        .value_kind:     hidden_group_size_x
      - .offset:         3166
        .size:           2
        .value_kind:     hidden_group_size_y
      - .offset:         3168
        .size:           2
        .value_kind:     hidden_group_size_z
      - .offset:         3170
        .size:           2
        .value_kind:     hidden_remainder_x
      - .offset:         3172
        .size:           2
        .value_kind:     hidden_remainder_y
      - .offset:         3174
        .size:           2
        .value_kind:     hidden_remainder_z
      - .offset:         3192
        .size:           8
        .value_kind:     hidden_global_offset_x
      - .offset:         3200
        .size:           8
        .value_kind:     hidden_global_offset_y
      - .offset:         3208
        .size:           8
        .value_kind:     hidden_global_offset_z
      - .offset:         3216
        .size:           2
        .value_kind:     hidden_grid_dims
    .group_segment_fixed_size: 0
    .kernarg_segment_align: 8
    .kernarg_segment_size: 3408
    .language:       OpenCL C
    .language_version:
      - 2
      - 0
    .max_flat_workgroup_size: 512
    .name:           _ZN2at6native12_GLOBAL__N_125multi_tensor_apply_kernelINS1_18TensorListMetadataILi2EEENS1_14UnaryOpFunctorIN3c107complexIdEELi2ELi1ELi1EEEJNS0_4CoshIS8_EEEEEvT_T0_DpT1_
    .private_segment_fixed_size: 0
    .sgpr_count:     35
    .sgpr_spill_count: 0
    .symbol:         _ZN2at6native12_GLOBAL__N_125multi_tensor_apply_kernelINS1_18TensorListMetadataILi2EEENS1_14UnaryOpFunctorIN3c107complexIdEELi2ELi1ELi1EEEJNS0_4CoshIS8_EEEEEvT_T0_DpT1_.kd
    .uniform_work_group_size: 1
    .uses_dynamic_stack: false
    .vgpr_count:     86
    .vgpr_spill_count: 0
    .wavefront_size: 32
  - .args:
      - .offset:         0
        .size:           3144
        .value_kind:     by_value
      - .offset:         3144
        .size:           1
        .value_kind:     by_value
      - .offset:         3145
        .size:           1
        .value_kind:     by_value
      - .offset:         3152
        .size:           4
        .value_kind:     hidden_block_count_x
      - .offset:         3156
        .size:           4
        .value_kind:     hidden_block_count_y
      - .offset:         3160
        .size:           4
        .value_kind:     hidden_block_count_z
      - .offset:         3164
        .size:           2
        .value_kind:     hidden_group_size_x
      - .offset:         3166
        .size:           2
        .value_kind:     hidden_group_size_y
      - .offset:         3168
        .size:           2
        .value_kind:     hidden_group_size_z
      - .offset:         3170
        .size:           2
        .value_kind:     hidden_remainder_x
      - .offset:         3172
        .size:           2
        .value_kind:     hidden_remainder_y
      - .offset:         3174
        .size:           2
        .value_kind:     hidden_remainder_z
      - .offset:         3192
        .size:           8
        .value_kind:     hidden_global_offset_x
      - .offset:         3200
        .size:           8
        .value_kind:     hidden_global_offset_y
      - .offset:         3208
        .size:           8
        .value_kind:     hidden_global_offset_z
      - .offset:         3216
        .size:           2
        .value_kind:     hidden_grid_dims
    .group_segment_fixed_size: 0
    .kernarg_segment_align: 8
    .kernarg_segment_size: 3408
    .language:       OpenCL C
    .language_version:
      - 2
      - 0
    .max_flat_workgroup_size: 512
    .name:           _ZN2at6native12_GLOBAL__N_125multi_tensor_apply_kernelINS1_18TensorListMetadataILi2EEENS1_14UnaryOpFunctorIN3c107complexIfEELi2ELi1ELi1EEEJNS0_4CoshIS8_EEEEEvT_T0_DpT1_
    .private_segment_fixed_size: 0
    .sgpr_count:     35
    .sgpr_spill_count: 0
    .symbol:         _ZN2at6native12_GLOBAL__N_125multi_tensor_apply_kernelINS1_18TensorListMetadataILi2EEENS1_14UnaryOpFunctorIN3c107complexIfEELi2ELi1ELi1EEEJNS0_4CoshIS8_EEEEEvT_T0_DpT1_.kd
    .uniform_work_group_size: 1
    .uses_dynamic_stack: false
    .vgpr_count:     42
    .vgpr_spill_count: 0
    .wavefront_size: 32
  - .args:
      - .offset:         0
        .size:           3144
        .value_kind:     by_value
      - .offset:         3144
        .size:           1
        .value_kind:     by_value
      - .offset:         3145
        .size:           1
        .value_kind:     by_value
      - .offset:         3152
        .size:           4
        .value_kind:     hidden_block_count_x
      - .offset:         3156
        .size:           4
        .value_kind:     hidden_block_count_y
      - .offset:         3160
        .size:           4
        .value_kind:     hidden_block_count_z
      - .offset:         3164
        .size:           2
        .value_kind:     hidden_group_size_x
      - .offset:         3166
        .size:           2
        .value_kind:     hidden_group_size_y
      - .offset:         3168
        .size:           2
        .value_kind:     hidden_group_size_z
      - .offset:         3170
        .size:           2
        .value_kind:     hidden_remainder_x
      - .offset:         3172
        .size:           2
        .value_kind:     hidden_remainder_y
      - .offset:         3174
        .size:           2
        .value_kind:     hidden_remainder_z
      - .offset:         3192
        .size:           8
        .value_kind:     hidden_global_offset_x
      - .offset:         3200
        .size:           8
        .value_kind:     hidden_global_offset_y
      - .offset:         3208
        .size:           8
        .value_kind:     hidden_global_offset_z
      - .offset:         3216
        .size:           2
        .value_kind:     hidden_grid_dims
    .group_segment_fixed_size: 0
    .kernarg_segment_align: 8
    .kernarg_segment_size: 3408
    .language:       OpenCL C
    .language_version:
      - 2
      - 0
    .max_flat_workgroup_size: 512
    .name:           _ZN2at6native12_GLOBAL__N_125multi_tensor_apply_kernelINS1_18TensorListMetadataILi2EEENS1_14UnaryOpFunctorIN3c104HalfELi2ELi1ELi1EEEJNS0_4CoshIfEEEEEvT_T0_DpT1_
    .private_segment_fixed_size: 0
    .sgpr_count:     22
    .sgpr_spill_count: 0
    .symbol:         _ZN2at6native12_GLOBAL__N_125multi_tensor_apply_kernelINS1_18TensorListMetadataILi2EEENS1_14UnaryOpFunctorIN3c104HalfELi2ELi1ELi1EEEJNS0_4CoshIfEEEEEvT_T0_DpT1_.kd
    .uniform_work_group_size: 1
    .uses_dynamic_stack: false
    .vgpr_count:     52
    .vgpr_spill_count: 0
    .wavefront_size: 32
  - .args:
      - .offset:         0
        .size:           3144
        .value_kind:     by_value
      - .offset:         3144
        .size:           1
        .value_kind:     by_value
      - .offset:         3145
        .size:           1
        .value_kind:     by_value
      - .offset:         3152
        .size:           4
        .value_kind:     hidden_block_count_x
      - .offset:         3156
        .size:           4
        .value_kind:     hidden_block_count_y
      - .offset:         3160
        .size:           4
        .value_kind:     hidden_block_count_z
      - .offset:         3164
        .size:           2
        .value_kind:     hidden_group_size_x
      - .offset:         3166
        .size:           2
        .value_kind:     hidden_group_size_y
      - .offset:         3168
        .size:           2
        .value_kind:     hidden_group_size_z
      - .offset:         3170
        .size:           2
        .value_kind:     hidden_remainder_x
      - .offset:         3172
        .size:           2
        .value_kind:     hidden_remainder_y
      - .offset:         3174
        .size:           2
        .value_kind:     hidden_remainder_z
      - .offset:         3192
        .size:           8
        .value_kind:     hidden_global_offset_x
      - .offset:         3200
        .size:           8
        .value_kind:     hidden_global_offset_y
      - .offset:         3208
        .size:           8
        .value_kind:     hidden_global_offset_z
      - .offset:         3216
        .size:           2
        .value_kind:     hidden_grid_dims
    .group_segment_fixed_size: 0
    .kernarg_segment_align: 8
    .kernarg_segment_size: 3408
    .language:       OpenCL C
    .language_version:
      - 2
      - 0
    .max_flat_workgroup_size: 512
    .name:           _ZN2at6native12_GLOBAL__N_125multi_tensor_apply_kernelINS1_18TensorListMetadataILi2EEENS1_14UnaryOpFunctorIN3c108BFloat16ELi2ELi1ELi1EEEJNS0_4CoshIfEEEEEvT_T0_DpT1_
    .private_segment_fixed_size: 0
    .sgpr_count:     22
    .sgpr_spill_count: 0
    .symbol:         _ZN2at6native12_GLOBAL__N_125multi_tensor_apply_kernelINS1_18TensorListMetadataILi2EEENS1_14UnaryOpFunctorIN3c108BFloat16ELi2ELi1ELi1EEEJNS0_4CoshIfEEEEEvT_T0_DpT1_.kd
    .uniform_work_group_size: 1
    .uses_dynamic_stack: false
    .vgpr_count:     56
    .vgpr_spill_count: 0
    .wavefront_size: 32
  - .args:
      - .offset:         0
        .size:           3368
        .value_kind:     by_value
      - .offset:         3368
        .size:           1
        .value_kind:     by_value
      - .offset:         3369
        .size:           1
        .value_kind:     by_value
      - .offset:         3376
        .size:           4
        .value_kind:     hidden_block_count_x
      - .offset:         3380
        .size:           4
        .value_kind:     hidden_block_count_y
      - .offset:         3384
        .size:           4
        .value_kind:     hidden_block_count_z
      - .offset:         3388
        .size:           2
        .value_kind:     hidden_group_size_x
      - .offset:         3390
        .size:           2
        .value_kind:     hidden_group_size_y
      - .offset:         3392
        .size:           2
        .value_kind:     hidden_group_size_z
      - .offset:         3394
        .size:           2
        .value_kind:     hidden_remainder_x
      - .offset:         3396
        .size:           2
        .value_kind:     hidden_remainder_y
      - .offset:         3398
        .size:           2
        .value_kind:     hidden_remainder_z
      - .offset:         3416
        .size:           8
        .value_kind:     hidden_global_offset_x
      - .offset:         3424
        .size:           8
        .value_kind:     hidden_global_offset_y
      - .offset:         3432
        .size:           8
        .value_kind:     hidden_global_offset_z
      - .offset:         3440
        .size:           2
        .value_kind:     hidden_grid_dims
    .group_segment_fixed_size: 0
    .kernarg_segment_align: 8
    .kernarg_segment_size: 3632
    .language:       OpenCL C
    .language_version:
      - 2
      - 0
    .max_flat_workgroup_size: 512
    .name:           _ZN2at6native12_GLOBAL__N_125multi_tensor_apply_kernelINS1_18TensorListMetadataILi1EEENS1_14UnaryOpFunctorIdLi1ELi1ELi0EEEJNS0_4CoshIdEEEEEvT_T0_DpT1_
    .private_segment_fixed_size: 0
    .sgpr_count:     26
    .sgpr_spill_count: 0
    .symbol:         _ZN2at6native12_GLOBAL__N_125multi_tensor_apply_kernelINS1_18TensorListMetadataILi1EEENS1_14UnaryOpFunctorIdLi1ELi1ELi0EEEJNS0_4CoshIdEEEEEvT_T0_DpT1_.kd
    .uniform_work_group_size: 1
    .uses_dynamic_stack: false
    .vgpr_count:     92
    .vgpr_spill_count: 0
    .wavefront_size: 32
  - .args:
      - .offset:         0
        .size:           3368
        .value_kind:     by_value
      - .offset:         3368
        .size:           1
        .value_kind:     by_value
      - .offset:         3369
        .size:           1
        .value_kind:     by_value
      - .offset:         3376
        .size:           4
        .value_kind:     hidden_block_count_x
      - .offset:         3380
        .size:           4
        .value_kind:     hidden_block_count_y
      - .offset:         3384
        .size:           4
        .value_kind:     hidden_block_count_z
      - .offset:         3388
        .size:           2
        .value_kind:     hidden_group_size_x
      - .offset:         3390
        .size:           2
        .value_kind:     hidden_group_size_y
      - .offset:         3392
        .size:           2
        .value_kind:     hidden_group_size_z
      - .offset:         3394
        .size:           2
        .value_kind:     hidden_remainder_x
      - .offset:         3396
        .size:           2
        .value_kind:     hidden_remainder_y
      - .offset:         3398
        .size:           2
        .value_kind:     hidden_remainder_z
      - .offset:         3416
        .size:           8
        .value_kind:     hidden_global_offset_x
      - .offset:         3424
        .size:           8
        .value_kind:     hidden_global_offset_y
      - .offset:         3432
        .size:           8
        .value_kind:     hidden_global_offset_z
      - .offset:         3440
        .size:           2
        .value_kind:     hidden_grid_dims
    .group_segment_fixed_size: 0
    .kernarg_segment_align: 8
    .kernarg_segment_size: 3632
    .language:       OpenCL C
    .language_version:
      - 2
      - 0
    .max_flat_workgroup_size: 512
    .name:           _ZN2at6native12_GLOBAL__N_125multi_tensor_apply_kernelINS1_18TensorListMetadataILi1EEENS1_14UnaryOpFunctorIfLi1ELi1ELi0EEEJNS0_4CoshIfEEEEEvT_T0_DpT1_
    .private_segment_fixed_size: 0
    .sgpr_count:     26
    .sgpr_spill_count: 0
    .symbol:         _ZN2at6native12_GLOBAL__N_125multi_tensor_apply_kernelINS1_18TensorListMetadataILi1EEENS1_14UnaryOpFunctorIfLi1ELi1ELi0EEEJNS0_4CoshIfEEEEEvT_T0_DpT1_.kd
    .uniform_work_group_size: 1
    .uses_dynamic_stack: false
    .vgpr_count:     54
    .vgpr_spill_count: 0
    .wavefront_size: 32
  - .args:
      - .offset:         0
        .size:           3368
        .value_kind:     by_value
      - .offset:         3368
        .size:           1
        .value_kind:     by_value
      - .offset:         3369
        .size:           1
        .value_kind:     by_value
      - .offset:         3376
        .size:           4
        .value_kind:     hidden_block_count_x
      - .offset:         3380
        .size:           4
        .value_kind:     hidden_block_count_y
      - .offset:         3384
        .size:           4
        .value_kind:     hidden_block_count_z
      - .offset:         3388
        .size:           2
        .value_kind:     hidden_group_size_x
      - .offset:         3390
        .size:           2
        .value_kind:     hidden_group_size_y
      - .offset:         3392
        .size:           2
        .value_kind:     hidden_group_size_z
      - .offset:         3394
        .size:           2
        .value_kind:     hidden_remainder_x
      - .offset:         3396
        .size:           2
        .value_kind:     hidden_remainder_y
      - .offset:         3398
        .size:           2
        .value_kind:     hidden_remainder_z
      - .offset:         3416
        .size:           8
        .value_kind:     hidden_global_offset_x
      - .offset:         3424
        .size:           8
        .value_kind:     hidden_global_offset_y
      - .offset:         3432
        .size:           8
        .value_kind:     hidden_global_offset_z
      - .offset:         3440
        .size:           2
        .value_kind:     hidden_grid_dims
    .group_segment_fixed_size: 0
    .kernarg_segment_align: 8
    .kernarg_segment_size: 3632
    .language:       OpenCL C
    .language_version:
      - 2
      - 0
    .max_flat_workgroup_size: 512
    .name:           _ZN2at6native12_GLOBAL__N_125multi_tensor_apply_kernelINS1_18TensorListMetadataILi1EEENS1_14UnaryOpFunctorIN3c107complexIdEELi1ELi1ELi0EEEJNS0_4CoshIS8_EEEEEvT_T0_DpT1_
    .private_segment_fixed_size: 0
    .sgpr_count:     38
    .sgpr_spill_count: 0
    .symbol:         _ZN2at6native12_GLOBAL__N_125multi_tensor_apply_kernelINS1_18TensorListMetadataILi1EEENS1_14UnaryOpFunctorIN3c107complexIdEELi1ELi1ELi0EEEJNS0_4CoshIS8_EEEEEvT_T0_DpT1_.kd
    .uniform_work_group_size: 1
    .uses_dynamic_stack: false
    .vgpr_count:     100
    .vgpr_spill_count: 0
    .wavefront_size: 32
  - .args:
      - .offset:         0
        .size:           3368
        .value_kind:     by_value
      - .offset:         3368
        .size:           1
        .value_kind:     by_value
      - .offset:         3369
        .size:           1
        .value_kind:     by_value
      - .offset:         3376
        .size:           4
        .value_kind:     hidden_block_count_x
      - .offset:         3380
        .size:           4
        .value_kind:     hidden_block_count_y
      - .offset:         3384
        .size:           4
        .value_kind:     hidden_block_count_z
      - .offset:         3388
        .size:           2
        .value_kind:     hidden_group_size_x
      - .offset:         3390
        .size:           2
        .value_kind:     hidden_group_size_y
      - .offset:         3392
        .size:           2
        .value_kind:     hidden_group_size_z
      - .offset:         3394
        .size:           2
        .value_kind:     hidden_remainder_x
      - .offset:         3396
        .size:           2
        .value_kind:     hidden_remainder_y
      - .offset:         3398
        .size:           2
        .value_kind:     hidden_remainder_z
      - .offset:         3416
        .size:           8
        .value_kind:     hidden_global_offset_x
      - .offset:         3424
        .size:           8
        .value_kind:     hidden_global_offset_y
      - .offset:         3432
        .size:           8
        .value_kind:     hidden_global_offset_z
      - .offset:         3440
        .size:           2
        .value_kind:     hidden_grid_dims
    .group_segment_fixed_size: 0
    .kernarg_segment_align: 8
    .kernarg_segment_size: 3632
    .language:       OpenCL C
    .language_version:
      - 2
      - 0
    .max_flat_workgroup_size: 512
    .name:           _ZN2at6native12_GLOBAL__N_125multi_tensor_apply_kernelINS1_18TensorListMetadataILi1EEENS1_14UnaryOpFunctorIN3c107complexIfEELi1ELi1ELi0EEEJNS0_4CoshIS8_EEEEEvT_T0_DpT1_
    .private_segment_fixed_size: 0
    .sgpr_count:     38
    .sgpr_spill_count: 0
    .symbol:         _ZN2at6native12_GLOBAL__N_125multi_tensor_apply_kernelINS1_18TensorListMetadataILi1EEENS1_14UnaryOpFunctorIN3c107complexIfEELi1ELi1ELi0EEEJNS0_4CoshIS8_EEEEEvT_T0_DpT1_.kd
    .uniform_work_group_size: 1
    .uses_dynamic_stack: false
    .vgpr_count:     56
    .vgpr_spill_count: 0
    .wavefront_size: 32
  - .args:
      - .offset:         0
        .size:           3368
        .value_kind:     by_value
      - .offset:         3368
        .size:           1
        .value_kind:     by_value
      - .offset:         3369
        .size:           1
        .value_kind:     by_value
      - .offset:         3376
        .size:           4
        .value_kind:     hidden_block_count_x
      - .offset:         3380
        .size:           4
        .value_kind:     hidden_block_count_y
      - .offset:         3384
        .size:           4
        .value_kind:     hidden_block_count_z
      - .offset:         3388
        .size:           2
        .value_kind:     hidden_group_size_x
      - .offset:         3390
        .size:           2
        .value_kind:     hidden_group_size_y
      - .offset:         3392
        .size:           2
        .value_kind:     hidden_group_size_z
      - .offset:         3394
        .size:           2
        .value_kind:     hidden_remainder_x
      - .offset:         3396
        .size:           2
        .value_kind:     hidden_remainder_y
      - .offset:         3398
        .size:           2
        .value_kind:     hidden_remainder_z
      - .offset:         3416
        .size:           8
        .value_kind:     hidden_global_offset_x
      - .offset:         3424
        .size:           8
        .value_kind:     hidden_global_offset_y
      - .offset:         3432
        .size:           8
        .value_kind:     hidden_global_offset_z
      - .offset:         3440
        .size:           2
        .value_kind:     hidden_grid_dims
    .group_segment_fixed_size: 0
    .kernarg_segment_align: 8
    .kernarg_segment_size: 3632
    .language:       OpenCL C
    .language_version:
      - 2
      - 0
    .max_flat_workgroup_size: 512
    .name:           _ZN2at6native12_GLOBAL__N_125multi_tensor_apply_kernelINS1_18TensorListMetadataILi1EEENS1_14UnaryOpFunctorIN3c104HalfELi1ELi1ELi0EEEJNS0_4CoshIfEEEEEvT_T0_DpT1_
    .private_segment_fixed_size: 0
    .sgpr_count:     24
    .sgpr_spill_count: 0
    .symbol:         _ZN2at6native12_GLOBAL__N_125multi_tensor_apply_kernelINS1_18TensorListMetadataILi1EEENS1_14UnaryOpFunctorIN3c104HalfELi1ELi1ELi0EEEJNS0_4CoshIfEEEEEvT_T0_DpT1_.kd
    .uniform_work_group_size: 1
    .uses_dynamic_stack: false
    .vgpr_count:     54
    .vgpr_spill_count: 0
    .wavefront_size: 32
  - .args:
      - .offset:         0
        .size:           3368
        .value_kind:     by_value
      - .offset:         3368
        .size:           1
        .value_kind:     by_value
      - .offset:         3369
        .size:           1
        .value_kind:     by_value
      - .offset:         3376
        .size:           4
        .value_kind:     hidden_block_count_x
      - .offset:         3380
        .size:           4
        .value_kind:     hidden_block_count_y
      - .offset:         3384
        .size:           4
        .value_kind:     hidden_block_count_z
      - .offset:         3388
        .size:           2
        .value_kind:     hidden_group_size_x
      - .offset:         3390
        .size:           2
        .value_kind:     hidden_group_size_y
      - .offset:         3392
        .size:           2
        .value_kind:     hidden_group_size_z
      - .offset:         3394
        .size:           2
        .value_kind:     hidden_remainder_x
      - .offset:         3396
        .size:           2
        .value_kind:     hidden_remainder_y
      - .offset:         3398
        .size:           2
        .value_kind:     hidden_remainder_z
      - .offset:         3416
        .size:           8
        .value_kind:     hidden_global_offset_x
      - .offset:         3424
        .size:           8
        .value_kind:     hidden_global_offset_y
      - .offset:         3432
        .size:           8
        .value_kind:     hidden_global_offset_z
      - .offset:         3440
        .size:           2
        .value_kind:     hidden_grid_dims
    .group_segment_fixed_size: 0
    .kernarg_segment_align: 8
    .kernarg_segment_size: 3632
    .language:       OpenCL C
    .language_version:
      - 2
      - 0
    .max_flat_workgroup_size: 512
    .name:           _ZN2at6native12_GLOBAL__N_125multi_tensor_apply_kernelINS1_18TensorListMetadataILi1EEENS1_14UnaryOpFunctorIN3c108BFloat16ELi1ELi1ELi0EEEJNS0_4CoshIfEEEEEvT_T0_DpT1_
    .private_segment_fixed_size: 0
    .sgpr_count:     24
    .sgpr_spill_count: 0
    .symbol:         _ZN2at6native12_GLOBAL__N_125multi_tensor_apply_kernelINS1_18TensorListMetadataILi1EEENS1_14UnaryOpFunctorIN3c108BFloat16ELi1ELi1ELi0EEEJNS0_4CoshIfEEEEEvT_T0_DpT1_.kd
    .uniform_work_group_size: 1
    .uses_dynamic_stack: false
    .vgpr_count:     55
    .vgpr_spill_count: 0
    .wavefront_size: 32
  - .args:
      - .offset:         0
        .size:           3144
        .value_kind:     by_value
      - .offset:         3144
        .size:           1
        .value_kind:     by_value
      - .offset:         3145
        .size:           1
        .value_kind:     by_value
      - .offset:         3152
        .size:           4
        .value_kind:     hidden_block_count_x
      - .offset:         3156
        .size:           4
        .value_kind:     hidden_block_count_y
      - .offset:         3160
        .size:           4
        .value_kind:     hidden_block_count_z
      - .offset:         3164
        .size:           2
        .value_kind:     hidden_group_size_x
      - .offset:         3166
        .size:           2
        .value_kind:     hidden_group_size_y
      - .offset:         3168
        .size:           2
        .value_kind:     hidden_group_size_z
      - .offset:         3170
        .size:           2
        .value_kind:     hidden_remainder_x
      - .offset:         3172
        .size:           2
        .value_kind:     hidden_remainder_y
      - .offset:         3174
        .size:           2
        .value_kind:     hidden_remainder_z
      - .offset:         3192
        .size:           8
        .value_kind:     hidden_global_offset_x
      - .offset:         3200
        .size:           8
        .value_kind:     hidden_global_offset_y
      - .offset:         3208
        .size:           8
        .value_kind:     hidden_global_offset_z
      - .offset:         3216
        .size:           2
        .value_kind:     hidden_grid_dims
    .group_segment_fixed_size: 0
    .kernarg_segment_align: 8
    .kernarg_segment_size: 3408
    .language:       OpenCL C
    .language_version:
      - 2
      - 0
    .max_flat_workgroup_size: 512
    .name:           _ZN2at6native12_GLOBAL__N_125multi_tensor_apply_kernelINS1_18TensorListMetadataILi2EEENS1_14UnaryOpFunctorIdLi2ELi1ELi1EEEJNS0_3TanIdEEEEEvT_T0_DpT1_
    .private_segment_fixed_size: 0
    .sgpr_count:     32
    .sgpr_spill_count: 0
    .symbol:         _ZN2at6native12_GLOBAL__N_125multi_tensor_apply_kernelINS1_18TensorListMetadataILi2EEENS1_14UnaryOpFunctorIdLi2ELi1ELi1EEEJNS0_3TanIdEEEEEvT_T0_DpT1_.kd
    .uniform_work_group_size: 1
    .uses_dynamic_stack: false
    .vgpr_count:     80
    .vgpr_spill_count: 0
    .wavefront_size: 32
  - .args:
      - .offset:         0
        .size:           3144
        .value_kind:     by_value
      - .offset:         3144
        .size:           1
        .value_kind:     by_value
      - .offset:         3145
        .size:           1
        .value_kind:     by_value
      - .offset:         3152
        .size:           4
        .value_kind:     hidden_block_count_x
      - .offset:         3156
        .size:           4
        .value_kind:     hidden_block_count_y
      - .offset:         3160
        .size:           4
        .value_kind:     hidden_block_count_z
      - .offset:         3164
        .size:           2
        .value_kind:     hidden_group_size_x
      - .offset:         3166
        .size:           2
        .value_kind:     hidden_group_size_y
      - .offset:         3168
        .size:           2
        .value_kind:     hidden_group_size_z
      - .offset:         3170
        .size:           2
        .value_kind:     hidden_remainder_x
      - .offset:         3172
        .size:           2
        .value_kind:     hidden_remainder_y
      - .offset:         3174
        .size:           2
        .value_kind:     hidden_remainder_z
      - .offset:         3192
        .size:           8
        .value_kind:     hidden_global_offset_x
      - .offset:         3200
        .size:           8
        .value_kind:     hidden_global_offset_y
      - .offset:         3208
        .size:           8
        .value_kind:     hidden_global_offset_z
      - .offset:         3216
        .size:           2
        .value_kind:     hidden_grid_dims
    .group_segment_fixed_size: 0
    .kernarg_segment_align: 8
    .kernarg_segment_size: 3408
    .language:       OpenCL C
    .language_version:
      - 2
      - 0
    .max_flat_workgroup_size: 512
    .name:           _ZN2at6native12_GLOBAL__N_125multi_tensor_apply_kernelINS1_18TensorListMetadataILi2EEENS1_14UnaryOpFunctorIfLi2ELi1ELi1EEEJNS0_3TanIfEEEEEvT_T0_DpT1_
    .private_segment_fixed_size: 0
    .sgpr_count:     26
    .sgpr_spill_count: 0
    .symbol:         _ZN2at6native12_GLOBAL__N_125multi_tensor_apply_kernelINS1_18TensorListMetadataILi2EEENS1_14UnaryOpFunctorIfLi2ELi1ELi1EEEJNS0_3TanIfEEEEEvT_T0_DpT1_.kd
    .uniform_work_group_size: 1
    .uses_dynamic_stack: false
    .vgpr_count:     58
    .vgpr_spill_count: 0
    .wavefront_size: 32
  - .args:
      - .offset:         0
        .size:           3144
        .value_kind:     by_value
      - .offset:         3144
        .size:           1
        .value_kind:     by_value
      - .offset:         3145
        .size:           1
        .value_kind:     by_value
      - .offset:         3152
        .size:           4
        .value_kind:     hidden_block_count_x
      - .offset:         3156
        .size:           4
        .value_kind:     hidden_block_count_y
      - .offset:         3160
        .size:           4
        .value_kind:     hidden_block_count_z
      - .offset:         3164
        .size:           2
        .value_kind:     hidden_group_size_x
      - .offset:         3166
        .size:           2
        .value_kind:     hidden_group_size_y
      - .offset:         3168
        .size:           2
        .value_kind:     hidden_group_size_z
      - .offset:         3170
        .size:           2
        .value_kind:     hidden_remainder_x
      - .offset:         3172
        .size:           2
        .value_kind:     hidden_remainder_y
      - .offset:         3174
        .size:           2
        .value_kind:     hidden_remainder_z
      - .offset:         3192
        .size:           8
        .value_kind:     hidden_global_offset_x
      - .offset:         3200
        .size:           8
        .value_kind:     hidden_global_offset_y
      - .offset:         3208
        .size:           8
        .value_kind:     hidden_global_offset_z
      - .offset:         3216
        .size:           2
        .value_kind:     hidden_grid_dims
    .group_segment_fixed_size: 0
    .kernarg_segment_align: 8
    .kernarg_segment_size: 3408
    .language:       OpenCL C
    .language_version:
      - 2
      - 0
    .max_flat_workgroup_size: 512
    .name:           _ZN2at6native12_GLOBAL__N_125multi_tensor_apply_kernelINS1_18TensorListMetadataILi2EEENS1_14UnaryOpFunctorIN3c107complexIdEELi2ELi1ELi1EEEJNS0_3TanIS8_EEEEEvT_T0_DpT1_
    .private_segment_fixed_size: 0
    .sgpr_count:     39
    .sgpr_spill_count: 0
    .symbol:         _ZN2at6native12_GLOBAL__N_125multi_tensor_apply_kernelINS1_18TensorListMetadataILi2EEENS1_14UnaryOpFunctorIN3c107complexIdEELi2ELi1ELi1EEEJNS0_3TanIS8_EEEEEvT_T0_DpT1_.kd
    .uniform_work_group_size: 1
    .uses_dynamic_stack: false
    .vgpr_count:     82
    .vgpr_spill_count: 0
    .wavefront_size: 32
  - .args:
      - .offset:         0
        .size:           3144
        .value_kind:     by_value
      - .offset:         3144
        .size:           1
        .value_kind:     by_value
      - .offset:         3145
        .size:           1
        .value_kind:     by_value
      - .offset:         3152
        .size:           4
        .value_kind:     hidden_block_count_x
      - .offset:         3156
        .size:           4
        .value_kind:     hidden_block_count_y
      - .offset:         3160
        .size:           4
        .value_kind:     hidden_block_count_z
      - .offset:         3164
        .size:           2
        .value_kind:     hidden_group_size_x
      - .offset:         3166
        .size:           2
        .value_kind:     hidden_group_size_y
      - .offset:         3168
        .size:           2
        .value_kind:     hidden_group_size_z
      - .offset:         3170
        .size:           2
        .value_kind:     hidden_remainder_x
      - .offset:         3172
        .size:           2
        .value_kind:     hidden_remainder_y
      - .offset:         3174
        .size:           2
        .value_kind:     hidden_remainder_z
      - .offset:         3192
        .size:           8
        .value_kind:     hidden_global_offset_x
      - .offset:         3200
        .size:           8
        .value_kind:     hidden_global_offset_y
      - .offset:         3208
        .size:           8
        .value_kind:     hidden_global_offset_z
      - .offset:         3216
        .size:           2
        .value_kind:     hidden_grid_dims
    .group_segment_fixed_size: 0
    .kernarg_segment_align: 8
    .kernarg_segment_size: 3408
    .language:       OpenCL C
    .language_version:
      - 2
      - 0
    .max_flat_workgroup_size: 512
    .name:           _ZN2at6native12_GLOBAL__N_125multi_tensor_apply_kernelINS1_18TensorListMetadataILi2EEENS1_14UnaryOpFunctorIN3c107complexIfEELi2ELi1ELi1EEEJNS0_3TanIS8_EEEEEvT_T0_DpT1_
    .private_segment_fixed_size: 0
    .sgpr_count:     37
    .sgpr_spill_count: 0
    .symbol:         _ZN2at6native12_GLOBAL__N_125multi_tensor_apply_kernelINS1_18TensorListMetadataILi2EEENS1_14UnaryOpFunctorIN3c107complexIfEELi2ELi1ELi1EEEJNS0_3TanIS8_EEEEEvT_T0_DpT1_.kd
    .uniform_work_group_size: 1
    .uses_dynamic_stack: false
    .vgpr_count:     46
    .vgpr_spill_count: 0
    .wavefront_size: 32
  - .args:
      - .offset:         0
        .size:           3144
        .value_kind:     by_value
      - .offset:         3144
        .size:           1
        .value_kind:     by_value
      - .offset:         3145
        .size:           1
        .value_kind:     by_value
      - .offset:         3152
        .size:           4
        .value_kind:     hidden_block_count_x
      - .offset:         3156
        .size:           4
        .value_kind:     hidden_block_count_y
      - .offset:         3160
        .size:           4
        .value_kind:     hidden_block_count_z
      - .offset:         3164
        .size:           2
        .value_kind:     hidden_group_size_x
      - .offset:         3166
        .size:           2
        .value_kind:     hidden_group_size_y
      - .offset:         3168
        .size:           2
        .value_kind:     hidden_group_size_z
      - .offset:         3170
        .size:           2
        .value_kind:     hidden_remainder_x
      - .offset:         3172
        .size:           2
        .value_kind:     hidden_remainder_y
      - .offset:         3174
        .size:           2
        .value_kind:     hidden_remainder_z
      - .offset:         3192
        .size:           8
        .value_kind:     hidden_global_offset_x
      - .offset:         3200
        .size:           8
        .value_kind:     hidden_global_offset_y
      - .offset:         3208
        .size:           8
        .value_kind:     hidden_global_offset_z
      - .offset:         3216
        .size:           2
        .value_kind:     hidden_grid_dims
    .group_segment_fixed_size: 0
    .kernarg_segment_align: 8
    .kernarg_segment_size: 3408
    .language:       OpenCL C
    .language_version:
      - 2
      - 0
    .max_flat_workgroup_size: 512
    .name:           _ZN2at6native12_GLOBAL__N_125multi_tensor_apply_kernelINS1_18TensorListMetadataILi2EEENS1_14UnaryOpFunctorIN3c104HalfELi2ELi1ELi1EEEJNS0_3TanIfEEEEEvT_T0_DpT1_
    .private_segment_fixed_size: 0
    .sgpr_count:     26
    .sgpr_spill_count: 0
    .symbol:         _ZN2at6native12_GLOBAL__N_125multi_tensor_apply_kernelINS1_18TensorListMetadataILi2EEENS1_14UnaryOpFunctorIN3c104HalfELi2ELi1ELi1EEEJNS0_3TanIfEEEEEvT_T0_DpT1_.kd
    .uniform_work_group_size: 1
    .uses_dynamic_stack: false
    .vgpr_count:     58
    .vgpr_spill_count: 0
    .wavefront_size: 32
  - .args:
      - .offset:         0
        .size:           3144
        .value_kind:     by_value
      - .offset:         3144
        .size:           1
        .value_kind:     by_value
      - .offset:         3145
        .size:           1
        .value_kind:     by_value
      - .offset:         3152
        .size:           4
        .value_kind:     hidden_block_count_x
      - .offset:         3156
        .size:           4
        .value_kind:     hidden_block_count_y
      - .offset:         3160
        .size:           4
        .value_kind:     hidden_block_count_z
      - .offset:         3164
        .size:           2
        .value_kind:     hidden_group_size_x
      - .offset:         3166
        .size:           2
        .value_kind:     hidden_group_size_y
      - .offset:         3168
        .size:           2
        .value_kind:     hidden_group_size_z
      - .offset:         3170
        .size:           2
        .value_kind:     hidden_remainder_x
      - .offset:         3172
        .size:           2
        .value_kind:     hidden_remainder_y
      - .offset:         3174
        .size:           2
        .value_kind:     hidden_remainder_z
      - .offset:         3192
        .size:           8
        .value_kind:     hidden_global_offset_x
      - .offset:         3200
        .size:           8
        .value_kind:     hidden_global_offset_y
      - .offset:         3208
        .size:           8
        .value_kind:     hidden_global_offset_z
      - .offset:         3216
        .size:           2
        .value_kind:     hidden_grid_dims
    .group_segment_fixed_size: 0
    .kernarg_segment_align: 8
    .kernarg_segment_size: 3408
    .language:       OpenCL C
    .language_version:
      - 2
      - 0
    .max_flat_workgroup_size: 512
    .name:           _ZN2at6native12_GLOBAL__N_125multi_tensor_apply_kernelINS1_18TensorListMetadataILi2EEENS1_14UnaryOpFunctorIN3c108BFloat16ELi2ELi1ELi1EEEJNS0_3TanIfEEEEEvT_T0_DpT1_
    .private_segment_fixed_size: 0
    .sgpr_count:     26
    .sgpr_spill_count: 0
    .symbol:         _ZN2at6native12_GLOBAL__N_125multi_tensor_apply_kernelINS1_18TensorListMetadataILi2EEENS1_14UnaryOpFunctorIN3c108BFloat16ELi2ELi1ELi1EEEJNS0_3TanIfEEEEEvT_T0_DpT1_.kd
    .uniform_work_group_size: 1
    .uses_dynamic_stack: false
    .vgpr_count:     58
    .vgpr_spill_count: 0
    .wavefront_size: 32
  - .args:
      - .offset:         0
        .size:           3368
        .value_kind:     by_value
      - .offset:         3368
        .size:           1
        .value_kind:     by_value
      - .offset:         3369
        .size:           1
        .value_kind:     by_value
      - .offset:         3376
        .size:           4
        .value_kind:     hidden_block_count_x
      - .offset:         3380
        .size:           4
        .value_kind:     hidden_block_count_y
      - .offset:         3384
        .size:           4
        .value_kind:     hidden_block_count_z
      - .offset:         3388
        .size:           2
        .value_kind:     hidden_group_size_x
      - .offset:         3390
        .size:           2
        .value_kind:     hidden_group_size_y
      - .offset:         3392
        .size:           2
        .value_kind:     hidden_group_size_z
      - .offset:         3394
        .size:           2
        .value_kind:     hidden_remainder_x
      - .offset:         3396
        .size:           2
        .value_kind:     hidden_remainder_y
      - .offset:         3398
        .size:           2
        .value_kind:     hidden_remainder_z
      - .offset:         3416
        .size:           8
        .value_kind:     hidden_global_offset_x
      - .offset:         3424
        .size:           8
        .value_kind:     hidden_global_offset_y
      - .offset:         3432
        .size:           8
        .value_kind:     hidden_global_offset_z
      - .offset:         3440
        .size:           2
        .value_kind:     hidden_grid_dims
    .group_segment_fixed_size: 0
    .kernarg_segment_align: 8
    .kernarg_segment_size: 3632
    .language:       OpenCL C
    .language_version:
      - 2
      - 0
    .max_flat_workgroup_size: 512
    .name:           _ZN2at6native12_GLOBAL__N_125multi_tensor_apply_kernelINS1_18TensorListMetadataILi1EEENS1_14UnaryOpFunctorIdLi1ELi1ELi0EEEJNS0_3TanIdEEEEEvT_T0_DpT1_
    .private_segment_fixed_size: 0
    .sgpr_count:     31
    .sgpr_spill_count: 0
    .symbol:         _ZN2at6native12_GLOBAL__N_125multi_tensor_apply_kernelINS1_18TensorListMetadataILi1EEENS1_14UnaryOpFunctorIdLi1ELi1ELi0EEEJNS0_3TanIdEEEEEvT_T0_DpT1_.kd
    .uniform_work_group_size: 1
    .uses_dynamic_stack: false
    .vgpr_count:     78
    .vgpr_spill_count: 0
    .wavefront_size: 32
  - .args:
      - .offset:         0
        .size:           3368
        .value_kind:     by_value
      - .offset:         3368
        .size:           1
        .value_kind:     by_value
      - .offset:         3369
        .size:           1
        .value_kind:     by_value
      - .offset:         3376
        .size:           4
        .value_kind:     hidden_block_count_x
      - .offset:         3380
        .size:           4
        .value_kind:     hidden_block_count_y
      - .offset:         3384
        .size:           4
        .value_kind:     hidden_block_count_z
      - .offset:         3388
        .size:           2
        .value_kind:     hidden_group_size_x
      - .offset:         3390
        .size:           2
        .value_kind:     hidden_group_size_y
      - .offset:         3392
        .size:           2
        .value_kind:     hidden_group_size_z
      - .offset:         3394
        .size:           2
        .value_kind:     hidden_remainder_x
      - .offset:         3396
        .size:           2
        .value_kind:     hidden_remainder_y
      - .offset:         3398
        .size:           2
        .value_kind:     hidden_remainder_z
      - .offset:         3416
        .size:           8
        .value_kind:     hidden_global_offset_x
      - .offset:         3424
        .size:           8
        .value_kind:     hidden_global_offset_y
      - .offset:         3432
        .size:           8
        .value_kind:     hidden_global_offset_z
      - .offset:         3440
        .size:           2
        .value_kind:     hidden_grid_dims
    .group_segment_fixed_size: 0
    .kernarg_segment_align: 8
    .kernarg_segment_size: 3632
    .language:       OpenCL C
    .language_version:
      - 2
      - 0
    .max_flat_workgroup_size: 512
    .name:           _ZN2at6native12_GLOBAL__N_125multi_tensor_apply_kernelINS1_18TensorListMetadataILi1EEENS1_14UnaryOpFunctorIfLi1ELi1ELi0EEEJNS0_3TanIfEEEEEvT_T0_DpT1_
    .private_segment_fixed_size: 0
    .sgpr_count:     32
    .sgpr_spill_count: 0
    .symbol:         _ZN2at6native12_GLOBAL__N_125multi_tensor_apply_kernelINS1_18TensorListMetadataILi1EEENS1_14UnaryOpFunctorIfLi1ELi1ELi0EEEJNS0_3TanIfEEEEEvT_T0_DpT1_.kd
    .uniform_work_group_size: 1
    .uses_dynamic_stack: false
    .vgpr_count:     50
    .vgpr_spill_count: 0
    .wavefront_size: 32
  - .args:
      - .offset:         0
        .size:           3368
        .value_kind:     by_value
      - .offset:         3368
        .size:           1
        .value_kind:     by_value
      - .offset:         3369
        .size:           1
        .value_kind:     by_value
      - .offset:         3376
        .size:           4
        .value_kind:     hidden_block_count_x
      - .offset:         3380
        .size:           4
        .value_kind:     hidden_block_count_y
      - .offset:         3384
        .size:           4
        .value_kind:     hidden_block_count_z
      - .offset:         3388
        .size:           2
        .value_kind:     hidden_group_size_x
      - .offset:         3390
        .size:           2
        .value_kind:     hidden_group_size_y
      - .offset:         3392
        .size:           2
        .value_kind:     hidden_group_size_z
      - .offset:         3394
        .size:           2
        .value_kind:     hidden_remainder_x
      - .offset:         3396
        .size:           2
        .value_kind:     hidden_remainder_y
      - .offset:         3398
        .size:           2
        .value_kind:     hidden_remainder_z
      - .offset:         3416
        .size:           8
        .value_kind:     hidden_global_offset_x
      - .offset:         3424
        .size:           8
        .value_kind:     hidden_global_offset_y
      - .offset:         3432
        .size:           8
        .value_kind:     hidden_global_offset_z
      - .offset:         3440
        .size:           2
        .value_kind:     hidden_grid_dims
    .group_segment_fixed_size: 0
    .kernarg_segment_align: 8
    .kernarg_segment_size: 3632
    .language:       OpenCL C
    .language_version:
      - 2
      - 0
    .max_flat_workgroup_size: 512
    .name:           _ZN2at6native12_GLOBAL__N_125multi_tensor_apply_kernelINS1_18TensorListMetadataILi1EEENS1_14UnaryOpFunctorIN3c107complexIdEELi1ELi1ELi0EEEJNS0_3TanIS8_EEEEEvT_T0_DpT1_
    .private_segment_fixed_size: 0
    .sgpr_count:     41
    .sgpr_spill_count: 0
    .symbol:         _ZN2at6native12_GLOBAL__N_125multi_tensor_apply_kernelINS1_18TensorListMetadataILi1EEENS1_14UnaryOpFunctorIN3c107complexIdEELi1ELi1ELi0EEEJNS0_3TanIS8_EEEEEvT_T0_DpT1_.kd
    .uniform_work_group_size: 1
    .uses_dynamic_stack: false
    .vgpr_count:     96
    .vgpr_spill_count: 0
    .wavefront_size: 32
  - .args:
      - .offset:         0
        .size:           3368
        .value_kind:     by_value
      - .offset:         3368
        .size:           1
        .value_kind:     by_value
      - .offset:         3369
        .size:           1
        .value_kind:     by_value
      - .offset:         3376
        .size:           4
        .value_kind:     hidden_block_count_x
      - .offset:         3380
        .size:           4
        .value_kind:     hidden_block_count_y
      - .offset:         3384
        .size:           4
        .value_kind:     hidden_block_count_z
      - .offset:         3388
        .size:           2
        .value_kind:     hidden_group_size_x
      - .offset:         3390
        .size:           2
        .value_kind:     hidden_group_size_y
      - .offset:         3392
        .size:           2
        .value_kind:     hidden_group_size_z
      - .offset:         3394
        .size:           2
        .value_kind:     hidden_remainder_x
      - .offset:         3396
        .size:           2
        .value_kind:     hidden_remainder_y
      - .offset:         3398
        .size:           2
        .value_kind:     hidden_remainder_z
      - .offset:         3416
        .size:           8
        .value_kind:     hidden_global_offset_x
      - .offset:         3424
        .size:           8
        .value_kind:     hidden_global_offset_y
      - .offset:         3432
        .size:           8
        .value_kind:     hidden_global_offset_z
      - .offset:         3440
        .size:           2
        .value_kind:     hidden_grid_dims
    .group_segment_fixed_size: 0
    .kernarg_segment_align: 8
    .kernarg_segment_size: 3632
    .language:       OpenCL C
    .language_version:
      - 2
      - 0
    .max_flat_workgroup_size: 512
    .name:           _ZN2at6native12_GLOBAL__N_125multi_tensor_apply_kernelINS1_18TensorListMetadataILi1EEENS1_14UnaryOpFunctorIN3c107complexIfEELi1ELi1ELi0EEEJNS0_3TanIS8_EEEEEvT_T0_DpT1_
    .private_segment_fixed_size: 0
    .sgpr_count:     39
    .sgpr_spill_count: 0
    .symbol:         _ZN2at6native12_GLOBAL__N_125multi_tensor_apply_kernelINS1_18TensorListMetadataILi1EEENS1_14UnaryOpFunctorIN3c107complexIfEELi1ELi1ELi0EEEJNS0_3TanIS8_EEEEEvT_T0_DpT1_.kd
    .uniform_work_group_size: 1
    .uses_dynamic_stack: false
    .vgpr_count:     60
    .vgpr_spill_count: 0
    .wavefront_size: 32
  - .args:
      - .offset:         0
        .size:           3368
        .value_kind:     by_value
      - .offset:         3368
        .size:           1
        .value_kind:     by_value
      - .offset:         3369
        .size:           1
        .value_kind:     by_value
      - .offset:         3376
        .size:           4
        .value_kind:     hidden_block_count_x
      - .offset:         3380
        .size:           4
        .value_kind:     hidden_block_count_y
      - .offset:         3384
        .size:           4
        .value_kind:     hidden_block_count_z
      - .offset:         3388
        .size:           2
        .value_kind:     hidden_group_size_x
      - .offset:         3390
        .size:           2
        .value_kind:     hidden_group_size_y
      - .offset:         3392
        .size:           2
        .value_kind:     hidden_group_size_z
      - .offset:         3394
        .size:           2
        .value_kind:     hidden_remainder_x
      - .offset:         3396
        .size:           2
        .value_kind:     hidden_remainder_y
      - .offset:         3398
        .size:           2
        .value_kind:     hidden_remainder_z
      - .offset:         3416
        .size:           8
        .value_kind:     hidden_global_offset_x
      - .offset:         3424
        .size:           8
        .value_kind:     hidden_global_offset_y
      - .offset:         3432
        .size:           8
        .value_kind:     hidden_global_offset_z
      - .offset:         3440
        .size:           2
        .value_kind:     hidden_grid_dims
    .group_segment_fixed_size: 0
    .kernarg_segment_align: 8
    .kernarg_segment_size: 3632
    .language:       OpenCL C
    .language_version:
      - 2
      - 0
    .max_flat_workgroup_size: 512
    .name:           _ZN2at6native12_GLOBAL__N_125multi_tensor_apply_kernelINS1_18TensorListMetadataILi1EEENS1_14UnaryOpFunctorIN3c104HalfELi1ELi1ELi0EEEJNS0_3TanIfEEEEEvT_T0_DpT1_
    .private_segment_fixed_size: 0
    .sgpr_count:     30
    .sgpr_spill_count: 0
    .symbol:         _ZN2at6native12_GLOBAL__N_125multi_tensor_apply_kernelINS1_18TensorListMetadataILi1EEENS1_14UnaryOpFunctorIN3c104HalfELi1ELi1ELi0EEEJNS0_3TanIfEEEEEvT_T0_DpT1_.kd
    .uniform_work_group_size: 1
    .uses_dynamic_stack: false
    .vgpr_count:     50
    .vgpr_spill_count: 0
    .wavefront_size: 32
  - .args:
      - .offset:         0
        .size:           3368
        .value_kind:     by_value
      - .offset:         3368
        .size:           1
        .value_kind:     by_value
      - .offset:         3369
        .size:           1
        .value_kind:     by_value
      - .offset:         3376
        .size:           4
        .value_kind:     hidden_block_count_x
      - .offset:         3380
        .size:           4
        .value_kind:     hidden_block_count_y
      - .offset:         3384
        .size:           4
        .value_kind:     hidden_block_count_z
      - .offset:         3388
        .size:           2
        .value_kind:     hidden_group_size_x
      - .offset:         3390
        .size:           2
        .value_kind:     hidden_group_size_y
      - .offset:         3392
        .size:           2
        .value_kind:     hidden_group_size_z
      - .offset:         3394
        .size:           2
        .value_kind:     hidden_remainder_x
      - .offset:         3396
        .size:           2
        .value_kind:     hidden_remainder_y
      - .offset:         3398
        .size:           2
        .value_kind:     hidden_remainder_z
      - .offset:         3416
        .size:           8
        .value_kind:     hidden_global_offset_x
      - .offset:         3424
        .size:           8
        .value_kind:     hidden_global_offset_y
      - .offset:         3432
        .size:           8
        .value_kind:     hidden_global_offset_z
      - .offset:         3440
        .size:           2
        .value_kind:     hidden_grid_dims
    .group_segment_fixed_size: 0
    .kernarg_segment_align: 8
    .kernarg_segment_size: 3632
    .language:       OpenCL C
    .language_version:
      - 2
      - 0
    .max_flat_workgroup_size: 512
    .name:           _ZN2at6native12_GLOBAL__N_125multi_tensor_apply_kernelINS1_18TensorListMetadataILi1EEENS1_14UnaryOpFunctorIN3c108BFloat16ELi1ELi1ELi0EEEJNS0_3TanIfEEEEEvT_T0_DpT1_
    .private_segment_fixed_size: 0
    .sgpr_count:     30
    .sgpr_spill_count: 0
    .symbol:         _ZN2at6native12_GLOBAL__N_125multi_tensor_apply_kernelINS1_18TensorListMetadataILi1EEENS1_14UnaryOpFunctorIN3c108BFloat16ELi1ELi1ELi0EEEJNS0_3TanIfEEEEEvT_T0_DpT1_.kd
    .uniform_work_group_size: 1
    .uses_dynamic_stack: false
    .vgpr_count:     50
    .vgpr_spill_count: 0
    .wavefront_size: 32
  - .args:
      - .offset:         0
        .size:           3144
        .value_kind:     by_value
      - .offset:         3144
        .size:           1
        .value_kind:     by_value
      - .offset:         3145
        .size:           1
        .value_kind:     by_value
      - .offset:         3152
        .size:           4
        .value_kind:     hidden_block_count_x
      - .offset:         3156
        .size:           4
        .value_kind:     hidden_block_count_y
      - .offset:         3160
        .size:           4
        .value_kind:     hidden_block_count_z
      - .offset:         3164
        .size:           2
        .value_kind:     hidden_group_size_x
      - .offset:         3166
        .size:           2
        .value_kind:     hidden_group_size_y
      - .offset:         3168
        .size:           2
        .value_kind:     hidden_group_size_z
      - .offset:         3170
        .size:           2
        .value_kind:     hidden_remainder_x
      - .offset:         3172
        .size:           2
        .value_kind:     hidden_remainder_y
      - .offset:         3174
        .size:           2
        .value_kind:     hidden_remainder_z
      - .offset:         3192
        .size:           8
        .value_kind:     hidden_global_offset_x
      - .offset:         3200
        .size:           8
        .value_kind:     hidden_global_offset_y
      - .offset:         3208
        .size:           8
        .value_kind:     hidden_global_offset_z
      - .offset:         3216
        .size:           2
        .value_kind:     hidden_grid_dims
    .group_segment_fixed_size: 0
    .kernarg_segment_align: 8
    .kernarg_segment_size: 3408
    .language:       OpenCL C
    .language_version:
      - 2
      - 0
    .max_flat_workgroup_size: 512
    .name:           _ZN2at6native12_GLOBAL__N_125multi_tensor_apply_kernelINS1_18TensorListMetadataILi2EEENS1_14UnaryOpFunctorIdLi2ELi1ELi1EEEJNS0_3SinIdEEEEEvT_T0_DpT1_
    .private_segment_fixed_size: 0
    .sgpr_count:     31
    .sgpr_spill_count: 0
    .symbol:         _ZN2at6native12_GLOBAL__N_125multi_tensor_apply_kernelINS1_18TensorListMetadataILi2EEENS1_14UnaryOpFunctorIdLi2ELi1ELi1EEEJNS0_3SinIdEEEEEvT_T0_DpT1_.kd
    .uniform_work_group_size: 1
    .uses_dynamic_stack: false
    .vgpr_count:     96
    .vgpr_spill_count: 0
    .wavefront_size: 32
  - .args:
      - .offset:         0
        .size:           3144
        .value_kind:     by_value
      - .offset:         3144
        .size:           1
        .value_kind:     by_value
      - .offset:         3145
        .size:           1
        .value_kind:     by_value
      - .offset:         3152
        .size:           4
        .value_kind:     hidden_block_count_x
      - .offset:         3156
        .size:           4
        .value_kind:     hidden_block_count_y
      - .offset:         3160
        .size:           4
        .value_kind:     hidden_block_count_z
      - .offset:         3164
        .size:           2
        .value_kind:     hidden_group_size_x
      - .offset:         3166
        .size:           2
        .value_kind:     hidden_group_size_y
      - .offset:         3168
        .size:           2
        .value_kind:     hidden_group_size_z
      - .offset:         3170
        .size:           2
        .value_kind:     hidden_remainder_x
      - .offset:         3172
        .size:           2
        .value_kind:     hidden_remainder_y
      - .offset:         3174
        .size:           2
        .value_kind:     hidden_remainder_z
      - .offset:         3192
        .size:           8
        .value_kind:     hidden_global_offset_x
      - .offset:         3200
        .size:           8
        .value_kind:     hidden_global_offset_y
      - .offset:         3208
        .size:           8
        .value_kind:     hidden_global_offset_z
      - .offset:         3216
        .size:           2
        .value_kind:     hidden_grid_dims
    .group_segment_fixed_size: 0
    .kernarg_segment_align: 8
    .kernarg_segment_size: 3408
    .language:       OpenCL C
    .language_version:
      - 2
      - 0
    .max_flat_workgroup_size: 512
    .name:           _ZN2at6native12_GLOBAL__N_125multi_tensor_apply_kernelINS1_18TensorListMetadataILi2EEENS1_14UnaryOpFunctorIfLi2ELi1ELi1EEEJNS0_3SinIfEEEEEvT_T0_DpT1_
    .private_segment_fixed_size: 0
    .sgpr_count:     26
    .sgpr_spill_count: 0
    .symbol:         _ZN2at6native12_GLOBAL__N_125multi_tensor_apply_kernelINS1_18TensorListMetadataILi2EEENS1_14UnaryOpFunctorIfLi2ELi1ELi1EEEJNS0_3SinIfEEEEEvT_T0_DpT1_.kd
    .uniform_work_group_size: 1
    .uses_dynamic_stack: false
    .vgpr_count:     58
    .vgpr_spill_count: 0
    .wavefront_size: 32
  - .args:
      - .offset:         0
        .size:           3144
        .value_kind:     by_value
      - .offset:         3144
        .size:           1
        .value_kind:     by_value
      - .offset:         3145
        .size:           1
        .value_kind:     by_value
      - .offset:         3152
        .size:           4
        .value_kind:     hidden_block_count_x
      - .offset:         3156
        .size:           4
        .value_kind:     hidden_block_count_y
      - .offset:         3160
        .size:           4
        .value_kind:     hidden_block_count_z
      - .offset:         3164
        .size:           2
        .value_kind:     hidden_group_size_x
      - .offset:         3166
        .size:           2
        .value_kind:     hidden_group_size_y
      - .offset:         3168
        .size:           2
        .value_kind:     hidden_group_size_z
      - .offset:         3170
        .size:           2
        .value_kind:     hidden_remainder_x
      - .offset:         3172
        .size:           2
        .value_kind:     hidden_remainder_y
      - .offset:         3174
        .size:           2
        .value_kind:     hidden_remainder_z
      - .offset:         3192
        .size:           8
        .value_kind:     hidden_global_offset_x
      - .offset:         3200
        .size:           8
        .value_kind:     hidden_global_offset_y
      - .offset:         3208
        .size:           8
        .value_kind:     hidden_global_offset_z
      - .offset:         3216
        .size:           2
        .value_kind:     hidden_grid_dims
    .group_segment_fixed_size: 0
    .kernarg_segment_align: 8
    .kernarg_segment_size: 3408
    .language:       OpenCL C
    .language_version:
      - 2
      - 0
    .max_flat_workgroup_size: 512
    .name:           _ZN2at6native12_GLOBAL__N_125multi_tensor_apply_kernelINS1_18TensorListMetadataILi2EEENS1_14UnaryOpFunctorIN3c107complexIdEELi2ELi1ELi1EEEJNS0_3SinIS8_EEEEEvT_T0_DpT1_
    .private_segment_fixed_size: 0
    .sgpr_count:     35
    .sgpr_spill_count: 0
    .symbol:         _ZN2at6native12_GLOBAL__N_125multi_tensor_apply_kernelINS1_18TensorListMetadataILi2EEENS1_14UnaryOpFunctorIN3c107complexIdEELi2ELi1ELi1EEEJNS0_3SinIS8_EEEEEvT_T0_DpT1_.kd
    .uniform_work_group_size: 1
    .uses_dynamic_stack: false
    .vgpr_count:     86
    .vgpr_spill_count: 0
    .wavefront_size: 32
  - .args:
      - .offset:         0
        .size:           3144
        .value_kind:     by_value
      - .offset:         3144
        .size:           1
        .value_kind:     by_value
      - .offset:         3145
        .size:           1
        .value_kind:     by_value
      - .offset:         3152
        .size:           4
        .value_kind:     hidden_block_count_x
      - .offset:         3156
        .size:           4
        .value_kind:     hidden_block_count_y
      - .offset:         3160
        .size:           4
        .value_kind:     hidden_block_count_z
      - .offset:         3164
        .size:           2
        .value_kind:     hidden_group_size_x
      - .offset:         3166
        .size:           2
        .value_kind:     hidden_group_size_y
      - .offset:         3168
        .size:           2
        .value_kind:     hidden_group_size_z
      - .offset:         3170
        .size:           2
        .value_kind:     hidden_remainder_x
      - .offset:         3172
        .size:           2
        .value_kind:     hidden_remainder_y
      - .offset:         3174
        .size:           2
        .value_kind:     hidden_remainder_z
      - .offset:         3192
        .size:           8
        .value_kind:     hidden_global_offset_x
      - .offset:         3200
        .size:           8
        .value_kind:     hidden_global_offset_y
      - .offset:         3208
        .size:           8
        .value_kind:     hidden_global_offset_z
      - .offset:         3216
        .size:           2
        .value_kind:     hidden_grid_dims
    .group_segment_fixed_size: 0
    .kernarg_segment_align: 8
    .kernarg_segment_size: 3408
    .language:       OpenCL C
    .language_version:
      - 2
      - 0
    .max_flat_workgroup_size: 512
    .name:           _ZN2at6native12_GLOBAL__N_125multi_tensor_apply_kernelINS1_18TensorListMetadataILi2EEENS1_14UnaryOpFunctorIN3c107complexIfEELi2ELi1ELi1EEEJNS0_3SinIS8_EEEEEvT_T0_DpT1_
    .private_segment_fixed_size: 0
    .sgpr_count:     37
    .sgpr_spill_count: 0
    .symbol:         _ZN2at6native12_GLOBAL__N_125multi_tensor_apply_kernelINS1_18TensorListMetadataILi2EEENS1_14UnaryOpFunctorIN3c107complexIfEELi2ELi1ELi1EEEJNS0_3SinIS8_EEEEEvT_T0_DpT1_.kd
    .uniform_work_group_size: 1
    .uses_dynamic_stack: false
    .vgpr_count:     56
    .vgpr_spill_count: 0
    .wavefront_size: 32
  - .args:
      - .offset:         0
        .size:           3144
        .value_kind:     by_value
      - .offset:         3144
        .size:           1
        .value_kind:     by_value
      - .offset:         3145
        .size:           1
        .value_kind:     by_value
      - .offset:         3152
        .size:           4
        .value_kind:     hidden_block_count_x
      - .offset:         3156
        .size:           4
        .value_kind:     hidden_block_count_y
      - .offset:         3160
        .size:           4
        .value_kind:     hidden_block_count_z
      - .offset:         3164
        .size:           2
        .value_kind:     hidden_group_size_x
      - .offset:         3166
        .size:           2
        .value_kind:     hidden_group_size_y
      - .offset:         3168
        .size:           2
        .value_kind:     hidden_group_size_z
      - .offset:         3170
        .size:           2
        .value_kind:     hidden_remainder_x
      - .offset:         3172
        .size:           2
        .value_kind:     hidden_remainder_y
      - .offset:         3174
        .size:           2
        .value_kind:     hidden_remainder_z
      - .offset:         3192
        .size:           8
        .value_kind:     hidden_global_offset_x
      - .offset:         3200
        .size:           8
        .value_kind:     hidden_global_offset_y
      - .offset:         3208
        .size:           8
        .value_kind:     hidden_global_offset_z
      - .offset:         3216
        .size:           2
        .value_kind:     hidden_grid_dims
    .group_segment_fixed_size: 0
    .kernarg_segment_align: 8
    .kernarg_segment_size: 3408
    .language:       OpenCL C
    .language_version:
      - 2
      - 0
    .max_flat_workgroup_size: 512
    .name:           _ZN2at6native12_GLOBAL__N_125multi_tensor_apply_kernelINS1_18TensorListMetadataILi2EEENS1_14UnaryOpFunctorIN3c104HalfELi2ELi1ELi1EEEJNS0_3SinIfEEEEEvT_T0_DpT1_
    .private_segment_fixed_size: 0
    .sgpr_count:     26
    .sgpr_spill_count: 0
    .symbol:         _ZN2at6native12_GLOBAL__N_125multi_tensor_apply_kernelINS1_18TensorListMetadataILi2EEENS1_14UnaryOpFunctorIN3c104HalfELi2ELi1ELi1EEEJNS0_3SinIfEEEEEvT_T0_DpT1_.kd
    .uniform_work_group_size: 1
    .uses_dynamic_stack: false
    .vgpr_count:     58
    .vgpr_spill_count: 0
    .wavefront_size: 32
  - .args:
      - .offset:         0
        .size:           3144
        .value_kind:     by_value
      - .offset:         3144
        .size:           1
        .value_kind:     by_value
      - .offset:         3145
        .size:           1
        .value_kind:     by_value
      - .offset:         3152
        .size:           4
        .value_kind:     hidden_block_count_x
      - .offset:         3156
        .size:           4
        .value_kind:     hidden_block_count_y
      - .offset:         3160
        .size:           4
        .value_kind:     hidden_block_count_z
      - .offset:         3164
        .size:           2
        .value_kind:     hidden_group_size_x
      - .offset:         3166
        .size:           2
        .value_kind:     hidden_group_size_y
      - .offset:         3168
        .size:           2
        .value_kind:     hidden_group_size_z
      - .offset:         3170
        .size:           2
        .value_kind:     hidden_remainder_x
      - .offset:         3172
        .size:           2
        .value_kind:     hidden_remainder_y
      - .offset:         3174
        .size:           2
        .value_kind:     hidden_remainder_z
      - .offset:         3192
        .size:           8
        .value_kind:     hidden_global_offset_x
      - .offset:         3200
        .size:           8
        .value_kind:     hidden_global_offset_y
      - .offset:         3208
        .size:           8
        .value_kind:     hidden_global_offset_z
      - .offset:         3216
        .size:           2
        .value_kind:     hidden_grid_dims
    .group_segment_fixed_size: 0
    .kernarg_segment_align: 8
    .kernarg_segment_size: 3408
    .language:       OpenCL C
    .language_version:
      - 2
      - 0
    .max_flat_workgroup_size: 512
    .name:           _ZN2at6native12_GLOBAL__N_125multi_tensor_apply_kernelINS1_18TensorListMetadataILi2EEENS1_14UnaryOpFunctorIN3c108BFloat16ELi2ELi1ELi1EEEJNS0_3SinIfEEEEEvT_T0_DpT1_
    .private_segment_fixed_size: 0
    .sgpr_count:     26
    .sgpr_spill_count: 0
    .symbol:         _ZN2at6native12_GLOBAL__N_125multi_tensor_apply_kernelINS1_18TensorListMetadataILi2EEENS1_14UnaryOpFunctorIN3c108BFloat16ELi2ELi1ELi1EEEJNS0_3SinIfEEEEEvT_T0_DpT1_.kd
    .uniform_work_group_size: 1
    .uses_dynamic_stack: false
    .vgpr_count:     58
    .vgpr_spill_count: 0
    .wavefront_size: 32
  - .args:
      - .offset:         0
        .size:           3368
        .value_kind:     by_value
      - .offset:         3368
        .size:           1
        .value_kind:     by_value
      - .offset:         3369
        .size:           1
        .value_kind:     by_value
      - .offset:         3376
        .size:           4
        .value_kind:     hidden_block_count_x
      - .offset:         3380
        .size:           4
        .value_kind:     hidden_block_count_y
      - .offset:         3384
        .size:           4
        .value_kind:     hidden_block_count_z
      - .offset:         3388
        .size:           2
        .value_kind:     hidden_group_size_x
      - .offset:         3390
        .size:           2
        .value_kind:     hidden_group_size_y
      - .offset:         3392
        .size:           2
        .value_kind:     hidden_group_size_z
      - .offset:         3394
        .size:           2
        .value_kind:     hidden_remainder_x
      - .offset:         3396
        .size:           2
        .value_kind:     hidden_remainder_y
      - .offset:         3398
        .size:           2
        .value_kind:     hidden_remainder_z
      - .offset:         3416
        .size:           8
        .value_kind:     hidden_global_offset_x
      - .offset:         3424
        .size:           8
        .value_kind:     hidden_global_offset_y
      - .offset:         3432
        .size:           8
        .value_kind:     hidden_global_offset_z
      - .offset:         3440
        .size:           2
        .value_kind:     hidden_grid_dims
    .group_segment_fixed_size: 0
    .kernarg_segment_align: 8
    .kernarg_segment_size: 3632
    .language:       OpenCL C
    .language_version:
      - 2
      - 0
    .max_flat_workgroup_size: 512
    .name:           _ZN2at6native12_GLOBAL__N_125multi_tensor_apply_kernelINS1_18TensorListMetadataILi1EEENS1_14UnaryOpFunctorIdLi1ELi1ELi0EEEJNS0_3SinIdEEEEEvT_T0_DpT1_
    .private_segment_fixed_size: 0
    .sgpr_count:     31
    .sgpr_spill_count: 0
    .symbol:         _ZN2at6native12_GLOBAL__N_125multi_tensor_apply_kernelINS1_18TensorListMetadataILi1EEENS1_14UnaryOpFunctorIdLi1ELi1ELi0EEEJNS0_3SinIdEEEEEvT_T0_DpT1_.kd
    .uniform_work_group_size: 1
    .uses_dynamic_stack: false
    .vgpr_count:     80
    .vgpr_spill_count: 0
    .wavefront_size: 32
  - .args:
      - .offset:         0
        .size:           3368
        .value_kind:     by_value
      - .offset:         3368
        .size:           1
        .value_kind:     by_value
      - .offset:         3369
        .size:           1
        .value_kind:     by_value
      - .offset:         3376
        .size:           4
        .value_kind:     hidden_block_count_x
      - .offset:         3380
        .size:           4
        .value_kind:     hidden_block_count_y
      - .offset:         3384
        .size:           4
        .value_kind:     hidden_block_count_z
      - .offset:         3388
        .size:           2
        .value_kind:     hidden_group_size_x
      - .offset:         3390
        .size:           2
        .value_kind:     hidden_group_size_y
      - .offset:         3392
        .size:           2
        .value_kind:     hidden_group_size_z
      - .offset:         3394
        .size:           2
        .value_kind:     hidden_remainder_x
      - .offset:         3396
        .size:           2
        .value_kind:     hidden_remainder_y
      - .offset:         3398
        .size:           2
        .value_kind:     hidden_remainder_z
      - .offset:         3416
        .size:           8
        .value_kind:     hidden_global_offset_x
      - .offset:         3424
        .size:           8
        .value_kind:     hidden_global_offset_y
      - .offset:         3432
        .size:           8
        .value_kind:     hidden_global_offset_z
      - .offset:         3440
        .size:           2
        .value_kind:     hidden_grid_dims
    .group_segment_fixed_size: 0
    .kernarg_segment_align: 8
    .kernarg_segment_size: 3632
    .language:       OpenCL C
    .language_version:
      - 2
      - 0
    .max_flat_workgroup_size: 512
    .name:           _ZN2at6native12_GLOBAL__N_125multi_tensor_apply_kernelINS1_18TensorListMetadataILi1EEENS1_14UnaryOpFunctorIfLi1ELi1ELi0EEEJNS0_3SinIfEEEEEvT_T0_DpT1_
    .private_segment_fixed_size: 0
    .sgpr_count:     32
    .sgpr_spill_count: 0
    .symbol:         _ZN2at6native12_GLOBAL__N_125multi_tensor_apply_kernelINS1_18TensorListMetadataILi1EEENS1_14UnaryOpFunctorIfLi1ELi1ELi0EEEJNS0_3SinIfEEEEEvT_T0_DpT1_.kd
    .uniform_work_group_size: 1
    .uses_dynamic_stack: false
    .vgpr_count:     50
    .vgpr_spill_count: 0
    .wavefront_size: 32
  - .args:
      - .offset:         0
        .size:           3368
        .value_kind:     by_value
      - .offset:         3368
        .size:           1
        .value_kind:     by_value
      - .offset:         3369
        .size:           1
        .value_kind:     by_value
      - .offset:         3376
        .size:           4
        .value_kind:     hidden_block_count_x
      - .offset:         3380
        .size:           4
        .value_kind:     hidden_block_count_y
      - .offset:         3384
        .size:           4
        .value_kind:     hidden_block_count_z
      - .offset:         3388
        .size:           2
        .value_kind:     hidden_group_size_x
      - .offset:         3390
        .size:           2
        .value_kind:     hidden_group_size_y
      - .offset:         3392
        .size:           2
        .value_kind:     hidden_group_size_z
      - .offset:         3394
        .size:           2
        .value_kind:     hidden_remainder_x
      - .offset:         3396
        .size:           2
        .value_kind:     hidden_remainder_y
      - .offset:         3398
        .size:           2
        .value_kind:     hidden_remainder_z
      - .offset:         3416
        .size:           8
        .value_kind:     hidden_global_offset_x
      - .offset:         3424
        .size:           8
        .value_kind:     hidden_global_offset_y
      - .offset:         3432
        .size:           8
        .value_kind:     hidden_global_offset_z
      - .offset:         3440
        .size:           2
        .value_kind:     hidden_grid_dims
    .group_segment_fixed_size: 0
    .kernarg_segment_align: 8
    .kernarg_segment_size: 3632
    .language:       OpenCL C
    .language_version:
      - 2
      - 0
    .max_flat_workgroup_size: 512
    .name:           _ZN2at6native12_GLOBAL__N_125multi_tensor_apply_kernelINS1_18TensorListMetadataILi1EEENS1_14UnaryOpFunctorIN3c107complexIdEELi1ELi1ELi0EEEJNS0_3SinIS8_EEEEEvT_T0_DpT1_
    .private_segment_fixed_size: 0
    .sgpr_count:     38
    .sgpr_spill_count: 0
    .symbol:         _ZN2at6native12_GLOBAL__N_125multi_tensor_apply_kernelINS1_18TensorListMetadataILi1EEENS1_14UnaryOpFunctorIN3c107complexIdEELi1ELi1ELi0EEEJNS0_3SinIS8_EEEEEvT_T0_DpT1_.kd
    .uniform_work_group_size: 1
    .uses_dynamic_stack: false
    .vgpr_count:     100
    .vgpr_spill_count: 0
    .wavefront_size: 32
  - .args:
      - .offset:         0
        .size:           3368
        .value_kind:     by_value
      - .offset:         3368
        .size:           1
        .value_kind:     by_value
      - .offset:         3369
        .size:           1
        .value_kind:     by_value
      - .offset:         3376
        .size:           4
        .value_kind:     hidden_block_count_x
      - .offset:         3380
        .size:           4
        .value_kind:     hidden_block_count_y
      - .offset:         3384
        .size:           4
        .value_kind:     hidden_block_count_z
      - .offset:         3388
        .size:           2
        .value_kind:     hidden_group_size_x
      - .offset:         3390
        .size:           2
        .value_kind:     hidden_group_size_y
      - .offset:         3392
        .size:           2
        .value_kind:     hidden_group_size_z
      - .offset:         3394
        .size:           2
        .value_kind:     hidden_remainder_x
      - .offset:         3396
        .size:           2
        .value_kind:     hidden_remainder_y
      - .offset:         3398
        .size:           2
        .value_kind:     hidden_remainder_z
      - .offset:         3416
        .size:           8
        .value_kind:     hidden_global_offset_x
      - .offset:         3424
        .size:           8
        .value_kind:     hidden_global_offset_y
      - .offset:         3432
        .size:           8
        .value_kind:     hidden_global_offset_z
      - .offset:         3440
        .size:           2
        .value_kind:     hidden_grid_dims
    .group_segment_fixed_size: 0
    .kernarg_segment_align: 8
    .kernarg_segment_size: 3632
    .language:       OpenCL C
    .language_version:
      - 2
      - 0
    .max_flat_workgroup_size: 512
    .name:           _ZN2at6native12_GLOBAL__N_125multi_tensor_apply_kernelINS1_18TensorListMetadataILi1EEENS1_14UnaryOpFunctorIN3c107complexIfEELi1ELi1ELi0EEEJNS0_3SinIS8_EEEEEvT_T0_DpT1_
    .private_segment_fixed_size: 0
    .sgpr_count:     38
    .sgpr_spill_count: 0
    .symbol:         _ZN2at6native12_GLOBAL__N_125multi_tensor_apply_kernelINS1_18TensorListMetadataILi1EEENS1_14UnaryOpFunctorIN3c107complexIfEELi1ELi1ELi0EEEJNS0_3SinIS8_EEEEEvT_T0_DpT1_.kd
    .uniform_work_group_size: 1
    .uses_dynamic_stack: false
    .vgpr_count:     56
    .vgpr_spill_count: 0
    .wavefront_size: 32
  - .args:
      - .offset:         0
        .size:           3368
        .value_kind:     by_value
      - .offset:         3368
        .size:           1
        .value_kind:     by_value
      - .offset:         3369
        .size:           1
        .value_kind:     by_value
      - .offset:         3376
        .size:           4
        .value_kind:     hidden_block_count_x
      - .offset:         3380
        .size:           4
        .value_kind:     hidden_block_count_y
      - .offset:         3384
        .size:           4
        .value_kind:     hidden_block_count_z
      - .offset:         3388
        .size:           2
        .value_kind:     hidden_group_size_x
      - .offset:         3390
        .size:           2
        .value_kind:     hidden_group_size_y
      - .offset:         3392
        .size:           2
        .value_kind:     hidden_group_size_z
      - .offset:         3394
        .size:           2
        .value_kind:     hidden_remainder_x
      - .offset:         3396
        .size:           2
        .value_kind:     hidden_remainder_y
      - .offset:         3398
        .size:           2
        .value_kind:     hidden_remainder_z
      - .offset:         3416
        .size:           8
        .value_kind:     hidden_global_offset_x
      - .offset:         3424
        .size:           8
        .value_kind:     hidden_global_offset_y
      - .offset:         3432
        .size:           8
        .value_kind:     hidden_global_offset_z
      - .offset:         3440
        .size:           2
        .value_kind:     hidden_grid_dims
    .group_segment_fixed_size: 0
    .kernarg_segment_align: 8
    .kernarg_segment_size: 3632
    .language:       OpenCL C
    .language_version:
      - 2
      - 0
    .max_flat_workgroup_size: 512
    .name:           _ZN2at6native12_GLOBAL__N_125multi_tensor_apply_kernelINS1_18TensorListMetadataILi1EEENS1_14UnaryOpFunctorIN3c104HalfELi1ELi1ELi0EEEJNS0_3SinIfEEEEEvT_T0_DpT1_
    .private_segment_fixed_size: 0
    .sgpr_count:     30
    .sgpr_spill_count: 0
    .symbol:         _ZN2at6native12_GLOBAL__N_125multi_tensor_apply_kernelINS1_18TensorListMetadataILi1EEENS1_14UnaryOpFunctorIN3c104HalfELi1ELi1ELi0EEEJNS0_3SinIfEEEEEvT_T0_DpT1_.kd
    .uniform_work_group_size: 1
    .uses_dynamic_stack: false
    .vgpr_count:     50
    .vgpr_spill_count: 0
    .wavefront_size: 32
  - .args:
      - .offset:         0
        .size:           3368
        .value_kind:     by_value
      - .offset:         3368
        .size:           1
        .value_kind:     by_value
      - .offset:         3369
        .size:           1
        .value_kind:     by_value
      - .offset:         3376
        .size:           4
        .value_kind:     hidden_block_count_x
      - .offset:         3380
        .size:           4
        .value_kind:     hidden_block_count_y
      - .offset:         3384
        .size:           4
        .value_kind:     hidden_block_count_z
      - .offset:         3388
        .size:           2
        .value_kind:     hidden_group_size_x
      - .offset:         3390
        .size:           2
        .value_kind:     hidden_group_size_y
      - .offset:         3392
        .size:           2
        .value_kind:     hidden_group_size_z
      - .offset:         3394
        .size:           2
        .value_kind:     hidden_remainder_x
      - .offset:         3396
        .size:           2
        .value_kind:     hidden_remainder_y
      - .offset:         3398
        .size:           2
        .value_kind:     hidden_remainder_z
      - .offset:         3416
        .size:           8
        .value_kind:     hidden_global_offset_x
      - .offset:         3424
        .size:           8
        .value_kind:     hidden_global_offset_y
      - .offset:         3432
        .size:           8
        .value_kind:     hidden_global_offset_z
      - .offset:         3440
        .size:           2
        .value_kind:     hidden_grid_dims
    .group_segment_fixed_size: 0
    .kernarg_segment_align: 8
    .kernarg_segment_size: 3632
    .language:       OpenCL C
    .language_version:
      - 2
      - 0
    .max_flat_workgroup_size: 512
    .name:           _ZN2at6native12_GLOBAL__N_125multi_tensor_apply_kernelINS1_18TensorListMetadataILi1EEENS1_14UnaryOpFunctorIN3c108BFloat16ELi1ELi1ELi0EEEJNS0_3SinIfEEEEEvT_T0_DpT1_
    .private_segment_fixed_size: 0
    .sgpr_count:     30
    .sgpr_spill_count: 0
    .symbol:         _ZN2at6native12_GLOBAL__N_125multi_tensor_apply_kernelINS1_18TensorListMetadataILi1EEENS1_14UnaryOpFunctorIN3c108BFloat16ELi1ELi1ELi0EEEJNS0_3SinIfEEEEEvT_T0_DpT1_.kd
    .uniform_work_group_size: 1
    .uses_dynamic_stack: false
    .vgpr_count:     50
    .vgpr_spill_count: 0
    .wavefront_size: 32
  - .args:
      - .offset:         0
        .size:           3144
        .value_kind:     by_value
      - .offset:         3144
        .size:           1
        .value_kind:     by_value
      - .offset:         3145
        .size:           1
        .value_kind:     by_value
      - .offset:         3152
        .size:           4
        .value_kind:     hidden_block_count_x
      - .offset:         3156
        .size:           4
        .value_kind:     hidden_block_count_y
      - .offset:         3160
        .size:           4
        .value_kind:     hidden_block_count_z
      - .offset:         3164
        .size:           2
        .value_kind:     hidden_group_size_x
      - .offset:         3166
        .size:           2
        .value_kind:     hidden_group_size_y
      - .offset:         3168
        .size:           2
        .value_kind:     hidden_group_size_z
      - .offset:         3170
        .size:           2
        .value_kind:     hidden_remainder_x
      - .offset:         3172
        .size:           2
        .value_kind:     hidden_remainder_y
      - .offset:         3174
        .size:           2
        .value_kind:     hidden_remainder_z
      - .offset:         3192
        .size:           8
        .value_kind:     hidden_global_offset_x
      - .offset:         3200
        .size:           8
        .value_kind:     hidden_global_offset_y
      - .offset:         3208
        .size:           8
        .value_kind:     hidden_global_offset_z
      - .offset:         3216
        .size:           2
        .value_kind:     hidden_grid_dims
    .group_segment_fixed_size: 0
    .kernarg_segment_align: 8
    .kernarg_segment_size: 3408
    .language:       OpenCL C
    .language_version:
      - 2
      - 0
    .max_flat_workgroup_size: 512
    .name:           _ZN2at6native12_GLOBAL__N_125multi_tensor_apply_kernelINS1_18TensorListMetadataILi2EEENS1_14UnaryOpFunctorIdLi2ELi1ELi1EEEJNS0_4SinhIdEEEEEvT_T0_DpT1_
    .private_segment_fixed_size: 0
    .sgpr_count:     22
    .sgpr_spill_count: 0
    .symbol:         _ZN2at6native12_GLOBAL__N_125multi_tensor_apply_kernelINS1_18TensorListMetadataILi2EEENS1_14UnaryOpFunctorIdLi2ELi1ELi1EEEJNS0_4SinhIdEEEEEvT_T0_DpT1_.kd
    .uniform_work_group_size: 1
    .uses_dynamic_stack: false
    .vgpr_count:     60
    .vgpr_spill_count: 0
    .wavefront_size: 32
  - .args:
      - .offset:         0
        .size:           3144
        .value_kind:     by_value
      - .offset:         3144
        .size:           1
        .value_kind:     by_value
      - .offset:         3145
        .size:           1
        .value_kind:     by_value
      - .offset:         3152
        .size:           4
        .value_kind:     hidden_block_count_x
      - .offset:         3156
        .size:           4
        .value_kind:     hidden_block_count_y
      - .offset:         3160
        .size:           4
        .value_kind:     hidden_block_count_z
      - .offset:         3164
        .size:           2
        .value_kind:     hidden_group_size_x
      - .offset:         3166
        .size:           2
        .value_kind:     hidden_group_size_y
      - .offset:         3168
        .size:           2
        .value_kind:     hidden_group_size_z
      - .offset:         3170
        .size:           2
        .value_kind:     hidden_remainder_x
      - .offset:         3172
        .size:           2
        .value_kind:     hidden_remainder_y
      - .offset:         3174
        .size:           2
        .value_kind:     hidden_remainder_z
      - .offset:         3192
        .size:           8
        .value_kind:     hidden_global_offset_x
      - .offset:         3200
        .size:           8
        .value_kind:     hidden_global_offset_y
      - .offset:         3208
        .size:           8
        .value_kind:     hidden_global_offset_z
      - .offset:         3216
        .size:           2
        .value_kind:     hidden_grid_dims
    .group_segment_fixed_size: 0
    .kernarg_segment_align: 8
    .kernarg_segment_size: 3408
    .language:       OpenCL C
    .language_version:
      - 2
      - 0
    .max_flat_workgroup_size: 512
    .name:           _ZN2at6native12_GLOBAL__N_125multi_tensor_apply_kernelINS1_18TensorListMetadataILi2EEENS1_14UnaryOpFunctorIfLi2ELi1ELi1EEEJNS0_4SinhIfEEEEEvT_T0_DpT1_
    .private_segment_fixed_size: 0
    .sgpr_count:     23
    .sgpr_spill_count: 0
    .symbol:         _ZN2at6native12_GLOBAL__N_125multi_tensor_apply_kernelINS1_18TensorListMetadataILi2EEENS1_14UnaryOpFunctorIfLi2ELi1ELi1EEEJNS0_4SinhIfEEEEEvT_T0_DpT1_.kd
    .uniform_work_group_size: 1
    .uses_dynamic_stack: false
    .vgpr_count:     56
    .vgpr_spill_count: 0
    .wavefront_size: 32
  - .args:
      - .offset:         0
        .size:           3144
        .value_kind:     by_value
      - .offset:         3144
        .size:           1
        .value_kind:     by_value
      - .offset:         3145
        .size:           1
        .value_kind:     by_value
      - .offset:         3152
        .size:           4
        .value_kind:     hidden_block_count_x
      - .offset:         3156
        .size:           4
        .value_kind:     hidden_block_count_y
      - .offset:         3160
        .size:           4
        .value_kind:     hidden_block_count_z
      - .offset:         3164
        .size:           2
        .value_kind:     hidden_group_size_x
      - .offset:         3166
        .size:           2
        .value_kind:     hidden_group_size_y
      - .offset:         3168
        .size:           2
        .value_kind:     hidden_group_size_z
      - .offset:         3170
        .size:           2
        .value_kind:     hidden_remainder_x
      - .offset:         3172
        .size:           2
        .value_kind:     hidden_remainder_y
      - .offset:         3174
        .size:           2
        .value_kind:     hidden_remainder_z
      - .offset:         3192
        .size:           8
        .value_kind:     hidden_global_offset_x
      - .offset:         3200
        .size:           8
        .value_kind:     hidden_global_offset_y
      - .offset:         3208
        .size:           8
        .value_kind:     hidden_global_offset_z
      - .offset:         3216
        .size:           2
        .value_kind:     hidden_grid_dims
    .group_segment_fixed_size: 0
    .kernarg_segment_align: 8
    .kernarg_segment_size: 3408
    .language:       OpenCL C
    .language_version:
      - 2
      - 0
    .max_flat_workgroup_size: 512
    .name:           _ZN2at6native12_GLOBAL__N_125multi_tensor_apply_kernelINS1_18TensorListMetadataILi2EEENS1_14UnaryOpFunctorIN3c107complexIdEELi2ELi1ELi1EEEJNS0_4SinhIS8_EEEEEvT_T0_DpT1_
    .private_segment_fixed_size: 0
    .sgpr_count:     35
    .sgpr_spill_count: 0
    .symbol:         _ZN2at6native12_GLOBAL__N_125multi_tensor_apply_kernelINS1_18TensorListMetadataILi2EEENS1_14UnaryOpFunctorIN3c107complexIdEELi2ELi1ELi1EEEJNS0_4SinhIS8_EEEEEvT_T0_DpT1_.kd
    .uniform_work_group_size: 1
    .uses_dynamic_stack: false
    .vgpr_count:     86
    .vgpr_spill_count: 0
    .wavefront_size: 32
  - .args:
      - .offset:         0
        .size:           3144
        .value_kind:     by_value
      - .offset:         3144
        .size:           1
        .value_kind:     by_value
      - .offset:         3145
        .size:           1
        .value_kind:     by_value
      - .offset:         3152
        .size:           4
        .value_kind:     hidden_block_count_x
      - .offset:         3156
        .size:           4
        .value_kind:     hidden_block_count_y
      - .offset:         3160
        .size:           4
        .value_kind:     hidden_block_count_z
      - .offset:         3164
        .size:           2
        .value_kind:     hidden_group_size_x
      - .offset:         3166
        .size:           2
        .value_kind:     hidden_group_size_y
      - .offset:         3168
        .size:           2
        .value_kind:     hidden_group_size_z
      - .offset:         3170
        .size:           2
        .value_kind:     hidden_remainder_x
      - .offset:         3172
        .size:           2
        .value_kind:     hidden_remainder_y
      - .offset:         3174
        .size:           2
        .value_kind:     hidden_remainder_z
      - .offset:         3192
        .size:           8
        .value_kind:     hidden_global_offset_x
      - .offset:         3200
        .size:           8
        .value_kind:     hidden_global_offset_y
      - .offset:         3208
        .size:           8
        .value_kind:     hidden_global_offset_z
      - .offset:         3216
        .size:           2
        .value_kind:     hidden_grid_dims
    .group_segment_fixed_size: 0
    .kernarg_segment_align: 8
    .kernarg_segment_size: 3408
    .language:       OpenCL C
    .language_version:
      - 2
      - 0
    .max_flat_workgroup_size: 512
    .name:           _ZN2at6native12_GLOBAL__N_125multi_tensor_apply_kernelINS1_18TensorListMetadataILi2EEENS1_14UnaryOpFunctorIN3c107complexIfEELi2ELi1ELi1EEEJNS0_4SinhIS8_EEEEEvT_T0_DpT1_
    .private_segment_fixed_size: 0
    .sgpr_count:     35
    .sgpr_spill_count: 0
    .symbol:         _ZN2at6native12_GLOBAL__N_125multi_tensor_apply_kernelINS1_18TensorListMetadataILi2EEENS1_14UnaryOpFunctorIN3c107complexIfEELi2ELi1ELi1EEEJNS0_4SinhIS8_EEEEEvT_T0_DpT1_.kd
    .uniform_work_group_size: 1
    .uses_dynamic_stack: false
    .vgpr_count:     42
    .vgpr_spill_count: 0
    .wavefront_size: 32
  - .args:
      - .offset:         0
        .size:           3144
        .value_kind:     by_value
      - .offset:         3144
        .size:           1
        .value_kind:     by_value
      - .offset:         3145
        .size:           1
        .value_kind:     by_value
      - .offset:         3152
        .size:           4
        .value_kind:     hidden_block_count_x
      - .offset:         3156
        .size:           4
        .value_kind:     hidden_block_count_y
      - .offset:         3160
        .size:           4
        .value_kind:     hidden_block_count_z
      - .offset:         3164
        .size:           2
        .value_kind:     hidden_group_size_x
      - .offset:         3166
        .size:           2
        .value_kind:     hidden_group_size_y
      - .offset:         3168
        .size:           2
        .value_kind:     hidden_group_size_z
      - .offset:         3170
        .size:           2
        .value_kind:     hidden_remainder_x
      - .offset:         3172
        .size:           2
        .value_kind:     hidden_remainder_y
      - .offset:         3174
        .size:           2
        .value_kind:     hidden_remainder_z
      - .offset:         3192
        .size:           8
        .value_kind:     hidden_global_offset_x
      - .offset:         3200
        .size:           8
        .value_kind:     hidden_global_offset_y
      - .offset:         3208
        .size:           8
        .value_kind:     hidden_global_offset_z
      - .offset:         3216
        .size:           2
        .value_kind:     hidden_grid_dims
    .group_segment_fixed_size: 0
    .kernarg_segment_align: 8
    .kernarg_segment_size: 3408
    .language:       OpenCL C
    .language_version:
      - 2
      - 0
    .max_flat_workgroup_size: 512
    .name:           _ZN2at6native12_GLOBAL__N_125multi_tensor_apply_kernelINS1_18TensorListMetadataILi2EEENS1_14UnaryOpFunctorIN3c104HalfELi2ELi1ELi1EEEJNS0_4SinhIfEEEEEvT_T0_DpT1_
    .private_segment_fixed_size: 0
    .sgpr_count:     22
    .sgpr_spill_count: 0
    .symbol:         _ZN2at6native12_GLOBAL__N_125multi_tensor_apply_kernelINS1_18TensorListMetadataILi2EEENS1_14UnaryOpFunctorIN3c104HalfELi2ELi1ELi1EEEJNS0_4SinhIfEEEEEvT_T0_DpT1_.kd
    .uniform_work_group_size: 1
    .uses_dynamic_stack: false
    .vgpr_count:     55
    .vgpr_spill_count: 0
    .wavefront_size: 32
  - .args:
      - .offset:         0
        .size:           3144
        .value_kind:     by_value
      - .offset:         3144
        .size:           1
        .value_kind:     by_value
      - .offset:         3145
        .size:           1
        .value_kind:     by_value
      - .offset:         3152
        .size:           4
        .value_kind:     hidden_block_count_x
      - .offset:         3156
        .size:           4
        .value_kind:     hidden_block_count_y
      - .offset:         3160
        .size:           4
        .value_kind:     hidden_block_count_z
      - .offset:         3164
        .size:           2
        .value_kind:     hidden_group_size_x
      - .offset:         3166
        .size:           2
        .value_kind:     hidden_group_size_y
      - .offset:         3168
        .size:           2
        .value_kind:     hidden_group_size_z
      - .offset:         3170
        .size:           2
        .value_kind:     hidden_remainder_x
      - .offset:         3172
        .size:           2
        .value_kind:     hidden_remainder_y
      - .offset:         3174
        .size:           2
        .value_kind:     hidden_remainder_z
      - .offset:         3192
        .size:           8
        .value_kind:     hidden_global_offset_x
      - .offset:         3200
        .size:           8
        .value_kind:     hidden_global_offset_y
      - .offset:         3208
        .size:           8
        .value_kind:     hidden_global_offset_z
      - .offset:         3216
        .size:           2
        .value_kind:     hidden_grid_dims
    .group_segment_fixed_size: 0
    .kernarg_segment_align: 8
    .kernarg_segment_size: 3408
    .language:       OpenCL C
    .language_version:
      - 2
      - 0
    .max_flat_workgroup_size: 512
    .name:           _ZN2at6native12_GLOBAL__N_125multi_tensor_apply_kernelINS1_18TensorListMetadataILi2EEENS1_14UnaryOpFunctorIN3c108BFloat16ELi2ELi1ELi1EEEJNS0_4SinhIfEEEEEvT_T0_DpT1_
    .private_segment_fixed_size: 0
    .sgpr_count:     22
    .sgpr_spill_count: 0
    .symbol:         _ZN2at6native12_GLOBAL__N_125multi_tensor_apply_kernelINS1_18TensorListMetadataILi2EEENS1_14UnaryOpFunctorIN3c108BFloat16ELi2ELi1ELi1EEEJNS0_4SinhIfEEEEEvT_T0_DpT1_.kd
    .uniform_work_group_size: 1
    .uses_dynamic_stack: false
    .vgpr_count:     56
    .vgpr_spill_count: 0
    .wavefront_size: 32
  - .args:
      - .offset:         0
        .size:           3368
        .value_kind:     by_value
      - .offset:         3368
        .size:           1
        .value_kind:     by_value
      - .offset:         3369
        .size:           1
        .value_kind:     by_value
      - .offset:         3376
        .size:           4
        .value_kind:     hidden_block_count_x
      - .offset:         3380
        .size:           4
        .value_kind:     hidden_block_count_y
      - .offset:         3384
        .size:           4
        .value_kind:     hidden_block_count_z
      - .offset:         3388
        .size:           2
        .value_kind:     hidden_group_size_x
      - .offset:         3390
        .size:           2
        .value_kind:     hidden_group_size_y
      - .offset:         3392
        .size:           2
        .value_kind:     hidden_group_size_z
      - .offset:         3394
        .size:           2
        .value_kind:     hidden_remainder_x
      - .offset:         3396
        .size:           2
        .value_kind:     hidden_remainder_y
      - .offset:         3398
        .size:           2
        .value_kind:     hidden_remainder_z
      - .offset:         3416
        .size:           8
        .value_kind:     hidden_global_offset_x
      - .offset:         3424
        .size:           8
        .value_kind:     hidden_global_offset_y
      - .offset:         3432
        .size:           8
        .value_kind:     hidden_global_offset_z
      - .offset:         3440
        .size:           2
        .value_kind:     hidden_grid_dims
    .group_segment_fixed_size: 0
    .kernarg_segment_align: 8
    .kernarg_segment_size: 3632
    .language:       OpenCL C
    .language_version:
      - 2
      - 0
    .max_flat_workgroup_size: 512
    .name:           _ZN2at6native12_GLOBAL__N_125multi_tensor_apply_kernelINS1_18TensorListMetadataILi1EEENS1_14UnaryOpFunctorIdLi1ELi1ELi0EEEJNS0_4SinhIdEEEEEvT_T0_DpT1_
    .private_segment_fixed_size: 0
    .sgpr_count:     28
    .sgpr_spill_count: 0
    .symbol:         _ZN2at6native12_GLOBAL__N_125multi_tensor_apply_kernelINS1_18TensorListMetadataILi1EEENS1_14UnaryOpFunctorIdLi1ELi1ELi0EEEJNS0_4SinhIdEEEEEvT_T0_DpT1_.kd
    .uniform_work_group_size: 1
    .uses_dynamic_stack: false
    .vgpr_count:     52
    .vgpr_spill_count: 0
    .wavefront_size: 32
  - .args:
      - .offset:         0
        .size:           3368
        .value_kind:     by_value
      - .offset:         3368
        .size:           1
        .value_kind:     by_value
      - .offset:         3369
        .size:           1
        .value_kind:     by_value
      - .offset:         3376
        .size:           4
        .value_kind:     hidden_block_count_x
      - .offset:         3380
        .size:           4
        .value_kind:     hidden_block_count_y
      - .offset:         3384
        .size:           4
        .value_kind:     hidden_block_count_z
      - .offset:         3388
        .size:           2
        .value_kind:     hidden_group_size_x
      - .offset:         3390
        .size:           2
        .value_kind:     hidden_group_size_y
      - .offset:         3392
        .size:           2
        .value_kind:     hidden_group_size_z
      - .offset:         3394
        .size:           2
        .value_kind:     hidden_remainder_x
      - .offset:         3396
        .size:           2
        .value_kind:     hidden_remainder_y
      - .offset:         3398
        .size:           2
        .value_kind:     hidden_remainder_z
      - .offset:         3416
        .size:           8
        .value_kind:     hidden_global_offset_x
      - .offset:         3424
        .size:           8
        .value_kind:     hidden_global_offset_y
      - .offset:         3432
        .size:           8
        .value_kind:     hidden_global_offset_z
      - .offset:         3440
        .size:           2
        .value_kind:     hidden_grid_dims
    .group_segment_fixed_size: 0
    .kernarg_segment_align: 8
    .kernarg_segment_size: 3632
    .language:       OpenCL C
    .language_version:
      - 2
      - 0
    .max_flat_workgroup_size: 512
    .name:           _ZN2at6native12_GLOBAL__N_125multi_tensor_apply_kernelINS1_18TensorListMetadataILi1EEENS1_14UnaryOpFunctorIfLi1ELi1ELi0EEEJNS0_4SinhIfEEEEEvT_T0_DpT1_
    .private_segment_fixed_size: 0
    .sgpr_count:     26
    .sgpr_spill_count: 0
    .symbol:         _ZN2at6native12_GLOBAL__N_125multi_tensor_apply_kernelINS1_18TensorListMetadataILi1EEENS1_14UnaryOpFunctorIfLi1ELi1ELi0EEEJNS0_4SinhIfEEEEEvT_T0_DpT1_.kd
    .uniform_work_group_size: 1
    .uses_dynamic_stack: false
    .vgpr_count:     55
    .vgpr_spill_count: 0
    .wavefront_size: 32
  - .args:
      - .offset:         0
        .size:           3368
        .value_kind:     by_value
      - .offset:         3368
        .size:           1
        .value_kind:     by_value
      - .offset:         3369
        .size:           1
        .value_kind:     by_value
      - .offset:         3376
        .size:           4
        .value_kind:     hidden_block_count_x
      - .offset:         3380
        .size:           4
        .value_kind:     hidden_block_count_y
      - .offset:         3384
        .size:           4
        .value_kind:     hidden_block_count_z
      - .offset:         3388
        .size:           2
        .value_kind:     hidden_group_size_x
      - .offset:         3390
        .size:           2
        .value_kind:     hidden_group_size_y
      - .offset:         3392
        .size:           2
        .value_kind:     hidden_group_size_z
      - .offset:         3394
        .size:           2
        .value_kind:     hidden_remainder_x
      - .offset:         3396
        .size:           2
        .value_kind:     hidden_remainder_y
      - .offset:         3398
        .size:           2
        .value_kind:     hidden_remainder_z
      - .offset:         3416
        .size:           8
        .value_kind:     hidden_global_offset_x
      - .offset:         3424
        .size:           8
        .value_kind:     hidden_global_offset_y
      - .offset:         3432
        .size:           8
        .value_kind:     hidden_global_offset_z
      - .offset:         3440
        .size:           2
        .value_kind:     hidden_grid_dims
    .group_segment_fixed_size: 0
    .kernarg_segment_align: 8
    .kernarg_segment_size: 3632
    .language:       OpenCL C
    .language_version:
      - 2
      - 0
    .max_flat_workgroup_size: 512
    .name:           _ZN2at6native12_GLOBAL__N_125multi_tensor_apply_kernelINS1_18TensorListMetadataILi1EEENS1_14UnaryOpFunctorIN3c107complexIdEELi1ELi1ELi0EEEJNS0_4SinhIS8_EEEEEvT_T0_DpT1_
    .private_segment_fixed_size: 0
    .sgpr_count:     38
    .sgpr_spill_count: 0
    .symbol:         _ZN2at6native12_GLOBAL__N_125multi_tensor_apply_kernelINS1_18TensorListMetadataILi1EEENS1_14UnaryOpFunctorIN3c107complexIdEELi1ELi1ELi0EEEJNS0_4SinhIS8_EEEEEvT_T0_DpT1_.kd
    .uniform_work_group_size: 1
    .uses_dynamic_stack: false
    .vgpr_count:     100
    .vgpr_spill_count: 0
    .wavefront_size: 32
  - .args:
      - .offset:         0
        .size:           3368
        .value_kind:     by_value
      - .offset:         3368
        .size:           1
        .value_kind:     by_value
      - .offset:         3369
        .size:           1
        .value_kind:     by_value
      - .offset:         3376
        .size:           4
        .value_kind:     hidden_block_count_x
      - .offset:         3380
        .size:           4
        .value_kind:     hidden_block_count_y
      - .offset:         3384
        .size:           4
        .value_kind:     hidden_block_count_z
      - .offset:         3388
        .size:           2
        .value_kind:     hidden_group_size_x
      - .offset:         3390
        .size:           2
        .value_kind:     hidden_group_size_y
      - .offset:         3392
        .size:           2
        .value_kind:     hidden_group_size_z
      - .offset:         3394
        .size:           2
        .value_kind:     hidden_remainder_x
      - .offset:         3396
        .size:           2
        .value_kind:     hidden_remainder_y
      - .offset:         3398
        .size:           2
        .value_kind:     hidden_remainder_z
      - .offset:         3416
        .size:           8
        .value_kind:     hidden_global_offset_x
      - .offset:         3424
        .size:           8
        .value_kind:     hidden_global_offset_y
      - .offset:         3432
        .size:           8
        .value_kind:     hidden_global_offset_z
      - .offset:         3440
        .size:           2
        .value_kind:     hidden_grid_dims
    .group_segment_fixed_size: 0
    .kernarg_segment_align: 8
    .kernarg_segment_size: 3632
    .language:       OpenCL C
    .language_version:
      - 2
      - 0
    .max_flat_workgroup_size: 512
    .name:           _ZN2at6native12_GLOBAL__N_125multi_tensor_apply_kernelINS1_18TensorListMetadataILi1EEENS1_14UnaryOpFunctorIN3c107complexIfEELi1ELi1ELi0EEEJNS0_4SinhIS8_EEEEEvT_T0_DpT1_
    .private_segment_fixed_size: 0
    .sgpr_count:     38
    .sgpr_spill_count: 0
    .symbol:         _ZN2at6native12_GLOBAL__N_125multi_tensor_apply_kernelINS1_18TensorListMetadataILi1EEENS1_14UnaryOpFunctorIN3c107complexIfEELi1ELi1ELi0EEEJNS0_4SinhIS8_EEEEEvT_T0_DpT1_.kd
    .uniform_work_group_size: 1
    .uses_dynamic_stack: false
    .vgpr_count:     56
    .vgpr_spill_count: 0
    .wavefront_size: 32
  - .args:
      - .offset:         0
        .size:           3368
        .value_kind:     by_value
      - .offset:         3368
        .size:           1
        .value_kind:     by_value
      - .offset:         3369
        .size:           1
        .value_kind:     by_value
      - .offset:         3376
        .size:           4
        .value_kind:     hidden_block_count_x
      - .offset:         3380
        .size:           4
        .value_kind:     hidden_block_count_y
      - .offset:         3384
        .size:           4
        .value_kind:     hidden_block_count_z
      - .offset:         3388
        .size:           2
        .value_kind:     hidden_group_size_x
      - .offset:         3390
        .size:           2
        .value_kind:     hidden_group_size_y
      - .offset:         3392
        .size:           2
        .value_kind:     hidden_group_size_z
      - .offset:         3394
        .size:           2
        .value_kind:     hidden_remainder_x
      - .offset:         3396
        .size:           2
        .value_kind:     hidden_remainder_y
      - .offset:         3398
        .size:           2
        .value_kind:     hidden_remainder_z
      - .offset:         3416
        .size:           8
        .value_kind:     hidden_global_offset_x
      - .offset:         3424
        .size:           8
        .value_kind:     hidden_global_offset_y
      - .offset:         3432
        .size:           8
        .value_kind:     hidden_global_offset_z
      - .offset:         3440
        .size:           2
        .value_kind:     hidden_grid_dims
    .group_segment_fixed_size: 0
    .kernarg_segment_align: 8
    .kernarg_segment_size: 3632
    .language:       OpenCL C
    .language_version:
      - 2
      - 0
    .max_flat_workgroup_size: 512
    .name:           _ZN2at6native12_GLOBAL__N_125multi_tensor_apply_kernelINS1_18TensorListMetadataILi1EEENS1_14UnaryOpFunctorIN3c104HalfELi1ELi1ELi0EEEJNS0_4SinhIfEEEEEvT_T0_DpT1_
    .private_segment_fixed_size: 0
    .sgpr_count:     24
    .sgpr_spill_count: 0
    .symbol:         _ZN2at6native12_GLOBAL__N_125multi_tensor_apply_kernelINS1_18TensorListMetadataILi1EEENS1_14UnaryOpFunctorIN3c104HalfELi1ELi1ELi0EEEJNS0_4SinhIfEEEEEvT_T0_DpT1_.kd
    .uniform_work_group_size: 1
    .uses_dynamic_stack: false
    .vgpr_count:     57
    .vgpr_spill_count: 0
    .wavefront_size: 32
  - .args:
      - .offset:         0
        .size:           3368
        .value_kind:     by_value
      - .offset:         3368
        .size:           1
        .value_kind:     by_value
      - .offset:         3369
        .size:           1
        .value_kind:     by_value
      - .offset:         3376
        .size:           4
        .value_kind:     hidden_block_count_x
      - .offset:         3380
        .size:           4
        .value_kind:     hidden_block_count_y
      - .offset:         3384
        .size:           4
        .value_kind:     hidden_block_count_z
      - .offset:         3388
        .size:           2
        .value_kind:     hidden_group_size_x
      - .offset:         3390
        .size:           2
        .value_kind:     hidden_group_size_y
      - .offset:         3392
        .size:           2
        .value_kind:     hidden_group_size_z
      - .offset:         3394
        .size:           2
        .value_kind:     hidden_remainder_x
      - .offset:         3396
        .size:           2
        .value_kind:     hidden_remainder_y
      - .offset:         3398
        .size:           2
        .value_kind:     hidden_remainder_z
      - .offset:         3416
        .size:           8
        .value_kind:     hidden_global_offset_x
      - .offset:         3424
        .size:           8
        .value_kind:     hidden_global_offset_y
      - .offset:         3432
        .size:           8
        .value_kind:     hidden_global_offset_z
      - .offset:         3440
        .size:           2
        .value_kind:     hidden_grid_dims
    .group_segment_fixed_size: 0
    .kernarg_segment_align: 8
    .kernarg_segment_size: 3632
    .language:       OpenCL C
    .language_version:
      - 2
      - 0
    .max_flat_workgroup_size: 512
    .name:           _ZN2at6native12_GLOBAL__N_125multi_tensor_apply_kernelINS1_18TensorListMetadataILi1EEENS1_14UnaryOpFunctorIN3c108BFloat16ELi1ELi1ELi0EEEJNS0_4SinhIfEEEEEvT_T0_DpT1_
    .private_segment_fixed_size: 0
    .sgpr_count:     24
    .sgpr_spill_count: 0
    .symbol:         _ZN2at6native12_GLOBAL__N_125multi_tensor_apply_kernelINS1_18TensorListMetadataILi1EEENS1_14UnaryOpFunctorIN3c108BFloat16ELi1ELi1ELi0EEEJNS0_4SinhIfEEEEEvT_T0_DpT1_.kd
    .uniform_work_group_size: 1
    .uses_dynamic_stack: false
    .vgpr_count:     55
    .vgpr_spill_count: 0
    .wavefront_size: 32
  - .args:
      - .offset:         0
        .size:           3144
        .value_kind:     by_value
      - .offset:         3144
        .size:           1
        .value_kind:     by_value
      - .offset:         3145
        .size:           1
        .value_kind:     by_value
      - .offset:         3152
        .size:           4
        .value_kind:     hidden_block_count_x
      - .offset:         3156
        .size:           4
        .value_kind:     hidden_block_count_y
      - .offset:         3160
        .size:           4
        .value_kind:     hidden_block_count_z
      - .offset:         3164
        .size:           2
        .value_kind:     hidden_group_size_x
      - .offset:         3166
        .size:           2
        .value_kind:     hidden_group_size_y
      - .offset:         3168
        .size:           2
        .value_kind:     hidden_group_size_z
      - .offset:         3170
        .size:           2
        .value_kind:     hidden_remainder_x
      - .offset:         3172
        .size:           2
        .value_kind:     hidden_remainder_y
      - .offset:         3174
        .size:           2
        .value_kind:     hidden_remainder_z
      - .offset:         3192
        .size:           8
        .value_kind:     hidden_global_offset_x
      - .offset:         3200
        .size:           8
        .value_kind:     hidden_global_offset_y
      - .offset:         3208
        .size:           8
        .value_kind:     hidden_global_offset_z
      - .offset:         3216
        .size:           2
        .value_kind:     hidden_grid_dims
    .group_segment_fixed_size: 0
    .kernarg_segment_align: 8
    .kernarg_segment_size: 3408
    .language:       OpenCL C
    .language_version:
      - 2
      - 0
    .max_flat_workgroup_size: 512
    .name:           _ZN2at6native12_GLOBAL__N_125multi_tensor_apply_kernelINS1_18TensorListMetadataILi2EEENS1_14UnaryOpFunctorIdLi2ELi1ELi1EEEJNS0_3ExpIdEEEEEvT_T0_DpT1_
    .private_segment_fixed_size: 0
    .sgpr_count:     26
    .sgpr_spill_count: 0
    .symbol:         _ZN2at6native12_GLOBAL__N_125multi_tensor_apply_kernelINS1_18TensorListMetadataILi2EEENS1_14UnaryOpFunctorIdLi2ELi1ELi1EEEJNS0_3ExpIdEEEEEvT_T0_DpT1_.kd
    .uniform_work_group_size: 1
    .uses_dynamic_stack: false
    .vgpr_count:     45
    .vgpr_spill_count: 0
    .wavefront_size: 32
  - .args:
      - .offset:         0
        .size:           3144
        .value_kind:     by_value
      - .offset:         3144
        .size:           1
        .value_kind:     by_value
      - .offset:         3145
        .size:           1
        .value_kind:     by_value
      - .offset:         3152
        .size:           4
        .value_kind:     hidden_block_count_x
      - .offset:         3156
        .size:           4
        .value_kind:     hidden_block_count_y
      - .offset:         3160
        .size:           4
        .value_kind:     hidden_block_count_z
      - .offset:         3164
        .size:           2
        .value_kind:     hidden_group_size_x
      - .offset:         3166
        .size:           2
        .value_kind:     hidden_group_size_y
      - .offset:         3168
        .size:           2
        .value_kind:     hidden_group_size_z
      - .offset:         3170
        .size:           2
        .value_kind:     hidden_remainder_x
      - .offset:         3172
        .size:           2
        .value_kind:     hidden_remainder_y
      - .offset:         3174
        .size:           2
        .value_kind:     hidden_remainder_z
      - .offset:         3192
        .size:           8
        .value_kind:     hidden_global_offset_x
      - .offset:         3200
        .size:           8
        .value_kind:     hidden_global_offset_y
      - .offset:         3208
        .size:           8
        .value_kind:     hidden_global_offset_z
      - .offset:         3216
        .size:           2
        .value_kind:     hidden_grid_dims
    .group_segment_fixed_size: 0
    .kernarg_segment_align: 8
    .kernarg_segment_size: 3408
    .language:       OpenCL C
    .language_version:
      - 2
      - 0
    .max_flat_workgroup_size: 512
    .name:           _ZN2at6native12_GLOBAL__N_125multi_tensor_apply_kernelINS1_18TensorListMetadataILi2EEENS1_14UnaryOpFunctorIfLi2ELi1ELi1EEEJNS0_3ExpIfEEEEEvT_T0_DpT1_
    .private_segment_fixed_size: 0
    .sgpr_count:     22
    .sgpr_spill_count: 0
    .symbol:         _ZN2at6native12_GLOBAL__N_125multi_tensor_apply_kernelINS1_18TensorListMetadataILi2EEENS1_14UnaryOpFunctorIfLi2ELi1ELi1EEEJNS0_3ExpIfEEEEEvT_T0_DpT1_.kd
    .uniform_work_group_size: 1
    .uses_dynamic_stack: false
    .vgpr_count:     35
    .vgpr_spill_count: 0
    .wavefront_size: 32
  - .args:
      - .offset:         0
        .size:           3144
        .value_kind:     by_value
      - .offset:         3144
        .size:           1
        .value_kind:     by_value
      - .offset:         3145
        .size:           1
        .value_kind:     by_value
      - .offset:         3152
        .size:           4
        .value_kind:     hidden_block_count_x
      - .offset:         3156
        .size:           4
        .value_kind:     hidden_block_count_y
      - .offset:         3160
        .size:           4
        .value_kind:     hidden_block_count_z
      - .offset:         3164
        .size:           2
        .value_kind:     hidden_group_size_x
      - .offset:         3166
        .size:           2
        .value_kind:     hidden_group_size_y
      - .offset:         3168
        .size:           2
        .value_kind:     hidden_group_size_z
      - .offset:         3170
        .size:           2
        .value_kind:     hidden_remainder_x
      - .offset:         3172
        .size:           2
        .value_kind:     hidden_remainder_y
      - .offset:         3174
        .size:           2
        .value_kind:     hidden_remainder_z
      - .offset:         3192
        .size:           8
        .value_kind:     hidden_global_offset_x
      - .offset:         3200
        .size:           8
        .value_kind:     hidden_global_offset_y
      - .offset:         3208
        .size:           8
        .value_kind:     hidden_global_offset_z
      - .offset:         3216
        .size:           2
        .value_kind:     hidden_grid_dims
    .group_segment_fixed_size: 0
    .kernarg_segment_align: 8
    .kernarg_segment_size: 3408
    .language:       OpenCL C
    .language_version:
      - 2
      - 0
    .max_flat_workgroup_size: 512
    .name:           _ZN2at6native12_GLOBAL__N_125multi_tensor_apply_kernelINS1_18TensorListMetadataILi2EEENS1_14UnaryOpFunctorIN3c107complexIdEELi2ELi1ELi1EEEJNS0_3ExpIS8_EEEEEvT_T0_DpT1_
    .private_segment_fixed_size: 0
    .sgpr_count:     36
    .sgpr_spill_count: 0
    .symbol:         _ZN2at6native12_GLOBAL__N_125multi_tensor_apply_kernelINS1_18TensorListMetadataILi2EEENS1_14UnaryOpFunctorIN3c107complexIdEELi2ELi1ELi1EEEJNS0_3ExpIS8_EEEEEvT_T0_DpT1_.kd
    .uniform_work_group_size: 1
    .uses_dynamic_stack: false
    .vgpr_count:     84
    .vgpr_spill_count: 0
    .wavefront_size: 32
  - .args:
      - .offset:         0
        .size:           3144
        .value_kind:     by_value
      - .offset:         3144
        .size:           1
        .value_kind:     by_value
      - .offset:         3145
        .size:           1
        .value_kind:     by_value
      - .offset:         3152
        .size:           4
        .value_kind:     hidden_block_count_x
      - .offset:         3156
        .size:           4
        .value_kind:     hidden_block_count_y
      - .offset:         3160
        .size:           4
        .value_kind:     hidden_block_count_z
      - .offset:         3164
        .size:           2
        .value_kind:     hidden_group_size_x
      - .offset:         3166
        .size:           2
        .value_kind:     hidden_group_size_y
      - .offset:         3168
        .size:           2
        .value_kind:     hidden_group_size_z
      - .offset:         3170
        .size:           2
        .value_kind:     hidden_remainder_x
      - .offset:         3172
        .size:           2
        .value_kind:     hidden_remainder_y
      - .offset:         3174
        .size:           2
        .value_kind:     hidden_remainder_z
      - .offset:         3192
        .size:           8
        .value_kind:     hidden_global_offset_x
      - .offset:         3200
        .size:           8
        .value_kind:     hidden_global_offset_y
      - .offset:         3208
        .size:           8
        .value_kind:     hidden_global_offset_z
      - .offset:         3216
        .size:           2
        .value_kind:     hidden_grid_dims
    .group_segment_fixed_size: 0
    .kernarg_segment_align: 8
    .kernarg_segment_size: 3408
    .language:       OpenCL C
    .language_version:
      - 2
      - 0
    .max_flat_workgroup_size: 512
    .name:           _ZN2at6native12_GLOBAL__N_125multi_tensor_apply_kernelINS1_18TensorListMetadataILi2EEENS1_14UnaryOpFunctorIN3c107complexIfEELi2ELi1ELi1EEEJNS0_3ExpIS8_EEEEEvT_T0_DpT1_
    .private_segment_fixed_size: 0
    .sgpr_count:     34
    .sgpr_spill_count: 0
    .symbol:         _ZN2at6native12_GLOBAL__N_125multi_tensor_apply_kernelINS1_18TensorListMetadataILi2EEENS1_14UnaryOpFunctorIN3c107complexIfEELi2ELi1ELi1EEEJNS0_3ExpIS8_EEEEEvT_T0_DpT1_.kd
    .uniform_work_group_size: 1
    .uses_dynamic_stack: false
    .vgpr_count:     42
    .vgpr_spill_count: 0
    .wavefront_size: 32
  - .args:
      - .offset:         0
        .size:           3144
        .value_kind:     by_value
      - .offset:         3144
        .size:           1
        .value_kind:     by_value
      - .offset:         3145
        .size:           1
        .value_kind:     by_value
      - .offset:         3152
        .size:           4
        .value_kind:     hidden_block_count_x
      - .offset:         3156
        .size:           4
        .value_kind:     hidden_block_count_y
      - .offset:         3160
        .size:           4
        .value_kind:     hidden_block_count_z
      - .offset:         3164
        .size:           2
        .value_kind:     hidden_group_size_x
      - .offset:         3166
        .size:           2
        .value_kind:     hidden_group_size_y
      - .offset:         3168
        .size:           2
        .value_kind:     hidden_group_size_z
      - .offset:         3170
        .size:           2
        .value_kind:     hidden_remainder_x
      - .offset:         3172
        .size:           2
        .value_kind:     hidden_remainder_y
      - .offset:         3174
        .size:           2
        .value_kind:     hidden_remainder_z
      - .offset:         3192
        .size:           8
        .value_kind:     hidden_global_offset_x
      - .offset:         3200
        .size:           8
        .value_kind:     hidden_global_offset_y
      - .offset:         3208
        .size:           8
        .value_kind:     hidden_global_offset_z
      - .offset:         3216
        .size:           2
        .value_kind:     hidden_grid_dims
    .group_segment_fixed_size: 0
    .kernarg_segment_align: 8
    .kernarg_segment_size: 3408
    .language:       OpenCL C
    .language_version:
      - 2
      - 0
    .max_flat_workgroup_size: 512
    .name:           _ZN2at6native12_GLOBAL__N_125multi_tensor_apply_kernelINS1_18TensorListMetadataILi2EEENS1_14UnaryOpFunctorIN3c104HalfELi2ELi1ELi1EEEJNS0_3ExpIfEEEEEvT_T0_DpT1_
    .private_segment_fixed_size: 0
    .sgpr_count:     23
    .sgpr_spill_count: 0
    .symbol:         _ZN2at6native12_GLOBAL__N_125multi_tensor_apply_kernelINS1_18TensorListMetadataILi2EEENS1_14UnaryOpFunctorIN3c104HalfELi2ELi1ELi1EEEJNS0_3ExpIfEEEEEvT_T0_DpT1_.kd
    .uniform_work_group_size: 1
    .uses_dynamic_stack: false
    .vgpr_count:     36
    .vgpr_spill_count: 0
    .wavefront_size: 32
  - .args:
      - .offset:         0
        .size:           3144
        .value_kind:     by_value
      - .offset:         3144
        .size:           1
        .value_kind:     by_value
      - .offset:         3145
        .size:           1
        .value_kind:     by_value
      - .offset:         3152
        .size:           4
        .value_kind:     hidden_block_count_x
      - .offset:         3156
        .size:           4
        .value_kind:     hidden_block_count_y
      - .offset:         3160
        .size:           4
        .value_kind:     hidden_block_count_z
      - .offset:         3164
        .size:           2
        .value_kind:     hidden_group_size_x
      - .offset:         3166
        .size:           2
        .value_kind:     hidden_group_size_y
      - .offset:         3168
        .size:           2
        .value_kind:     hidden_group_size_z
      - .offset:         3170
        .size:           2
        .value_kind:     hidden_remainder_x
      - .offset:         3172
        .size:           2
        .value_kind:     hidden_remainder_y
      - .offset:         3174
        .size:           2
        .value_kind:     hidden_remainder_z
      - .offset:         3192
        .size:           8
        .value_kind:     hidden_global_offset_x
      - .offset:         3200
        .size:           8
        .value_kind:     hidden_global_offset_y
      - .offset:         3208
        .size:           8
        .value_kind:     hidden_global_offset_z
      - .offset:         3216
        .size:           2
        .value_kind:     hidden_grid_dims
    .group_segment_fixed_size: 0
    .kernarg_segment_align: 8
    .kernarg_segment_size: 3408
    .language:       OpenCL C
    .language_version:
      - 2
      - 0
    .max_flat_workgroup_size: 512
    .name:           _ZN2at6native12_GLOBAL__N_125multi_tensor_apply_kernelINS1_18TensorListMetadataILi2EEENS1_14UnaryOpFunctorIN3c108BFloat16ELi2ELi1ELi1EEEJNS0_3ExpIfEEEEEvT_T0_DpT1_
    .private_segment_fixed_size: 0
    .sgpr_count:     23
    .sgpr_spill_count: 0
    .symbol:         _ZN2at6native12_GLOBAL__N_125multi_tensor_apply_kernelINS1_18TensorListMetadataILi2EEENS1_14UnaryOpFunctorIN3c108BFloat16ELi2ELi1ELi1EEEJNS0_3ExpIfEEEEEvT_T0_DpT1_.kd
    .uniform_work_group_size: 1
    .uses_dynamic_stack: false
    .vgpr_count:     36
    .vgpr_spill_count: 0
    .wavefront_size: 32
  - .args:
      - .offset:         0
        .size:           3368
        .value_kind:     by_value
      - .offset:         3368
        .size:           1
        .value_kind:     by_value
      - .offset:         3369
        .size:           1
        .value_kind:     by_value
      - .offset:         3376
        .size:           4
        .value_kind:     hidden_block_count_x
      - .offset:         3380
        .size:           4
        .value_kind:     hidden_block_count_y
      - .offset:         3384
        .size:           4
        .value_kind:     hidden_block_count_z
      - .offset:         3388
        .size:           2
        .value_kind:     hidden_group_size_x
      - .offset:         3390
        .size:           2
        .value_kind:     hidden_group_size_y
      - .offset:         3392
        .size:           2
        .value_kind:     hidden_group_size_z
      - .offset:         3394
        .size:           2
        .value_kind:     hidden_remainder_x
      - .offset:         3396
        .size:           2
        .value_kind:     hidden_remainder_y
      - .offset:         3398
        .size:           2
        .value_kind:     hidden_remainder_z
      - .offset:         3416
        .size:           8
        .value_kind:     hidden_global_offset_x
      - .offset:         3424
        .size:           8
        .value_kind:     hidden_global_offset_y
      - .offset:         3432
        .size:           8
        .value_kind:     hidden_global_offset_z
      - .offset:         3440
        .size:           2
        .value_kind:     hidden_grid_dims
    .group_segment_fixed_size: 0
    .kernarg_segment_align: 8
    .kernarg_segment_size: 3632
    .language:       OpenCL C
    .language_version:
      - 2
      - 0
    .max_flat_workgroup_size: 512
    .name:           _ZN2at6native12_GLOBAL__N_125multi_tensor_apply_kernelINS1_18TensorListMetadataILi1EEENS1_14UnaryOpFunctorIdLi1ELi1ELi0EEEJNS0_3ExpIdEEEEEvT_T0_DpT1_
    .private_segment_fixed_size: 0
    .sgpr_count:     25
    .sgpr_spill_count: 0
    .symbol:         _ZN2at6native12_GLOBAL__N_125multi_tensor_apply_kernelINS1_18TensorListMetadataILi1EEENS1_14UnaryOpFunctorIdLi1ELi1ELi0EEEJNS0_3ExpIdEEEEEvT_T0_DpT1_.kd
    .uniform_work_group_size: 1
    .uses_dynamic_stack: false
    .vgpr_count:     41
    .vgpr_spill_count: 0
    .wavefront_size: 32
  - .args:
      - .offset:         0
        .size:           3368
        .value_kind:     by_value
      - .offset:         3368
        .size:           1
        .value_kind:     by_value
      - .offset:         3369
        .size:           1
        .value_kind:     by_value
      - .offset:         3376
        .size:           4
        .value_kind:     hidden_block_count_x
      - .offset:         3380
        .size:           4
        .value_kind:     hidden_block_count_y
      - .offset:         3384
        .size:           4
        .value_kind:     hidden_block_count_z
      - .offset:         3388
        .size:           2
        .value_kind:     hidden_group_size_x
      - .offset:         3390
        .size:           2
        .value_kind:     hidden_group_size_y
      - .offset:         3392
        .size:           2
        .value_kind:     hidden_group_size_z
      - .offset:         3394
        .size:           2
        .value_kind:     hidden_remainder_x
      - .offset:         3396
        .size:           2
        .value_kind:     hidden_remainder_y
      - .offset:         3398
        .size:           2
        .value_kind:     hidden_remainder_z
      - .offset:         3416
        .size:           8
        .value_kind:     hidden_global_offset_x
      - .offset:         3424
        .size:           8
        .value_kind:     hidden_global_offset_y
      - .offset:         3432
        .size:           8
        .value_kind:     hidden_global_offset_z
      - .offset:         3440
        .size:           2
        .value_kind:     hidden_grid_dims
    .group_segment_fixed_size: 0
    .kernarg_segment_align: 8
    .kernarg_segment_size: 3632
    .language:       OpenCL C
    .language_version:
      - 2
      - 0
    .max_flat_workgroup_size: 512
    .name:           _ZN2at6native12_GLOBAL__N_125multi_tensor_apply_kernelINS1_18TensorListMetadataILi1EEENS1_14UnaryOpFunctorIfLi1ELi1ELi0EEEJNS0_3ExpIfEEEEEvT_T0_DpT1_
    .private_segment_fixed_size: 0
    .sgpr_count:     25
    .sgpr_spill_count: 0
    .symbol:         _ZN2at6native12_GLOBAL__N_125multi_tensor_apply_kernelINS1_18TensorListMetadataILi1EEENS1_14UnaryOpFunctorIfLi1ELi1ELi0EEEJNS0_3ExpIfEEEEEvT_T0_DpT1_.kd
    .uniform_work_group_size: 1
    .uses_dynamic_stack: false
    .vgpr_count:     44
    .vgpr_spill_count: 0
    .wavefront_size: 32
  - .args:
      - .offset:         0
        .size:           3368
        .value_kind:     by_value
      - .offset:         3368
        .size:           1
        .value_kind:     by_value
      - .offset:         3369
        .size:           1
        .value_kind:     by_value
      - .offset:         3376
        .size:           4
        .value_kind:     hidden_block_count_x
      - .offset:         3380
        .size:           4
        .value_kind:     hidden_block_count_y
      - .offset:         3384
        .size:           4
        .value_kind:     hidden_block_count_z
      - .offset:         3388
        .size:           2
        .value_kind:     hidden_group_size_x
      - .offset:         3390
        .size:           2
        .value_kind:     hidden_group_size_y
      - .offset:         3392
        .size:           2
        .value_kind:     hidden_group_size_z
      - .offset:         3394
        .size:           2
        .value_kind:     hidden_remainder_x
      - .offset:         3396
        .size:           2
        .value_kind:     hidden_remainder_y
      - .offset:         3398
        .size:           2
        .value_kind:     hidden_remainder_z
      - .offset:         3416
        .size:           8
        .value_kind:     hidden_global_offset_x
      - .offset:         3424
        .size:           8
        .value_kind:     hidden_global_offset_y
      - .offset:         3432
        .size:           8
        .value_kind:     hidden_global_offset_z
      - .offset:         3440
        .size:           2
        .value_kind:     hidden_grid_dims
    .group_segment_fixed_size: 0
    .kernarg_segment_align: 8
    .kernarg_segment_size: 3632
    .language:       OpenCL C
    .language_version:
      - 2
      - 0
    .max_flat_workgroup_size: 512
    .name:           _ZN2at6native12_GLOBAL__N_125multi_tensor_apply_kernelINS1_18TensorListMetadataILi1EEENS1_14UnaryOpFunctorIN3c107complexIdEELi1ELi1ELi0EEEJNS0_3ExpIS8_EEEEEvT_T0_DpT1_
    .private_segment_fixed_size: 0
    .sgpr_count:     38
    .sgpr_spill_count: 0
    .symbol:         _ZN2at6native12_GLOBAL__N_125multi_tensor_apply_kernelINS1_18TensorListMetadataILi1EEENS1_14UnaryOpFunctorIN3c107complexIdEELi1ELi1ELi0EEEJNS0_3ExpIS8_EEEEEvT_T0_DpT1_.kd
    .uniform_work_group_size: 1
    .uses_dynamic_stack: false
    .vgpr_count:     96
    .vgpr_spill_count: 0
    .wavefront_size: 32
  - .args:
      - .offset:         0
        .size:           3368
        .value_kind:     by_value
      - .offset:         3368
        .size:           1
        .value_kind:     by_value
      - .offset:         3369
        .size:           1
        .value_kind:     by_value
      - .offset:         3376
        .size:           4
        .value_kind:     hidden_block_count_x
      - .offset:         3380
        .size:           4
        .value_kind:     hidden_block_count_y
      - .offset:         3384
        .size:           4
        .value_kind:     hidden_block_count_z
      - .offset:         3388
        .size:           2
        .value_kind:     hidden_group_size_x
      - .offset:         3390
        .size:           2
        .value_kind:     hidden_group_size_y
      - .offset:         3392
        .size:           2
        .value_kind:     hidden_group_size_z
      - .offset:         3394
        .size:           2
        .value_kind:     hidden_remainder_x
      - .offset:         3396
        .size:           2
        .value_kind:     hidden_remainder_y
      - .offset:         3398
        .size:           2
        .value_kind:     hidden_remainder_z
      - .offset:         3416
        .size:           8
        .value_kind:     hidden_global_offset_x
      - .offset:         3424
        .size:           8
        .value_kind:     hidden_global_offset_y
      - .offset:         3432
        .size:           8
        .value_kind:     hidden_global_offset_z
      - .offset:         3440
        .size:           2
        .value_kind:     hidden_grid_dims
    .group_segment_fixed_size: 0
    .kernarg_segment_align: 8
    .kernarg_segment_size: 3632
    .language:       OpenCL C
    .language_version:
      - 2
      - 0
    .max_flat_workgroup_size: 512
    .name:           _ZN2at6native12_GLOBAL__N_125multi_tensor_apply_kernelINS1_18TensorListMetadataILi1EEENS1_14UnaryOpFunctorIN3c107complexIfEELi1ELi1ELi0EEEJNS0_3ExpIS8_EEEEEvT_T0_DpT1_
    .private_segment_fixed_size: 0
    .sgpr_count:     37
    .sgpr_spill_count: 0
    .symbol:         _ZN2at6native12_GLOBAL__N_125multi_tensor_apply_kernelINS1_18TensorListMetadataILi1EEENS1_14UnaryOpFunctorIN3c107complexIfEELi1ELi1ELi0EEEJNS0_3ExpIS8_EEEEEvT_T0_DpT1_.kd
    .uniform_work_group_size: 1
    .uses_dynamic_stack: false
    .vgpr_count:     56
    .vgpr_spill_count: 0
    .wavefront_size: 32
  - .args:
      - .offset:         0
        .size:           3368
        .value_kind:     by_value
      - .offset:         3368
        .size:           1
        .value_kind:     by_value
      - .offset:         3369
        .size:           1
        .value_kind:     by_value
      - .offset:         3376
        .size:           4
        .value_kind:     hidden_block_count_x
      - .offset:         3380
        .size:           4
        .value_kind:     hidden_block_count_y
      - .offset:         3384
        .size:           4
        .value_kind:     hidden_block_count_z
      - .offset:         3388
        .size:           2
        .value_kind:     hidden_group_size_x
      - .offset:         3390
        .size:           2
        .value_kind:     hidden_group_size_y
      - .offset:         3392
        .size:           2
        .value_kind:     hidden_group_size_z
      - .offset:         3394
        .size:           2
        .value_kind:     hidden_remainder_x
      - .offset:         3396
        .size:           2
        .value_kind:     hidden_remainder_y
      - .offset:         3398
        .size:           2
        .value_kind:     hidden_remainder_z
      - .offset:         3416
        .size:           8
        .value_kind:     hidden_global_offset_x
      - .offset:         3424
        .size:           8
        .value_kind:     hidden_global_offset_y
      - .offset:         3432
        .size:           8
        .value_kind:     hidden_global_offset_z
      - .offset:         3440
        .size:           2
        .value_kind:     hidden_grid_dims
    .group_segment_fixed_size: 0
    .kernarg_segment_align: 8
    .kernarg_segment_size: 3632
    .language:       OpenCL C
    .language_version:
      - 2
      - 0
    .max_flat_workgroup_size: 512
    .name:           _ZN2at6native12_GLOBAL__N_125multi_tensor_apply_kernelINS1_18TensorListMetadataILi1EEENS1_14UnaryOpFunctorIN3c104HalfELi1ELi1ELi0EEEJNS0_3ExpIfEEEEEvT_T0_DpT1_
    .private_segment_fixed_size: 0
    .sgpr_count:     25
    .sgpr_spill_count: 0
    .symbol:         _ZN2at6native12_GLOBAL__N_125multi_tensor_apply_kernelINS1_18TensorListMetadataILi1EEENS1_14UnaryOpFunctorIN3c104HalfELi1ELi1ELi0EEEJNS0_3ExpIfEEEEEvT_T0_DpT1_.kd
    .uniform_work_group_size: 1
    .uses_dynamic_stack: false
    .vgpr_count:     28
    .vgpr_spill_count: 0
    .wavefront_size: 32
  - .args:
      - .offset:         0
        .size:           3368
        .value_kind:     by_value
      - .offset:         3368
        .size:           1
        .value_kind:     by_value
      - .offset:         3369
        .size:           1
        .value_kind:     by_value
      - .offset:         3376
        .size:           4
        .value_kind:     hidden_block_count_x
      - .offset:         3380
        .size:           4
        .value_kind:     hidden_block_count_y
      - .offset:         3384
        .size:           4
        .value_kind:     hidden_block_count_z
      - .offset:         3388
        .size:           2
        .value_kind:     hidden_group_size_x
      - .offset:         3390
        .size:           2
        .value_kind:     hidden_group_size_y
      - .offset:         3392
        .size:           2
        .value_kind:     hidden_group_size_z
      - .offset:         3394
        .size:           2
        .value_kind:     hidden_remainder_x
      - .offset:         3396
        .size:           2
        .value_kind:     hidden_remainder_y
      - .offset:         3398
        .size:           2
        .value_kind:     hidden_remainder_z
      - .offset:         3416
        .size:           8
        .value_kind:     hidden_global_offset_x
      - .offset:         3424
        .size:           8
        .value_kind:     hidden_global_offset_y
      - .offset:         3432
        .size:           8
        .value_kind:     hidden_global_offset_z
      - .offset:         3440
        .size:           2
        .value_kind:     hidden_grid_dims
    .group_segment_fixed_size: 0
    .kernarg_segment_align: 8
    .kernarg_segment_size: 3632
    .language:       OpenCL C
    .language_version:
      - 2
      - 0
    .max_flat_workgroup_size: 512
    .name:           _ZN2at6native12_GLOBAL__N_125multi_tensor_apply_kernelINS1_18TensorListMetadataILi1EEENS1_14UnaryOpFunctorIN3c108BFloat16ELi1ELi1ELi0EEEJNS0_3ExpIfEEEEEvT_T0_DpT1_
    .private_segment_fixed_size: 0
    .sgpr_count:     25
    .sgpr_spill_count: 0
    .symbol:         _ZN2at6native12_GLOBAL__N_125multi_tensor_apply_kernelINS1_18TensorListMetadataILi1EEENS1_14UnaryOpFunctorIN3c108BFloat16ELi1ELi1ELi0EEEJNS0_3ExpIfEEEEEvT_T0_DpT1_.kd
    .uniform_work_group_size: 1
    .uses_dynamic_stack: false
    .vgpr_count:     28
    .vgpr_spill_count: 0
    .wavefront_size: 32
  - .args:
      - .offset:         0
        .size:           3144
        .value_kind:     by_value
      - .offset:         3144
        .size:           1
        .value_kind:     by_value
      - .offset:         3145
        .size:           1
        .value_kind:     by_value
      - .offset:         3152
        .size:           4
        .value_kind:     hidden_block_count_x
      - .offset:         3156
        .size:           4
        .value_kind:     hidden_block_count_y
      - .offset:         3160
        .size:           4
        .value_kind:     hidden_block_count_z
      - .offset:         3164
        .size:           2
        .value_kind:     hidden_group_size_x
      - .offset:         3166
        .size:           2
        .value_kind:     hidden_group_size_y
      - .offset:         3168
        .size:           2
        .value_kind:     hidden_group_size_z
      - .offset:         3170
        .size:           2
        .value_kind:     hidden_remainder_x
      - .offset:         3172
        .size:           2
        .value_kind:     hidden_remainder_y
      - .offset:         3174
        .size:           2
        .value_kind:     hidden_remainder_z
      - .offset:         3192
        .size:           8
        .value_kind:     hidden_global_offset_x
      - .offset:         3200
        .size:           8
        .value_kind:     hidden_global_offset_y
      - .offset:         3208
        .size:           8
        .value_kind:     hidden_global_offset_z
      - .offset:         3216
        .size:           2
        .value_kind:     hidden_grid_dims
    .group_segment_fixed_size: 0
    .kernarg_segment_align: 8
    .kernarg_segment_size: 3408
    .language:       OpenCL C
    .language_version:
      - 2
      - 0
    .max_flat_workgroup_size: 512
    .name:           _ZN2at6native12_GLOBAL__N_125multi_tensor_apply_kernelINS1_18TensorListMetadataILi2EEENS1_14UnaryOpFunctorIdLi2ELi1ELi1EEEJNS0_5Expm1IdEEEEEvT_T0_DpT1_
    .private_segment_fixed_size: 0
    .sgpr_count:     32
    .sgpr_spill_count: 0
    .symbol:         _ZN2at6native12_GLOBAL__N_125multi_tensor_apply_kernelINS1_18TensorListMetadataILi2EEENS1_14UnaryOpFunctorIdLi2ELi1ELi1EEEJNS0_5Expm1IdEEEEEvT_T0_DpT1_.kd
    .uniform_work_group_size: 1
    .uses_dynamic_stack: false
    .vgpr_count:     50
    .vgpr_spill_count: 0
    .wavefront_size: 32
  - .args:
      - .offset:         0
        .size:           3144
        .value_kind:     by_value
      - .offset:         3144
        .size:           1
        .value_kind:     by_value
      - .offset:         3145
        .size:           1
        .value_kind:     by_value
      - .offset:         3152
        .size:           4
        .value_kind:     hidden_block_count_x
      - .offset:         3156
        .size:           4
        .value_kind:     hidden_block_count_y
      - .offset:         3160
        .size:           4
        .value_kind:     hidden_block_count_z
      - .offset:         3164
        .size:           2
        .value_kind:     hidden_group_size_x
      - .offset:         3166
        .size:           2
        .value_kind:     hidden_group_size_y
      - .offset:         3168
        .size:           2
        .value_kind:     hidden_group_size_z
      - .offset:         3170
        .size:           2
        .value_kind:     hidden_remainder_x
      - .offset:         3172
        .size:           2
        .value_kind:     hidden_remainder_y
      - .offset:         3174
        .size:           2
        .value_kind:     hidden_remainder_z
      - .offset:         3192
        .size:           8
        .value_kind:     hidden_global_offset_x
      - .offset:         3200
        .size:           8
        .value_kind:     hidden_global_offset_y
      - .offset:         3208
        .size:           8
        .value_kind:     hidden_global_offset_z
      - .offset:         3216
        .size:           2
        .value_kind:     hidden_grid_dims
    .group_segment_fixed_size: 0
    .kernarg_segment_align: 8
    .kernarg_segment_size: 3408
    .language:       OpenCL C
    .language_version:
      - 2
      - 0
    .max_flat_workgroup_size: 512
    .name:           _ZN2at6native12_GLOBAL__N_125multi_tensor_apply_kernelINS1_18TensorListMetadataILi2EEENS1_14UnaryOpFunctorIfLi2ELi1ELi1EEEJNS0_5Expm1IfEEEEEvT_T0_DpT1_
    .private_segment_fixed_size: 0
    .sgpr_count:     38
    .sgpr_spill_count: 0
    .symbol:         _ZN2at6native12_GLOBAL__N_125multi_tensor_apply_kernelINS1_18TensorListMetadataILi2EEENS1_14UnaryOpFunctorIfLi2ELi1ELi1EEEJNS0_5Expm1IfEEEEEvT_T0_DpT1_.kd
    .uniform_work_group_size: 1
    .uses_dynamic_stack: false
    .vgpr_count:     36
    .vgpr_spill_count: 0
    .wavefront_size: 32
  - .args:
      - .offset:         0
        .size:           3144
        .value_kind:     by_value
      - .offset:         3144
        .size:           1
        .value_kind:     by_value
      - .offset:         3145
        .size:           1
        .value_kind:     by_value
      - .offset:         3152
        .size:           4
        .value_kind:     hidden_block_count_x
      - .offset:         3156
        .size:           4
        .value_kind:     hidden_block_count_y
      - .offset:         3160
        .size:           4
        .value_kind:     hidden_block_count_z
      - .offset:         3164
        .size:           2
        .value_kind:     hidden_group_size_x
      - .offset:         3166
        .size:           2
        .value_kind:     hidden_group_size_y
      - .offset:         3168
        .size:           2
        .value_kind:     hidden_group_size_z
      - .offset:         3170
        .size:           2
        .value_kind:     hidden_remainder_x
      - .offset:         3172
        .size:           2
        .value_kind:     hidden_remainder_y
      - .offset:         3174
        .size:           2
        .value_kind:     hidden_remainder_z
      - .offset:         3192
        .size:           8
        .value_kind:     hidden_global_offset_x
      - .offset:         3200
        .size:           8
        .value_kind:     hidden_global_offset_y
      - .offset:         3208
        .size:           8
        .value_kind:     hidden_global_offset_z
      - .offset:         3216
        .size:           2
        .value_kind:     hidden_grid_dims
    .group_segment_fixed_size: 0
    .kernarg_segment_align: 8
    .kernarg_segment_size: 3408
    .language:       OpenCL C
    .language_version:
      - 2
      - 0
    .max_flat_workgroup_size: 512
    .name:           _ZN2at6native12_GLOBAL__N_125multi_tensor_apply_kernelINS1_18TensorListMetadataILi2EEENS1_14UnaryOpFunctorIN3c107complexIdEELi2ELi1ELi1EEEJNS0_5Expm1IS8_EEEEEvT_T0_DpT1_
    .private_segment_fixed_size: 0
    .sgpr_count:     41
    .sgpr_spill_count: 0
    .symbol:         _ZN2at6native12_GLOBAL__N_125multi_tensor_apply_kernelINS1_18TensorListMetadataILi2EEENS1_14UnaryOpFunctorIN3c107complexIdEELi2ELi1ELi1EEEJNS0_5Expm1IS8_EEEEEvT_T0_DpT1_.kd
    .uniform_work_group_size: 1
    .uses_dynamic_stack: false
    .vgpr_count:     167
    .vgpr_spill_count: 0
    .wavefront_size: 32
  - .args:
      - .offset:         0
        .size:           3144
        .value_kind:     by_value
      - .offset:         3144
        .size:           1
        .value_kind:     by_value
      - .offset:         3145
        .size:           1
        .value_kind:     by_value
      - .offset:         3152
        .size:           4
        .value_kind:     hidden_block_count_x
      - .offset:         3156
        .size:           4
        .value_kind:     hidden_block_count_y
      - .offset:         3160
        .size:           4
        .value_kind:     hidden_block_count_z
      - .offset:         3164
        .size:           2
        .value_kind:     hidden_group_size_x
      - .offset:         3166
        .size:           2
        .value_kind:     hidden_group_size_y
      - .offset:         3168
        .size:           2
        .value_kind:     hidden_group_size_z
      - .offset:         3170
        .size:           2
        .value_kind:     hidden_remainder_x
      - .offset:         3172
        .size:           2
        .value_kind:     hidden_remainder_y
      - .offset:         3174
        .size:           2
        .value_kind:     hidden_remainder_z
      - .offset:         3192
        .size:           8
        .value_kind:     hidden_global_offset_x
      - .offset:         3200
        .size:           8
        .value_kind:     hidden_global_offset_y
      - .offset:         3208
        .size:           8
        .value_kind:     hidden_global_offset_z
      - .offset:         3216
        .size:           2
        .value_kind:     hidden_grid_dims
    .group_segment_fixed_size: 0
    .kernarg_segment_align: 8
    .kernarg_segment_size: 3408
    .language:       OpenCL C
    .language_version:
      - 2
      - 0
    .max_flat_workgroup_size: 512
    .name:           _ZN2at6native12_GLOBAL__N_125multi_tensor_apply_kernelINS1_18TensorListMetadataILi2EEENS1_14UnaryOpFunctorIN3c107complexIfEELi2ELi1ELi1EEEJNS0_5Expm1IS8_EEEEEvT_T0_DpT1_
    .private_segment_fixed_size: 0
    .sgpr_count:     30
    .sgpr_spill_count: 0
    .symbol:         _ZN2at6native12_GLOBAL__N_125multi_tensor_apply_kernelINS1_18TensorListMetadataILi2EEENS1_14UnaryOpFunctorIN3c107complexIfEELi2ELi1ELi1EEEJNS0_5Expm1IS8_EEEEEvT_T0_DpT1_.kd
    .uniform_work_group_size: 1
    .uses_dynamic_stack: false
    .vgpr_count:     75
    .vgpr_spill_count: 0
    .wavefront_size: 32
  - .args:
      - .offset:         0
        .size:           3144
        .value_kind:     by_value
      - .offset:         3144
        .size:           1
        .value_kind:     by_value
      - .offset:         3145
        .size:           1
        .value_kind:     by_value
      - .offset:         3152
        .size:           4
        .value_kind:     hidden_block_count_x
      - .offset:         3156
        .size:           4
        .value_kind:     hidden_block_count_y
      - .offset:         3160
        .size:           4
        .value_kind:     hidden_block_count_z
      - .offset:         3164
        .size:           2
        .value_kind:     hidden_group_size_x
      - .offset:         3166
        .size:           2
        .value_kind:     hidden_group_size_y
      - .offset:         3168
        .size:           2
        .value_kind:     hidden_group_size_z
      - .offset:         3170
        .size:           2
        .value_kind:     hidden_remainder_x
      - .offset:         3172
        .size:           2
        .value_kind:     hidden_remainder_y
      - .offset:         3174
        .size:           2
        .value_kind:     hidden_remainder_z
      - .offset:         3192
        .size:           8
        .value_kind:     hidden_global_offset_x
      - .offset:         3200
        .size:           8
        .value_kind:     hidden_global_offset_y
      - .offset:         3208
        .size:           8
        .value_kind:     hidden_global_offset_z
      - .offset:         3216
        .size:           2
        .value_kind:     hidden_grid_dims
    .group_segment_fixed_size: 0
    .kernarg_segment_align: 8
    .kernarg_segment_size: 3408
    .language:       OpenCL C
    .language_version:
      - 2
      - 0
    .max_flat_workgroup_size: 512
    .name:           _ZN2at6native12_GLOBAL__N_125multi_tensor_apply_kernelINS1_18TensorListMetadataILi2EEENS1_14UnaryOpFunctorIN3c104HalfELi2ELi1ELi1EEEJNS0_5Expm1IfEEEEEvT_T0_DpT1_
    .private_segment_fixed_size: 0
    .sgpr_count:     34
    .sgpr_spill_count: 0
    .symbol:         _ZN2at6native12_GLOBAL__N_125multi_tensor_apply_kernelINS1_18TensorListMetadataILi2EEENS1_14UnaryOpFunctorIN3c104HalfELi2ELi1ELi1EEEJNS0_5Expm1IfEEEEEvT_T0_DpT1_.kd
    .uniform_work_group_size: 1
    .uses_dynamic_stack: false
    .vgpr_count:     37
    .vgpr_spill_count: 0
    .wavefront_size: 32
  - .args:
      - .offset:         0
        .size:           3144
        .value_kind:     by_value
      - .offset:         3144
        .size:           1
        .value_kind:     by_value
      - .offset:         3145
        .size:           1
        .value_kind:     by_value
      - .offset:         3152
        .size:           4
        .value_kind:     hidden_block_count_x
      - .offset:         3156
        .size:           4
        .value_kind:     hidden_block_count_y
      - .offset:         3160
        .size:           4
        .value_kind:     hidden_block_count_z
      - .offset:         3164
        .size:           2
        .value_kind:     hidden_group_size_x
      - .offset:         3166
        .size:           2
        .value_kind:     hidden_group_size_y
      - .offset:         3168
        .size:           2
        .value_kind:     hidden_group_size_z
      - .offset:         3170
        .size:           2
        .value_kind:     hidden_remainder_x
      - .offset:         3172
        .size:           2
        .value_kind:     hidden_remainder_y
      - .offset:         3174
        .size:           2
        .value_kind:     hidden_remainder_z
      - .offset:         3192
        .size:           8
        .value_kind:     hidden_global_offset_x
      - .offset:         3200
        .size:           8
        .value_kind:     hidden_global_offset_y
      - .offset:         3208
        .size:           8
        .value_kind:     hidden_global_offset_z
      - .offset:         3216
        .size:           2
        .value_kind:     hidden_grid_dims
    .group_segment_fixed_size: 0
    .kernarg_segment_align: 8
    .kernarg_segment_size: 3408
    .language:       OpenCL C
    .language_version:
      - 2
      - 0
    .max_flat_workgroup_size: 512
    .name:           _ZN2at6native12_GLOBAL__N_125multi_tensor_apply_kernelINS1_18TensorListMetadataILi2EEENS1_14UnaryOpFunctorIN3c108BFloat16ELi2ELi1ELi1EEEJNS0_5Expm1IfEEEEEvT_T0_DpT1_
    .private_segment_fixed_size: 0
    .sgpr_count:     34
    .sgpr_spill_count: 0
    .symbol:         _ZN2at6native12_GLOBAL__N_125multi_tensor_apply_kernelINS1_18TensorListMetadataILi2EEENS1_14UnaryOpFunctorIN3c108BFloat16ELi2ELi1ELi1EEEJNS0_5Expm1IfEEEEEvT_T0_DpT1_.kd
    .uniform_work_group_size: 1
    .uses_dynamic_stack: false
    .vgpr_count:     38
    .vgpr_spill_count: 0
    .wavefront_size: 32
  - .args:
      - .offset:         0
        .size:           3368
        .value_kind:     by_value
      - .offset:         3368
        .size:           1
        .value_kind:     by_value
      - .offset:         3369
        .size:           1
        .value_kind:     by_value
      - .offset:         3376
        .size:           4
        .value_kind:     hidden_block_count_x
      - .offset:         3380
        .size:           4
        .value_kind:     hidden_block_count_y
      - .offset:         3384
        .size:           4
        .value_kind:     hidden_block_count_z
      - .offset:         3388
        .size:           2
        .value_kind:     hidden_group_size_x
      - .offset:         3390
        .size:           2
        .value_kind:     hidden_group_size_y
      - .offset:         3392
        .size:           2
        .value_kind:     hidden_group_size_z
      - .offset:         3394
        .size:           2
        .value_kind:     hidden_remainder_x
      - .offset:         3396
        .size:           2
        .value_kind:     hidden_remainder_y
      - .offset:         3398
        .size:           2
        .value_kind:     hidden_remainder_z
      - .offset:         3416
        .size:           8
        .value_kind:     hidden_global_offset_x
      - .offset:         3424
        .size:           8
        .value_kind:     hidden_global_offset_y
      - .offset:         3432
        .size:           8
        .value_kind:     hidden_global_offset_z
      - .offset:         3440
        .size:           2
        .value_kind:     hidden_grid_dims
    .group_segment_fixed_size: 0
    .kernarg_segment_align: 8
    .kernarg_segment_size: 3632
    .language:       OpenCL C
    .language_version:
      - 2
      - 0
    .max_flat_workgroup_size: 512
    .name:           _ZN2at6native12_GLOBAL__N_125multi_tensor_apply_kernelINS1_18TensorListMetadataILi1EEENS1_14UnaryOpFunctorIdLi1ELi1ELi0EEEJNS0_5Expm1IdEEEEEvT_T0_DpT1_
    .private_segment_fixed_size: 0
    .sgpr_count:     28
    .sgpr_spill_count: 0
    .symbol:         _ZN2at6native12_GLOBAL__N_125multi_tensor_apply_kernelINS1_18TensorListMetadataILi1EEENS1_14UnaryOpFunctorIdLi1ELi1ELi0EEEJNS0_5Expm1IdEEEEEvT_T0_DpT1_.kd
    .uniform_work_group_size: 1
    .uses_dynamic_stack: false
    .vgpr_count:     48
    .vgpr_spill_count: 0
    .wavefront_size: 32
  - .args:
      - .offset:         0
        .size:           3368
        .value_kind:     by_value
      - .offset:         3368
        .size:           1
        .value_kind:     by_value
      - .offset:         3369
        .size:           1
        .value_kind:     by_value
      - .offset:         3376
        .size:           4
        .value_kind:     hidden_block_count_x
      - .offset:         3380
        .size:           4
        .value_kind:     hidden_block_count_y
      - .offset:         3384
        .size:           4
        .value_kind:     hidden_block_count_z
      - .offset:         3388
        .size:           2
        .value_kind:     hidden_group_size_x
      - .offset:         3390
        .size:           2
        .value_kind:     hidden_group_size_y
      - .offset:         3392
        .size:           2
        .value_kind:     hidden_group_size_z
      - .offset:         3394
        .size:           2
        .value_kind:     hidden_remainder_x
      - .offset:         3396
        .size:           2
        .value_kind:     hidden_remainder_y
      - .offset:         3398
        .size:           2
        .value_kind:     hidden_remainder_z
      - .offset:         3416
        .size:           8
        .value_kind:     hidden_global_offset_x
      - .offset:         3424
        .size:           8
        .value_kind:     hidden_global_offset_y
      - .offset:         3432
        .size:           8
        .value_kind:     hidden_global_offset_z
      - .offset:         3440
        .size:           2
        .value_kind:     hidden_grid_dims
    .group_segment_fixed_size: 0
    .kernarg_segment_align: 8
    .kernarg_segment_size: 3632
    .language:       OpenCL C
    .language_version:
      - 2
      - 0
    .max_flat_workgroup_size: 512
    .name:           _ZN2at6native12_GLOBAL__N_125multi_tensor_apply_kernelINS1_18TensorListMetadataILi1EEENS1_14UnaryOpFunctorIfLi1ELi1ELi0EEEJNS0_5Expm1IfEEEEEvT_T0_DpT1_
    .private_segment_fixed_size: 0
    .sgpr_count:     25
    .sgpr_spill_count: 0
    .symbol:         _ZN2at6native12_GLOBAL__N_125multi_tensor_apply_kernelINS1_18TensorListMetadataILi1EEENS1_14UnaryOpFunctorIfLi1ELi1ELi0EEEJNS0_5Expm1IfEEEEEvT_T0_DpT1_.kd
    .uniform_work_group_size: 1
    .uses_dynamic_stack: false
    .vgpr_count:     28
    .vgpr_spill_count: 0
    .wavefront_size: 32
  - .args:
      - .offset:         0
        .size:           3368
        .value_kind:     by_value
      - .offset:         3368
        .size:           1
        .value_kind:     by_value
      - .offset:         3369
        .size:           1
        .value_kind:     by_value
      - .offset:         3376
        .size:           4
        .value_kind:     hidden_block_count_x
      - .offset:         3380
        .size:           4
        .value_kind:     hidden_block_count_y
      - .offset:         3384
        .size:           4
        .value_kind:     hidden_block_count_z
      - .offset:         3388
        .size:           2
        .value_kind:     hidden_group_size_x
      - .offset:         3390
        .size:           2
        .value_kind:     hidden_group_size_y
      - .offset:         3392
        .size:           2
        .value_kind:     hidden_group_size_z
      - .offset:         3394
        .size:           2
        .value_kind:     hidden_remainder_x
      - .offset:         3396
        .size:           2
        .value_kind:     hidden_remainder_y
      - .offset:         3398
        .size:           2
        .value_kind:     hidden_remainder_z
      - .offset:         3416
        .size:           8
        .value_kind:     hidden_global_offset_x
      - .offset:         3424
        .size:           8
        .value_kind:     hidden_global_offset_y
      - .offset:         3432
        .size:           8
        .value_kind:     hidden_global_offset_z
      - .offset:         3440
        .size:           2
        .value_kind:     hidden_grid_dims
    .group_segment_fixed_size: 0
    .kernarg_segment_align: 8
    .kernarg_segment_size: 3632
    .language:       OpenCL C
    .language_version:
      - 2
      - 0
    .max_flat_workgroup_size: 512
    .name:           _ZN2at6native12_GLOBAL__N_125multi_tensor_apply_kernelINS1_18TensorListMetadataILi1EEENS1_14UnaryOpFunctorIN3c107complexIdEELi1ELi1ELi0EEEJNS0_5Expm1IS8_EEEEEvT_T0_DpT1_
    .private_segment_fixed_size: 0
    .sgpr_count:     40
    .sgpr_spill_count: 0
    .symbol:         _ZN2at6native12_GLOBAL__N_125multi_tensor_apply_kernelINS1_18TensorListMetadataILi1EEENS1_14UnaryOpFunctorIN3c107complexIdEELi1ELi1ELi0EEEJNS0_5Expm1IS8_EEEEEvT_T0_DpT1_.kd
    .uniform_work_group_size: 1
    .uses_dynamic_stack: false
    .vgpr_count:     195
    .vgpr_spill_count: 0
    .wavefront_size: 32
  - .args:
      - .offset:         0
        .size:           3368
        .value_kind:     by_value
      - .offset:         3368
        .size:           1
        .value_kind:     by_value
      - .offset:         3369
        .size:           1
        .value_kind:     by_value
      - .offset:         3376
        .size:           4
        .value_kind:     hidden_block_count_x
      - .offset:         3380
        .size:           4
        .value_kind:     hidden_block_count_y
      - .offset:         3384
        .size:           4
        .value_kind:     hidden_block_count_z
      - .offset:         3388
        .size:           2
        .value_kind:     hidden_group_size_x
      - .offset:         3390
        .size:           2
        .value_kind:     hidden_group_size_y
      - .offset:         3392
        .size:           2
        .value_kind:     hidden_group_size_z
      - .offset:         3394
        .size:           2
        .value_kind:     hidden_remainder_x
      - .offset:         3396
        .size:           2
        .value_kind:     hidden_remainder_y
      - .offset:         3398
        .size:           2
        .value_kind:     hidden_remainder_z
      - .offset:         3416
        .size:           8
        .value_kind:     hidden_global_offset_x
      - .offset:         3424
        .size:           8
        .value_kind:     hidden_global_offset_y
      - .offset:         3432
        .size:           8
        .value_kind:     hidden_global_offset_z
      - .offset:         3440
        .size:           2
        .value_kind:     hidden_grid_dims
    .group_segment_fixed_size: 0
    .kernarg_segment_align: 8
    .kernarg_segment_size: 3632
    .language:       OpenCL C
    .language_version:
      - 2
      - 0
    .max_flat_workgroup_size: 512
    .name:           _ZN2at6native12_GLOBAL__N_125multi_tensor_apply_kernelINS1_18TensorListMetadataILi1EEENS1_14UnaryOpFunctorIN3c107complexIfEELi1ELi1ELi0EEEJNS0_5Expm1IS8_EEEEEvT_T0_DpT1_
    .private_segment_fixed_size: 0
    .sgpr_count:     32
    .sgpr_spill_count: 0
    .symbol:         _ZN2at6native12_GLOBAL__N_125multi_tensor_apply_kernelINS1_18TensorListMetadataILi1EEENS1_14UnaryOpFunctorIN3c107complexIfEELi1ELi1ELi0EEEJNS0_5Expm1IS8_EEEEEvT_T0_DpT1_.kd
    .uniform_work_group_size: 1
    .uses_dynamic_stack: false
    .vgpr_count:     89
    .vgpr_spill_count: 0
    .wavefront_size: 32
  - .args:
      - .offset:         0
        .size:           3368
        .value_kind:     by_value
      - .offset:         3368
        .size:           1
        .value_kind:     by_value
      - .offset:         3369
        .size:           1
        .value_kind:     by_value
      - .offset:         3376
        .size:           4
        .value_kind:     hidden_block_count_x
      - .offset:         3380
        .size:           4
        .value_kind:     hidden_block_count_y
      - .offset:         3384
        .size:           4
        .value_kind:     hidden_block_count_z
      - .offset:         3388
        .size:           2
        .value_kind:     hidden_group_size_x
      - .offset:         3390
        .size:           2
        .value_kind:     hidden_group_size_y
      - .offset:         3392
        .size:           2
        .value_kind:     hidden_group_size_z
      - .offset:         3394
        .size:           2
        .value_kind:     hidden_remainder_x
      - .offset:         3396
        .size:           2
        .value_kind:     hidden_remainder_y
      - .offset:         3398
        .size:           2
        .value_kind:     hidden_remainder_z
      - .offset:         3416
        .size:           8
        .value_kind:     hidden_global_offset_x
      - .offset:         3424
        .size:           8
        .value_kind:     hidden_global_offset_y
      - .offset:         3432
        .size:           8
        .value_kind:     hidden_global_offset_z
      - .offset:         3440
        .size:           2
        .value_kind:     hidden_grid_dims
    .group_segment_fixed_size: 0
    .kernarg_segment_align: 8
    .kernarg_segment_size: 3632
    .language:       OpenCL C
    .language_version:
      - 2
      - 0
    .max_flat_workgroup_size: 512
    .name:           _ZN2at6native12_GLOBAL__N_125multi_tensor_apply_kernelINS1_18TensorListMetadataILi1EEENS1_14UnaryOpFunctorIN3c104HalfELi1ELi1ELi0EEEJNS0_5Expm1IfEEEEEvT_T0_DpT1_
    .private_segment_fixed_size: 0
    .sgpr_count:     24
    .sgpr_spill_count: 0
    .symbol:         _ZN2at6native12_GLOBAL__N_125multi_tensor_apply_kernelINS1_18TensorListMetadataILi1EEENS1_14UnaryOpFunctorIN3c104HalfELi1ELi1ELi0EEEJNS0_5Expm1IfEEEEEvT_T0_DpT1_.kd
    .uniform_work_group_size: 1
    .uses_dynamic_stack: false
    .vgpr_count:     30
    .vgpr_spill_count: 0
    .wavefront_size: 32
  - .args:
      - .offset:         0
        .size:           3368
        .value_kind:     by_value
      - .offset:         3368
        .size:           1
        .value_kind:     by_value
      - .offset:         3369
        .size:           1
        .value_kind:     by_value
      - .offset:         3376
        .size:           4
        .value_kind:     hidden_block_count_x
      - .offset:         3380
        .size:           4
        .value_kind:     hidden_block_count_y
      - .offset:         3384
        .size:           4
        .value_kind:     hidden_block_count_z
      - .offset:         3388
        .size:           2
        .value_kind:     hidden_group_size_x
      - .offset:         3390
        .size:           2
        .value_kind:     hidden_group_size_y
      - .offset:         3392
        .size:           2
        .value_kind:     hidden_group_size_z
      - .offset:         3394
        .size:           2
        .value_kind:     hidden_remainder_x
      - .offset:         3396
        .size:           2
        .value_kind:     hidden_remainder_y
      - .offset:         3398
        .size:           2
        .value_kind:     hidden_remainder_z
      - .offset:         3416
        .size:           8
        .value_kind:     hidden_global_offset_x
      - .offset:         3424
        .size:           8
        .value_kind:     hidden_global_offset_y
      - .offset:         3432
        .size:           8
        .value_kind:     hidden_global_offset_z
      - .offset:         3440
        .size:           2
        .value_kind:     hidden_grid_dims
    .group_segment_fixed_size: 0
    .kernarg_segment_align: 8
    .kernarg_segment_size: 3632
    .language:       OpenCL C
    .language_version:
      - 2
      - 0
    .max_flat_workgroup_size: 512
    .name:           _ZN2at6native12_GLOBAL__N_125multi_tensor_apply_kernelINS1_18TensorListMetadataILi1EEENS1_14UnaryOpFunctorIN3c108BFloat16ELi1ELi1ELi0EEEJNS0_5Expm1IfEEEEEvT_T0_DpT1_
    .private_segment_fixed_size: 0
    .sgpr_count:     38
    .sgpr_spill_count: 0
    .symbol:         _ZN2at6native12_GLOBAL__N_125multi_tensor_apply_kernelINS1_18TensorListMetadataILi1EEENS1_14UnaryOpFunctorIN3c108BFloat16ELi1ELi1ELi0EEEJNS0_5Expm1IfEEEEEvT_T0_DpT1_.kd
    .uniform_work_group_size: 1
    .uses_dynamic_stack: false
    .vgpr_count:     30
    .vgpr_spill_count: 0
    .wavefront_size: 32
  - .args:
      - .offset:         0
        .size:           3144
        .value_kind:     by_value
      - .offset:         3144
        .size:           1
        .value_kind:     by_value
      - .offset:         3145
        .size:           1
        .value_kind:     by_value
      - .offset:         3152
        .size:           4
        .value_kind:     hidden_block_count_x
      - .offset:         3156
        .size:           4
        .value_kind:     hidden_block_count_y
      - .offset:         3160
        .size:           4
        .value_kind:     hidden_block_count_z
      - .offset:         3164
        .size:           2
        .value_kind:     hidden_group_size_x
      - .offset:         3166
        .size:           2
        .value_kind:     hidden_group_size_y
      - .offset:         3168
        .size:           2
        .value_kind:     hidden_group_size_z
      - .offset:         3170
        .size:           2
        .value_kind:     hidden_remainder_x
      - .offset:         3172
        .size:           2
        .value_kind:     hidden_remainder_y
      - .offset:         3174
        .size:           2
        .value_kind:     hidden_remainder_z
      - .offset:         3192
        .size:           8
        .value_kind:     hidden_global_offset_x
      - .offset:         3200
        .size:           8
        .value_kind:     hidden_global_offset_y
      - .offset:         3208
        .size:           8
        .value_kind:     hidden_global_offset_z
      - .offset:         3216
        .size:           2
        .value_kind:     hidden_grid_dims
    .group_segment_fixed_size: 0
    .kernarg_segment_align: 8
    .kernarg_segment_size: 3408
    .language:       OpenCL C
    .language_version:
      - 2
      - 0
    .max_flat_workgroup_size: 512
    .name:           _ZN2at6native12_GLOBAL__N_125multi_tensor_apply_kernelINS1_18TensorListMetadataILi2EEENS1_14UnaryOpFunctorIdLi2ELi1ELi1EEEJNS0_4TanhIdEEEEEvT_T0_DpT1_
    .private_segment_fixed_size: 0
    .sgpr_count:     22
    .sgpr_spill_count: 0
    .symbol:         _ZN2at6native12_GLOBAL__N_125multi_tensor_apply_kernelINS1_18TensorListMetadataILi2EEENS1_14UnaryOpFunctorIdLi2ELi1ELi1EEEJNS0_4TanhIdEEEEEvT_T0_DpT1_.kd
    .uniform_work_group_size: 1
    .uses_dynamic_stack: false
    .vgpr_count:     60
    .vgpr_spill_count: 0
    .wavefront_size: 32
  - .args:
      - .offset:         0
        .size:           3144
        .value_kind:     by_value
      - .offset:         3144
        .size:           1
        .value_kind:     by_value
      - .offset:         3145
        .size:           1
        .value_kind:     by_value
      - .offset:         3152
        .size:           4
        .value_kind:     hidden_block_count_x
      - .offset:         3156
        .size:           4
        .value_kind:     hidden_block_count_y
      - .offset:         3160
        .size:           4
        .value_kind:     hidden_block_count_z
      - .offset:         3164
        .size:           2
        .value_kind:     hidden_group_size_x
      - .offset:         3166
        .size:           2
        .value_kind:     hidden_group_size_y
      - .offset:         3168
        .size:           2
        .value_kind:     hidden_group_size_z
      - .offset:         3170
        .size:           2
        .value_kind:     hidden_remainder_x
      - .offset:         3172
        .size:           2
        .value_kind:     hidden_remainder_y
      - .offset:         3174
        .size:           2
        .value_kind:     hidden_remainder_z
      - .offset:         3192
        .size:           8
        .value_kind:     hidden_global_offset_x
      - .offset:         3200
        .size:           8
        .value_kind:     hidden_global_offset_y
      - .offset:         3208
        .size:           8
        .value_kind:     hidden_global_offset_z
      - .offset:         3216
        .size:           2
        .value_kind:     hidden_grid_dims
    .group_segment_fixed_size: 0
    .kernarg_segment_align: 8
    .kernarg_segment_size: 3408
    .language:       OpenCL C
    .language_version:
      - 2
      - 0
    .max_flat_workgroup_size: 512
    .name:           _ZN2at6native12_GLOBAL__N_125multi_tensor_apply_kernelINS1_18TensorListMetadataILi2EEENS1_14UnaryOpFunctorIfLi2ELi1ELi1EEEJNS0_4TanhIfEEEEEvT_T0_DpT1_
    .private_segment_fixed_size: 0
    .sgpr_count:     22
    .sgpr_spill_count: 0
    .symbol:         _ZN2at6native12_GLOBAL__N_125multi_tensor_apply_kernelINS1_18TensorListMetadataILi2EEENS1_14UnaryOpFunctorIfLi2ELi1ELi1EEEJNS0_4TanhIfEEEEEvT_T0_DpT1_.kd
    .uniform_work_group_size: 1
    .uses_dynamic_stack: false
    .vgpr_count:     39
    .vgpr_spill_count: 0
    .wavefront_size: 32
  - .args:
      - .offset:         0
        .size:           3144
        .value_kind:     by_value
      - .offset:         3144
        .size:           1
        .value_kind:     by_value
      - .offset:         3145
        .size:           1
        .value_kind:     by_value
      - .offset:         3152
        .size:           4
        .value_kind:     hidden_block_count_x
      - .offset:         3156
        .size:           4
        .value_kind:     hidden_block_count_y
      - .offset:         3160
        .size:           4
        .value_kind:     hidden_block_count_z
      - .offset:         3164
        .size:           2
        .value_kind:     hidden_group_size_x
      - .offset:         3166
        .size:           2
        .value_kind:     hidden_group_size_y
      - .offset:         3168
        .size:           2
        .value_kind:     hidden_group_size_z
      - .offset:         3170
        .size:           2
        .value_kind:     hidden_remainder_x
      - .offset:         3172
        .size:           2
        .value_kind:     hidden_remainder_y
      - .offset:         3174
        .size:           2
        .value_kind:     hidden_remainder_z
      - .offset:         3192
        .size:           8
        .value_kind:     hidden_global_offset_x
      - .offset:         3200
        .size:           8
        .value_kind:     hidden_global_offset_y
      - .offset:         3208
        .size:           8
        .value_kind:     hidden_global_offset_z
      - .offset:         3216
        .size:           2
        .value_kind:     hidden_grid_dims
    .group_segment_fixed_size: 0
    .kernarg_segment_align: 8
    .kernarg_segment_size: 3408
    .language:       OpenCL C
    .language_version:
      - 2
      - 0
    .max_flat_workgroup_size: 512
    .name:           _ZN2at6native12_GLOBAL__N_125multi_tensor_apply_kernelINS1_18TensorListMetadataILi2EEENS1_14UnaryOpFunctorIN3c107complexIdEELi2ELi1ELi1EEEJNS0_4TanhIS8_EEEEEvT_T0_DpT1_
    .private_segment_fixed_size: 0
    .sgpr_count:     39
    .sgpr_spill_count: 0
    .symbol:         _ZN2at6native12_GLOBAL__N_125multi_tensor_apply_kernelINS1_18TensorListMetadataILi2EEENS1_14UnaryOpFunctorIN3c107complexIdEELi2ELi1ELi1EEEJNS0_4TanhIS8_EEEEEvT_T0_DpT1_.kd
    .uniform_work_group_size: 1
    .uses_dynamic_stack: false
    .vgpr_count:     80
    .vgpr_spill_count: 0
    .wavefront_size: 32
  - .args:
      - .offset:         0
        .size:           3144
        .value_kind:     by_value
      - .offset:         3144
        .size:           1
        .value_kind:     by_value
      - .offset:         3145
        .size:           1
        .value_kind:     by_value
      - .offset:         3152
        .size:           4
        .value_kind:     hidden_block_count_x
      - .offset:         3156
        .size:           4
        .value_kind:     hidden_block_count_y
      - .offset:         3160
        .size:           4
        .value_kind:     hidden_block_count_z
      - .offset:         3164
        .size:           2
        .value_kind:     hidden_group_size_x
      - .offset:         3166
        .size:           2
        .value_kind:     hidden_group_size_y
      - .offset:         3168
        .size:           2
        .value_kind:     hidden_group_size_z
      - .offset:         3170
        .size:           2
        .value_kind:     hidden_remainder_x
      - .offset:         3172
        .size:           2
        .value_kind:     hidden_remainder_y
      - .offset:         3174
        .size:           2
        .value_kind:     hidden_remainder_z
      - .offset:         3192
        .size:           8
        .value_kind:     hidden_global_offset_x
      - .offset:         3200
        .size:           8
        .value_kind:     hidden_global_offset_y
      - .offset:         3208
        .size:           8
        .value_kind:     hidden_global_offset_z
      - .offset:         3216
        .size:           2
        .value_kind:     hidden_grid_dims
    .group_segment_fixed_size: 0
    .kernarg_segment_align: 8
    .kernarg_segment_size: 3408
    .language:       OpenCL C
    .language_version:
      - 2
      - 0
    .max_flat_workgroup_size: 512
    .name:           _ZN2at6native12_GLOBAL__N_125multi_tensor_apply_kernelINS1_18TensorListMetadataILi2EEENS1_14UnaryOpFunctorIN3c107complexIfEELi2ELi1ELi1EEEJNS0_4TanhIS8_EEEEEvT_T0_DpT1_
    .private_segment_fixed_size: 0
    .sgpr_count:     39
    .sgpr_spill_count: 0
    .symbol:         _ZN2at6native12_GLOBAL__N_125multi_tensor_apply_kernelINS1_18TensorListMetadataILi2EEENS1_14UnaryOpFunctorIN3c107complexIfEELi2ELi1ELi1EEEJNS0_4TanhIS8_EEEEEvT_T0_DpT1_.kd
    .uniform_work_group_size: 1
    .uses_dynamic_stack: false
    .vgpr_count:     58
    .vgpr_spill_count: 0
    .wavefront_size: 32
  - .args:
      - .offset:         0
        .size:           3144
        .value_kind:     by_value
      - .offset:         3144
        .size:           1
        .value_kind:     by_value
      - .offset:         3145
        .size:           1
        .value_kind:     by_value
      - .offset:         3152
        .size:           4
        .value_kind:     hidden_block_count_x
      - .offset:         3156
        .size:           4
        .value_kind:     hidden_block_count_y
      - .offset:         3160
        .size:           4
        .value_kind:     hidden_block_count_z
      - .offset:         3164
        .size:           2
        .value_kind:     hidden_group_size_x
      - .offset:         3166
        .size:           2
        .value_kind:     hidden_group_size_y
      - .offset:         3168
        .size:           2
        .value_kind:     hidden_group_size_z
      - .offset:         3170
        .size:           2
        .value_kind:     hidden_remainder_x
      - .offset:         3172
        .size:           2
        .value_kind:     hidden_remainder_y
      - .offset:         3174
        .size:           2
        .value_kind:     hidden_remainder_z
      - .offset:         3192
        .size:           8
        .value_kind:     hidden_global_offset_x
      - .offset:         3200
        .size:           8
        .value_kind:     hidden_global_offset_y
      - .offset:         3208
        .size:           8
        .value_kind:     hidden_global_offset_z
      - .offset:         3216
        .size:           2
        .value_kind:     hidden_grid_dims
    .group_segment_fixed_size: 0
    .kernarg_segment_align: 8
    .kernarg_segment_size: 3408
    .language:       OpenCL C
    .language_version:
      - 2
      - 0
    .max_flat_workgroup_size: 512
    .name:           _ZN2at6native12_GLOBAL__N_125multi_tensor_apply_kernelINS1_18TensorListMetadataILi2EEENS1_14UnaryOpFunctorIN3c104HalfELi2ELi1ELi1EEEJNS0_4TanhIfEEEEEvT_T0_DpT1_
    .private_segment_fixed_size: 0
    .sgpr_count:     22
    .sgpr_spill_count: 0
    .symbol:         _ZN2at6native12_GLOBAL__N_125multi_tensor_apply_kernelINS1_18TensorListMetadataILi2EEENS1_14UnaryOpFunctorIN3c104HalfELi2ELi1ELi1EEEJNS0_4TanhIfEEEEEvT_T0_DpT1_.kd
    .uniform_work_group_size: 1
    .uses_dynamic_stack: false
    .vgpr_count:     39
    .vgpr_spill_count: 0
    .wavefront_size: 32
  - .args:
      - .offset:         0
        .size:           3144
        .value_kind:     by_value
      - .offset:         3144
        .size:           1
        .value_kind:     by_value
      - .offset:         3145
        .size:           1
        .value_kind:     by_value
      - .offset:         3152
        .size:           4
        .value_kind:     hidden_block_count_x
      - .offset:         3156
        .size:           4
        .value_kind:     hidden_block_count_y
      - .offset:         3160
        .size:           4
        .value_kind:     hidden_block_count_z
      - .offset:         3164
        .size:           2
        .value_kind:     hidden_group_size_x
      - .offset:         3166
        .size:           2
        .value_kind:     hidden_group_size_y
      - .offset:         3168
        .size:           2
        .value_kind:     hidden_group_size_z
      - .offset:         3170
        .size:           2
        .value_kind:     hidden_remainder_x
      - .offset:         3172
        .size:           2
        .value_kind:     hidden_remainder_y
      - .offset:         3174
        .size:           2
        .value_kind:     hidden_remainder_z
      - .offset:         3192
        .size:           8
        .value_kind:     hidden_global_offset_x
      - .offset:         3200
        .size:           8
        .value_kind:     hidden_global_offset_y
      - .offset:         3208
        .size:           8
        .value_kind:     hidden_global_offset_z
      - .offset:         3216
        .size:           2
        .value_kind:     hidden_grid_dims
    .group_segment_fixed_size: 0
    .kernarg_segment_align: 8
    .kernarg_segment_size: 3408
    .language:       OpenCL C
    .language_version:
      - 2
      - 0
    .max_flat_workgroup_size: 512
    .name:           _ZN2at6native12_GLOBAL__N_125multi_tensor_apply_kernelINS1_18TensorListMetadataILi2EEENS1_14UnaryOpFunctorIN3c108BFloat16ELi2ELi1ELi1EEEJNS0_4TanhIfEEEEEvT_T0_DpT1_
    .private_segment_fixed_size: 0
    .sgpr_count:     22
    .sgpr_spill_count: 0
    .symbol:         _ZN2at6native12_GLOBAL__N_125multi_tensor_apply_kernelINS1_18TensorListMetadataILi2EEENS1_14UnaryOpFunctorIN3c108BFloat16ELi2ELi1ELi1EEEJNS0_4TanhIfEEEEEvT_T0_DpT1_.kd
    .uniform_work_group_size: 1
    .uses_dynamic_stack: false
    .vgpr_count:     39
    .vgpr_spill_count: 0
    .wavefront_size: 32
  - .args:
      - .offset:         0
        .size:           3368
        .value_kind:     by_value
      - .offset:         3368
        .size:           1
        .value_kind:     by_value
      - .offset:         3369
        .size:           1
        .value_kind:     by_value
      - .offset:         3376
        .size:           4
        .value_kind:     hidden_block_count_x
      - .offset:         3380
        .size:           4
        .value_kind:     hidden_block_count_y
      - .offset:         3384
        .size:           4
        .value_kind:     hidden_block_count_z
      - .offset:         3388
        .size:           2
        .value_kind:     hidden_group_size_x
      - .offset:         3390
        .size:           2
        .value_kind:     hidden_group_size_y
      - .offset:         3392
        .size:           2
        .value_kind:     hidden_group_size_z
      - .offset:         3394
        .size:           2
        .value_kind:     hidden_remainder_x
      - .offset:         3396
        .size:           2
        .value_kind:     hidden_remainder_y
      - .offset:         3398
        .size:           2
        .value_kind:     hidden_remainder_z
      - .offset:         3416
        .size:           8
        .value_kind:     hidden_global_offset_x
      - .offset:         3424
        .size:           8
        .value_kind:     hidden_global_offset_y
      - .offset:         3432
        .size:           8
        .value_kind:     hidden_global_offset_z
      - .offset:         3440
        .size:           2
        .value_kind:     hidden_grid_dims
    .group_segment_fixed_size: 0
    .kernarg_segment_align: 8
    .kernarg_segment_size: 3632
    .language:       OpenCL C
    .language_version:
      - 2
      - 0
    .max_flat_workgroup_size: 512
    .name:           _ZN2at6native12_GLOBAL__N_125multi_tensor_apply_kernelINS1_18TensorListMetadataILi1EEENS1_14UnaryOpFunctorIdLi1ELi1ELi0EEEJNS0_4TanhIdEEEEEvT_T0_DpT1_
    .private_segment_fixed_size: 0
    .sgpr_count:     28
    .sgpr_spill_count: 0
    .symbol:         _ZN2at6native12_GLOBAL__N_125multi_tensor_apply_kernelINS1_18TensorListMetadataILi1EEENS1_14UnaryOpFunctorIdLi1ELi1ELi0EEEJNS0_4TanhIdEEEEEvT_T0_DpT1_.kd
    .uniform_work_group_size: 1
    .uses_dynamic_stack: false
    .vgpr_count:     52
    .vgpr_spill_count: 0
    .wavefront_size: 32
  - .args:
      - .offset:         0
        .size:           3368
        .value_kind:     by_value
      - .offset:         3368
        .size:           1
        .value_kind:     by_value
      - .offset:         3369
        .size:           1
        .value_kind:     by_value
      - .offset:         3376
        .size:           4
        .value_kind:     hidden_block_count_x
      - .offset:         3380
        .size:           4
        .value_kind:     hidden_block_count_y
      - .offset:         3384
        .size:           4
        .value_kind:     hidden_block_count_z
      - .offset:         3388
        .size:           2
        .value_kind:     hidden_group_size_x
      - .offset:         3390
        .size:           2
        .value_kind:     hidden_group_size_y
      - .offset:         3392
        .size:           2
        .value_kind:     hidden_group_size_z
      - .offset:         3394
        .size:           2
        .value_kind:     hidden_remainder_x
      - .offset:         3396
        .size:           2
        .value_kind:     hidden_remainder_y
      - .offset:         3398
        .size:           2
        .value_kind:     hidden_remainder_z
      - .offset:         3416
        .size:           8
        .value_kind:     hidden_global_offset_x
      - .offset:         3424
        .size:           8
        .value_kind:     hidden_global_offset_y
      - .offset:         3432
        .size:           8
        .value_kind:     hidden_global_offset_z
      - .offset:         3440
        .size:           2
        .value_kind:     hidden_grid_dims
    .group_segment_fixed_size: 0
    .kernarg_segment_align: 8
    .kernarg_segment_size: 3632
    .language:       OpenCL C
    .language_version:
      - 2
      - 0
    .max_flat_workgroup_size: 512
    .name:           _ZN2at6native12_GLOBAL__N_125multi_tensor_apply_kernelINS1_18TensorListMetadataILi1EEENS1_14UnaryOpFunctorIfLi1ELi1ELi0EEEJNS0_4TanhIfEEEEEvT_T0_DpT1_
    .private_segment_fixed_size: 0
    .sgpr_count:     26
    .sgpr_spill_count: 0
    .symbol:         _ZN2at6native12_GLOBAL__N_125multi_tensor_apply_kernelINS1_18TensorListMetadataILi1EEENS1_14UnaryOpFunctorIfLi1ELi1ELi0EEEJNS0_4TanhIfEEEEEvT_T0_DpT1_.kd
    .uniform_work_group_size: 1
    .uses_dynamic_stack: false
    .vgpr_count:     31
    .vgpr_spill_count: 0
    .wavefront_size: 32
  - .args:
      - .offset:         0
        .size:           3368
        .value_kind:     by_value
      - .offset:         3368
        .size:           1
        .value_kind:     by_value
      - .offset:         3369
        .size:           1
        .value_kind:     by_value
      - .offset:         3376
        .size:           4
        .value_kind:     hidden_block_count_x
      - .offset:         3380
        .size:           4
        .value_kind:     hidden_block_count_y
      - .offset:         3384
        .size:           4
        .value_kind:     hidden_block_count_z
      - .offset:         3388
        .size:           2
        .value_kind:     hidden_group_size_x
      - .offset:         3390
        .size:           2
        .value_kind:     hidden_group_size_y
      - .offset:         3392
        .size:           2
        .value_kind:     hidden_group_size_z
      - .offset:         3394
        .size:           2
        .value_kind:     hidden_remainder_x
      - .offset:         3396
        .size:           2
        .value_kind:     hidden_remainder_y
      - .offset:         3398
        .size:           2
        .value_kind:     hidden_remainder_z
      - .offset:         3416
        .size:           8
        .value_kind:     hidden_global_offset_x
      - .offset:         3424
        .size:           8
        .value_kind:     hidden_global_offset_y
      - .offset:         3432
        .size:           8
        .value_kind:     hidden_global_offset_z
      - .offset:         3440
        .size:           2
        .value_kind:     hidden_grid_dims
    .group_segment_fixed_size: 0
    .kernarg_segment_align: 8
    .kernarg_segment_size: 3632
    .language:       OpenCL C
    .language_version:
      - 2
      - 0
    .max_flat_workgroup_size: 512
    .name:           _ZN2at6native12_GLOBAL__N_125multi_tensor_apply_kernelINS1_18TensorListMetadataILi1EEENS1_14UnaryOpFunctorIN3c107complexIdEELi1ELi1ELi0EEEJNS0_4TanhIS8_EEEEEvT_T0_DpT1_
    .private_segment_fixed_size: 0
    .sgpr_count:     41
    .sgpr_spill_count: 0
    .symbol:         _ZN2at6native12_GLOBAL__N_125multi_tensor_apply_kernelINS1_18TensorListMetadataILi1EEENS1_14UnaryOpFunctorIN3c107complexIdEELi1ELi1ELi0EEEJNS0_4TanhIS8_EEEEEvT_T0_DpT1_.kd
    .uniform_work_group_size: 1
    .uses_dynamic_stack: false
    .vgpr_count:     94
    .vgpr_spill_count: 0
    .wavefront_size: 32
  - .args:
      - .offset:         0
        .size:           3368
        .value_kind:     by_value
      - .offset:         3368
        .size:           1
        .value_kind:     by_value
      - .offset:         3369
        .size:           1
        .value_kind:     by_value
      - .offset:         3376
        .size:           4
        .value_kind:     hidden_block_count_x
      - .offset:         3380
        .size:           4
        .value_kind:     hidden_block_count_y
      - .offset:         3384
        .size:           4
        .value_kind:     hidden_block_count_z
      - .offset:         3388
        .size:           2
        .value_kind:     hidden_group_size_x
      - .offset:         3390
        .size:           2
        .value_kind:     hidden_group_size_y
      - .offset:         3392
        .size:           2
        .value_kind:     hidden_group_size_z
      - .offset:         3394
        .size:           2
        .value_kind:     hidden_remainder_x
      - .offset:         3396
        .size:           2
        .value_kind:     hidden_remainder_y
      - .offset:         3398
        .size:           2
        .value_kind:     hidden_remainder_z
      - .offset:         3416
        .size:           8
        .value_kind:     hidden_global_offset_x
      - .offset:         3424
        .size:           8
        .value_kind:     hidden_global_offset_y
      - .offset:         3432
        .size:           8
        .value_kind:     hidden_global_offset_z
      - .offset:         3440
        .size:           2
        .value_kind:     hidden_grid_dims
    .group_segment_fixed_size: 0
    .kernarg_segment_align: 8
    .kernarg_segment_size: 3632
    .language:       OpenCL C
    .language_version:
      - 2
      - 0
    .max_flat_workgroup_size: 512
    .name:           _ZN2at6native12_GLOBAL__N_125multi_tensor_apply_kernelINS1_18TensorListMetadataILi1EEENS1_14UnaryOpFunctorIN3c107complexIfEELi1ELi1ELi0EEEJNS0_4TanhIS8_EEEEEvT_T0_DpT1_
    .private_segment_fixed_size: 0
    .sgpr_count:     41
    .sgpr_spill_count: 0
    .symbol:         _ZN2at6native12_GLOBAL__N_125multi_tensor_apply_kernelINS1_18TensorListMetadataILi1EEENS1_14UnaryOpFunctorIN3c107complexIfEELi1ELi1ELi0EEEJNS0_4TanhIS8_EEEEEvT_T0_DpT1_.kd
    .uniform_work_group_size: 1
    .uses_dynamic_stack: false
    .vgpr_count:     50
    .vgpr_spill_count: 0
    .wavefront_size: 32
  - .args:
      - .offset:         0
        .size:           3368
        .value_kind:     by_value
      - .offset:         3368
        .size:           1
        .value_kind:     by_value
      - .offset:         3369
        .size:           1
        .value_kind:     by_value
      - .offset:         3376
        .size:           4
        .value_kind:     hidden_block_count_x
      - .offset:         3380
        .size:           4
        .value_kind:     hidden_block_count_y
      - .offset:         3384
        .size:           4
        .value_kind:     hidden_block_count_z
      - .offset:         3388
        .size:           2
        .value_kind:     hidden_group_size_x
      - .offset:         3390
        .size:           2
        .value_kind:     hidden_group_size_y
      - .offset:         3392
        .size:           2
        .value_kind:     hidden_group_size_z
      - .offset:         3394
        .size:           2
        .value_kind:     hidden_remainder_x
      - .offset:         3396
        .size:           2
        .value_kind:     hidden_remainder_y
      - .offset:         3398
        .size:           2
        .value_kind:     hidden_remainder_z
      - .offset:         3416
        .size:           8
        .value_kind:     hidden_global_offset_x
      - .offset:         3424
        .size:           8
        .value_kind:     hidden_global_offset_y
      - .offset:         3432
        .size:           8
        .value_kind:     hidden_global_offset_z
      - .offset:         3440
        .size:           2
        .value_kind:     hidden_grid_dims
    .group_segment_fixed_size: 0
    .kernarg_segment_align: 8
    .kernarg_segment_size: 3632
    .language:       OpenCL C
    .language_version:
      - 2
      - 0
    .max_flat_workgroup_size: 512
    .name:           _ZN2at6native12_GLOBAL__N_125multi_tensor_apply_kernelINS1_18TensorListMetadataILi1EEENS1_14UnaryOpFunctorIN3c104HalfELi1ELi1ELi0EEEJNS0_4TanhIfEEEEEvT_T0_DpT1_
    .private_segment_fixed_size: 0
    .sgpr_count:     24
    .sgpr_spill_count: 0
    .symbol:         _ZN2at6native12_GLOBAL__N_125multi_tensor_apply_kernelINS1_18TensorListMetadataILi1EEENS1_14UnaryOpFunctorIN3c104HalfELi1ELi1ELi0EEEJNS0_4TanhIfEEEEEvT_T0_DpT1_.kd
    .uniform_work_group_size: 1
    .uses_dynamic_stack: false
    .vgpr_count:     31
    .vgpr_spill_count: 0
    .wavefront_size: 32
  - .args:
      - .offset:         0
        .size:           3368
        .value_kind:     by_value
      - .offset:         3368
        .size:           1
        .value_kind:     by_value
      - .offset:         3369
        .size:           1
        .value_kind:     by_value
      - .offset:         3376
        .size:           4
        .value_kind:     hidden_block_count_x
      - .offset:         3380
        .size:           4
        .value_kind:     hidden_block_count_y
      - .offset:         3384
        .size:           4
        .value_kind:     hidden_block_count_z
      - .offset:         3388
        .size:           2
        .value_kind:     hidden_group_size_x
      - .offset:         3390
        .size:           2
        .value_kind:     hidden_group_size_y
      - .offset:         3392
        .size:           2
        .value_kind:     hidden_group_size_z
      - .offset:         3394
        .size:           2
        .value_kind:     hidden_remainder_x
      - .offset:         3396
        .size:           2
        .value_kind:     hidden_remainder_y
      - .offset:         3398
        .size:           2
        .value_kind:     hidden_remainder_z
      - .offset:         3416
        .size:           8
        .value_kind:     hidden_global_offset_x
      - .offset:         3424
        .size:           8
        .value_kind:     hidden_global_offset_y
      - .offset:         3432
        .size:           8
        .value_kind:     hidden_global_offset_z
      - .offset:         3440
        .size:           2
        .value_kind:     hidden_grid_dims
    .group_segment_fixed_size: 0
    .kernarg_segment_align: 8
    .kernarg_segment_size: 3632
    .language:       OpenCL C
    .language_version:
      - 2
      - 0
    .max_flat_workgroup_size: 512
    .name:           _ZN2at6native12_GLOBAL__N_125multi_tensor_apply_kernelINS1_18TensorListMetadataILi1EEENS1_14UnaryOpFunctorIN3c108BFloat16ELi1ELi1ELi0EEEJNS0_4TanhIfEEEEEvT_T0_DpT1_
    .private_segment_fixed_size: 0
    .sgpr_count:     24
    .sgpr_spill_count: 0
    .symbol:         _ZN2at6native12_GLOBAL__N_125multi_tensor_apply_kernelINS1_18TensorListMetadataILi1EEENS1_14UnaryOpFunctorIN3c108BFloat16ELi1ELi1ELi0EEEJNS0_4TanhIfEEEEEvT_T0_DpT1_.kd
    .uniform_work_group_size: 1
    .uses_dynamic_stack: false
    .vgpr_count:     31
    .vgpr_spill_count: 0
    .wavefront_size: 32
  - .args:
      - .offset:         0
        .size:           3144
        .value_kind:     by_value
      - .offset:         3144
        .size:           1
        .value_kind:     by_value
      - .offset:         3145
        .size:           1
        .value_kind:     by_value
      - .offset:         3152
        .size:           4
        .value_kind:     hidden_block_count_x
      - .offset:         3156
        .size:           4
        .value_kind:     hidden_block_count_y
      - .offset:         3160
        .size:           4
        .value_kind:     hidden_block_count_z
      - .offset:         3164
        .size:           2
        .value_kind:     hidden_group_size_x
      - .offset:         3166
        .size:           2
        .value_kind:     hidden_group_size_y
      - .offset:         3168
        .size:           2
        .value_kind:     hidden_group_size_z
      - .offset:         3170
        .size:           2
        .value_kind:     hidden_remainder_x
      - .offset:         3172
        .size:           2
        .value_kind:     hidden_remainder_y
      - .offset:         3174
        .size:           2
        .value_kind:     hidden_remainder_z
      - .offset:         3192
        .size:           8
        .value_kind:     hidden_global_offset_x
      - .offset:         3200
        .size:           8
        .value_kind:     hidden_global_offset_y
      - .offset:         3208
        .size:           8
        .value_kind:     hidden_global_offset_z
      - .offset:         3216
        .size:           2
        .value_kind:     hidden_grid_dims
    .group_segment_fixed_size: 0
    .kernarg_segment_align: 8
    .kernarg_segment_size: 3408
    .language:       OpenCL C
    .language_version:
      - 2
      - 0
    .max_flat_workgroup_size: 512
    .name:           _ZN2at6native12_GLOBAL__N_125multi_tensor_apply_kernelINS1_18TensorListMetadataILi2EEENS1_14UnaryOpFunctorIdLi2ELi1ELi1EEEJNS0_3LogIdEEEEEvT_T0_DpT1_
    .private_segment_fixed_size: 0
    .sgpr_count:     22
    .sgpr_spill_count: 0
    .symbol:         _ZN2at6native12_GLOBAL__N_125multi_tensor_apply_kernelINS1_18TensorListMetadataILi2EEENS1_14UnaryOpFunctorIdLi2ELi1ELi1EEEJNS0_3LogIdEEEEEvT_T0_DpT1_.kd
    .uniform_work_group_size: 1
    .uses_dynamic_stack: false
    .vgpr_count:     56
    .vgpr_spill_count: 0
    .wavefront_size: 32
  - .args:
      - .offset:         0
        .size:           3144
        .value_kind:     by_value
      - .offset:         3144
        .size:           1
        .value_kind:     by_value
      - .offset:         3145
        .size:           1
        .value_kind:     by_value
      - .offset:         3152
        .size:           4
        .value_kind:     hidden_block_count_x
      - .offset:         3156
        .size:           4
        .value_kind:     hidden_block_count_y
      - .offset:         3160
        .size:           4
        .value_kind:     hidden_block_count_z
      - .offset:         3164
        .size:           2
        .value_kind:     hidden_group_size_x
      - .offset:         3166
        .size:           2
        .value_kind:     hidden_group_size_y
      - .offset:         3168
        .size:           2
        .value_kind:     hidden_group_size_z
      - .offset:         3170
        .size:           2
        .value_kind:     hidden_remainder_x
      - .offset:         3172
        .size:           2
        .value_kind:     hidden_remainder_y
      - .offset:         3174
        .size:           2
        .value_kind:     hidden_remainder_z
      - .offset:         3192
        .size:           8
        .value_kind:     hidden_global_offset_x
      - .offset:         3200
        .size:           8
        .value_kind:     hidden_global_offset_y
      - .offset:         3208
        .size:           8
        .value_kind:     hidden_global_offset_z
      - .offset:         3216
        .size:           2
        .value_kind:     hidden_grid_dims
    .group_segment_fixed_size: 0
    .kernarg_segment_align: 8
    .kernarg_segment_size: 3408
    .language:       OpenCL C
    .language_version:
      - 2
      - 0
    .max_flat_workgroup_size: 512
    .name:           _ZN2at6native12_GLOBAL__N_125multi_tensor_apply_kernelINS1_18TensorListMetadataILi2EEENS1_14UnaryOpFunctorIfLi2ELi1ELi1EEEJNS0_3LogIfEEEEEvT_T0_DpT1_
    .private_segment_fixed_size: 0
    .sgpr_count:     22
    .sgpr_spill_count: 0
    .symbol:         _ZN2at6native12_GLOBAL__N_125multi_tensor_apply_kernelINS1_18TensorListMetadataILi2EEENS1_14UnaryOpFunctorIfLi2ELi1ELi1EEEJNS0_3LogIfEEEEEvT_T0_DpT1_.kd
    .uniform_work_group_size: 1
    .uses_dynamic_stack: false
    .vgpr_count:     35
    .vgpr_spill_count: 0
    .wavefront_size: 32
  - .args:
      - .offset:         0
        .size:           3144
        .value_kind:     by_value
      - .offset:         3144
        .size:           1
        .value_kind:     by_value
      - .offset:         3145
        .size:           1
        .value_kind:     by_value
      - .offset:         3152
        .size:           4
        .value_kind:     hidden_block_count_x
      - .offset:         3156
        .size:           4
        .value_kind:     hidden_block_count_y
      - .offset:         3160
        .size:           4
        .value_kind:     hidden_block_count_z
      - .offset:         3164
        .size:           2
        .value_kind:     hidden_group_size_x
      - .offset:         3166
        .size:           2
        .value_kind:     hidden_group_size_y
      - .offset:         3168
        .size:           2
        .value_kind:     hidden_group_size_z
      - .offset:         3170
        .size:           2
        .value_kind:     hidden_remainder_x
      - .offset:         3172
        .size:           2
        .value_kind:     hidden_remainder_y
      - .offset:         3174
        .size:           2
        .value_kind:     hidden_remainder_z
      - .offset:         3192
        .size:           8
        .value_kind:     hidden_global_offset_x
      - .offset:         3200
        .size:           8
        .value_kind:     hidden_global_offset_y
      - .offset:         3208
        .size:           8
        .value_kind:     hidden_global_offset_z
      - .offset:         3216
        .size:           2
        .value_kind:     hidden_grid_dims
    .group_segment_fixed_size: 0
    .kernarg_segment_align: 8
    .kernarg_segment_size: 3408
    .language:       OpenCL C
    .language_version:
      - 2
      - 0
    .max_flat_workgroup_size: 512
    .name:           _ZN2at6native12_GLOBAL__N_125multi_tensor_apply_kernelINS1_18TensorListMetadataILi2EEENS1_14UnaryOpFunctorIN3c107complexIdEELi2ELi1ELi1EEEJNS0_3LogIS8_EEEEEvT_T0_DpT1_
    .private_segment_fixed_size: 0
    .sgpr_count:     59
    .sgpr_spill_count: 0
    .symbol:         _ZN2at6native12_GLOBAL__N_125multi_tensor_apply_kernelINS1_18TensorListMetadataILi2EEENS1_14UnaryOpFunctorIN3c107complexIdEELi2ELi1ELi1EEEJNS0_3LogIS8_EEEEEvT_T0_DpT1_.kd
    .uniform_work_group_size: 1
    .uses_dynamic_stack: false
    .vgpr_count:     88
    .vgpr_spill_count: 0
    .wavefront_size: 32
  - .args:
      - .offset:         0
        .size:           3144
        .value_kind:     by_value
      - .offset:         3144
        .size:           1
        .value_kind:     by_value
      - .offset:         3145
        .size:           1
        .value_kind:     by_value
      - .offset:         3152
        .size:           4
        .value_kind:     hidden_block_count_x
      - .offset:         3156
        .size:           4
        .value_kind:     hidden_block_count_y
      - .offset:         3160
        .size:           4
        .value_kind:     hidden_block_count_z
      - .offset:         3164
        .size:           2
        .value_kind:     hidden_group_size_x
      - .offset:         3166
        .size:           2
        .value_kind:     hidden_group_size_y
      - .offset:         3168
        .size:           2
        .value_kind:     hidden_group_size_z
      - .offset:         3170
        .size:           2
        .value_kind:     hidden_remainder_x
      - .offset:         3172
        .size:           2
        .value_kind:     hidden_remainder_y
      - .offset:         3174
        .size:           2
        .value_kind:     hidden_remainder_z
      - .offset:         3192
        .size:           8
        .value_kind:     hidden_global_offset_x
      - .offset:         3200
        .size:           8
        .value_kind:     hidden_global_offset_y
      - .offset:         3208
        .size:           8
        .value_kind:     hidden_global_offset_z
      - .offset:         3216
        .size:           2
        .value_kind:     hidden_grid_dims
    .group_segment_fixed_size: 0
    .kernarg_segment_align: 8
    .kernarg_segment_size: 3408
    .language:       OpenCL C
    .language_version:
      - 2
      - 0
    .max_flat_workgroup_size: 512
    .name:           _ZN2at6native12_GLOBAL__N_125multi_tensor_apply_kernelINS1_18TensorListMetadataILi2EEENS1_14UnaryOpFunctorIN3c107complexIfEELi2ELi1ELi1EEEJNS0_3LogIS8_EEEEEvT_T0_DpT1_
    .private_segment_fixed_size: 0
    .sgpr_count:     39
    .sgpr_spill_count: 0
    .symbol:         _ZN2at6native12_GLOBAL__N_125multi_tensor_apply_kernelINS1_18TensorListMetadataILi2EEENS1_14UnaryOpFunctorIN3c107complexIfEELi2ELi1ELi1EEEJNS0_3LogIS8_EEEEEvT_T0_DpT1_.kd
    .uniform_work_group_size: 1
    .uses_dynamic_stack: false
    .vgpr_count:     51
    .vgpr_spill_count: 0
    .wavefront_size: 32
  - .args:
      - .offset:         0
        .size:           3144
        .value_kind:     by_value
      - .offset:         3144
        .size:           1
        .value_kind:     by_value
      - .offset:         3145
        .size:           1
        .value_kind:     by_value
      - .offset:         3152
        .size:           4
        .value_kind:     hidden_block_count_x
      - .offset:         3156
        .size:           4
        .value_kind:     hidden_block_count_y
      - .offset:         3160
        .size:           4
        .value_kind:     hidden_block_count_z
      - .offset:         3164
        .size:           2
        .value_kind:     hidden_group_size_x
      - .offset:         3166
        .size:           2
        .value_kind:     hidden_group_size_y
      - .offset:         3168
        .size:           2
        .value_kind:     hidden_group_size_z
      - .offset:         3170
        .size:           2
        .value_kind:     hidden_remainder_x
      - .offset:         3172
        .size:           2
        .value_kind:     hidden_remainder_y
      - .offset:         3174
        .size:           2
        .value_kind:     hidden_remainder_z
      - .offset:         3192
        .size:           8
        .value_kind:     hidden_global_offset_x
      - .offset:         3200
        .size:           8
        .value_kind:     hidden_global_offset_y
      - .offset:         3208
        .size:           8
        .value_kind:     hidden_global_offset_z
      - .offset:         3216
        .size:           2
        .value_kind:     hidden_grid_dims
    .group_segment_fixed_size: 0
    .kernarg_segment_align: 8
    .kernarg_segment_size: 3408
    .language:       OpenCL C
    .language_version:
      - 2
      - 0
    .max_flat_workgroup_size: 512
    .name:           _ZN2at6native12_GLOBAL__N_125multi_tensor_apply_kernelINS1_18TensorListMetadataILi2EEENS1_14UnaryOpFunctorIN3c104HalfELi2ELi1ELi1EEEJNS0_3LogIfEEEEEvT_T0_DpT1_
    .private_segment_fixed_size: 0
    .sgpr_count:     22
    .sgpr_spill_count: 0
    .symbol:         _ZN2at6native12_GLOBAL__N_125multi_tensor_apply_kernelINS1_18TensorListMetadataILi2EEENS1_14UnaryOpFunctorIN3c104HalfELi2ELi1ELi1EEEJNS0_3LogIfEEEEEvT_T0_DpT1_.kd
    .uniform_work_group_size: 1
    .uses_dynamic_stack: false
    .vgpr_count:     34
    .vgpr_spill_count: 0
    .wavefront_size: 32
  - .args:
      - .offset:         0
        .size:           3144
        .value_kind:     by_value
      - .offset:         3144
        .size:           1
        .value_kind:     by_value
      - .offset:         3145
        .size:           1
        .value_kind:     by_value
      - .offset:         3152
        .size:           4
        .value_kind:     hidden_block_count_x
      - .offset:         3156
        .size:           4
        .value_kind:     hidden_block_count_y
      - .offset:         3160
        .size:           4
        .value_kind:     hidden_block_count_z
      - .offset:         3164
        .size:           2
        .value_kind:     hidden_group_size_x
      - .offset:         3166
        .size:           2
        .value_kind:     hidden_group_size_y
      - .offset:         3168
        .size:           2
        .value_kind:     hidden_group_size_z
      - .offset:         3170
        .size:           2
        .value_kind:     hidden_remainder_x
      - .offset:         3172
        .size:           2
        .value_kind:     hidden_remainder_y
      - .offset:         3174
        .size:           2
        .value_kind:     hidden_remainder_z
      - .offset:         3192
        .size:           8
        .value_kind:     hidden_global_offset_x
      - .offset:         3200
        .size:           8
        .value_kind:     hidden_global_offset_y
      - .offset:         3208
        .size:           8
        .value_kind:     hidden_global_offset_z
      - .offset:         3216
        .size:           2
        .value_kind:     hidden_grid_dims
    .group_segment_fixed_size: 0
    .kernarg_segment_align: 8
    .kernarg_segment_size: 3408
    .language:       OpenCL C
    .language_version:
      - 2
      - 0
    .max_flat_workgroup_size: 512
    .name:           _ZN2at6native12_GLOBAL__N_125multi_tensor_apply_kernelINS1_18TensorListMetadataILi2EEENS1_14UnaryOpFunctorIN3c108BFloat16ELi2ELi1ELi1EEEJNS0_3LogIfEEEEEvT_T0_DpT1_
    .private_segment_fixed_size: 0
    .sgpr_count:     22
    .sgpr_spill_count: 0
    .symbol:         _ZN2at6native12_GLOBAL__N_125multi_tensor_apply_kernelINS1_18TensorListMetadataILi2EEENS1_14UnaryOpFunctorIN3c108BFloat16ELi2ELi1ELi1EEEJNS0_3LogIfEEEEEvT_T0_DpT1_.kd
    .uniform_work_group_size: 1
    .uses_dynamic_stack: false
    .vgpr_count:     35
    .vgpr_spill_count: 0
    .wavefront_size: 32
  - .args:
      - .offset:         0
        .size:           3368
        .value_kind:     by_value
      - .offset:         3368
        .size:           1
        .value_kind:     by_value
      - .offset:         3369
        .size:           1
        .value_kind:     by_value
      - .offset:         3376
        .size:           4
        .value_kind:     hidden_block_count_x
      - .offset:         3380
        .size:           4
        .value_kind:     hidden_block_count_y
      - .offset:         3384
        .size:           4
        .value_kind:     hidden_block_count_z
      - .offset:         3388
        .size:           2
        .value_kind:     hidden_group_size_x
      - .offset:         3390
        .size:           2
        .value_kind:     hidden_group_size_y
      - .offset:         3392
        .size:           2
        .value_kind:     hidden_group_size_z
      - .offset:         3394
        .size:           2
        .value_kind:     hidden_remainder_x
      - .offset:         3396
        .size:           2
        .value_kind:     hidden_remainder_y
      - .offset:         3398
        .size:           2
        .value_kind:     hidden_remainder_z
      - .offset:         3416
        .size:           8
        .value_kind:     hidden_global_offset_x
      - .offset:         3424
        .size:           8
        .value_kind:     hidden_global_offset_y
      - .offset:         3432
        .size:           8
        .value_kind:     hidden_global_offset_z
      - .offset:         3440
        .size:           2
        .value_kind:     hidden_grid_dims
    .group_segment_fixed_size: 0
    .kernarg_segment_align: 8
    .kernarg_segment_size: 3632
    .language:       OpenCL C
    .language_version:
      - 2
      - 0
    .max_flat_workgroup_size: 512
    .name:           _ZN2at6native12_GLOBAL__N_125multi_tensor_apply_kernelINS1_18TensorListMetadataILi1EEENS1_14UnaryOpFunctorIdLi1ELi1ELi0EEEJNS0_3LogIdEEEEEvT_T0_DpT1_
    .private_segment_fixed_size: 0
    .sgpr_count:     28
    .sgpr_spill_count: 0
    .symbol:         _ZN2at6native12_GLOBAL__N_125multi_tensor_apply_kernelINS1_18TensorListMetadataILi1EEENS1_14UnaryOpFunctorIdLi1ELi1ELi0EEEJNS0_3LogIdEEEEEvT_T0_DpT1_.kd
    .uniform_work_group_size: 1
    .uses_dynamic_stack: false
    .vgpr_count:     60
    .vgpr_spill_count: 0
    .wavefront_size: 32
  - .args:
      - .offset:         0
        .size:           3368
        .value_kind:     by_value
      - .offset:         3368
        .size:           1
        .value_kind:     by_value
      - .offset:         3369
        .size:           1
        .value_kind:     by_value
      - .offset:         3376
        .size:           4
        .value_kind:     hidden_block_count_x
      - .offset:         3380
        .size:           4
        .value_kind:     hidden_block_count_y
      - .offset:         3384
        .size:           4
        .value_kind:     hidden_block_count_z
      - .offset:         3388
        .size:           2
        .value_kind:     hidden_group_size_x
      - .offset:         3390
        .size:           2
        .value_kind:     hidden_group_size_y
      - .offset:         3392
        .size:           2
        .value_kind:     hidden_group_size_z
      - .offset:         3394
        .size:           2
        .value_kind:     hidden_remainder_x
      - .offset:         3396
        .size:           2
        .value_kind:     hidden_remainder_y
      - .offset:         3398
        .size:           2
        .value_kind:     hidden_remainder_z
      - .offset:         3416
        .size:           8
        .value_kind:     hidden_global_offset_x
      - .offset:         3424
        .size:           8
        .value_kind:     hidden_global_offset_y
      - .offset:         3432
        .size:           8
        .value_kind:     hidden_global_offset_z
      - .offset:         3440
        .size:           2
        .value_kind:     hidden_grid_dims
    .group_segment_fixed_size: 0
    .kernarg_segment_align: 8
    .kernarg_segment_size: 3632
    .language:       OpenCL C
    .language_version:
      - 2
      - 0
    .max_flat_workgroup_size: 512
    .name:           _ZN2at6native12_GLOBAL__N_125multi_tensor_apply_kernelINS1_18TensorListMetadataILi1EEENS1_14UnaryOpFunctorIfLi1ELi1ELi0EEEJNS0_3LogIfEEEEEvT_T0_DpT1_
    .private_segment_fixed_size: 0
    .sgpr_count:     25
    .sgpr_spill_count: 0
    .symbol:         _ZN2at6native12_GLOBAL__N_125multi_tensor_apply_kernelINS1_18TensorListMetadataILi1EEENS1_14UnaryOpFunctorIfLi1ELi1ELi0EEEJNS0_3LogIfEEEEEvT_T0_DpT1_.kd
    .uniform_work_group_size: 1
    .uses_dynamic_stack: false
    .vgpr_count:     36
    .vgpr_spill_count: 0
    .wavefront_size: 32
  - .args:
      - .offset:         0
        .size:           3368
        .value_kind:     by_value
      - .offset:         3368
        .size:           1
        .value_kind:     by_value
      - .offset:         3369
        .size:           1
        .value_kind:     by_value
      - .offset:         3376
        .size:           4
        .value_kind:     hidden_block_count_x
      - .offset:         3380
        .size:           4
        .value_kind:     hidden_block_count_y
      - .offset:         3384
        .size:           4
        .value_kind:     hidden_block_count_z
      - .offset:         3388
        .size:           2
        .value_kind:     hidden_group_size_x
      - .offset:         3390
        .size:           2
        .value_kind:     hidden_group_size_y
      - .offset:         3392
        .size:           2
        .value_kind:     hidden_group_size_z
      - .offset:         3394
        .size:           2
        .value_kind:     hidden_remainder_x
      - .offset:         3396
        .size:           2
        .value_kind:     hidden_remainder_y
      - .offset:         3398
        .size:           2
        .value_kind:     hidden_remainder_z
      - .offset:         3416
        .size:           8
        .value_kind:     hidden_global_offset_x
      - .offset:         3424
        .size:           8
        .value_kind:     hidden_global_offset_y
      - .offset:         3432
        .size:           8
        .value_kind:     hidden_global_offset_z
      - .offset:         3440
        .size:           2
        .value_kind:     hidden_grid_dims
    .group_segment_fixed_size: 0
    .kernarg_segment_align: 8
    .kernarg_segment_size: 3632
    .language:       OpenCL C
    .language_version:
      - 2
      - 0
    .max_flat_workgroup_size: 512
    .name:           _ZN2at6native12_GLOBAL__N_125multi_tensor_apply_kernelINS1_18TensorListMetadataILi1EEENS1_14UnaryOpFunctorIN3c107complexIdEELi1ELi1ELi0EEEJNS0_3LogIS8_EEEEEvT_T0_DpT1_
    .private_segment_fixed_size: 0
    .sgpr_count:     61
    .sgpr_spill_count: 0
    .symbol:         _ZN2at6native12_GLOBAL__N_125multi_tensor_apply_kernelINS1_18TensorListMetadataILi1EEENS1_14UnaryOpFunctorIN3c107complexIdEELi1ELi1ELi0EEEJNS0_3LogIS8_EEEEEvT_T0_DpT1_.kd
    .uniform_work_group_size: 1
    .uses_dynamic_stack: false
    .vgpr_count:     88
    .vgpr_spill_count: 0
    .wavefront_size: 32
  - .args:
      - .offset:         0
        .size:           3368
        .value_kind:     by_value
      - .offset:         3368
        .size:           1
        .value_kind:     by_value
      - .offset:         3369
        .size:           1
        .value_kind:     by_value
      - .offset:         3376
        .size:           4
        .value_kind:     hidden_block_count_x
      - .offset:         3380
        .size:           4
        .value_kind:     hidden_block_count_y
      - .offset:         3384
        .size:           4
        .value_kind:     hidden_block_count_z
      - .offset:         3388
        .size:           2
        .value_kind:     hidden_group_size_x
      - .offset:         3390
        .size:           2
        .value_kind:     hidden_group_size_y
      - .offset:         3392
        .size:           2
        .value_kind:     hidden_group_size_z
      - .offset:         3394
        .size:           2
        .value_kind:     hidden_remainder_x
      - .offset:         3396
        .size:           2
        .value_kind:     hidden_remainder_y
      - .offset:         3398
        .size:           2
        .value_kind:     hidden_remainder_z
      - .offset:         3416
        .size:           8
        .value_kind:     hidden_global_offset_x
      - .offset:         3424
        .size:           8
        .value_kind:     hidden_global_offset_y
      - .offset:         3432
        .size:           8
        .value_kind:     hidden_global_offset_z
      - .offset:         3440
        .size:           2
        .value_kind:     hidden_grid_dims
    .group_segment_fixed_size: 0
    .kernarg_segment_align: 8
    .kernarg_segment_size: 3632
    .language:       OpenCL C
    .language_version:
      - 2
      - 0
    .max_flat_workgroup_size: 512
    .name:           _ZN2at6native12_GLOBAL__N_125multi_tensor_apply_kernelINS1_18TensorListMetadataILi1EEENS1_14UnaryOpFunctorIN3c107complexIfEELi1ELi1ELi0EEEJNS0_3LogIS8_EEEEEvT_T0_DpT1_
    .private_segment_fixed_size: 0
    .sgpr_count:     41
    .sgpr_spill_count: 0
    .symbol:         _ZN2at6native12_GLOBAL__N_125multi_tensor_apply_kernelINS1_18TensorListMetadataILi1EEENS1_14UnaryOpFunctorIN3c107complexIfEELi1ELi1ELi0EEEJNS0_3LogIS8_EEEEEvT_T0_DpT1_.kd
    .uniform_work_group_size: 1
    .uses_dynamic_stack: false
    .vgpr_count:     51
    .vgpr_spill_count: 0
    .wavefront_size: 32
  - .args:
      - .offset:         0
        .size:           3368
        .value_kind:     by_value
      - .offset:         3368
        .size:           1
        .value_kind:     by_value
      - .offset:         3369
        .size:           1
        .value_kind:     by_value
      - .offset:         3376
        .size:           4
        .value_kind:     hidden_block_count_x
      - .offset:         3380
        .size:           4
        .value_kind:     hidden_block_count_y
      - .offset:         3384
        .size:           4
        .value_kind:     hidden_block_count_z
      - .offset:         3388
        .size:           2
        .value_kind:     hidden_group_size_x
      - .offset:         3390
        .size:           2
        .value_kind:     hidden_group_size_y
      - .offset:         3392
        .size:           2
        .value_kind:     hidden_group_size_z
      - .offset:         3394
        .size:           2
        .value_kind:     hidden_remainder_x
      - .offset:         3396
        .size:           2
        .value_kind:     hidden_remainder_y
      - .offset:         3398
        .size:           2
        .value_kind:     hidden_remainder_z
      - .offset:         3416
        .size:           8
        .value_kind:     hidden_global_offset_x
      - .offset:         3424
        .size:           8
        .value_kind:     hidden_global_offset_y
      - .offset:         3432
        .size:           8
        .value_kind:     hidden_global_offset_z
      - .offset:         3440
        .size:           2
        .value_kind:     hidden_grid_dims
    .group_segment_fixed_size: 0
    .kernarg_segment_align: 8
    .kernarg_segment_size: 3632
    .language:       OpenCL C
    .language_version:
      - 2
      - 0
    .max_flat_workgroup_size: 512
    .name:           _ZN2at6native12_GLOBAL__N_125multi_tensor_apply_kernelINS1_18TensorListMetadataILi1EEENS1_14UnaryOpFunctorIN3c104HalfELi1ELi1ELi0EEEJNS0_3LogIfEEEEEvT_T0_DpT1_
    .private_segment_fixed_size: 0
    .sgpr_count:     23
    .sgpr_spill_count: 0
    .symbol:         _ZN2at6native12_GLOBAL__N_125multi_tensor_apply_kernelINS1_18TensorListMetadataILi1EEENS1_14UnaryOpFunctorIN3c104HalfELi1ELi1ELi0EEEJNS0_3LogIfEEEEEvT_T0_DpT1_.kd
    .uniform_work_group_size: 1
    .uses_dynamic_stack: false
    .vgpr_count:     25
    .vgpr_spill_count: 0
    .wavefront_size: 32
  - .args:
      - .offset:         0
        .size:           3368
        .value_kind:     by_value
      - .offset:         3368
        .size:           1
        .value_kind:     by_value
      - .offset:         3369
        .size:           1
        .value_kind:     by_value
      - .offset:         3376
        .size:           4
        .value_kind:     hidden_block_count_x
      - .offset:         3380
        .size:           4
        .value_kind:     hidden_block_count_y
      - .offset:         3384
        .size:           4
        .value_kind:     hidden_block_count_z
      - .offset:         3388
        .size:           2
        .value_kind:     hidden_group_size_x
      - .offset:         3390
        .size:           2
        .value_kind:     hidden_group_size_y
      - .offset:         3392
        .size:           2
        .value_kind:     hidden_group_size_z
      - .offset:         3394
        .size:           2
        .value_kind:     hidden_remainder_x
      - .offset:         3396
        .size:           2
        .value_kind:     hidden_remainder_y
      - .offset:         3398
        .size:           2
        .value_kind:     hidden_remainder_z
      - .offset:         3416
        .size:           8
        .value_kind:     hidden_global_offset_x
      - .offset:         3424
        .size:           8
        .value_kind:     hidden_global_offset_y
      - .offset:         3432
        .size:           8
        .value_kind:     hidden_global_offset_z
      - .offset:         3440
        .size:           2
        .value_kind:     hidden_grid_dims
    .group_segment_fixed_size: 0
    .kernarg_segment_align: 8
    .kernarg_segment_size: 3632
    .language:       OpenCL C
    .language_version:
      - 2
      - 0
    .max_flat_workgroup_size: 512
    .name:           _ZN2at6native12_GLOBAL__N_125multi_tensor_apply_kernelINS1_18TensorListMetadataILi1EEENS1_14UnaryOpFunctorIN3c108BFloat16ELi1ELi1ELi0EEEJNS0_3LogIfEEEEEvT_T0_DpT1_
    .private_segment_fixed_size: 0
    .sgpr_count:     23
    .sgpr_spill_count: 0
    .symbol:         _ZN2at6native12_GLOBAL__N_125multi_tensor_apply_kernelINS1_18TensorListMetadataILi1EEENS1_14UnaryOpFunctorIN3c108BFloat16ELi1ELi1ELi0EEEJNS0_3LogIfEEEEEvT_T0_DpT1_.kd
    .uniform_work_group_size: 1
    .uses_dynamic_stack: false
    .vgpr_count:     25
    .vgpr_spill_count: 0
    .wavefront_size: 32
  - .args:
      - .offset:         0
        .size:           3144
        .value_kind:     by_value
      - .offset:         3144
        .size:           1
        .value_kind:     by_value
      - .offset:         3145
        .size:           1
        .value_kind:     by_value
      - .offset:         3152
        .size:           4
        .value_kind:     hidden_block_count_x
      - .offset:         3156
        .size:           4
        .value_kind:     hidden_block_count_y
      - .offset:         3160
        .size:           4
        .value_kind:     hidden_block_count_z
      - .offset:         3164
        .size:           2
        .value_kind:     hidden_group_size_x
      - .offset:         3166
        .size:           2
        .value_kind:     hidden_group_size_y
      - .offset:         3168
        .size:           2
        .value_kind:     hidden_group_size_z
      - .offset:         3170
        .size:           2
        .value_kind:     hidden_remainder_x
      - .offset:         3172
        .size:           2
        .value_kind:     hidden_remainder_y
      - .offset:         3174
        .size:           2
        .value_kind:     hidden_remainder_z
      - .offset:         3192
        .size:           8
        .value_kind:     hidden_global_offset_x
      - .offset:         3200
        .size:           8
        .value_kind:     hidden_global_offset_y
      - .offset:         3208
        .size:           8
        .value_kind:     hidden_global_offset_z
      - .offset:         3216
        .size:           2
        .value_kind:     hidden_grid_dims
    .group_segment_fixed_size: 0
    .kernarg_segment_align: 8
    .kernarg_segment_size: 3408
    .language:       OpenCL C
    .language_version:
      - 2
      - 0
    .max_flat_workgroup_size: 512
    .name:           _ZN2at6native12_GLOBAL__N_125multi_tensor_apply_kernelINS1_18TensorListMetadataILi2EEENS1_14UnaryOpFunctorIdLi2ELi1ELi1EEEJNS0_5Log10IdEEEEEvT_T0_DpT1_
    .private_segment_fixed_size: 0
    .sgpr_count:     24
    .sgpr_spill_count: 0
    .symbol:         _ZN2at6native12_GLOBAL__N_125multi_tensor_apply_kernelINS1_18TensorListMetadataILi2EEENS1_14UnaryOpFunctorIdLi2ELi1ELi1EEEJNS0_5Log10IdEEEEEvT_T0_DpT1_.kd
    .uniform_work_group_size: 1
    .uses_dynamic_stack: false
    .vgpr_count:     56
    .vgpr_spill_count: 0
    .wavefront_size: 32
  - .args:
      - .offset:         0
        .size:           3144
        .value_kind:     by_value
      - .offset:         3144
        .size:           1
        .value_kind:     by_value
      - .offset:         3145
        .size:           1
        .value_kind:     by_value
      - .offset:         3152
        .size:           4
        .value_kind:     hidden_block_count_x
      - .offset:         3156
        .size:           4
        .value_kind:     hidden_block_count_y
      - .offset:         3160
        .size:           4
        .value_kind:     hidden_block_count_z
      - .offset:         3164
        .size:           2
        .value_kind:     hidden_group_size_x
      - .offset:         3166
        .size:           2
        .value_kind:     hidden_group_size_y
      - .offset:         3168
        .size:           2
        .value_kind:     hidden_group_size_z
      - .offset:         3170
        .size:           2
        .value_kind:     hidden_remainder_x
      - .offset:         3172
        .size:           2
        .value_kind:     hidden_remainder_y
      - .offset:         3174
        .size:           2
        .value_kind:     hidden_remainder_z
      - .offset:         3192
        .size:           8
        .value_kind:     hidden_global_offset_x
      - .offset:         3200
        .size:           8
        .value_kind:     hidden_global_offset_y
      - .offset:         3208
        .size:           8
        .value_kind:     hidden_global_offset_z
      - .offset:         3216
        .size:           2
        .value_kind:     hidden_grid_dims
    .group_segment_fixed_size: 0
    .kernarg_segment_align: 8
    .kernarg_segment_size: 3408
    .language:       OpenCL C
    .language_version:
      - 2
      - 0
    .max_flat_workgroup_size: 512
    .name:           _ZN2at6native12_GLOBAL__N_125multi_tensor_apply_kernelINS1_18TensorListMetadataILi2EEENS1_14UnaryOpFunctorIfLi2ELi1ELi1EEEJNS0_5Log10IfEEEEEvT_T0_DpT1_
    .private_segment_fixed_size: 0
    .sgpr_count:     22
    .sgpr_spill_count: 0
    .symbol:         _ZN2at6native12_GLOBAL__N_125multi_tensor_apply_kernelINS1_18TensorListMetadataILi2EEENS1_14UnaryOpFunctorIfLi2ELi1ELi1EEEJNS0_5Log10IfEEEEEvT_T0_DpT1_.kd
    .uniform_work_group_size: 1
    .uses_dynamic_stack: false
    .vgpr_count:     35
    .vgpr_spill_count: 0
    .wavefront_size: 32
  - .args:
      - .offset:         0
        .size:           3144
        .value_kind:     by_value
      - .offset:         3144
        .size:           1
        .value_kind:     by_value
      - .offset:         3145
        .size:           1
        .value_kind:     by_value
      - .offset:         3152
        .size:           4
        .value_kind:     hidden_block_count_x
      - .offset:         3156
        .size:           4
        .value_kind:     hidden_block_count_y
      - .offset:         3160
        .size:           4
        .value_kind:     hidden_block_count_z
      - .offset:         3164
        .size:           2
        .value_kind:     hidden_group_size_x
      - .offset:         3166
        .size:           2
        .value_kind:     hidden_group_size_y
      - .offset:         3168
        .size:           2
        .value_kind:     hidden_group_size_z
      - .offset:         3170
        .size:           2
        .value_kind:     hidden_remainder_x
      - .offset:         3172
        .size:           2
        .value_kind:     hidden_remainder_y
      - .offset:         3174
        .size:           2
        .value_kind:     hidden_remainder_z
      - .offset:         3192
        .size:           8
        .value_kind:     hidden_global_offset_x
      - .offset:         3200
        .size:           8
        .value_kind:     hidden_global_offset_y
      - .offset:         3208
        .size:           8
        .value_kind:     hidden_global_offset_z
      - .offset:         3216
        .size:           2
        .value_kind:     hidden_grid_dims
    .group_segment_fixed_size: 0
    .kernarg_segment_align: 8
    .kernarg_segment_size: 3408
    .language:       OpenCL C
    .language_version:
      - 2
      - 0
    .max_flat_workgroup_size: 512
    .name:           _ZN2at6native12_GLOBAL__N_125multi_tensor_apply_kernelINS1_18TensorListMetadataILi2EEENS1_14UnaryOpFunctorIN3c107complexIdEELi2ELi1ELi1EEEJNS0_5Log10IS8_EEEEEvT_T0_DpT1_
    .private_segment_fixed_size: 0
    .sgpr_count:     61
    .sgpr_spill_count: 0
    .symbol:         _ZN2at6native12_GLOBAL__N_125multi_tensor_apply_kernelINS1_18TensorListMetadataILi2EEENS1_14UnaryOpFunctorIN3c107complexIdEELi2ELi1ELi1EEEJNS0_5Log10IS8_EEEEEvT_T0_DpT1_.kd
    .uniform_work_group_size: 1
    .uses_dynamic_stack: false
    .vgpr_count:     96
    .vgpr_spill_count: 0
    .wavefront_size: 32
  - .args:
      - .offset:         0
        .size:           3144
        .value_kind:     by_value
      - .offset:         3144
        .size:           1
        .value_kind:     by_value
      - .offset:         3145
        .size:           1
        .value_kind:     by_value
      - .offset:         3152
        .size:           4
        .value_kind:     hidden_block_count_x
      - .offset:         3156
        .size:           4
        .value_kind:     hidden_block_count_y
      - .offset:         3160
        .size:           4
        .value_kind:     hidden_block_count_z
      - .offset:         3164
        .size:           2
        .value_kind:     hidden_group_size_x
      - .offset:         3166
        .size:           2
        .value_kind:     hidden_group_size_y
      - .offset:         3168
        .size:           2
        .value_kind:     hidden_group_size_z
      - .offset:         3170
        .size:           2
        .value_kind:     hidden_remainder_x
      - .offset:         3172
        .size:           2
        .value_kind:     hidden_remainder_y
      - .offset:         3174
        .size:           2
        .value_kind:     hidden_remainder_z
      - .offset:         3192
        .size:           8
        .value_kind:     hidden_global_offset_x
      - .offset:         3200
        .size:           8
        .value_kind:     hidden_global_offset_y
      - .offset:         3208
        .size:           8
        .value_kind:     hidden_global_offset_z
      - .offset:         3216
        .size:           2
        .value_kind:     hidden_grid_dims
    .group_segment_fixed_size: 0
    .kernarg_segment_align: 8
    .kernarg_segment_size: 3408
    .language:       OpenCL C
    .language_version:
      - 2
      - 0
    .max_flat_workgroup_size: 512
    .name:           _ZN2at6native12_GLOBAL__N_125multi_tensor_apply_kernelINS1_18TensorListMetadataILi2EEENS1_14UnaryOpFunctorIN3c107complexIfEELi2ELi1ELi1EEEJNS0_5Log10IS8_EEEEEvT_T0_DpT1_
    .private_segment_fixed_size: 0
    .sgpr_count:     39
    .sgpr_spill_count: 0
    .symbol:         _ZN2at6native12_GLOBAL__N_125multi_tensor_apply_kernelINS1_18TensorListMetadataILi2EEENS1_14UnaryOpFunctorIN3c107complexIfEELi2ELi1ELi1EEEJNS0_5Log10IS8_EEEEEvT_T0_DpT1_.kd
    .uniform_work_group_size: 1
    .uses_dynamic_stack: false
    .vgpr_count:     51
    .vgpr_spill_count: 0
    .wavefront_size: 32
  - .args:
      - .offset:         0
        .size:           3144
        .value_kind:     by_value
      - .offset:         3144
        .size:           1
        .value_kind:     by_value
      - .offset:         3145
        .size:           1
        .value_kind:     by_value
      - .offset:         3152
        .size:           4
        .value_kind:     hidden_block_count_x
      - .offset:         3156
        .size:           4
        .value_kind:     hidden_block_count_y
      - .offset:         3160
        .size:           4
        .value_kind:     hidden_block_count_z
      - .offset:         3164
        .size:           2
        .value_kind:     hidden_group_size_x
      - .offset:         3166
        .size:           2
        .value_kind:     hidden_group_size_y
      - .offset:         3168
        .size:           2
        .value_kind:     hidden_group_size_z
      - .offset:         3170
        .size:           2
        .value_kind:     hidden_remainder_x
      - .offset:         3172
        .size:           2
        .value_kind:     hidden_remainder_y
      - .offset:         3174
        .size:           2
        .value_kind:     hidden_remainder_z
      - .offset:         3192
        .size:           8
        .value_kind:     hidden_global_offset_x
      - .offset:         3200
        .size:           8
        .value_kind:     hidden_global_offset_y
      - .offset:         3208
        .size:           8
        .value_kind:     hidden_global_offset_z
      - .offset:         3216
        .size:           2
        .value_kind:     hidden_grid_dims
    .group_segment_fixed_size: 0
    .kernarg_segment_align: 8
    .kernarg_segment_size: 3408
    .language:       OpenCL C
    .language_version:
      - 2
      - 0
    .max_flat_workgroup_size: 512
    .name:           _ZN2at6native12_GLOBAL__N_125multi_tensor_apply_kernelINS1_18TensorListMetadataILi2EEENS1_14UnaryOpFunctorIN3c104HalfELi2ELi1ELi1EEEJNS0_5Log10IfEEEEEvT_T0_DpT1_
    .private_segment_fixed_size: 0
    .sgpr_count:     22
    .sgpr_spill_count: 0
    .symbol:         _ZN2at6native12_GLOBAL__N_125multi_tensor_apply_kernelINS1_18TensorListMetadataILi2EEENS1_14UnaryOpFunctorIN3c104HalfELi2ELi1ELi1EEEJNS0_5Log10IfEEEEEvT_T0_DpT1_.kd
    .uniform_work_group_size: 1
    .uses_dynamic_stack: false
    .vgpr_count:     34
    .vgpr_spill_count: 0
    .wavefront_size: 32
  - .args:
      - .offset:         0
        .size:           3144
        .value_kind:     by_value
      - .offset:         3144
        .size:           1
        .value_kind:     by_value
      - .offset:         3145
        .size:           1
        .value_kind:     by_value
      - .offset:         3152
        .size:           4
        .value_kind:     hidden_block_count_x
      - .offset:         3156
        .size:           4
        .value_kind:     hidden_block_count_y
      - .offset:         3160
        .size:           4
        .value_kind:     hidden_block_count_z
      - .offset:         3164
        .size:           2
        .value_kind:     hidden_group_size_x
      - .offset:         3166
        .size:           2
        .value_kind:     hidden_group_size_y
      - .offset:         3168
        .size:           2
        .value_kind:     hidden_group_size_z
      - .offset:         3170
        .size:           2
        .value_kind:     hidden_remainder_x
      - .offset:         3172
        .size:           2
        .value_kind:     hidden_remainder_y
      - .offset:         3174
        .size:           2
        .value_kind:     hidden_remainder_z
      - .offset:         3192
        .size:           8
        .value_kind:     hidden_global_offset_x
      - .offset:         3200
        .size:           8
        .value_kind:     hidden_global_offset_y
      - .offset:         3208
        .size:           8
        .value_kind:     hidden_global_offset_z
      - .offset:         3216
        .size:           2
        .value_kind:     hidden_grid_dims
    .group_segment_fixed_size: 0
    .kernarg_segment_align: 8
    .kernarg_segment_size: 3408
    .language:       OpenCL C
    .language_version:
      - 2
      - 0
    .max_flat_workgroup_size: 512
    .name:           _ZN2at6native12_GLOBAL__N_125multi_tensor_apply_kernelINS1_18TensorListMetadataILi2EEENS1_14UnaryOpFunctorIN3c108BFloat16ELi2ELi1ELi1EEEJNS0_5Log10IfEEEEEvT_T0_DpT1_
    .private_segment_fixed_size: 0
    .sgpr_count:     22
    .sgpr_spill_count: 0
    .symbol:         _ZN2at6native12_GLOBAL__N_125multi_tensor_apply_kernelINS1_18TensorListMetadataILi2EEENS1_14UnaryOpFunctorIN3c108BFloat16ELi2ELi1ELi1EEEJNS0_5Log10IfEEEEEvT_T0_DpT1_.kd
    .uniform_work_group_size: 1
    .uses_dynamic_stack: false
    .vgpr_count:     35
    .vgpr_spill_count: 0
    .wavefront_size: 32
  - .args:
      - .offset:         0
        .size:           3368
        .value_kind:     by_value
      - .offset:         3368
        .size:           1
        .value_kind:     by_value
      - .offset:         3369
        .size:           1
        .value_kind:     by_value
      - .offset:         3376
        .size:           4
        .value_kind:     hidden_block_count_x
      - .offset:         3380
        .size:           4
        .value_kind:     hidden_block_count_y
      - .offset:         3384
        .size:           4
        .value_kind:     hidden_block_count_z
      - .offset:         3388
        .size:           2
        .value_kind:     hidden_group_size_x
      - .offset:         3390
        .size:           2
        .value_kind:     hidden_group_size_y
      - .offset:         3392
        .size:           2
        .value_kind:     hidden_group_size_z
      - .offset:         3394
        .size:           2
        .value_kind:     hidden_remainder_x
      - .offset:         3396
        .size:           2
        .value_kind:     hidden_remainder_y
      - .offset:         3398
        .size:           2
        .value_kind:     hidden_remainder_z
      - .offset:         3416
        .size:           8
        .value_kind:     hidden_global_offset_x
      - .offset:         3424
        .size:           8
        .value_kind:     hidden_global_offset_y
      - .offset:         3432
        .size:           8
        .value_kind:     hidden_global_offset_z
      - .offset:         3440
        .size:           2
        .value_kind:     hidden_grid_dims
    .group_segment_fixed_size: 0
    .kernarg_segment_align: 8
    .kernarg_segment_size: 3632
    .language:       OpenCL C
    .language_version:
      - 2
      - 0
    .max_flat_workgroup_size: 512
    .name:           _ZN2at6native12_GLOBAL__N_125multi_tensor_apply_kernelINS1_18TensorListMetadataILi1EEENS1_14UnaryOpFunctorIdLi1ELi1ELi0EEEJNS0_5Log10IdEEEEEvT_T0_DpT1_
    .private_segment_fixed_size: 0
    .sgpr_count:     30
    .sgpr_spill_count: 0
    .symbol:         _ZN2at6native12_GLOBAL__N_125multi_tensor_apply_kernelINS1_18TensorListMetadataILi1EEENS1_14UnaryOpFunctorIdLi1ELi1ELi0EEEJNS0_5Log10IdEEEEEvT_T0_DpT1_.kd
    .uniform_work_group_size: 1
    .uses_dynamic_stack: false
    .vgpr_count:     60
    .vgpr_spill_count: 0
    .wavefront_size: 32
  - .args:
      - .offset:         0
        .size:           3368
        .value_kind:     by_value
      - .offset:         3368
        .size:           1
        .value_kind:     by_value
      - .offset:         3369
        .size:           1
        .value_kind:     by_value
      - .offset:         3376
        .size:           4
        .value_kind:     hidden_block_count_x
      - .offset:         3380
        .size:           4
        .value_kind:     hidden_block_count_y
      - .offset:         3384
        .size:           4
        .value_kind:     hidden_block_count_z
      - .offset:         3388
        .size:           2
        .value_kind:     hidden_group_size_x
      - .offset:         3390
        .size:           2
        .value_kind:     hidden_group_size_y
      - .offset:         3392
        .size:           2
        .value_kind:     hidden_group_size_z
      - .offset:         3394
        .size:           2
        .value_kind:     hidden_remainder_x
      - .offset:         3396
        .size:           2
        .value_kind:     hidden_remainder_y
      - .offset:         3398
        .size:           2
        .value_kind:     hidden_remainder_z
      - .offset:         3416
        .size:           8
        .value_kind:     hidden_global_offset_x
      - .offset:         3424
        .size:           8
        .value_kind:     hidden_global_offset_y
      - .offset:         3432
        .size:           8
        .value_kind:     hidden_global_offset_z
      - .offset:         3440
        .size:           2
        .value_kind:     hidden_grid_dims
    .group_segment_fixed_size: 0
    .kernarg_segment_align: 8
    .kernarg_segment_size: 3632
    .language:       OpenCL C
    .language_version:
      - 2
      - 0
    .max_flat_workgroup_size: 512
    .name:           _ZN2at6native12_GLOBAL__N_125multi_tensor_apply_kernelINS1_18TensorListMetadataILi1EEENS1_14UnaryOpFunctorIfLi1ELi1ELi0EEEJNS0_5Log10IfEEEEEvT_T0_DpT1_
    .private_segment_fixed_size: 0
    .sgpr_count:     25
    .sgpr_spill_count: 0
    .symbol:         _ZN2at6native12_GLOBAL__N_125multi_tensor_apply_kernelINS1_18TensorListMetadataILi1EEENS1_14UnaryOpFunctorIfLi1ELi1ELi0EEEJNS0_5Log10IfEEEEEvT_T0_DpT1_.kd
    .uniform_work_group_size: 1
    .uses_dynamic_stack: false
    .vgpr_count:     36
    .vgpr_spill_count: 0
    .wavefront_size: 32
  - .args:
      - .offset:         0
        .size:           3368
        .value_kind:     by_value
      - .offset:         3368
        .size:           1
        .value_kind:     by_value
      - .offset:         3369
        .size:           1
        .value_kind:     by_value
      - .offset:         3376
        .size:           4
        .value_kind:     hidden_block_count_x
      - .offset:         3380
        .size:           4
        .value_kind:     hidden_block_count_y
      - .offset:         3384
        .size:           4
        .value_kind:     hidden_block_count_z
      - .offset:         3388
        .size:           2
        .value_kind:     hidden_group_size_x
      - .offset:         3390
        .size:           2
        .value_kind:     hidden_group_size_y
      - .offset:         3392
        .size:           2
        .value_kind:     hidden_group_size_z
      - .offset:         3394
        .size:           2
        .value_kind:     hidden_remainder_x
      - .offset:         3396
        .size:           2
        .value_kind:     hidden_remainder_y
      - .offset:         3398
        .size:           2
        .value_kind:     hidden_remainder_z
      - .offset:         3416
        .size:           8
        .value_kind:     hidden_global_offset_x
      - .offset:         3424
        .size:           8
        .value_kind:     hidden_global_offset_y
      - .offset:         3432
        .size:           8
        .value_kind:     hidden_global_offset_z
      - .offset:         3440
        .size:           2
        .value_kind:     hidden_grid_dims
    .group_segment_fixed_size: 0
    .kernarg_segment_align: 8
    .kernarg_segment_size: 3632
    .language:       OpenCL C
    .language_version:
      - 2
      - 0
    .max_flat_workgroup_size: 512
    .name:           _ZN2at6native12_GLOBAL__N_125multi_tensor_apply_kernelINS1_18TensorListMetadataILi1EEENS1_14UnaryOpFunctorIN3c107complexIdEELi1ELi1ELi0EEEJNS0_5Log10IS8_EEEEEvT_T0_DpT1_
    .private_segment_fixed_size: 0
    .sgpr_count:     63
    .sgpr_spill_count: 0
    .symbol:         _ZN2at6native12_GLOBAL__N_125multi_tensor_apply_kernelINS1_18TensorListMetadataILi1EEENS1_14UnaryOpFunctorIN3c107complexIdEELi1ELi1ELi0EEEJNS0_5Log10IS8_EEEEEvT_T0_DpT1_.kd
    .uniform_work_group_size: 1
    .uses_dynamic_stack: false
    .vgpr_count:     94
    .vgpr_spill_count: 0
    .wavefront_size: 32
  - .args:
      - .offset:         0
        .size:           3368
        .value_kind:     by_value
      - .offset:         3368
        .size:           1
        .value_kind:     by_value
      - .offset:         3369
        .size:           1
        .value_kind:     by_value
      - .offset:         3376
        .size:           4
        .value_kind:     hidden_block_count_x
      - .offset:         3380
        .size:           4
        .value_kind:     hidden_block_count_y
      - .offset:         3384
        .size:           4
        .value_kind:     hidden_block_count_z
      - .offset:         3388
        .size:           2
        .value_kind:     hidden_group_size_x
      - .offset:         3390
        .size:           2
        .value_kind:     hidden_group_size_y
      - .offset:         3392
        .size:           2
        .value_kind:     hidden_group_size_z
      - .offset:         3394
        .size:           2
        .value_kind:     hidden_remainder_x
      - .offset:         3396
        .size:           2
        .value_kind:     hidden_remainder_y
      - .offset:         3398
        .size:           2
        .value_kind:     hidden_remainder_z
      - .offset:         3416
        .size:           8
        .value_kind:     hidden_global_offset_x
      - .offset:         3424
        .size:           8
        .value_kind:     hidden_global_offset_y
      - .offset:         3432
        .size:           8
        .value_kind:     hidden_global_offset_z
      - .offset:         3440
        .size:           2
        .value_kind:     hidden_grid_dims
    .group_segment_fixed_size: 0
    .kernarg_segment_align: 8
    .kernarg_segment_size: 3632
    .language:       OpenCL C
    .language_version:
      - 2
      - 0
    .max_flat_workgroup_size: 512
    .name:           _ZN2at6native12_GLOBAL__N_125multi_tensor_apply_kernelINS1_18TensorListMetadataILi1EEENS1_14UnaryOpFunctorIN3c107complexIfEELi1ELi1ELi0EEEJNS0_5Log10IS8_EEEEEvT_T0_DpT1_
    .private_segment_fixed_size: 0
    .sgpr_count:     41
    .sgpr_spill_count: 0
    .symbol:         _ZN2at6native12_GLOBAL__N_125multi_tensor_apply_kernelINS1_18TensorListMetadataILi1EEENS1_14UnaryOpFunctorIN3c107complexIfEELi1ELi1ELi0EEEJNS0_5Log10IS8_EEEEEvT_T0_DpT1_.kd
    .uniform_work_group_size: 1
    .uses_dynamic_stack: false
    .vgpr_count:     51
    .vgpr_spill_count: 0
    .wavefront_size: 32
  - .args:
      - .offset:         0
        .size:           3368
        .value_kind:     by_value
      - .offset:         3368
        .size:           1
        .value_kind:     by_value
      - .offset:         3369
        .size:           1
        .value_kind:     by_value
      - .offset:         3376
        .size:           4
        .value_kind:     hidden_block_count_x
      - .offset:         3380
        .size:           4
        .value_kind:     hidden_block_count_y
      - .offset:         3384
        .size:           4
        .value_kind:     hidden_block_count_z
      - .offset:         3388
        .size:           2
        .value_kind:     hidden_group_size_x
      - .offset:         3390
        .size:           2
        .value_kind:     hidden_group_size_y
      - .offset:         3392
        .size:           2
        .value_kind:     hidden_group_size_z
      - .offset:         3394
        .size:           2
        .value_kind:     hidden_remainder_x
      - .offset:         3396
        .size:           2
        .value_kind:     hidden_remainder_y
      - .offset:         3398
        .size:           2
        .value_kind:     hidden_remainder_z
      - .offset:         3416
        .size:           8
        .value_kind:     hidden_global_offset_x
      - .offset:         3424
        .size:           8
        .value_kind:     hidden_global_offset_y
      - .offset:         3432
        .size:           8
        .value_kind:     hidden_global_offset_z
      - .offset:         3440
        .size:           2
        .value_kind:     hidden_grid_dims
    .group_segment_fixed_size: 0
    .kernarg_segment_align: 8
    .kernarg_segment_size: 3632
    .language:       OpenCL C
    .language_version:
      - 2
      - 0
    .max_flat_workgroup_size: 512
    .name:           _ZN2at6native12_GLOBAL__N_125multi_tensor_apply_kernelINS1_18TensorListMetadataILi1EEENS1_14UnaryOpFunctorIN3c104HalfELi1ELi1ELi0EEEJNS0_5Log10IfEEEEEvT_T0_DpT1_
    .private_segment_fixed_size: 0
    .sgpr_count:     23
    .sgpr_spill_count: 0
    .symbol:         _ZN2at6native12_GLOBAL__N_125multi_tensor_apply_kernelINS1_18TensorListMetadataILi1EEENS1_14UnaryOpFunctorIN3c104HalfELi1ELi1ELi0EEEJNS0_5Log10IfEEEEEvT_T0_DpT1_.kd
    .uniform_work_group_size: 1
    .uses_dynamic_stack: false
    .vgpr_count:     25
    .vgpr_spill_count: 0
    .wavefront_size: 32
  - .args:
      - .offset:         0
        .size:           3368
        .value_kind:     by_value
      - .offset:         3368
        .size:           1
        .value_kind:     by_value
      - .offset:         3369
        .size:           1
        .value_kind:     by_value
      - .offset:         3376
        .size:           4
        .value_kind:     hidden_block_count_x
      - .offset:         3380
        .size:           4
        .value_kind:     hidden_block_count_y
      - .offset:         3384
        .size:           4
        .value_kind:     hidden_block_count_z
      - .offset:         3388
        .size:           2
        .value_kind:     hidden_group_size_x
      - .offset:         3390
        .size:           2
        .value_kind:     hidden_group_size_y
      - .offset:         3392
        .size:           2
        .value_kind:     hidden_group_size_z
      - .offset:         3394
        .size:           2
        .value_kind:     hidden_remainder_x
      - .offset:         3396
        .size:           2
        .value_kind:     hidden_remainder_y
      - .offset:         3398
        .size:           2
        .value_kind:     hidden_remainder_z
      - .offset:         3416
        .size:           8
        .value_kind:     hidden_global_offset_x
      - .offset:         3424
        .size:           8
        .value_kind:     hidden_global_offset_y
      - .offset:         3432
        .size:           8
        .value_kind:     hidden_global_offset_z
      - .offset:         3440
        .size:           2
        .value_kind:     hidden_grid_dims
    .group_segment_fixed_size: 0
    .kernarg_segment_align: 8
    .kernarg_segment_size: 3632
    .language:       OpenCL C
    .language_version:
      - 2
      - 0
    .max_flat_workgroup_size: 512
    .name:           _ZN2at6native12_GLOBAL__N_125multi_tensor_apply_kernelINS1_18TensorListMetadataILi1EEENS1_14UnaryOpFunctorIN3c108BFloat16ELi1ELi1ELi0EEEJNS0_5Log10IfEEEEEvT_T0_DpT1_
    .private_segment_fixed_size: 0
    .sgpr_count:     23
    .sgpr_spill_count: 0
    .symbol:         _ZN2at6native12_GLOBAL__N_125multi_tensor_apply_kernelINS1_18TensorListMetadataILi1EEENS1_14UnaryOpFunctorIN3c108BFloat16ELi1ELi1ELi0EEEJNS0_5Log10IfEEEEEvT_T0_DpT1_.kd
    .uniform_work_group_size: 1
    .uses_dynamic_stack: false
    .vgpr_count:     25
    .vgpr_spill_count: 0
    .wavefront_size: 32
  - .args:
      - .offset:         0
        .size:           3144
        .value_kind:     by_value
      - .offset:         3144
        .size:           1
        .value_kind:     by_value
      - .offset:         3145
        .size:           1
        .value_kind:     by_value
      - .offset:         3152
        .size:           4
        .value_kind:     hidden_block_count_x
      - .offset:         3156
        .size:           4
        .value_kind:     hidden_block_count_y
      - .offset:         3160
        .size:           4
        .value_kind:     hidden_block_count_z
      - .offset:         3164
        .size:           2
        .value_kind:     hidden_group_size_x
      - .offset:         3166
        .size:           2
        .value_kind:     hidden_group_size_y
      - .offset:         3168
        .size:           2
        .value_kind:     hidden_group_size_z
      - .offset:         3170
        .size:           2
        .value_kind:     hidden_remainder_x
      - .offset:         3172
        .size:           2
        .value_kind:     hidden_remainder_y
      - .offset:         3174
        .size:           2
        .value_kind:     hidden_remainder_z
      - .offset:         3192
        .size:           8
        .value_kind:     hidden_global_offset_x
      - .offset:         3200
        .size:           8
        .value_kind:     hidden_global_offset_y
      - .offset:         3208
        .size:           8
        .value_kind:     hidden_global_offset_z
      - .offset:         3216
        .size:           2
        .value_kind:     hidden_grid_dims
    .group_segment_fixed_size: 0
    .kernarg_segment_align: 8
    .kernarg_segment_size: 3408
    .language:       OpenCL C
    .language_version:
      - 2
      - 0
    .max_flat_workgroup_size: 512
    .name:           _ZN2at6native12_GLOBAL__N_125multi_tensor_apply_kernelINS1_18TensorListMetadataILi2EEENS1_14UnaryOpFunctorIdLi2ELi1ELi1EEEJNS0_4Log2IdEEEEEvT_T0_DpT1_
    .private_segment_fixed_size: 0
    .sgpr_count:     30
    .sgpr_spill_count: 0
    .symbol:         _ZN2at6native12_GLOBAL__N_125multi_tensor_apply_kernelINS1_18TensorListMetadataILi2EEENS1_14UnaryOpFunctorIdLi2ELi1ELi1EEEJNS0_4Log2IdEEEEEvT_T0_DpT1_.kd
    .uniform_work_group_size: 1
    .uses_dynamic_stack: false
    .vgpr_count:     63
    .vgpr_spill_count: 0
    .wavefront_size: 32
  - .args:
      - .offset:         0
        .size:           3144
        .value_kind:     by_value
      - .offset:         3144
        .size:           1
        .value_kind:     by_value
      - .offset:         3145
        .size:           1
        .value_kind:     by_value
      - .offset:         3152
        .size:           4
        .value_kind:     hidden_block_count_x
      - .offset:         3156
        .size:           4
        .value_kind:     hidden_block_count_y
      - .offset:         3160
        .size:           4
        .value_kind:     hidden_block_count_z
      - .offset:         3164
        .size:           2
        .value_kind:     hidden_group_size_x
      - .offset:         3166
        .size:           2
        .value_kind:     hidden_group_size_y
      - .offset:         3168
        .size:           2
        .value_kind:     hidden_group_size_z
      - .offset:         3170
        .size:           2
        .value_kind:     hidden_remainder_x
      - .offset:         3172
        .size:           2
        .value_kind:     hidden_remainder_y
      - .offset:         3174
        .size:           2
        .value_kind:     hidden_remainder_z
      - .offset:         3192
        .size:           8
        .value_kind:     hidden_global_offset_x
      - .offset:         3200
        .size:           8
        .value_kind:     hidden_global_offset_y
      - .offset:         3208
        .size:           8
        .value_kind:     hidden_global_offset_z
      - .offset:         3216
        .size:           2
        .value_kind:     hidden_grid_dims
    .group_segment_fixed_size: 0
    .kernarg_segment_align: 8
    .kernarg_segment_size: 3408
    .language:       OpenCL C
    .language_version:
      - 2
      - 0
    .max_flat_workgroup_size: 512
    .name:           _ZN2at6native12_GLOBAL__N_125multi_tensor_apply_kernelINS1_18TensorListMetadataILi2EEENS1_14UnaryOpFunctorIfLi2ELi1ELi1EEEJNS0_4Log2IfEEEEEvT_T0_DpT1_
    .private_segment_fixed_size: 0
    .sgpr_count:     22
    .sgpr_spill_count: 0
    .symbol:         _ZN2at6native12_GLOBAL__N_125multi_tensor_apply_kernelINS1_18TensorListMetadataILi2EEENS1_14UnaryOpFunctorIfLi2ELi1ELi1EEEJNS0_4Log2IfEEEEEvT_T0_DpT1_.kd
    .uniform_work_group_size: 1
    .uses_dynamic_stack: false
    .vgpr_count:     35
    .vgpr_spill_count: 0
    .wavefront_size: 32
  - .args:
      - .offset:         0
        .size:           3144
        .value_kind:     by_value
      - .offset:         3144
        .size:           1
        .value_kind:     by_value
      - .offset:         3145
        .size:           1
        .value_kind:     by_value
      - .offset:         3152
        .size:           4
        .value_kind:     hidden_block_count_x
      - .offset:         3156
        .size:           4
        .value_kind:     hidden_block_count_y
      - .offset:         3160
        .size:           4
        .value_kind:     hidden_block_count_z
      - .offset:         3164
        .size:           2
        .value_kind:     hidden_group_size_x
      - .offset:         3166
        .size:           2
        .value_kind:     hidden_group_size_y
      - .offset:         3168
        .size:           2
        .value_kind:     hidden_group_size_z
      - .offset:         3170
        .size:           2
        .value_kind:     hidden_remainder_x
      - .offset:         3172
        .size:           2
        .value_kind:     hidden_remainder_y
      - .offset:         3174
        .size:           2
        .value_kind:     hidden_remainder_z
      - .offset:         3192
        .size:           8
        .value_kind:     hidden_global_offset_x
      - .offset:         3200
        .size:           8
        .value_kind:     hidden_global_offset_y
      - .offset:         3208
        .size:           8
        .value_kind:     hidden_global_offset_z
      - .offset:         3216
        .size:           2
        .value_kind:     hidden_grid_dims
    .group_segment_fixed_size: 0
    .kernarg_segment_align: 8
    .kernarg_segment_size: 3408
    .language:       OpenCL C
    .language_version:
      - 2
      - 0
    .max_flat_workgroup_size: 512
    .name:           _ZN2at6native12_GLOBAL__N_125multi_tensor_apply_kernelINS1_18TensorListMetadataILi2EEENS1_14UnaryOpFunctorIN3c107complexIdEELi2ELi1ELi1EEEJNS0_4Log2IS8_EEEEEvT_T0_DpT1_
    .private_segment_fixed_size: 0
    .sgpr_count:     59
    .sgpr_spill_count: 0
    .symbol:         _ZN2at6native12_GLOBAL__N_125multi_tensor_apply_kernelINS1_18TensorListMetadataILi2EEENS1_14UnaryOpFunctorIN3c107complexIdEELi2ELi1ELi1EEEJNS0_4Log2IS8_EEEEEvT_T0_DpT1_.kd
    .uniform_work_group_size: 1
    .uses_dynamic_stack: false
    .vgpr_count:     88
    .vgpr_spill_count: 0
    .wavefront_size: 32
  - .args:
      - .offset:         0
        .size:           3144
        .value_kind:     by_value
      - .offset:         3144
        .size:           1
        .value_kind:     by_value
      - .offset:         3145
        .size:           1
        .value_kind:     by_value
      - .offset:         3152
        .size:           4
        .value_kind:     hidden_block_count_x
      - .offset:         3156
        .size:           4
        .value_kind:     hidden_block_count_y
      - .offset:         3160
        .size:           4
        .value_kind:     hidden_block_count_z
      - .offset:         3164
        .size:           2
        .value_kind:     hidden_group_size_x
      - .offset:         3166
        .size:           2
        .value_kind:     hidden_group_size_y
      - .offset:         3168
        .size:           2
        .value_kind:     hidden_group_size_z
      - .offset:         3170
        .size:           2
        .value_kind:     hidden_remainder_x
      - .offset:         3172
        .size:           2
        .value_kind:     hidden_remainder_y
      - .offset:         3174
        .size:           2
        .value_kind:     hidden_remainder_z
      - .offset:         3192
        .size:           8
        .value_kind:     hidden_global_offset_x
      - .offset:         3200
        .size:           8
        .value_kind:     hidden_global_offset_y
      - .offset:         3208
        .size:           8
        .value_kind:     hidden_global_offset_z
      - .offset:         3216
        .size:           2
        .value_kind:     hidden_grid_dims
    .group_segment_fixed_size: 0
    .kernarg_segment_align: 8
    .kernarg_segment_size: 3408
    .language:       OpenCL C
    .language_version:
      - 2
      - 0
    .max_flat_workgroup_size: 512
    .name:           _ZN2at6native12_GLOBAL__N_125multi_tensor_apply_kernelINS1_18TensorListMetadataILi2EEENS1_14UnaryOpFunctorIN3c107complexIfEELi2ELi1ELi1EEEJNS0_4Log2IS8_EEEEEvT_T0_DpT1_
    .private_segment_fixed_size: 0
    .sgpr_count:     40
    .sgpr_spill_count: 0
    .symbol:         _ZN2at6native12_GLOBAL__N_125multi_tensor_apply_kernelINS1_18TensorListMetadataILi2EEENS1_14UnaryOpFunctorIN3c107complexIfEELi2ELi1ELi1EEEJNS0_4Log2IS8_EEEEEvT_T0_DpT1_.kd
    .uniform_work_group_size: 1
    .uses_dynamic_stack: false
    .vgpr_count:     52
    .vgpr_spill_count: 0
    .wavefront_size: 32
  - .args:
      - .offset:         0
        .size:           3144
        .value_kind:     by_value
      - .offset:         3144
        .size:           1
        .value_kind:     by_value
      - .offset:         3145
        .size:           1
        .value_kind:     by_value
      - .offset:         3152
        .size:           4
        .value_kind:     hidden_block_count_x
      - .offset:         3156
        .size:           4
        .value_kind:     hidden_block_count_y
      - .offset:         3160
        .size:           4
        .value_kind:     hidden_block_count_z
      - .offset:         3164
        .size:           2
        .value_kind:     hidden_group_size_x
      - .offset:         3166
        .size:           2
        .value_kind:     hidden_group_size_y
      - .offset:         3168
        .size:           2
        .value_kind:     hidden_group_size_z
      - .offset:         3170
        .size:           2
        .value_kind:     hidden_remainder_x
      - .offset:         3172
        .size:           2
        .value_kind:     hidden_remainder_y
      - .offset:         3174
        .size:           2
        .value_kind:     hidden_remainder_z
      - .offset:         3192
        .size:           8
        .value_kind:     hidden_global_offset_x
      - .offset:         3200
        .size:           8
        .value_kind:     hidden_global_offset_y
      - .offset:         3208
        .size:           8
        .value_kind:     hidden_global_offset_z
      - .offset:         3216
        .size:           2
        .value_kind:     hidden_grid_dims
    .group_segment_fixed_size: 0
    .kernarg_segment_align: 8
    .kernarg_segment_size: 3408
    .language:       OpenCL C
    .language_version:
      - 2
      - 0
    .max_flat_workgroup_size: 512
    .name:           _ZN2at6native12_GLOBAL__N_125multi_tensor_apply_kernelINS1_18TensorListMetadataILi2EEENS1_14UnaryOpFunctorIN3c104HalfELi2ELi1ELi1EEEJNS0_4Log2IfEEEEEvT_T0_DpT1_
    .private_segment_fixed_size: 0
    .sgpr_count:     22
    .sgpr_spill_count: 0
    .symbol:         _ZN2at6native12_GLOBAL__N_125multi_tensor_apply_kernelINS1_18TensorListMetadataILi2EEENS1_14UnaryOpFunctorIN3c104HalfELi2ELi1ELi1EEEJNS0_4Log2IfEEEEEvT_T0_DpT1_.kd
    .uniform_work_group_size: 1
    .uses_dynamic_stack: false
    .vgpr_count:     34
    .vgpr_spill_count: 0
    .wavefront_size: 32
  - .args:
      - .offset:         0
        .size:           3144
        .value_kind:     by_value
      - .offset:         3144
        .size:           1
        .value_kind:     by_value
      - .offset:         3145
        .size:           1
        .value_kind:     by_value
      - .offset:         3152
        .size:           4
        .value_kind:     hidden_block_count_x
      - .offset:         3156
        .size:           4
        .value_kind:     hidden_block_count_y
      - .offset:         3160
        .size:           4
        .value_kind:     hidden_block_count_z
      - .offset:         3164
        .size:           2
        .value_kind:     hidden_group_size_x
      - .offset:         3166
        .size:           2
        .value_kind:     hidden_group_size_y
      - .offset:         3168
        .size:           2
        .value_kind:     hidden_group_size_z
      - .offset:         3170
        .size:           2
        .value_kind:     hidden_remainder_x
      - .offset:         3172
        .size:           2
        .value_kind:     hidden_remainder_y
      - .offset:         3174
        .size:           2
        .value_kind:     hidden_remainder_z
      - .offset:         3192
        .size:           8
        .value_kind:     hidden_global_offset_x
      - .offset:         3200
        .size:           8
        .value_kind:     hidden_global_offset_y
      - .offset:         3208
        .size:           8
        .value_kind:     hidden_global_offset_z
      - .offset:         3216
        .size:           2
        .value_kind:     hidden_grid_dims
    .group_segment_fixed_size: 0
    .kernarg_segment_align: 8
    .kernarg_segment_size: 3408
    .language:       OpenCL C
    .language_version:
      - 2
      - 0
    .max_flat_workgroup_size: 512
    .name:           _ZN2at6native12_GLOBAL__N_125multi_tensor_apply_kernelINS1_18TensorListMetadataILi2EEENS1_14UnaryOpFunctorIN3c108BFloat16ELi2ELi1ELi1EEEJNS0_4Log2IfEEEEEvT_T0_DpT1_
    .private_segment_fixed_size: 0
    .sgpr_count:     22
    .sgpr_spill_count: 0
    .symbol:         _ZN2at6native12_GLOBAL__N_125multi_tensor_apply_kernelINS1_18TensorListMetadataILi2EEENS1_14UnaryOpFunctorIN3c108BFloat16ELi2ELi1ELi1EEEJNS0_4Log2IfEEEEEvT_T0_DpT1_.kd
    .uniform_work_group_size: 1
    .uses_dynamic_stack: false
    .vgpr_count:     35
    .vgpr_spill_count: 0
    .wavefront_size: 32
  - .args:
      - .offset:         0
        .size:           3368
        .value_kind:     by_value
      - .offset:         3368
        .size:           1
        .value_kind:     by_value
      - .offset:         3369
        .size:           1
        .value_kind:     by_value
      - .offset:         3376
        .size:           4
        .value_kind:     hidden_block_count_x
      - .offset:         3380
        .size:           4
        .value_kind:     hidden_block_count_y
      - .offset:         3384
        .size:           4
        .value_kind:     hidden_block_count_z
      - .offset:         3388
        .size:           2
        .value_kind:     hidden_group_size_x
      - .offset:         3390
        .size:           2
        .value_kind:     hidden_group_size_y
      - .offset:         3392
        .size:           2
        .value_kind:     hidden_group_size_z
      - .offset:         3394
        .size:           2
        .value_kind:     hidden_remainder_x
      - .offset:         3396
        .size:           2
        .value_kind:     hidden_remainder_y
      - .offset:         3398
        .size:           2
        .value_kind:     hidden_remainder_z
      - .offset:         3416
        .size:           8
        .value_kind:     hidden_global_offset_x
      - .offset:         3424
        .size:           8
        .value_kind:     hidden_global_offset_y
      - .offset:         3432
        .size:           8
        .value_kind:     hidden_global_offset_z
      - .offset:         3440
        .size:           2
        .value_kind:     hidden_grid_dims
    .group_segment_fixed_size: 0
    .kernarg_segment_align: 8
    .kernarg_segment_size: 3632
    .language:       OpenCL C
    .language_version:
      - 2
      - 0
    .max_flat_workgroup_size: 512
    .name:           _ZN2at6native12_GLOBAL__N_125multi_tensor_apply_kernelINS1_18TensorListMetadataILi1EEENS1_14UnaryOpFunctorIdLi1ELi1ELi0EEEJNS0_4Log2IdEEEEEvT_T0_DpT1_
    .private_segment_fixed_size: 0
    .sgpr_count:     28
    .sgpr_spill_count: 0
    .symbol:         _ZN2at6native12_GLOBAL__N_125multi_tensor_apply_kernelINS1_18TensorListMetadataILi1EEENS1_14UnaryOpFunctorIdLi1ELi1ELi0EEEJNS0_4Log2IdEEEEEvT_T0_DpT1_.kd
    .uniform_work_group_size: 1
    .uses_dynamic_stack: false
    .vgpr_count:     60
    .vgpr_spill_count: 0
    .wavefront_size: 32
  - .args:
      - .offset:         0
        .size:           3368
        .value_kind:     by_value
      - .offset:         3368
        .size:           1
        .value_kind:     by_value
      - .offset:         3369
        .size:           1
        .value_kind:     by_value
      - .offset:         3376
        .size:           4
        .value_kind:     hidden_block_count_x
      - .offset:         3380
        .size:           4
        .value_kind:     hidden_block_count_y
      - .offset:         3384
        .size:           4
        .value_kind:     hidden_block_count_z
      - .offset:         3388
        .size:           2
        .value_kind:     hidden_group_size_x
      - .offset:         3390
        .size:           2
        .value_kind:     hidden_group_size_y
      - .offset:         3392
        .size:           2
        .value_kind:     hidden_group_size_z
      - .offset:         3394
        .size:           2
        .value_kind:     hidden_remainder_x
      - .offset:         3396
        .size:           2
        .value_kind:     hidden_remainder_y
      - .offset:         3398
        .size:           2
        .value_kind:     hidden_remainder_z
      - .offset:         3416
        .size:           8
        .value_kind:     hidden_global_offset_x
      - .offset:         3424
        .size:           8
        .value_kind:     hidden_global_offset_y
      - .offset:         3432
        .size:           8
        .value_kind:     hidden_global_offset_z
      - .offset:         3440
        .size:           2
        .value_kind:     hidden_grid_dims
    .group_segment_fixed_size: 0
    .kernarg_segment_align: 8
    .kernarg_segment_size: 3632
    .language:       OpenCL C
    .language_version:
      - 2
      - 0
    .max_flat_workgroup_size: 512
    .name:           _ZN2at6native12_GLOBAL__N_125multi_tensor_apply_kernelINS1_18TensorListMetadataILi1EEENS1_14UnaryOpFunctorIfLi1ELi1ELi0EEEJNS0_4Log2IfEEEEEvT_T0_DpT1_
    .private_segment_fixed_size: 0
    .sgpr_count:     24
    .sgpr_spill_count: 0
    .symbol:         _ZN2at6native12_GLOBAL__N_125multi_tensor_apply_kernelINS1_18TensorListMetadataILi1EEENS1_14UnaryOpFunctorIfLi1ELi1ELi0EEEJNS0_4Log2IfEEEEEvT_T0_DpT1_.kd
    .uniform_work_group_size: 1
    .uses_dynamic_stack: false
    .vgpr_count:     36
    .vgpr_spill_count: 0
    .wavefront_size: 32
  - .args:
      - .offset:         0
        .size:           3368
        .value_kind:     by_value
      - .offset:         3368
        .size:           1
        .value_kind:     by_value
      - .offset:         3369
        .size:           1
        .value_kind:     by_value
      - .offset:         3376
        .size:           4
        .value_kind:     hidden_block_count_x
      - .offset:         3380
        .size:           4
        .value_kind:     hidden_block_count_y
      - .offset:         3384
        .size:           4
        .value_kind:     hidden_block_count_z
      - .offset:         3388
        .size:           2
        .value_kind:     hidden_group_size_x
      - .offset:         3390
        .size:           2
        .value_kind:     hidden_group_size_y
      - .offset:         3392
        .size:           2
        .value_kind:     hidden_group_size_z
      - .offset:         3394
        .size:           2
        .value_kind:     hidden_remainder_x
      - .offset:         3396
        .size:           2
        .value_kind:     hidden_remainder_y
      - .offset:         3398
        .size:           2
        .value_kind:     hidden_remainder_z
      - .offset:         3416
        .size:           8
        .value_kind:     hidden_global_offset_x
      - .offset:         3424
        .size:           8
        .value_kind:     hidden_global_offset_y
      - .offset:         3432
        .size:           8
        .value_kind:     hidden_global_offset_z
      - .offset:         3440
        .size:           2
        .value_kind:     hidden_grid_dims
    .group_segment_fixed_size: 0
    .kernarg_segment_align: 8
    .kernarg_segment_size: 3632
    .language:       OpenCL C
    .language_version:
      - 2
      - 0
    .max_flat_workgroup_size: 512
    .name:           _ZN2at6native12_GLOBAL__N_125multi_tensor_apply_kernelINS1_18TensorListMetadataILi1EEENS1_14UnaryOpFunctorIN3c107complexIdEELi1ELi1ELi0EEEJNS0_4Log2IS8_EEEEEvT_T0_DpT1_
    .private_segment_fixed_size: 0
    .sgpr_count:     61
    .sgpr_spill_count: 0
    .symbol:         _ZN2at6native12_GLOBAL__N_125multi_tensor_apply_kernelINS1_18TensorListMetadataILi1EEENS1_14UnaryOpFunctorIN3c107complexIdEELi1ELi1ELi0EEEJNS0_4Log2IS8_EEEEEvT_T0_DpT1_.kd
    .uniform_work_group_size: 1
    .uses_dynamic_stack: false
    .vgpr_count:     88
    .vgpr_spill_count: 0
    .wavefront_size: 32
  - .args:
      - .offset:         0
        .size:           3368
        .value_kind:     by_value
      - .offset:         3368
        .size:           1
        .value_kind:     by_value
      - .offset:         3369
        .size:           1
        .value_kind:     by_value
      - .offset:         3376
        .size:           4
        .value_kind:     hidden_block_count_x
      - .offset:         3380
        .size:           4
        .value_kind:     hidden_block_count_y
      - .offset:         3384
        .size:           4
        .value_kind:     hidden_block_count_z
      - .offset:         3388
        .size:           2
        .value_kind:     hidden_group_size_x
      - .offset:         3390
        .size:           2
        .value_kind:     hidden_group_size_y
      - .offset:         3392
        .size:           2
        .value_kind:     hidden_group_size_z
      - .offset:         3394
        .size:           2
        .value_kind:     hidden_remainder_x
      - .offset:         3396
        .size:           2
        .value_kind:     hidden_remainder_y
      - .offset:         3398
        .size:           2
        .value_kind:     hidden_remainder_z
      - .offset:         3416
        .size:           8
        .value_kind:     hidden_global_offset_x
      - .offset:         3424
        .size:           8
        .value_kind:     hidden_global_offset_y
      - .offset:         3432
        .size:           8
        .value_kind:     hidden_global_offset_z
      - .offset:         3440
        .size:           2
        .value_kind:     hidden_grid_dims
    .group_segment_fixed_size: 0
    .kernarg_segment_align: 8
    .kernarg_segment_size: 3632
    .language:       OpenCL C
    .language_version:
      - 2
      - 0
    .max_flat_workgroup_size: 512
    .name:           _ZN2at6native12_GLOBAL__N_125multi_tensor_apply_kernelINS1_18TensorListMetadataILi1EEENS1_14UnaryOpFunctorIN3c107complexIfEELi1ELi1ELi0EEEJNS0_4Log2IS8_EEEEEvT_T0_DpT1_
    .private_segment_fixed_size: 0
    .sgpr_count:     42
    .sgpr_spill_count: 0
    .symbol:         _ZN2at6native12_GLOBAL__N_125multi_tensor_apply_kernelINS1_18TensorListMetadataILi1EEENS1_14UnaryOpFunctorIN3c107complexIfEELi1ELi1ELi0EEEJNS0_4Log2IS8_EEEEEvT_T0_DpT1_.kd
    .uniform_work_group_size: 1
    .uses_dynamic_stack: false
    .vgpr_count:     52
    .vgpr_spill_count: 0
    .wavefront_size: 32
  - .args:
      - .offset:         0
        .size:           3368
        .value_kind:     by_value
      - .offset:         3368
        .size:           1
        .value_kind:     by_value
      - .offset:         3369
        .size:           1
        .value_kind:     by_value
      - .offset:         3376
        .size:           4
        .value_kind:     hidden_block_count_x
      - .offset:         3380
        .size:           4
        .value_kind:     hidden_block_count_y
      - .offset:         3384
        .size:           4
        .value_kind:     hidden_block_count_z
      - .offset:         3388
        .size:           2
        .value_kind:     hidden_group_size_x
      - .offset:         3390
        .size:           2
        .value_kind:     hidden_group_size_y
      - .offset:         3392
        .size:           2
        .value_kind:     hidden_group_size_z
      - .offset:         3394
        .size:           2
        .value_kind:     hidden_remainder_x
      - .offset:         3396
        .size:           2
        .value_kind:     hidden_remainder_y
      - .offset:         3398
        .size:           2
        .value_kind:     hidden_remainder_z
      - .offset:         3416
        .size:           8
        .value_kind:     hidden_global_offset_x
      - .offset:         3424
        .size:           8
        .value_kind:     hidden_global_offset_y
      - .offset:         3432
        .size:           8
        .value_kind:     hidden_global_offset_z
      - .offset:         3440
        .size:           2
        .value_kind:     hidden_grid_dims
    .group_segment_fixed_size: 0
    .kernarg_segment_align: 8
    .kernarg_segment_size: 3632
    .language:       OpenCL C
    .language_version:
      - 2
      - 0
    .max_flat_workgroup_size: 512
    .name:           _ZN2at6native12_GLOBAL__N_125multi_tensor_apply_kernelINS1_18TensorListMetadataILi1EEENS1_14UnaryOpFunctorIN3c104HalfELi1ELi1ELi0EEEJNS0_4Log2IfEEEEEvT_T0_DpT1_
    .private_segment_fixed_size: 0
    .sgpr_count:     22
    .sgpr_spill_count: 0
    .symbol:         _ZN2at6native12_GLOBAL__N_125multi_tensor_apply_kernelINS1_18TensorListMetadataILi1EEENS1_14UnaryOpFunctorIN3c104HalfELi1ELi1ELi0EEEJNS0_4Log2IfEEEEEvT_T0_DpT1_.kd
    .uniform_work_group_size: 1
    .uses_dynamic_stack: false
    .vgpr_count:     26
    .vgpr_spill_count: 0
    .wavefront_size: 32
  - .args:
      - .offset:         0
        .size:           3368
        .value_kind:     by_value
      - .offset:         3368
        .size:           1
        .value_kind:     by_value
      - .offset:         3369
        .size:           1
        .value_kind:     by_value
      - .offset:         3376
        .size:           4
        .value_kind:     hidden_block_count_x
      - .offset:         3380
        .size:           4
        .value_kind:     hidden_block_count_y
      - .offset:         3384
        .size:           4
        .value_kind:     hidden_block_count_z
      - .offset:         3388
        .size:           2
        .value_kind:     hidden_group_size_x
      - .offset:         3390
        .size:           2
        .value_kind:     hidden_group_size_y
      - .offset:         3392
        .size:           2
        .value_kind:     hidden_group_size_z
      - .offset:         3394
        .size:           2
        .value_kind:     hidden_remainder_x
      - .offset:         3396
        .size:           2
        .value_kind:     hidden_remainder_y
      - .offset:         3398
        .size:           2
        .value_kind:     hidden_remainder_z
      - .offset:         3416
        .size:           8
        .value_kind:     hidden_global_offset_x
      - .offset:         3424
        .size:           8
        .value_kind:     hidden_global_offset_y
      - .offset:         3432
        .size:           8
        .value_kind:     hidden_global_offset_z
      - .offset:         3440
        .size:           2
        .value_kind:     hidden_grid_dims
    .group_segment_fixed_size: 0
    .kernarg_segment_align: 8
    .kernarg_segment_size: 3632
    .language:       OpenCL C
    .language_version:
      - 2
      - 0
    .max_flat_workgroup_size: 512
    .name:           _ZN2at6native12_GLOBAL__N_125multi_tensor_apply_kernelINS1_18TensorListMetadataILi1EEENS1_14UnaryOpFunctorIN3c108BFloat16ELi1ELi1ELi0EEEJNS0_4Log2IfEEEEEvT_T0_DpT1_
    .private_segment_fixed_size: 0
    .sgpr_count:     22
    .sgpr_spill_count: 0
    .symbol:         _ZN2at6native12_GLOBAL__N_125multi_tensor_apply_kernelINS1_18TensorListMetadataILi1EEENS1_14UnaryOpFunctorIN3c108BFloat16ELi1ELi1ELi0EEEJNS0_4Log2IfEEEEEvT_T0_DpT1_.kd
    .uniform_work_group_size: 1
    .uses_dynamic_stack: false
    .vgpr_count:     26
    .vgpr_spill_count: 0
    .wavefront_size: 32
  - .args:
      - .offset:         0
        .size:           3144
        .value_kind:     by_value
      - .offset:         3144
        .size:           1
        .value_kind:     by_value
      - .offset:         3145
        .size:           1
        .value_kind:     by_value
      - .offset:         3152
        .size:           4
        .value_kind:     hidden_block_count_x
      - .offset:         3156
        .size:           4
        .value_kind:     hidden_block_count_y
      - .offset:         3160
        .size:           4
        .value_kind:     hidden_block_count_z
      - .offset:         3164
        .size:           2
        .value_kind:     hidden_group_size_x
      - .offset:         3166
        .size:           2
        .value_kind:     hidden_group_size_y
      - .offset:         3168
        .size:           2
        .value_kind:     hidden_group_size_z
      - .offset:         3170
        .size:           2
        .value_kind:     hidden_remainder_x
      - .offset:         3172
        .size:           2
        .value_kind:     hidden_remainder_y
      - .offset:         3174
        .size:           2
        .value_kind:     hidden_remainder_z
      - .offset:         3192
        .size:           8
        .value_kind:     hidden_global_offset_x
      - .offset:         3200
        .size:           8
        .value_kind:     hidden_global_offset_y
      - .offset:         3208
        .size:           8
        .value_kind:     hidden_global_offset_z
      - .offset:         3216
        .size:           2
        .value_kind:     hidden_grid_dims
    .group_segment_fixed_size: 0
    .kernarg_segment_align: 8
    .kernarg_segment_size: 3408
    .language:       OpenCL C
    .language_version:
      - 2
      - 0
    .max_flat_workgroup_size: 512
    .name:           _ZN2at6native12_GLOBAL__N_125multi_tensor_apply_kernelINS1_18TensorListMetadataILi2EEENS1_14UnaryOpFunctorIdLi2ELi1ELi1EEEJNS0_5Log1pIdEEEEEvT_T0_DpT1_
    .private_segment_fixed_size: 0
    .sgpr_count:     23
    .sgpr_spill_count: 0
    .symbol:         _ZN2at6native12_GLOBAL__N_125multi_tensor_apply_kernelINS1_18TensorListMetadataILi2EEENS1_14UnaryOpFunctorIdLi2ELi1ELi1EEEJNS0_5Log1pIdEEEEEvT_T0_DpT1_.kd
    .uniform_work_group_size: 1
    .uses_dynamic_stack: false
    .vgpr_count:     61
    .vgpr_spill_count: 0
    .wavefront_size: 32
  - .args:
      - .offset:         0
        .size:           3144
        .value_kind:     by_value
      - .offset:         3144
        .size:           1
        .value_kind:     by_value
      - .offset:         3145
        .size:           1
        .value_kind:     by_value
      - .offset:         3152
        .size:           4
        .value_kind:     hidden_block_count_x
      - .offset:         3156
        .size:           4
        .value_kind:     hidden_block_count_y
      - .offset:         3160
        .size:           4
        .value_kind:     hidden_block_count_z
      - .offset:         3164
        .size:           2
        .value_kind:     hidden_group_size_x
      - .offset:         3166
        .size:           2
        .value_kind:     hidden_group_size_y
      - .offset:         3168
        .size:           2
        .value_kind:     hidden_group_size_z
      - .offset:         3170
        .size:           2
        .value_kind:     hidden_remainder_x
      - .offset:         3172
        .size:           2
        .value_kind:     hidden_remainder_y
      - .offset:         3174
        .size:           2
        .value_kind:     hidden_remainder_z
      - .offset:         3192
        .size:           8
        .value_kind:     hidden_global_offset_x
      - .offset:         3200
        .size:           8
        .value_kind:     hidden_global_offset_y
      - .offset:         3208
        .size:           8
        .value_kind:     hidden_global_offset_z
      - .offset:         3216
        .size:           2
        .value_kind:     hidden_grid_dims
    .group_segment_fixed_size: 0
    .kernarg_segment_align: 8
    .kernarg_segment_size: 3408
    .language:       OpenCL C
    .language_version:
      - 2
      - 0
    .max_flat_workgroup_size: 512
    .name:           _ZN2at6native12_GLOBAL__N_125multi_tensor_apply_kernelINS1_18TensorListMetadataILi2EEENS1_14UnaryOpFunctorIfLi2ELi1ELi1EEEJNS0_5Log1pIfEEEEEvT_T0_DpT1_
    .private_segment_fixed_size: 0
    .sgpr_count:     32
    .sgpr_spill_count: 0
    .symbol:         _ZN2at6native12_GLOBAL__N_125multi_tensor_apply_kernelINS1_18TensorListMetadataILi2EEENS1_14UnaryOpFunctorIfLi2ELi1ELi1EEEJNS0_5Log1pIfEEEEEvT_T0_DpT1_.kd
    .uniform_work_group_size: 1
    .uses_dynamic_stack: false
    .vgpr_count:     62
    .vgpr_spill_count: 0
    .wavefront_size: 32
  - .args:
      - .offset:         0
        .size:           3144
        .value_kind:     by_value
      - .offset:         3144
        .size:           1
        .value_kind:     by_value
      - .offset:         3145
        .size:           1
        .value_kind:     by_value
      - .offset:         3152
        .size:           4
        .value_kind:     hidden_block_count_x
      - .offset:         3156
        .size:           4
        .value_kind:     hidden_block_count_y
      - .offset:         3160
        .size:           4
        .value_kind:     hidden_block_count_z
      - .offset:         3164
        .size:           2
        .value_kind:     hidden_group_size_x
      - .offset:         3166
        .size:           2
        .value_kind:     hidden_group_size_y
      - .offset:         3168
        .size:           2
        .value_kind:     hidden_group_size_z
      - .offset:         3170
        .size:           2
        .value_kind:     hidden_remainder_x
      - .offset:         3172
        .size:           2
        .value_kind:     hidden_remainder_y
      - .offset:         3174
        .size:           2
        .value_kind:     hidden_remainder_z
      - .offset:         3192
        .size:           8
        .value_kind:     hidden_global_offset_x
      - .offset:         3200
        .size:           8
        .value_kind:     hidden_global_offset_y
      - .offset:         3208
        .size:           8
        .value_kind:     hidden_global_offset_z
      - .offset:         3216
        .size:           2
        .value_kind:     hidden_grid_dims
    .group_segment_fixed_size: 0
    .kernarg_segment_align: 8
    .kernarg_segment_size: 3408
    .language:       OpenCL C
    .language_version:
      - 2
      - 0
    .max_flat_workgroup_size: 512
    .name:           _ZN2at6native12_GLOBAL__N_125multi_tensor_apply_kernelINS1_18TensorListMetadataILi2EEENS1_14UnaryOpFunctorIN3c107complexIdEELi2ELi1ELi1EEEJNS0_5Log1pIS8_EEEEEvT_T0_DpT1_
    .private_segment_fixed_size: 0
    .sgpr_count:     49
    .sgpr_spill_count: 0
    .symbol:         _ZN2at6native12_GLOBAL__N_125multi_tensor_apply_kernelINS1_18TensorListMetadataILi2EEENS1_14UnaryOpFunctorIN3c107complexIdEELi2ELi1ELi1EEEJNS0_5Log1pIS8_EEEEEvT_T0_DpT1_.kd
    .uniform_work_group_size: 1
    .uses_dynamic_stack: false
    .vgpr_count:     86
    .vgpr_spill_count: 0
    .wavefront_size: 32
  - .args:
      - .offset:         0
        .size:           3144
        .value_kind:     by_value
      - .offset:         3144
        .size:           1
        .value_kind:     by_value
      - .offset:         3145
        .size:           1
        .value_kind:     by_value
      - .offset:         3152
        .size:           4
        .value_kind:     hidden_block_count_x
      - .offset:         3156
        .size:           4
        .value_kind:     hidden_block_count_y
      - .offset:         3160
        .size:           4
        .value_kind:     hidden_block_count_z
      - .offset:         3164
        .size:           2
        .value_kind:     hidden_group_size_x
      - .offset:         3166
        .size:           2
        .value_kind:     hidden_group_size_y
      - .offset:         3168
        .size:           2
        .value_kind:     hidden_group_size_z
      - .offset:         3170
        .size:           2
        .value_kind:     hidden_remainder_x
      - .offset:         3172
        .size:           2
        .value_kind:     hidden_remainder_y
      - .offset:         3174
        .size:           2
        .value_kind:     hidden_remainder_z
      - .offset:         3192
        .size:           8
        .value_kind:     hidden_global_offset_x
      - .offset:         3200
        .size:           8
        .value_kind:     hidden_global_offset_y
      - .offset:         3208
        .size:           8
        .value_kind:     hidden_global_offset_z
      - .offset:         3216
        .size:           2
        .value_kind:     hidden_grid_dims
    .group_segment_fixed_size: 0
    .kernarg_segment_align: 8
    .kernarg_segment_size: 3408
    .language:       OpenCL C
    .language_version:
      - 2
      - 0
    .max_flat_workgroup_size: 512
    .name:           _ZN2at6native12_GLOBAL__N_125multi_tensor_apply_kernelINS1_18TensorListMetadataILi2EEENS1_14UnaryOpFunctorIN3c107complexIfEELi2ELi1ELi1EEEJNS0_5Log1pIS8_EEEEEvT_T0_DpT1_
    .private_segment_fixed_size: 0
    .sgpr_count:     28
    .sgpr_spill_count: 0
    .symbol:         _ZN2at6native12_GLOBAL__N_125multi_tensor_apply_kernelINS1_18TensorListMetadataILi2EEENS1_14UnaryOpFunctorIN3c107complexIfEELi2ELi1ELi1EEEJNS0_5Log1pIS8_EEEEEvT_T0_DpT1_.kd
    .uniform_work_group_size: 1
    .uses_dynamic_stack: false
    .vgpr_count:     54
    .vgpr_spill_count: 0
    .wavefront_size: 32
  - .args:
      - .offset:         0
        .size:           3144
        .value_kind:     by_value
      - .offset:         3144
        .size:           1
        .value_kind:     by_value
      - .offset:         3145
        .size:           1
        .value_kind:     by_value
      - .offset:         3152
        .size:           4
        .value_kind:     hidden_block_count_x
      - .offset:         3156
        .size:           4
        .value_kind:     hidden_block_count_y
      - .offset:         3160
        .size:           4
        .value_kind:     hidden_block_count_z
      - .offset:         3164
        .size:           2
        .value_kind:     hidden_group_size_x
      - .offset:         3166
        .size:           2
        .value_kind:     hidden_group_size_y
      - .offset:         3168
        .size:           2
        .value_kind:     hidden_group_size_z
      - .offset:         3170
        .size:           2
        .value_kind:     hidden_remainder_x
      - .offset:         3172
        .size:           2
        .value_kind:     hidden_remainder_y
      - .offset:         3174
        .size:           2
        .value_kind:     hidden_remainder_z
      - .offset:         3192
        .size:           8
        .value_kind:     hidden_global_offset_x
      - .offset:         3200
        .size:           8
        .value_kind:     hidden_global_offset_y
      - .offset:         3208
        .size:           8
        .value_kind:     hidden_global_offset_z
      - .offset:         3216
        .size:           2
        .value_kind:     hidden_grid_dims
    .group_segment_fixed_size: 0
    .kernarg_segment_align: 8
    .kernarg_segment_size: 3408
    .language:       OpenCL C
    .language_version:
      - 2
      - 0
    .max_flat_workgroup_size: 512
    .name:           _ZN2at6native12_GLOBAL__N_125multi_tensor_apply_kernelINS1_18TensorListMetadataILi2EEENS1_14UnaryOpFunctorIN3c104HalfELi2ELi1ELi1EEEJNS0_5Log1pIfEEEEEvT_T0_DpT1_
    .private_segment_fixed_size: 0
    .sgpr_count:     30
    .sgpr_spill_count: 0
    .symbol:         _ZN2at6native12_GLOBAL__N_125multi_tensor_apply_kernelINS1_18TensorListMetadataILi2EEENS1_14UnaryOpFunctorIN3c104HalfELi2ELi1ELi1EEEJNS0_5Log1pIfEEEEEvT_T0_DpT1_.kd
    .uniform_work_group_size: 1
    .uses_dynamic_stack: false
    .vgpr_count:     61
    .vgpr_spill_count: 0
    .wavefront_size: 32
  - .args:
      - .offset:         0
        .size:           3144
        .value_kind:     by_value
      - .offset:         3144
        .size:           1
        .value_kind:     by_value
      - .offset:         3145
        .size:           1
        .value_kind:     by_value
      - .offset:         3152
        .size:           4
        .value_kind:     hidden_block_count_x
      - .offset:         3156
        .size:           4
        .value_kind:     hidden_block_count_y
      - .offset:         3160
        .size:           4
        .value_kind:     hidden_block_count_z
      - .offset:         3164
        .size:           2
        .value_kind:     hidden_group_size_x
      - .offset:         3166
        .size:           2
        .value_kind:     hidden_group_size_y
      - .offset:         3168
        .size:           2
        .value_kind:     hidden_group_size_z
      - .offset:         3170
        .size:           2
        .value_kind:     hidden_remainder_x
      - .offset:         3172
        .size:           2
        .value_kind:     hidden_remainder_y
      - .offset:         3174
        .size:           2
        .value_kind:     hidden_remainder_z
      - .offset:         3192
        .size:           8
        .value_kind:     hidden_global_offset_x
      - .offset:         3200
        .size:           8
        .value_kind:     hidden_global_offset_y
      - .offset:         3208
        .size:           8
        .value_kind:     hidden_global_offset_z
      - .offset:         3216
        .size:           2
        .value_kind:     hidden_grid_dims
    .group_segment_fixed_size: 0
    .kernarg_segment_align: 8
    .kernarg_segment_size: 3408
    .language:       OpenCL C
    .language_version:
      - 2
      - 0
    .max_flat_workgroup_size: 512
    .name:           _ZN2at6native12_GLOBAL__N_125multi_tensor_apply_kernelINS1_18TensorListMetadataILi2EEENS1_14UnaryOpFunctorIN3c108BFloat16ELi2ELi1ELi1EEEJNS0_5Log1pIfEEEEEvT_T0_DpT1_
    .private_segment_fixed_size: 0
    .sgpr_count:     30
    .sgpr_spill_count: 0
    .symbol:         _ZN2at6native12_GLOBAL__N_125multi_tensor_apply_kernelINS1_18TensorListMetadataILi2EEENS1_14UnaryOpFunctorIN3c108BFloat16ELi2ELi1ELi1EEEJNS0_5Log1pIfEEEEEvT_T0_DpT1_.kd
    .uniform_work_group_size: 1
    .uses_dynamic_stack: false
    .vgpr_count:     62
    .vgpr_spill_count: 0
    .wavefront_size: 32
  - .args:
      - .offset:         0
        .size:           3368
        .value_kind:     by_value
      - .offset:         3368
        .size:           1
        .value_kind:     by_value
      - .offset:         3369
        .size:           1
        .value_kind:     by_value
      - .offset:         3376
        .size:           4
        .value_kind:     hidden_block_count_x
      - .offset:         3380
        .size:           4
        .value_kind:     hidden_block_count_y
      - .offset:         3384
        .size:           4
        .value_kind:     hidden_block_count_z
      - .offset:         3388
        .size:           2
        .value_kind:     hidden_group_size_x
      - .offset:         3390
        .size:           2
        .value_kind:     hidden_group_size_y
      - .offset:         3392
        .size:           2
        .value_kind:     hidden_group_size_z
      - .offset:         3394
        .size:           2
        .value_kind:     hidden_remainder_x
      - .offset:         3396
        .size:           2
        .value_kind:     hidden_remainder_y
      - .offset:         3398
        .size:           2
        .value_kind:     hidden_remainder_z
      - .offset:         3416
        .size:           8
        .value_kind:     hidden_global_offset_x
      - .offset:         3424
        .size:           8
        .value_kind:     hidden_global_offset_y
      - .offset:         3432
        .size:           8
        .value_kind:     hidden_global_offset_z
      - .offset:         3440
        .size:           2
        .value_kind:     hidden_grid_dims
    .group_segment_fixed_size: 0
    .kernarg_segment_align: 8
    .kernarg_segment_size: 3632
    .language:       OpenCL C
    .language_version:
      - 2
      - 0
    .max_flat_workgroup_size: 512
    .name:           _ZN2at6native12_GLOBAL__N_125multi_tensor_apply_kernelINS1_18TensorListMetadataILi1EEENS1_14UnaryOpFunctorIdLi1ELi1ELi0EEEJNS0_5Log1pIdEEEEEvT_T0_DpT1_
    .private_segment_fixed_size: 0
    .sgpr_count:     30
    .sgpr_spill_count: 0
    .symbol:         _ZN2at6native12_GLOBAL__N_125multi_tensor_apply_kernelINS1_18TensorListMetadataILi1EEENS1_14UnaryOpFunctorIdLi1ELi1ELi0EEEJNS0_5Log1pIdEEEEEvT_T0_DpT1_.kd
    .uniform_work_group_size: 1
    .uses_dynamic_stack: false
    .vgpr_count:     53
    .vgpr_spill_count: 0
    .wavefront_size: 32
  - .args:
      - .offset:         0
        .size:           3368
        .value_kind:     by_value
      - .offset:         3368
        .size:           1
        .value_kind:     by_value
      - .offset:         3369
        .size:           1
        .value_kind:     by_value
      - .offset:         3376
        .size:           4
        .value_kind:     hidden_block_count_x
      - .offset:         3380
        .size:           4
        .value_kind:     hidden_block_count_y
      - .offset:         3384
        .size:           4
        .value_kind:     hidden_block_count_z
      - .offset:         3388
        .size:           2
        .value_kind:     hidden_group_size_x
      - .offset:         3390
        .size:           2
        .value_kind:     hidden_group_size_y
      - .offset:         3392
        .size:           2
        .value_kind:     hidden_group_size_z
      - .offset:         3394
        .size:           2
        .value_kind:     hidden_remainder_x
      - .offset:         3396
        .size:           2
        .value_kind:     hidden_remainder_y
      - .offset:         3398
        .size:           2
        .value_kind:     hidden_remainder_z
      - .offset:         3416
        .size:           8
        .value_kind:     hidden_global_offset_x
      - .offset:         3424
        .size:           8
        .value_kind:     hidden_global_offset_y
      - .offset:         3432
        .size:           8
        .value_kind:     hidden_global_offset_z
      - .offset:         3440
        .size:           2
        .value_kind:     hidden_grid_dims
    .group_segment_fixed_size: 0
    .kernarg_segment_align: 8
    .kernarg_segment_size: 3632
    .language:       OpenCL C
    .language_version:
      - 2
      - 0
    .max_flat_workgroup_size: 512
    .name:           _ZN2at6native12_GLOBAL__N_125multi_tensor_apply_kernelINS1_18TensorListMetadataILi1EEENS1_14UnaryOpFunctorIfLi1ELi1ELi0EEEJNS0_5Log1pIfEEEEEvT_T0_DpT1_
    .private_segment_fixed_size: 0
    .sgpr_count:     25
    .sgpr_spill_count: 0
    .symbol:         _ZN2at6native12_GLOBAL__N_125multi_tensor_apply_kernelINS1_18TensorListMetadataILi1EEENS1_14UnaryOpFunctorIfLi1ELi1ELi0EEEJNS0_5Log1pIfEEEEEvT_T0_DpT1_.kd
    .uniform_work_group_size: 1
    .uses_dynamic_stack: false
    .vgpr_count:     60
    .vgpr_spill_count: 0
    .wavefront_size: 32
  - .args:
      - .offset:         0
        .size:           3368
        .value_kind:     by_value
      - .offset:         3368
        .size:           1
        .value_kind:     by_value
      - .offset:         3369
        .size:           1
        .value_kind:     by_value
      - .offset:         3376
        .size:           4
        .value_kind:     hidden_block_count_x
      - .offset:         3380
        .size:           4
        .value_kind:     hidden_block_count_y
      - .offset:         3384
        .size:           4
        .value_kind:     hidden_block_count_z
      - .offset:         3388
        .size:           2
        .value_kind:     hidden_group_size_x
      - .offset:         3390
        .size:           2
        .value_kind:     hidden_group_size_y
      - .offset:         3392
        .size:           2
        .value_kind:     hidden_group_size_z
      - .offset:         3394
        .size:           2
        .value_kind:     hidden_remainder_x
      - .offset:         3396
        .size:           2
        .value_kind:     hidden_remainder_y
      - .offset:         3398
        .size:           2
        .value_kind:     hidden_remainder_z
      - .offset:         3416
        .size:           8
        .value_kind:     hidden_global_offset_x
      - .offset:         3424
        .size:           8
        .value_kind:     hidden_global_offset_y
      - .offset:         3432
        .size:           8
        .value_kind:     hidden_global_offset_z
      - .offset:         3440
        .size:           2
        .value_kind:     hidden_grid_dims
    .group_segment_fixed_size: 0
    .kernarg_segment_align: 8
    .kernarg_segment_size: 3632
    .language:       OpenCL C
    .language_version:
      - 2
      - 0
    .max_flat_workgroup_size: 512
    .name:           _ZN2at6native12_GLOBAL__N_125multi_tensor_apply_kernelINS1_18TensorListMetadataILi1EEENS1_14UnaryOpFunctorIN3c107complexIdEELi1ELi1ELi0EEEJNS0_5Log1pIS8_EEEEEvT_T0_DpT1_
    .private_segment_fixed_size: 0
    .sgpr_count:     48
    .sgpr_spill_count: 0
    .symbol:         _ZN2at6native12_GLOBAL__N_125multi_tensor_apply_kernelINS1_18TensorListMetadataILi1EEENS1_14UnaryOpFunctorIN3c107complexIdEELi1ELi1ELi0EEEJNS0_5Log1pIS8_EEEEEvT_T0_DpT1_.kd
    .uniform_work_group_size: 1
    .uses_dynamic_stack: false
    .vgpr_count:     97
    .vgpr_spill_count: 0
    .wavefront_size: 32
  - .args:
      - .offset:         0
        .size:           3368
        .value_kind:     by_value
      - .offset:         3368
        .size:           1
        .value_kind:     by_value
      - .offset:         3369
        .size:           1
        .value_kind:     by_value
      - .offset:         3376
        .size:           4
        .value_kind:     hidden_block_count_x
      - .offset:         3380
        .size:           4
        .value_kind:     hidden_block_count_y
      - .offset:         3384
        .size:           4
        .value_kind:     hidden_block_count_z
      - .offset:         3388
        .size:           2
        .value_kind:     hidden_group_size_x
      - .offset:         3390
        .size:           2
        .value_kind:     hidden_group_size_y
      - .offset:         3392
        .size:           2
        .value_kind:     hidden_group_size_z
      - .offset:         3394
        .size:           2
        .value_kind:     hidden_remainder_x
      - .offset:         3396
        .size:           2
        .value_kind:     hidden_remainder_y
      - .offset:         3398
        .size:           2
        .value_kind:     hidden_remainder_z
      - .offset:         3416
        .size:           8
        .value_kind:     hidden_global_offset_x
      - .offset:         3424
        .size:           8
        .value_kind:     hidden_global_offset_y
      - .offset:         3432
        .size:           8
        .value_kind:     hidden_global_offset_z
      - .offset:         3440
        .size:           2
        .value_kind:     hidden_grid_dims
    .group_segment_fixed_size: 0
    .kernarg_segment_align: 8
    .kernarg_segment_size: 3632
    .language:       OpenCL C
    .language_version:
      - 2
      - 0
    .max_flat_workgroup_size: 512
    .name:           _ZN2at6native12_GLOBAL__N_125multi_tensor_apply_kernelINS1_18TensorListMetadataILi1EEENS1_14UnaryOpFunctorIN3c107complexIfEELi1ELi1ELi0EEEJNS0_5Log1pIS8_EEEEEvT_T0_DpT1_
    .private_segment_fixed_size: 0
    .sgpr_count:     26
    .sgpr_spill_count: 0
    .symbol:         _ZN2at6native12_GLOBAL__N_125multi_tensor_apply_kernelINS1_18TensorListMetadataILi1EEENS1_14UnaryOpFunctorIN3c107complexIfEELi1ELi1ELi0EEEJNS0_5Log1pIS8_EEEEEvT_T0_DpT1_.kd
    .uniform_work_group_size: 1
    .uses_dynamic_stack: false
    .vgpr_count:     66
    .vgpr_spill_count: 0
    .wavefront_size: 32
  - .args:
      - .offset:         0
        .size:           3368
        .value_kind:     by_value
      - .offset:         3368
        .size:           1
        .value_kind:     by_value
      - .offset:         3369
        .size:           1
        .value_kind:     by_value
      - .offset:         3376
        .size:           4
        .value_kind:     hidden_block_count_x
      - .offset:         3380
        .size:           4
        .value_kind:     hidden_block_count_y
      - .offset:         3384
        .size:           4
        .value_kind:     hidden_block_count_z
      - .offset:         3388
        .size:           2
        .value_kind:     hidden_group_size_x
      - .offset:         3390
        .size:           2
        .value_kind:     hidden_group_size_y
      - .offset:         3392
        .size:           2
        .value_kind:     hidden_group_size_z
      - .offset:         3394
        .size:           2
        .value_kind:     hidden_remainder_x
      - .offset:         3396
        .size:           2
        .value_kind:     hidden_remainder_y
      - .offset:         3398
        .size:           2
        .value_kind:     hidden_remainder_z
      - .offset:         3416
        .size:           8
        .value_kind:     hidden_global_offset_x
      - .offset:         3424
        .size:           8
        .value_kind:     hidden_global_offset_y
      - .offset:         3432
        .size:           8
        .value_kind:     hidden_global_offset_z
      - .offset:         3440
        .size:           2
        .value_kind:     hidden_grid_dims
    .group_segment_fixed_size: 0
    .kernarg_segment_align: 8
    .kernarg_segment_size: 3632
    .language:       OpenCL C
    .language_version:
      - 2
      - 0
    .max_flat_workgroup_size: 512
    .name:           _ZN2at6native12_GLOBAL__N_125multi_tensor_apply_kernelINS1_18TensorListMetadataILi1EEENS1_14UnaryOpFunctorIN3c104HalfELi1ELi1ELi0EEEJNS0_5Log1pIfEEEEEvT_T0_DpT1_
    .private_segment_fixed_size: 0
    .sgpr_count:     23
    .sgpr_spill_count: 0
    .symbol:         _ZN2at6native12_GLOBAL__N_125multi_tensor_apply_kernelINS1_18TensorListMetadataILi1EEENS1_14UnaryOpFunctorIN3c104HalfELi1ELi1ELi0EEEJNS0_5Log1pIfEEEEEvT_T0_DpT1_.kd
    .uniform_work_group_size: 1
    .uses_dynamic_stack: false
    .vgpr_count:     60
    .vgpr_spill_count: 0
    .wavefront_size: 32
  - .args:
      - .offset:         0
        .size:           3368
        .value_kind:     by_value
      - .offset:         3368
        .size:           1
        .value_kind:     by_value
      - .offset:         3369
        .size:           1
        .value_kind:     by_value
      - .offset:         3376
        .size:           4
        .value_kind:     hidden_block_count_x
      - .offset:         3380
        .size:           4
        .value_kind:     hidden_block_count_y
      - .offset:         3384
        .size:           4
        .value_kind:     hidden_block_count_z
      - .offset:         3388
        .size:           2
        .value_kind:     hidden_group_size_x
      - .offset:         3390
        .size:           2
        .value_kind:     hidden_group_size_y
      - .offset:         3392
        .size:           2
        .value_kind:     hidden_group_size_z
      - .offset:         3394
        .size:           2
        .value_kind:     hidden_remainder_x
      - .offset:         3396
        .size:           2
        .value_kind:     hidden_remainder_y
      - .offset:         3398
        .size:           2
        .value_kind:     hidden_remainder_z
      - .offset:         3416
        .size:           8
        .value_kind:     hidden_global_offset_x
      - .offset:         3424
        .size:           8
        .value_kind:     hidden_global_offset_y
      - .offset:         3432
        .size:           8
        .value_kind:     hidden_global_offset_z
      - .offset:         3440
        .size:           2
        .value_kind:     hidden_grid_dims
    .group_segment_fixed_size: 0
    .kernarg_segment_align: 8
    .kernarg_segment_size: 3632
    .language:       OpenCL C
    .language_version:
      - 2
      - 0
    .max_flat_workgroup_size: 512
    .name:           _ZN2at6native12_GLOBAL__N_125multi_tensor_apply_kernelINS1_18TensorListMetadataILi1EEENS1_14UnaryOpFunctorIN3c108BFloat16ELi1ELi1ELi0EEEJNS0_5Log1pIfEEEEEvT_T0_DpT1_
    .private_segment_fixed_size: 0
    .sgpr_count:     23
    .sgpr_spill_count: 0
    .symbol:         _ZN2at6native12_GLOBAL__N_125multi_tensor_apply_kernelINS1_18TensorListMetadataILi1EEENS1_14UnaryOpFunctorIN3c108BFloat16ELi1ELi1ELi0EEEJNS0_5Log1pIfEEEEEvT_T0_DpT1_.kd
    .uniform_work_group_size: 1
    .uses_dynamic_stack: false
    .vgpr_count:     58
    .vgpr_spill_count: 0
    .wavefront_size: 32
  - .args:
      - .offset:         0
        .size:           3144
        .value_kind:     by_value
      - .offset:         3144
        .size:           1
        .value_kind:     by_value
      - .offset:         3145
        .size:           1
        .value_kind:     by_value
      - .offset:         3152
        .size:           4
        .value_kind:     hidden_block_count_x
      - .offset:         3156
        .size:           4
        .value_kind:     hidden_block_count_y
      - .offset:         3160
        .size:           4
        .value_kind:     hidden_block_count_z
      - .offset:         3164
        .size:           2
        .value_kind:     hidden_group_size_x
      - .offset:         3166
        .size:           2
        .value_kind:     hidden_group_size_y
      - .offset:         3168
        .size:           2
        .value_kind:     hidden_group_size_z
      - .offset:         3170
        .size:           2
        .value_kind:     hidden_remainder_x
      - .offset:         3172
        .size:           2
        .value_kind:     hidden_remainder_y
      - .offset:         3174
        .size:           2
        .value_kind:     hidden_remainder_z
      - .offset:         3192
        .size:           8
        .value_kind:     hidden_global_offset_x
      - .offset:         3200
        .size:           8
        .value_kind:     hidden_global_offset_y
      - .offset:         3208
        .size:           8
        .value_kind:     hidden_global_offset_z
      - .offset:         3216
        .size:           2
        .value_kind:     hidden_grid_dims
    .group_segment_fixed_size: 0
    .kernarg_segment_align: 8
    .kernarg_segment_size: 3408
    .language:       OpenCL C
    .language_version:
      - 2
      - 0
    .max_flat_workgroup_size: 512
    .name:           _ZN2at6native12_GLOBAL__N_125multi_tensor_apply_kernelINS1_18TensorListMetadataILi2EEENS1_14UnaryOpFunctorIdLi2ELi1ELi1EEEJNS0_3CosIdEEEEEvT_T0_DpT1_
    .private_segment_fixed_size: 0
    .sgpr_count:     31
    .sgpr_spill_count: 0
    .symbol:         _ZN2at6native12_GLOBAL__N_125multi_tensor_apply_kernelINS1_18TensorListMetadataILi2EEENS1_14UnaryOpFunctorIdLi2ELi1ELi1EEEJNS0_3CosIdEEEEEvT_T0_DpT1_.kd
    .uniform_work_group_size: 1
    .uses_dynamic_stack: false
    .vgpr_count:     96
    .vgpr_spill_count: 0
    .wavefront_size: 32
  - .args:
      - .offset:         0
        .size:           3144
        .value_kind:     by_value
      - .offset:         3144
        .size:           1
        .value_kind:     by_value
      - .offset:         3145
        .size:           1
        .value_kind:     by_value
      - .offset:         3152
        .size:           4
        .value_kind:     hidden_block_count_x
      - .offset:         3156
        .size:           4
        .value_kind:     hidden_block_count_y
      - .offset:         3160
        .size:           4
        .value_kind:     hidden_block_count_z
      - .offset:         3164
        .size:           2
        .value_kind:     hidden_group_size_x
      - .offset:         3166
        .size:           2
        .value_kind:     hidden_group_size_y
      - .offset:         3168
        .size:           2
        .value_kind:     hidden_group_size_z
      - .offset:         3170
        .size:           2
        .value_kind:     hidden_remainder_x
      - .offset:         3172
        .size:           2
        .value_kind:     hidden_remainder_y
      - .offset:         3174
        .size:           2
        .value_kind:     hidden_remainder_z
      - .offset:         3192
        .size:           8
        .value_kind:     hidden_global_offset_x
      - .offset:         3200
        .size:           8
        .value_kind:     hidden_global_offset_y
      - .offset:         3208
        .size:           8
        .value_kind:     hidden_global_offset_z
      - .offset:         3216
        .size:           2
        .value_kind:     hidden_grid_dims
    .group_segment_fixed_size: 0
    .kernarg_segment_align: 8
    .kernarg_segment_size: 3408
    .language:       OpenCL C
    .language_version:
      - 2
      - 0
    .max_flat_workgroup_size: 512
    .name:           _ZN2at6native12_GLOBAL__N_125multi_tensor_apply_kernelINS1_18TensorListMetadataILi2EEENS1_14UnaryOpFunctorIfLi2ELi1ELi1EEEJNS0_3CosIfEEEEEvT_T0_DpT1_
    .private_segment_fixed_size: 0
    .sgpr_count:     26
    .sgpr_spill_count: 0
    .symbol:         _ZN2at6native12_GLOBAL__N_125multi_tensor_apply_kernelINS1_18TensorListMetadataILi2EEENS1_14UnaryOpFunctorIfLi2ELi1ELi1EEEJNS0_3CosIfEEEEEvT_T0_DpT1_.kd
    .uniform_work_group_size: 1
    .uses_dynamic_stack: false
    .vgpr_count:     54
    .vgpr_spill_count: 0
    .wavefront_size: 32
  - .args:
      - .offset:         0
        .size:           3144
        .value_kind:     by_value
      - .offset:         3144
        .size:           1
        .value_kind:     by_value
      - .offset:         3145
        .size:           1
        .value_kind:     by_value
      - .offset:         3152
        .size:           4
        .value_kind:     hidden_block_count_x
      - .offset:         3156
        .size:           4
        .value_kind:     hidden_block_count_y
      - .offset:         3160
        .size:           4
        .value_kind:     hidden_block_count_z
      - .offset:         3164
        .size:           2
        .value_kind:     hidden_group_size_x
      - .offset:         3166
        .size:           2
        .value_kind:     hidden_group_size_y
      - .offset:         3168
        .size:           2
        .value_kind:     hidden_group_size_z
      - .offset:         3170
        .size:           2
        .value_kind:     hidden_remainder_x
      - .offset:         3172
        .size:           2
        .value_kind:     hidden_remainder_y
      - .offset:         3174
        .size:           2
        .value_kind:     hidden_remainder_z
      - .offset:         3192
        .size:           8
        .value_kind:     hidden_global_offset_x
      - .offset:         3200
        .size:           8
        .value_kind:     hidden_global_offset_y
      - .offset:         3208
        .size:           8
        .value_kind:     hidden_global_offset_z
      - .offset:         3216
        .size:           2
        .value_kind:     hidden_grid_dims
    .group_segment_fixed_size: 0
    .kernarg_segment_align: 8
    .kernarg_segment_size: 3408
    .language:       OpenCL C
    .language_version:
      - 2
      - 0
    .max_flat_workgroup_size: 512
    .name:           _ZN2at6native12_GLOBAL__N_125multi_tensor_apply_kernelINS1_18TensorListMetadataILi2EEENS1_14UnaryOpFunctorIN3c107complexIdEELi2ELi1ELi1EEEJNS0_3CosIS8_EEEEEvT_T0_DpT1_
    .private_segment_fixed_size: 0
    .sgpr_count:     35
    .sgpr_spill_count: 0
    .symbol:         _ZN2at6native12_GLOBAL__N_125multi_tensor_apply_kernelINS1_18TensorListMetadataILi2EEENS1_14UnaryOpFunctorIN3c107complexIdEELi2ELi1ELi1EEEJNS0_3CosIS8_EEEEEvT_T0_DpT1_.kd
    .uniform_work_group_size: 1
    .uses_dynamic_stack: false
    .vgpr_count:     86
    .vgpr_spill_count: 0
    .wavefront_size: 32
  - .args:
      - .offset:         0
        .size:           3144
        .value_kind:     by_value
      - .offset:         3144
        .size:           1
        .value_kind:     by_value
      - .offset:         3145
        .size:           1
        .value_kind:     by_value
      - .offset:         3152
        .size:           4
        .value_kind:     hidden_block_count_x
      - .offset:         3156
        .size:           4
        .value_kind:     hidden_block_count_y
      - .offset:         3160
        .size:           4
        .value_kind:     hidden_block_count_z
      - .offset:         3164
        .size:           2
        .value_kind:     hidden_group_size_x
      - .offset:         3166
        .size:           2
        .value_kind:     hidden_group_size_y
      - .offset:         3168
        .size:           2
        .value_kind:     hidden_group_size_z
      - .offset:         3170
        .size:           2
        .value_kind:     hidden_remainder_x
      - .offset:         3172
        .size:           2
        .value_kind:     hidden_remainder_y
      - .offset:         3174
        .size:           2
        .value_kind:     hidden_remainder_z
      - .offset:         3192
        .size:           8
        .value_kind:     hidden_global_offset_x
      - .offset:         3200
        .size:           8
        .value_kind:     hidden_global_offset_y
      - .offset:         3208
        .size:           8
        .value_kind:     hidden_global_offset_z
      - .offset:         3216
        .size:           2
        .value_kind:     hidden_grid_dims
    .group_segment_fixed_size: 0
    .kernarg_segment_align: 8
    .kernarg_segment_size: 3408
    .language:       OpenCL C
    .language_version:
      - 2
      - 0
    .max_flat_workgroup_size: 512
    .name:           _ZN2at6native12_GLOBAL__N_125multi_tensor_apply_kernelINS1_18TensorListMetadataILi2EEENS1_14UnaryOpFunctorIN3c107complexIfEELi2ELi1ELi1EEEJNS0_3CosIS8_EEEEEvT_T0_DpT1_
    .private_segment_fixed_size: 0
    .sgpr_count:     35
    .sgpr_spill_count: 0
    .symbol:         _ZN2at6native12_GLOBAL__N_125multi_tensor_apply_kernelINS1_18TensorListMetadataILi2EEENS1_14UnaryOpFunctorIN3c107complexIfEELi2ELi1ELi1EEEJNS0_3CosIS8_EEEEEvT_T0_DpT1_.kd
    .uniform_work_group_size: 1
    .uses_dynamic_stack: false
    .vgpr_count:     42
    .vgpr_spill_count: 0
    .wavefront_size: 32
  - .args:
      - .offset:         0
        .size:           3144
        .value_kind:     by_value
      - .offset:         3144
        .size:           1
        .value_kind:     by_value
      - .offset:         3145
        .size:           1
        .value_kind:     by_value
      - .offset:         3152
        .size:           4
        .value_kind:     hidden_block_count_x
      - .offset:         3156
        .size:           4
        .value_kind:     hidden_block_count_y
      - .offset:         3160
        .size:           4
        .value_kind:     hidden_block_count_z
      - .offset:         3164
        .size:           2
        .value_kind:     hidden_group_size_x
      - .offset:         3166
        .size:           2
        .value_kind:     hidden_group_size_y
      - .offset:         3168
        .size:           2
        .value_kind:     hidden_group_size_z
      - .offset:         3170
        .size:           2
        .value_kind:     hidden_remainder_x
      - .offset:         3172
        .size:           2
        .value_kind:     hidden_remainder_y
      - .offset:         3174
        .size:           2
        .value_kind:     hidden_remainder_z
      - .offset:         3192
        .size:           8
        .value_kind:     hidden_global_offset_x
      - .offset:         3200
        .size:           8
        .value_kind:     hidden_global_offset_y
      - .offset:         3208
        .size:           8
        .value_kind:     hidden_global_offset_z
      - .offset:         3216
        .size:           2
        .value_kind:     hidden_grid_dims
    .group_segment_fixed_size: 0
    .kernarg_segment_align: 8
    .kernarg_segment_size: 3408
    .language:       OpenCL C
    .language_version:
      - 2
      - 0
    .max_flat_workgroup_size: 512
    .name:           _ZN2at6native12_GLOBAL__N_125multi_tensor_apply_kernelINS1_18TensorListMetadataILi2EEENS1_14UnaryOpFunctorIN3c104HalfELi2ELi1ELi1EEEJNS0_3CosIfEEEEEvT_T0_DpT1_
    .private_segment_fixed_size: 0
    .sgpr_count:     26
    .sgpr_spill_count: 0
    .symbol:         _ZN2at6native12_GLOBAL__N_125multi_tensor_apply_kernelINS1_18TensorListMetadataILi2EEENS1_14UnaryOpFunctorIN3c104HalfELi2ELi1ELi1EEEJNS0_3CosIfEEEEEvT_T0_DpT1_.kd
    .uniform_work_group_size: 1
    .uses_dynamic_stack: false
    .vgpr_count:     54
    .vgpr_spill_count: 0
    .wavefront_size: 32
  - .args:
      - .offset:         0
        .size:           3144
        .value_kind:     by_value
      - .offset:         3144
        .size:           1
        .value_kind:     by_value
      - .offset:         3145
        .size:           1
        .value_kind:     by_value
      - .offset:         3152
        .size:           4
        .value_kind:     hidden_block_count_x
      - .offset:         3156
        .size:           4
        .value_kind:     hidden_block_count_y
      - .offset:         3160
        .size:           4
        .value_kind:     hidden_block_count_z
      - .offset:         3164
        .size:           2
        .value_kind:     hidden_group_size_x
      - .offset:         3166
        .size:           2
        .value_kind:     hidden_group_size_y
      - .offset:         3168
        .size:           2
        .value_kind:     hidden_group_size_z
      - .offset:         3170
        .size:           2
        .value_kind:     hidden_remainder_x
      - .offset:         3172
        .size:           2
        .value_kind:     hidden_remainder_y
      - .offset:         3174
        .size:           2
        .value_kind:     hidden_remainder_z
      - .offset:         3192
        .size:           8
        .value_kind:     hidden_global_offset_x
      - .offset:         3200
        .size:           8
        .value_kind:     hidden_global_offset_y
      - .offset:         3208
        .size:           8
        .value_kind:     hidden_global_offset_z
      - .offset:         3216
        .size:           2
        .value_kind:     hidden_grid_dims
    .group_segment_fixed_size: 0
    .kernarg_segment_align: 8
    .kernarg_segment_size: 3408
    .language:       OpenCL C
    .language_version:
      - 2
      - 0
    .max_flat_workgroup_size: 512
    .name:           _ZN2at6native12_GLOBAL__N_125multi_tensor_apply_kernelINS1_18TensorListMetadataILi2EEENS1_14UnaryOpFunctorIN3c108BFloat16ELi2ELi1ELi1EEEJNS0_3CosIfEEEEEvT_T0_DpT1_
    .private_segment_fixed_size: 0
    .sgpr_count:     26
    .sgpr_spill_count: 0
    .symbol:         _ZN2at6native12_GLOBAL__N_125multi_tensor_apply_kernelINS1_18TensorListMetadataILi2EEENS1_14UnaryOpFunctorIN3c108BFloat16ELi2ELi1ELi1EEEJNS0_3CosIfEEEEEvT_T0_DpT1_.kd
    .uniform_work_group_size: 1
    .uses_dynamic_stack: false
    .vgpr_count:     54
    .vgpr_spill_count: 0
    .wavefront_size: 32
  - .args:
      - .offset:         0
        .size:           3368
        .value_kind:     by_value
      - .offset:         3368
        .size:           1
        .value_kind:     by_value
      - .offset:         3369
        .size:           1
        .value_kind:     by_value
      - .offset:         3376
        .size:           4
        .value_kind:     hidden_block_count_x
      - .offset:         3380
        .size:           4
        .value_kind:     hidden_block_count_y
      - .offset:         3384
        .size:           4
        .value_kind:     hidden_block_count_z
      - .offset:         3388
        .size:           2
        .value_kind:     hidden_group_size_x
      - .offset:         3390
        .size:           2
        .value_kind:     hidden_group_size_y
      - .offset:         3392
        .size:           2
        .value_kind:     hidden_group_size_z
      - .offset:         3394
        .size:           2
        .value_kind:     hidden_remainder_x
      - .offset:         3396
        .size:           2
        .value_kind:     hidden_remainder_y
      - .offset:         3398
        .size:           2
        .value_kind:     hidden_remainder_z
      - .offset:         3416
        .size:           8
        .value_kind:     hidden_global_offset_x
      - .offset:         3424
        .size:           8
        .value_kind:     hidden_global_offset_y
      - .offset:         3432
        .size:           8
        .value_kind:     hidden_global_offset_z
      - .offset:         3440
        .size:           2
        .value_kind:     hidden_grid_dims
    .group_segment_fixed_size: 0
    .kernarg_segment_align: 8
    .kernarg_segment_size: 3632
    .language:       OpenCL C
    .language_version:
      - 2
      - 0
    .max_flat_workgroup_size: 512
    .name:           _ZN2at6native12_GLOBAL__N_125multi_tensor_apply_kernelINS1_18TensorListMetadataILi1EEENS1_14UnaryOpFunctorIdLi1ELi1ELi0EEEJNS0_3CosIdEEEEEvT_T0_DpT1_
    .private_segment_fixed_size: 0
    .sgpr_count:     27
    .sgpr_spill_count: 0
    .symbol:         _ZN2at6native12_GLOBAL__N_125multi_tensor_apply_kernelINS1_18TensorListMetadataILi1EEENS1_14UnaryOpFunctorIdLi1ELi1ELi0EEEJNS0_3CosIdEEEEEvT_T0_DpT1_.kd
    .uniform_work_group_size: 1
    .uses_dynamic_stack: false
    .vgpr_count:     80
    .vgpr_spill_count: 0
    .wavefront_size: 32
  - .args:
      - .offset:         0
        .size:           3368
        .value_kind:     by_value
      - .offset:         3368
        .size:           1
        .value_kind:     by_value
      - .offset:         3369
        .size:           1
        .value_kind:     by_value
      - .offset:         3376
        .size:           4
        .value_kind:     hidden_block_count_x
      - .offset:         3380
        .size:           4
        .value_kind:     hidden_block_count_y
      - .offset:         3384
        .size:           4
        .value_kind:     hidden_block_count_z
      - .offset:         3388
        .size:           2
        .value_kind:     hidden_group_size_x
      - .offset:         3390
        .size:           2
        .value_kind:     hidden_group_size_y
      - .offset:         3392
        .size:           2
        .value_kind:     hidden_group_size_z
      - .offset:         3394
        .size:           2
        .value_kind:     hidden_remainder_x
      - .offset:         3396
        .size:           2
        .value_kind:     hidden_remainder_y
      - .offset:         3398
        .size:           2
        .value_kind:     hidden_remainder_z
      - .offset:         3416
        .size:           8
        .value_kind:     hidden_global_offset_x
      - .offset:         3424
        .size:           8
        .value_kind:     hidden_global_offset_y
      - .offset:         3432
        .size:           8
        .value_kind:     hidden_global_offset_z
      - .offset:         3440
        .size:           2
        .value_kind:     hidden_grid_dims
    .group_segment_fixed_size: 0
    .kernarg_segment_align: 8
    .kernarg_segment_size: 3632
    .language:       OpenCL C
    .language_version:
      - 2
      - 0
    .max_flat_workgroup_size: 512
    .name:           _ZN2at6native12_GLOBAL__N_125multi_tensor_apply_kernelINS1_18TensorListMetadataILi1EEENS1_14UnaryOpFunctorIfLi1ELi1ELi0EEEJNS0_3CosIfEEEEEvT_T0_DpT1_
    .private_segment_fixed_size: 0
    .sgpr_count:     32
    .sgpr_spill_count: 0
    .symbol:         _ZN2at6native12_GLOBAL__N_125multi_tensor_apply_kernelINS1_18TensorListMetadataILi1EEENS1_14UnaryOpFunctorIfLi1ELi1ELi0EEEJNS0_3CosIfEEEEEvT_T0_DpT1_.kd
    .uniform_work_group_size: 1
    .uses_dynamic_stack: false
    .vgpr_count:     46
    .vgpr_spill_count: 0
    .wavefront_size: 32
  - .args:
      - .offset:         0
        .size:           3368
        .value_kind:     by_value
      - .offset:         3368
        .size:           1
        .value_kind:     by_value
      - .offset:         3369
        .size:           1
        .value_kind:     by_value
      - .offset:         3376
        .size:           4
        .value_kind:     hidden_block_count_x
      - .offset:         3380
        .size:           4
        .value_kind:     hidden_block_count_y
      - .offset:         3384
        .size:           4
        .value_kind:     hidden_block_count_z
      - .offset:         3388
        .size:           2
        .value_kind:     hidden_group_size_x
      - .offset:         3390
        .size:           2
        .value_kind:     hidden_group_size_y
      - .offset:         3392
        .size:           2
        .value_kind:     hidden_group_size_z
      - .offset:         3394
        .size:           2
        .value_kind:     hidden_remainder_x
      - .offset:         3396
        .size:           2
        .value_kind:     hidden_remainder_y
      - .offset:         3398
        .size:           2
        .value_kind:     hidden_remainder_z
      - .offset:         3416
        .size:           8
        .value_kind:     hidden_global_offset_x
      - .offset:         3424
        .size:           8
        .value_kind:     hidden_global_offset_y
      - .offset:         3432
        .size:           8
        .value_kind:     hidden_global_offset_z
      - .offset:         3440
        .size:           2
        .value_kind:     hidden_grid_dims
    .group_segment_fixed_size: 0
    .kernarg_segment_align: 8
    .kernarg_segment_size: 3632
    .language:       OpenCL C
    .language_version:
      - 2
      - 0
    .max_flat_workgroup_size: 512
    .name:           _ZN2at6native12_GLOBAL__N_125multi_tensor_apply_kernelINS1_18TensorListMetadataILi1EEENS1_14UnaryOpFunctorIN3c107complexIdEELi1ELi1ELi0EEEJNS0_3CosIS8_EEEEEvT_T0_DpT1_
    .private_segment_fixed_size: 0
    .sgpr_count:     38
    .sgpr_spill_count: 0
    .symbol:         _ZN2at6native12_GLOBAL__N_125multi_tensor_apply_kernelINS1_18TensorListMetadataILi1EEENS1_14UnaryOpFunctorIN3c107complexIdEELi1ELi1ELi0EEEJNS0_3CosIS8_EEEEEvT_T0_DpT1_.kd
    .uniform_work_group_size: 1
    .uses_dynamic_stack: false
    .vgpr_count:     100
    .vgpr_spill_count: 0
    .wavefront_size: 32
  - .args:
      - .offset:         0
        .size:           3368
        .value_kind:     by_value
      - .offset:         3368
        .size:           1
        .value_kind:     by_value
      - .offset:         3369
        .size:           1
        .value_kind:     by_value
      - .offset:         3376
        .size:           4
        .value_kind:     hidden_block_count_x
      - .offset:         3380
        .size:           4
        .value_kind:     hidden_block_count_y
      - .offset:         3384
        .size:           4
        .value_kind:     hidden_block_count_z
      - .offset:         3388
        .size:           2
        .value_kind:     hidden_group_size_x
      - .offset:         3390
        .size:           2
        .value_kind:     hidden_group_size_y
      - .offset:         3392
        .size:           2
        .value_kind:     hidden_group_size_z
      - .offset:         3394
        .size:           2
        .value_kind:     hidden_remainder_x
      - .offset:         3396
        .size:           2
        .value_kind:     hidden_remainder_y
      - .offset:         3398
        .size:           2
        .value_kind:     hidden_remainder_z
      - .offset:         3416
        .size:           8
        .value_kind:     hidden_global_offset_x
      - .offset:         3424
        .size:           8
        .value_kind:     hidden_global_offset_y
      - .offset:         3432
        .size:           8
        .value_kind:     hidden_global_offset_z
      - .offset:         3440
        .size:           2
        .value_kind:     hidden_grid_dims
    .group_segment_fixed_size: 0
    .kernarg_segment_align: 8
    .kernarg_segment_size: 3632
    .language:       OpenCL C
    .language_version:
      - 2
      - 0
    .max_flat_workgroup_size: 512
    .name:           _ZN2at6native12_GLOBAL__N_125multi_tensor_apply_kernelINS1_18TensorListMetadataILi1EEENS1_14UnaryOpFunctorIN3c107complexIfEELi1ELi1ELi0EEEJNS0_3CosIS8_EEEEEvT_T0_DpT1_
    .private_segment_fixed_size: 0
    .sgpr_count:     38
    .sgpr_spill_count: 0
    .symbol:         _ZN2at6native12_GLOBAL__N_125multi_tensor_apply_kernelINS1_18TensorListMetadataILi1EEENS1_14UnaryOpFunctorIN3c107complexIfEELi1ELi1ELi0EEEJNS0_3CosIS8_EEEEEvT_T0_DpT1_.kd
    .uniform_work_group_size: 1
    .uses_dynamic_stack: false
    .vgpr_count:     56
    .vgpr_spill_count: 0
    .wavefront_size: 32
  - .args:
      - .offset:         0
        .size:           3368
        .value_kind:     by_value
      - .offset:         3368
        .size:           1
        .value_kind:     by_value
      - .offset:         3369
        .size:           1
        .value_kind:     by_value
      - .offset:         3376
        .size:           4
        .value_kind:     hidden_block_count_x
      - .offset:         3380
        .size:           4
        .value_kind:     hidden_block_count_y
      - .offset:         3384
        .size:           4
        .value_kind:     hidden_block_count_z
      - .offset:         3388
        .size:           2
        .value_kind:     hidden_group_size_x
      - .offset:         3390
        .size:           2
        .value_kind:     hidden_group_size_y
      - .offset:         3392
        .size:           2
        .value_kind:     hidden_group_size_z
      - .offset:         3394
        .size:           2
        .value_kind:     hidden_remainder_x
      - .offset:         3396
        .size:           2
        .value_kind:     hidden_remainder_y
      - .offset:         3398
        .size:           2
        .value_kind:     hidden_remainder_z
      - .offset:         3416
        .size:           8
        .value_kind:     hidden_global_offset_x
      - .offset:         3424
        .size:           8
        .value_kind:     hidden_global_offset_y
      - .offset:         3432
        .size:           8
        .value_kind:     hidden_global_offset_z
      - .offset:         3440
        .size:           2
        .value_kind:     hidden_grid_dims
    .group_segment_fixed_size: 0
    .kernarg_segment_align: 8
    .kernarg_segment_size: 3632
    .language:       OpenCL C
    .language_version:
      - 2
      - 0
    .max_flat_workgroup_size: 512
    .name:           _ZN2at6native12_GLOBAL__N_125multi_tensor_apply_kernelINS1_18TensorListMetadataILi1EEENS1_14UnaryOpFunctorIN3c104HalfELi1ELi1ELi0EEEJNS0_3CosIfEEEEEvT_T0_DpT1_
    .private_segment_fixed_size: 0
    .sgpr_count:     30
    .sgpr_spill_count: 0
    .symbol:         _ZN2at6native12_GLOBAL__N_125multi_tensor_apply_kernelINS1_18TensorListMetadataILi1EEENS1_14UnaryOpFunctorIN3c104HalfELi1ELi1ELi0EEEJNS0_3CosIfEEEEEvT_T0_DpT1_.kd
    .uniform_work_group_size: 1
    .uses_dynamic_stack: false
    .vgpr_count:     46
    .vgpr_spill_count: 0
    .wavefront_size: 32
  - .args:
      - .offset:         0
        .size:           3368
        .value_kind:     by_value
      - .offset:         3368
        .size:           1
        .value_kind:     by_value
      - .offset:         3369
        .size:           1
        .value_kind:     by_value
      - .offset:         3376
        .size:           4
        .value_kind:     hidden_block_count_x
      - .offset:         3380
        .size:           4
        .value_kind:     hidden_block_count_y
      - .offset:         3384
        .size:           4
        .value_kind:     hidden_block_count_z
      - .offset:         3388
        .size:           2
        .value_kind:     hidden_group_size_x
      - .offset:         3390
        .size:           2
        .value_kind:     hidden_group_size_y
      - .offset:         3392
        .size:           2
        .value_kind:     hidden_group_size_z
      - .offset:         3394
        .size:           2
        .value_kind:     hidden_remainder_x
      - .offset:         3396
        .size:           2
        .value_kind:     hidden_remainder_y
      - .offset:         3398
        .size:           2
        .value_kind:     hidden_remainder_z
      - .offset:         3416
        .size:           8
        .value_kind:     hidden_global_offset_x
      - .offset:         3424
        .size:           8
        .value_kind:     hidden_global_offset_y
      - .offset:         3432
        .size:           8
        .value_kind:     hidden_global_offset_z
      - .offset:         3440
        .size:           2
        .value_kind:     hidden_grid_dims
    .group_segment_fixed_size: 0
    .kernarg_segment_align: 8
    .kernarg_segment_size: 3632
    .language:       OpenCL C
    .language_version:
      - 2
      - 0
    .max_flat_workgroup_size: 512
    .name:           _ZN2at6native12_GLOBAL__N_125multi_tensor_apply_kernelINS1_18TensorListMetadataILi1EEENS1_14UnaryOpFunctorIN3c108BFloat16ELi1ELi1ELi0EEEJNS0_3CosIfEEEEEvT_T0_DpT1_
    .private_segment_fixed_size: 0
    .sgpr_count:     30
    .sgpr_spill_count: 0
    .symbol:         _ZN2at6native12_GLOBAL__N_125multi_tensor_apply_kernelINS1_18TensorListMetadataILi1EEENS1_14UnaryOpFunctorIN3c108BFloat16ELi1ELi1ELi0EEEJNS0_3CosIfEEEEEvT_T0_DpT1_.kd
    .uniform_work_group_size: 1
    .uses_dynamic_stack: false
    .vgpr_count:     46
    .vgpr_spill_count: 0
    .wavefront_size: 32
  - .args:
      - .offset:         0
        .size:           3144
        .value_kind:     by_value
      - .offset:         3144
        .size:           1
        .value_kind:     by_value
      - .offset:         3145
        .size:           1
        .value_kind:     by_value
      - .offset:         3152
        .size:           4
        .value_kind:     hidden_block_count_x
      - .offset:         3156
        .size:           4
        .value_kind:     hidden_block_count_y
      - .offset:         3160
        .size:           4
        .value_kind:     hidden_block_count_z
      - .offset:         3164
        .size:           2
        .value_kind:     hidden_group_size_x
      - .offset:         3166
        .size:           2
        .value_kind:     hidden_group_size_y
      - .offset:         3168
        .size:           2
        .value_kind:     hidden_group_size_z
      - .offset:         3170
        .size:           2
        .value_kind:     hidden_remainder_x
      - .offset:         3172
        .size:           2
        .value_kind:     hidden_remainder_y
      - .offset:         3174
        .size:           2
        .value_kind:     hidden_remainder_z
      - .offset:         3192
        .size:           8
        .value_kind:     hidden_global_offset_x
      - .offset:         3200
        .size:           8
        .value_kind:     hidden_global_offset_y
      - .offset:         3208
        .size:           8
        .value_kind:     hidden_global_offset_z
      - .offset:         3216
        .size:           2
        .value_kind:     hidden_grid_dims
    .group_segment_fixed_size: 0
    .kernarg_segment_align: 8
    .kernarg_segment_size: 3408
    .language:       OpenCL C
    .language_version:
      - 2
      - 0
    .max_flat_workgroup_size: 512
    .name:           _ZN2at6native12_GLOBAL__N_125multi_tensor_apply_kernelINS1_18TensorListMetadataILi2EEENS1_14UnaryOpFunctorIdLi2ELi1ELi1EEEJNS0_4SqrtIdEEEEEvT_T0_DpT1_
    .private_segment_fixed_size: 0
    .sgpr_count:     22
    .sgpr_spill_count: 0
    .symbol:         _ZN2at6native12_GLOBAL__N_125multi_tensor_apply_kernelINS1_18TensorListMetadataILi2EEENS1_14UnaryOpFunctorIdLi2ELi1ELi1EEEJNS0_4SqrtIdEEEEEvT_T0_DpT1_.kd
    .uniform_work_group_size: 1
    .uses_dynamic_stack: false
    .vgpr_count:     42
    .vgpr_spill_count: 0
    .wavefront_size: 32
  - .args:
      - .offset:         0
        .size:           3144
        .value_kind:     by_value
      - .offset:         3144
        .size:           1
        .value_kind:     by_value
      - .offset:         3145
        .size:           1
        .value_kind:     by_value
      - .offset:         3152
        .size:           4
        .value_kind:     hidden_block_count_x
      - .offset:         3156
        .size:           4
        .value_kind:     hidden_block_count_y
      - .offset:         3160
        .size:           4
        .value_kind:     hidden_block_count_z
      - .offset:         3164
        .size:           2
        .value_kind:     hidden_group_size_x
      - .offset:         3166
        .size:           2
        .value_kind:     hidden_group_size_y
      - .offset:         3168
        .size:           2
        .value_kind:     hidden_group_size_z
      - .offset:         3170
        .size:           2
        .value_kind:     hidden_remainder_x
      - .offset:         3172
        .size:           2
        .value_kind:     hidden_remainder_y
      - .offset:         3174
        .size:           2
        .value_kind:     hidden_remainder_z
      - .offset:         3192
        .size:           8
        .value_kind:     hidden_global_offset_x
      - .offset:         3200
        .size:           8
        .value_kind:     hidden_global_offset_y
      - .offset:         3208
        .size:           8
        .value_kind:     hidden_global_offset_z
      - .offset:         3216
        .size:           2
        .value_kind:     hidden_grid_dims
    .group_segment_fixed_size: 0
    .kernarg_segment_align: 8
    .kernarg_segment_size: 3408
    .language:       OpenCL C
    .language_version:
      - 2
      - 0
    .max_flat_workgroup_size: 512
    .name:           _ZN2at6native12_GLOBAL__N_125multi_tensor_apply_kernelINS1_18TensorListMetadataILi2EEENS1_14UnaryOpFunctorIfLi2ELi1ELi1EEEJNS0_4SqrtIfEEEEEvT_T0_DpT1_
    .private_segment_fixed_size: 0
    .sgpr_count:     26
    .sgpr_spill_count: 0
    .symbol:         _ZN2at6native12_GLOBAL__N_125multi_tensor_apply_kernelINS1_18TensorListMetadataILi2EEENS1_14UnaryOpFunctorIfLi2ELi1ELi1EEEJNS0_4SqrtIfEEEEEvT_T0_DpT1_.kd
    .uniform_work_group_size: 1
    .uses_dynamic_stack: false
    .vgpr_count:     37
    .vgpr_spill_count: 0
    .wavefront_size: 32
  - .args:
      - .offset:         0
        .size:           3144
        .value_kind:     by_value
      - .offset:         3144
        .size:           1
        .value_kind:     by_value
      - .offset:         3145
        .size:           1
        .value_kind:     by_value
      - .offset:         3152
        .size:           4
        .value_kind:     hidden_block_count_x
      - .offset:         3156
        .size:           4
        .value_kind:     hidden_block_count_y
      - .offset:         3160
        .size:           4
        .value_kind:     hidden_block_count_z
      - .offset:         3164
        .size:           2
        .value_kind:     hidden_group_size_x
      - .offset:         3166
        .size:           2
        .value_kind:     hidden_group_size_y
      - .offset:         3168
        .size:           2
        .value_kind:     hidden_group_size_z
      - .offset:         3170
        .size:           2
        .value_kind:     hidden_remainder_x
      - .offset:         3172
        .size:           2
        .value_kind:     hidden_remainder_y
      - .offset:         3174
        .size:           2
        .value_kind:     hidden_remainder_z
      - .offset:         3192
        .size:           8
        .value_kind:     hidden_global_offset_x
      - .offset:         3200
        .size:           8
        .value_kind:     hidden_global_offset_y
      - .offset:         3208
        .size:           8
        .value_kind:     hidden_global_offset_z
      - .offset:         3216
        .size:           2
        .value_kind:     hidden_grid_dims
    .group_segment_fixed_size: 0
    .kernarg_segment_align: 8
    .kernarg_segment_size: 3408
    .language:       OpenCL C
    .language_version:
      - 2
      - 0
    .max_flat_workgroup_size: 512
    .name:           _ZN2at6native12_GLOBAL__N_125multi_tensor_apply_kernelINS1_18TensorListMetadataILi2EEENS1_14UnaryOpFunctorIN3c107complexIdEELi2ELi1ELi1EEEJNS0_4SqrtIS8_EEEEEvT_T0_DpT1_
    .private_segment_fixed_size: 0
    .sgpr_count:     31
    .sgpr_spill_count: 0
    .symbol:         _ZN2at6native12_GLOBAL__N_125multi_tensor_apply_kernelINS1_18TensorListMetadataILi2EEENS1_14UnaryOpFunctorIN3c107complexIdEELi2ELi1ELi1EEEJNS0_4SqrtIS8_EEEEEvT_T0_DpT1_.kd
    .uniform_work_group_size: 1
    .uses_dynamic_stack: false
    .vgpr_count:     42
    .vgpr_spill_count: 0
    .wavefront_size: 32
  - .args:
      - .offset:         0
        .size:           3144
        .value_kind:     by_value
      - .offset:         3144
        .size:           1
        .value_kind:     by_value
      - .offset:         3145
        .size:           1
        .value_kind:     by_value
      - .offset:         3152
        .size:           4
        .value_kind:     hidden_block_count_x
      - .offset:         3156
        .size:           4
        .value_kind:     hidden_block_count_y
      - .offset:         3160
        .size:           4
        .value_kind:     hidden_block_count_z
      - .offset:         3164
        .size:           2
        .value_kind:     hidden_group_size_x
      - .offset:         3166
        .size:           2
        .value_kind:     hidden_group_size_y
      - .offset:         3168
        .size:           2
        .value_kind:     hidden_group_size_z
      - .offset:         3170
        .size:           2
        .value_kind:     hidden_remainder_x
      - .offset:         3172
        .size:           2
        .value_kind:     hidden_remainder_y
      - .offset:         3174
        .size:           2
        .value_kind:     hidden_remainder_z
      - .offset:         3192
        .size:           8
        .value_kind:     hidden_global_offset_x
      - .offset:         3200
        .size:           8
        .value_kind:     hidden_global_offset_y
      - .offset:         3208
        .size:           8
        .value_kind:     hidden_global_offset_z
      - .offset:         3216
        .size:           2
        .value_kind:     hidden_grid_dims
    .group_segment_fixed_size: 0
    .kernarg_segment_align: 8
    .kernarg_segment_size: 3408
    .language:       OpenCL C
    .language_version:
      - 2
      - 0
    .max_flat_workgroup_size: 512
    .name:           _ZN2at6native12_GLOBAL__N_125multi_tensor_apply_kernelINS1_18TensorListMetadataILi2EEENS1_14UnaryOpFunctorIN3c107complexIfEELi2ELi1ELi1EEEJNS0_4SqrtIS8_EEEEEvT_T0_DpT1_
    .private_segment_fixed_size: 0
    .sgpr_count:     30
    .sgpr_spill_count: 0
    .symbol:         _ZN2at6native12_GLOBAL__N_125multi_tensor_apply_kernelINS1_18TensorListMetadataILi2EEENS1_14UnaryOpFunctorIN3c107complexIfEELi2ELi1ELi1EEEJNS0_4SqrtIS8_EEEEEvT_T0_DpT1_.kd
    .uniform_work_group_size: 1
    .uses_dynamic_stack: false
    .vgpr_count:     29
    .vgpr_spill_count: 0
    .wavefront_size: 32
  - .args:
      - .offset:         0
        .size:           3144
        .value_kind:     by_value
      - .offset:         3144
        .size:           1
        .value_kind:     by_value
      - .offset:         3145
        .size:           1
        .value_kind:     by_value
      - .offset:         3152
        .size:           4
        .value_kind:     hidden_block_count_x
      - .offset:         3156
        .size:           4
        .value_kind:     hidden_block_count_y
      - .offset:         3160
        .size:           4
        .value_kind:     hidden_block_count_z
      - .offset:         3164
        .size:           2
        .value_kind:     hidden_group_size_x
      - .offset:         3166
        .size:           2
        .value_kind:     hidden_group_size_y
      - .offset:         3168
        .size:           2
        .value_kind:     hidden_group_size_z
      - .offset:         3170
        .size:           2
        .value_kind:     hidden_remainder_x
      - .offset:         3172
        .size:           2
        .value_kind:     hidden_remainder_y
      - .offset:         3174
        .size:           2
        .value_kind:     hidden_remainder_z
      - .offset:         3192
        .size:           8
        .value_kind:     hidden_global_offset_x
      - .offset:         3200
        .size:           8
        .value_kind:     hidden_global_offset_y
      - .offset:         3208
        .size:           8
        .value_kind:     hidden_global_offset_z
      - .offset:         3216
        .size:           2
        .value_kind:     hidden_grid_dims
    .group_segment_fixed_size: 0
    .kernarg_segment_align: 8
    .kernarg_segment_size: 3408
    .language:       OpenCL C
    .language_version:
      - 2
      - 0
    .max_flat_workgroup_size: 512
    .name:           _ZN2at6native12_GLOBAL__N_125multi_tensor_apply_kernelINS1_18TensorListMetadataILi2EEENS1_14UnaryOpFunctorIN3c104HalfELi2ELi1ELi1EEEJNS0_4SqrtIfEEEEEvT_T0_DpT1_
    .private_segment_fixed_size: 0
    .sgpr_count:     22
    .sgpr_spill_count: 0
    .symbol:         _ZN2at6native12_GLOBAL__N_125multi_tensor_apply_kernelINS1_18TensorListMetadataILi2EEENS1_14UnaryOpFunctorIN3c104HalfELi2ELi1ELi1EEEJNS0_4SqrtIfEEEEEvT_T0_DpT1_.kd
    .uniform_work_group_size: 1
    .uses_dynamic_stack: false
    .vgpr_count:     36
    .vgpr_spill_count: 0
    .wavefront_size: 32
  - .args:
      - .offset:         0
        .size:           3144
        .value_kind:     by_value
      - .offset:         3144
        .size:           1
        .value_kind:     by_value
      - .offset:         3145
        .size:           1
        .value_kind:     by_value
      - .offset:         3152
        .size:           4
        .value_kind:     hidden_block_count_x
      - .offset:         3156
        .size:           4
        .value_kind:     hidden_block_count_y
      - .offset:         3160
        .size:           4
        .value_kind:     hidden_block_count_z
      - .offset:         3164
        .size:           2
        .value_kind:     hidden_group_size_x
      - .offset:         3166
        .size:           2
        .value_kind:     hidden_group_size_y
      - .offset:         3168
        .size:           2
        .value_kind:     hidden_group_size_z
      - .offset:         3170
        .size:           2
        .value_kind:     hidden_remainder_x
      - .offset:         3172
        .size:           2
        .value_kind:     hidden_remainder_y
      - .offset:         3174
        .size:           2
        .value_kind:     hidden_remainder_z
      - .offset:         3192
        .size:           8
        .value_kind:     hidden_global_offset_x
      - .offset:         3200
        .size:           8
        .value_kind:     hidden_global_offset_y
      - .offset:         3208
        .size:           8
        .value_kind:     hidden_global_offset_z
      - .offset:         3216
        .size:           2
        .value_kind:     hidden_grid_dims
    .group_segment_fixed_size: 0
    .kernarg_segment_align: 8
    .kernarg_segment_size: 3408
    .language:       OpenCL C
    .language_version:
      - 2
      - 0
    .max_flat_workgroup_size: 512
    .name:           _ZN2at6native12_GLOBAL__N_125multi_tensor_apply_kernelINS1_18TensorListMetadataILi2EEENS1_14UnaryOpFunctorIN3c108BFloat16ELi2ELi1ELi1EEEJNS0_4SqrtIfEEEEEvT_T0_DpT1_
    .private_segment_fixed_size: 0
    .sgpr_count:     24
    .sgpr_spill_count: 0
    .symbol:         _ZN2at6native12_GLOBAL__N_125multi_tensor_apply_kernelINS1_18TensorListMetadataILi2EEENS1_14UnaryOpFunctorIN3c108BFloat16ELi2ELi1ELi1EEEJNS0_4SqrtIfEEEEEvT_T0_DpT1_.kd
    .uniform_work_group_size: 1
    .uses_dynamic_stack: false
    .vgpr_count:     38
    .vgpr_spill_count: 0
    .wavefront_size: 32
  - .args:
      - .offset:         0
        .size:           3368
        .value_kind:     by_value
      - .offset:         3368
        .size:           1
        .value_kind:     by_value
      - .offset:         3369
        .size:           1
        .value_kind:     by_value
      - .offset:         3376
        .size:           4
        .value_kind:     hidden_block_count_x
      - .offset:         3380
        .size:           4
        .value_kind:     hidden_block_count_y
      - .offset:         3384
        .size:           4
        .value_kind:     hidden_block_count_z
      - .offset:         3388
        .size:           2
        .value_kind:     hidden_group_size_x
      - .offset:         3390
        .size:           2
        .value_kind:     hidden_group_size_y
      - .offset:         3392
        .size:           2
        .value_kind:     hidden_group_size_z
      - .offset:         3394
        .size:           2
        .value_kind:     hidden_remainder_x
      - .offset:         3396
        .size:           2
        .value_kind:     hidden_remainder_y
      - .offset:         3398
        .size:           2
        .value_kind:     hidden_remainder_z
      - .offset:         3416
        .size:           8
        .value_kind:     hidden_global_offset_x
      - .offset:         3424
        .size:           8
        .value_kind:     hidden_global_offset_y
      - .offset:         3432
        .size:           8
        .value_kind:     hidden_global_offset_z
      - .offset:         3440
        .size:           2
        .value_kind:     hidden_grid_dims
    .group_segment_fixed_size: 0
    .kernarg_segment_align: 8
    .kernarg_segment_size: 3632
    .language:       OpenCL C
    .language_version:
      - 2
      - 0
    .max_flat_workgroup_size: 512
    .name:           _ZN2at6native12_GLOBAL__N_125multi_tensor_apply_kernelINS1_18TensorListMetadataILi1EEENS1_14UnaryOpFunctorIdLi1ELi1ELi0EEEJNS0_4SqrtIdEEEEEvT_T0_DpT1_
    .private_segment_fixed_size: 0
    .sgpr_count:     25
    .sgpr_spill_count: 0
    .symbol:         _ZN2at6native12_GLOBAL__N_125multi_tensor_apply_kernelINS1_18TensorListMetadataILi1EEENS1_14UnaryOpFunctorIdLi1ELi1ELi0EEEJNS0_4SqrtIdEEEEEvT_T0_DpT1_.kd
    .uniform_work_group_size: 1
    .uses_dynamic_stack: false
    .vgpr_count:     38
    .vgpr_spill_count: 0
    .wavefront_size: 32
  - .args:
      - .offset:         0
        .size:           3368
        .value_kind:     by_value
      - .offset:         3368
        .size:           1
        .value_kind:     by_value
      - .offset:         3369
        .size:           1
        .value_kind:     by_value
      - .offset:         3376
        .size:           4
        .value_kind:     hidden_block_count_x
      - .offset:         3380
        .size:           4
        .value_kind:     hidden_block_count_y
      - .offset:         3384
        .size:           4
        .value_kind:     hidden_block_count_z
      - .offset:         3388
        .size:           2
        .value_kind:     hidden_group_size_x
      - .offset:         3390
        .size:           2
        .value_kind:     hidden_group_size_y
      - .offset:         3392
        .size:           2
        .value_kind:     hidden_group_size_z
      - .offset:         3394
        .size:           2
        .value_kind:     hidden_remainder_x
      - .offset:         3396
        .size:           2
        .value_kind:     hidden_remainder_y
      - .offset:         3398
        .size:           2
        .value_kind:     hidden_remainder_z
      - .offset:         3416
        .size:           8
        .value_kind:     hidden_global_offset_x
      - .offset:         3424
        .size:           8
        .value_kind:     hidden_global_offset_y
      - .offset:         3432
        .size:           8
        .value_kind:     hidden_global_offset_z
      - .offset:         3440
        .size:           2
        .value_kind:     hidden_grid_dims
    .group_segment_fixed_size: 0
    .kernarg_segment_align: 8
    .kernarg_segment_size: 3632
    .language:       OpenCL C
    .language_version:
      - 2
      - 0
    .max_flat_workgroup_size: 512
    .name:           _ZN2at6native12_GLOBAL__N_125multi_tensor_apply_kernelINS1_18TensorListMetadataILi1EEENS1_14UnaryOpFunctorIfLi1ELi1ELi0EEEJNS0_4SqrtIfEEEEEvT_T0_DpT1_
    .private_segment_fixed_size: 0
    .sgpr_count:     26
    .sgpr_spill_count: 0
    .symbol:         _ZN2at6native12_GLOBAL__N_125multi_tensor_apply_kernelINS1_18TensorListMetadataILi1EEENS1_14UnaryOpFunctorIfLi1ELi1ELi0EEEJNS0_4SqrtIfEEEEEvT_T0_DpT1_.kd
    .uniform_work_group_size: 1
    .uses_dynamic_stack: false
    .vgpr_count:     60
    .vgpr_spill_count: 0
    .wavefront_size: 32
  - .args:
      - .offset:         0
        .size:           3368
        .value_kind:     by_value
      - .offset:         3368
        .size:           1
        .value_kind:     by_value
      - .offset:         3369
        .size:           1
        .value_kind:     by_value
      - .offset:         3376
        .size:           4
        .value_kind:     hidden_block_count_x
      - .offset:         3380
        .size:           4
        .value_kind:     hidden_block_count_y
      - .offset:         3384
        .size:           4
        .value_kind:     hidden_block_count_z
      - .offset:         3388
        .size:           2
        .value_kind:     hidden_group_size_x
      - .offset:         3390
        .size:           2
        .value_kind:     hidden_group_size_y
      - .offset:         3392
        .size:           2
        .value_kind:     hidden_group_size_z
      - .offset:         3394
        .size:           2
        .value_kind:     hidden_remainder_x
      - .offset:         3396
        .size:           2
        .value_kind:     hidden_remainder_y
      - .offset:         3398
        .size:           2
        .value_kind:     hidden_remainder_z
      - .offset:         3416
        .size:           8
        .value_kind:     hidden_global_offset_x
      - .offset:         3424
        .size:           8
        .value_kind:     hidden_global_offset_y
      - .offset:         3432
        .size:           8
        .value_kind:     hidden_global_offset_z
      - .offset:         3440
        .size:           2
        .value_kind:     hidden_grid_dims
    .group_segment_fixed_size: 0
    .kernarg_segment_align: 8
    .kernarg_segment_size: 3632
    .language:       OpenCL C
    .language_version:
      - 2
      - 0
    .max_flat_workgroup_size: 512
    .name:           _ZN2at6native12_GLOBAL__N_125multi_tensor_apply_kernelINS1_18TensorListMetadataILi1EEENS1_14UnaryOpFunctorIN3c107complexIdEELi1ELi1ELi0EEEJNS0_4SqrtIS8_EEEEEvT_T0_DpT1_
    .private_segment_fixed_size: 0
    .sgpr_count:     33
    .sgpr_spill_count: 0
    .symbol:         _ZN2at6native12_GLOBAL__N_125multi_tensor_apply_kernelINS1_18TensorListMetadataILi1EEENS1_14UnaryOpFunctorIN3c107complexIdEELi1ELi1ELi0EEEJNS0_4SqrtIS8_EEEEEvT_T0_DpT1_.kd
    .uniform_work_group_size: 1
    .uses_dynamic_stack: false
    .vgpr_count:     56
    .vgpr_spill_count: 0
    .wavefront_size: 32
  - .args:
      - .offset:         0
        .size:           3368
        .value_kind:     by_value
      - .offset:         3368
        .size:           1
        .value_kind:     by_value
      - .offset:         3369
        .size:           1
        .value_kind:     by_value
      - .offset:         3376
        .size:           4
        .value_kind:     hidden_block_count_x
      - .offset:         3380
        .size:           4
        .value_kind:     hidden_block_count_y
      - .offset:         3384
        .size:           4
        .value_kind:     hidden_block_count_z
      - .offset:         3388
        .size:           2
        .value_kind:     hidden_group_size_x
      - .offset:         3390
        .size:           2
        .value_kind:     hidden_group_size_y
      - .offset:         3392
        .size:           2
        .value_kind:     hidden_group_size_z
      - .offset:         3394
        .size:           2
        .value_kind:     hidden_remainder_x
      - .offset:         3396
        .size:           2
        .value_kind:     hidden_remainder_y
      - .offset:         3398
        .size:           2
        .value_kind:     hidden_remainder_z
      - .offset:         3416
        .size:           8
        .value_kind:     hidden_global_offset_x
      - .offset:         3424
        .size:           8
        .value_kind:     hidden_global_offset_y
      - .offset:         3432
        .size:           8
        .value_kind:     hidden_global_offset_z
      - .offset:         3440
        .size:           2
        .value_kind:     hidden_grid_dims
    .group_segment_fixed_size: 0
    .kernarg_segment_align: 8
    .kernarg_segment_size: 3632
    .language:       OpenCL C
    .language_version:
      - 2
      - 0
    .max_flat_workgroup_size: 512
    .name:           _ZN2at6native12_GLOBAL__N_125multi_tensor_apply_kernelINS1_18TensorListMetadataILi1EEENS1_14UnaryOpFunctorIN3c107complexIfEELi1ELi1ELi0EEEJNS0_4SqrtIS8_EEEEEvT_T0_DpT1_
    .private_segment_fixed_size: 0
    .sgpr_count:     32
    .sgpr_spill_count: 0
    .symbol:         _ZN2at6native12_GLOBAL__N_125multi_tensor_apply_kernelINS1_18TensorListMetadataILi1EEENS1_14UnaryOpFunctorIN3c107complexIfEELi1ELi1ELi0EEEJNS0_4SqrtIS8_EEEEEvT_T0_DpT1_.kd
    .uniform_work_group_size: 1
    .uses_dynamic_stack: false
    .vgpr_count:     43
    .vgpr_spill_count: 0
    .wavefront_size: 32
  - .args:
      - .offset:         0
        .size:           3368
        .value_kind:     by_value
      - .offset:         3368
        .size:           1
        .value_kind:     by_value
      - .offset:         3369
        .size:           1
        .value_kind:     by_value
      - .offset:         3376
        .size:           4
        .value_kind:     hidden_block_count_x
      - .offset:         3380
        .size:           4
        .value_kind:     hidden_block_count_y
      - .offset:         3384
        .size:           4
        .value_kind:     hidden_block_count_z
      - .offset:         3388
        .size:           2
        .value_kind:     hidden_group_size_x
      - .offset:         3390
        .size:           2
        .value_kind:     hidden_group_size_y
      - .offset:         3392
        .size:           2
        .value_kind:     hidden_group_size_z
      - .offset:         3394
        .size:           2
        .value_kind:     hidden_remainder_x
      - .offset:         3396
        .size:           2
        .value_kind:     hidden_remainder_y
      - .offset:         3398
        .size:           2
        .value_kind:     hidden_remainder_z
      - .offset:         3416
        .size:           8
        .value_kind:     hidden_global_offset_x
      - .offset:         3424
        .size:           8
        .value_kind:     hidden_global_offset_y
      - .offset:         3432
        .size:           8
        .value_kind:     hidden_global_offset_z
      - .offset:         3440
        .size:           2
        .value_kind:     hidden_grid_dims
    .group_segment_fixed_size: 0
    .kernarg_segment_align: 8
    .kernarg_segment_size: 3632
    .language:       OpenCL C
    .language_version:
      - 2
      - 0
    .max_flat_workgroup_size: 512
    .name:           _ZN2at6native12_GLOBAL__N_125multi_tensor_apply_kernelINS1_18TensorListMetadataILi1EEENS1_14UnaryOpFunctorIN3c104HalfELi1ELi1ELi0EEEJNS0_4SqrtIfEEEEEvT_T0_DpT1_
    .private_segment_fixed_size: 0
    .sgpr_count:     23
    .sgpr_spill_count: 0
    .symbol:         _ZN2at6native12_GLOBAL__N_125multi_tensor_apply_kernelINS1_18TensorListMetadataILi1EEENS1_14UnaryOpFunctorIN3c104HalfELi1ELi1ELi0EEEJNS0_4SqrtIfEEEEEvT_T0_DpT1_.kd
    .uniform_work_group_size: 1
    .uses_dynamic_stack: false
    .vgpr_count:     28
    .vgpr_spill_count: 0
    .wavefront_size: 32
  - .args:
      - .offset:         0
        .size:           3368
        .value_kind:     by_value
      - .offset:         3368
        .size:           1
        .value_kind:     by_value
      - .offset:         3369
        .size:           1
        .value_kind:     by_value
      - .offset:         3376
        .size:           4
        .value_kind:     hidden_block_count_x
      - .offset:         3380
        .size:           4
        .value_kind:     hidden_block_count_y
      - .offset:         3384
        .size:           4
        .value_kind:     hidden_block_count_z
      - .offset:         3388
        .size:           2
        .value_kind:     hidden_group_size_x
      - .offset:         3390
        .size:           2
        .value_kind:     hidden_group_size_y
      - .offset:         3392
        .size:           2
        .value_kind:     hidden_group_size_z
      - .offset:         3394
        .size:           2
        .value_kind:     hidden_remainder_x
      - .offset:         3396
        .size:           2
        .value_kind:     hidden_remainder_y
      - .offset:         3398
        .size:           2
        .value_kind:     hidden_remainder_z
      - .offset:         3416
        .size:           8
        .value_kind:     hidden_global_offset_x
      - .offset:         3424
        .size:           8
        .value_kind:     hidden_global_offset_y
      - .offset:         3432
        .size:           8
        .value_kind:     hidden_global_offset_z
      - .offset:         3440
        .size:           2
        .value_kind:     hidden_grid_dims
    .group_segment_fixed_size: 0
    .kernarg_segment_align: 8
    .kernarg_segment_size: 3632
    .language:       OpenCL C
    .language_version:
      - 2
      - 0
    .max_flat_workgroup_size: 512
    .name:           _ZN2at6native12_GLOBAL__N_125multi_tensor_apply_kernelINS1_18TensorListMetadataILi1EEENS1_14UnaryOpFunctorIN3c108BFloat16ELi1ELi1ELi0EEEJNS0_4SqrtIfEEEEEvT_T0_DpT1_
    .private_segment_fixed_size: 0
    .sgpr_count:     23
    .sgpr_spill_count: 0
    .symbol:         _ZN2at6native12_GLOBAL__N_125multi_tensor_apply_kernelINS1_18TensorListMetadataILi1EEENS1_14UnaryOpFunctorIN3c108BFloat16ELi1ELi1ELi0EEEJNS0_4SqrtIfEEEEEvT_T0_DpT1_.kd
    .uniform_work_group_size: 1
    .uses_dynamic_stack: false
    .vgpr_count:     32
    .vgpr_spill_count: 0
    .wavefront_size: 32
  - .args:
      - .offset:         0
        .size:           3144
        .value_kind:     by_value
      - .offset:         3144
        .size:           1
        .value_kind:     by_value
      - .offset:         3145
        .size:           1
        .value_kind:     by_value
      - .offset:         3152
        .size:           4
        .value_kind:     hidden_block_count_x
      - .offset:         3156
        .size:           4
        .value_kind:     hidden_block_count_y
      - .offset:         3160
        .size:           4
        .value_kind:     hidden_block_count_z
      - .offset:         3164
        .size:           2
        .value_kind:     hidden_group_size_x
      - .offset:         3166
        .size:           2
        .value_kind:     hidden_group_size_y
      - .offset:         3168
        .size:           2
        .value_kind:     hidden_group_size_z
      - .offset:         3170
        .size:           2
        .value_kind:     hidden_remainder_x
      - .offset:         3172
        .size:           2
        .value_kind:     hidden_remainder_y
      - .offset:         3174
        .size:           2
        .value_kind:     hidden_remainder_z
      - .offset:         3192
        .size:           8
        .value_kind:     hidden_global_offset_x
      - .offset:         3200
        .size:           8
        .value_kind:     hidden_global_offset_y
      - .offset:         3208
        .size:           8
        .value_kind:     hidden_global_offset_z
      - .offset:         3216
        .size:           2
        .value_kind:     hidden_grid_dims
    .group_segment_fixed_size: 0
    .kernarg_segment_align: 8
    .kernarg_segment_size: 3408
    .language:       OpenCL C
    .language_version:
      - 2
      - 0
    .max_flat_workgroup_size: 512
    .name:           _ZN2at6native12_GLOBAL__N_125multi_tensor_apply_kernelINS1_18TensorListMetadataILi2EEENS1_14UnaryOpFunctorIdLi2ELi1ELi1EEEJNS0_3ErfIdEEEEEvT_T0_DpT1_
    .private_segment_fixed_size: 0
    .sgpr_count:     69
    .sgpr_spill_count: 0
    .symbol:         _ZN2at6native12_GLOBAL__N_125multi_tensor_apply_kernelINS1_18TensorListMetadataILi2EEENS1_14UnaryOpFunctorIdLi2ELi1ELi1EEEJNS0_3ErfIdEEEEEvT_T0_DpT1_.kd
    .uniform_work_group_size: 1
    .uses_dynamic_stack: false
    .vgpr_count:     54
    .vgpr_spill_count: 0
    .wavefront_size: 32
  - .args:
      - .offset:         0
        .size:           3144
        .value_kind:     by_value
      - .offset:         3144
        .size:           1
        .value_kind:     by_value
      - .offset:         3145
        .size:           1
        .value_kind:     by_value
      - .offset:         3152
        .size:           4
        .value_kind:     hidden_block_count_x
      - .offset:         3156
        .size:           4
        .value_kind:     hidden_block_count_y
      - .offset:         3160
        .size:           4
        .value_kind:     hidden_block_count_z
      - .offset:         3164
        .size:           2
        .value_kind:     hidden_group_size_x
      - .offset:         3166
        .size:           2
        .value_kind:     hidden_group_size_y
      - .offset:         3168
        .size:           2
        .value_kind:     hidden_group_size_z
      - .offset:         3170
        .size:           2
        .value_kind:     hidden_remainder_x
      - .offset:         3172
        .size:           2
        .value_kind:     hidden_remainder_y
      - .offset:         3174
        .size:           2
        .value_kind:     hidden_remainder_z
      - .offset:         3192
        .size:           8
        .value_kind:     hidden_global_offset_x
      - .offset:         3200
        .size:           8
        .value_kind:     hidden_global_offset_y
      - .offset:         3208
        .size:           8
        .value_kind:     hidden_global_offset_z
      - .offset:         3216
        .size:           2
        .value_kind:     hidden_grid_dims
    .group_segment_fixed_size: 0
    .kernarg_segment_align: 8
    .kernarg_segment_size: 3408
    .language:       OpenCL C
    .language_version:
      - 2
      - 0
    .max_flat_workgroup_size: 512
    .name:           _ZN2at6native12_GLOBAL__N_125multi_tensor_apply_kernelINS1_18TensorListMetadataILi2EEENS1_14UnaryOpFunctorIfLi2ELi1ELi1EEEJNS0_3ErfIfEEEEEvT_T0_DpT1_
    .private_segment_fixed_size: 0
    .sgpr_count:     22
    .sgpr_spill_count: 0
    .symbol:         _ZN2at6native12_GLOBAL__N_125multi_tensor_apply_kernelINS1_18TensorListMetadataILi2EEENS1_14UnaryOpFunctorIfLi2ELi1ELi1EEEJNS0_3ErfIfEEEEEvT_T0_DpT1_.kd
    .uniform_work_group_size: 1
    .uses_dynamic_stack: false
    .vgpr_count:     39
    .vgpr_spill_count: 0
    .wavefront_size: 32
  - .args:
      - .offset:         0
        .size:           3144
        .value_kind:     by_value
      - .offset:         3144
        .size:           1
        .value_kind:     by_value
      - .offset:         3145
        .size:           1
        .value_kind:     by_value
      - .offset:         3152
        .size:           4
        .value_kind:     hidden_block_count_x
      - .offset:         3156
        .size:           4
        .value_kind:     hidden_block_count_y
      - .offset:         3160
        .size:           4
        .value_kind:     hidden_block_count_z
      - .offset:         3164
        .size:           2
        .value_kind:     hidden_group_size_x
      - .offset:         3166
        .size:           2
        .value_kind:     hidden_group_size_y
      - .offset:         3168
        .size:           2
        .value_kind:     hidden_group_size_z
      - .offset:         3170
        .size:           2
        .value_kind:     hidden_remainder_x
      - .offset:         3172
        .size:           2
        .value_kind:     hidden_remainder_y
      - .offset:         3174
        .size:           2
        .value_kind:     hidden_remainder_z
      - .offset:         3192
        .size:           8
        .value_kind:     hidden_global_offset_x
      - .offset:         3200
        .size:           8
        .value_kind:     hidden_global_offset_y
      - .offset:         3208
        .size:           8
        .value_kind:     hidden_global_offset_z
      - .offset:         3216
        .size:           2
        .value_kind:     hidden_grid_dims
    .group_segment_fixed_size: 0
    .kernarg_segment_align: 8
    .kernarg_segment_size: 3408
    .language:       OpenCL C
    .language_version:
      - 2
      - 0
    .max_flat_workgroup_size: 512
    .name:           _ZN2at6native12_GLOBAL__N_125multi_tensor_apply_kernelINS1_18TensorListMetadataILi2EEENS1_14UnaryOpFunctorIN3c104HalfELi2ELi1ELi1EEEJNS0_3ErfIfEEEEEvT_T0_DpT1_
    .private_segment_fixed_size: 0
    .sgpr_count:     22
    .sgpr_spill_count: 0
    .symbol:         _ZN2at6native12_GLOBAL__N_125multi_tensor_apply_kernelINS1_18TensorListMetadataILi2EEENS1_14UnaryOpFunctorIN3c104HalfELi2ELi1ELi1EEEJNS0_3ErfIfEEEEEvT_T0_DpT1_.kd
    .uniform_work_group_size: 1
    .uses_dynamic_stack: false
    .vgpr_count:     39
    .vgpr_spill_count: 0
    .wavefront_size: 32
  - .args:
      - .offset:         0
        .size:           3144
        .value_kind:     by_value
      - .offset:         3144
        .size:           1
        .value_kind:     by_value
      - .offset:         3145
        .size:           1
        .value_kind:     by_value
      - .offset:         3152
        .size:           4
        .value_kind:     hidden_block_count_x
      - .offset:         3156
        .size:           4
        .value_kind:     hidden_block_count_y
      - .offset:         3160
        .size:           4
        .value_kind:     hidden_block_count_z
      - .offset:         3164
        .size:           2
        .value_kind:     hidden_group_size_x
      - .offset:         3166
        .size:           2
        .value_kind:     hidden_group_size_y
      - .offset:         3168
        .size:           2
        .value_kind:     hidden_group_size_z
      - .offset:         3170
        .size:           2
        .value_kind:     hidden_remainder_x
      - .offset:         3172
        .size:           2
        .value_kind:     hidden_remainder_y
      - .offset:         3174
        .size:           2
        .value_kind:     hidden_remainder_z
      - .offset:         3192
        .size:           8
        .value_kind:     hidden_global_offset_x
      - .offset:         3200
        .size:           8
        .value_kind:     hidden_global_offset_y
      - .offset:         3208
        .size:           8
        .value_kind:     hidden_global_offset_z
      - .offset:         3216
        .size:           2
        .value_kind:     hidden_grid_dims
    .group_segment_fixed_size: 0
    .kernarg_segment_align: 8
    .kernarg_segment_size: 3408
    .language:       OpenCL C
    .language_version:
      - 2
      - 0
    .max_flat_workgroup_size: 512
    .name:           _ZN2at6native12_GLOBAL__N_125multi_tensor_apply_kernelINS1_18TensorListMetadataILi2EEENS1_14UnaryOpFunctorIN3c108BFloat16ELi2ELi1ELi1EEEJNS0_3ErfIfEEEEEvT_T0_DpT1_
    .private_segment_fixed_size: 0
    .sgpr_count:     22
    .sgpr_spill_count: 0
    .symbol:         _ZN2at6native12_GLOBAL__N_125multi_tensor_apply_kernelINS1_18TensorListMetadataILi2EEENS1_14UnaryOpFunctorIN3c108BFloat16ELi2ELi1ELi1EEEJNS0_3ErfIfEEEEEvT_T0_DpT1_.kd
    .uniform_work_group_size: 1
    .uses_dynamic_stack: false
    .vgpr_count:     39
    .vgpr_spill_count: 0
    .wavefront_size: 32
  - .args:
      - .offset:         0
        .size:           3368
        .value_kind:     by_value
      - .offset:         3368
        .size:           1
        .value_kind:     by_value
      - .offset:         3369
        .size:           1
        .value_kind:     by_value
      - .offset:         3376
        .size:           4
        .value_kind:     hidden_block_count_x
      - .offset:         3380
        .size:           4
        .value_kind:     hidden_block_count_y
      - .offset:         3384
        .size:           4
        .value_kind:     hidden_block_count_z
      - .offset:         3388
        .size:           2
        .value_kind:     hidden_group_size_x
      - .offset:         3390
        .size:           2
        .value_kind:     hidden_group_size_y
      - .offset:         3392
        .size:           2
        .value_kind:     hidden_group_size_z
      - .offset:         3394
        .size:           2
        .value_kind:     hidden_remainder_x
      - .offset:         3396
        .size:           2
        .value_kind:     hidden_remainder_y
      - .offset:         3398
        .size:           2
        .value_kind:     hidden_remainder_z
      - .offset:         3416
        .size:           8
        .value_kind:     hidden_global_offset_x
      - .offset:         3424
        .size:           8
        .value_kind:     hidden_global_offset_y
      - .offset:         3432
        .size:           8
        .value_kind:     hidden_global_offset_z
      - .offset:         3440
        .size:           2
        .value_kind:     hidden_grid_dims
    .group_segment_fixed_size: 0
    .kernarg_segment_align: 8
    .kernarg_segment_size: 3632
    .language:       OpenCL C
    .language_version:
      - 2
      - 0
    .max_flat_workgroup_size: 512
    .name:           _ZN2at6native12_GLOBAL__N_125multi_tensor_apply_kernelINS1_18TensorListMetadataILi1EEENS1_14UnaryOpFunctorIdLi1ELi1ELi0EEEJNS0_3ErfIdEEEEEvT_T0_DpT1_
    .private_segment_fixed_size: 0
    .sgpr_count:     76
    .sgpr_spill_count: 0
    .symbol:         _ZN2at6native12_GLOBAL__N_125multi_tensor_apply_kernelINS1_18TensorListMetadataILi1EEENS1_14UnaryOpFunctorIdLi1ELi1ELi0EEEJNS0_3ErfIdEEEEEvT_T0_DpT1_.kd
    .uniform_work_group_size: 1
    .uses_dynamic_stack: false
    .vgpr_count:     46
    .vgpr_spill_count: 0
    .wavefront_size: 32
  - .args:
      - .offset:         0
        .size:           3368
        .value_kind:     by_value
      - .offset:         3368
        .size:           1
        .value_kind:     by_value
      - .offset:         3369
        .size:           1
        .value_kind:     by_value
      - .offset:         3376
        .size:           4
        .value_kind:     hidden_block_count_x
      - .offset:         3380
        .size:           4
        .value_kind:     hidden_block_count_y
      - .offset:         3384
        .size:           4
        .value_kind:     hidden_block_count_z
      - .offset:         3388
        .size:           2
        .value_kind:     hidden_group_size_x
      - .offset:         3390
        .size:           2
        .value_kind:     hidden_group_size_y
      - .offset:         3392
        .size:           2
        .value_kind:     hidden_group_size_z
      - .offset:         3394
        .size:           2
        .value_kind:     hidden_remainder_x
      - .offset:         3396
        .size:           2
        .value_kind:     hidden_remainder_y
      - .offset:         3398
        .size:           2
        .value_kind:     hidden_remainder_z
      - .offset:         3416
        .size:           8
        .value_kind:     hidden_global_offset_x
      - .offset:         3424
        .size:           8
        .value_kind:     hidden_global_offset_y
      - .offset:         3432
        .size:           8
        .value_kind:     hidden_global_offset_z
      - .offset:         3440
        .size:           2
        .value_kind:     hidden_grid_dims
    .group_segment_fixed_size: 0
    .kernarg_segment_align: 8
    .kernarg_segment_size: 3632
    .language:       OpenCL C
    .language_version:
      - 2
      - 0
    .max_flat_workgroup_size: 512
    .name:           _ZN2at6native12_GLOBAL__N_125multi_tensor_apply_kernelINS1_18TensorListMetadataILi1EEENS1_14UnaryOpFunctorIfLi1ELi1ELi0EEEJNS0_3ErfIfEEEEEvT_T0_DpT1_
    .private_segment_fixed_size: 0
    .sgpr_count:     27
    .sgpr_spill_count: 0
    .symbol:         _ZN2at6native12_GLOBAL__N_125multi_tensor_apply_kernelINS1_18TensorListMetadataILi1EEENS1_14UnaryOpFunctorIfLi1ELi1ELi0EEEJNS0_3ErfIfEEEEEvT_T0_DpT1_.kd
    .uniform_work_group_size: 1
    .uses_dynamic_stack: false
    .vgpr_count:     31
    .vgpr_spill_count: 0
    .wavefront_size: 32
  - .args:
      - .offset:         0
        .size:           3368
        .value_kind:     by_value
      - .offset:         3368
        .size:           1
        .value_kind:     by_value
      - .offset:         3369
        .size:           1
        .value_kind:     by_value
      - .offset:         3376
        .size:           4
        .value_kind:     hidden_block_count_x
      - .offset:         3380
        .size:           4
        .value_kind:     hidden_block_count_y
      - .offset:         3384
        .size:           4
        .value_kind:     hidden_block_count_z
      - .offset:         3388
        .size:           2
        .value_kind:     hidden_group_size_x
      - .offset:         3390
        .size:           2
        .value_kind:     hidden_group_size_y
      - .offset:         3392
        .size:           2
        .value_kind:     hidden_group_size_z
      - .offset:         3394
        .size:           2
        .value_kind:     hidden_remainder_x
      - .offset:         3396
        .size:           2
        .value_kind:     hidden_remainder_y
      - .offset:         3398
        .size:           2
        .value_kind:     hidden_remainder_z
      - .offset:         3416
        .size:           8
        .value_kind:     hidden_global_offset_x
      - .offset:         3424
        .size:           8
        .value_kind:     hidden_global_offset_y
      - .offset:         3432
        .size:           8
        .value_kind:     hidden_global_offset_z
      - .offset:         3440
        .size:           2
        .value_kind:     hidden_grid_dims
    .group_segment_fixed_size: 0
    .kernarg_segment_align: 8
    .kernarg_segment_size: 3632
    .language:       OpenCL C
    .language_version:
      - 2
      - 0
    .max_flat_workgroup_size: 512
    .name:           _ZN2at6native12_GLOBAL__N_125multi_tensor_apply_kernelINS1_18TensorListMetadataILi1EEENS1_14UnaryOpFunctorIN3c104HalfELi1ELi1ELi0EEEJNS0_3ErfIfEEEEEvT_T0_DpT1_
    .private_segment_fixed_size: 0
    .sgpr_count:     25
    .sgpr_spill_count: 0
    .symbol:         _ZN2at6native12_GLOBAL__N_125multi_tensor_apply_kernelINS1_18TensorListMetadataILi1EEENS1_14UnaryOpFunctorIN3c104HalfELi1ELi1ELi0EEEJNS0_3ErfIfEEEEEvT_T0_DpT1_.kd
    .uniform_work_group_size: 1
    .uses_dynamic_stack: false
    .vgpr_count:     31
    .vgpr_spill_count: 0
    .wavefront_size: 32
  - .args:
      - .offset:         0
        .size:           3368
        .value_kind:     by_value
      - .offset:         3368
        .size:           1
        .value_kind:     by_value
      - .offset:         3369
        .size:           1
        .value_kind:     by_value
      - .offset:         3376
        .size:           4
        .value_kind:     hidden_block_count_x
      - .offset:         3380
        .size:           4
        .value_kind:     hidden_block_count_y
      - .offset:         3384
        .size:           4
        .value_kind:     hidden_block_count_z
      - .offset:         3388
        .size:           2
        .value_kind:     hidden_group_size_x
      - .offset:         3390
        .size:           2
        .value_kind:     hidden_group_size_y
      - .offset:         3392
        .size:           2
        .value_kind:     hidden_group_size_z
      - .offset:         3394
        .size:           2
        .value_kind:     hidden_remainder_x
      - .offset:         3396
        .size:           2
        .value_kind:     hidden_remainder_y
      - .offset:         3398
        .size:           2
        .value_kind:     hidden_remainder_z
      - .offset:         3416
        .size:           8
        .value_kind:     hidden_global_offset_x
      - .offset:         3424
        .size:           8
        .value_kind:     hidden_global_offset_y
      - .offset:         3432
        .size:           8
        .value_kind:     hidden_global_offset_z
      - .offset:         3440
        .size:           2
        .value_kind:     hidden_grid_dims
    .group_segment_fixed_size: 0
    .kernarg_segment_align: 8
    .kernarg_segment_size: 3632
    .language:       OpenCL C
    .language_version:
      - 2
      - 0
    .max_flat_workgroup_size: 512
    .name:           _ZN2at6native12_GLOBAL__N_125multi_tensor_apply_kernelINS1_18TensorListMetadataILi1EEENS1_14UnaryOpFunctorIN3c108BFloat16ELi1ELi1ELi0EEEJNS0_3ErfIfEEEEEvT_T0_DpT1_
    .private_segment_fixed_size: 0
    .sgpr_count:     25
    .sgpr_spill_count: 0
    .symbol:         _ZN2at6native12_GLOBAL__N_125multi_tensor_apply_kernelINS1_18TensorListMetadataILi1EEENS1_14UnaryOpFunctorIN3c108BFloat16ELi1ELi1ELi0EEEJNS0_3ErfIfEEEEEvT_T0_DpT1_.kd
    .uniform_work_group_size: 1
    .uses_dynamic_stack: false
    .vgpr_count:     31
    .vgpr_spill_count: 0
    .wavefront_size: 32
  - .args:
      - .offset:         0
        .size:           3144
        .value_kind:     by_value
      - .offset:         3144
        .size:           1
        .value_kind:     by_value
      - .offset:         3152
        .size:           8
        .value_kind:     by_value
      - .offset:         3160
        .size:           4
        .value_kind:     hidden_block_count_x
      - .offset:         3164
        .size:           4
        .value_kind:     hidden_block_count_y
      - .offset:         3168
        .size:           4
        .value_kind:     hidden_block_count_z
      - .offset:         3172
        .size:           2
        .value_kind:     hidden_group_size_x
      - .offset:         3174
        .size:           2
        .value_kind:     hidden_group_size_y
      - .offset:         3176
        .size:           2
        .value_kind:     hidden_group_size_z
      - .offset:         3178
        .size:           2
        .value_kind:     hidden_remainder_x
      - .offset:         3180
        .size:           2
        .value_kind:     hidden_remainder_y
      - .offset:         3182
        .size:           2
        .value_kind:     hidden_remainder_z
      - .offset:         3200
        .size:           8
        .value_kind:     hidden_global_offset_x
      - .offset:         3208
        .size:           8
        .value_kind:     hidden_global_offset_y
      - .offset:         3216
        .size:           8
        .value_kind:     hidden_global_offset_z
      - .offset:         3224
        .size:           2
        .value_kind:     hidden_grid_dims
    .group_segment_fixed_size: 0
    .kernarg_segment_align: 8
    .kernarg_segment_size: 3416
    .language:       OpenCL C
    .language_version:
      - 2
      - 0
    .max_flat_workgroup_size: 512
    .name:           _ZN2at6native12_GLOBAL__N_125multi_tensor_apply_kernelINS1_18TensorListMetadataILi2EEENS1_14UnaryOpFunctorIdLi2ELi1ELi1EEEJNS0_7SigmoidIdEEEEEvT_T0_DpT1_
    .private_segment_fixed_size: 0
    .sgpr_count:     29
    .sgpr_spill_count: 0
    .symbol:         _ZN2at6native12_GLOBAL__N_125multi_tensor_apply_kernelINS1_18TensorListMetadataILi2EEENS1_14UnaryOpFunctorIdLi2ELi1ELi1EEEJNS0_7SigmoidIdEEEEEvT_T0_DpT1_.kd
    .uniform_work_group_size: 1
    .uses_dynamic_stack: false
    .vgpr_count:     50
    .vgpr_spill_count: 0
    .wavefront_size: 32
  - .args:
      - .offset:         0
        .size:           3144
        .value_kind:     by_value
      - .offset:         3144
        .size:           1
        .value_kind:     by_value
      - .offset:         3148
        .size:           4
        .value_kind:     by_value
      - .offset:         3152
        .size:           4
        .value_kind:     hidden_block_count_x
      - .offset:         3156
        .size:           4
        .value_kind:     hidden_block_count_y
      - .offset:         3160
        .size:           4
        .value_kind:     hidden_block_count_z
      - .offset:         3164
        .size:           2
        .value_kind:     hidden_group_size_x
      - .offset:         3166
        .size:           2
        .value_kind:     hidden_group_size_y
      - .offset:         3168
        .size:           2
        .value_kind:     hidden_group_size_z
      - .offset:         3170
        .size:           2
        .value_kind:     hidden_remainder_x
      - .offset:         3172
        .size:           2
        .value_kind:     hidden_remainder_y
      - .offset:         3174
        .size:           2
        .value_kind:     hidden_remainder_z
      - .offset:         3192
        .size:           8
        .value_kind:     hidden_global_offset_x
      - .offset:         3200
        .size:           8
        .value_kind:     hidden_global_offset_y
      - .offset:         3208
        .size:           8
        .value_kind:     hidden_global_offset_z
      - .offset:         3216
        .size:           2
        .value_kind:     hidden_grid_dims
    .group_segment_fixed_size: 0
    .kernarg_segment_align: 8
    .kernarg_segment_size: 3408
    .language:       OpenCL C
    .language_version:
      - 2
      - 0
    .max_flat_workgroup_size: 512
    .name:           _ZN2at6native12_GLOBAL__N_125multi_tensor_apply_kernelINS1_18TensorListMetadataILi2EEENS1_14UnaryOpFunctorIfLi2ELi1ELi1EEEJNS0_7SigmoidIfEEEEEvT_T0_DpT1_
    .private_segment_fixed_size: 0
    .sgpr_count:     24
    .sgpr_spill_count: 0
    .symbol:         _ZN2at6native12_GLOBAL__N_125multi_tensor_apply_kernelINS1_18TensorListMetadataILi2EEENS1_14UnaryOpFunctorIfLi2ELi1ELi1EEEJNS0_7SigmoidIfEEEEEvT_T0_DpT1_.kd
    .uniform_work_group_size: 1
    .uses_dynamic_stack: false
    .vgpr_count:     37
    .vgpr_spill_count: 0
    .wavefront_size: 32
  - .args:
      - .offset:         0
        .size:           3144
        .value_kind:     by_value
      - .offset:         3144
        .size:           1
        .value_kind:     by_value
      - .offset:         3152
        .size:           16
        .value_kind:     by_value
      - .offset:         3168
        .size:           4
        .value_kind:     hidden_block_count_x
      - .offset:         3172
        .size:           4
        .value_kind:     hidden_block_count_y
      - .offset:         3176
        .size:           4
        .value_kind:     hidden_block_count_z
      - .offset:         3180
        .size:           2
        .value_kind:     hidden_group_size_x
      - .offset:         3182
        .size:           2
        .value_kind:     hidden_group_size_y
      - .offset:         3184
        .size:           2
        .value_kind:     hidden_group_size_z
      - .offset:         3186
        .size:           2
        .value_kind:     hidden_remainder_x
      - .offset:         3188
        .size:           2
        .value_kind:     hidden_remainder_y
      - .offset:         3190
        .size:           2
        .value_kind:     hidden_remainder_z
      - .offset:         3208
        .size:           8
        .value_kind:     hidden_global_offset_x
      - .offset:         3216
        .size:           8
        .value_kind:     hidden_global_offset_y
      - .offset:         3224
        .size:           8
        .value_kind:     hidden_global_offset_z
      - .offset:         3232
        .size:           2
        .value_kind:     hidden_grid_dims
    .group_segment_fixed_size: 0
    .kernarg_segment_align: 16
    .kernarg_segment_size: 3424
    .language:       OpenCL C
    .language_version:
      - 2
      - 0
    .max_flat_workgroup_size: 512
    .name:           _ZN2at6native12_GLOBAL__N_125multi_tensor_apply_kernelINS1_18TensorListMetadataILi2EEENS1_14UnaryOpFunctorIN3c107complexIdEELi2ELi1ELi1EEEJNS0_7SigmoidIS8_EEEEEvT_T0_DpT1_
    .private_segment_fixed_size: 0
    .sgpr_count:     44
    .sgpr_spill_count: 0
    .symbol:         _ZN2at6native12_GLOBAL__N_125multi_tensor_apply_kernelINS1_18TensorListMetadataILi2EEENS1_14UnaryOpFunctorIN3c107complexIdEELi2ELi1ELi1EEEJNS0_7SigmoidIS8_EEEEEvT_T0_DpT1_.kd
    .uniform_work_group_size: 1
    .uses_dynamic_stack: false
    .vgpr_count:     84
    .vgpr_spill_count: 0
    .wavefront_size: 32
  - .args:
      - .offset:         0
        .size:           3144
        .value_kind:     by_value
      - .offset:         3144
        .size:           1
        .value_kind:     by_value
      - .offset:         3152
        .size:           8
        .value_kind:     by_value
      - .offset:         3160
        .size:           4
        .value_kind:     hidden_block_count_x
      - .offset:         3164
        .size:           4
        .value_kind:     hidden_block_count_y
      - .offset:         3168
        .size:           4
        .value_kind:     hidden_block_count_z
      - .offset:         3172
        .size:           2
        .value_kind:     hidden_group_size_x
      - .offset:         3174
        .size:           2
        .value_kind:     hidden_group_size_y
      - .offset:         3176
        .size:           2
        .value_kind:     hidden_group_size_z
      - .offset:         3178
        .size:           2
        .value_kind:     hidden_remainder_x
      - .offset:         3180
        .size:           2
        .value_kind:     hidden_remainder_y
      - .offset:         3182
        .size:           2
        .value_kind:     hidden_remainder_z
      - .offset:         3200
        .size:           8
        .value_kind:     hidden_global_offset_x
      - .offset:         3208
        .size:           8
        .value_kind:     hidden_global_offset_y
      - .offset:         3216
        .size:           8
        .value_kind:     hidden_global_offset_z
      - .offset:         3224
        .size:           2
        .value_kind:     hidden_grid_dims
    .group_segment_fixed_size: 0
    .kernarg_segment_align: 8
    .kernarg_segment_size: 3416
    .language:       OpenCL C
    .language_version:
      - 2
      - 0
    .max_flat_workgroup_size: 512
    .name:           _ZN2at6native12_GLOBAL__N_125multi_tensor_apply_kernelINS1_18TensorListMetadataILi2EEENS1_14UnaryOpFunctorIN3c107complexIfEELi2ELi1ELi1EEEJNS0_7SigmoidIS8_EEEEEvT_T0_DpT1_
    .private_segment_fixed_size: 0
    .sgpr_count:     41
    .sgpr_spill_count: 0
    .symbol:         _ZN2at6native12_GLOBAL__N_125multi_tensor_apply_kernelINS1_18TensorListMetadataILi2EEENS1_14UnaryOpFunctorIN3c107complexIfEELi2ELi1ELi1EEEJNS0_7SigmoidIS8_EEEEEvT_T0_DpT1_.kd
    .uniform_work_group_size: 1
    .uses_dynamic_stack: false
    .vgpr_count:     56
    .vgpr_spill_count: 0
    .wavefront_size: 32
  - .args:
      - .offset:         0
        .size:           3144
        .value_kind:     by_value
      - .offset:         3144
        .size:           1
        .value_kind:     by_value
      - .offset:         3148
        .size:           4
        .value_kind:     by_value
      - .offset:         3152
        .size:           4
        .value_kind:     hidden_block_count_x
      - .offset:         3156
        .size:           4
        .value_kind:     hidden_block_count_y
      - .offset:         3160
        .size:           4
        .value_kind:     hidden_block_count_z
      - .offset:         3164
        .size:           2
        .value_kind:     hidden_group_size_x
      - .offset:         3166
        .size:           2
        .value_kind:     hidden_group_size_y
      - .offset:         3168
        .size:           2
        .value_kind:     hidden_group_size_z
      - .offset:         3170
        .size:           2
        .value_kind:     hidden_remainder_x
      - .offset:         3172
        .size:           2
        .value_kind:     hidden_remainder_y
      - .offset:         3174
        .size:           2
        .value_kind:     hidden_remainder_z
      - .offset:         3192
        .size:           8
        .value_kind:     hidden_global_offset_x
      - .offset:         3200
        .size:           8
        .value_kind:     hidden_global_offset_y
      - .offset:         3208
        .size:           8
        .value_kind:     hidden_global_offset_z
      - .offset:         3216
        .size:           2
        .value_kind:     hidden_grid_dims
    .group_segment_fixed_size: 0
    .kernarg_segment_align: 8
    .kernarg_segment_size: 3408
    .language:       OpenCL C
    .language_version:
      - 2
      - 0
    .max_flat_workgroup_size: 512
    .name:           _ZN2at6native12_GLOBAL__N_125multi_tensor_apply_kernelINS1_18TensorListMetadataILi2EEENS1_14UnaryOpFunctorIN3c104HalfELi2ELi1ELi1EEEJNS0_7SigmoidIfEEEEEvT_T0_DpT1_
    .private_segment_fixed_size: 0
    .sgpr_count:     24
    .sgpr_spill_count: 0
    .symbol:         _ZN2at6native12_GLOBAL__N_125multi_tensor_apply_kernelINS1_18TensorListMetadataILi2EEENS1_14UnaryOpFunctorIN3c104HalfELi2ELi1ELi1EEEJNS0_7SigmoidIfEEEEEvT_T0_DpT1_.kd
    .uniform_work_group_size: 1
    .uses_dynamic_stack: false
    .vgpr_count:     37
    .vgpr_spill_count: 0
    .wavefront_size: 32
  - .args:
      - .offset:         0
        .size:           3144
        .value_kind:     by_value
      - .offset:         3144
        .size:           1
        .value_kind:     by_value
      - .offset:         3148
        .size:           4
        .value_kind:     by_value
      - .offset:         3152
        .size:           4
        .value_kind:     hidden_block_count_x
      - .offset:         3156
        .size:           4
        .value_kind:     hidden_block_count_y
      - .offset:         3160
        .size:           4
        .value_kind:     hidden_block_count_z
      - .offset:         3164
        .size:           2
        .value_kind:     hidden_group_size_x
      - .offset:         3166
        .size:           2
        .value_kind:     hidden_group_size_y
      - .offset:         3168
        .size:           2
        .value_kind:     hidden_group_size_z
      - .offset:         3170
        .size:           2
        .value_kind:     hidden_remainder_x
      - .offset:         3172
        .size:           2
        .value_kind:     hidden_remainder_y
      - .offset:         3174
        .size:           2
        .value_kind:     hidden_remainder_z
      - .offset:         3192
        .size:           8
        .value_kind:     hidden_global_offset_x
      - .offset:         3200
        .size:           8
        .value_kind:     hidden_global_offset_y
      - .offset:         3208
        .size:           8
        .value_kind:     hidden_global_offset_z
      - .offset:         3216
        .size:           2
        .value_kind:     hidden_grid_dims
    .group_segment_fixed_size: 0
    .kernarg_segment_align: 8
    .kernarg_segment_size: 3408
    .language:       OpenCL C
    .language_version:
      - 2
      - 0
    .max_flat_workgroup_size: 512
    .name:           _ZN2at6native12_GLOBAL__N_125multi_tensor_apply_kernelINS1_18TensorListMetadataILi2EEENS1_14UnaryOpFunctorIN3c108BFloat16ELi2ELi1ELi1EEEJNS0_7SigmoidIfEEEEEvT_T0_DpT1_
    .private_segment_fixed_size: 0
    .sgpr_count:     24
    .sgpr_spill_count: 0
    .symbol:         _ZN2at6native12_GLOBAL__N_125multi_tensor_apply_kernelINS1_18TensorListMetadataILi2EEENS1_14UnaryOpFunctorIN3c108BFloat16ELi2ELi1ELi1EEEJNS0_7SigmoidIfEEEEEvT_T0_DpT1_.kd
    .uniform_work_group_size: 1
    .uses_dynamic_stack: false
    .vgpr_count:     37
    .vgpr_spill_count: 0
    .wavefront_size: 32
  - .args:
      - .offset:         0
        .size:           3368
        .value_kind:     by_value
      - .offset:         3368
        .size:           1
        .value_kind:     by_value
      - .offset:         3376
        .size:           8
        .value_kind:     by_value
      - .offset:         3384
        .size:           4
        .value_kind:     hidden_block_count_x
      - .offset:         3388
        .size:           4
        .value_kind:     hidden_block_count_y
      - .offset:         3392
        .size:           4
        .value_kind:     hidden_block_count_z
      - .offset:         3396
        .size:           2
        .value_kind:     hidden_group_size_x
      - .offset:         3398
        .size:           2
        .value_kind:     hidden_group_size_y
      - .offset:         3400
        .size:           2
        .value_kind:     hidden_group_size_z
      - .offset:         3402
        .size:           2
        .value_kind:     hidden_remainder_x
      - .offset:         3404
        .size:           2
        .value_kind:     hidden_remainder_y
      - .offset:         3406
        .size:           2
        .value_kind:     hidden_remainder_z
      - .offset:         3424
        .size:           8
        .value_kind:     hidden_global_offset_x
      - .offset:         3432
        .size:           8
        .value_kind:     hidden_global_offset_y
      - .offset:         3440
        .size:           8
        .value_kind:     hidden_global_offset_z
      - .offset:         3448
        .size:           2
        .value_kind:     hidden_grid_dims
    .group_segment_fixed_size: 0
    .kernarg_segment_align: 8
    .kernarg_segment_size: 3640
    .language:       OpenCL C
    .language_version:
      - 2
      - 0
    .max_flat_workgroup_size: 512
    .name:           _ZN2at6native12_GLOBAL__N_125multi_tensor_apply_kernelINS1_18TensorListMetadataILi1EEENS1_14UnaryOpFunctorIdLi1ELi1ELi0EEEJNS0_7SigmoidIdEEEEEvT_T0_DpT1_
    .private_segment_fixed_size: 0
    .sgpr_count:     29
    .sgpr_spill_count: 0
    .symbol:         _ZN2at6native12_GLOBAL__N_125multi_tensor_apply_kernelINS1_18TensorListMetadataILi1EEENS1_14UnaryOpFunctorIdLi1ELi1ELi0EEEJNS0_7SigmoidIdEEEEEvT_T0_DpT1_.kd
    .uniform_work_group_size: 1
    .uses_dynamic_stack: false
    .vgpr_count:     48
    .vgpr_spill_count: 0
    .wavefront_size: 32
  - .args:
      - .offset:         0
        .size:           3368
        .value_kind:     by_value
      - .offset:         3368
        .size:           1
        .value_kind:     by_value
      - .offset:         3372
        .size:           4
        .value_kind:     by_value
      - .offset:         3376
        .size:           4
        .value_kind:     hidden_block_count_x
      - .offset:         3380
        .size:           4
        .value_kind:     hidden_block_count_y
      - .offset:         3384
        .size:           4
        .value_kind:     hidden_block_count_z
      - .offset:         3388
        .size:           2
        .value_kind:     hidden_group_size_x
      - .offset:         3390
        .size:           2
        .value_kind:     hidden_group_size_y
      - .offset:         3392
        .size:           2
        .value_kind:     hidden_group_size_z
      - .offset:         3394
        .size:           2
        .value_kind:     hidden_remainder_x
      - .offset:         3396
        .size:           2
        .value_kind:     hidden_remainder_y
      - .offset:         3398
        .size:           2
        .value_kind:     hidden_remainder_z
      - .offset:         3416
        .size:           8
        .value_kind:     hidden_global_offset_x
      - .offset:         3424
        .size:           8
        .value_kind:     hidden_global_offset_y
      - .offset:         3432
        .size:           8
        .value_kind:     hidden_global_offset_z
      - .offset:         3440
        .size:           2
        .value_kind:     hidden_grid_dims
    .group_segment_fixed_size: 0
    .kernarg_segment_align: 8
    .kernarg_segment_size: 3632
    .language:       OpenCL C
    .language_version:
      - 2
      - 0
    .max_flat_workgroup_size: 512
    .name:           _ZN2at6native12_GLOBAL__N_125multi_tensor_apply_kernelINS1_18TensorListMetadataILi1EEENS1_14UnaryOpFunctorIfLi1ELi1ELi0EEEJNS0_7SigmoidIfEEEEEvT_T0_DpT1_
    .private_segment_fixed_size: 0
    .sgpr_count:     26
    .sgpr_spill_count: 0
    .symbol:         _ZN2at6native12_GLOBAL__N_125multi_tensor_apply_kernelINS1_18TensorListMetadataILi1EEENS1_14UnaryOpFunctorIfLi1ELi1ELi0EEEJNS0_7SigmoidIfEEEEEvT_T0_DpT1_.kd
    .uniform_work_group_size: 1
    .uses_dynamic_stack: false
    .vgpr_count:     62
    .vgpr_spill_count: 0
    .wavefront_size: 32
  - .args:
      - .offset:         0
        .size:           3368
        .value_kind:     by_value
      - .offset:         3368
        .size:           1
        .value_kind:     by_value
      - .offset:         3376
        .size:           16
        .value_kind:     by_value
      - .offset:         3392
        .size:           4
        .value_kind:     hidden_block_count_x
      - .offset:         3396
        .size:           4
        .value_kind:     hidden_block_count_y
      - .offset:         3400
        .size:           4
        .value_kind:     hidden_block_count_z
      - .offset:         3404
        .size:           2
        .value_kind:     hidden_group_size_x
      - .offset:         3406
        .size:           2
        .value_kind:     hidden_group_size_y
      - .offset:         3408
        .size:           2
        .value_kind:     hidden_group_size_z
      - .offset:         3410
        .size:           2
        .value_kind:     hidden_remainder_x
      - .offset:         3412
        .size:           2
        .value_kind:     hidden_remainder_y
      - .offset:         3414
        .size:           2
        .value_kind:     hidden_remainder_z
      - .offset:         3432
        .size:           8
        .value_kind:     hidden_global_offset_x
      - .offset:         3440
        .size:           8
        .value_kind:     hidden_global_offset_y
      - .offset:         3448
        .size:           8
        .value_kind:     hidden_global_offset_z
      - .offset:         3456
        .size:           2
        .value_kind:     hidden_grid_dims
    .group_segment_fixed_size: 0
    .kernarg_segment_align: 16
    .kernarg_segment_size: 3648
    .language:       OpenCL C
    .language_version:
      - 2
      - 0
    .max_flat_workgroup_size: 512
    .name:           _ZN2at6native12_GLOBAL__N_125multi_tensor_apply_kernelINS1_18TensorListMetadataILi1EEENS1_14UnaryOpFunctorIN3c107complexIdEELi1ELi1ELi0EEEJNS0_7SigmoidIS8_EEEEEvT_T0_DpT1_
    .private_segment_fixed_size: 0
    .sgpr_count:     46
    .sgpr_spill_count: 0
    .symbol:         _ZN2at6native12_GLOBAL__N_125multi_tensor_apply_kernelINS1_18TensorListMetadataILi1EEENS1_14UnaryOpFunctorIN3c107complexIdEELi1ELi1ELi0EEEJNS0_7SigmoidIS8_EEEEEvT_T0_DpT1_.kd
    .uniform_work_group_size: 1
    .uses_dynamic_stack: false
    .vgpr_count:     98
    .vgpr_spill_count: 0
    .wavefront_size: 32
  - .args:
      - .offset:         0
        .size:           3368
        .value_kind:     by_value
      - .offset:         3368
        .size:           1
        .value_kind:     by_value
      - .offset:         3376
        .size:           8
        .value_kind:     by_value
      - .offset:         3384
        .size:           4
        .value_kind:     hidden_block_count_x
      - .offset:         3388
        .size:           4
        .value_kind:     hidden_block_count_y
      - .offset:         3392
        .size:           4
        .value_kind:     hidden_block_count_z
      - .offset:         3396
        .size:           2
        .value_kind:     hidden_group_size_x
      - .offset:         3398
        .size:           2
        .value_kind:     hidden_group_size_y
      - .offset:         3400
        .size:           2
        .value_kind:     hidden_group_size_z
      - .offset:         3402
        .size:           2
        .value_kind:     hidden_remainder_x
      - .offset:         3404
        .size:           2
        .value_kind:     hidden_remainder_y
      - .offset:         3406
        .size:           2
        .value_kind:     hidden_remainder_z
      - .offset:         3424
        .size:           8
        .value_kind:     hidden_global_offset_x
      - .offset:         3432
        .size:           8
        .value_kind:     hidden_global_offset_y
      - .offset:         3440
        .size:           8
        .value_kind:     hidden_global_offset_z
      - .offset:         3448
        .size:           2
        .value_kind:     hidden_grid_dims
    .group_segment_fixed_size: 0
    .kernarg_segment_align: 8
    .kernarg_segment_size: 3640
    .language:       OpenCL C
    .language_version:
      - 2
      - 0
    .max_flat_workgroup_size: 512
    .name:           _ZN2at6native12_GLOBAL__N_125multi_tensor_apply_kernelINS1_18TensorListMetadataILi1EEENS1_14UnaryOpFunctorIN3c107complexIfEELi1ELi1ELi0EEEJNS0_7SigmoidIS8_EEEEEvT_T0_DpT1_
    .private_segment_fixed_size: 0
    .sgpr_count:     43
    .sgpr_spill_count: 0
    .symbol:         _ZN2at6native12_GLOBAL__N_125multi_tensor_apply_kernelINS1_18TensorListMetadataILi1EEENS1_14UnaryOpFunctorIN3c107complexIfEELi1ELi1ELi0EEEJNS0_7SigmoidIS8_EEEEEvT_T0_DpT1_.kd
    .uniform_work_group_size: 1
    .uses_dynamic_stack: false
    .vgpr_count:     48
    .vgpr_spill_count: 0
    .wavefront_size: 32
  - .args:
      - .offset:         0
        .size:           3368
        .value_kind:     by_value
      - .offset:         3368
        .size:           1
        .value_kind:     by_value
      - .offset:         3372
        .size:           4
        .value_kind:     by_value
      - .offset:         3376
        .size:           4
        .value_kind:     hidden_block_count_x
      - .offset:         3380
        .size:           4
        .value_kind:     hidden_block_count_y
      - .offset:         3384
        .size:           4
        .value_kind:     hidden_block_count_z
      - .offset:         3388
        .size:           2
        .value_kind:     hidden_group_size_x
      - .offset:         3390
        .size:           2
        .value_kind:     hidden_group_size_y
      - .offset:         3392
        .size:           2
        .value_kind:     hidden_group_size_z
      - .offset:         3394
        .size:           2
        .value_kind:     hidden_remainder_x
      - .offset:         3396
        .size:           2
        .value_kind:     hidden_remainder_y
      - .offset:         3398
        .size:           2
        .value_kind:     hidden_remainder_z
      - .offset:         3416
        .size:           8
        .value_kind:     hidden_global_offset_x
      - .offset:         3424
        .size:           8
        .value_kind:     hidden_global_offset_y
      - .offset:         3432
        .size:           8
        .value_kind:     hidden_global_offset_z
      - .offset:         3440
        .size:           2
        .value_kind:     hidden_grid_dims
    .group_segment_fixed_size: 0
    .kernarg_segment_align: 8
    .kernarg_segment_size: 3632
    .language:       OpenCL C
    .language_version:
      - 2
      - 0
    .max_flat_workgroup_size: 512
    .name:           _ZN2at6native12_GLOBAL__N_125multi_tensor_apply_kernelINS1_18TensorListMetadataILi1EEENS1_14UnaryOpFunctorIN3c104HalfELi1ELi1ELi0EEEJNS0_7SigmoidIfEEEEEvT_T0_DpT1_
    .private_segment_fixed_size: 0
    .sgpr_count:     23
    .sgpr_spill_count: 0
    .symbol:         _ZN2at6native12_GLOBAL__N_125multi_tensor_apply_kernelINS1_18TensorListMetadataILi1EEENS1_14UnaryOpFunctorIN3c104HalfELi1ELi1ELi0EEEJNS0_7SigmoidIfEEEEEvT_T0_DpT1_.kd
    .uniform_work_group_size: 1
    .uses_dynamic_stack: false
    .vgpr_count:     29
    .vgpr_spill_count: 0
    .wavefront_size: 32
  - .args:
      - .offset:         0
        .size:           3368
        .value_kind:     by_value
      - .offset:         3368
        .size:           1
        .value_kind:     by_value
      - .offset:         3372
        .size:           4
        .value_kind:     by_value
      - .offset:         3376
        .size:           4
        .value_kind:     hidden_block_count_x
      - .offset:         3380
        .size:           4
        .value_kind:     hidden_block_count_y
      - .offset:         3384
        .size:           4
        .value_kind:     hidden_block_count_z
      - .offset:         3388
        .size:           2
        .value_kind:     hidden_group_size_x
      - .offset:         3390
        .size:           2
        .value_kind:     hidden_group_size_y
      - .offset:         3392
        .size:           2
        .value_kind:     hidden_group_size_z
      - .offset:         3394
        .size:           2
        .value_kind:     hidden_remainder_x
      - .offset:         3396
        .size:           2
        .value_kind:     hidden_remainder_y
      - .offset:         3398
        .size:           2
        .value_kind:     hidden_remainder_z
      - .offset:         3416
        .size:           8
        .value_kind:     hidden_global_offset_x
      - .offset:         3424
        .size:           8
        .value_kind:     hidden_global_offset_y
      - .offset:         3432
        .size:           8
        .value_kind:     hidden_global_offset_z
      - .offset:         3440
        .size:           2
        .value_kind:     hidden_grid_dims
    .group_segment_fixed_size: 0
    .kernarg_segment_align: 8
    .kernarg_segment_size: 3632
    .language:       OpenCL C
    .language_version:
      - 2
      - 0
    .max_flat_workgroup_size: 512
    .name:           _ZN2at6native12_GLOBAL__N_125multi_tensor_apply_kernelINS1_18TensorListMetadataILi1EEENS1_14UnaryOpFunctorIN3c108BFloat16ELi1ELi1ELi0EEEJNS0_7SigmoidIfEEEEEvT_T0_DpT1_
    .private_segment_fixed_size: 0
    .sgpr_count:     23
    .sgpr_spill_count: 0
    .symbol:         _ZN2at6native12_GLOBAL__N_125multi_tensor_apply_kernelINS1_18TensorListMetadataILi1EEENS1_14UnaryOpFunctorIN3c108BFloat16ELi1ELi1ELi0EEEJNS0_7SigmoidIfEEEEEvT_T0_DpT1_.kd
    .uniform_work_group_size: 1
    .uses_dynamic_stack: false
    .vgpr_count:     29
    .vgpr_spill_count: 0
    .wavefront_size: 32
  - .args:
      - .offset:         0
        .size:           3144
        .value_kind:     by_value
      - .offset:         3144
        .size:           1
        .value_kind:     by_value
      - .offset:         3145
        .size:           1
        .value_kind:     by_value
      - .offset:         3152
        .size:           4
        .value_kind:     hidden_block_count_x
      - .offset:         3156
        .size:           4
        .value_kind:     hidden_block_count_y
      - .offset:         3160
        .size:           4
        .value_kind:     hidden_block_count_z
      - .offset:         3164
        .size:           2
        .value_kind:     hidden_group_size_x
      - .offset:         3166
        .size:           2
        .value_kind:     hidden_group_size_y
      - .offset:         3168
        .size:           2
        .value_kind:     hidden_group_size_z
      - .offset:         3170
        .size:           2
        .value_kind:     hidden_remainder_x
      - .offset:         3172
        .size:           2
        .value_kind:     hidden_remainder_y
      - .offset:         3174
        .size:           2
        .value_kind:     hidden_remainder_z
      - .offset:         3192
        .size:           8
        .value_kind:     hidden_global_offset_x
      - .offset:         3200
        .size:           8
        .value_kind:     hidden_global_offset_y
      - .offset:         3208
        .size:           8
        .value_kind:     hidden_global_offset_z
      - .offset:         3216
        .size:           2
        .value_kind:     hidden_grid_dims
    .group_segment_fixed_size: 0
    .kernarg_segment_align: 8
    .kernarg_segment_size: 3408
    .language:       OpenCL C
    .language_version:
      - 2
      - 0
    .max_flat_workgroup_size: 512
    .name:           _ZN2at6native12_GLOBAL__N_125multi_tensor_apply_kernelINS1_18TensorListMetadataILi2EEENS1_14UnaryOpFunctorIdLi2ELi1ELi1EEEJNS0_5RoundIdEEEEEvT_T0_DpT1_
    .private_segment_fixed_size: 0
    .sgpr_count:     22
    .sgpr_spill_count: 0
    .symbol:         _ZN2at6native12_GLOBAL__N_125multi_tensor_apply_kernelINS1_18TensorListMetadataILi2EEENS1_14UnaryOpFunctorIdLi2ELi1ELi1EEEJNS0_5RoundIdEEEEEvT_T0_DpT1_.kd
    .uniform_work_group_size: 1
    .uses_dynamic_stack: false
    .vgpr_count:     38
    .vgpr_spill_count: 0
    .wavefront_size: 32
  - .args:
      - .offset:         0
        .size:           3144
        .value_kind:     by_value
      - .offset:         3144
        .size:           1
        .value_kind:     by_value
      - .offset:         3145
        .size:           1
        .value_kind:     by_value
      - .offset:         3152
        .size:           4
        .value_kind:     hidden_block_count_x
      - .offset:         3156
        .size:           4
        .value_kind:     hidden_block_count_y
      - .offset:         3160
        .size:           4
        .value_kind:     hidden_block_count_z
      - .offset:         3164
        .size:           2
        .value_kind:     hidden_group_size_x
      - .offset:         3166
        .size:           2
        .value_kind:     hidden_group_size_y
      - .offset:         3168
        .size:           2
        .value_kind:     hidden_group_size_z
      - .offset:         3170
        .size:           2
        .value_kind:     hidden_remainder_x
      - .offset:         3172
        .size:           2
        .value_kind:     hidden_remainder_y
      - .offset:         3174
        .size:           2
        .value_kind:     hidden_remainder_z
      - .offset:         3192
        .size:           8
        .value_kind:     hidden_global_offset_x
      - .offset:         3200
        .size:           8
        .value_kind:     hidden_global_offset_y
      - .offset:         3208
        .size:           8
        .value_kind:     hidden_global_offset_z
      - .offset:         3216
        .size:           2
        .value_kind:     hidden_grid_dims
    .group_segment_fixed_size: 0
    .kernarg_segment_align: 8
    .kernarg_segment_size: 3408
    .language:       OpenCL C
    .language_version:
      - 2
      - 0
    .max_flat_workgroup_size: 512
    .name:           _ZN2at6native12_GLOBAL__N_125multi_tensor_apply_kernelINS1_18TensorListMetadataILi2EEENS1_14UnaryOpFunctorIfLi2ELi1ELi1EEEJNS0_5RoundIfEEEEEvT_T0_DpT1_
    .private_segment_fixed_size: 0
    .sgpr_count:     22
    .sgpr_spill_count: 0
    .symbol:         _ZN2at6native12_GLOBAL__N_125multi_tensor_apply_kernelINS1_18TensorListMetadataILi2EEENS1_14UnaryOpFunctorIfLi2ELi1ELi1EEEJNS0_5RoundIfEEEEEvT_T0_DpT1_.kd
    .uniform_work_group_size: 1
    .uses_dynamic_stack: false
    .vgpr_count:     34
    .vgpr_spill_count: 0
    .wavefront_size: 32
  - .args:
      - .offset:         0
        .size:           3144
        .value_kind:     by_value
      - .offset:         3144
        .size:           1
        .value_kind:     by_value
      - .offset:         3145
        .size:           1
        .value_kind:     by_value
      - .offset:         3152
        .size:           4
        .value_kind:     hidden_block_count_x
      - .offset:         3156
        .size:           4
        .value_kind:     hidden_block_count_y
      - .offset:         3160
        .size:           4
        .value_kind:     hidden_block_count_z
      - .offset:         3164
        .size:           2
        .value_kind:     hidden_group_size_x
      - .offset:         3166
        .size:           2
        .value_kind:     hidden_group_size_y
      - .offset:         3168
        .size:           2
        .value_kind:     hidden_group_size_z
      - .offset:         3170
        .size:           2
        .value_kind:     hidden_remainder_x
      - .offset:         3172
        .size:           2
        .value_kind:     hidden_remainder_y
      - .offset:         3174
        .size:           2
        .value_kind:     hidden_remainder_z
      - .offset:         3192
        .size:           8
        .value_kind:     hidden_global_offset_x
      - .offset:         3200
        .size:           8
        .value_kind:     hidden_global_offset_y
      - .offset:         3208
        .size:           8
        .value_kind:     hidden_global_offset_z
      - .offset:         3216
        .size:           2
        .value_kind:     hidden_grid_dims
    .group_segment_fixed_size: 0
    .kernarg_segment_align: 8
    .kernarg_segment_size: 3408
    .language:       OpenCL C
    .language_version:
      - 2
      - 0
    .max_flat_workgroup_size: 512
    .name:           _ZN2at6native12_GLOBAL__N_125multi_tensor_apply_kernelINS1_18TensorListMetadataILi2EEENS1_14UnaryOpFunctorIN3c104HalfELi2ELi1ELi1EEEJNS0_5RoundIfEEEEEvT_T0_DpT1_
    .private_segment_fixed_size: 0
    .sgpr_count:     22
    .sgpr_spill_count: 0
    .symbol:         _ZN2at6native12_GLOBAL__N_125multi_tensor_apply_kernelINS1_18TensorListMetadataILi2EEENS1_14UnaryOpFunctorIN3c104HalfELi2ELi1ELi1EEEJNS0_5RoundIfEEEEEvT_T0_DpT1_.kd
    .uniform_work_group_size: 1
    .uses_dynamic_stack: false
    .vgpr_count:     34
    .vgpr_spill_count: 0
    .wavefront_size: 32
  - .args:
      - .offset:         0
        .size:           3144
        .value_kind:     by_value
      - .offset:         3144
        .size:           1
        .value_kind:     by_value
      - .offset:         3145
        .size:           1
        .value_kind:     by_value
      - .offset:         3152
        .size:           4
        .value_kind:     hidden_block_count_x
      - .offset:         3156
        .size:           4
        .value_kind:     hidden_block_count_y
      - .offset:         3160
        .size:           4
        .value_kind:     hidden_block_count_z
      - .offset:         3164
        .size:           2
        .value_kind:     hidden_group_size_x
      - .offset:         3166
        .size:           2
        .value_kind:     hidden_group_size_y
      - .offset:         3168
        .size:           2
        .value_kind:     hidden_group_size_z
      - .offset:         3170
        .size:           2
        .value_kind:     hidden_remainder_x
      - .offset:         3172
        .size:           2
        .value_kind:     hidden_remainder_y
      - .offset:         3174
        .size:           2
        .value_kind:     hidden_remainder_z
      - .offset:         3192
        .size:           8
        .value_kind:     hidden_global_offset_x
      - .offset:         3200
        .size:           8
        .value_kind:     hidden_global_offset_y
      - .offset:         3208
        .size:           8
        .value_kind:     hidden_global_offset_z
      - .offset:         3216
        .size:           2
        .value_kind:     hidden_grid_dims
    .group_segment_fixed_size: 0
    .kernarg_segment_align: 8
    .kernarg_segment_size: 3408
    .language:       OpenCL C
    .language_version:
      - 2
      - 0
    .max_flat_workgroup_size: 512
    .name:           _ZN2at6native12_GLOBAL__N_125multi_tensor_apply_kernelINS1_18TensorListMetadataILi2EEENS1_14UnaryOpFunctorIN3c108BFloat16ELi2ELi1ELi1EEEJNS0_5RoundIfEEEEEvT_T0_DpT1_
    .private_segment_fixed_size: 0
    .sgpr_count:     22
    .sgpr_spill_count: 0
    .symbol:         _ZN2at6native12_GLOBAL__N_125multi_tensor_apply_kernelINS1_18TensorListMetadataILi2EEENS1_14UnaryOpFunctorIN3c108BFloat16ELi2ELi1ELi1EEEJNS0_5RoundIfEEEEEvT_T0_DpT1_.kd
    .uniform_work_group_size: 1
    .uses_dynamic_stack: false
    .vgpr_count:     35
    .vgpr_spill_count: 0
    .wavefront_size: 32
  - .args:
      - .offset:         0
        .size:           3368
        .value_kind:     by_value
      - .offset:         3368
        .size:           1
        .value_kind:     by_value
      - .offset:         3369
        .size:           1
        .value_kind:     by_value
      - .offset:         3376
        .size:           4
        .value_kind:     hidden_block_count_x
      - .offset:         3380
        .size:           4
        .value_kind:     hidden_block_count_y
      - .offset:         3384
        .size:           4
        .value_kind:     hidden_block_count_z
      - .offset:         3388
        .size:           2
        .value_kind:     hidden_group_size_x
      - .offset:         3390
        .size:           2
        .value_kind:     hidden_group_size_y
      - .offset:         3392
        .size:           2
        .value_kind:     hidden_group_size_z
      - .offset:         3394
        .size:           2
        .value_kind:     hidden_remainder_x
      - .offset:         3396
        .size:           2
        .value_kind:     hidden_remainder_y
      - .offset:         3398
        .size:           2
        .value_kind:     hidden_remainder_z
      - .offset:         3416
        .size:           8
        .value_kind:     hidden_global_offset_x
      - .offset:         3424
        .size:           8
        .value_kind:     hidden_global_offset_y
      - .offset:         3432
        .size:           8
        .value_kind:     hidden_global_offset_z
      - .offset:         3440
        .size:           2
        .value_kind:     hidden_grid_dims
    .group_segment_fixed_size: 0
    .kernarg_segment_align: 8
    .kernarg_segment_size: 3632
    .language:       OpenCL C
    .language_version:
      - 2
      - 0
    .max_flat_workgroup_size: 512
    .name:           _ZN2at6native12_GLOBAL__N_125multi_tensor_apply_kernelINS1_18TensorListMetadataILi1EEENS1_14UnaryOpFunctorIdLi1ELi1ELi0EEEJNS0_5RoundIdEEEEEvT_T0_DpT1_
    .private_segment_fixed_size: 0
    .sgpr_count:     24
    .sgpr_spill_count: 0
    .symbol:         _ZN2at6native12_GLOBAL__N_125multi_tensor_apply_kernelINS1_18TensorListMetadataILi1EEENS1_14UnaryOpFunctorIdLi1ELi1ELi0EEEJNS0_5RoundIdEEEEEvT_T0_DpT1_.kd
    .uniform_work_group_size: 1
    .uses_dynamic_stack: false
    .vgpr_count:     28
    .vgpr_spill_count: 0
    .wavefront_size: 32
  - .args:
      - .offset:         0
        .size:           3368
        .value_kind:     by_value
      - .offset:         3368
        .size:           1
        .value_kind:     by_value
      - .offset:         3369
        .size:           1
        .value_kind:     by_value
      - .offset:         3376
        .size:           4
        .value_kind:     hidden_block_count_x
      - .offset:         3380
        .size:           4
        .value_kind:     hidden_block_count_y
      - .offset:         3384
        .size:           4
        .value_kind:     hidden_block_count_z
      - .offset:         3388
        .size:           2
        .value_kind:     hidden_group_size_x
      - .offset:         3390
        .size:           2
        .value_kind:     hidden_group_size_y
      - .offset:         3392
        .size:           2
        .value_kind:     hidden_group_size_z
      - .offset:         3394
        .size:           2
        .value_kind:     hidden_remainder_x
      - .offset:         3396
        .size:           2
        .value_kind:     hidden_remainder_y
      - .offset:         3398
        .size:           2
        .value_kind:     hidden_remainder_z
      - .offset:         3416
        .size:           8
        .value_kind:     hidden_global_offset_x
      - .offset:         3424
        .size:           8
        .value_kind:     hidden_global_offset_y
      - .offset:         3432
        .size:           8
        .value_kind:     hidden_global_offset_z
      - .offset:         3440
        .size:           2
        .value_kind:     hidden_grid_dims
    .group_segment_fixed_size: 0
    .kernarg_segment_align: 8
    .kernarg_segment_size: 3632
    .language:       OpenCL C
    .language_version:
      - 2
      - 0
    .max_flat_workgroup_size: 512
    .name:           _ZN2at6native12_GLOBAL__N_125multi_tensor_apply_kernelINS1_18TensorListMetadataILi1EEENS1_14UnaryOpFunctorIfLi1ELi1ELi0EEEJNS0_5RoundIfEEEEEvT_T0_DpT1_
    .private_segment_fixed_size: 0
    .sgpr_count:     24
    .sgpr_spill_count: 0
    .symbol:         _ZN2at6native12_GLOBAL__N_125multi_tensor_apply_kernelINS1_18TensorListMetadataILi1EEENS1_14UnaryOpFunctorIfLi1ELi1ELi0EEEJNS0_5RoundIfEEEEEvT_T0_DpT1_.kd
    .uniform_work_group_size: 1
    .uses_dynamic_stack: false
    .vgpr_count:     24
    .vgpr_spill_count: 0
    .wavefront_size: 32
  - .args:
      - .offset:         0
        .size:           3368
        .value_kind:     by_value
      - .offset:         3368
        .size:           1
        .value_kind:     by_value
      - .offset:         3369
        .size:           1
        .value_kind:     by_value
      - .offset:         3376
        .size:           4
        .value_kind:     hidden_block_count_x
      - .offset:         3380
        .size:           4
        .value_kind:     hidden_block_count_y
      - .offset:         3384
        .size:           4
        .value_kind:     hidden_block_count_z
      - .offset:         3388
        .size:           2
        .value_kind:     hidden_group_size_x
      - .offset:         3390
        .size:           2
        .value_kind:     hidden_group_size_y
      - .offset:         3392
        .size:           2
        .value_kind:     hidden_group_size_z
      - .offset:         3394
        .size:           2
        .value_kind:     hidden_remainder_x
      - .offset:         3396
        .size:           2
        .value_kind:     hidden_remainder_y
      - .offset:         3398
        .size:           2
        .value_kind:     hidden_remainder_z
      - .offset:         3416
        .size:           8
        .value_kind:     hidden_global_offset_x
      - .offset:         3424
        .size:           8
        .value_kind:     hidden_global_offset_y
      - .offset:         3432
        .size:           8
        .value_kind:     hidden_global_offset_z
      - .offset:         3440
        .size:           2
        .value_kind:     hidden_grid_dims
    .group_segment_fixed_size: 0
    .kernarg_segment_align: 8
    .kernarg_segment_size: 3632
    .language:       OpenCL C
    .language_version:
      - 2
      - 0
    .max_flat_workgroup_size: 512
    .name:           _ZN2at6native12_GLOBAL__N_125multi_tensor_apply_kernelINS1_18TensorListMetadataILi1EEENS1_14UnaryOpFunctorIN3c104HalfELi1ELi1ELi0EEEJNS0_5RoundIfEEEEEvT_T0_DpT1_
    .private_segment_fixed_size: 0
    .sgpr_count:     22
    .sgpr_spill_count: 0
    .symbol:         _ZN2at6native12_GLOBAL__N_125multi_tensor_apply_kernelINS1_18TensorListMetadataILi1EEENS1_14UnaryOpFunctorIN3c104HalfELi1ELi1ELi0EEEJNS0_5RoundIfEEEEEvT_T0_DpT1_.kd
    .uniform_work_group_size: 1
    .uses_dynamic_stack: false
    .vgpr_count:     24
    .vgpr_spill_count: 0
    .wavefront_size: 32
  - .args:
      - .offset:         0
        .size:           3368
        .value_kind:     by_value
      - .offset:         3368
        .size:           1
        .value_kind:     by_value
      - .offset:         3369
        .size:           1
        .value_kind:     by_value
      - .offset:         3376
        .size:           4
        .value_kind:     hidden_block_count_x
      - .offset:         3380
        .size:           4
        .value_kind:     hidden_block_count_y
      - .offset:         3384
        .size:           4
        .value_kind:     hidden_block_count_z
      - .offset:         3388
        .size:           2
        .value_kind:     hidden_group_size_x
      - .offset:         3390
        .size:           2
        .value_kind:     hidden_group_size_y
      - .offset:         3392
        .size:           2
        .value_kind:     hidden_group_size_z
      - .offset:         3394
        .size:           2
        .value_kind:     hidden_remainder_x
      - .offset:         3396
        .size:           2
        .value_kind:     hidden_remainder_y
      - .offset:         3398
        .size:           2
        .value_kind:     hidden_remainder_z
      - .offset:         3416
        .size:           8
        .value_kind:     hidden_global_offset_x
      - .offset:         3424
        .size:           8
        .value_kind:     hidden_global_offset_y
      - .offset:         3432
        .size:           8
        .value_kind:     hidden_global_offset_z
      - .offset:         3440
        .size:           2
        .value_kind:     hidden_grid_dims
    .group_segment_fixed_size: 0
    .kernarg_segment_align: 8
    .kernarg_segment_size: 3632
    .language:       OpenCL C
    .language_version:
      - 2
      - 0
    .max_flat_workgroup_size: 512
    .name:           _ZN2at6native12_GLOBAL__N_125multi_tensor_apply_kernelINS1_18TensorListMetadataILi1EEENS1_14UnaryOpFunctorIN3c108BFloat16ELi1ELi1ELi0EEEJNS0_5RoundIfEEEEEvT_T0_DpT1_
    .private_segment_fixed_size: 0
    .sgpr_count:     22
    .sgpr_spill_count: 0
    .symbol:         _ZN2at6native12_GLOBAL__N_125multi_tensor_apply_kernelINS1_18TensorListMetadataILi1EEENS1_14UnaryOpFunctorIN3c108BFloat16ELi1ELi1ELi0EEEJNS0_5RoundIfEEEEEvT_T0_DpT1_.kd
    .uniform_work_group_size: 1
    .uses_dynamic_stack: false
    .vgpr_count:     25
    .vgpr_spill_count: 0
    .wavefront_size: 32
  - .args:
      - .offset:         0
        .size:           3144
        .value_kind:     by_value
      - .offset:         3144
        .size:           1
        .value_kind:     by_value
      - .offset:         3145
        .size:           1
        .value_kind:     by_value
      - .offset:         3152
        .size:           4
        .value_kind:     hidden_block_count_x
      - .offset:         3156
        .size:           4
        .value_kind:     hidden_block_count_y
      - .offset:         3160
        .size:           4
        .value_kind:     hidden_block_count_z
      - .offset:         3164
        .size:           2
        .value_kind:     hidden_group_size_x
      - .offset:         3166
        .size:           2
        .value_kind:     hidden_group_size_y
      - .offset:         3168
        .size:           2
        .value_kind:     hidden_group_size_z
      - .offset:         3170
        .size:           2
        .value_kind:     hidden_remainder_x
      - .offset:         3172
        .size:           2
        .value_kind:     hidden_remainder_y
      - .offset:         3174
        .size:           2
        .value_kind:     hidden_remainder_z
      - .offset:         3192
        .size:           8
        .value_kind:     hidden_global_offset_x
      - .offset:         3200
        .size:           8
        .value_kind:     hidden_global_offset_y
      - .offset:         3208
        .size:           8
        .value_kind:     hidden_global_offset_z
      - .offset:         3216
        .size:           2
        .value_kind:     hidden_grid_dims
    .group_segment_fixed_size: 0
    .kernarg_segment_align: 8
    .kernarg_segment_size: 3408
    .language:       OpenCL C
    .language_version:
      - 2
      - 0
    .max_flat_workgroup_size: 512
    .name:           _ZN2at6native12_GLOBAL__N_125multi_tensor_apply_kernelINS1_18TensorListMetadataILi2EEENS1_14UnaryOpFunctorIdLi2ELi1ELi1EEEJNS0_5TruncIdEEEEEvT_T0_DpT1_
    .private_segment_fixed_size: 0
    .sgpr_count:     22
    .sgpr_spill_count: 0
    .symbol:         _ZN2at6native12_GLOBAL__N_125multi_tensor_apply_kernelINS1_18TensorListMetadataILi2EEENS1_14UnaryOpFunctorIdLi2ELi1ELi1EEEJNS0_5TruncIdEEEEEvT_T0_DpT1_.kd
    .uniform_work_group_size: 1
    .uses_dynamic_stack: false
    .vgpr_count:     38
    .vgpr_spill_count: 0
    .wavefront_size: 32
  - .args:
      - .offset:         0
        .size:           3144
        .value_kind:     by_value
      - .offset:         3144
        .size:           1
        .value_kind:     by_value
      - .offset:         3145
        .size:           1
        .value_kind:     by_value
      - .offset:         3152
        .size:           4
        .value_kind:     hidden_block_count_x
      - .offset:         3156
        .size:           4
        .value_kind:     hidden_block_count_y
      - .offset:         3160
        .size:           4
        .value_kind:     hidden_block_count_z
      - .offset:         3164
        .size:           2
        .value_kind:     hidden_group_size_x
      - .offset:         3166
        .size:           2
        .value_kind:     hidden_group_size_y
      - .offset:         3168
        .size:           2
        .value_kind:     hidden_group_size_z
      - .offset:         3170
        .size:           2
        .value_kind:     hidden_remainder_x
      - .offset:         3172
        .size:           2
        .value_kind:     hidden_remainder_y
      - .offset:         3174
        .size:           2
        .value_kind:     hidden_remainder_z
      - .offset:         3192
        .size:           8
        .value_kind:     hidden_global_offset_x
      - .offset:         3200
        .size:           8
        .value_kind:     hidden_global_offset_y
      - .offset:         3208
        .size:           8
        .value_kind:     hidden_global_offset_z
      - .offset:         3216
        .size:           2
        .value_kind:     hidden_grid_dims
    .group_segment_fixed_size: 0
    .kernarg_segment_align: 8
    .kernarg_segment_size: 3408
    .language:       OpenCL C
    .language_version:
      - 2
      - 0
    .max_flat_workgroup_size: 512
    .name:           _ZN2at6native12_GLOBAL__N_125multi_tensor_apply_kernelINS1_18TensorListMetadataILi2EEENS1_14UnaryOpFunctorIfLi2ELi1ELi1EEEJNS0_5TruncIfEEEEEvT_T0_DpT1_
    .private_segment_fixed_size: 0
    .sgpr_count:     22
    .sgpr_spill_count: 0
    .symbol:         _ZN2at6native12_GLOBAL__N_125multi_tensor_apply_kernelINS1_18TensorListMetadataILi2EEENS1_14UnaryOpFunctorIfLi2ELi1ELi1EEEJNS0_5TruncIfEEEEEvT_T0_DpT1_.kd
    .uniform_work_group_size: 1
    .uses_dynamic_stack: false
    .vgpr_count:     35
    .vgpr_spill_count: 0
    .wavefront_size: 32
  - .args:
      - .offset:         0
        .size:           3144
        .value_kind:     by_value
      - .offset:         3144
        .size:           1
        .value_kind:     by_value
      - .offset:         3145
        .size:           1
        .value_kind:     by_value
      - .offset:         3152
        .size:           4
        .value_kind:     hidden_block_count_x
      - .offset:         3156
        .size:           4
        .value_kind:     hidden_block_count_y
      - .offset:         3160
        .size:           4
        .value_kind:     hidden_block_count_z
      - .offset:         3164
        .size:           2
        .value_kind:     hidden_group_size_x
      - .offset:         3166
        .size:           2
        .value_kind:     hidden_group_size_y
      - .offset:         3168
        .size:           2
        .value_kind:     hidden_group_size_z
      - .offset:         3170
        .size:           2
        .value_kind:     hidden_remainder_x
      - .offset:         3172
        .size:           2
        .value_kind:     hidden_remainder_y
      - .offset:         3174
        .size:           2
        .value_kind:     hidden_remainder_z
      - .offset:         3192
        .size:           8
        .value_kind:     hidden_global_offset_x
      - .offset:         3200
        .size:           8
        .value_kind:     hidden_global_offset_y
      - .offset:         3208
        .size:           8
        .value_kind:     hidden_global_offset_z
      - .offset:         3216
        .size:           2
        .value_kind:     hidden_grid_dims
    .group_segment_fixed_size: 0
    .kernarg_segment_align: 8
    .kernarg_segment_size: 3408
    .language:       OpenCL C
    .language_version:
      - 2
      - 0
    .max_flat_workgroup_size: 512
    .name:           _ZN2at6native12_GLOBAL__N_125multi_tensor_apply_kernelINS1_18TensorListMetadataILi2EEENS1_14UnaryOpFunctorIN3c104HalfELi2ELi1ELi1EEEJNS0_5TruncIfEEEEEvT_T0_DpT1_
    .private_segment_fixed_size: 0
    .sgpr_count:     22
    .sgpr_spill_count: 0
    .symbol:         _ZN2at6native12_GLOBAL__N_125multi_tensor_apply_kernelINS1_18TensorListMetadataILi2EEENS1_14UnaryOpFunctorIN3c104HalfELi2ELi1ELi1EEEJNS0_5TruncIfEEEEEvT_T0_DpT1_.kd
    .uniform_work_group_size: 1
    .uses_dynamic_stack: false
    .vgpr_count:     34
    .vgpr_spill_count: 0
    .wavefront_size: 32
  - .args:
      - .offset:         0
        .size:           3144
        .value_kind:     by_value
      - .offset:         3144
        .size:           1
        .value_kind:     by_value
      - .offset:         3145
        .size:           1
        .value_kind:     by_value
      - .offset:         3152
        .size:           4
        .value_kind:     hidden_block_count_x
      - .offset:         3156
        .size:           4
        .value_kind:     hidden_block_count_y
      - .offset:         3160
        .size:           4
        .value_kind:     hidden_block_count_z
      - .offset:         3164
        .size:           2
        .value_kind:     hidden_group_size_x
      - .offset:         3166
        .size:           2
        .value_kind:     hidden_group_size_y
      - .offset:         3168
        .size:           2
        .value_kind:     hidden_group_size_z
      - .offset:         3170
        .size:           2
        .value_kind:     hidden_remainder_x
      - .offset:         3172
        .size:           2
        .value_kind:     hidden_remainder_y
      - .offset:         3174
        .size:           2
        .value_kind:     hidden_remainder_z
      - .offset:         3192
        .size:           8
        .value_kind:     hidden_global_offset_x
      - .offset:         3200
        .size:           8
        .value_kind:     hidden_global_offset_y
      - .offset:         3208
        .size:           8
        .value_kind:     hidden_global_offset_z
      - .offset:         3216
        .size:           2
        .value_kind:     hidden_grid_dims
    .group_segment_fixed_size: 0
    .kernarg_segment_align: 8
    .kernarg_segment_size: 3408
    .language:       OpenCL C
    .language_version:
      - 2
      - 0
    .max_flat_workgroup_size: 512
    .name:           _ZN2at6native12_GLOBAL__N_125multi_tensor_apply_kernelINS1_18TensorListMetadataILi2EEENS1_14UnaryOpFunctorIN3c108BFloat16ELi2ELi1ELi1EEEJNS0_5TruncIfEEEEEvT_T0_DpT1_
    .private_segment_fixed_size: 0
    .sgpr_count:     22
    .sgpr_spill_count: 0
    .symbol:         _ZN2at6native12_GLOBAL__N_125multi_tensor_apply_kernelINS1_18TensorListMetadataILi2EEENS1_14UnaryOpFunctorIN3c108BFloat16ELi2ELi1ELi1EEEJNS0_5TruncIfEEEEEvT_T0_DpT1_.kd
    .uniform_work_group_size: 1
    .uses_dynamic_stack: false
    .vgpr_count:     35
    .vgpr_spill_count: 0
    .wavefront_size: 32
  - .args:
      - .offset:         0
        .size:           3368
        .value_kind:     by_value
      - .offset:         3368
        .size:           1
        .value_kind:     by_value
      - .offset:         3369
        .size:           1
        .value_kind:     by_value
      - .offset:         3376
        .size:           4
        .value_kind:     hidden_block_count_x
      - .offset:         3380
        .size:           4
        .value_kind:     hidden_block_count_y
      - .offset:         3384
        .size:           4
        .value_kind:     hidden_block_count_z
      - .offset:         3388
        .size:           2
        .value_kind:     hidden_group_size_x
      - .offset:         3390
        .size:           2
        .value_kind:     hidden_group_size_y
      - .offset:         3392
        .size:           2
        .value_kind:     hidden_group_size_z
      - .offset:         3394
        .size:           2
        .value_kind:     hidden_remainder_x
      - .offset:         3396
        .size:           2
        .value_kind:     hidden_remainder_y
      - .offset:         3398
        .size:           2
        .value_kind:     hidden_remainder_z
      - .offset:         3416
        .size:           8
        .value_kind:     hidden_global_offset_x
      - .offset:         3424
        .size:           8
        .value_kind:     hidden_global_offset_y
      - .offset:         3432
        .size:           8
        .value_kind:     hidden_global_offset_z
      - .offset:         3440
        .size:           2
        .value_kind:     hidden_grid_dims
    .group_segment_fixed_size: 0
    .kernarg_segment_align: 8
    .kernarg_segment_size: 3632
    .language:       OpenCL C
    .language_version:
      - 2
      - 0
    .max_flat_workgroup_size: 512
    .name:           _ZN2at6native12_GLOBAL__N_125multi_tensor_apply_kernelINS1_18TensorListMetadataILi1EEENS1_14UnaryOpFunctorIdLi1ELi1ELi0EEEJNS0_5TruncIdEEEEEvT_T0_DpT1_
    .private_segment_fixed_size: 0
    .sgpr_count:     24
    .sgpr_spill_count: 0
    .symbol:         _ZN2at6native12_GLOBAL__N_125multi_tensor_apply_kernelINS1_18TensorListMetadataILi1EEENS1_14UnaryOpFunctorIdLi1ELi1ELi0EEEJNS0_5TruncIdEEEEEvT_T0_DpT1_.kd
    .uniform_work_group_size: 1
    .uses_dynamic_stack: false
    .vgpr_count:     30
    .vgpr_spill_count: 0
    .wavefront_size: 32
  - .args:
      - .offset:         0
        .size:           3368
        .value_kind:     by_value
      - .offset:         3368
        .size:           1
        .value_kind:     by_value
      - .offset:         3369
        .size:           1
        .value_kind:     by_value
      - .offset:         3376
        .size:           4
        .value_kind:     hidden_block_count_x
      - .offset:         3380
        .size:           4
        .value_kind:     hidden_block_count_y
      - .offset:         3384
        .size:           4
        .value_kind:     hidden_block_count_z
      - .offset:         3388
        .size:           2
        .value_kind:     hidden_group_size_x
      - .offset:         3390
        .size:           2
        .value_kind:     hidden_group_size_y
      - .offset:         3392
        .size:           2
        .value_kind:     hidden_group_size_z
      - .offset:         3394
        .size:           2
        .value_kind:     hidden_remainder_x
      - .offset:         3396
        .size:           2
        .value_kind:     hidden_remainder_y
      - .offset:         3398
        .size:           2
        .value_kind:     hidden_remainder_z
      - .offset:         3416
        .size:           8
        .value_kind:     hidden_global_offset_x
      - .offset:         3424
        .size:           8
        .value_kind:     hidden_global_offset_y
      - .offset:         3432
        .size:           8
        .value_kind:     hidden_global_offset_z
      - .offset:         3440
        .size:           2
        .value_kind:     hidden_grid_dims
    .group_segment_fixed_size: 0
    .kernarg_segment_align: 8
    .kernarg_segment_size: 3632
    .language:       OpenCL C
    .language_version:
      - 2
      - 0
    .max_flat_workgroup_size: 512
    .name:           _ZN2at6native12_GLOBAL__N_125multi_tensor_apply_kernelINS1_18TensorListMetadataILi1EEENS1_14UnaryOpFunctorIfLi1ELi1ELi0EEEJNS0_5TruncIfEEEEEvT_T0_DpT1_
    .private_segment_fixed_size: 0
    .sgpr_count:     24
    .sgpr_spill_count: 0
    .symbol:         _ZN2at6native12_GLOBAL__N_125multi_tensor_apply_kernelINS1_18TensorListMetadataILi1EEENS1_14UnaryOpFunctorIfLi1ELi1ELi0EEEJNS0_5TruncIfEEEEEvT_T0_DpT1_.kd
    .uniform_work_group_size: 1
    .uses_dynamic_stack: false
    .vgpr_count:     32
    .vgpr_spill_count: 0
    .wavefront_size: 32
  - .args:
      - .offset:         0
        .size:           3368
        .value_kind:     by_value
      - .offset:         3368
        .size:           1
        .value_kind:     by_value
      - .offset:         3369
        .size:           1
        .value_kind:     by_value
      - .offset:         3376
        .size:           4
        .value_kind:     hidden_block_count_x
      - .offset:         3380
        .size:           4
        .value_kind:     hidden_block_count_y
      - .offset:         3384
        .size:           4
        .value_kind:     hidden_block_count_z
      - .offset:         3388
        .size:           2
        .value_kind:     hidden_group_size_x
      - .offset:         3390
        .size:           2
        .value_kind:     hidden_group_size_y
      - .offset:         3392
        .size:           2
        .value_kind:     hidden_group_size_z
      - .offset:         3394
        .size:           2
        .value_kind:     hidden_remainder_x
      - .offset:         3396
        .size:           2
        .value_kind:     hidden_remainder_y
      - .offset:         3398
        .size:           2
        .value_kind:     hidden_remainder_z
      - .offset:         3416
        .size:           8
        .value_kind:     hidden_global_offset_x
      - .offset:         3424
        .size:           8
        .value_kind:     hidden_global_offset_y
      - .offset:         3432
        .size:           8
        .value_kind:     hidden_global_offset_z
      - .offset:         3440
        .size:           2
        .value_kind:     hidden_grid_dims
    .group_segment_fixed_size: 0
    .kernarg_segment_align: 8
    .kernarg_segment_size: 3632
    .language:       OpenCL C
    .language_version:
      - 2
      - 0
    .max_flat_workgroup_size: 512
    .name:           _ZN2at6native12_GLOBAL__N_125multi_tensor_apply_kernelINS1_18TensorListMetadataILi1EEENS1_14UnaryOpFunctorIN3c104HalfELi1ELi1ELi0EEEJNS0_5TruncIfEEEEEvT_T0_DpT1_
    .private_segment_fixed_size: 0
    .sgpr_count:     22
    .sgpr_spill_count: 0
    .symbol:         _ZN2at6native12_GLOBAL__N_125multi_tensor_apply_kernelINS1_18TensorListMetadataILi1EEENS1_14UnaryOpFunctorIN3c104HalfELi1ELi1ELi0EEEJNS0_5TruncIfEEEEEvT_T0_DpT1_.kd
    .uniform_work_group_size: 1
    .uses_dynamic_stack: false
    .vgpr_count:     28
    .vgpr_spill_count: 0
    .wavefront_size: 32
  - .args:
      - .offset:         0
        .size:           3368
        .value_kind:     by_value
      - .offset:         3368
        .size:           1
        .value_kind:     by_value
      - .offset:         3369
        .size:           1
        .value_kind:     by_value
      - .offset:         3376
        .size:           4
        .value_kind:     hidden_block_count_x
      - .offset:         3380
        .size:           4
        .value_kind:     hidden_block_count_y
      - .offset:         3384
        .size:           4
        .value_kind:     hidden_block_count_z
      - .offset:         3388
        .size:           2
        .value_kind:     hidden_group_size_x
      - .offset:         3390
        .size:           2
        .value_kind:     hidden_group_size_y
      - .offset:         3392
        .size:           2
        .value_kind:     hidden_group_size_z
      - .offset:         3394
        .size:           2
        .value_kind:     hidden_remainder_x
      - .offset:         3396
        .size:           2
        .value_kind:     hidden_remainder_y
      - .offset:         3398
        .size:           2
        .value_kind:     hidden_remainder_z
      - .offset:         3416
        .size:           8
        .value_kind:     hidden_global_offset_x
      - .offset:         3424
        .size:           8
        .value_kind:     hidden_global_offset_y
      - .offset:         3432
        .size:           8
        .value_kind:     hidden_global_offset_z
      - .offset:         3440
        .size:           2
        .value_kind:     hidden_grid_dims
    .group_segment_fixed_size: 0
    .kernarg_segment_align: 8
    .kernarg_segment_size: 3632
    .language:       OpenCL C
    .language_version:
      - 2
      - 0
    .max_flat_workgroup_size: 512
    .name:           _ZN2at6native12_GLOBAL__N_125multi_tensor_apply_kernelINS1_18TensorListMetadataILi1EEENS1_14UnaryOpFunctorIN3c108BFloat16ELi1ELi1ELi0EEEJNS0_5TruncIfEEEEEvT_T0_DpT1_
    .private_segment_fixed_size: 0
    .sgpr_count:     22
    .sgpr_spill_count: 0
    .symbol:         _ZN2at6native12_GLOBAL__N_125multi_tensor_apply_kernelINS1_18TensorListMetadataILi1EEENS1_14UnaryOpFunctorIN3c108BFloat16ELi1ELi1ELi0EEEJNS0_5TruncIfEEEEEvT_T0_DpT1_.kd
    .uniform_work_group_size: 1
    .uses_dynamic_stack: false
    .vgpr_count:     25
    .vgpr_spill_count: 0
    .wavefront_size: 32
  - .args:
      - .offset:         0
        .size:           3144
        .value_kind:     by_value
      - .offset:         3144
        .size:           1
        .value_kind:     by_value
      - .offset:         3152
        .size:           8
        .value_kind:     by_value
      - .offset:         3160
        .size:           4
        .value_kind:     hidden_block_count_x
      - .offset:         3164
        .size:           4
        .value_kind:     hidden_block_count_y
      - .offset:         3168
        .size:           4
        .value_kind:     hidden_block_count_z
      - .offset:         3172
        .size:           2
        .value_kind:     hidden_group_size_x
      - .offset:         3174
        .size:           2
        .value_kind:     hidden_group_size_y
      - .offset:         3176
        .size:           2
        .value_kind:     hidden_group_size_z
      - .offset:         3178
        .size:           2
        .value_kind:     hidden_remainder_x
      - .offset:         3180
        .size:           2
        .value_kind:     hidden_remainder_y
      - .offset:         3182
        .size:           2
        .value_kind:     hidden_remainder_z
      - .offset:         3200
        .size:           8
        .value_kind:     hidden_global_offset_x
      - .offset:         3208
        .size:           8
        .value_kind:     hidden_global_offset_y
      - .offset:         3216
        .size:           8
        .value_kind:     hidden_global_offset_z
      - .offset:         3224
        .size:           2
        .value_kind:     hidden_grid_dims
    .group_segment_fixed_size: 0
    .kernarg_segment_align: 8
    .kernarg_segment_size: 3416
    .language:       OpenCL C
    .language_version:
      - 2
      - 0
    .max_flat_workgroup_size: 512
    .name:           _ZN2at6native12_GLOBAL__N_125multi_tensor_apply_kernelINS1_18TensorListMetadataILi2EEENS1_14UnaryOpFunctorIdLi2ELi1ELi1EEEJNS0_10ReciprocalIdEEEEEvT_T0_DpT1_
    .private_segment_fixed_size: 0
    .sgpr_count:     24
    .sgpr_spill_count: 0
    .symbol:         _ZN2at6native12_GLOBAL__N_125multi_tensor_apply_kernelINS1_18TensorListMetadataILi2EEENS1_14UnaryOpFunctorIdLi2ELi1ELi1EEEJNS0_10ReciprocalIdEEEEEvT_T0_DpT1_.kd
    .uniform_work_group_size: 1
    .uses_dynamic_stack: false
    .vgpr_count:     48
    .vgpr_spill_count: 0
    .wavefront_size: 32
  - .args:
      - .offset:         0
        .size:           3144
        .value_kind:     by_value
      - .offset:         3144
        .size:           1
        .value_kind:     by_value
      - .offset:         3148
        .size:           4
        .value_kind:     by_value
      - .offset:         3152
        .size:           4
        .value_kind:     hidden_block_count_x
      - .offset:         3156
        .size:           4
        .value_kind:     hidden_block_count_y
      - .offset:         3160
        .size:           4
        .value_kind:     hidden_block_count_z
      - .offset:         3164
        .size:           2
        .value_kind:     hidden_group_size_x
      - .offset:         3166
        .size:           2
        .value_kind:     hidden_group_size_y
      - .offset:         3168
        .size:           2
        .value_kind:     hidden_group_size_z
      - .offset:         3170
        .size:           2
        .value_kind:     hidden_remainder_x
      - .offset:         3172
        .size:           2
        .value_kind:     hidden_remainder_y
      - .offset:         3174
        .size:           2
        .value_kind:     hidden_remainder_z
      - .offset:         3192
        .size:           8
        .value_kind:     hidden_global_offset_x
      - .offset:         3200
        .size:           8
        .value_kind:     hidden_global_offset_y
      - .offset:         3208
        .size:           8
        .value_kind:     hidden_global_offset_z
      - .offset:         3216
        .size:           2
        .value_kind:     hidden_grid_dims
    .group_segment_fixed_size: 0
    .kernarg_segment_align: 8
    .kernarg_segment_size: 3408
    .language:       OpenCL C
    .language_version:
      - 2
      - 0
    .max_flat_workgroup_size: 512
    .name:           _ZN2at6native12_GLOBAL__N_125multi_tensor_apply_kernelINS1_18TensorListMetadataILi2EEENS1_14UnaryOpFunctorIfLi2ELi1ELi1EEEJNS0_10ReciprocalIfEEEEEvT_T0_DpT1_
    .private_segment_fixed_size: 0
    .sgpr_count:     25
    .sgpr_spill_count: 0
    .symbol:         _ZN2at6native12_GLOBAL__N_125multi_tensor_apply_kernelINS1_18TensorListMetadataILi2EEENS1_14UnaryOpFunctorIfLi2ELi1ELi1EEEJNS0_10ReciprocalIfEEEEEvT_T0_DpT1_.kd
    .uniform_work_group_size: 1
    .uses_dynamic_stack: false
    .vgpr_count:     37
    .vgpr_spill_count: 0
    .wavefront_size: 32
  - .args:
      - .offset:         0
        .size:           3144
        .value_kind:     by_value
      - .offset:         3144
        .size:           1
        .value_kind:     by_value
      - .offset:         3152
        .size:           16
        .value_kind:     by_value
      - .offset:         3168
        .size:           4
        .value_kind:     hidden_block_count_x
      - .offset:         3172
        .size:           4
        .value_kind:     hidden_block_count_y
      - .offset:         3176
        .size:           4
        .value_kind:     hidden_block_count_z
      - .offset:         3180
        .size:           2
        .value_kind:     hidden_group_size_x
      - .offset:         3182
        .size:           2
        .value_kind:     hidden_group_size_y
      - .offset:         3184
        .size:           2
        .value_kind:     hidden_group_size_z
      - .offset:         3186
        .size:           2
        .value_kind:     hidden_remainder_x
      - .offset:         3188
        .size:           2
        .value_kind:     hidden_remainder_y
      - .offset:         3190
        .size:           2
        .value_kind:     hidden_remainder_z
      - .offset:         3208
        .size:           8
        .value_kind:     hidden_global_offset_x
      - .offset:         3216
        .size:           8
        .value_kind:     hidden_global_offset_y
      - .offset:         3224
        .size:           8
        .value_kind:     hidden_global_offset_z
      - .offset:         3232
        .size:           2
        .value_kind:     hidden_grid_dims
    .group_segment_fixed_size: 0
    .kernarg_segment_align: 16
    .kernarg_segment_size: 3424
    .language:       OpenCL C
    .language_version:
      - 2
      - 0
    .max_flat_workgroup_size: 512
    .name:           _ZN2at6native12_GLOBAL__N_125multi_tensor_apply_kernelINS1_18TensorListMetadataILi2EEENS1_14UnaryOpFunctorIN3c107complexIdEELi2ELi1ELi1EEEJNS0_10ReciprocalIS8_EEEEEvT_T0_DpT1_
    .private_segment_fixed_size: 0
    .sgpr_count:     27
    .sgpr_spill_count: 0
    .symbol:         _ZN2at6native12_GLOBAL__N_125multi_tensor_apply_kernelINS1_18TensorListMetadataILi2EEENS1_14UnaryOpFunctorIN3c107complexIdEELi2ELi1ELi1EEEJNS0_10ReciprocalIS8_EEEEEvT_T0_DpT1_.kd
    .uniform_work_group_size: 1
    .uses_dynamic_stack: false
    .vgpr_count:     46
    .vgpr_spill_count: 0
    .wavefront_size: 32
  - .args:
      - .offset:         0
        .size:           3144
        .value_kind:     by_value
      - .offset:         3144
        .size:           1
        .value_kind:     by_value
      - .offset:         3152
        .size:           8
        .value_kind:     by_value
      - .offset:         3160
        .size:           4
        .value_kind:     hidden_block_count_x
      - .offset:         3164
        .size:           4
        .value_kind:     hidden_block_count_y
      - .offset:         3168
        .size:           4
        .value_kind:     hidden_block_count_z
      - .offset:         3172
        .size:           2
        .value_kind:     hidden_group_size_x
      - .offset:         3174
        .size:           2
        .value_kind:     hidden_group_size_y
      - .offset:         3176
        .size:           2
        .value_kind:     hidden_group_size_z
      - .offset:         3178
        .size:           2
        .value_kind:     hidden_remainder_x
      - .offset:         3180
        .size:           2
        .value_kind:     hidden_remainder_y
      - .offset:         3182
        .size:           2
        .value_kind:     hidden_remainder_z
      - .offset:         3200
        .size:           8
        .value_kind:     hidden_global_offset_x
      - .offset:         3208
        .size:           8
        .value_kind:     hidden_global_offset_y
      - .offset:         3216
        .size:           8
        .value_kind:     hidden_global_offset_z
      - .offset:         3224
        .size:           2
        .value_kind:     hidden_grid_dims
    .group_segment_fixed_size: 0
    .kernarg_segment_align: 8
    .kernarg_segment_size: 3416
    .language:       OpenCL C
    .language_version:
      - 2
      - 0
    .max_flat_workgroup_size: 512
    .name:           _ZN2at6native12_GLOBAL__N_125multi_tensor_apply_kernelINS1_18TensorListMetadataILi2EEENS1_14UnaryOpFunctorIN3c107complexIfEELi2ELi1ELi1EEEJNS0_10ReciprocalIS8_EEEEEvT_T0_DpT1_
    .private_segment_fixed_size: 0
    .sgpr_count:     25
    .sgpr_spill_count: 0
    .symbol:         _ZN2at6native12_GLOBAL__N_125multi_tensor_apply_kernelINS1_18TensorListMetadataILi2EEENS1_14UnaryOpFunctorIN3c107complexIfEELi2ELi1ELi1EEEJNS0_10ReciprocalIS8_EEEEEvT_T0_DpT1_.kd
    .uniform_work_group_size: 1
    .uses_dynamic_stack: false
    .vgpr_count:     46
    .vgpr_spill_count: 0
    .wavefront_size: 32
  - .args:
      - .offset:         0
        .size:           3144
        .value_kind:     by_value
      - .offset:         3144
        .size:           1
        .value_kind:     by_value
      - .offset:         3148
        .size:           4
        .value_kind:     by_value
      - .offset:         3152
        .size:           4
        .value_kind:     hidden_block_count_x
      - .offset:         3156
        .size:           4
        .value_kind:     hidden_block_count_y
      - .offset:         3160
        .size:           4
        .value_kind:     hidden_block_count_z
      - .offset:         3164
        .size:           2
        .value_kind:     hidden_group_size_x
      - .offset:         3166
        .size:           2
        .value_kind:     hidden_group_size_y
      - .offset:         3168
        .size:           2
        .value_kind:     hidden_group_size_z
      - .offset:         3170
        .size:           2
        .value_kind:     hidden_remainder_x
      - .offset:         3172
        .size:           2
        .value_kind:     hidden_remainder_y
      - .offset:         3174
        .size:           2
        .value_kind:     hidden_remainder_z
      - .offset:         3192
        .size:           8
        .value_kind:     hidden_global_offset_x
      - .offset:         3200
        .size:           8
        .value_kind:     hidden_global_offset_y
      - .offset:         3208
        .size:           8
        .value_kind:     hidden_global_offset_z
      - .offset:         3216
        .size:           2
        .value_kind:     hidden_grid_dims
    .group_segment_fixed_size: 0
    .kernarg_segment_align: 8
    .kernarg_segment_size: 3408
    .language:       OpenCL C
    .language_version:
      - 2
      - 0
    .max_flat_workgroup_size: 512
    .name:           _ZN2at6native12_GLOBAL__N_125multi_tensor_apply_kernelINS1_18TensorListMetadataILi2EEENS1_14UnaryOpFunctorIN3c104HalfELi2ELi1ELi1EEEJNS0_10ReciprocalIfEEEEEvT_T0_DpT1_
    .private_segment_fixed_size: 0
    .sgpr_count:     24
    .sgpr_spill_count: 0
    .symbol:         _ZN2at6native12_GLOBAL__N_125multi_tensor_apply_kernelINS1_18TensorListMetadataILi2EEENS1_14UnaryOpFunctorIN3c104HalfELi2ELi1ELi1EEEJNS0_10ReciprocalIfEEEEEvT_T0_DpT1_.kd
    .uniform_work_group_size: 1
    .uses_dynamic_stack: false
    .vgpr_count:     37
    .vgpr_spill_count: 0
    .wavefront_size: 32
  - .args:
      - .offset:         0
        .size:           3144
        .value_kind:     by_value
      - .offset:         3144
        .size:           1
        .value_kind:     by_value
      - .offset:         3148
        .size:           4
        .value_kind:     by_value
      - .offset:         3152
        .size:           4
        .value_kind:     hidden_block_count_x
      - .offset:         3156
        .size:           4
        .value_kind:     hidden_block_count_y
      - .offset:         3160
        .size:           4
        .value_kind:     hidden_block_count_z
      - .offset:         3164
        .size:           2
        .value_kind:     hidden_group_size_x
      - .offset:         3166
        .size:           2
        .value_kind:     hidden_group_size_y
      - .offset:         3168
        .size:           2
        .value_kind:     hidden_group_size_z
      - .offset:         3170
        .size:           2
        .value_kind:     hidden_remainder_x
      - .offset:         3172
        .size:           2
        .value_kind:     hidden_remainder_y
      - .offset:         3174
        .size:           2
        .value_kind:     hidden_remainder_z
      - .offset:         3192
        .size:           8
        .value_kind:     hidden_global_offset_x
      - .offset:         3200
        .size:           8
        .value_kind:     hidden_global_offset_y
      - .offset:         3208
        .size:           8
        .value_kind:     hidden_global_offset_z
      - .offset:         3216
        .size:           2
        .value_kind:     hidden_grid_dims
    .group_segment_fixed_size: 0
    .kernarg_segment_align: 8
    .kernarg_segment_size: 3408
    .language:       OpenCL C
    .language_version:
      - 2
      - 0
    .max_flat_workgroup_size: 512
    .name:           _ZN2at6native12_GLOBAL__N_125multi_tensor_apply_kernelINS1_18TensorListMetadataILi2EEENS1_14UnaryOpFunctorIN3c108BFloat16ELi2ELi1ELi1EEEJNS0_10ReciprocalIfEEEEEvT_T0_DpT1_
    .private_segment_fixed_size: 0
    .sgpr_count:     24
    .sgpr_spill_count: 0
    .symbol:         _ZN2at6native12_GLOBAL__N_125multi_tensor_apply_kernelINS1_18TensorListMetadataILi2EEENS1_14UnaryOpFunctorIN3c108BFloat16ELi2ELi1ELi1EEEJNS0_10ReciprocalIfEEEEEvT_T0_DpT1_.kd
    .uniform_work_group_size: 1
    .uses_dynamic_stack: false
    .vgpr_count:     37
    .vgpr_spill_count: 0
    .wavefront_size: 32
  - .args:
      - .offset:         0
        .size:           3368
        .value_kind:     by_value
      - .offset:         3368
        .size:           1
        .value_kind:     by_value
      - .offset:         3376
        .size:           8
        .value_kind:     by_value
      - .offset:         3384
        .size:           4
        .value_kind:     hidden_block_count_x
      - .offset:         3388
        .size:           4
        .value_kind:     hidden_block_count_y
      - .offset:         3392
        .size:           4
        .value_kind:     hidden_block_count_z
      - .offset:         3396
        .size:           2
        .value_kind:     hidden_group_size_x
      - .offset:         3398
        .size:           2
        .value_kind:     hidden_group_size_y
      - .offset:         3400
        .size:           2
        .value_kind:     hidden_group_size_z
      - .offset:         3402
        .size:           2
        .value_kind:     hidden_remainder_x
      - .offset:         3404
        .size:           2
        .value_kind:     hidden_remainder_y
      - .offset:         3406
        .size:           2
        .value_kind:     hidden_remainder_z
      - .offset:         3424
        .size:           8
        .value_kind:     hidden_global_offset_x
      - .offset:         3432
        .size:           8
        .value_kind:     hidden_global_offset_y
      - .offset:         3440
        .size:           8
        .value_kind:     hidden_global_offset_z
      - .offset:         3448
        .size:           2
        .value_kind:     hidden_grid_dims
    .group_segment_fixed_size: 0
    .kernarg_segment_align: 8
    .kernarg_segment_size: 3640
    .language:       OpenCL C
    .language_version:
      - 2
      - 0
    .max_flat_workgroup_size: 512
    .name:           _ZN2at6native12_GLOBAL__N_125multi_tensor_apply_kernelINS1_18TensorListMetadataILi1EEENS1_14UnaryOpFunctorIdLi1ELi1ELi0EEEJNS0_10ReciprocalIdEEEEEvT_T0_DpT1_
    .private_segment_fixed_size: 0
    .sgpr_count:     26
    .sgpr_spill_count: 0
    .symbol:         _ZN2at6native12_GLOBAL__N_125multi_tensor_apply_kernelINS1_18TensorListMetadataILi1EEENS1_14UnaryOpFunctorIdLi1ELi1ELi0EEEJNS0_10ReciprocalIdEEEEEvT_T0_DpT1_.kd
    .uniform_work_group_size: 1
    .uses_dynamic_stack: false
    .vgpr_count:     46
    .vgpr_spill_count: 0
    .wavefront_size: 32
  - .args:
      - .offset:         0
        .size:           3368
        .value_kind:     by_value
      - .offset:         3368
        .size:           1
        .value_kind:     by_value
      - .offset:         3372
        .size:           4
        .value_kind:     by_value
      - .offset:         3376
        .size:           4
        .value_kind:     hidden_block_count_x
      - .offset:         3380
        .size:           4
        .value_kind:     hidden_block_count_y
      - .offset:         3384
        .size:           4
        .value_kind:     hidden_block_count_z
      - .offset:         3388
        .size:           2
        .value_kind:     hidden_group_size_x
      - .offset:         3390
        .size:           2
        .value_kind:     hidden_group_size_y
      - .offset:         3392
        .size:           2
        .value_kind:     hidden_group_size_z
      - .offset:         3394
        .size:           2
        .value_kind:     hidden_remainder_x
      - .offset:         3396
        .size:           2
        .value_kind:     hidden_remainder_y
      - .offset:         3398
        .size:           2
        .value_kind:     hidden_remainder_z
      - .offset:         3416
        .size:           8
        .value_kind:     hidden_global_offset_x
      - .offset:         3424
        .size:           8
        .value_kind:     hidden_global_offset_y
      - .offset:         3432
        .size:           8
        .value_kind:     hidden_global_offset_z
      - .offset:         3440
        .size:           2
        .value_kind:     hidden_grid_dims
    .group_segment_fixed_size: 0
    .kernarg_segment_align: 8
    .kernarg_segment_size: 3632
    .language:       OpenCL C
    .language_version:
      - 2
      - 0
    .max_flat_workgroup_size: 512
    .name:           _ZN2at6native12_GLOBAL__N_125multi_tensor_apply_kernelINS1_18TensorListMetadataILi1EEENS1_14UnaryOpFunctorIfLi1ELi1ELi0EEEJNS0_10ReciprocalIfEEEEEvT_T0_DpT1_
    .private_segment_fixed_size: 0
    .sgpr_count:     26
    .sgpr_spill_count: 0
    .symbol:         _ZN2at6native12_GLOBAL__N_125multi_tensor_apply_kernelINS1_18TensorListMetadataILi1EEENS1_14UnaryOpFunctorIfLi1ELi1ELi0EEEJNS0_10ReciprocalIfEEEEEvT_T0_DpT1_.kd
    .uniform_work_group_size: 1
    .uses_dynamic_stack: false
    .vgpr_count:     60
    .vgpr_spill_count: 0
    .wavefront_size: 32
  - .args:
      - .offset:         0
        .size:           3368
        .value_kind:     by_value
      - .offset:         3368
        .size:           1
        .value_kind:     by_value
      - .offset:         3376
        .size:           16
        .value_kind:     by_value
      - .offset:         3392
        .size:           4
        .value_kind:     hidden_block_count_x
      - .offset:         3396
        .size:           4
        .value_kind:     hidden_block_count_y
      - .offset:         3400
        .size:           4
        .value_kind:     hidden_block_count_z
      - .offset:         3404
        .size:           2
        .value_kind:     hidden_group_size_x
      - .offset:         3406
        .size:           2
        .value_kind:     hidden_group_size_y
      - .offset:         3408
        .size:           2
        .value_kind:     hidden_group_size_z
      - .offset:         3410
        .size:           2
        .value_kind:     hidden_remainder_x
      - .offset:         3412
        .size:           2
        .value_kind:     hidden_remainder_y
      - .offset:         3414
        .size:           2
        .value_kind:     hidden_remainder_z
      - .offset:         3432
        .size:           8
        .value_kind:     hidden_global_offset_x
      - .offset:         3440
        .size:           8
        .value_kind:     hidden_global_offset_y
      - .offset:         3448
        .size:           8
        .value_kind:     hidden_global_offset_z
      - .offset:         3456
        .size:           2
        .value_kind:     hidden_grid_dims
    .group_segment_fixed_size: 0
    .kernarg_segment_align: 16
    .kernarg_segment_size: 3648
    .language:       OpenCL C
    .language_version:
      - 2
      - 0
    .max_flat_workgroup_size: 512
    .name:           _ZN2at6native12_GLOBAL__N_125multi_tensor_apply_kernelINS1_18TensorListMetadataILi1EEENS1_14UnaryOpFunctorIN3c107complexIdEELi1ELi1ELi0EEEJNS0_10ReciprocalIS8_EEEEEvT_T0_DpT1_
    .private_segment_fixed_size: 0
    .sgpr_count:     29
    .sgpr_spill_count: 0
    .symbol:         _ZN2at6native12_GLOBAL__N_125multi_tensor_apply_kernelINS1_18TensorListMetadataILi1EEENS1_14UnaryOpFunctorIN3c107complexIdEELi1ELi1ELi0EEEJNS0_10ReciprocalIS8_EEEEEvT_T0_DpT1_.kd
    .uniform_work_group_size: 1
    .uses_dynamic_stack: false
    .vgpr_count:     60
    .vgpr_spill_count: 0
    .wavefront_size: 32
  - .args:
      - .offset:         0
        .size:           3368
        .value_kind:     by_value
      - .offset:         3368
        .size:           1
        .value_kind:     by_value
      - .offset:         3376
        .size:           8
        .value_kind:     by_value
      - .offset:         3384
        .size:           4
        .value_kind:     hidden_block_count_x
      - .offset:         3388
        .size:           4
        .value_kind:     hidden_block_count_y
      - .offset:         3392
        .size:           4
        .value_kind:     hidden_block_count_z
      - .offset:         3396
        .size:           2
        .value_kind:     hidden_group_size_x
      - .offset:         3398
        .size:           2
        .value_kind:     hidden_group_size_y
      - .offset:         3400
        .size:           2
        .value_kind:     hidden_group_size_z
      - .offset:         3402
        .size:           2
        .value_kind:     hidden_remainder_x
      - .offset:         3404
        .size:           2
        .value_kind:     hidden_remainder_y
      - .offset:         3406
        .size:           2
        .value_kind:     hidden_remainder_z
      - .offset:         3424
        .size:           8
        .value_kind:     hidden_global_offset_x
      - .offset:         3432
        .size:           8
        .value_kind:     hidden_global_offset_y
      - .offset:         3440
        .size:           8
        .value_kind:     hidden_global_offset_z
      - .offset:         3448
        .size:           2
        .value_kind:     hidden_grid_dims
    .group_segment_fixed_size: 0
    .kernarg_segment_align: 8
    .kernarg_segment_size: 3640
    .language:       OpenCL C
    .language_version:
      - 2
      - 0
    .max_flat_workgroup_size: 512
    .name:           _ZN2at6native12_GLOBAL__N_125multi_tensor_apply_kernelINS1_18TensorListMetadataILi1EEENS1_14UnaryOpFunctorIN3c107complexIfEELi1ELi1ELi0EEEJNS0_10ReciprocalIS8_EEEEEvT_T0_DpT1_
    .private_segment_fixed_size: 0
    .sgpr_count:     31
    .sgpr_spill_count: 0
    .symbol:         _ZN2at6native12_GLOBAL__N_125multi_tensor_apply_kernelINS1_18TensorListMetadataILi1EEENS1_14UnaryOpFunctorIN3c107complexIfEELi1ELi1ELi0EEEJNS0_10ReciprocalIS8_EEEEEvT_T0_DpT1_.kd
    .uniform_work_group_size: 1
    .uses_dynamic_stack: false
    .vgpr_count:     38
    .vgpr_spill_count: 0
    .wavefront_size: 32
  - .args:
      - .offset:         0
        .size:           3368
        .value_kind:     by_value
      - .offset:         3368
        .size:           1
        .value_kind:     by_value
      - .offset:         3372
        .size:           4
        .value_kind:     by_value
      - .offset:         3376
        .size:           4
        .value_kind:     hidden_block_count_x
      - .offset:         3380
        .size:           4
        .value_kind:     hidden_block_count_y
      - .offset:         3384
        .size:           4
        .value_kind:     hidden_block_count_z
      - .offset:         3388
        .size:           2
        .value_kind:     hidden_group_size_x
      - .offset:         3390
        .size:           2
        .value_kind:     hidden_group_size_y
      - .offset:         3392
        .size:           2
        .value_kind:     hidden_group_size_z
      - .offset:         3394
        .size:           2
        .value_kind:     hidden_remainder_x
      - .offset:         3396
        .size:           2
        .value_kind:     hidden_remainder_y
      - .offset:         3398
        .size:           2
        .value_kind:     hidden_remainder_z
      - .offset:         3416
        .size:           8
        .value_kind:     hidden_global_offset_x
      - .offset:         3424
        .size:           8
        .value_kind:     hidden_global_offset_y
      - .offset:         3432
        .size:           8
        .value_kind:     hidden_global_offset_z
      - .offset:         3440
        .size:           2
        .value_kind:     hidden_grid_dims
    .group_segment_fixed_size: 0
    .kernarg_segment_align: 8
    .kernarg_segment_size: 3632
    .language:       OpenCL C
    .language_version:
      - 2
      - 0
    .max_flat_workgroup_size: 512
    .name:           _ZN2at6native12_GLOBAL__N_125multi_tensor_apply_kernelINS1_18TensorListMetadataILi1EEENS1_14UnaryOpFunctorIN3c104HalfELi1ELi1ELi0EEEJNS0_10ReciprocalIfEEEEEvT_T0_DpT1_
    .private_segment_fixed_size: 0
    .sgpr_count:     23
    .sgpr_spill_count: 0
    .symbol:         _ZN2at6native12_GLOBAL__N_125multi_tensor_apply_kernelINS1_18TensorListMetadataILi1EEENS1_14UnaryOpFunctorIN3c104HalfELi1ELi1ELi0EEEJNS0_10ReciprocalIfEEEEEvT_T0_DpT1_.kd
    .uniform_work_group_size: 1
    .uses_dynamic_stack: false
    .vgpr_count:     29
    .vgpr_spill_count: 0
    .wavefront_size: 32
  - .args:
      - .offset:         0
        .size:           3368
        .value_kind:     by_value
      - .offset:         3368
        .size:           1
        .value_kind:     by_value
      - .offset:         3372
        .size:           4
        .value_kind:     by_value
      - .offset:         3376
        .size:           4
        .value_kind:     hidden_block_count_x
      - .offset:         3380
        .size:           4
        .value_kind:     hidden_block_count_y
      - .offset:         3384
        .size:           4
        .value_kind:     hidden_block_count_z
      - .offset:         3388
        .size:           2
        .value_kind:     hidden_group_size_x
      - .offset:         3390
        .size:           2
        .value_kind:     hidden_group_size_y
      - .offset:         3392
        .size:           2
        .value_kind:     hidden_group_size_z
      - .offset:         3394
        .size:           2
        .value_kind:     hidden_remainder_x
      - .offset:         3396
        .size:           2
        .value_kind:     hidden_remainder_y
      - .offset:         3398
        .size:           2
        .value_kind:     hidden_remainder_z
      - .offset:         3416
        .size:           8
        .value_kind:     hidden_global_offset_x
      - .offset:         3424
        .size:           8
        .value_kind:     hidden_global_offset_y
      - .offset:         3432
        .size:           8
        .value_kind:     hidden_global_offset_z
      - .offset:         3440
        .size:           2
        .value_kind:     hidden_grid_dims
    .group_segment_fixed_size: 0
    .kernarg_segment_align: 8
    .kernarg_segment_size: 3632
    .language:       OpenCL C
    .language_version:
      - 2
      - 0
    .max_flat_workgroup_size: 512
    .name:           _ZN2at6native12_GLOBAL__N_125multi_tensor_apply_kernelINS1_18TensorListMetadataILi1EEENS1_14UnaryOpFunctorIN3c108BFloat16ELi1ELi1ELi0EEEJNS0_10ReciprocalIfEEEEEvT_T0_DpT1_
    .private_segment_fixed_size: 0
    .sgpr_count:     23
    .sgpr_spill_count: 0
    .symbol:         _ZN2at6native12_GLOBAL__N_125multi_tensor_apply_kernelINS1_18TensorListMetadataILi1EEENS1_14UnaryOpFunctorIN3c108BFloat16ELi1ELi1ELi0EEEJNS0_10ReciprocalIfEEEEEvT_T0_DpT1_.kd
    .uniform_work_group_size: 1
    .uses_dynamic_stack: false
    .vgpr_count:     29
    .vgpr_spill_count: 0
    .wavefront_size: 32
  - .args:
      - .offset:         0
        .size:           3144
        .value_kind:     by_value
      - .offset:         3144
        .size:           1
        .value_kind:     by_value
      - .offset:         3145
        .size:           1
        .value_kind:     by_value
      - .offset:         3152
        .size:           4
        .value_kind:     hidden_block_count_x
      - .offset:         3156
        .size:           4
        .value_kind:     hidden_block_count_y
      - .offset:         3160
        .size:           4
        .value_kind:     hidden_block_count_z
      - .offset:         3164
        .size:           2
        .value_kind:     hidden_group_size_x
      - .offset:         3166
        .size:           2
        .value_kind:     hidden_group_size_y
      - .offset:         3168
        .size:           2
        .value_kind:     hidden_group_size_z
      - .offset:         3170
        .size:           2
        .value_kind:     hidden_remainder_x
      - .offset:         3172
        .size:           2
        .value_kind:     hidden_remainder_y
      - .offset:         3174
        .size:           2
        .value_kind:     hidden_remainder_z
      - .offset:         3192
        .size:           8
        .value_kind:     hidden_global_offset_x
      - .offset:         3200
        .size:           8
        .value_kind:     hidden_global_offset_y
      - .offset:         3208
        .size:           8
        .value_kind:     hidden_global_offset_z
      - .offset:         3216
        .size:           2
        .value_kind:     hidden_grid_dims
    .group_segment_fixed_size: 0
    .kernarg_segment_align: 8
    .kernarg_segment_size: 3408
    .language:       OpenCL C
    .language_version:
      - 2
      - 0
    .max_flat_workgroup_size: 512
    .name:           _ZN2at6native12_GLOBAL__N_125multi_tensor_apply_kernelINS1_18TensorListMetadataILi2EEENS1_14UnaryOpFunctorIdLi2ELi1ELi1EEEJNS0_4SignIdEEEEEvT_T0_DpT1_
    .private_segment_fixed_size: 0
    .sgpr_count:     22
    .sgpr_spill_count: 0
    .symbol:         _ZN2at6native12_GLOBAL__N_125multi_tensor_apply_kernelINS1_18TensorListMetadataILi2EEENS1_14UnaryOpFunctorIdLi2ELi1ELi1EEEJNS0_4SignIdEEEEEvT_T0_DpT1_.kd
    .uniform_work_group_size: 1
    .uses_dynamic_stack: false
    .vgpr_count:     38
    .vgpr_spill_count: 0
    .wavefront_size: 32
  - .args:
      - .offset:         0
        .size:           3144
        .value_kind:     by_value
      - .offset:         3144
        .size:           1
        .value_kind:     by_value
      - .offset:         3145
        .size:           1
        .value_kind:     by_value
      - .offset:         3152
        .size:           4
        .value_kind:     hidden_block_count_x
      - .offset:         3156
        .size:           4
        .value_kind:     hidden_block_count_y
      - .offset:         3160
        .size:           4
        .value_kind:     hidden_block_count_z
      - .offset:         3164
        .size:           2
        .value_kind:     hidden_group_size_x
      - .offset:         3166
        .size:           2
        .value_kind:     hidden_group_size_y
      - .offset:         3168
        .size:           2
        .value_kind:     hidden_group_size_z
      - .offset:         3170
        .size:           2
        .value_kind:     hidden_remainder_x
      - .offset:         3172
        .size:           2
        .value_kind:     hidden_remainder_y
      - .offset:         3174
        .size:           2
        .value_kind:     hidden_remainder_z
      - .offset:         3192
        .size:           8
        .value_kind:     hidden_global_offset_x
      - .offset:         3200
        .size:           8
        .value_kind:     hidden_global_offset_y
      - .offset:         3208
        .size:           8
        .value_kind:     hidden_global_offset_z
      - .offset:         3216
        .size:           2
        .value_kind:     hidden_grid_dims
    .group_segment_fixed_size: 0
    .kernarg_segment_align: 8
    .kernarg_segment_size: 3408
    .language:       OpenCL C
    .language_version:
      - 2
      - 0
    .max_flat_workgroup_size: 512
    .name:           _ZN2at6native12_GLOBAL__N_125multi_tensor_apply_kernelINS1_18TensorListMetadataILi2EEENS1_14UnaryOpFunctorIfLi2ELi1ELi1EEEJNS0_4SignIfEEEEEvT_T0_DpT1_
    .private_segment_fixed_size: 0
    .sgpr_count:     22
    .sgpr_spill_count: 0
    .symbol:         _ZN2at6native12_GLOBAL__N_125multi_tensor_apply_kernelINS1_18TensorListMetadataILi2EEENS1_14UnaryOpFunctorIfLi2ELi1ELi1EEEJNS0_4SignIfEEEEEvT_T0_DpT1_.kd
    .uniform_work_group_size: 1
    .uses_dynamic_stack: false
    .vgpr_count:     34
    .vgpr_spill_count: 0
    .wavefront_size: 32
  - .args:
      - .offset:         0
        .size:           3144
        .value_kind:     by_value
      - .offset:         3144
        .size:           1
        .value_kind:     by_value
      - .offset:         3145
        .size:           1
        .value_kind:     by_value
      - .offset:         3152
        .size:           4
        .value_kind:     hidden_block_count_x
      - .offset:         3156
        .size:           4
        .value_kind:     hidden_block_count_y
      - .offset:         3160
        .size:           4
        .value_kind:     hidden_block_count_z
      - .offset:         3164
        .size:           2
        .value_kind:     hidden_group_size_x
      - .offset:         3166
        .size:           2
        .value_kind:     hidden_group_size_y
      - .offset:         3168
        .size:           2
        .value_kind:     hidden_group_size_z
      - .offset:         3170
        .size:           2
        .value_kind:     hidden_remainder_x
      - .offset:         3172
        .size:           2
        .value_kind:     hidden_remainder_y
      - .offset:         3174
        .size:           2
        .value_kind:     hidden_remainder_z
      - .offset:         3192
        .size:           8
        .value_kind:     hidden_global_offset_x
      - .offset:         3200
        .size:           8
        .value_kind:     hidden_global_offset_y
      - .offset:         3208
        .size:           8
        .value_kind:     hidden_global_offset_z
      - .offset:         3216
        .size:           2
        .value_kind:     hidden_grid_dims
    .group_segment_fixed_size: 0
    .kernarg_segment_align: 8
    .kernarg_segment_size: 3408
    .language:       OpenCL C
    .language_version:
      - 2
      - 0
    .max_flat_workgroup_size: 512
    .name:           _ZN2at6native12_GLOBAL__N_125multi_tensor_apply_kernelINS1_18TensorListMetadataILi2EEENS1_14UnaryOpFunctorIN3c104HalfELi2ELi1ELi1EEEJNS0_4SignIfEEEEEvT_T0_DpT1_
    .private_segment_fixed_size: 0
    .sgpr_count:     22
    .sgpr_spill_count: 0
    .symbol:         _ZN2at6native12_GLOBAL__N_125multi_tensor_apply_kernelINS1_18TensorListMetadataILi2EEENS1_14UnaryOpFunctorIN3c104HalfELi2ELi1ELi1EEEJNS0_4SignIfEEEEEvT_T0_DpT1_.kd
    .uniform_work_group_size: 1
    .uses_dynamic_stack: false
    .vgpr_count:     34
    .vgpr_spill_count: 0
    .wavefront_size: 32
  - .args:
      - .offset:         0
        .size:           3144
        .value_kind:     by_value
      - .offset:         3144
        .size:           1
        .value_kind:     by_value
      - .offset:         3145
        .size:           1
        .value_kind:     by_value
      - .offset:         3152
        .size:           4
        .value_kind:     hidden_block_count_x
      - .offset:         3156
        .size:           4
        .value_kind:     hidden_block_count_y
      - .offset:         3160
        .size:           4
        .value_kind:     hidden_block_count_z
      - .offset:         3164
        .size:           2
        .value_kind:     hidden_group_size_x
      - .offset:         3166
        .size:           2
        .value_kind:     hidden_group_size_y
      - .offset:         3168
        .size:           2
        .value_kind:     hidden_group_size_z
      - .offset:         3170
        .size:           2
        .value_kind:     hidden_remainder_x
      - .offset:         3172
        .size:           2
        .value_kind:     hidden_remainder_y
      - .offset:         3174
        .size:           2
        .value_kind:     hidden_remainder_z
      - .offset:         3192
        .size:           8
        .value_kind:     hidden_global_offset_x
      - .offset:         3200
        .size:           8
        .value_kind:     hidden_global_offset_y
      - .offset:         3208
        .size:           8
        .value_kind:     hidden_global_offset_z
      - .offset:         3216
        .size:           2
        .value_kind:     hidden_grid_dims
    .group_segment_fixed_size: 0
    .kernarg_segment_align: 8
    .kernarg_segment_size: 3408
    .language:       OpenCL C
    .language_version:
      - 2
      - 0
    .max_flat_workgroup_size: 512
    .name:           _ZN2at6native12_GLOBAL__N_125multi_tensor_apply_kernelINS1_18TensorListMetadataILi2EEENS1_14UnaryOpFunctorIN3c108BFloat16ELi2ELi1ELi1EEEJNS0_4SignIfEEEEEvT_T0_DpT1_
    .private_segment_fixed_size: 0
    .sgpr_count:     22
    .sgpr_spill_count: 0
    .symbol:         _ZN2at6native12_GLOBAL__N_125multi_tensor_apply_kernelINS1_18TensorListMetadataILi2EEENS1_14UnaryOpFunctorIN3c108BFloat16ELi2ELi1ELi1EEEJNS0_4SignIfEEEEEvT_T0_DpT1_.kd
    .uniform_work_group_size: 1
    .uses_dynamic_stack: false
    .vgpr_count:     35
    .vgpr_spill_count: 0
    .wavefront_size: 32
  - .args:
      - .offset:         0
        .size:           3368
        .value_kind:     by_value
      - .offset:         3368
        .size:           1
        .value_kind:     by_value
      - .offset:         3369
        .size:           1
        .value_kind:     by_value
      - .offset:         3376
        .size:           4
        .value_kind:     hidden_block_count_x
      - .offset:         3380
        .size:           4
        .value_kind:     hidden_block_count_y
      - .offset:         3384
        .size:           4
        .value_kind:     hidden_block_count_z
      - .offset:         3388
        .size:           2
        .value_kind:     hidden_group_size_x
      - .offset:         3390
        .size:           2
        .value_kind:     hidden_group_size_y
      - .offset:         3392
        .size:           2
        .value_kind:     hidden_group_size_z
      - .offset:         3394
        .size:           2
        .value_kind:     hidden_remainder_x
      - .offset:         3396
        .size:           2
        .value_kind:     hidden_remainder_y
      - .offset:         3398
        .size:           2
        .value_kind:     hidden_remainder_z
      - .offset:         3416
        .size:           8
        .value_kind:     hidden_global_offset_x
      - .offset:         3424
        .size:           8
        .value_kind:     hidden_global_offset_y
      - .offset:         3432
        .size:           8
        .value_kind:     hidden_global_offset_z
      - .offset:         3440
        .size:           2
        .value_kind:     hidden_grid_dims
    .group_segment_fixed_size: 0
    .kernarg_segment_align: 8
    .kernarg_segment_size: 3632
    .language:       OpenCL C
    .language_version:
      - 2
      - 0
    .max_flat_workgroup_size: 512
    .name:           _ZN2at6native12_GLOBAL__N_125multi_tensor_apply_kernelINS1_18TensorListMetadataILi1EEENS1_14UnaryOpFunctorIdLi1ELi1ELi0EEEJNS0_4SignIdEEEEEvT_T0_DpT1_
    .private_segment_fixed_size: 0
    .sgpr_count:     24
    .sgpr_spill_count: 0
    .symbol:         _ZN2at6native12_GLOBAL__N_125multi_tensor_apply_kernelINS1_18TensorListMetadataILi1EEENS1_14UnaryOpFunctorIdLi1ELi1ELi0EEEJNS0_4SignIdEEEEEvT_T0_DpT1_.kd
    .uniform_work_group_size: 1
    .uses_dynamic_stack: false
    .vgpr_count:     29
    .vgpr_spill_count: 0
    .wavefront_size: 32
  - .args:
      - .offset:         0
        .size:           3368
        .value_kind:     by_value
      - .offset:         3368
        .size:           1
        .value_kind:     by_value
      - .offset:         3369
        .size:           1
        .value_kind:     by_value
      - .offset:         3376
        .size:           4
        .value_kind:     hidden_block_count_x
      - .offset:         3380
        .size:           4
        .value_kind:     hidden_block_count_y
      - .offset:         3384
        .size:           4
        .value_kind:     hidden_block_count_z
      - .offset:         3388
        .size:           2
        .value_kind:     hidden_group_size_x
      - .offset:         3390
        .size:           2
        .value_kind:     hidden_group_size_y
      - .offset:         3392
        .size:           2
        .value_kind:     hidden_group_size_z
      - .offset:         3394
        .size:           2
        .value_kind:     hidden_remainder_x
      - .offset:         3396
        .size:           2
        .value_kind:     hidden_remainder_y
      - .offset:         3398
        .size:           2
        .value_kind:     hidden_remainder_z
      - .offset:         3416
        .size:           8
        .value_kind:     hidden_global_offset_x
      - .offset:         3424
        .size:           8
        .value_kind:     hidden_global_offset_y
      - .offset:         3432
        .size:           8
        .value_kind:     hidden_global_offset_z
      - .offset:         3440
        .size:           2
        .value_kind:     hidden_grid_dims
    .group_segment_fixed_size: 0
    .kernarg_segment_align: 8
    .kernarg_segment_size: 3632
    .language:       OpenCL C
    .language_version:
      - 2
      - 0
    .max_flat_workgroup_size: 512
    .name:           _ZN2at6native12_GLOBAL__N_125multi_tensor_apply_kernelINS1_18TensorListMetadataILi1EEENS1_14UnaryOpFunctorIfLi1ELi1ELi0EEEJNS0_4SignIfEEEEEvT_T0_DpT1_
    .private_segment_fixed_size: 0
    .sgpr_count:     24
    .sgpr_spill_count: 0
    .symbol:         _ZN2at6native12_GLOBAL__N_125multi_tensor_apply_kernelINS1_18TensorListMetadataILi1EEENS1_14UnaryOpFunctorIfLi1ELi1ELi0EEEJNS0_4SignIfEEEEEvT_T0_DpT1_.kd
    .uniform_work_group_size: 1
    .uses_dynamic_stack: false
    .vgpr_count:     25
    .vgpr_spill_count: 0
    .wavefront_size: 32
  - .args:
      - .offset:         0
        .size:           3368
        .value_kind:     by_value
      - .offset:         3368
        .size:           1
        .value_kind:     by_value
      - .offset:         3369
        .size:           1
        .value_kind:     by_value
      - .offset:         3376
        .size:           4
        .value_kind:     hidden_block_count_x
      - .offset:         3380
        .size:           4
        .value_kind:     hidden_block_count_y
      - .offset:         3384
        .size:           4
        .value_kind:     hidden_block_count_z
      - .offset:         3388
        .size:           2
        .value_kind:     hidden_group_size_x
      - .offset:         3390
        .size:           2
        .value_kind:     hidden_group_size_y
      - .offset:         3392
        .size:           2
        .value_kind:     hidden_group_size_z
      - .offset:         3394
        .size:           2
        .value_kind:     hidden_remainder_x
      - .offset:         3396
        .size:           2
        .value_kind:     hidden_remainder_y
      - .offset:         3398
        .size:           2
        .value_kind:     hidden_remainder_z
      - .offset:         3416
        .size:           8
        .value_kind:     hidden_global_offset_x
      - .offset:         3424
        .size:           8
        .value_kind:     hidden_global_offset_y
      - .offset:         3432
        .size:           8
        .value_kind:     hidden_global_offset_z
      - .offset:         3440
        .size:           2
        .value_kind:     hidden_grid_dims
    .group_segment_fixed_size: 0
    .kernarg_segment_align: 8
    .kernarg_segment_size: 3632
    .language:       OpenCL C
    .language_version:
      - 2
      - 0
    .max_flat_workgroup_size: 512
    .name:           _ZN2at6native12_GLOBAL__N_125multi_tensor_apply_kernelINS1_18TensorListMetadataILi1EEENS1_14UnaryOpFunctorIN3c104HalfELi1ELi1ELi0EEEJNS0_4SignIfEEEEEvT_T0_DpT1_
    .private_segment_fixed_size: 0
    .sgpr_count:     22
    .sgpr_spill_count: 0
    .symbol:         _ZN2at6native12_GLOBAL__N_125multi_tensor_apply_kernelINS1_18TensorListMetadataILi1EEENS1_14UnaryOpFunctorIN3c104HalfELi1ELi1ELi0EEEJNS0_4SignIfEEEEEvT_T0_DpT1_.kd
    .uniform_work_group_size: 1
    .uses_dynamic_stack: false
    .vgpr_count:     25
    .vgpr_spill_count: 0
    .wavefront_size: 32
  - .args:
      - .offset:         0
        .size:           3368
        .value_kind:     by_value
      - .offset:         3368
        .size:           1
        .value_kind:     by_value
      - .offset:         3369
        .size:           1
        .value_kind:     by_value
      - .offset:         3376
        .size:           4
        .value_kind:     hidden_block_count_x
      - .offset:         3380
        .size:           4
        .value_kind:     hidden_block_count_y
      - .offset:         3384
        .size:           4
        .value_kind:     hidden_block_count_z
      - .offset:         3388
        .size:           2
        .value_kind:     hidden_group_size_x
      - .offset:         3390
        .size:           2
        .value_kind:     hidden_group_size_y
      - .offset:         3392
        .size:           2
        .value_kind:     hidden_group_size_z
      - .offset:         3394
        .size:           2
        .value_kind:     hidden_remainder_x
      - .offset:         3396
        .size:           2
        .value_kind:     hidden_remainder_y
      - .offset:         3398
        .size:           2
        .value_kind:     hidden_remainder_z
      - .offset:         3416
        .size:           8
        .value_kind:     hidden_global_offset_x
      - .offset:         3424
        .size:           8
        .value_kind:     hidden_global_offset_y
      - .offset:         3432
        .size:           8
        .value_kind:     hidden_global_offset_z
      - .offset:         3440
        .size:           2
        .value_kind:     hidden_grid_dims
    .group_segment_fixed_size: 0
    .kernarg_segment_align: 8
    .kernarg_segment_size: 3632
    .language:       OpenCL C
    .language_version:
      - 2
      - 0
    .max_flat_workgroup_size: 512
    .name:           _ZN2at6native12_GLOBAL__N_125multi_tensor_apply_kernelINS1_18TensorListMetadataILi1EEENS1_14UnaryOpFunctorIN3c108BFloat16ELi1ELi1ELi0EEEJNS0_4SignIfEEEEEvT_T0_DpT1_
    .private_segment_fixed_size: 0
    .sgpr_count:     22
    .sgpr_spill_count: 0
    .symbol:         _ZN2at6native12_GLOBAL__N_125multi_tensor_apply_kernelINS1_18TensorListMetadataILi1EEENS1_14UnaryOpFunctorIN3c108BFloat16ELi1ELi1ELi0EEEJNS0_4SignIfEEEEEvT_T0_DpT1_.kd
    .uniform_work_group_size: 1
    .uses_dynamic_stack: false
    .vgpr_count:     25
    .vgpr_spill_count: 0
    .wavefront_size: 32
  - .args:
      - .offset:         0
        .size:           3144
        .value_kind:     by_value
      - .offset:         3144
        .size:           1
        .value_kind:     by_value
      - .offset:         3145
        .size:           1
        .value_kind:     by_value
      - .offset:         3152
        .size:           4
        .value_kind:     hidden_block_count_x
      - .offset:         3156
        .size:           4
        .value_kind:     hidden_block_count_y
      - .offset:         3160
        .size:           4
        .value_kind:     hidden_block_count_z
      - .offset:         3164
        .size:           2
        .value_kind:     hidden_group_size_x
      - .offset:         3166
        .size:           2
        .value_kind:     hidden_group_size_y
      - .offset:         3168
        .size:           2
        .value_kind:     hidden_group_size_z
      - .offset:         3170
        .size:           2
        .value_kind:     hidden_remainder_x
      - .offset:         3172
        .size:           2
        .value_kind:     hidden_remainder_y
      - .offset:         3174
        .size:           2
        .value_kind:     hidden_remainder_z
      - .offset:         3192
        .size:           8
        .value_kind:     hidden_global_offset_x
      - .offset:         3200
        .size:           8
        .value_kind:     hidden_global_offset_y
      - .offset:         3208
        .size:           8
        .value_kind:     hidden_global_offset_z
      - .offset:         3216
        .size:           2
        .value_kind:     hidden_grid_dims
    .group_segment_fixed_size: 0
    .kernarg_segment_align: 8
    .kernarg_segment_size: 3408
    .language:       OpenCL C
    .language_version:
      - 2
      - 0
    .max_flat_workgroup_size: 512
    .name:           _ZN2at6native12_GLOBAL__N_125multi_tensor_apply_kernelINS1_18TensorListMetadataILi2EEENS1_14UnaryOpFunctorIdLi2ELi1ELi1EEEJNS0_5RsqrtIdEEEEEvT_T0_DpT1_
    .private_segment_fixed_size: 0
    .sgpr_count:     22
    .sgpr_spill_count: 0
    .symbol:         _ZN2at6native12_GLOBAL__N_125multi_tensor_apply_kernelINS1_18TensorListMetadataILi2EEENS1_14UnaryOpFunctorIdLi2ELi1ELi1EEEJNS0_5RsqrtIdEEEEEvT_T0_DpT1_.kd
    .uniform_work_group_size: 1
    .uses_dynamic_stack: false
    .vgpr_count:     40
    .vgpr_spill_count: 0
    .wavefront_size: 32
  - .args:
      - .offset:         0
        .size:           3144
        .value_kind:     by_value
      - .offset:         3144
        .size:           1
        .value_kind:     by_value
      - .offset:         3145
        .size:           1
        .value_kind:     by_value
      - .offset:         3152
        .size:           4
        .value_kind:     hidden_block_count_x
      - .offset:         3156
        .size:           4
        .value_kind:     hidden_block_count_y
      - .offset:         3160
        .size:           4
        .value_kind:     hidden_block_count_z
      - .offset:         3164
        .size:           2
        .value_kind:     hidden_group_size_x
      - .offset:         3166
        .size:           2
        .value_kind:     hidden_group_size_y
      - .offset:         3168
        .size:           2
        .value_kind:     hidden_group_size_z
      - .offset:         3170
        .size:           2
        .value_kind:     hidden_remainder_x
      - .offset:         3172
        .size:           2
        .value_kind:     hidden_remainder_y
      - .offset:         3174
        .size:           2
        .value_kind:     hidden_remainder_z
      - .offset:         3192
        .size:           8
        .value_kind:     hidden_global_offset_x
      - .offset:         3200
        .size:           8
        .value_kind:     hidden_global_offset_y
      - .offset:         3208
        .size:           8
        .value_kind:     hidden_global_offset_z
      - .offset:         3216
        .size:           2
        .value_kind:     hidden_grid_dims
    .group_segment_fixed_size: 0
    .kernarg_segment_align: 8
    .kernarg_segment_size: 3408
    .language:       OpenCL C
    .language_version:
      - 2
      - 0
    .max_flat_workgroup_size: 512
    .name:           _ZN2at6native12_GLOBAL__N_125multi_tensor_apply_kernelINS1_18TensorListMetadataILi2EEENS1_14UnaryOpFunctorIfLi2ELi1ELi1EEEJNS0_5RsqrtIfEEEEEvT_T0_DpT1_
    .private_segment_fixed_size: 0
    .sgpr_count:     25
    .sgpr_spill_count: 0
    .symbol:         _ZN2at6native12_GLOBAL__N_125multi_tensor_apply_kernelINS1_18TensorListMetadataILi2EEENS1_14UnaryOpFunctorIfLi2ELi1ELi1EEEJNS0_5RsqrtIfEEEEEvT_T0_DpT1_.kd
    .uniform_work_group_size: 1
    .uses_dynamic_stack: false
    .vgpr_count:     35
    .vgpr_spill_count: 0
    .wavefront_size: 32
  - .args:
      - .offset:         0
        .size:           3144
        .value_kind:     by_value
      - .offset:         3144
        .size:           1
        .value_kind:     by_value
      - .offset:         3145
        .size:           1
        .value_kind:     by_value
      - .offset:         3152
        .size:           4
        .value_kind:     hidden_block_count_x
      - .offset:         3156
        .size:           4
        .value_kind:     hidden_block_count_y
      - .offset:         3160
        .size:           4
        .value_kind:     hidden_block_count_z
      - .offset:         3164
        .size:           2
        .value_kind:     hidden_group_size_x
      - .offset:         3166
        .size:           2
        .value_kind:     hidden_group_size_y
      - .offset:         3168
        .size:           2
        .value_kind:     hidden_group_size_z
      - .offset:         3170
        .size:           2
        .value_kind:     hidden_remainder_x
      - .offset:         3172
        .size:           2
        .value_kind:     hidden_remainder_y
      - .offset:         3174
        .size:           2
        .value_kind:     hidden_remainder_z
      - .offset:         3192
        .size:           8
        .value_kind:     hidden_global_offset_x
      - .offset:         3200
        .size:           8
        .value_kind:     hidden_global_offset_y
      - .offset:         3208
        .size:           8
        .value_kind:     hidden_global_offset_z
      - .offset:         3216
        .size:           2
        .value_kind:     hidden_grid_dims
    .group_segment_fixed_size: 0
    .kernarg_segment_align: 8
    .kernarg_segment_size: 3408
    .language:       OpenCL C
    .language_version:
      - 2
      - 0
    .max_flat_workgroup_size: 512
    .name:           _ZN2at6native12_GLOBAL__N_125multi_tensor_apply_kernelINS1_18TensorListMetadataILi2EEENS1_14UnaryOpFunctorIN3c107complexIdEELi2ELi1ELi1EEEJNS0_5RsqrtIS8_EEEEEvT_T0_DpT1_
    .private_segment_fixed_size: 0
    .sgpr_count:     31
    .sgpr_spill_count: 0
    .symbol:         _ZN2at6native12_GLOBAL__N_125multi_tensor_apply_kernelINS1_18TensorListMetadataILi2EEENS1_14UnaryOpFunctorIN3c107complexIdEELi2ELi1ELi1EEEJNS0_5RsqrtIS8_EEEEEvT_T0_DpT1_.kd
    .uniform_work_group_size: 1
    .uses_dynamic_stack: false
    .vgpr_count:     46
    .vgpr_spill_count: 0
    .wavefront_size: 32
  - .args:
      - .offset:         0
        .size:           3144
        .value_kind:     by_value
      - .offset:         3144
        .size:           1
        .value_kind:     by_value
      - .offset:         3145
        .size:           1
        .value_kind:     by_value
      - .offset:         3152
        .size:           4
        .value_kind:     hidden_block_count_x
      - .offset:         3156
        .size:           4
        .value_kind:     hidden_block_count_y
      - .offset:         3160
        .size:           4
        .value_kind:     hidden_block_count_z
      - .offset:         3164
        .size:           2
        .value_kind:     hidden_group_size_x
      - .offset:         3166
        .size:           2
        .value_kind:     hidden_group_size_y
      - .offset:         3168
        .size:           2
        .value_kind:     hidden_group_size_z
      - .offset:         3170
        .size:           2
        .value_kind:     hidden_remainder_x
      - .offset:         3172
        .size:           2
        .value_kind:     hidden_remainder_y
      - .offset:         3174
        .size:           2
        .value_kind:     hidden_remainder_z
      - .offset:         3192
        .size:           8
        .value_kind:     hidden_global_offset_x
      - .offset:         3200
        .size:           8
        .value_kind:     hidden_global_offset_y
      - .offset:         3208
        .size:           8
        .value_kind:     hidden_global_offset_z
      - .offset:         3216
        .size:           2
        .value_kind:     hidden_grid_dims
    .group_segment_fixed_size: 0
    .kernarg_segment_align: 8
    .kernarg_segment_size: 3408
    .language:       OpenCL C
    .language_version:
      - 2
      - 0
    .max_flat_workgroup_size: 512
    .name:           _ZN2at6native12_GLOBAL__N_125multi_tensor_apply_kernelINS1_18TensorListMetadataILi2EEENS1_14UnaryOpFunctorIN3c107complexIfEELi2ELi1ELi1EEEJNS0_5RsqrtIS8_EEEEEvT_T0_DpT1_
    .private_segment_fixed_size: 0
    .sgpr_count:     28
    .sgpr_spill_count: 0
    .symbol:         _ZN2at6native12_GLOBAL__N_125multi_tensor_apply_kernelINS1_18TensorListMetadataILi2EEENS1_14UnaryOpFunctorIN3c107complexIfEELi2ELi1ELi1EEEJNS0_5RsqrtIS8_EEEEEvT_T0_DpT1_.kd
    .uniform_work_group_size: 1
    .uses_dynamic_stack: false
    .vgpr_count:     48
    .vgpr_spill_count: 0
    .wavefront_size: 32
  - .args:
      - .offset:         0
        .size:           3144
        .value_kind:     by_value
      - .offset:         3144
        .size:           1
        .value_kind:     by_value
      - .offset:         3145
        .size:           1
        .value_kind:     by_value
      - .offset:         3152
        .size:           4
        .value_kind:     hidden_block_count_x
      - .offset:         3156
        .size:           4
        .value_kind:     hidden_block_count_y
      - .offset:         3160
        .size:           4
        .value_kind:     hidden_block_count_z
      - .offset:         3164
        .size:           2
        .value_kind:     hidden_group_size_x
      - .offset:         3166
        .size:           2
        .value_kind:     hidden_group_size_y
      - .offset:         3168
        .size:           2
        .value_kind:     hidden_group_size_z
      - .offset:         3170
        .size:           2
        .value_kind:     hidden_remainder_x
      - .offset:         3172
        .size:           2
        .value_kind:     hidden_remainder_y
      - .offset:         3174
        .size:           2
        .value_kind:     hidden_remainder_z
      - .offset:         3192
        .size:           8
        .value_kind:     hidden_global_offset_x
      - .offset:         3200
        .size:           8
        .value_kind:     hidden_global_offset_y
      - .offset:         3208
        .size:           8
        .value_kind:     hidden_global_offset_z
      - .offset:         3216
        .size:           2
        .value_kind:     hidden_grid_dims
    .group_segment_fixed_size: 0
    .kernarg_segment_align: 8
    .kernarg_segment_size: 3408
    .language:       OpenCL C
    .language_version:
      - 2
      - 0
    .max_flat_workgroup_size: 512
    .name:           _ZN2at6native12_GLOBAL__N_125multi_tensor_apply_kernelINS1_18TensorListMetadataILi2EEENS1_14UnaryOpFunctorIN3c104HalfELi2ELi1ELi1EEEJNS0_5RsqrtIfEEEEEvT_T0_DpT1_
    .private_segment_fixed_size: 0
    .sgpr_count:     22
    .sgpr_spill_count: 0
    .symbol:         _ZN2at6native12_GLOBAL__N_125multi_tensor_apply_kernelINS1_18TensorListMetadataILi2EEENS1_14UnaryOpFunctorIN3c104HalfELi2ELi1ELi1EEEJNS0_5RsqrtIfEEEEEvT_T0_DpT1_.kd
    .uniform_work_group_size: 1
    .uses_dynamic_stack: false
    .vgpr_count:     34
    .vgpr_spill_count: 0
    .wavefront_size: 32
  - .args:
      - .offset:         0
        .size:           3144
        .value_kind:     by_value
      - .offset:         3144
        .size:           1
        .value_kind:     by_value
      - .offset:         3145
        .size:           1
        .value_kind:     by_value
      - .offset:         3152
        .size:           4
        .value_kind:     hidden_block_count_x
      - .offset:         3156
        .size:           4
        .value_kind:     hidden_block_count_y
      - .offset:         3160
        .size:           4
        .value_kind:     hidden_block_count_z
      - .offset:         3164
        .size:           2
        .value_kind:     hidden_group_size_x
      - .offset:         3166
        .size:           2
        .value_kind:     hidden_group_size_y
      - .offset:         3168
        .size:           2
        .value_kind:     hidden_group_size_z
      - .offset:         3170
        .size:           2
        .value_kind:     hidden_remainder_x
      - .offset:         3172
        .size:           2
        .value_kind:     hidden_remainder_y
      - .offset:         3174
        .size:           2
        .value_kind:     hidden_remainder_z
      - .offset:         3192
        .size:           8
        .value_kind:     hidden_global_offset_x
      - .offset:         3200
        .size:           8
        .value_kind:     hidden_global_offset_y
      - .offset:         3208
        .size:           8
        .value_kind:     hidden_global_offset_z
      - .offset:         3216
        .size:           2
        .value_kind:     hidden_grid_dims
    .group_segment_fixed_size: 0
    .kernarg_segment_align: 8
    .kernarg_segment_size: 3408
    .language:       OpenCL C
    .language_version:
      - 2
      - 0
    .max_flat_workgroup_size: 512
    .name:           _ZN2at6native12_GLOBAL__N_125multi_tensor_apply_kernelINS1_18TensorListMetadataILi2EEENS1_14UnaryOpFunctorIN3c108BFloat16ELi2ELi1ELi1EEEJNS0_5RsqrtIfEEEEEvT_T0_DpT1_
    .private_segment_fixed_size: 0
    .sgpr_count:     22
    .sgpr_spill_count: 0
    .symbol:         _ZN2at6native12_GLOBAL__N_125multi_tensor_apply_kernelINS1_18TensorListMetadataILi2EEENS1_14UnaryOpFunctorIN3c108BFloat16ELi2ELi1ELi1EEEJNS0_5RsqrtIfEEEEEvT_T0_DpT1_.kd
    .uniform_work_group_size: 1
    .uses_dynamic_stack: false
    .vgpr_count:     35
    .vgpr_spill_count: 0
    .wavefront_size: 32
  - .args:
      - .offset:         0
        .size:           3368
        .value_kind:     by_value
      - .offset:         3368
        .size:           1
        .value_kind:     by_value
      - .offset:         3369
        .size:           1
        .value_kind:     by_value
      - .offset:         3376
        .size:           4
        .value_kind:     hidden_block_count_x
      - .offset:         3380
        .size:           4
        .value_kind:     hidden_block_count_y
      - .offset:         3384
        .size:           4
        .value_kind:     hidden_block_count_z
      - .offset:         3388
        .size:           2
        .value_kind:     hidden_group_size_x
      - .offset:         3390
        .size:           2
        .value_kind:     hidden_group_size_y
      - .offset:         3392
        .size:           2
        .value_kind:     hidden_group_size_z
      - .offset:         3394
        .size:           2
        .value_kind:     hidden_remainder_x
      - .offset:         3396
        .size:           2
        .value_kind:     hidden_remainder_y
      - .offset:         3398
        .size:           2
        .value_kind:     hidden_remainder_z
      - .offset:         3416
        .size:           8
        .value_kind:     hidden_global_offset_x
      - .offset:         3424
        .size:           8
        .value_kind:     hidden_global_offset_y
      - .offset:         3432
        .size:           8
        .value_kind:     hidden_global_offset_z
      - .offset:         3440
        .size:           2
        .value_kind:     hidden_grid_dims
    .group_segment_fixed_size: 0
    .kernarg_segment_align: 8
    .kernarg_segment_size: 3632
    .language:       OpenCL C
    .language_version:
      - 2
      - 0
    .max_flat_workgroup_size: 512
    .name:           _ZN2at6native12_GLOBAL__N_125multi_tensor_apply_kernelINS1_18TensorListMetadataILi1EEENS1_14UnaryOpFunctorIdLi1ELi1ELi0EEEJNS0_5RsqrtIdEEEEEvT_T0_DpT1_
    .private_segment_fixed_size: 0
    .sgpr_count:     24
    .sgpr_spill_count: 0
    .symbol:         _ZN2at6native12_GLOBAL__N_125multi_tensor_apply_kernelINS1_18TensorListMetadataILi1EEENS1_14UnaryOpFunctorIdLi1ELi1ELi0EEEJNS0_5RsqrtIdEEEEEvT_T0_DpT1_.kd
    .uniform_work_group_size: 1
    .uses_dynamic_stack: false
    .vgpr_count:     32
    .vgpr_spill_count: 0
    .wavefront_size: 32
  - .args:
      - .offset:         0
        .size:           3368
        .value_kind:     by_value
      - .offset:         3368
        .size:           1
        .value_kind:     by_value
      - .offset:         3369
        .size:           1
        .value_kind:     by_value
      - .offset:         3376
        .size:           4
        .value_kind:     hidden_block_count_x
      - .offset:         3380
        .size:           4
        .value_kind:     hidden_block_count_y
      - .offset:         3384
        .size:           4
        .value_kind:     hidden_block_count_z
      - .offset:         3388
        .size:           2
        .value_kind:     hidden_group_size_x
      - .offset:         3390
        .size:           2
        .value_kind:     hidden_group_size_y
      - .offset:         3392
        .size:           2
        .value_kind:     hidden_group_size_z
      - .offset:         3394
        .size:           2
        .value_kind:     hidden_remainder_x
      - .offset:         3396
        .size:           2
        .value_kind:     hidden_remainder_y
      - .offset:         3398
        .size:           2
        .value_kind:     hidden_remainder_z
      - .offset:         3416
        .size:           8
        .value_kind:     hidden_global_offset_x
      - .offset:         3424
        .size:           8
        .value_kind:     hidden_global_offset_y
      - .offset:         3432
        .size:           8
        .value_kind:     hidden_global_offset_z
      - .offset:         3440
        .size:           2
        .value_kind:     hidden_grid_dims
    .group_segment_fixed_size: 0
    .kernarg_segment_align: 8
    .kernarg_segment_size: 3632
    .language:       OpenCL C
    .language_version:
      - 2
      - 0
    .max_flat_workgroup_size: 512
    .name:           _ZN2at6native12_GLOBAL__N_125multi_tensor_apply_kernelINS1_18TensorListMetadataILi1EEENS1_14UnaryOpFunctorIfLi1ELi1ELi0EEEJNS0_5RsqrtIfEEEEEvT_T0_DpT1_
    .private_segment_fixed_size: 0
    .sgpr_count:     24
    .sgpr_spill_count: 0
    .symbol:         _ZN2at6native12_GLOBAL__N_125multi_tensor_apply_kernelINS1_18TensorListMetadataILi1EEENS1_14UnaryOpFunctorIfLi1ELi1ELi0EEEJNS0_5RsqrtIfEEEEEvT_T0_DpT1_.kd
    .uniform_work_group_size: 1
    .uses_dynamic_stack: false
    .vgpr_count:     25
    .vgpr_spill_count: 0
    .wavefront_size: 32
  - .args:
      - .offset:         0
        .size:           3368
        .value_kind:     by_value
      - .offset:         3368
        .size:           1
        .value_kind:     by_value
      - .offset:         3369
        .size:           1
        .value_kind:     by_value
      - .offset:         3376
        .size:           4
        .value_kind:     hidden_block_count_x
      - .offset:         3380
        .size:           4
        .value_kind:     hidden_block_count_y
      - .offset:         3384
        .size:           4
        .value_kind:     hidden_block_count_z
      - .offset:         3388
        .size:           2
        .value_kind:     hidden_group_size_x
      - .offset:         3390
        .size:           2
        .value_kind:     hidden_group_size_y
      - .offset:         3392
        .size:           2
        .value_kind:     hidden_group_size_z
      - .offset:         3394
        .size:           2
        .value_kind:     hidden_remainder_x
      - .offset:         3396
        .size:           2
        .value_kind:     hidden_remainder_y
      - .offset:         3398
        .size:           2
        .value_kind:     hidden_remainder_z
      - .offset:         3416
        .size:           8
        .value_kind:     hidden_global_offset_x
      - .offset:         3424
        .size:           8
        .value_kind:     hidden_global_offset_y
      - .offset:         3432
        .size:           8
        .value_kind:     hidden_global_offset_z
      - .offset:         3440
        .size:           2
        .value_kind:     hidden_grid_dims
    .group_segment_fixed_size: 0
    .kernarg_segment_align: 8
    .kernarg_segment_size: 3632
    .language:       OpenCL C
    .language_version:
      - 2
      - 0
    .max_flat_workgroup_size: 512
    .name:           _ZN2at6native12_GLOBAL__N_125multi_tensor_apply_kernelINS1_18TensorListMetadataILi1EEENS1_14UnaryOpFunctorIN3c107complexIdEELi1ELi1ELi0EEEJNS0_5RsqrtIS8_EEEEEvT_T0_DpT1_
    .private_segment_fixed_size: 0
    .sgpr_count:     33
    .sgpr_spill_count: 0
    .symbol:         _ZN2at6native12_GLOBAL__N_125multi_tensor_apply_kernelINS1_18TensorListMetadataILi1EEENS1_14UnaryOpFunctorIN3c107complexIdEELi1ELi1ELi0EEEJNS0_5RsqrtIS8_EEEEEvT_T0_DpT1_.kd
    .uniform_work_group_size: 1
    .uses_dynamic_stack: false
    .vgpr_count:     60
    .vgpr_spill_count: 0
    .wavefront_size: 32
  - .args:
      - .offset:         0
        .size:           3368
        .value_kind:     by_value
      - .offset:         3368
        .size:           1
        .value_kind:     by_value
      - .offset:         3369
        .size:           1
        .value_kind:     by_value
      - .offset:         3376
        .size:           4
        .value_kind:     hidden_block_count_x
      - .offset:         3380
        .size:           4
        .value_kind:     hidden_block_count_y
      - .offset:         3384
        .size:           4
        .value_kind:     hidden_block_count_z
      - .offset:         3388
        .size:           2
        .value_kind:     hidden_group_size_x
      - .offset:         3390
        .size:           2
        .value_kind:     hidden_group_size_y
      - .offset:         3392
        .size:           2
        .value_kind:     hidden_group_size_z
      - .offset:         3394
        .size:           2
        .value_kind:     hidden_remainder_x
      - .offset:         3396
        .size:           2
        .value_kind:     hidden_remainder_y
      - .offset:         3398
        .size:           2
        .value_kind:     hidden_remainder_z
      - .offset:         3416
        .size:           8
        .value_kind:     hidden_global_offset_x
      - .offset:         3424
        .size:           8
        .value_kind:     hidden_global_offset_y
      - .offset:         3432
        .size:           8
        .value_kind:     hidden_global_offset_z
      - .offset:         3440
        .size:           2
        .value_kind:     hidden_grid_dims
    .group_segment_fixed_size: 0
    .kernarg_segment_align: 8
    .kernarg_segment_size: 3632
    .language:       OpenCL C
    .language_version:
      - 2
      - 0
    .max_flat_workgroup_size: 512
    .name:           _ZN2at6native12_GLOBAL__N_125multi_tensor_apply_kernelINS1_18TensorListMetadataILi1EEENS1_14UnaryOpFunctorIN3c107complexIfEELi1ELi1ELi0EEEJNS0_5RsqrtIS8_EEEEEvT_T0_DpT1_
    .private_segment_fixed_size: 0
    .sgpr_count:     34
    .sgpr_spill_count: 0
    .symbol:         _ZN2at6native12_GLOBAL__N_125multi_tensor_apply_kernelINS1_18TensorListMetadataILi1EEENS1_14UnaryOpFunctorIN3c107complexIfEELi1ELi1ELi0EEEJNS0_5RsqrtIS8_EEEEEvT_T0_DpT1_.kd
    .uniform_work_group_size: 1
    .uses_dynamic_stack: false
    .vgpr_count:     40
    .vgpr_spill_count: 0
    .wavefront_size: 32
  - .args:
      - .offset:         0
        .size:           3368
        .value_kind:     by_value
      - .offset:         3368
        .size:           1
        .value_kind:     by_value
      - .offset:         3369
        .size:           1
        .value_kind:     by_value
      - .offset:         3376
        .size:           4
        .value_kind:     hidden_block_count_x
      - .offset:         3380
        .size:           4
        .value_kind:     hidden_block_count_y
      - .offset:         3384
        .size:           4
        .value_kind:     hidden_block_count_z
      - .offset:         3388
        .size:           2
        .value_kind:     hidden_group_size_x
      - .offset:         3390
        .size:           2
        .value_kind:     hidden_group_size_y
      - .offset:         3392
        .size:           2
        .value_kind:     hidden_group_size_z
      - .offset:         3394
        .size:           2
        .value_kind:     hidden_remainder_x
      - .offset:         3396
        .size:           2
        .value_kind:     hidden_remainder_y
      - .offset:         3398
        .size:           2
        .value_kind:     hidden_remainder_z
      - .offset:         3416
        .size:           8
        .value_kind:     hidden_global_offset_x
      - .offset:         3424
        .size:           8
        .value_kind:     hidden_global_offset_y
      - .offset:         3432
        .size:           8
        .value_kind:     hidden_global_offset_z
      - .offset:         3440
        .size:           2
        .value_kind:     hidden_grid_dims
    .group_segment_fixed_size: 0
    .kernarg_segment_align: 8
    .kernarg_segment_size: 3632
    .language:       OpenCL C
    .language_version:
      - 2
      - 0
    .max_flat_workgroup_size: 512
    .name:           _ZN2at6native12_GLOBAL__N_125multi_tensor_apply_kernelINS1_18TensorListMetadataILi1EEENS1_14UnaryOpFunctorIN3c104HalfELi1ELi1ELi0EEEJNS0_5RsqrtIfEEEEEvT_T0_DpT1_
    .private_segment_fixed_size: 0
    .sgpr_count:     22
    .sgpr_spill_count: 0
    .symbol:         _ZN2at6native12_GLOBAL__N_125multi_tensor_apply_kernelINS1_18TensorListMetadataILi1EEENS1_14UnaryOpFunctorIN3c104HalfELi1ELi1ELi0EEEJNS0_5RsqrtIfEEEEEvT_T0_DpT1_.kd
    .uniform_work_group_size: 1
    .uses_dynamic_stack: false
    .vgpr_count:     25
    .vgpr_spill_count: 0
    .wavefront_size: 32
  - .args:
      - .offset:         0
        .size:           3368
        .value_kind:     by_value
      - .offset:         3368
        .size:           1
        .value_kind:     by_value
      - .offset:         3369
        .size:           1
        .value_kind:     by_value
      - .offset:         3376
        .size:           4
        .value_kind:     hidden_block_count_x
      - .offset:         3380
        .size:           4
        .value_kind:     hidden_block_count_y
      - .offset:         3384
        .size:           4
        .value_kind:     hidden_block_count_z
      - .offset:         3388
        .size:           2
        .value_kind:     hidden_group_size_x
      - .offset:         3390
        .size:           2
        .value_kind:     hidden_group_size_y
      - .offset:         3392
        .size:           2
        .value_kind:     hidden_group_size_z
      - .offset:         3394
        .size:           2
        .value_kind:     hidden_remainder_x
      - .offset:         3396
        .size:           2
        .value_kind:     hidden_remainder_y
      - .offset:         3398
        .size:           2
        .value_kind:     hidden_remainder_z
      - .offset:         3416
        .size:           8
        .value_kind:     hidden_global_offset_x
      - .offset:         3424
        .size:           8
        .value_kind:     hidden_global_offset_y
      - .offset:         3432
        .size:           8
        .value_kind:     hidden_global_offset_z
      - .offset:         3440
        .size:           2
        .value_kind:     hidden_grid_dims
    .group_segment_fixed_size: 0
    .kernarg_segment_align: 8
    .kernarg_segment_size: 3632
    .language:       OpenCL C
    .language_version:
      - 2
      - 0
    .max_flat_workgroup_size: 512
    .name:           _ZN2at6native12_GLOBAL__N_125multi_tensor_apply_kernelINS1_18TensorListMetadataILi1EEENS1_14UnaryOpFunctorIN3c108BFloat16ELi1ELi1ELi0EEEJNS0_5RsqrtIfEEEEEvT_T0_DpT1_
    .private_segment_fixed_size: 0
    .sgpr_count:     22
    .sgpr_spill_count: 0
    .symbol:         _ZN2at6native12_GLOBAL__N_125multi_tensor_apply_kernelINS1_18TensorListMetadataILi1EEENS1_14UnaryOpFunctorIN3c108BFloat16ELi1ELi1ELi0EEEJNS0_5RsqrtIfEEEEEvT_T0_DpT1_.kd
    .uniform_work_group_size: 1
    .uses_dynamic_stack: false
    .vgpr_count:     25
    .vgpr_spill_count: 0
    .wavefront_size: 32
  - .args:
      - .offset:         0
        .size:           3144
        .value_kind:     by_value
      - .offset:         3144
        .size:           1
        .value_kind:     by_value
      - .offset:         3145
        .size:           1
        .value_kind:     by_value
      - .offset:         3152
        .size:           4
        .value_kind:     hidden_block_count_x
      - .offset:         3156
        .size:           4
        .value_kind:     hidden_block_count_y
      - .offset:         3160
        .size:           4
        .value_kind:     hidden_block_count_z
      - .offset:         3164
        .size:           2
        .value_kind:     hidden_group_size_x
      - .offset:         3166
        .size:           2
        .value_kind:     hidden_group_size_y
      - .offset:         3168
        .size:           2
        .value_kind:     hidden_group_size_z
      - .offset:         3170
        .size:           2
        .value_kind:     hidden_remainder_x
      - .offset:         3172
        .size:           2
        .value_kind:     hidden_remainder_y
      - .offset:         3174
        .size:           2
        .value_kind:     hidden_remainder_z
      - .offset:         3192
        .size:           8
        .value_kind:     hidden_global_offset_x
      - .offset:         3200
        .size:           8
        .value_kind:     hidden_global_offset_y
      - .offset:         3208
        .size:           8
        .value_kind:     hidden_global_offset_z
      - .offset:         3216
        .size:           2
        .value_kind:     hidden_grid_dims
    .group_segment_fixed_size: 0
    .kernarg_segment_align: 8
    .kernarg_segment_size: 3408
    .language:       OpenCL C
    .language_version:
      - 2
      - 0
    .max_flat_workgroup_size: 512
    .name:           _ZN2at6native12_GLOBAL__N_125multi_tensor_apply_kernelINS1_18TensorListMetadataILi2EEENS1_14UnaryOpFunctorIhLi2ELi1ELi1EEEJSt6negateIhEEEEvT_T0_DpT1_
    .private_segment_fixed_size: 0
    .sgpr_count:     18
    .sgpr_spill_count: 0
    .symbol:         _ZN2at6native12_GLOBAL__N_125multi_tensor_apply_kernelINS1_18TensorListMetadataILi2EEENS1_14UnaryOpFunctorIhLi2ELi1ELi1EEEJSt6negateIhEEEEvT_T0_DpT1_.kd
    .uniform_work_group_size: 1
    .uses_dynamic_stack: false
    .vgpr_count:     34
    .vgpr_spill_count: 0
    .wavefront_size: 32
  - .args:
      - .offset:         0
        .size:           3144
        .value_kind:     by_value
      - .offset:         3144
        .size:           1
        .value_kind:     by_value
      - .offset:         3145
        .size:           1
        .value_kind:     by_value
      - .offset:         3152
        .size:           4
        .value_kind:     hidden_block_count_x
      - .offset:         3156
        .size:           4
        .value_kind:     hidden_block_count_y
      - .offset:         3160
        .size:           4
        .value_kind:     hidden_block_count_z
      - .offset:         3164
        .size:           2
        .value_kind:     hidden_group_size_x
      - .offset:         3166
        .size:           2
        .value_kind:     hidden_group_size_y
      - .offset:         3168
        .size:           2
        .value_kind:     hidden_group_size_z
      - .offset:         3170
        .size:           2
        .value_kind:     hidden_remainder_x
      - .offset:         3172
        .size:           2
        .value_kind:     hidden_remainder_y
      - .offset:         3174
        .size:           2
        .value_kind:     hidden_remainder_z
      - .offset:         3192
        .size:           8
        .value_kind:     hidden_global_offset_x
      - .offset:         3200
        .size:           8
        .value_kind:     hidden_global_offset_y
      - .offset:         3208
        .size:           8
        .value_kind:     hidden_global_offset_z
      - .offset:         3216
        .size:           2
        .value_kind:     hidden_grid_dims
    .group_segment_fixed_size: 0
    .kernarg_segment_align: 8
    .kernarg_segment_size: 3408
    .language:       OpenCL C
    .language_version:
      - 2
      - 0
    .max_flat_workgroup_size: 512
    .name:           _ZN2at6native12_GLOBAL__N_125multi_tensor_apply_kernelINS1_18TensorListMetadataILi2EEENS1_14UnaryOpFunctorIaLi2ELi1ELi1EEEJSt6negateIaEEEEvT_T0_DpT1_
    .private_segment_fixed_size: 0
    .sgpr_count:     18
    .sgpr_spill_count: 0
    .symbol:         _ZN2at6native12_GLOBAL__N_125multi_tensor_apply_kernelINS1_18TensorListMetadataILi2EEENS1_14UnaryOpFunctorIaLi2ELi1ELi1EEEJSt6negateIaEEEEvT_T0_DpT1_.kd
    .uniform_work_group_size: 1
    .uses_dynamic_stack: false
    .vgpr_count:     34
    .vgpr_spill_count: 0
    .wavefront_size: 32
  - .args:
      - .offset:         0
        .size:           3144
        .value_kind:     by_value
      - .offset:         3144
        .size:           1
        .value_kind:     by_value
      - .offset:         3145
        .size:           1
        .value_kind:     by_value
      - .offset:         3152
        .size:           4
        .value_kind:     hidden_block_count_x
      - .offset:         3156
        .size:           4
        .value_kind:     hidden_block_count_y
      - .offset:         3160
        .size:           4
        .value_kind:     hidden_block_count_z
      - .offset:         3164
        .size:           2
        .value_kind:     hidden_group_size_x
      - .offset:         3166
        .size:           2
        .value_kind:     hidden_group_size_y
      - .offset:         3168
        .size:           2
        .value_kind:     hidden_group_size_z
      - .offset:         3170
        .size:           2
        .value_kind:     hidden_remainder_x
      - .offset:         3172
        .size:           2
        .value_kind:     hidden_remainder_y
      - .offset:         3174
        .size:           2
        .value_kind:     hidden_remainder_z
      - .offset:         3192
        .size:           8
        .value_kind:     hidden_global_offset_x
      - .offset:         3200
        .size:           8
        .value_kind:     hidden_global_offset_y
      - .offset:         3208
        .size:           8
        .value_kind:     hidden_global_offset_z
      - .offset:         3216
        .size:           2
        .value_kind:     hidden_grid_dims
    .group_segment_fixed_size: 0
    .kernarg_segment_align: 8
    .kernarg_segment_size: 3408
    .language:       OpenCL C
    .language_version:
      - 2
      - 0
    .max_flat_workgroup_size: 512
    .name:           _ZN2at6native12_GLOBAL__N_125multi_tensor_apply_kernelINS1_18TensorListMetadataILi2EEENS1_14UnaryOpFunctorIiLi2ELi1ELi1EEEJSt6negateIiEEEEvT_T0_DpT1_
    .private_segment_fixed_size: 0
    .sgpr_count:     22
    .sgpr_spill_count: 0
    .symbol:         _ZN2at6native12_GLOBAL__N_125multi_tensor_apply_kernelINS1_18TensorListMetadataILi2EEENS1_14UnaryOpFunctorIiLi2ELi1ELi1EEEJSt6negateIiEEEEvT_T0_DpT1_.kd
    .uniform_work_group_size: 1
    .uses_dynamic_stack: false
    .vgpr_count:     34
    .vgpr_spill_count: 0
    .wavefront_size: 32
  - .args:
      - .offset:         0
        .size:           3144
        .value_kind:     by_value
      - .offset:         3144
        .size:           1
        .value_kind:     by_value
      - .offset:         3145
        .size:           1
        .value_kind:     by_value
      - .offset:         3152
        .size:           4
        .value_kind:     hidden_block_count_x
      - .offset:         3156
        .size:           4
        .value_kind:     hidden_block_count_y
      - .offset:         3160
        .size:           4
        .value_kind:     hidden_block_count_z
      - .offset:         3164
        .size:           2
        .value_kind:     hidden_group_size_x
      - .offset:         3166
        .size:           2
        .value_kind:     hidden_group_size_y
      - .offset:         3168
        .size:           2
        .value_kind:     hidden_group_size_z
      - .offset:         3170
        .size:           2
        .value_kind:     hidden_remainder_x
      - .offset:         3172
        .size:           2
        .value_kind:     hidden_remainder_y
      - .offset:         3174
        .size:           2
        .value_kind:     hidden_remainder_z
      - .offset:         3192
        .size:           8
        .value_kind:     hidden_global_offset_x
      - .offset:         3200
        .size:           8
        .value_kind:     hidden_global_offset_y
      - .offset:         3208
        .size:           8
        .value_kind:     hidden_global_offset_z
      - .offset:         3216
        .size:           2
        .value_kind:     hidden_grid_dims
    .group_segment_fixed_size: 0
    .kernarg_segment_align: 8
    .kernarg_segment_size: 3408
    .language:       OpenCL C
    .language_version:
      - 2
      - 0
    .max_flat_workgroup_size: 512
    .name:           _ZN2at6native12_GLOBAL__N_125multi_tensor_apply_kernelINS1_18TensorListMetadataILi2EEENS1_14UnaryOpFunctorIlLi2ELi1ELi1EEEJSt6negateIlEEEEvT_T0_DpT1_
    .private_segment_fixed_size: 0
    .sgpr_count:     22
    .sgpr_spill_count: 0
    .symbol:         _ZN2at6native12_GLOBAL__N_125multi_tensor_apply_kernelINS1_18TensorListMetadataILi2EEENS1_14UnaryOpFunctorIlLi2ELi1ELi1EEEJSt6negateIlEEEEvT_T0_DpT1_.kd
    .uniform_work_group_size: 1
    .uses_dynamic_stack: false
    .vgpr_count:     38
    .vgpr_spill_count: 0
    .wavefront_size: 32
  - .args:
      - .offset:         0
        .size:           3144
        .value_kind:     by_value
      - .offset:         3144
        .size:           1
        .value_kind:     by_value
      - .offset:         3145
        .size:           1
        .value_kind:     by_value
      - .offset:         3152
        .size:           4
        .value_kind:     hidden_block_count_x
      - .offset:         3156
        .size:           4
        .value_kind:     hidden_block_count_y
      - .offset:         3160
        .size:           4
        .value_kind:     hidden_block_count_z
      - .offset:         3164
        .size:           2
        .value_kind:     hidden_group_size_x
      - .offset:         3166
        .size:           2
        .value_kind:     hidden_group_size_y
      - .offset:         3168
        .size:           2
        .value_kind:     hidden_group_size_z
      - .offset:         3170
        .size:           2
        .value_kind:     hidden_remainder_x
      - .offset:         3172
        .size:           2
        .value_kind:     hidden_remainder_y
      - .offset:         3174
        .size:           2
        .value_kind:     hidden_remainder_z
      - .offset:         3192
        .size:           8
        .value_kind:     hidden_global_offset_x
      - .offset:         3200
        .size:           8
        .value_kind:     hidden_global_offset_y
      - .offset:         3208
        .size:           8
        .value_kind:     hidden_global_offset_z
      - .offset:         3216
        .size:           2
        .value_kind:     hidden_grid_dims
    .group_segment_fixed_size: 0
    .kernarg_segment_align: 8
    .kernarg_segment_size: 3408
    .language:       OpenCL C
    .language_version:
      - 2
      - 0
    .max_flat_workgroup_size: 512
    .name:           _ZN2at6native12_GLOBAL__N_125multi_tensor_apply_kernelINS1_18TensorListMetadataILi2EEENS1_14UnaryOpFunctorIsLi2ELi1ELi1EEEJSt6negateIsEEEEvT_T0_DpT1_
    .private_segment_fixed_size: 0
    .sgpr_count:     22
    .sgpr_spill_count: 0
    .symbol:         _ZN2at6native12_GLOBAL__N_125multi_tensor_apply_kernelINS1_18TensorListMetadataILi2EEENS1_14UnaryOpFunctorIsLi2ELi1ELi1EEEJSt6negateIsEEEEvT_T0_DpT1_.kd
    .uniform_work_group_size: 1
    .uses_dynamic_stack: false
    .vgpr_count:     32
    .vgpr_spill_count: 0
    .wavefront_size: 32
  - .args:
      - .offset:         0
        .size:           3144
        .value_kind:     by_value
      - .offset:         3144
        .size:           1
        .value_kind:     by_value
      - .offset:         3145
        .size:           1
        .value_kind:     by_value
      - .offset:         3152
        .size:           4
        .value_kind:     hidden_block_count_x
      - .offset:         3156
        .size:           4
        .value_kind:     hidden_block_count_y
      - .offset:         3160
        .size:           4
        .value_kind:     hidden_block_count_z
      - .offset:         3164
        .size:           2
        .value_kind:     hidden_group_size_x
      - .offset:         3166
        .size:           2
        .value_kind:     hidden_group_size_y
      - .offset:         3168
        .size:           2
        .value_kind:     hidden_group_size_z
      - .offset:         3170
        .size:           2
        .value_kind:     hidden_remainder_x
      - .offset:         3172
        .size:           2
        .value_kind:     hidden_remainder_y
      - .offset:         3174
        .size:           2
        .value_kind:     hidden_remainder_z
      - .offset:         3192
        .size:           8
        .value_kind:     hidden_global_offset_x
      - .offset:         3200
        .size:           8
        .value_kind:     hidden_global_offset_y
      - .offset:         3208
        .size:           8
        .value_kind:     hidden_global_offset_z
      - .offset:         3216
        .size:           2
        .value_kind:     hidden_grid_dims
    .group_segment_fixed_size: 0
    .kernarg_segment_align: 8
    .kernarg_segment_size: 3408
    .language:       OpenCL C
    .language_version:
      - 2
      - 0
    .max_flat_workgroup_size: 512
    .name:           _ZN2at6native12_GLOBAL__N_125multi_tensor_apply_kernelINS1_18TensorListMetadataILi2EEENS1_14UnaryOpFunctorIdLi2ELi1ELi1EEEJSt6negateIdEEEEvT_T0_DpT1_
    .private_segment_fixed_size: 0
    .sgpr_count:     22
    .sgpr_spill_count: 0
    .symbol:         _ZN2at6native12_GLOBAL__N_125multi_tensor_apply_kernelINS1_18TensorListMetadataILi2EEENS1_14UnaryOpFunctorIdLi2ELi1ELi1EEEJSt6negateIdEEEEvT_T0_DpT1_.kd
    .uniform_work_group_size: 1
    .uses_dynamic_stack: false
    .vgpr_count:     38
    .vgpr_spill_count: 0
    .wavefront_size: 32
  - .args:
      - .offset:         0
        .size:           3144
        .value_kind:     by_value
      - .offset:         3144
        .size:           1
        .value_kind:     by_value
      - .offset:         3145
        .size:           1
        .value_kind:     by_value
      - .offset:         3152
        .size:           4
        .value_kind:     hidden_block_count_x
      - .offset:         3156
        .size:           4
        .value_kind:     hidden_block_count_y
      - .offset:         3160
        .size:           4
        .value_kind:     hidden_block_count_z
      - .offset:         3164
        .size:           2
        .value_kind:     hidden_group_size_x
      - .offset:         3166
        .size:           2
        .value_kind:     hidden_group_size_y
      - .offset:         3168
        .size:           2
        .value_kind:     hidden_group_size_z
      - .offset:         3170
        .size:           2
        .value_kind:     hidden_remainder_x
      - .offset:         3172
        .size:           2
        .value_kind:     hidden_remainder_y
      - .offset:         3174
        .size:           2
        .value_kind:     hidden_remainder_z
      - .offset:         3192
        .size:           8
        .value_kind:     hidden_global_offset_x
      - .offset:         3200
        .size:           8
        .value_kind:     hidden_global_offset_y
      - .offset:         3208
        .size:           8
        .value_kind:     hidden_global_offset_z
      - .offset:         3216
        .size:           2
        .value_kind:     hidden_grid_dims
    .group_segment_fixed_size: 0
    .kernarg_segment_align: 8
    .kernarg_segment_size: 3408
    .language:       OpenCL C
    .language_version:
      - 2
      - 0
    .max_flat_workgroup_size: 512
    .name:           _ZN2at6native12_GLOBAL__N_125multi_tensor_apply_kernelINS1_18TensorListMetadataILi2EEENS1_14UnaryOpFunctorIfLi2ELi1ELi1EEEJSt6negateIfEEEEvT_T0_DpT1_
    .private_segment_fixed_size: 0
    .sgpr_count:     22
    .sgpr_spill_count: 0
    .symbol:         _ZN2at6native12_GLOBAL__N_125multi_tensor_apply_kernelINS1_18TensorListMetadataILi2EEENS1_14UnaryOpFunctorIfLi2ELi1ELi1EEEJSt6negateIfEEEEvT_T0_DpT1_.kd
    .uniform_work_group_size: 1
    .uses_dynamic_stack: false
    .vgpr_count:     34
    .vgpr_spill_count: 0
    .wavefront_size: 32
  - .args:
      - .offset:         0
        .size:           3144
        .value_kind:     by_value
      - .offset:         3144
        .size:           1
        .value_kind:     by_value
      - .offset:         3145
        .size:           1
        .value_kind:     by_value
      - .offset:         3152
        .size:           4
        .value_kind:     hidden_block_count_x
      - .offset:         3156
        .size:           4
        .value_kind:     hidden_block_count_y
      - .offset:         3160
        .size:           4
        .value_kind:     hidden_block_count_z
      - .offset:         3164
        .size:           2
        .value_kind:     hidden_group_size_x
      - .offset:         3166
        .size:           2
        .value_kind:     hidden_group_size_y
      - .offset:         3168
        .size:           2
        .value_kind:     hidden_group_size_z
      - .offset:         3170
        .size:           2
        .value_kind:     hidden_remainder_x
      - .offset:         3172
        .size:           2
        .value_kind:     hidden_remainder_y
      - .offset:         3174
        .size:           2
        .value_kind:     hidden_remainder_z
      - .offset:         3192
        .size:           8
        .value_kind:     hidden_global_offset_x
      - .offset:         3200
        .size:           8
        .value_kind:     hidden_global_offset_y
      - .offset:         3208
        .size:           8
        .value_kind:     hidden_global_offset_z
      - .offset:         3216
        .size:           2
        .value_kind:     hidden_grid_dims
    .group_segment_fixed_size: 0
    .kernarg_segment_align: 8
    .kernarg_segment_size: 3408
    .language:       OpenCL C
    .language_version:
      - 2
      - 0
    .max_flat_workgroup_size: 512
    .name:           _ZN2at6native12_GLOBAL__N_125multi_tensor_apply_kernelINS1_18TensorListMetadataILi2EEENS1_14UnaryOpFunctorIN3c107complexIdEELi2ELi1ELi1EEEJSt6negateIS8_EEEEvT_T0_DpT1_
    .private_segment_fixed_size: 0
    .sgpr_count:     20
    .sgpr_spill_count: 0
    .symbol:         _ZN2at6native12_GLOBAL__N_125multi_tensor_apply_kernelINS1_18TensorListMetadataILi2EEENS1_14UnaryOpFunctorIN3c107complexIdEELi2ELi1ELi1EEEJSt6negateIS8_EEEEvT_T0_DpT1_.kd
    .uniform_work_group_size: 1
    .uses_dynamic_stack: false
    .vgpr_count:     30
    .vgpr_spill_count: 0
    .wavefront_size: 32
  - .args:
      - .offset:         0
        .size:           3144
        .value_kind:     by_value
      - .offset:         3144
        .size:           1
        .value_kind:     by_value
      - .offset:         3145
        .size:           1
        .value_kind:     by_value
      - .offset:         3152
        .size:           4
        .value_kind:     hidden_block_count_x
      - .offset:         3156
        .size:           4
        .value_kind:     hidden_block_count_y
      - .offset:         3160
        .size:           4
        .value_kind:     hidden_block_count_z
      - .offset:         3164
        .size:           2
        .value_kind:     hidden_group_size_x
      - .offset:         3166
        .size:           2
        .value_kind:     hidden_group_size_y
      - .offset:         3168
        .size:           2
        .value_kind:     hidden_group_size_z
      - .offset:         3170
        .size:           2
        .value_kind:     hidden_remainder_x
      - .offset:         3172
        .size:           2
        .value_kind:     hidden_remainder_y
      - .offset:         3174
        .size:           2
        .value_kind:     hidden_remainder_z
      - .offset:         3192
        .size:           8
        .value_kind:     hidden_global_offset_x
      - .offset:         3200
        .size:           8
        .value_kind:     hidden_global_offset_y
      - .offset:         3208
        .size:           8
        .value_kind:     hidden_global_offset_z
      - .offset:         3216
        .size:           2
        .value_kind:     hidden_grid_dims
    .group_segment_fixed_size: 0
    .kernarg_segment_align: 8
    .kernarg_segment_size: 3408
    .language:       OpenCL C
    .language_version:
      - 2
      - 0
    .max_flat_workgroup_size: 512
    .name:           _ZN2at6native12_GLOBAL__N_125multi_tensor_apply_kernelINS1_18TensorListMetadataILi2EEENS1_14UnaryOpFunctorIN3c107complexIfEELi2ELi1ELi1EEEJSt6negateIS8_EEEEvT_T0_DpT1_
    .private_segment_fixed_size: 0
    .sgpr_count:     22
    .sgpr_spill_count: 0
    .symbol:         _ZN2at6native12_GLOBAL__N_125multi_tensor_apply_kernelINS1_18TensorListMetadataILi2EEENS1_14UnaryOpFunctorIN3c107complexIfEELi2ELi1ELi1EEEJSt6negateIS8_EEEEvT_T0_DpT1_.kd
    .uniform_work_group_size: 1
    .uses_dynamic_stack: false
    .vgpr_count:     38
    .vgpr_spill_count: 0
    .wavefront_size: 32
  - .args:
      - .offset:         0
        .size:           3144
        .value_kind:     by_value
      - .offset:         3144
        .size:           1
        .value_kind:     by_value
      - .offset:         3145
        .size:           1
        .value_kind:     by_value
      - .offset:         3152
        .size:           4
        .value_kind:     hidden_block_count_x
      - .offset:         3156
        .size:           4
        .value_kind:     hidden_block_count_y
      - .offset:         3160
        .size:           4
        .value_kind:     hidden_block_count_z
      - .offset:         3164
        .size:           2
        .value_kind:     hidden_group_size_x
      - .offset:         3166
        .size:           2
        .value_kind:     hidden_group_size_y
      - .offset:         3168
        .size:           2
        .value_kind:     hidden_group_size_z
      - .offset:         3170
        .size:           2
        .value_kind:     hidden_remainder_x
      - .offset:         3172
        .size:           2
        .value_kind:     hidden_remainder_y
      - .offset:         3174
        .size:           2
        .value_kind:     hidden_remainder_z
      - .offset:         3192
        .size:           8
        .value_kind:     hidden_global_offset_x
      - .offset:         3200
        .size:           8
        .value_kind:     hidden_global_offset_y
      - .offset:         3208
        .size:           8
        .value_kind:     hidden_global_offset_z
      - .offset:         3216
        .size:           2
        .value_kind:     hidden_grid_dims
    .group_segment_fixed_size: 0
    .kernarg_segment_align: 8
    .kernarg_segment_size: 3408
    .language:       OpenCL C
    .language_version:
      - 2
      - 0
    .max_flat_workgroup_size: 512
    .name:           _ZN2at6native12_GLOBAL__N_125multi_tensor_apply_kernelINS1_18TensorListMetadataILi2EEENS1_14UnaryOpFunctorIN3c104HalfELi2ELi1ELi1EEEJSt6negateIfEEEEvT_T0_DpT1_
    .private_segment_fixed_size: 0
    .sgpr_count:     22
    .sgpr_spill_count: 0
    .symbol:         _ZN2at6native12_GLOBAL__N_125multi_tensor_apply_kernelINS1_18TensorListMetadataILi2EEENS1_14UnaryOpFunctorIN3c104HalfELi2ELi1ELi1EEEJSt6negateIfEEEEvT_T0_DpT1_.kd
    .uniform_work_group_size: 1
    .uses_dynamic_stack: false
    .vgpr_count:     34
    .vgpr_spill_count: 0
    .wavefront_size: 32
  - .args:
      - .offset:         0
        .size:           3144
        .value_kind:     by_value
      - .offset:         3144
        .size:           1
        .value_kind:     by_value
      - .offset:         3145
        .size:           1
        .value_kind:     by_value
      - .offset:         3152
        .size:           4
        .value_kind:     hidden_block_count_x
      - .offset:         3156
        .size:           4
        .value_kind:     hidden_block_count_y
      - .offset:         3160
        .size:           4
        .value_kind:     hidden_block_count_z
      - .offset:         3164
        .size:           2
        .value_kind:     hidden_group_size_x
      - .offset:         3166
        .size:           2
        .value_kind:     hidden_group_size_y
      - .offset:         3168
        .size:           2
        .value_kind:     hidden_group_size_z
      - .offset:         3170
        .size:           2
        .value_kind:     hidden_remainder_x
      - .offset:         3172
        .size:           2
        .value_kind:     hidden_remainder_y
      - .offset:         3174
        .size:           2
        .value_kind:     hidden_remainder_z
      - .offset:         3192
        .size:           8
        .value_kind:     hidden_global_offset_x
      - .offset:         3200
        .size:           8
        .value_kind:     hidden_global_offset_y
      - .offset:         3208
        .size:           8
        .value_kind:     hidden_global_offset_z
      - .offset:         3216
        .size:           2
        .value_kind:     hidden_grid_dims
    .group_segment_fixed_size: 0
    .kernarg_segment_align: 8
    .kernarg_segment_size: 3408
    .language:       OpenCL C
    .language_version:
      - 2
      - 0
    .max_flat_workgroup_size: 512
    .name:           _ZN2at6native12_GLOBAL__N_125multi_tensor_apply_kernelINS1_18TensorListMetadataILi2EEENS1_14UnaryOpFunctorIN3c108BFloat16ELi2ELi1ELi1EEEJSt6negateIfEEEEvT_T0_DpT1_
    .private_segment_fixed_size: 0
    .sgpr_count:     22
    .sgpr_spill_count: 0
    .symbol:         _ZN2at6native12_GLOBAL__N_125multi_tensor_apply_kernelINS1_18TensorListMetadataILi2EEENS1_14UnaryOpFunctorIN3c108BFloat16ELi2ELi1ELi1EEEJSt6negateIfEEEEvT_T0_DpT1_.kd
    .uniform_work_group_size: 1
    .uses_dynamic_stack: false
    .vgpr_count:     35
    .vgpr_spill_count: 0
    .wavefront_size: 32
  - .args:
      - .offset:         0
        .size:           3368
        .value_kind:     by_value
      - .offset:         3368
        .size:           1
        .value_kind:     by_value
      - .offset:         3369
        .size:           1
        .value_kind:     by_value
      - .offset:         3376
        .size:           4
        .value_kind:     hidden_block_count_x
      - .offset:         3380
        .size:           4
        .value_kind:     hidden_block_count_y
      - .offset:         3384
        .size:           4
        .value_kind:     hidden_block_count_z
      - .offset:         3388
        .size:           2
        .value_kind:     hidden_group_size_x
      - .offset:         3390
        .size:           2
        .value_kind:     hidden_group_size_y
      - .offset:         3392
        .size:           2
        .value_kind:     hidden_group_size_z
      - .offset:         3394
        .size:           2
        .value_kind:     hidden_remainder_x
      - .offset:         3396
        .size:           2
        .value_kind:     hidden_remainder_y
      - .offset:         3398
        .size:           2
        .value_kind:     hidden_remainder_z
      - .offset:         3416
        .size:           8
        .value_kind:     hidden_global_offset_x
      - .offset:         3424
        .size:           8
        .value_kind:     hidden_global_offset_y
      - .offset:         3432
        .size:           8
        .value_kind:     hidden_global_offset_z
      - .offset:         3440
        .size:           2
        .value_kind:     hidden_grid_dims
    .group_segment_fixed_size: 0
    .kernarg_segment_align: 8
    .kernarg_segment_size: 3632
    .language:       OpenCL C
    .language_version:
      - 2
      - 0
    .max_flat_workgroup_size: 512
    .name:           _ZN2at6native12_GLOBAL__N_125multi_tensor_apply_kernelINS1_18TensorListMetadataILi1EEENS1_14UnaryOpFunctorIhLi1ELi1ELi0EEEJSt6negateIhEEEEvT_T0_DpT1_
    .private_segment_fixed_size: 0
    .sgpr_count:     20
    .sgpr_spill_count: 0
    .symbol:         _ZN2at6native12_GLOBAL__N_125multi_tensor_apply_kernelINS1_18TensorListMetadataILi1EEENS1_14UnaryOpFunctorIhLi1ELi1ELi0EEEJSt6negateIhEEEEvT_T0_DpT1_.kd
    .uniform_work_group_size: 1
    .uses_dynamic_stack: false
    .vgpr_count:     32
    .vgpr_spill_count: 0
    .wavefront_size: 32
  - .args:
      - .offset:         0
        .size:           3368
        .value_kind:     by_value
      - .offset:         3368
        .size:           1
        .value_kind:     by_value
      - .offset:         3369
        .size:           1
        .value_kind:     by_value
      - .offset:         3376
        .size:           4
        .value_kind:     hidden_block_count_x
      - .offset:         3380
        .size:           4
        .value_kind:     hidden_block_count_y
      - .offset:         3384
        .size:           4
        .value_kind:     hidden_block_count_z
      - .offset:         3388
        .size:           2
        .value_kind:     hidden_group_size_x
      - .offset:         3390
        .size:           2
        .value_kind:     hidden_group_size_y
      - .offset:         3392
        .size:           2
        .value_kind:     hidden_group_size_z
      - .offset:         3394
        .size:           2
        .value_kind:     hidden_remainder_x
      - .offset:         3396
        .size:           2
        .value_kind:     hidden_remainder_y
      - .offset:         3398
        .size:           2
        .value_kind:     hidden_remainder_z
      - .offset:         3416
        .size:           8
        .value_kind:     hidden_global_offset_x
      - .offset:         3424
        .size:           8
        .value_kind:     hidden_global_offset_y
      - .offset:         3432
        .size:           8
        .value_kind:     hidden_global_offset_z
      - .offset:         3440
        .size:           2
        .value_kind:     hidden_grid_dims
    .group_segment_fixed_size: 0
    .kernarg_segment_align: 8
    .kernarg_segment_size: 3632
    .language:       OpenCL C
    .language_version:
      - 2
      - 0
    .max_flat_workgroup_size: 512
    .name:           _ZN2at6native12_GLOBAL__N_125multi_tensor_apply_kernelINS1_18TensorListMetadataILi1EEENS1_14UnaryOpFunctorIaLi1ELi1ELi0EEEJSt6negateIaEEEEvT_T0_DpT1_
    .private_segment_fixed_size: 0
    .sgpr_count:     20
    .sgpr_spill_count: 0
    .symbol:         _ZN2at6native12_GLOBAL__N_125multi_tensor_apply_kernelINS1_18TensorListMetadataILi1EEENS1_14UnaryOpFunctorIaLi1ELi1ELi0EEEJSt6negateIaEEEEvT_T0_DpT1_.kd
    .uniform_work_group_size: 1
    .uses_dynamic_stack: false
    .vgpr_count:     32
    .vgpr_spill_count: 0
    .wavefront_size: 32
  - .args:
      - .offset:         0
        .size:           3368
        .value_kind:     by_value
      - .offset:         3368
        .size:           1
        .value_kind:     by_value
      - .offset:         3369
        .size:           1
        .value_kind:     by_value
      - .offset:         3376
        .size:           4
        .value_kind:     hidden_block_count_x
      - .offset:         3380
        .size:           4
        .value_kind:     hidden_block_count_y
      - .offset:         3384
        .size:           4
        .value_kind:     hidden_block_count_z
      - .offset:         3388
        .size:           2
        .value_kind:     hidden_group_size_x
      - .offset:         3390
        .size:           2
        .value_kind:     hidden_group_size_y
      - .offset:         3392
        .size:           2
        .value_kind:     hidden_group_size_z
      - .offset:         3394
        .size:           2
        .value_kind:     hidden_remainder_x
      - .offset:         3396
        .size:           2
        .value_kind:     hidden_remainder_y
      - .offset:         3398
        .size:           2
        .value_kind:     hidden_remainder_z
      - .offset:         3416
        .size:           8
        .value_kind:     hidden_global_offset_x
      - .offset:         3424
        .size:           8
        .value_kind:     hidden_global_offset_y
      - .offset:         3432
        .size:           8
        .value_kind:     hidden_global_offset_z
      - .offset:         3440
        .size:           2
        .value_kind:     hidden_grid_dims
    .group_segment_fixed_size: 0
    .kernarg_segment_align: 8
    .kernarg_segment_size: 3632
    .language:       OpenCL C
    .language_version:
      - 2
      - 0
    .max_flat_workgroup_size: 512
    .name:           _ZN2at6native12_GLOBAL__N_125multi_tensor_apply_kernelINS1_18TensorListMetadataILi1EEENS1_14UnaryOpFunctorIiLi1ELi1ELi0EEEJSt6negateIiEEEEvT_T0_DpT1_
    .private_segment_fixed_size: 0
    .sgpr_count:     24
    .sgpr_spill_count: 0
    .symbol:         _ZN2at6native12_GLOBAL__N_125multi_tensor_apply_kernelINS1_18TensorListMetadataILi1EEENS1_14UnaryOpFunctorIiLi1ELi1ELi0EEEJSt6negateIiEEEEvT_T0_DpT1_.kd
    .uniform_work_group_size: 1
    .uses_dynamic_stack: false
    .vgpr_count:     24
    .vgpr_spill_count: 0
    .wavefront_size: 32
  - .args:
      - .offset:         0
        .size:           3368
        .value_kind:     by_value
      - .offset:         3368
        .size:           1
        .value_kind:     by_value
      - .offset:         3369
        .size:           1
        .value_kind:     by_value
      - .offset:         3376
        .size:           4
        .value_kind:     hidden_block_count_x
      - .offset:         3380
        .size:           4
        .value_kind:     hidden_block_count_y
      - .offset:         3384
        .size:           4
        .value_kind:     hidden_block_count_z
      - .offset:         3388
        .size:           2
        .value_kind:     hidden_group_size_x
      - .offset:         3390
        .size:           2
        .value_kind:     hidden_group_size_y
      - .offset:         3392
        .size:           2
        .value_kind:     hidden_group_size_z
      - .offset:         3394
        .size:           2
        .value_kind:     hidden_remainder_x
      - .offset:         3396
        .size:           2
        .value_kind:     hidden_remainder_y
      - .offset:         3398
        .size:           2
        .value_kind:     hidden_remainder_z
      - .offset:         3416
        .size:           8
        .value_kind:     hidden_global_offset_x
      - .offset:         3424
        .size:           8
        .value_kind:     hidden_global_offset_y
      - .offset:         3432
        .size:           8
        .value_kind:     hidden_global_offset_z
      - .offset:         3440
        .size:           2
        .value_kind:     hidden_grid_dims
    .group_segment_fixed_size: 0
    .kernarg_segment_align: 8
    .kernarg_segment_size: 3632
    .language:       OpenCL C
    .language_version:
      - 2
      - 0
    .max_flat_workgroup_size: 512
    .name:           _ZN2at6native12_GLOBAL__N_125multi_tensor_apply_kernelINS1_18TensorListMetadataILi1EEENS1_14UnaryOpFunctorIlLi1ELi1ELi0EEEJSt6negateIlEEEEvT_T0_DpT1_
    .private_segment_fixed_size: 0
    .sgpr_count:     24
    .sgpr_spill_count: 0
    .symbol:         _ZN2at6native12_GLOBAL__N_125multi_tensor_apply_kernelINS1_18TensorListMetadataILi1EEENS1_14UnaryOpFunctorIlLi1ELi1ELi0EEEJSt6negateIlEEEEvT_T0_DpT1_.kd
    .uniform_work_group_size: 1
    .uses_dynamic_stack: false
    .vgpr_count:     28
    .vgpr_spill_count: 0
    .wavefront_size: 32
  - .args:
      - .offset:         0
        .size:           3368
        .value_kind:     by_value
      - .offset:         3368
        .size:           1
        .value_kind:     by_value
      - .offset:         3369
        .size:           1
        .value_kind:     by_value
      - .offset:         3376
        .size:           4
        .value_kind:     hidden_block_count_x
      - .offset:         3380
        .size:           4
        .value_kind:     hidden_block_count_y
      - .offset:         3384
        .size:           4
        .value_kind:     hidden_block_count_z
      - .offset:         3388
        .size:           2
        .value_kind:     hidden_group_size_x
      - .offset:         3390
        .size:           2
        .value_kind:     hidden_group_size_y
      - .offset:         3392
        .size:           2
        .value_kind:     hidden_group_size_z
      - .offset:         3394
        .size:           2
        .value_kind:     hidden_remainder_x
      - .offset:         3396
        .size:           2
        .value_kind:     hidden_remainder_y
      - .offset:         3398
        .size:           2
        .value_kind:     hidden_remainder_z
      - .offset:         3416
        .size:           8
        .value_kind:     hidden_global_offset_x
      - .offset:         3424
        .size:           8
        .value_kind:     hidden_global_offset_y
      - .offset:         3432
        .size:           8
        .value_kind:     hidden_global_offset_z
      - .offset:         3440
        .size:           2
        .value_kind:     hidden_grid_dims
    .group_segment_fixed_size: 0
    .kernarg_segment_align: 8
    .kernarg_segment_size: 3632
    .language:       OpenCL C
    .language_version:
      - 2
      - 0
    .max_flat_workgroup_size: 512
    .name:           _ZN2at6native12_GLOBAL__N_125multi_tensor_apply_kernelINS1_18TensorListMetadataILi1EEENS1_14UnaryOpFunctorIsLi1ELi1ELi0EEEJSt6negateIsEEEEvT_T0_DpT1_
    .private_segment_fixed_size: 0
    .sgpr_count:     22
    .sgpr_spill_count: 0
    .symbol:         _ZN2at6native12_GLOBAL__N_125multi_tensor_apply_kernelINS1_18TensorListMetadataILi1EEENS1_14UnaryOpFunctorIsLi1ELi1ELi0EEEJSt6negateIsEEEEvT_T0_DpT1_.kd
    .uniform_work_group_size: 1
    .uses_dynamic_stack: false
    .vgpr_count:     23
    .vgpr_spill_count: 0
    .wavefront_size: 32
  - .args:
      - .offset:         0
        .size:           3368
        .value_kind:     by_value
      - .offset:         3368
        .size:           1
        .value_kind:     by_value
      - .offset:         3369
        .size:           1
        .value_kind:     by_value
      - .offset:         3376
        .size:           4
        .value_kind:     hidden_block_count_x
      - .offset:         3380
        .size:           4
        .value_kind:     hidden_block_count_y
      - .offset:         3384
        .size:           4
        .value_kind:     hidden_block_count_z
      - .offset:         3388
        .size:           2
        .value_kind:     hidden_group_size_x
      - .offset:         3390
        .size:           2
        .value_kind:     hidden_group_size_y
      - .offset:         3392
        .size:           2
        .value_kind:     hidden_group_size_z
      - .offset:         3394
        .size:           2
        .value_kind:     hidden_remainder_x
      - .offset:         3396
        .size:           2
        .value_kind:     hidden_remainder_y
      - .offset:         3398
        .size:           2
        .value_kind:     hidden_remainder_z
      - .offset:         3416
        .size:           8
        .value_kind:     hidden_global_offset_x
      - .offset:         3424
        .size:           8
        .value_kind:     hidden_global_offset_y
      - .offset:         3432
        .size:           8
        .value_kind:     hidden_global_offset_z
      - .offset:         3440
        .size:           2
        .value_kind:     hidden_grid_dims
    .group_segment_fixed_size: 0
    .kernarg_segment_align: 8
    .kernarg_segment_size: 3632
    .language:       OpenCL C
    .language_version:
      - 2
      - 0
    .max_flat_workgroup_size: 512
    .name:           _ZN2at6native12_GLOBAL__N_125multi_tensor_apply_kernelINS1_18TensorListMetadataILi1EEENS1_14UnaryOpFunctorIdLi1ELi1ELi0EEEJSt6negateIdEEEEvT_T0_DpT1_
    .private_segment_fixed_size: 0
    .sgpr_count:     24
    .sgpr_spill_count: 0
    .symbol:         _ZN2at6native12_GLOBAL__N_125multi_tensor_apply_kernelINS1_18TensorListMetadataILi1EEENS1_14UnaryOpFunctorIdLi1ELi1ELi0EEEJSt6negateIdEEEEvT_T0_DpT1_.kd
    .uniform_work_group_size: 1
    .uses_dynamic_stack: false
    .vgpr_count:     28
    .vgpr_spill_count: 0
    .wavefront_size: 32
  - .args:
      - .offset:         0
        .size:           3368
        .value_kind:     by_value
      - .offset:         3368
        .size:           1
        .value_kind:     by_value
      - .offset:         3369
        .size:           1
        .value_kind:     by_value
      - .offset:         3376
        .size:           4
        .value_kind:     hidden_block_count_x
      - .offset:         3380
        .size:           4
        .value_kind:     hidden_block_count_y
      - .offset:         3384
        .size:           4
        .value_kind:     hidden_block_count_z
      - .offset:         3388
        .size:           2
        .value_kind:     hidden_group_size_x
      - .offset:         3390
        .size:           2
        .value_kind:     hidden_group_size_y
      - .offset:         3392
        .size:           2
        .value_kind:     hidden_group_size_z
      - .offset:         3394
        .size:           2
        .value_kind:     hidden_remainder_x
      - .offset:         3396
        .size:           2
        .value_kind:     hidden_remainder_y
      - .offset:         3398
        .size:           2
        .value_kind:     hidden_remainder_z
      - .offset:         3416
        .size:           8
        .value_kind:     hidden_global_offset_x
      - .offset:         3424
        .size:           8
        .value_kind:     hidden_global_offset_y
      - .offset:         3432
        .size:           8
        .value_kind:     hidden_global_offset_z
      - .offset:         3440
        .size:           2
        .value_kind:     hidden_grid_dims
    .group_segment_fixed_size: 0
    .kernarg_segment_align: 8
    .kernarg_segment_size: 3632
    .language:       OpenCL C
    .language_version:
      - 2
      - 0
    .max_flat_workgroup_size: 512
    .name:           _ZN2at6native12_GLOBAL__N_125multi_tensor_apply_kernelINS1_18TensorListMetadataILi1EEENS1_14UnaryOpFunctorIfLi1ELi1ELi0EEEJSt6negateIfEEEEvT_T0_DpT1_
    .private_segment_fixed_size: 0
    .sgpr_count:     24
    .sgpr_spill_count: 0
    .symbol:         _ZN2at6native12_GLOBAL__N_125multi_tensor_apply_kernelINS1_18TensorListMetadataILi1EEENS1_14UnaryOpFunctorIfLi1ELi1ELi0EEEJSt6negateIfEEEEvT_T0_DpT1_.kd
    .uniform_work_group_size: 1
    .uses_dynamic_stack: false
    .vgpr_count:     24
    .vgpr_spill_count: 0
    .wavefront_size: 32
  - .args:
      - .offset:         0
        .size:           3368
        .value_kind:     by_value
      - .offset:         3368
        .size:           1
        .value_kind:     by_value
      - .offset:         3369
        .size:           1
        .value_kind:     by_value
      - .offset:         3376
        .size:           4
        .value_kind:     hidden_block_count_x
      - .offset:         3380
        .size:           4
        .value_kind:     hidden_block_count_y
      - .offset:         3384
        .size:           4
        .value_kind:     hidden_block_count_z
      - .offset:         3388
        .size:           2
        .value_kind:     hidden_group_size_x
      - .offset:         3390
        .size:           2
        .value_kind:     hidden_group_size_y
      - .offset:         3392
        .size:           2
        .value_kind:     hidden_group_size_z
      - .offset:         3394
        .size:           2
        .value_kind:     hidden_remainder_x
      - .offset:         3396
        .size:           2
        .value_kind:     hidden_remainder_y
      - .offset:         3398
        .size:           2
        .value_kind:     hidden_remainder_z
      - .offset:         3416
        .size:           8
        .value_kind:     hidden_global_offset_x
      - .offset:         3424
        .size:           8
        .value_kind:     hidden_global_offset_y
      - .offset:         3432
        .size:           8
        .value_kind:     hidden_global_offset_z
      - .offset:         3440
        .size:           2
        .value_kind:     hidden_grid_dims
    .group_segment_fixed_size: 0
    .kernarg_segment_align: 8
    .kernarg_segment_size: 3632
    .language:       OpenCL C
    .language_version:
      - 2
      - 0
    .max_flat_workgroup_size: 512
    .name:           _ZN2at6native12_GLOBAL__N_125multi_tensor_apply_kernelINS1_18TensorListMetadataILi1EEENS1_14UnaryOpFunctorIN3c107complexIdEELi1ELi1ELi0EEEJSt6negateIS8_EEEEvT_T0_DpT1_
    .private_segment_fixed_size: 0
    .sgpr_count:     22
    .sgpr_spill_count: 0
    .symbol:         _ZN2at6native12_GLOBAL__N_125multi_tensor_apply_kernelINS1_18TensorListMetadataILi1EEENS1_14UnaryOpFunctorIN3c107complexIdEELi1ELi1ELi0EEEJSt6negateIS8_EEEEvT_T0_DpT1_.kd
    .uniform_work_group_size: 1
    .uses_dynamic_stack: false
    .vgpr_count:     44
    .vgpr_spill_count: 0
    .wavefront_size: 32
  - .args:
      - .offset:         0
        .size:           3368
        .value_kind:     by_value
      - .offset:         3368
        .size:           1
        .value_kind:     by_value
      - .offset:         3369
        .size:           1
        .value_kind:     by_value
      - .offset:         3376
        .size:           4
        .value_kind:     hidden_block_count_x
      - .offset:         3380
        .size:           4
        .value_kind:     hidden_block_count_y
      - .offset:         3384
        .size:           4
        .value_kind:     hidden_block_count_z
      - .offset:         3388
        .size:           2
        .value_kind:     hidden_group_size_x
      - .offset:         3390
        .size:           2
        .value_kind:     hidden_group_size_y
      - .offset:         3392
        .size:           2
        .value_kind:     hidden_group_size_z
      - .offset:         3394
        .size:           2
        .value_kind:     hidden_remainder_x
      - .offset:         3396
        .size:           2
        .value_kind:     hidden_remainder_y
      - .offset:         3398
        .size:           2
        .value_kind:     hidden_remainder_z
      - .offset:         3416
        .size:           8
        .value_kind:     hidden_global_offset_x
      - .offset:         3424
        .size:           8
        .value_kind:     hidden_global_offset_y
      - .offset:         3432
        .size:           8
        .value_kind:     hidden_global_offset_z
      - .offset:         3440
        .size:           2
        .value_kind:     hidden_grid_dims
    .group_segment_fixed_size: 0
    .kernarg_segment_align: 8
    .kernarg_segment_size: 3632
    .language:       OpenCL C
    .language_version:
      - 2
      - 0
    .max_flat_workgroup_size: 512
    .name:           _ZN2at6native12_GLOBAL__N_125multi_tensor_apply_kernelINS1_18TensorListMetadataILi1EEENS1_14UnaryOpFunctorIN3c107complexIfEELi1ELi1ELi0EEEJSt6negateIS8_EEEEvT_T0_DpT1_
    .private_segment_fixed_size: 0
    .sgpr_count:     24
    .sgpr_spill_count: 0
    .symbol:         _ZN2at6native12_GLOBAL__N_125multi_tensor_apply_kernelINS1_18TensorListMetadataILi1EEENS1_14UnaryOpFunctorIN3c107complexIfEELi1ELi1ELi0EEEJSt6negateIS8_EEEEvT_T0_DpT1_.kd
    .uniform_work_group_size: 1
    .uses_dynamic_stack: false
    .vgpr_count:     28
    .vgpr_spill_count: 0
    .wavefront_size: 32
  - .args:
      - .offset:         0
        .size:           3368
        .value_kind:     by_value
      - .offset:         3368
        .size:           1
        .value_kind:     by_value
      - .offset:         3369
        .size:           1
        .value_kind:     by_value
      - .offset:         3376
        .size:           4
        .value_kind:     hidden_block_count_x
      - .offset:         3380
        .size:           4
        .value_kind:     hidden_block_count_y
      - .offset:         3384
        .size:           4
        .value_kind:     hidden_block_count_z
      - .offset:         3388
        .size:           2
        .value_kind:     hidden_group_size_x
      - .offset:         3390
        .size:           2
        .value_kind:     hidden_group_size_y
      - .offset:         3392
        .size:           2
        .value_kind:     hidden_group_size_z
      - .offset:         3394
        .size:           2
        .value_kind:     hidden_remainder_x
      - .offset:         3396
        .size:           2
        .value_kind:     hidden_remainder_y
      - .offset:         3398
        .size:           2
        .value_kind:     hidden_remainder_z
      - .offset:         3416
        .size:           8
        .value_kind:     hidden_global_offset_x
      - .offset:         3424
        .size:           8
        .value_kind:     hidden_global_offset_y
      - .offset:         3432
        .size:           8
        .value_kind:     hidden_global_offset_z
      - .offset:         3440
        .size:           2
        .value_kind:     hidden_grid_dims
    .group_segment_fixed_size: 0
    .kernarg_segment_align: 8
    .kernarg_segment_size: 3632
    .language:       OpenCL C
    .language_version:
      - 2
      - 0
    .max_flat_workgroup_size: 512
    .name:           _ZN2at6native12_GLOBAL__N_125multi_tensor_apply_kernelINS1_18TensorListMetadataILi1EEENS1_14UnaryOpFunctorIN3c104HalfELi1ELi1ELi0EEEJSt6negateIfEEEEvT_T0_DpT1_
    .private_segment_fixed_size: 0
    .sgpr_count:     22
    .sgpr_spill_count: 0
    .symbol:         _ZN2at6native12_GLOBAL__N_125multi_tensor_apply_kernelINS1_18TensorListMetadataILi1EEENS1_14UnaryOpFunctorIN3c104HalfELi1ELi1ELi0EEEJSt6negateIfEEEEvT_T0_DpT1_.kd
    .uniform_work_group_size: 1
    .uses_dynamic_stack: false
    .vgpr_count:     28
    .vgpr_spill_count: 0
    .wavefront_size: 32
  - .args:
      - .offset:         0
        .size:           3368
        .value_kind:     by_value
      - .offset:         3368
        .size:           1
        .value_kind:     by_value
      - .offset:         3369
        .size:           1
        .value_kind:     by_value
      - .offset:         3376
        .size:           4
        .value_kind:     hidden_block_count_x
      - .offset:         3380
        .size:           4
        .value_kind:     hidden_block_count_y
      - .offset:         3384
        .size:           4
        .value_kind:     hidden_block_count_z
      - .offset:         3388
        .size:           2
        .value_kind:     hidden_group_size_x
      - .offset:         3390
        .size:           2
        .value_kind:     hidden_group_size_y
      - .offset:         3392
        .size:           2
        .value_kind:     hidden_group_size_z
      - .offset:         3394
        .size:           2
        .value_kind:     hidden_remainder_x
      - .offset:         3396
        .size:           2
        .value_kind:     hidden_remainder_y
      - .offset:         3398
        .size:           2
        .value_kind:     hidden_remainder_z
      - .offset:         3416
        .size:           8
        .value_kind:     hidden_global_offset_x
      - .offset:         3424
        .size:           8
        .value_kind:     hidden_global_offset_y
      - .offset:         3432
        .size:           8
        .value_kind:     hidden_global_offset_z
      - .offset:         3440
        .size:           2
        .value_kind:     hidden_grid_dims
    .group_segment_fixed_size: 0
    .kernarg_segment_align: 8
    .kernarg_segment_size: 3632
    .language:       OpenCL C
    .language_version:
      - 2
      - 0
    .max_flat_workgroup_size: 512
    .name:           _ZN2at6native12_GLOBAL__N_125multi_tensor_apply_kernelINS1_18TensorListMetadataILi1EEENS1_14UnaryOpFunctorIN3c108BFloat16ELi1ELi1ELi0EEEJSt6negateIfEEEEvT_T0_DpT1_
    .private_segment_fixed_size: 0
    .sgpr_count:     22
    .sgpr_spill_count: 0
    .symbol:         _ZN2at6native12_GLOBAL__N_125multi_tensor_apply_kernelINS1_18TensorListMetadataILi1EEENS1_14UnaryOpFunctorIN3c108BFloat16ELi1ELi1ELi0EEEJSt6negateIfEEEEvT_T0_DpT1_.kd
    .uniform_work_group_size: 1
    .uses_dynamic_stack: false
    .vgpr_count:     26
    .vgpr_spill_count: 0
    .wavefront_size: 32
  - .args:
      - .offset:         0
        .size:           3144
        .value_kind:     by_value
      - .offset:         3144
        .size:           1
        .value_kind:     by_value
      - .offset:         3145
        .size:           1
        .value_kind:     by_value
      - .offset:         3152
        .size:           4
        .value_kind:     hidden_block_count_x
      - .offset:         3156
        .size:           4
        .value_kind:     hidden_block_count_y
      - .offset:         3160
        .size:           4
        .value_kind:     hidden_block_count_z
      - .offset:         3164
        .size:           2
        .value_kind:     hidden_group_size_x
      - .offset:         3166
        .size:           2
        .value_kind:     hidden_group_size_y
      - .offset:         3168
        .size:           2
        .value_kind:     hidden_group_size_z
      - .offset:         3170
        .size:           2
        .value_kind:     hidden_remainder_x
      - .offset:         3172
        .size:           2
        .value_kind:     hidden_remainder_y
      - .offset:         3174
        .size:           2
        .value_kind:     hidden_remainder_z
      - .offset:         3192
        .size:           8
        .value_kind:     hidden_global_offset_x
      - .offset:         3200
        .size:           8
        .value_kind:     hidden_global_offset_y
      - .offset:         3208
        .size:           8
        .value_kind:     hidden_global_offset_z
      - .offset:         3216
        .size:           2
        .value_kind:     hidden_grid_dims
    .group_segment_fixed_size: 0
    .kernarg_segment_align: 8
    .kernarg_segment_size: 3408
    .language:       OpenCL C
    .language_version:
      - 2
      - 0
    .max_flat_workgroup_size: 512
    .name:           _ZN2at6native12_GLOBAL__N_125multi_tensor_apply_kernelINS1_18TensorListMetadataILi2EEENS1_14UnaryOpFunctorIhLi2ELi1ELi1EEEJNS0_3AbsIhEEEEEvT_T0_DpT1_
    .private_segment_fixed_size: 0
    .sgpr_count:     18
    .sgpr_spill_count: 0
    .symbol:         _ZN2at6native12_GLOBAL__N_125multi_tensor_apply_kernelINS1_18TensorListMetadataILi2EEENS1_14UnaryOpFunctorIhLi2ELi1ELi1EEEJNS0_3AbsIhEEEEEvT_T0_DpT1_.kd
    .uniform_work_group_size: 1
    .uses_dynamic_stack: false
    .vgpr_count:     32
    .vgpr_spill_count: 0
    .wavefront_size: 32
  - .args:
      - .offset:         0
        .size:           3144
        .value_kind:     by_value
      - .offset:         3144
        .size:           1
        .value_kind:     by_value
      - .offset:         3145
        .size:           1
        .value_kind:     by_value
      - .offset:         3152
        .size:           4
        .value_kind:     hidden_block_count_x
      - .offset:         3156
        .size:           4
        .value_kind:     hidden_block_count_y
      - .offset:         3160
        .size:           4
        .value_kind:     hidden_block_count_z
      - .offset:         3164
        .size:           2
        .value_kind:     hidden_group_size_x
      - .offset:         3166
        .size:           2
        .value_kind:     hidden_group_size_y
      - .offset:         3168
        .size:           2
        .value_kind:     hidden_group_size_z
      - .offset:         3170
        .size:           2
        .value_kind:     hidden_remainder_x
      - .offset:         3172
        .size:           2
        .value_kind:     hidden_remainder_y
      - .offset:         3174
        .size:           2
        .value_kind:     hidden_remainder_z
      - .offset:         3192
        .size:           8
        .value_kind:     hidden_global_offset_x
      - .offset:         3200
        .size:           8
        .value_kind:     hidden_global_offset_y
      - .offset:         3208
        .size:           8
        .value_kind:     hidden_global_offset_z
      - .offset:         3216
        .size:           2
        .value_kind:     hidden_grid_dims
    .group_segment_fixed_size: 0
    .kernarg_segment_align: 8
    .kernarg_segment_size: 3408
    .language:       OpenCL C
    .language_version:
      - 2
      - 0
    .max_flat_workgroup_size: 512
    .name:           _ZN2at6native12_GLOBAL__N_125multi_tensor_apply_kernelINS1_18TensorListMetadataILi2EEENS1_14UnaryOpFunctorIaLi2ELi1ELi1EEEJNS0_3AbsIaEEEEEvT_T0_DpT1_
    .private_segment_fixed_size: 0
    .sgpr_count:     18
    .sgpr_spill_count: 0
    .symbol:         _ZN2at6native12_GLOBAL__N_125multi_tensor_apply_kernelINS1_18TensorListMetadataILi2EEENS1_14UnaryOpFunctorIaLi2ELi1ELi1EEEJNS0_3AbsIaEEEEEvT_T0_DpT1_.kd
    .uniform_work_group_size: 1
    .uses_dynamic_stack: false
    .vgpr_count:     35
    .vgpr_spill_count: 0
    .wavefront_size: 32
  - .args:
      - .offset:         0
        .size:           3144
        .value_kind:     by_value
      - .offset:         3144
        .size:           1
        .value_kind:     by_value
      - .offset:         3145
        .size:           1
        .value_kind:     by_value
      - .offset:         3152
        .size:           4
        .value_kind:     hidden_block_count_x
      - .offset:         3156
        .size:           4
        .value_kind:     hidden_block_count_y
      - .offset:         3160
        .size:           4
        .value_kind:     hidden_block_count_z
      - .offset:         3164
        .size:           2
        .value_kind:     hidden_group_size_x
      - .offset:         3166
        .size:           2
        .value_kind:     hidden_group_size_y
      - .offset:         3168
        .size:           2
        .value_kind:     hidden_group_size_z
      - .offset:         3170
        .size:           2
        .value_kind:     hidden_remainder_x
      - .offset:         3172
        .size:           2
        .value_kind:     hidden_remainder_y
      - .offset:         3174
        .size:           2
        .value_kind:     hidden_remainder_z
      - .offset:         3192
        .size:           8
        .value_kind:     hidden_global_offset_x
      - .offset:         3200
        .size:           8
        .value_kind:     hidden_global_offset_y
      - .offset:         3208
        .size:           8
        .value_kind:     hidden_global_offset_z
      - .offset:         3216
        .size:           2
        .value_kind:     hidden_grid_dims
    .group_segment_fixed_size: 0
    .kernarg_segment_align: 8
    .kernarg_segment_size: 3408
    .language:       OpenCL C
    .language_version:
      - 2
      - 0
    .max_flat_workgroup_size: 512
    .name:           _ZN2at6native12_GLOBAL__N_125multi_tensor_apply_kernelINS1_18TensorListMetadataILi2EEENS1_14UnaryOpFunctorIiLi2ELi1ELi1EEEJNS0_3AbsIiEEEEEvT_T0_DpT1_
    .private_segment_fixed_size: 0
    .sgpr_count:     22
    .sgpr_spill_count: 0
    .symbol:         _ZN2at6native12_GLOBAL__N_125multi_tensor_apply_kernelINS1_18TensorListMetadataILi2EEENS1_14UnaryOpFunctorIiLi2ELi1ELi1EEEJNS0_3AbsIiEEEEEvT_T0_DpT1_.kd
    .uniform_work_group_size: 1
    .uses_dynamic_stack: false
    .vgpr_count:     34
    .vgpr_spill_count: 0
    .wavefront_size: 32
  - .args:
      - .offset:         0
        .size:           3144
        .value_kind:     by_value
      - .offset:         3144
        .size:           1
        .value_kind:     by_value
      - .offset:         3145
        .size:           1
        .value_kind:     by_value
      - .offset:         3152
        .size:           4
        .value_kind:     hidden_block_count_x
      - .offset:         3156
        .size:           4
        .value_kind:     hidden_block_count_y
      - .offset:         3160
        .size:           4
        .value_kind:     hidden_block_count_z
      - .offset:         3164
        .size:           2
        .value_kind:     hidden_group_size_x
      - .offset:         3166
        .size:           2
        .value_kind:     hidden_group_size_y
      - .offset:         3168
        .size:           2
        .value_kind:     hidden_group_size_z
      - .offset:         3170
        .size:           2
        .value_kind:     hidden_remainder_x
      - .offset:         3172
        .size:           2
        .value_kind:     hidden_remainder_y
      - .offset:         3174
        .size:           2
        .value_kind:     hidden_remainder_z
      - .offset:         3192
        .size:           8
        .value_kind:     hidden_global_offset_x
      - .offset:         3200
        .size:           8
        .value_kind:     hidden_global_offset_y
      - .offset:         3208
        .size:           8
        .value_kind:     hidden_global_offset_z
      - .offset:         3216
        .size:           2
        .value_kind:     hidden_grid_dims
    .group_segment_fixed_size: 0
    .kernarg_segment_align: 8
    .kernarg_segment_size: 3408
    .language:       OpenCL C
    .language_version:
      - 2
      - 0
    .max_flat_workgroup_size: 512
    .name:           _ZN2at6native12_GLOBAL__N_125multi_tensor_apply_kernelINS1_18TensorListMetadataILi2EEENS1_14UnaryOpFunctorIlLi2ELi1ELi1EEEJNS0_3AbsIlEEEEEvT_T0_DpT1_
    .private_segment_fixed_size: 0
    .sgpr_count:     22
    .sgpr_spill_count: 0
    .symbol:         _ZN2at6native12_GLOBAL__N_125multi_tensor_apply_kernelINS1_18TensorListMetadataILi2EEENS1_14UnaryOpFunctorIlLi2ELi1ELi1EEEJNS0_3AbsIlEEEEEvT_T0_DpT1_.kd
    .uniform_work_group_size: 1
    .uses_dynamic_stack: false
    .vgpr_count:     38
    .vgpr_spill_count: 0
    .wavefront_size: 32
  - .args:
      - .offset:         0
        .size:           3144
        .value_kind:     by_value
      - .offset:         3144
        .size:           1
        .value_kind:     by_value
      - .offset:         3145
        .size:           1
        .value_kind:     by_value
      - .offset:         3152
        .size:           4
        .value_kind:     hidden_block_count_x
      - .offset:         3156
        .size:           4
        .value_kind:     hidden_block_count_y
      - .offset:         3160
        .size:           4
        .value_kind:     hidden_block_count_z
      - .offset:         3164
        .size:           2
        .value_kind:     hidden_group_size_x
      - .offset:         3166
        .size:           2
        .value_kind:     hidden_group_size_y
      - .offset:         3168
        .size:           2
        .value_kind:     hidden_group_size_z
      - .offset:         3170
        .size:           2
        .value_kind:     hidden_remainder_x
      - .offset:         3172
        .size:           2
        .value_kind:     hidden_remainder_y
      - .offset:         3174
        .size:           2
        .value_kind:     hidden_remainder_z
      - .offset:         3192
        .size:           8
        .value_kind:     hidden_global_offset_x
      - .offset:         3200
        .size:           8
        .value_kind:     hidden_global_offset_y
      - .offset:         3208
        .size:           8
        .value_kind:     hidden_global_offset_z
      - .offset:         3216
        .size:           2
        .value_kind:     hidden_grid_dims
    .group_segment_fixed_size: 0
    .kernarg_segment_align: 8
    .kernarg_segment_size: 3408
    .language:       OpenCL C
    .language_version:
      - 2
      - 0
    .max_flat_workgroup_size: 512
    .name:           _ZN2at6native12_GLOBAL__N_125multi_tensor_apply_kernelINS1_18TensorListMetadataILi2EEENS1_14UnaryOpFunctorIsLi2ELi1ELi1EEEJNS0_3AbsIsEEEEEvT_T0_DpT1_
    .private_segment_fixed_size: 0
    .sgpr_count:     22
    .sgpr_spill_count: 0
    .symbol:         _ZN2at6native12_GLOBAL__N_125multi_tensor_apply_kernelINS1_18TensorListMetadataILi2EEENS1_14UnaryOpFunctorIsLi2ELi1ELi1EEEJNS0_3AbsIsEEEEEvT_T0_DpT1_.kd
    .uniform_work_group_size: 1
    .uses_dynamic_stack: false
    .vgpr_count:     32
    .vgpr_spill_count: 0
    .wavefront_size: 32
  - .args:
      - .offset:         0
        .size:           3144
        .value_kind:     by_value
      - .offset:         3144
        .size:           1
        .value_kind:     by_value
      - .offset:         3145
        .size:           1
        .value_kind:     by_value
      - .offset:         3152
        .size:           4
        .value_kind:     hidden_block_count_x
      - .offset:         3156
        .size:           4
        .value_kind:     hidden_block_count_y
      - .offset:         3160
        .size:           4
        .value_kind:     hidden_block_count_z
      - .offset:         3164
        .size:           2
        .value_kind:     hidden_group_size_x
      - .offset:         3166
        .size:           2
        .value_kind:     hidden_group_size_y
      - .offset:         3168
        .size:           2
        .value_kind:     hidden_group_size_z
      - .offset:         3170
        .size:           2
        .value_kind:     hidden_remainder_x
      - .offset:         3172
        .size:           2
        .value_kind:     hidden_remainder_y
      - .offset:         3174
        .size:           2
        .value_kind:     hidden_remainder_z
      - .offset:         3192
        .size:           8
        .value_kind:     hidden_global_offset_x
      - .offset:         3200
        .size:           8
        .value_kind:     hidden_global_offset_y
      - .offset:         3208
        .size:           8
        .value_kind:     hidden_global_offset_z
      - .offset:         3216
        .size:           2
        .value_kind:     hidden_grid_dims
    .group_segment_fixed_size: 0
    .kernarg_segment_align: 8
    .kernarg_segment_size: 3408
    .language:       OpenCL C
    .language_version:
      - 2
      - 0
    .max_flat_workgroup_size: 512
    .name:           _ZN2at6native12_GLOBAL__N_125multi_tensor_apply_kernelINS1_18TensorListMetadataILi2EEENS1_14UnaryOpFunctorIdLi2ELi1ELi1EEEJNS0_3AbsIdEEEEEvT_T0_DpT1_
    .private_segment_fixed_size: 0
    .sgpr_count:     22
    .sgpr_spill_count: 0
    .symbol:         _ZN2at6native12_GLOBAL__N_125multi_tensor_apply_kernelINS1_18TensorListMetadataILi2EEENS1_14UnaryOpFunctorIdLi2ELi1ELi1EEEJNS0_3AbsIdEEEEEvT_T0_DpT1_.kd
    .uniform_work_group_size: 1
    .uses_dynamic_stack: false
    .vgpr_count:     38
    .vgpr_spill_count: 0
    .wavefront_size: 32
  - .args:
      - .offset:         0
        .size:           3144
        .value_kind:     by_value
      - .offset:         3144
        .size:           1
        .value_kind:     by_value
      - .offset:         3145
        .size:           1
        .value_kind:     by_value
      - .offset:         3152
        .size:           4
        .value_kind:     hidden_block_count_x
      - .offset:         3156
        .size:           4
        .value_kind:     hidden_block_count_y
      - .offset:         3160
        .size:           4
        .value_kind:     hidden_block_count_z
      - .offset:         3164
        .size:           2
        .value_kind:     hidden_group_size_x
      - .offset:         3166
        .size:           2
        .value_kind:     hidden_group_size_y
      - .offset:         3168
        .size:           2
        .value_kind:     hidden_group_size_z
      - .offset:         3170
        .size:           2
        .value_kind:     hidden_remainder_x
      - .offset:         3172
        .size:           2
        .value_kind:     hidden_remainder_y
      - .offset:         3174
        .size:           2
        .value_kind:     hidden_remainder_z
      - .offset:         3192
        .size:           8
        .value_kind:     hidden_global_offset_x
      - .offset:         3200
        .size:           8
        .value_kind:     hidden_global_offset_y
      - .offset:         3208
        .size:           8
        .value_kind:     hidden_global_offset_z
      - .offset:         3216
        .size:           2
        .value_kind:     hidden_grid_dims
    .group_segment_fixed_size: 0
    .kernarg_segment_align: 8
    .kernarg_segment_size: 3408
    .language:       OpenCL C
    .language_version:
      - 2
      - 0
    .max_flat_workgroup_size: 512
    .name:           _ZN2at6native12_GLOBAL__N_125multi_tensor_apply_kernelINS1_18TensorListMetadataILi2EEENS1_14UnaryOpFunctorIfLi2ELi1ELi1EEEJNS0_3AbsIfEEEEEvT_T0_DpT1_
    .private_segment_fixed_size: 0
    .sgpr_count:     22
    .sgpr_spill_count: 0
    .symbol:         _ZN2at6native12_GLOBAL__N_125multi_tensor_apply_kernelINS1_18TensorListMetadataILi2EEENS1_14UnaryOpFunctorIfLi2ELi1ELi1EEEJNS0_3AbsIfEEEEEvT_T0_DpT1_.kd
    .uniform_work_group_size: 1
    .uses_dynamic_stack: false
    .vgpr_count:     34
    .vgpr_spill_count: 0
    .wavefront_size: 32
  - .args:
      - .offset:         0
        .size:           3144
        .value_kind:     by_value
      - .offset:         3144
        .size:           1
        .value_kind:     by_value
      - .offset:         3145
        .size:           1
        .value_kind:     by_value
      - .offset:         3152
        .size:           4
        .value_kind:     hidden_block_count_x
      - .offset:         3156
        .size:           4
        .value_kind:     hidden_block_count_y
      - .offset:         3160
        .size:           4
        .value_kind:     hidden_block_count_z
      - .offset:         3164
        .size:           2
        .value_kind:     hidden_group_size_x
      - .offset:         3166
        .size:           2
        .value_kind:     hidden_group_size_y
      - .offset:         3168
        .size:           2
        .value_kind:     hidden_group_size_z
      - .offset:         3170
        .size:           2
        .value_kind:     hidden_remainder_x
      - .offset:         3172
        .size:           2
        .value_kind:     hidden_remainder_y
      - .offset:         3174
        .size:           2
        .value_kind:     hidden_remainder_z
      - .offset:         3192
        .size:           8
        .value_kind:     hidden_global_offset_x
      - .offset:         3200
        .size:           8
        .value_kind:     hidden_global_offset_y
      - .offset:         3208
        .size:           8
        .value_kind:     hidden_global_offset_z
      - .offset:         3216
        .size:           2
        .value_kind:     hidden_grid_dims
    .group_segment_fixed_size: 0
    .kernarg_segment_align: 8
    .kernarg_segment_size: 3408
    .language:       OpenCL C
    .language_version:
      - 2
      - 0
    .max_flat_workgroup_size: 512
    .name:           _ZN2at6native12_GLOBAL__N_125multi_tensor_apply_kernelINS1_18TensorListMetadataILi2EEENS1_14UnaryOpFunctorIN3c107complexIdEELi2ELi1ELi1EEEJNS0_3AbsIS8_EEEEEvT_T0_DpT1_
    .private_segment_fixed_size: 0
    .sgpr_count:     32
    .sgpr_spill_count: 0
    .symbol:         _ZN2at6native12_GLOBAL__N_125multi_tensor_apply_kernelINS1_18TensorListMetadataILi2EEENS1_14UnaryOpFunctorIN3c107complexIdEELi2ELi1ELi1EEEJNS0_3AbsIS8_EEEEEvT_T0_DpT1_.kd
    .uniform_work_group_size: 1
    .uses_dynamic_stack: false
    .vgpr_count:     59
    .vgpr_spill_count: 0
    .wavefront_size: 32
  - .args:
      - .offset:         0
        .size:           3144
        .value_kind:     by_value
      - .offset:         3144
        .size:           1
        .value_kind:     by_value
      - .offset:         3145
        .size:           1
        .value_kind:     by_value
      - .offset:         3152
        .size:           4
        .value_kind:     hidden_block_count_x
      - .offset:         3156
        .size:           4
        .value_kind:     hidden_block_count_y
      - .offset:         3160
        .size:           4
        .value_kind:     hidden_block_count_z
      - .offset:         3164
        .size:           2
        .value_kind:     hidden_group_size_x
      - .offset:         3166
        .size:           2
        .value_kind:     hidden_group_size_y
      - .offset:         3168
        .size:           2
        .value_kind:     hidden_group_size_z
      - .offset:         3170
        .size:           2
        .value_kind:     hidden_remainder_x
      - .offset:         3172
        .size:           2
        .value_kind:     hidden_remainder_y
      - .offset:         3174
        .size:           2
        .value_kind:     hidden_remainder_z
      - .offset:         3192
        .size:           8
        .value_kind:     hidden_global_offset_x
      - .offset:         3200
        .size:           8
        .value_kind:     hidden_global_offset_y
      - .offset:         3208
        .size:           8
        .value_kind:     hidden_global_offset_z
      - .offset:         3216
        .size:           2
        .value_kind:     hidden_grid_dims
    .group_segment_fixed_size: 0
    .kernarg_segment_align: 8
    .kernarg_segment_size: 3408
    .language:       OpenCL C
    .language_version:
      - 2
      - 0
    .max_flat_workgroup_size: 512
    .name:           _ZN2at6native12_GLOBAL__N_125multi_tensor_apply_kernelINS1_18TensorListMetadataILi2EEENS1_14UnaryOpFunctorIN3c107complexIfEELi2ELi1ELi1EEEJNS0_3AbsIS8_EEEEEvT_T0_DpT1_
    .private_segment_fixed_size: 0
    .sgpr_count:     26
    .sgpr_spill_count: 0
    .symbol:         _ZN2at6native12_GLOBAL__N_125multi_tensor_apply_kernelINS1_18TensorListMetadataILi2EEENS1_14UnaryOpFunctorIN3c107complexIfEELi2ELi1ELi1EEEJNS0_3AbsIS8_EEEEEvT_T0_DpT1_.kd
    .uniform_work_group_size: 1
    .uses_dynamic_stack: false
    .vgpr_count:     41
    .vgpr_spill_count: 0
    .wavefront_size: 32
  - .args:
      - .offset:         0
        .size:           3144
        .value_kind:     by_value
      - .offset:         3144
        .size:           1
        .value_kind:     by_value
      - .offset:         3145
        .size:           1
        .value_kind:     by_value
      - .offset:         3152
        .size:           4
        .value_kind:     hidden_block_count_x
      - .offset:         3156
        .size:           4
        .value_kind:     hidden_block_count_y
      - .offset:         3160
        .size:           4
        .value_kind:     hidden_block_count_z
      - .offset:         3164
        .size:           2
        .value_kind:     hidden_group_size_x
      - .offset:         3166
        .size:           2
        .value_kind:     hidden_group_size_y
      - .offset:         3168
        .size:           2
        .value_kind:     hidden_group_size_z
      - .offset:         3170
        .size:           2
        .value_kind:     hidden_remainder_x
      - .offset:         3172
        .size:           2
        .value_kind:     hidden_remainder_y
      - .offset:         3174
        .size:           2
        .value_kind:     hidden_remainder_z
      - .offset:         3192
        .size:           8
        .value_kind:     hidden_global_offset_x
      - .offset:         3200
        .size:           8
        .value_kind:     hidden_global_offset_y
      - .offset:         3208
        .size:           8
        .value_kind:     hidden_global_offset_z
      - .offset:         3216
        .size:           2
        .value_kind:     hidden_grid_dims
    .group_segment_fixed_size: 0
    .kernarg_segment_align: 8
    .kernarg_segment_size: 3408
    .language:       OpenCL C
    .language_version:
      - 2
      - 0
    .max_flat_workgroup_size: 512
    .name:           _ZN2at6native12_GLOBAL__N_125multi_tensor_apply_kernelINS1_18TensorListMetadataILi2EEENS1_14UnaryOpFunctorIN3c104HalfELi2ELi1ELi1EEEJNS0_3AbsIfEEEEEvT_T0_DpT1_
    .private_segment_fixed_size: 0
    .sgpr_count:     22
    .sgpr_spill_count: 0
    .symbol:         _ZN2at6native12_GLOBAL__N_125multi_tensor_apply_kernelINS1_18TensorListMetadataILi2EEENS1_14UnaryOpFunctorIN3c104HalfELi2ELi1ELi1EEEJNS0_3AbsIfEEEEEvT_T0_DpT1_.kd
    .uniform_work_group_size: 1
    .uses_dynamic_stack: false
    .vgpr_count:     34
    .vgpr_spill_count: 0
    .wavefront_size: 32
  - .args:
      - .offset:         0
        .size:           3144
        .value_kind:     by_value
      - .offset:         3144
        .size:           1
        .value_kind:     by_value
      - .offset:         3145
        .size:           1
        .value_kind:     by_value
      - .offset:         3152
        .size:           4
        .value_kind:     hidden_block_count_x
      - .offset:         3156
        .size:           4
        .value_kind:     hidden_block_count_y
      - .offset:         3160
        .size:           4
        .value_kind:     hidden_block_count_z
      - .offset:         3164
        .size:           2
        .value_kind:     hidden_group_size_x
      - .offset:         3166
        .size:           2
        .value_kind:     hidden_group_size_y
      - .offset:         3168
        .size:           2
        .value_kind:     hidden_group_size_z
      - .offset:         3170
        .size:           2
        .value_kind:     hidden_remainder_x
      - .offset:         3172
        .size:           2
        .value_kind:     hidden_remainder_y
      - .offset:         3174
        .size:           2
        .value_kind:     hidden_remainder_z
      - .offset:         3192
        .size:           8
        .value_kind:     hidden_global_offset_x
      - .offset:         3200
        .size:           8
        .value_kind:     hidden_global_offset_y
      - .offset:         3208
        .size:           8
        .value_kind:     hidden_global_offset_z
      - .offset:         3216
        .size:           2
        .value_kind:     hidden_grid_dims
    .group_segment_fixed_size: 0
    .kernarg_segment_align: 8
    .kernarg_segment_size: 3408
    .language:       OpenCL C
    .language_version:
      - 2
      - 0
    .max_flat_workgroup_size: 512
    .name:           _ZN2at6native12_GLOBAL__N_125multi_tensor_apply_kernelINS1_18TensorListMetadataILi2EEENS1_14UnaryOpFunctorIN3c108BFloat16ELi2ELi1ELi1EEEJNS0_3AbsIfEEEEEvT_T0_DpT1_
    .private_segment_fixed_size: 0
    .sgpr_count:     22
    .sgpr_spill_count: 0
    .symbol:         _ZN2at6native12_GLOBAL__N_125multi_tensor_apply_kernelINS1_18TensorListMetadataILi2EEENS1_14UnaryOpFunctorIN3c108BFloat16ELi2ELi1ELi1EEEJNS0_3AbsIfEEEEEvT_T0_DpT1_.kd
    .uniform_work_group_size: 1
    .uses_dynamic_stack: false
    .vgpr_count:     35
    .vgpr_spill_count: 0
    .wavefront_size: 32
  - .args:
      - .offset:         0
        .size:           3144
        .value_kind:     by_value
      - .offset:         3144
        .size:           1
        .value_kind:     by_value
      - .offset:         3145
        .size:           1
        .value_kind:     by_value
      - .offset:         3152
        .size:           4
        .value_kind:     hidden_block_count_x
      - .offset:         3156
        .size:           4
        .value_kind:     hidden_block_count_y
      - .offset:         3160
        .size:           4
        .value_kind:     hidden_block_count_z
      - .offset:         3164
        .size:           2
        .value_kind:     hidden_group_size_x
      - .offset:         3166
        .size:           2
        .value_kind:     hidden_group_size_y
      - .offset:         3168
        .size:           2
        .value_kind:     hidden_group_size_z
      - .offset:         3170
        .size:           2
        .value_kind:     hidden_remainder_x
      - .offset:         3172
        .size:           2
        .value_kind:     hidden_remainder_y
      - .offset:         3174
        .size:           2
        .value_kind:     hidden_remainder_z
      - .offset:         3192
        .size:           8
        .value_kind:     hidden_global_offset_x
      - .offset:         3200
        .size:           8
        .value_kind:     hidden_global_offset_y
      - .offset:         3208
        .size:           8
        .value_kind:     hidden_global_offset_z
      - .offset:         3216
        .size:           2
        .value_kind:     hidden_grid_dims
    .group_segment_fixed_size: 0
    .kernarg_segment_align: 8
    .kernarg_segment_size: 3408
    .language:       OpenCL C
    .language_version:
      - 2
      - 0
    .max_flat_workgroup_size: 512
    .name:           _ZN2at6native12_GLOBAL__N_125multi_tensor_apply_kernelINS1_18TensorListMetadataILi2EEENS1_14UnaryOpFunctorIbLi2ELi1ELi1EEEJNS0_3AbsIbEEEEEvT_T0_DpT1_
    .private_segment_fixed_size: 0
    .sgpr_count:     18
    .sgpr_spill_count: 0
    .symbol:         _ZN2at6native12_GLOBAL__N_125multi_tensor_apply_kernelINS1_18TensorListMetadataILi2EEENS1_14UnaryOpFunctorIbLi2ELi1ELi1EEEJNS0_3AbsIbEEEEEvT_T0_DpT1_.kd
    .uniform_work_group_size: 1
    .uses_dynamic_stack: false
    .vgpr_count:     34
    .vgpr_spill_count: 0
    .wavefront_size: 32
  - .args:
      - .offset:         0
        .size:           3368
        .value_kind:     by_value
      - .offset:         3368
        .size:           1
        .value_kind:     by_value
      - .offset:         3369
        .size:           1
        .value_kind:     by_value
      - .offset:         3376
        .size:           4
        .value_kind:     hidden_block_count_x
      - .offset:         3380
        .size:           4
        .value_kind:     hidden_block_count_y
      - .offset:         3384
        .size:           4
        .value_kind:     hidden_block_count_z
      - .offset:         3388
        .size:           2
        .value_kind:     hidden_group_size_x
      - .offset:         3390
        .size:           2
        .value_kind:     hidden_group_size_y
      - .offset:         3392
        .size:           2
        .value_kind:     hidden_group_size_z
      - .offset:         3394
        .size:           2
        .value_kind:     hidden_remainder_x
      - .offset:         3396
        .size:           2
        .value_kind:     hidden_remainder_y
      - .offset:         3398
        .size:           2
        .value_kind:     hidden_remainder_z
      - .offset:         3416
        .size:           8
        .value_kind:     hidden_global_offset_x
      - .offset:         3424
        .size:           8
        .value_kind:     hidden_global_offset_y
      - .offset:         3432
        .size:           8
        .value_kind:     hidden_global_offset_z
      - .offset:         3440
        .size:           2
        .value_kind:     hidden_grid_dims
    .group_segment_fixed_size: 0
    .kernarg_segment_align: 8
    .kernarg_segment_size: 3632
    .language:       OpenCL C
    .language_version:
      - 2
      - 0
    .max_flat_workgroup_size: 512
    .name:           _ZN2at6native12_GLOBAL__N_125multi_tensor_apply_kernelINS1_18TensorListMetadataILi1EEENS1_14UnaryOpFunctorIhLi1ELi1ELi0EEEJNS0_3AbsIhEEEEEvT_T0_DpT1_
    .private_segment_fixed_size: 0
    .sgpr_count:     16
    .sgpr_spill_count: 0
    .symbol:         _ZN2at6native12_GLOBAL__N_125multi_tensor_apply_kernelINS1_18TensorListMetadataILi1EEENS1_14UnaryOpFunctorIhLi1ELi1ELi0EEEJNS0_3AbsIhEEEEEvT_T0_DpT1_.kd
    .uniform_work_group_size: 1
    .uses_dynamic_stack: false
    .vgpr_count:     31
    .vgpr_spill_count: 0
    .wavefront_size: 32
  - .args:
      - .offset:         0
        .size:           3368
        .value_kind:     by_value
      - .offset:         3368
        .size:           1
        .value_kind:     by_value
      - .offset:         3369
        .size:           1
        .value_kind:     by_value
      - .offset:         3376
        .size:           4
        .value_kind:     hidden_block_count_x
      - .offset:         3380
        .size:           4
        .value_kind:     hidden_block_count_y
      - .offset:         3384
        .size:           4
        .value_kind:     hidden_block_count_z
      - .offset:         3388
        .size:           2
        .value_kind:     hidden_group_size_x
      - .offset:         3390
        .size:           2
        .value_kind:     hidden_group_size_y
      - .offset:         3392
        .size:           2
        .value_kind:     hidden_group_size_z
      - .offset:         3394
        .size:           2
        .value_kind:     hidden_remainder_x
      - .offset:         3396
        .size:           2
        .value_kind:     hidden_remainder_y
      - .offset:         3398
        .size:           2
        .value_kind:     hidden_remainder_z
      - .offset:         3416
        .size:           8
        .value_kind:     hidden_global_offset_x
      - .offset:         3424
        .size:           8
        .value_kind:     hidden_global_offset_y
      - .offset:         3432
        .size:           8
        .value_kind:     hidden_global_offset_z
      - .offset:         3440
        .size:           2
        .value_kind:     hidden_grid_dims
    .group_segment_fixed_size: 0
    .kernarg_segment_align: 8
    .kernarg_segment_size: 3632
    .language:       OpenCL C
    .language_version:
      - 2
      - 0
    .max_flat_workgroup_size: 512
    .name:           _ZN2at6native12_GLOBAL__N_125multi_tensor_apply_kernelINS1_18TensorListMetadataILi1EEENS1_14UnaryOpFunctorIaLi1ELi1ELi0EEEJNS0_3AbsIaEEEEEvT_T0_DpT1_
    .private_segment_fixed_size: 0
    .sgpr_count:     20
    .sgpr_spill_count: 0
    .symbol:         _ZN2at6native12_GLOBAL__N_125multi_tensor_apply_kernelINS1_18TensorListMetadataILi1EEENS1_14UnaryOpFunctorIaLi1ELi1ELi0EEEJNS0_3AbsIaEEEEEvT_T0_DpT1_.kd
    .uniform_work_group_size: 1
    .uses_dynamic_stack: false
    .vgpr_count:     35
    .vgpr_spill_count: 0
    .wavefront_size: 32
  - .args:
      - .offset:         0
        .size:           3368
        .value_kind:     by_value
      - .offset:         3368
        .size:           1
        .value_kind:     by_value
      - .offset:         3369
        .size:           1
        .value_kind:     by_value
      - .offset:         3376
        .size:           4
        .value_kind:     hidden_block_count_x
      - .offset:         3380
        .size:           4
        .value_kind:     hidden_block_count_y
      - .offset:         3384
        .size:           4
        .value_kind:     hidden_block_count_z
      - .offset:         3388
        .size:           2
        .value_kind:     hidden_group_size_x
      - .offset:         3390
        .size:           2
        .value_kind:     hidden_group_size_y
      - .offset:         3392
        .size:           2
        .value_kind:     hidden_group_size_z
      - .offset:         3394
        .size:           2
        .value_kind:     hidden_remainder_x
      - .offset:         3396
        .size:           2
        .value_kind:     hidden_remainder_y
      - .offset:         3398
        .size:           2
        .value_kind:     hidden_remainder_z
      - .offset:         3416
        .size:           8
        .value_kind:     hidden_global_offset_x
      - .offset:         3424
        .size:           8
        .value_kind:     hidden_global_offset_y
      - .offset:         3432
        .size:           8
        .value_kind:     hidden_global_offset_z
      - .offset:         3440
        .size:           2
        .value_kind:     hidden_grid_dims
    .group_segment_fixed_size: 0
    .kernarg_segment_align: 8
    .kernarg_segment_size: 3632
    .language:       OpenCL C
    .language_version:
      - 2
      - 0
    .max_flat_workgroup_size: 512
    .name:           _ZN2at6native12_GLOBAL__N_125multi_tensor_apply_kernelINS1_18TensorListMetadataILi1EEENS1_14UnaryOpFunctorIiLi1ELi1ELi0EEEJNS0_3AbsIiEEEEEvT_T0_DpT1_
    .private_segment_fixed_size: 0
    .sgpr_count:     24
    .sgpr_spill_count: 0
    .symbol:         _ZN2at6native12_GLOBAL__N_125multi_tensor_apply_kernelINS1_18TensorListMetadataILi1EEENS1_14UnaryOpFunctorIiLi1ELi1ELi0EEEJNS0_3AbsIiEEEEEvT_T0_DpT1_.kd
    .uniform_work_group_size: 1
    .uses_dynamic_stack: false
    .vgpr_count:     28
    .vgpr_spill_count: 0
    .wavefront_size: 32
  - .args:
      - .offset:         0
        .size:           3368
        .value_kind:     by_value
      - .offset:         3368
        .size:           1
        .value_kind:     by_value
      - .offset:         3369
        .size:           1
        .value_kind:     by_value
      - .offset:         3376
        .size:           4
        .value_kind:     hidden_block_count_x
      - .offset:         3380
        .size:           4
        .value_kind:     hidden_block_count_y
      - .offset:         3384
        .size:           4
        .value_kind:     hidden_block_count_z
      - .offset:         3388
        .size:           2
        .value_kind:     hidden_group_size_x
      - .offset:         3390
        .size:           2
        .value_kind:     hidden_group_size_y
      - .offset:         3392
        .size:           2
        .value_kind:     hidden_group_size_z
      - .offset:         3394
        .size:           2
        .value_kind:     hidden_remainder_x
      - .offset:         3396
        .size:           2
        .value_kind:     hidden_remainder_y
      - .offset:         3398
        .size:           2
        .value_kind:     hidden_remainder_z
      - .offset:         3416
        .size:           8
        .value_kind:     hidden_global_offset_x
      - .offset:         3424
        .size:           8
        .value_kind:     hidden_global_offset_y
      - .offset:         3432
        .size:           8
        .value_kind:     hidden_global_offset_z
      - .offset:         3440
        .size:           2
        .value_kind:     hidden_grid_dims
    .group_segment_fixed_size: 0
    .kernarg_segment_align: 8
    .kernarg_segment_size: 3632
    .language:       OpenCL C
    .language_version:
      - 2
      - 0
    .max_flat_workgroup_size: 512
    .name:           _ZN2at6native12_GLOBAL__N_125multi_tensor_apply_kernelINS1_18TensorListMetadataILi1EEENS1_14UnaryOpFunctorIlLi1ELi1ELi0EEEJNS0_3AbsIlEEEEEvT_T0_DpT1_
    .private_segment_fixed_size: 0
    .sgpr_count:     24
    .sgpr_spill_count: 0
    .symbol:         _ZN2at6native12_GLOBAL__N_125multi_tensor_apply_kernelINS1_18TensorListMetadataILi1EEENS1_14UnaryOpFunctorIlLi1ELi1ELi0EEEJNS0_3AbsIlEEEEEvT_T0_DpT1_.kd
    .uniform_work_group_size: 1
    .uses_dynamic_stack: false
    .vgpr_count:     30
    .vgpr_spill_count: 0
    .wavefront_size: 32
  - .args:
      - .offset:         0
        .size:           3368
        .value_kind:     by_value
      - .offset:         3368
        .size:           1
        .value_kind:     by_value
      - .offset:         3369
        .size:           1
        .value_kind:     by_value
      - .offset:         3376
        .size:           4
        .value_kind:     hidden_block_count_x
      - .offset:         3380
        .size:           4
        .value_kind:     hidden_block_count_y
      - .offset:         3384
        .size:           4
        .value_kind:     hidden_block_count_z
      - .offset:         3388
        .size:           2
        .value_kind:     hidden_group_size_x
      - .offset:         3390
        .size:           2
        .value_kind:     hidden_group_size_y
      - .offset:         3392
        .size:           2
        .value_kind:     hidden_group_size_z
      - .offset:         3394
        .size:           2
        .value_kind:     hidden_remainder_x
      - .offset:         3396
        .size:           2
        .value_kind:     hidden_remainder_y
      - .offset:         3398
        .size:           2
        .value_kind:     hidden_remainder_z
      - .offset:         3416
        .size:           8
        .value_kind:     hidden_global_offset_x
      - .offset:         3424
        .size:           8
        .value_kind:     hidden_global_offset_y
      - .offset:         3432
        .size:           8
        .value_kind:     hidden_global_offset_z
      - .offset:         3440
        .size:           2
        .value_kind:     hidden_grid_dims
    .group_segment_fixed_size: 0
    .kernarg_segment_align: 8
    .kernarg_segment_size: 3632
    .language:       OpenCL C
    .language_version:
      - 2
      - 0
    .max_flat_workgroup_size: 512
    .name:           _ZN2at6native12_GLOBAL__N_125multi_tensor_apply_kernelINS1_18TensorListMetadataILi1EEENS1_14UnaryOpFunctorIsLi1ELi1ELi0EEEJNS0_3AbsIsEEEEEvT_T0_DpT1_
    .private_segment_fixed_size: 0
    .sgpr_count:     22
    .sgpr_spill_count: 0
    .symbol:         _ZN2at6native12_GLOBAL__N_125multi_tensor_apply_kernelINS1_18TensorListMetadataILi1EEENS1_14UnaryOpFunctorIsLi1ELi1ELi0EEEJNS0_3AbsIsEEEEEvT_T0_DpT1_.kd
    .uniform_work_group_size: 1
    .uses_dynamic_stack: false
    .vgpr_count:     24
    .vgpr_spill_count: 0
    .wavefront_size: 32
  - .args:
      - .offset:         0
        .size:           3368
        .value_kind:     by_value
      - .offset:         3368
        .size:           1
        .value_kind:     by_value
      - .offset:         3369
        .size:           1
        .value_kind:     by_value
      - .offset:         3376
        .size:           4
        .value_kind:     hidden_block_count_x
      - .offset:         3380
        .size:           4
        .value_kind:     hidden_block_count_y
      - .offset:         3384
        .size:           4
        .value_kind:     hidden_block_count_z
      - .offset:         3388
        .size:           2
        .value_kind:     hidden_group_size_x
      - .offset:         3390
        .size:           2
        .value_kind:     hidden_group_size_y
      - .offset:         3392
        .size:           2
        .value_kind:     hidden_group_size_z
      - .offset:         3394
        .size:           2
        .value_kind:     hidden_remainder_x
      - .offset:         3396
        .size:           2
        .value_kind:     hidden_remainder_y
      - .offset:         3398
        .size:           2
        .value_kind:     hidden_remainder_z
      - .offset:         3416
        .size:           8
        .value_kind:     hidden_global_offset_x
      - .offset:         3424
        .size:           8
        .value_kind:     hidden_global_offset_y
      - .offset:         3432
        .size:           8
        .value_kind:     hidden_global_offset_z
      - .offset:         3440
        .size:           2
        .value_kind:     hidden_grid_dims
    .group_segment_fixed_size: 0
    .kernarg_segment_align: 8
    .kernarg_segment_size: 3632
    .language:       OpenCL C
    .language_version:
      - 2
      - 0
    .max_flat_workgroup_size: 512
    .name:           _ZN2at6native12_GLOBAL__N_125multi_tensor_apply_kernelINS1_18TensorListMetadataILi1EEENS1_14UnaryOpFunctorIdLi1ELi1ELi0EEEJNS0_3AbsIdEEEEEvT_T0_DpT1_
    .private_segment_fixed_size: 0
    .sgpr_count:     24
    .sgpr_spill_count: 0
    .symbol:         _ZN2at6native12_GLOBAL__N_125multi_tensor_apply_kernelINS1_18TensorListMetadataILi1EEENS1_14UnaryOpFunctorIdLi1ELi1ELi0EEEJNS0_3AbsIdEEEEEvT_T0_DpT1_.kd
    .uniform_work_group_size: 1
    .uses_dynamic_stack: false
    .vgpr_count:     28
    .vgpr_spill_count: 0
    .wavefront_size: 32
  - .args:
      - .offset:         0
        .size:           3368
        .value_kind:     by_value
      - .offset:         3368
        .size:           1
        .value_kind:     by_value
      - .offset:         3369
        .size:           1
        .value_kind:     by_value
      - .offset:         3376
        .size:           4
        .value_kind:     hidden_block_count_x
      - .offset:         3380
        .size:           4
        .value_kind:     hidden_block_count_y
      - .offset:         3384
        .size:           4
        .value_kind:     hidden_block_count_z
      - .offset:         3388
        .size:           2
        .value_kind:     hidden_group_size_x
      - .offset:         3390
        .size:           2
        .value_kind:     hidden_group_size_y
      - .offset:         3392
        .size:           2
        .value_kind:     hidden_group_size_z
      - .offset:         3394
        .size:           2
        .value_kind:     hidden_remainder_x
      - .offset:         3396
        .size:           2
        .value_kind:     hidden_remainder_y
      - .offset:         3398
        .size:           2
        .value_kind:     hidden_remainder_z
      - .offset:         3416
        .size:           8
        .value_kind:     hidden_global_offset_x
      - .offset:         3424
        .size:           8
        .value_kind:     hidden_global_offset_y
      - .offset:         3432
        .size:           8
        .value_kind:     hidden_global_offset_z
      - .offset:         3440
        .size:           2
        .value_kind:     hidden_grid_dims
    .group_segment_fixed_size: 0
    .kernarg_segment_align: 8
    .kernarg_segment_size: 3632
    .language:       OpenCL C
    .language_version:
      - 2
      - 0
    .max_flat_workgroup_size: 512
    .name:           _ZN2at6native12_GLOBAL__N_125multi_tensor_apply_kernelINS1_18TensorListMetadataILi1EEENS1_14UnaryOpFunctorIfLi1ELi1ELi0EEEJNS0_3AbsIfEEEEEvT_T0_DpT1_
    .private_segment_fixed_size: 0
    .sgpr_count:     24
    .sgpr_spill_count: 0
    .symbol:         _ZN2at6native12_GLOBAL__N_125multi_tensor_apply_kernelINS1_18TensorListMetadataILi1EEENS1_14UnaryOpFunctorIfLi1ELi1ELi0EEEJNS0_3AbsIfEEEEEvT_T0_DpT1_.kd
    .uniform_work_group_size: 1
    .uses_dynamic_stack: false
    .vgpr_count:     24
    .vgpr_spill_count: 0
    .wavefront_size: 32
  - .args:
      - .offset:         0
        .size:           3368
        .value_kind:     by_value
      - .offset:         3368
        .size:           1
        .value_kind:     by_value
      - .offset:         3369
        .size:           1
        .value_kind:     by_value
      - .offset:         3376
        .size:           4
        .value_kind:     hidden_block_count_x
      - .offset:         3380
        .size:           4
        .value_kind:     hidden_block_count_y
      - .offset:         3384
        .size:           4
        .value_kind:     hidden_block_count_z
      - .offset:         3388
        .size:           2
        .value_kind:     hidden_group_size_x
      - .offset:         3390
        .size:           2
        .value_kind:     hidden_group_size_y
      - .offset:         3392
        .size:           2
        .value_kind:     hidden_group_size_z
      - .offset:         3394
        .size:           2
        .value_kind:     hidden_remainder_x
      - .offset:         3396
        .size:           2
        .value_kind:     hidden_remainder_y
      - .offset:         3398
        .size:           2
        .value_kind:     hidden_remainder_z
      - .offset:         3416
        .size:           8
        .value_kind:     hidden_global_offset_x
      - .offset:         3424
        .size:           8
        .value_kind:     hidden_global_offset_y
      - .offset:         3432
        .size:           8
        .value_kind:     hidden_global_offset_z
      - .offset:         3440
        .size:           2
        .value_kind:     hidden_grid_dims
    .group_segment_fixed_size: 0
    .kernarg_segment_align: 8
    .kernarg_segment_size: 3632
    .language:       OpenCL C
    .language_version:
      - 2
      - 0
    .max_flat_workgroup_size: 512
    .name:           _ZN2at6native12_GLOBAL__N_125multi_tensor_apply_kernelINS1_18TensorListMetadataILi1EEENS1_14UnaryOpFunctorIN3c107complexIdEELi1ELi1ELi0EEEJNS0_3AbsIS8_EEEEEvT_T0_DpT1_
    .private_segment_fixed_size: 0
    .sgpr_count:     24
    .sgpr_spill_count: 0
    .symbol:         _ZN2at6native12_GLOBAL__N_125multi_tensor_apply_kernelINS1_18TensorListMetadataILi1EEENS1_14UnaryOpFunctorIN3c107complexIdEELi1ELi1ELi0EEEJNS0_3AbsIS8_EEEEEvT_T0_DpT1_.kd
    .uniform_work_group_size: 1
    .uses_dynamic_stack: false
    .vgpr_count:     57
    .vgpr_spill_count: 0
    .wavefront_size: 32
  - .args:
      - .offset:         0
        .size:           3368
        .value_kind:     by_value
      - .offset:         3368
        .size:           1
        .value_kind:     by_value
      - .offset:         3369
        .size:           1
        .value_kind:     by_value
      - .offset:         3376
        .size:           4
        .value_kind:     hidden_block_count_x
      - .offset:         3380
        .size:           4
        .value_kind:     hidden_block_count_y
      - .offset:         3384
        .size:           4
        .value_kind:     hidden_block_count_z
      - .offset:         3388
        .size:           2
        .value_kind:     hidden_group_size_x
      - .offset:         3390
        .size:           2
        .value_kind:     hidden_group_size_y
      - .offset:         3392
        .size:           2
        .value_kind:     hidden_group_size_z
      - .offset:         3394
        .size:           2
        .value_kind:     hidden_remainder_x
      - .offset:         3396
        .size:           2
        .value_kind:     hidden_remainder_y
      - .offset:         3398
        .size:           2
        .value_kind:     hidden_remainder_z
      - .offset:         3416
        .size:           8
        .value_kind:     hidden_global_offset_x
      - .offset:         3424
        .size:           8
        .value_kind:     hidden_global_offset_y
      - .offset:         3432
        .size:           8
        .value_kind:     hidden_global_offset_z
      - .offset:         3440
        .size:           2
        .value_kind:     hidden_grid_dims
    .group_segment_fixed_size: 0
    .kernarg_segment_align: 8
    .kernarg_segment_size: 3632
    .language:       OpenCL C
    .language_version:
      - 2
      - 0
    .max_flat_workgroup_size: 512
    .name:           _ZN2at6native12_GLOBAL__N_125multi_tensor_apply_kernelINS1_18TensorListMetadataILi1EEENS1_14UnaryOpFunctorIN3c107complexIfEELi1ELi1ELi0EEEJNS0_3AbsIS8_EEEEEvT_T0_DpT1_
    .private_segment_fixed_size: 0
    .sgpr_count:     22
    .sgpr_spill_count: 0
    .symbol:         _ZN2at6native12_GLOBAL__N_125multi_tensor_apply_kernelINS1_18TensorListMetadataILi1EEENS1_14UnaryOpFunctorIN3c107complexIfEELi1ELi1ELi0EEEJNS0_3AbsIS8_EEEEEvT_T0_DpT1_.kd
    .uniform_work_group_size: 1
    .uses_dynamic_stack: false
    .vgpr_count:     40
    .vgpr_spill_count: 0
    .wavefront_size: 32
  - .args:
      - .offset:         0
        .size:           3368
        .value_kind:     by_value
      - .offset:         3368
        .size:           1
        .value_kind:     by_value
      - .offset:         3369
        .size:           1
        .value_kind:     by_value
      - .offset:         3376
        .size:           4
        .value_kind:     hidden_block_count_x
      - .offset:         3380
        .size:           4
        .value_kind:     hidden_block_count_y
      - .offset:         3384
        .size:           4
        .value_kind:     hidden_block_count_z
      - .offset:         3388
        .size:           2
        .value_kind:     hidden_group_size_x
      - .offset:         3390
        .size:           2
        .value_kind:     hidden_group_size_y
      - .offset:         3392
        .size:           2
        .value_kind:     hidden_group_size_z
      - .offset:         3394
        .size:           2
        .value_kind:     hidden_remainder_x
      - .offset:         3396
        .size:           2
        .value_kind:     hidden_remainder_y
      - .offset:         3398
        .size:           2
        .value_kind:     hidden_remainder_z
      - .offset:         3416
        .size:           8
        .value_kind:     hidden_global_offset_x
      - .offset:         3424
        .size:           8
        .value_kind:     hidden_global_offset_y
      - .offset:         3432
        .size:           8
        .value_kind:     hidden_global_offset_z
      - .offset:         3440
        .size:           2
        .value_kind:     hidden_grid_dims
    .group_segment_fixed_size: 0
    .kernarg_segment_align: 8
    .kernarg_segment_size: 3632
    .language:       OpenCL C
    .language_version:
      - 2
      - 0
    .max_flat_workgroup_size: 512
    .name:           _ZN2at6native12_GLOBAL__N_125multi_tensor_apply_kernelINS1_18TensorListMetadataILi1EEENS1_14UnaryOpFunctorIN3c104HalfELi1ELi1ELi0EEEJNS0_3AbsIfEEEEEvT_T0_DpT1_
    .private_segment_fixed_size: 0
    .sgpr_count:     22
    .sgpr_spill_count: 0
    .symbol:         _ZN2at6native12_GLOBAL__N_125multi_tensor_apply_kernelINS1_18TensorListMetadataILi1EEENS1_14UnaryOpFunctorIN3c104HalfELi1ELi1ELi0EEEJNS0_3AbsIfEEEEEvT_T0_DpT1_.kd
    .uniform_work_group_size: 1
    .uses_dynamic_stack: false
    .vgpr_count:     28
    .vgpr_spill_count: 0
    .wavefront_size: 32
  - .args:
      - .offset:         0
        .size:           3368
        .value_kind:     by_value
      - .offset:         3368
        .size:           1
        .value_kind:     by_value
      - .offset:         3369
        .size:           1
        .value_kind:     by_value
      - .offset:         3376
        .size:           4
        .value_kind:     hidden_block_count_x
      - .offset:         3380
        .size:           4
        .value_kind:     hidden_block_count_y
      - .offset:         3384
        .size:           4
        .value_kind:     hidden_block_count_z
      - .offset:         3388
        .size:           2
        .value_kind:     hidden_group_size_x
      - .offset:         3390
        .size:           2
        .value_kind:     hidden_group_size_y
      - .offset:         3392
        .size:           2
        .value_kind:     hidden_group_size_z
      - .offset:         3394
        .size:           2
        .value_kind:     hidden_remainder_x
      - .offset:         3396
        .size:           2
        .value_kind:     hidden_remainder_y
      - .offset:         3398
        .size:           2
        .value_kind:     hidden_remainder_z
      - .offset:         3416
        .size:           8
        .value_kind:     hidden_global_offset_x
      - .offset:         3424
        .size:           8
        .value_kind:     hidden_global_offset_y
      - .offset:         3432
        .size:           8
        .value_kind:     hidden_global_offset_z
      - .offset:         3440
        .size:           2
        .value_kind:     hidden_grid_dims
    .group_segment_fixed_size: 0
    .kernarg_segment_align: 8
    .kernarg_segment_size: 3632
    .language:       OpenCL C
    .language_version:
      - 2
      - 0
    .max_flat_workgroup_size: 512
    .name:           _ZN2at6native12_GLOBAL__N_125multi_tensor_apply_kernelINS1_18TensorListMetadataILi1EEENS1_14UnaryOpFunctorIN3c108BFloat16ELi1ELi1ELi0EEEJNS0_3AbsIfEEEEEvT_T0_DpT1_
    .private_segment_fixed_size: 0
    .sgpr_count:     22
    .sgpr_spill_count: 0
    .symbol:         _ZN2at6native12_GLOBAL__N_125multi_tensor_apply_kernelINS1_18TensorListMetadataILi1EEENS1_14UnaryOpFunctorIN3c108BFloat16ELi1ELi1ELi0EEEJNS0_3AbsIfEEEEEvT_T0_DpT1_.kd
    .uniform_work_group_size: 1
    .uses_dynamic_stack: false
    .vgpr_count:     26
    .vgpr_spill_count: 0
    .wavefront_size: 32
  - .args:
      - .offset:         0
        .size:           3368
        .value_kind:     by_value
      - .offset:         3368
        .size:           1
        .value_kind:     by_value
      - .offset:         3369
        .size:           1
        .value_kind:     by_value
      - .offset:         3376
        .size:           4
        .value_kind:     hidden_block_count_x
      - .offset:         3380
        .size:           4
        .value_kind:     hidden_block_count_y
      - .offset:         3384
        .size:           4
        .value_kind:     hidden_block_count_z
      - .offset:         3388
        .size:           2
        .value_kind:     hidden_group_size_x
      - .offset:         3390
        .size:           2
        .value_kind:     hidden_group_size_y
      - .offset:         3392
        .size:           2
        .value_kind:     hidden_group_size_z
      - .offset:         3394
        .size:           2
        .value_kind:     hidden_remainder_x
      - .offset:         3396
        .size:           2
        .value_kind:     hidden_remainder_y
      - .offset:         3398
        .size:           2
        .value_kind:     hidden_remainder_z
      - .offset:         3416
        .size:           8
        .value_kind:     hidden_global_offset_x
      - .offset:         3424
        .size:           8
        .value_kind:     hidden_global_offset_y
      - .offset:         3432
        .size:           8
        .value_kind:     hidden_global_offset_z
      - .offset:         3440
        .size:           2
        .value_kind:     hidden_grid_dims
    .group_segment_fixed_size: 0
    .kernarg_segment_align: 8
    .kernarg_segment_size: 3632
    .language:       OpenCL C
    .language_version:
      - 2
      - 0
    .max_flat_workgroup_size: 512
    .name:           _ZN2at6native12_GLOBAL__N_125multi_tensor_apply_kernelINS1_18TensorListMetadataILi1EEENS1_14UnaryOpFunctorIbLi1ELi1ELi0EEEJNS0_3AbsIbEEEEEvT_T0_DpT1_
    .private_segment_fixed_size: 0
    .sgpr_count:     20
    .sgpr_spill_count: 0
    .symbol:         _ZN2at6native12_GLOBAL__N_125multi_tensor_apply_kernelINS1_18TensorListMetadataILi1EEENS1_14UnaryOpFunctorIbLi1ELi1ELi0EEEJNS0_3AbsIbEEEEEvT_T0_DpT1_.kd
    .uniform_work_group_size: 1
    .uses_dynamic_stack: false
    .vgpr_count:     32
    .vgpr_spill_count: 0
    .wavefront_size: 32
  - .args:
      - .offset:         0
        .size:           3368
        .value_kind:     by_value
      - .offset:         3368
        .size:           1
        .value_kind:     by_value
      - .offset:         3376
        .size:           4
        .value_kind:     hidden_block_count_x
      - .offset:         3380
        .size:           4
        .value_kind:     hidden_block_count_y
      - .offset:         3384
        .size:           4
        .value_kind:     hidden_block_count_z
      - .offset:         3388
        .size:           2
        .value_kind:     hidden_group_size_x
      - .offset:         3390
        .size:           2
        .value_kind:     hidden_group_size_y
      - .offset:         3392
        .size:           2
        .value_kind:     hidden_group_size_z
      - .offset:         3394
        .size:           2
        .value_kind:     hidden_remainder_x
      - .offset:         3396
        .size:           2
        .value_kind:     hidden_remainder_y
      - .offset:         3398
        .size:           2
        .value_kind:     hidden_remainder_z
      - .offset:         3416
        .size:           8
        .value_kind:     hidden_global_offset_x
      - .offset:         3424
        .size:           8
        .value_kind:     hidden_global_offset_y
      - .offset:         3432
        .size:           8
        .value_kind:     hidden_global_offset_z
      - .offset:         3440
        .size:           2
        .value_kind:     hidden_grid_dims
    .group_segment_fixed_size: 0
    .kernarg_segment_align: 8
    .kernarg_segment_size: 3632
    .language:       OpenCL C
    .language_version:
      - 2
      - 0
    .max_flat_workgroup_size: 512
    .name:           _ZN2at6native12_GLOBAL__N_125multi_tensor_apply_kernelINS1_18TensorListMetadataILi1EEENS1_11ZeroFunctorIhLi1ELi1ELi0EEEJEEEvT_T0_DpT1_
    .private_segment_fixed_size: 0
    .sgpr_count:     20
    .sgpr_spill_count: 0
    .symbol:         _ZN2at6native12_GLOBAL__N_125multi_tensor_apply_kernelINS1_18TensorListMetadataILi1EEENS1_11ZeroFunctorIhLi1ELi1ELi0EEEJEEEvT_T0_DpT1_.kd
    .uniform_work_group_size: 1
    .uses_dynamic_stack: false
    .vgpr_count:     22
    .vgpr_spill_count: 0
    .wavefront_size: 32
  - .args:
      - .offset:         0
        .size:           3368
        .value_kind:     by_value
      - .offset:         3368
        .size:           1
        .value_kind:     by_value
      - .offset:         3376
        .size:           4
        .value_kind:     hidden_block_count_x
      - .offset:         3380
        .size:           4
        .value_kind:     hidden_block_count_y
      - .offset:         3384
        .size:           4
        .value_kind:     hidden_block_count_z
      - .offset:         3388
        .size:           2
        .value_kind:     hidden_group_size_x
      - .offset:         3390
        .size:           2
        .value_kind:     hidden_group_size_y
      - .offset:         3392
        .size:           2
        .value_kind:     hidden_group_size_z
      - .offset:         3394
        .size:           2
        .value_kind:     hidden_remainder_x
      - .offset:         3396
        .size:           2
        .value_kind:     hidden_remainder_y
      - .offset:         3398
        .size:           2
        .value_kind:     hidden_remainder_z
      - .offset:         3416
        .size:           8
        .value_kind:     hidden_global_offset_x
      - .offset:         3424
        .size:           8
        .value_kind:     hidden_global_offset_y
      - .offset:         3432
        .size:           8
        .value_kind:     hidden_global_offset_z
      - .offset:         3440
        .size:           2
        .value_kind:     hidden_grid_dims
    .group_segment_fixed_size: 0
    .kernarg_segment_align: 8
    .kernarg_segment_size: 3632
    .language:       OpenCL C
    .language_version:
      - 2
      - 0
    .max_flat_workgroup_size: 512
    .name:           _ZN2at6native12_GLOBAL__N_125multi_tensor_apply_kernelINS1_18TensorListMetadataILi1EEENS1_11ZeroFunctorIaLi1ELi1ELi0EEEJEEEvT_T0_DpT1_
    .private_segment_fixed_size: 0
    .sgpr_count:     20
    .sgpr_spill_count: 0
    .symbol:         _ZN2at6native12_GLOBAL__N_125multi_tensor_apply_kernelINS1_18TensorListMetadataILi1EEENS1_11ZeroFunctorIaLi1ELi1ELi0EEEJEEEvT_T0_DpT1_.kd
    .uniform_work_group_size: 1
    .uses_dynamic_stack: false
    .vgpr_count:     22
    .vgpr_spill_count: 0
    .wavefront_size: 32
  - .args:
      - .offset:         0
        .size:           3368
        .value_kind:     by_value
      - .offset:         3368
        .size:           1
        .value_kind:     by_value
      - .offset:         3376
        .size:           4
        .value_kind:     hidden_block_count_x
      - .offset:         3380
        .size:           4
        .value_kind:     hidden_block_count_y
      - .offset:         3384
        .size:           4
        .value_kind:     hidden_block_count_z
      - .offset:         3388
        .size:           2
        .value_kind:     hidden_group_size_x
      - .offset:         3390
        .size:           2
        .value_kind:     hidden_group_size_y
      - .offset:         3392
        .size:           2
        .value_kind:     hidden_group_size_z
      - .offset:         3394
        .size:           2
        .value_kind:     hidden_remainder_x
      - .offset:         3396
        .size:           2
        .value_kind:     hidden_remainder_y
      - .offset:         3398
        .size:           2
        .value_kind:     hidden_remainder_z
      - .offset:         3416
        .size:           8
        .value_kind:     hidden_global_offset_x
      - .offset:         3424
        .size:           8
        .value_kind:     hidden_global_offset_y
      - .offset:         3432
        .size:           8
        .value_kind:     hidden_global_offset_z
      - .offset:         3440
        .size:           2
        .value_kind:     hidden_grid_dims
    .group_segment_fixed_size: 0
    .kernarg_segment_align: 8
    .kernarg_segment_size: 3632
    .language:       OpenCL C
    .language_version:
      - 2
      - 0
    .max_flat_workgroup_size: 512
    .name:           _ZN2at6native12_GLOBAL__N_125multi_tensor_apply_kernelINS1_18TensorListMetadataILi1EEENS1_11ZeroFunctorIiLi1ELi1ELi0EEEJEEEvT_T0_DpT1_
    .private_segment_fixed_size: 0
    .sgpr_count:     22
    .sgpr_spill_count: 0
    .symbol:         _ZN2at6native12_GLOBAL__N_125multi_tensor_apply_kernelINS1_18TensorListMetadataILi1EEENS1_11ZeroFunctorIiLi1ELi1ELi0EEEJEEEvT_T0_DpT1_.kd
    .uniform_work_group_size: 1
    .uses_dynamic_stack: false
    .vgpr_count:     18
    .vgpr_spill_count: 0
    .wavefront_size: 32
  - .args:
      - .offset:         0
        .size:           3368
        .value_kind:     by_value
      - .offset:         3368
        .size:           1
        .value_kind:     by_value
      - .offset:         3376
        .size:           4
        .value_kind:     hidden_block_count_x
      - .offset:         3380
        .size:           4
        .value_kind:     hidden_block_count_y
      - .offset:         3384
        .size:           4
        .value_kind:     hidden_block_count_z
      - .offset:         3388
        .size:           2
        .value_kind:     hidden_group_size_x
      - .offset:         3390
        .size:           2
        .value_kind:     hidden_group_size_y
      - .offset:         3392
        .size:           2
        .value_kind:     hidden_group_size_z
      - .offset:         3394
        .size:           2
        .value_kind:     hidden_remainder_x
      - .offset:         3396
        .size:           2
        .value_kind:     hidden_remainder_y
      - .offset:         3398
        .size:           2
        .value_kind:     hidden_remainder_z
      - .offset:         3416
        .size:           8
        .value_kind:     hidden_global_offset_x
      - .offset:         3424
        .size:           8
        .value_kind:     hidden_global_offset_y
      - .offset:         3432
        .size:           8
        .value_kind:     hidden_global_offset_z
      - .offset:         3440
        .size:           2
        .value_kind:     hidden_grid_dims
    .group_segment_fixed_size: 0
    .kernarg_segment_align: 8
    .kernarg_segment_size: 3632
    .language:       OpenCL C
    .language_version:
      - 2
      - 0
    .max_flat_workgroup_size: 512
    .name:           _ZN2at6native12_GLOBAL__N_125multi_tensor_apply_kernelINS1_18TensorListMetadataILi1EEENS1_11ZeroFunctorIlLi1ELi1ELi0EEEJEEEvT_T0_DpT1_
    .private_segment_fixed_size: 0
    .sgpr_count:     22
    .sgpr_spill_count: 0
    .symbol:         _ZN2at6native12_GLOBAL__N_125multi_tensor_apply_kernelINS1_18TensorListMetadataILi1EEENS1_11ZeroFunctorIlLi1ELi1ELi0EEEJEEEvT_T0_DpT1_.kd
    .uniform_work_group_size: 1
    .uses_dynamic_stack: false
    .vgpr_count:     20
    .vgpr_spill_count: 0
    .wavefront_size: 32
  - .args:
      - .offset:         0
        .size:           3368
        .value_kind:     by_value
      - .offset:         3368
        .size:           1
        .value_kind:     by_value
      - .offset:         3376
        .size:           4
        .value_kind:     hidden_block_count_x
      - .offset:         3380
        .size:           4
        .value_kind:     hidden_block_count_y
      - .offset:         3384
        .size:           4
        .value_kind:     hidden_block_count_z
      - .offset:         3388
        .size:           2
        .value_kind:     hidden_group_size_x
      - .offset:         3390
        .size:           2
        .value_kind:     hidden_group_size_y
      - .offset:         3392
        .size:           2
        .value_kind:     hidden_group_size_z
      - .offset:         3394
        .size:           2
        .value_kind:     hidden_remainder_x
      - .offset:         3396
        .size:           2
        .value_kind:     hidden_remainder_y
      - .offset:         3398
        .size:           2
        .value_kind:     hidden_remainder_z
      - .offset:         3416
        .size:           8
        .value_kind:     hidden_global_offset_x
      - .offset:         3424
        .size:           8
        .value_kind:     hidden_global_offset_y
      - .offset:         3432
        .size:           8
        .value_kind:     hidden_global_offset_z
      - .offset:         3440
        .size:           2
        .value_kind:     hidden_grid_dims
    .group_segment_fixed_size: 0
    .kernarg_segment_align: 8
    .kernarg_segment_size: 3632
    .language:       OpenCL C
    .language_version:
      - 2
      - 0
    .max_flat_workgroup_size: 512
    .name:           _ZN2at6native12_GLOBAL__N_125multi_tensor_apply_kernelINS1_18TensorListMetadataILi1EEENS1_11ZeroFunctorIsLi1ELi1ELi0EEEJEEEvT_T0_DpT1_
    .private_segment_fixed_size: 0
    .sgpr_count:     20
    .sgpr_spill_count: 0
    .symbol:         _ZN2at6native12_GLOBAL__N_125multi_tensor_apply_kernelINS1_18TensorListMetadataILi1EEENS1_11ZeroFunctorIsLi1ELi1ELi0EEEJEEEvT_T0_DpT1_.kd
    .uniform_work_group_size: 1
    .uses_dynamic_stack: false
    .vgpr_count:     18
    .vgpr_spill_count: 0
    .wavefront_size: 32
  - .args:
      - .offset:         0
        .size:           3368
        .value_kind:     by_value
      - .offset:         3368
        .size:           1
        .value_kind:     by_value
      - .offset:         3376
        .size:           4
        .value_kind:     hidden_block_count_x
      - .offset:         3380
        .size:           4
        .value_kind:     hidden_block_count_y
      - .offset:         3384
        .size:           4
        .value_kind:     hidden_block_count_z
      - .offset:         3388
        .size:           2
        .value_kind:     hidden_group_size_x
      - .offset:         3390
        .size:           2
        .value_kind:     hidden_group_size_y
      - .offset:         3392
        .size:           2
        .value_kind:     hidden_group_size_z
      - .offset:         3394
        .size:           2
        .value_kind:     hidden_remainder_x
      - .offset:         3396
        .size:           2
        .value_kind:     hidden_remainder_y
      - .offset:         3398
        .size:           2
        .value_kind:     hidden_remainder_z
      - .offset:         3416
        .size:           8
        .value_kind:     hidden_global_offset_x
      - .offset:         3424
        .size:           8
        .value_kind:     hidden_global_offset_y
      - .offset:         3432
        .size:           8
        .value_kind:     hidden_global_offset_z
      - .offset:         3440
        .size:           2
        .value_kind:     hidden_grid_dims
    .group_segment_fixed_size: 0
    .kernarg_segment_align: 8
    .kernarg_segment_size: 3632
    .language:       OpenCL C
    .language_version:
      - 2
      - 0
    .max_flat_workgroup_size: 512
    .name:           _ZN2at6native12_GLOBAL__N_125multi_tensor_apply_kernelINS1_18TensorListMetadataILi1EEENS1_11ZeroFunctorIdLi1ELi1ELi0EEEJEEEvT_T0_DpT1_
    .private_segment_fixed_size: 0
    .sgpr_count:     22
    .sgpr_spill_count: 0
    .symbol:         _ZN2at6native12_GLOBAL__N_125multi_tensor_apply_kernelINS1_18TensorListMetadataILi1EEENS1_11ZeroFunctorIdLi1ELi1ELi0EEEJEEEvT_T0_DpT1_.kd
    .uniform_work_group_size: 1
    .uses_dynamic_stack: false
    .vgpr_count:     20
    .vgpr_spill_count: 0
    .wavefront_size: 32
  - .args:
      - .offset:         0
        .size:           3368
        .value_kind:     by_value
      - .offset:         3368
        .size:           1
        .value_kind:     by_value
      - .offset:         3376
        .size:           4
        .value_kind:     hidden_block_count_x
      - .offset:         3380
        .size:           4
        .value_kind:     hidden_block_count_y
      - .offset:         3384
        .size:           4
        .value_kind:     hidden_block_count_z
      - .offset:         3388
        .size:           2
        .value_kind:     hidden_group_size_x
      - .offset:         3390
        .size:           2
        .value_kind:     hidden_group_size_y
      - .offset:         3392
        .size:           2
        .value_kind:     hidden_group_size_z
      - .offset:         3394
        .size:           2
        .value_kind:     hidden_remainder_x
      - .offset:         3396
        .size:           2
        .value_kind:     hidden_remainder_y
      - .offset:         3398
        .size:           2
        .value_kind:     hidden_remainder_z
      - .offset:         3416
        .size:           8
        .value_kind:     hidden_global_offset_x
      - .offset:         3424
        .size:           8
        .value_kind:     hidden_global_offset_y
      - .offset:         3432
        .size:           8
        .value_kind:     hidden_global_offset_z
      - .offset:         3440
        .size:           2
        .value_kind:     hidden_grid_dims
    .group_segment_fixed_size: 0
    .kernarg_segment_align: 8
    .kernarg_segment_size: 3632
    .language:       OpenCL C
    .language_version:
      - 2
      - 0
    .max_flat_workgroup_size: 512
    .name:           _ZN2at6native12_GLOBAL__N_125multi_tensor_apply_kernelINS1_18TensorListMetadataILi1EEENS1_11ZeroFunctorIfLi1ELi1ELi0EEEJEEEvT_T0_DpT1_
    .private_segment_fixed_size: 0
    .sgpr_count:     22
    .sgpr_spill_count: 0
    .symbol:         _ZN2at6native12_GLOBAL__N_125multi_tensor_apply_kernelINS1_18TensorListMetadataILi1EEENS1_11ZeroFunctorIfLi1ELi1ELi0EEEJEEEvT_T0_DpT1_.kd
    .uniform_work_group_size: 1
    .uses_dynamic_stack: false
    .vgpr_count:     18
    .vgpr_spill_count: 0
    .wavefront_size: 32
  - .args:
      - .offset:         0
        .size:           3368
        .value_kind:     by_value
      - .offset:         3368
        .size:           1
        .value_kind:     by_value
      - .offset:         3376
        .size:           4
        .value_kind:     hidden_block_count_x
      - .offset:         3380
        .size:           4
        .value_kind:     hidden_block_count_y
      - .offset:         3384
        .size:           4
        .value_kind:     hidden_block_count_z
      - .offset:         3388
        .size:           2
        .value_kind:     hidden_group_size_x
      - .offset:         3390
        .size:           2
        .value_kind:     hidden_group_size_y
      - .offset:         3392
        .size:           2
        .value_kind:     hidden_group_size_z
      - .offset:         3394
        .size:           2
        .value_kind:     hidden_remainder_x
      - .offset:         3396
        .size:           2
        .value_kind:     hidden_remainder_y
      - .offset:         3398
        .size:           2
        .value_kind:     hidden_remainder_z
      - .offset:         3416
        .size:           8
        .value_kind:     hidden_global_offset_x
      - .offset:         3424
        .size:           8
        .value_kind:     hidden_global_offset_y
      - .offset:         3432
        .size:           8
        .value_kind:     hidden_global_offset_z
      - .offset:         3440
        .size:           2
        .value_kind:     hidden_grid_dims
    .group_segment_fixed_size: 0
    .kernarg_segment_align: 8
    .kernarg_segment_size: 3632
    .language:       OpenCL C
    .language_version:
      - 2
      - 0
    .max_flat_workgroup_size: 512
    .name:           _ZN2at6native12_GLOBAL__N_125multi_tensor_apply_kernelINS1_18TensorListMetadataILi1EEENS1_11ZeroFunctorIN3c107complexIdEELi1ELi1ELi0EEEJEEEvT_T0_DpT1_
    .private_segment_fixed_size: 0
    .sgpr_count:     22
    .sgpr_spill_count: 0
    .symbol:         _ZN2at6native12_GLOBAL__N_125multi_tensor_apply_kernelINS1_18TensorListMetadataILi1EEENS1_11ZeroFunctorIN3c107complexIdEELi1ELi1ELi0EEEJEEEvT_T0_DpT1_.kd
    .uniform_work_group_size: 1
    .uses_dynamic_stack: false
    .vgpr_count:     26
    .vgpr_spill_count: 0
    .wavefront_size: 32
  - .args:
      - .offset:         0
        .size:           3368
        .value_kind:     by_value
      - .offset:         3368
        .size:           1
        .value_kind:     by_value
      - .offset:         3376
        .size:           4
        .value_kind:     hidden_block_count_x
      - .offset:         3380
        .size:           4
        .value_kind:     hidden_block_count_y
      - .offset:         3384
        .size:           4
        .value_kind:     hidden_block_count_z
      - .offset:         3388
        .size:           2
        .value_kind:     hidden_group_size_x
      - .offset:         3390
        .size:           2
        .value_kind:     hidden_group_size_y
      - .offset:         3392
        .size:           2
        .value_kind:     hidden_group_size_z
      - .offset:         3394
        .size:           2
        .value_kind:     hidden_remainder_x
      - .offset:         3396
        .size:           2
        .value_kind:     hidden_remainder_y
      - .offset:         3398
        .size:           2
        .value_kind:     hidden_remainder_z
      - .offset:         3416
        .size:           8
        .value_kind:     hidden_global_offset_x
      - .offset:         3424
        .size:           8
        .value_kind:     hidden_global_offset_y
      - .offset:         3432
        .size:           8
        .value_kind:     hidden_global_offset_z
      - .offset:         3440
        .size:           2
        .value_kind:     hidden_grid_dims
    .group_segment_fixed_size: 0
    .kernarg_segment_align: 8
    .kernarg_segment_size: 3632
    .language:       OpenCL C
    .language_version:
      - 2
      - 0
    .max_flat_workgroup_size: 512
    .name:           _ZN2at6native12_GLOBAL__N_125multi_tensor_apply_kernelINS1_18TensorListMetadataILi1EEENS1_11ZeroFunctorIN3c107complexIfEELi1ELi1ELi0EEEJEEEvT_T0_DpT1_
    .private_segment_fixed_size: 0
    .sgpr_count:     22
    .sgpr_spill_count: 0
    .symbol:         _ZN2at6native12_GLOBAL__N_125multi_tensor_apply_kernelINS1_18TensorListMetadataILi1EEENS1_11ZeroFunctorIN3c107complexIfEELi1ELi1ELi0EEEJEEEvT_T0_DpT1_.kd
    .uniform_work_group_size: 1
    .uses_dynamic_stack: false
    .vgpr_count:     20
    .vgpr_spill_count: 0
    .wavefront_size: 32
  - .args:
      - .offset:         0
        .size:           3368
        .value_kind:     by_value
      - .offset:         3368
        .size:           1
        .value_kind:     by_value
      - .offset:         3376
        .size:           4
        .value_kind:     hidden_block_count_x
      - .offset:         3380
        .size:           4
        .value_kind:     hidden_block_count_y
      - .offset:         3384
        .size:           4
        .value_kind:     hidden_block_count_z
      - .offset:         3388
        .size:           2
        .value_kind:     hidden_group_size_x
      - .offset:         3390
        .size:           2
        .value_kind:     hidden_group_size_y
      - .offset:         3392
        .size:           2
        .value_kind:     hidden_group_size_z
      - .offset:         3394
        .size:           2
        .value_kind:     hidden_remainder_x
      - .offset:         3396
        .size:           2
        .value_kind:     hidden_remainder_y
      - .offset:         3398
        .size:           2
        .value_kind:     hidden_remainder_z
      - .offset:         3416
        .size:           8
        .value_kind:     hidden_global_offset_x
      - .offset:         3424
        .size:           8
        .value_kind:     hidden_global_offset_y
      - .offset:         3432
        .size:           8
        .value_kind:     hidden_global_offset_z
      - .offset:         3440
        .size:           2
        .value_kind:     hidden_grid_dims
    .group_segment_fixed_size: 0
    .kernarg_segment_align: 8
    .kernarg_segment_size: 3632
    .language:       OpenCL C
    .language_version:
      - 2
      - 0
    .max_flat_workgroup_size: 512
    .name:           _ZN2at6native12_GLOBAL__N_125multi_tensor_apply_kernelINS1_18TensorListMetadataILi1EEENS1_11ZeroFunctorIN3c104HalfELi1ELi1ELi0EEEJEEEvT_T0_DpT1_
    .private_segment_fixed_size: 0
    .sgpr_count:     20
    .sgpr_spill_count: 0
    .symbol:         _ZN2at6native12_GLOBAL__N_125multi_tensor_apply_kernelINS1_18TensorListMetadataILi1EEENS1_11ZeroFunctorIN3c104HalfELi1ELi1ELi0EEEJEEEvT_T0_DpT1_.kd
    .uniform_work_group_size: 1
    .uses_dynamic_stack: false
    .vgpr_count:     18
    .vgpr_spill_count: 0
    .wavefront_size: 32
  - .args:
      - .offset:         0
        .size:           3368
        .value_kind:     by_value
      - .offset:         3368
        .size:           1
        .value_kind:     by_value
      - .offset:         3376
        .size:           4
        .value_kind:     hidden_block_count_x
      - .offset:         3380
        .size:           4
        .value_kind:     hidden_block_count_y
      - .offset:         3384
        .size:           4
        .value_kind:     hidden_block_count_z
      - .offset:         3388
        .size:           2
        .value_kind:     hidden_group_size_x
      - .offset:         3390
        .size:           2
        .value_kind:     hidden_group_size_y
      - .offset:         3392
        .size:           2
        .value_kind:     hidden_group_size_z
      - .offset:         3394
        .size:           2
        .value_kind:     hidden_remainder_x
      - .offset:         3396
        .size:           2
        .value_kind:     hidden_remainder_y
      - .offset:         3398
        .size:           2
        .value_kind:     hidden_remainder_z
      - .offset:         3416
        .size:           8
        .value_kind:     hidden_global_offset_x
      - .offset:         3424
        .size:           8
        .value_kind:     hidden_global_offset_y
      - .offset:         3432
        .size:           8
        .value_kind:     hidden_global_offset_z
      - .offset:         3440
        .size:           2
        .value_kind:     hidden_grid_dims
    .group_segment_fixed_size: 0
    .kernarg_segment_align: 8
    .kernarg_segment_size: 3632
    .language:       OpenCL C
    .language_version:
      - 2
      - 0
    .max_flat_workgroup_size: 512
    .name:           _ZN2at6native12_GLOBAL__N_125multi_tensor_apply_kernelINS1_18TensorListMetadataILi1EEENS1_11ZeroFunctorIN3c108BFloat16ELi1ELi1ELi0EEEJEEEvT_T0_DpT1_
    .private_segment_fixed_size: 0
    .sgpr_count:     20
    .sgpr_spill_count: 0
    .symbol:         _ZN2at6native12_GLOBAL__N_125multi_tensor_apply_kernelINS1_18TensorListMetadataILi1EEENS1_11ZeroFunctorIN3c108BFloat16ELi1ELi1ELi0EEEJEEEvT_T0_DpT1_.kd
    .uniform_work_group_size: 1
    .uses_dynamic_stack: false
    .vgpr_count:     18
    .vgpr_spill_count: 0
    .wavefront_size: 32
  - .args:
      - .offset:         0
        .size:           3368
        .value_kind:     by_value
      - .offset:         3368
        .size:           1
        .value_kind:     by_value
      - .offset:         3376
        .size:           4
        .value_kind:     hidden_block_count_x
      - .offset:         3380
        .size:           4
        .value_kind:     hidden_block_count_y
      - .offset:         3384
        .size:           4
        .value_kind:     hidden_block_count_z
      - .offset:         3388
        .size:           2
        .value_kind:     hidden_group_size_x
      - .offset:         3390
        .size:           2
        .value_kind:     hidden_group_size_y
      - .offset:         3392
        .size:           2
        .value_kind:     hidden_group_size_z
      - .offset:         3394
        .size:           2
        .value_kind:     hidden_remainder_x
      - .offset:         3396
        .size:           2
        .value_kind:     hidden_remainder_y
      - .offset:         3398
        .size:           2
        .value_kind:     hidden_remainder_z
      - .offset:         3416
        .size:           8
        .value_kind:     hidden_global_offset_x
      - .offset:         3424
        .size:           8
        .value_kind:     hidden_global_offset_y
      - .offset:         3432
        .size:           8
        .value_kind:     hidden_global_offset_z
      - .offset:         3440
        .size:           2
        .value_kind:     hidden_grid_dims
    .group_segment_fixed_size: 0
    .kernarg_segment_align: 8
    .kernarg_segment_size: 3632
    .language:       OpenCL C
    .language_version:
      - 2
      - 0
    .max_flat_workgroup_size: 512
    .name:           _ZN2at6native12_GLOBAL__N_125multi_tensor_apply_kernelINS1_18TensorListMetadataILi1EEENS1_11ZeroFunctorIbLi1ELi1ELi0EEEJEEEvT_T0_DpT1_
    .private_segment_fixed_size: 0
    .sgpr_count:     20
    .sgpr_spill_count: 0
    .symbol:         _ZN2at6native12_GLOBAL__N_125multi_tensor_apply_kernelINS1_18TensorListMetadataILi1EEENS1_11ZeroFunctorIbLi1ELi1ELi0EEEJEEEvT_T0_DpT1_.kd
    .uniform_work_group_size: 1
    .uses_dynamic_stack: false
    .vgpr_count:     22
    .vgpr_spill_count: 0
    .wavefront_size: 32
amdhsa.target:   amdgcn-amd-amdhsa--gfx1250
amdhsa.version:
  - 1
  - 2
...

	.end_amdgpu_metadata
